;; amdgpu-corpus repo=ROCm/rocSOLVER kind=compiled arch=gfx1030 opt=O3
	.amdgcn_target "amdgcn-amd-amdhsa--gfx1030"
	.amdhsa_code_object_version 6
	.section	.text._ZN9rocsolver6v33100L18getf2_small_kernelILi1E19rocblas_complex_numIdEiiPS3_EEvT1_T3_lS5_lPS5_llPT2_S5_S5_S7_l,"axG",@progbits,_ZN9rocsolver6v33100L18getf2_small_kernelILi1E19rocblas_complex_numIdEiiPS3_EEvT1_T3_lS5_lPS5_llPT2_S5_S5_S7_l,comdat
	.globl	_ZN9rocsolver6v33100L18getf2_small_kernelILi1E19rocblas_complex_numIdEiiPS3_EEvT1_T3_lS5_lPS5_llPT2_S5_S5_S7_l ; -- Begin function _ZN9rocsolver6v33100L18getf2_small_kernelILi1E19rocblas_complex_numIdEiiPS3_EEvT1_T3_lS5_lPS5_llPT2_S5_S5_S7_l
	.p2align	8
	.type	_ZN9rocsolver6v33100L18getf2_small_kernelILi1E19rocblas_complex_numIdEiiPS3_EEvT1_T3_lS5_lPS5_llPT2_S5_S5_S7_l,@function
_ZN9rocsolver6v33100L18getf2_small_kernelILi1E19rocblas_complex_numIdEiiPS3_EEvT1_T3_lS5_lPS5_llPT2_S5_S5_S7_l: ; @_ZN9rocsolver6v33100L18getf2_small_kernelILi1E19rocblas_complex_numIdEiiPS3_EEvT1_T3_lS5_lPS5_llPT2_S5_S5_S7_l
; %bb.0:
	s_clause 0x1
	s_load_dword s0, s[4:5], 0x6c
	s_load_dwordx2 s[16:17], s[4:5], 0x48
	s_waitcnt lgkmcnt(0)
	s_lshr_b32 s0, s0, 16
	v_mad_u64_u32 v[10:11], null, s7, s0, v[1:2]
	s_mov_b32 s0, exec_lo
	v_cmpx_gt_i32_e64 s16, v10
	s_cbranch_execz .LBB0_29
; %bb.1:
	s_load_dwordx4 s[0:3], s[4:5], 0x50
	v_ashrrev_i32_e32 v11, 31, v10
	s_waitcnt lgkmcnt(0)
	s_cmp_lg_u64 s[0:1], 0
	s_cselect_b32 s6, -1, 0
	s_cmp_eq_u64 s[0:1], 0
	s_cbranch_scc1 .LBB0_3
; %bb.2:
	v_mul_lo_u32 v4, s3, v10
	v_mul_lo_u32 v5, s2, v11
	v_mad_u64_u32 v[2:3], null, s2, v10, 0
	v_add3_u32 v3, v3, v5, v4
	v_lshlrev_b64 v[2:3], 2, v[2:3]
	v_add_co_u32 v12, vcc_lo, s0, v2
	v_add_co_ci_u32_e64 v13, null, s1, v3, vcc_lo
	s_branch .LBB0_4
.LBB0_3:
	v_mov_b32_e32 v12, 0
	v_mov_b32_e32 v13, 0
.LBB0_4:
	s_clause 0x1
	s_load_dwordx8 s[8:15], s[4:5], 0x20
	s_load_dwordx4 s[0:3], s[4:5], 0x8
	v_lshlrev_b32_e32 v6, 4, v0
	v_mov_b32_e32 v14, 0
	s_waitcnt lgkmcnt(0)
	v_mul_lo_u32 v4, s9, v10
	v_mul_lo_u32 v5, s8, v11
	v_mad_u64_u32 v[2:3], null, s8, v10, 0
	v_add3_u32 v3, v3, v5, v4
	v_lshlrev_b64 v[2:3], 4, v[2:3]
	v_add_co_u32 v2, vcc_lo, s0, v2
	v_add_co_ci_u32_e64 v3, null, s1, v3, vcc_lo
	s_lshl_b64 s[0:1], s[2:3], 4
	s_load_dwordx2 s[2:3], s[4:5], 0x40
	v_add_co_u32 v17, vcc_lo, v2, s0
	v_add_co_ci_u32_e64 v18, null, s1, v3, vcc_lo
	s_load_dword s1, s[4:5], 0x0
	v_add_co_u32 v2, vcc_lo, v17, v6
	v_add_co_ci_u32_e64 v3, null, 0, v18, vcc_lo
	s_mov_b32 s4, 1
	global_load_dwordx4 v[2:5], v[2:3], off
	s_waitcnt lgkmcnt(0)
	s_max_i32 s0, s1, 1
	s_cmp_lt_i32 s1, 2
	v_mul_lo_u32 v1, s0, v1
	v_lshl_add_u32 v7, v1, 4, 0
	v_add_nc_u32_e32 v6, v7, v6
	s_waitcnt vmcnt(0)
	ds_write2_b64 v6, v[2:3], v[4:5] offset1:1
	s_waitcnt lgkmcnt(0)
	s_barrier
	buffer_gl0_inv
	ds_read2_b64 v[6:9], v7 offset1:1
	s_cbranch_scc1 .LBB0_7
; %bb.5:
	v_lshlrev_b32_e32 v1, 4, v1
	v_mov_b32_e32 v14, 0
	v_add3_u32 v1, v1, 0, 16
	s_inst_prefetch 0x1
	.p2align	6
.LBB0_6:                                ; =>This Inner Loop Header: Depth=1
	s_waitcnt lgkmcnt(0)
	v_cmp_gt_f64_e32 vcc_lo, 0, v[8:9]
	v_cmp_gt_f64_e64 s0, 0, v[6:7]
	ds_read2_b64 v[19:22], v1 offset1:1
	v_xor_b32_e32 v16, 0x80000000, v7
	v_xor_b32_e32 v24, 0x80000000, v9
	v_mov_b32_e32 v15, v6
	v_mov_b32_e32 v23, v8
	v_add_nc_u32_e32 v1, 16, v1
	s_waitcnt lgkmcnt(0)
	v_xor_b32_e32 v26, 0x80000000, v22
	v_cndmask_b32_e64 v16, v7, v16, s0
	v_cndmask_b32_e32 v24, v9, v24, vcc_lo
	v_cmp_gt_f64_e32 vcc_lo, 0, v[21:22]
	v_cmp_gt_f64_e64 s0, 0, v[19:20]
	v_mov_b32_e32 v25, v21
	v_add_f64 v[15:16], v[15:16], v[23:24]
	v_xor_b32_e32 v24, 0x80000000, v20
	v_mov_b32_e32 v23, v19
	v_cndmask_b32_e32 v26, v22, v26, vcc_lo
	v_cndmask_b32_e64 v24, v20, v24, s0
	v_add_f64 v[23:24], v[23:24], v[25:26]
	v_cmp_lt_f64_e32 vcc_lo, v[15:16], v[23:24]
	v_cndmask_b32_e32 v7, v7, v20, vcc_lo
	v_cndmask_b32_e32 v6, v6, v19, vcc_lo
	;; [unrolled: 1-line block ×4, first 2 shown]
	v_cndmask_b32_e64 v14, v14, s4, vcc_lo
	s_add_i32 s4, s4, 1
	s_cmp_eq_u32 s1, s4
	s_cbranch_scc0 .LBB0_6
.LBB0_7:
	s_inst_prefetch 0x2
	s_waitcnt lgkmcnt(0)
	v_cmp_eq_f64_e32 vcc_lo, 0, v[6:7]
	v_cmp_eq_f64_e64 s0, 0, v[8:9]
	s_and_b32 s0, vcc_lo, s0
	s_xor_b32 s4, s0, -1
	s_and_saveexec_b32 s1, s4
	s_cbranch_execz .LBB0_13
; %bb.8:
	v_cmp_ngt_f64_e64 s4, |v[6:7]|, |v[8:9]|
	s_and_saveexec_b32 s5, s4
	s_xor_b32 s4, exec_lo, s5
	s_cbranch_execz .LBB0_10
; %bb.9:
	v_div_scale_f64 v[15:16], null, v[8:9], v[8:9], v[6:7]
	v_div_scale_f64 v[23:24], vcc_lo, v[6:7], v[8:9], v[6:7]
	v_rcp_f64_e32 v[19:20], v[15:16]
	v_fma_f64 v[21:22], -v[15:16], v[19:20], 1.0
	v_fma_f64 v[19:20], v[19:20], v[21:22], v[19:20]
	v_fma_f64 v[21:22], -v[15:16], v[19:20], 1.0
	v_fma_f64 v[19:20], v[19:20], v[21:22], v[19:20]
	v_mul_f64 v[21:22], v[23:24], v[19:20]
	v_fma_f64 v[15:16], -v[15:16], v[21:22], v[23:24]
	v_div_fmas_f64 v[15:16], v[15:16], v[19:20], v[21:22]
	v_div_fixup_f64 v[15:16], v[15:16], v[8:9], v[6:7]
	v_fma_f64 v[6:7], v[6:7], v[15:16], v[8:9]
	v_div_scale_f64 v[8:9], null, v[6:7], v[6:7], 1.0
	v_rcp_f64_e32 v[19:20], v[8:9]
	v_fma_f64 v[21:22], -v[8:9], v[19:20], 1.0
	v_fma_f64 v[19:20], v[19:20], v[21:22], v[19:20]
	v_fma_f64 v[21:22], -v[8:9], v[19:20], 1.0
	v_fma_f64 v[19:20], v[19:20], v[21:22], v[19:20]
	v_div_scale_f64 v[21:22], vcc_lo, 1.0, v[6:7], 1.0
	v_mul_f64 v[23:24], v[21:22], v[19:20]
	v_fma_f64 v[8:9], -v[8:9], v[23:24], v[21:22]
	v_div_fmas_f64 v[8:9], v[8:9], v[19:20], v[23:24]
	v_div_fixup_f64 v[8:9], v[8:9], v[6:7], 1.0
	v_mul_f64 v[6:7], v[15:16], v[8:9]
	v_xor_b32_e32 v9, 0x80000000, v9
.LBB0_10:
	s_andn2_saveexec_b32 s4, s4
	s_cbranch_execz .LBB0_12
; %bb.11:
	v_div_scale_f64 v[15:16], null, v[6:7], v[6:7], v[8:9]
	v_div_scale_f64 v[23:24], vcc_lo, v[8:9], v[6:7], v[8:9]
	v_rcp_f64_e32 v[19:20], v[15:16]
	v_fma_f64 v[21:22], -v[15:16], v[19:20], 1.0
	v_fma_f64 v[19:20], v[19:20], v[21:22], v[19:20]
	v_fma_f64 v[21:22], -v[15:16], v[19:20], 1.0
	v_fma_f64 v[19:20], v[19:20], v[21:22], v[19:20]
	v_mul_f64 v[21:22], v[23:24], v[19:20]
	v_fma_f64 v[15:16], -v[15:16], v[21:22], v[23:24]
	v_div_fmas_f64 v[15:16], v[15:16], v[19:20], v[21:22]
	v_div_fixup_f64 v[15:16], v[15:16], v[6:7], v[8:9]
	v_fma_f64 v[6:7], v[8:9], v[15:16], v[6:7]
	v_div_scale_f64 v[8:9], null, v[6:7], v[6:7], 1.0
	v_rcp_f64_e32 v[19:20], v[8:9]
	v_fma_f64 v[21:22], -v[8:9], v[19:20], 1.0
	v_fma_f64 v[19:20], v[19:20], v[21:22], v[19:20]
	v_fma_f64 v[21:22], -v[8:9], v[19:20], 1.0
	v_fma_f64 v[19:20], v[19:20], v[21:22], v[19:20]
	v_div_scale_f64 v[21:22], vcc_lo, 1.0, v[6:7], 1.0
	v_mul_f64 v[23:24], v[21:22], v[19:20]
	v_fma_f64 v[8:9], -v[8:9], v[23:24], v[21:22]
	v_div_fmas_f64 v[8:9], v[8:9], v[19:20], v[23:24]
	v_div_fixup_f64 v[6:7], v[8:9], v[6:7], 1.0
	v_mul_f64 v[8:9], v[15:16], -v[6:7]
.LBB0_12:
	s_or_b32 exec_lo, exec_lo, s4
.LBB0_13:
	s_or_b32 exec_lo, exec_lo, s1
	v_add_nc_u32_e32 v1, 1, v0
	v_mov_b32_e32 v15, 0
	s_mov_b32 s1, exec_lo
	v_cmpx_ne_u32_e64 v0, v14
	s_cbranch_execz .LBB0_21
; %bb.14:
	s_mov_b32 s4, exec_lo
	v_cmpx_eq_u32_e32 0, v0
	s_cbranch_execz .LBB0_20
; %bb.15:
	v_add_nc_u32_e32 v1, 1, v14
	s_andn2_b32 vcc_lo, exec_lo, s6
	s_cbranch_vccnz .LBB0_19
; %bb.16:
	v_mov_b32_e32 v0, 0
	v_mov_b32_e32 v15, 1
	s_mov_b32 s5, exec_lo
	v_cmpx_ne_u32_e32 0, v14
	s_cbranch_execz .LBB0_18
; %bb.17:
	v_mov_b32_e32 v15, 0
	v_mov_b32_e32 v0, v14
	v_lshlrev_b64 v[15:16], 2, v[14:15]
	v_add_co_u32 v19, vcc_lo, v12, v15
	v_add_co_ci_u32_e64 v20, null, v13, v16, vcc_lo
	v_mov_b32_e32 v15, v1
	s_clause 0x1
	global_load_dword v16, v[19:20], off
	global_load_dword v21, v[12:13], off
	s_waitcnt vmcnt(1)
	global_store_dword v[12:13], v16, off
	s_waitcnt vmcnt(0)
	global_store_dword v[19:20], v21, off
.LBB0_18:
	s_or_b32 exec_lo, exec_lo, s5
	v_mov_b32_e32 v14, v0
	v_mov_b32_e32 v1, v15
.LBB0_19:
	v_mov_b32_e32 v0, v14
.LBB0_20:
	s_or_b32 exec_lo, exec_lo, s4
	v_mov_b32_e32 v15, v0
.LBB0_21:
	s_or_b32 exec_lo, exec_lo, s1
	s_mov_b32 s1, exec_lo
	s_waitcnt_vscnt null, 0x0
	s_barrier
	buffer_gl0_inv
	v_cmpx_lt_i32_e32 0, v15
	s_cbranch_execz .LBB0_23
; %bb.22:
	v_mul_f64 v[12:13], v[4:5], v[8:9]
	v_mul_f64 v[8:9], v[2:3], v[8:9]
	v_fma_f64 v[2:3], v[2:3], v[6:7], -v[12:13]
	v_fma_f64 v[4:5], v[4:5], v[6:7], v[8:9]
.LBB0_23:
	s_or_b32 exec_lo, exec_lo, s1
	v_ashrrev_i32_e32 v16, 31, v15
	s_mov_b32 s1, exec_lo
	s_barrier
	buffer_gl0_inv
	v_cmpx_gt_i32_e32 1, v15
	s_cbranch_execz .LBB0_25
; %bb.24:
	v_mul_lo_u32 v0, s15, v10
	v_mul_lo_u32 v8, s14, v11
	v_mad_u64_u32 v[6:7], null, s14, v10, 0
	s_lshl_b64 s[4:5], s[12:13], 2
	v_add3_u32 v7, v7, v8, v0
	v_lshlrev_b64 v[6:7], 2, v[6:7]
	v_add_co_u32 v0, vcc_lo, s10, v6
	v_add_co_ci_u32_e64 v8, null, s11, v7, vcc_lo
	v_lshlrev_b64 v[6:7], 2, v[15:16]
	v_add_co_u32 v0, vcc_lo, v0, s4
	v_add_co_ci_u32_e64 v8, null, s5, v8, vcc_lo
	v_add_co_u32 v6, vcc_lo, v0, v6
	v_add_co_ci_u32_e64 v7, null, v8, v7, vcc_lo
	v_add_nc_u32_e32 v0, s17, v1
	global_store_dword v[6:7], v0, off
.LBB0_25:
	s_or_b32 exec_lo, exec_lo, s1
	s_mov_b32 s1, exec_lo
	v_cmpx_eq_u32_e32 0, v15
	s_cbranch_execz .LBB0_28
; %bb.26:
	v_lshlrev_b64 v[0:1], 2, v[10:11]
	v_add_co_u32 v0, vcc_lo, s2, v0
	v_add_co_ci_u32_e64 v1, null, s3, v1, vcc_lo
	global_load_dword v6, v[0:1], off
	s_waitcnt vmcnt(0)
	v_cmp_eq_u32_e32 vcc_lo, 0, v6
	s_and_b32 s0, vcc_lo, s0
	s_and_b32 exec_lo, exec_lo, s0
	s_cbranch_execz .LBB0_28
; %bb.27:
	s_add_i32 s0, s17, 1
	v_mov_b32_e32 v6, s0
	global_store_dword v[0:1], v6, off
.LBB0_28:
	s_or_b32 exec_lo, exec_lo, s1
	v_lshlrev_b64 v[0:1], 4, v[15:16]
	v_add_co_u32 v0, vcc_lo, v17, v0
	v_add_co_ci_u32_e64 v1, null, v18, v1, vcc_lo
	global_store_dwordx4 v[0:1], v[2:5], off
.LBB0_29:
	s_endpgm
	.section	.rodata,"a",@progbits
	.p2align	6, 0x0
	.amdhsa_kernel _ZN9rocsolver6v33100L18getf2_small_kernelILi1E19rocblas_complex_numIdEiiPS3_EEvT1_T3_lS5_lPS5_llPT2_S5_S5_S7_l
		.amdhsa_group_segment_fixed_size 0
		.amdhsa_private_segment_fixed_size 0
		.amdhsa_kernarg_size 352
		.amdhsa_user_sgpr_count 6
		.amdhsa_user_sgpr_private_segment_buffer 1
		.amdhsa_user_sgpr_dispatch_ptr 0
		.amdhsa_user_sgpr_queue_ptr 0
		.amdhsa_user_sgpr_kernarg_segment_ptr 1
		.amdhsa_user_sgpr_dispatch_id 0
		.amdhsa_user_sgpr_flat_scratch_init 0
		.amdhsa_user_sgpr_private_segment_size 0
		.amdhsa_wavefront_size32 1
		.amdhsa_uses_dynamic_stack 0
		.amdhsa_system_sgpr_private_segment_wavefront_offset 0
		.amdhsa_system_sgpr_workgroup_id_x 1
		.amdhsa_system_sgpr_workgroup_id_y 1
		.amdhsa_system_sgpr_workgroup_id_z 0
		.amdhsa_system_sgpr_workgroup_info 0
		.amdhsa_system_vgpr_workitem_id 1
		.amdhsa_next_free_vgpr 27
		.amdhsa_next_free_sgpr 18
		.amdhsa_reserve_vcc 1
		.amdhsa_reserve_flat_scratch 0
		.amdhsa_float_round_mode_32 0
		.amdhsa_float_round_mode_16_64 0
		.amdhsa_float_denorm_mode_32 3
		.amdhsa_float_denorm_mode_16_64 3
		.amdhsa_dx10_clamp 1
		.amdhsa_ieee_mode 1
		.amdhsa_fp16_overflow 0
		.amdhsa_workgroup_processor_mode 1
		.amdhsa_memory_ordered 1
		.amdhsa_forward_progress 1
		.amdhsa_shared_vgpr_count 0
		.amdhsa_exception_fp_ieee_invalid_op 0
		.amdhsa_exception_fp_denorm_src 0
		.amdhsa_exception_fp_ieee_div_zero 0
		.amdhsa_exception_fp_ieee_overflow 0
		.amdhsa_exception_fp_ieee_underflow 0
		.amdhsa_exception_fp_ieee_inexact 0
		.amdhsa_exception_int_div_zero 0
	.end_amdhsa_kernel
	.section	.text._ZN9rocsolver6v33100L18getf2_small_kernelILi1E19rocblas_complex_numIdEiiPS3_EEvT1_T3_lS5_lPS5_llPT2_S5_S5_S7_l,"axG",@progbits,_ZN9rocsolver6v33100L18getf2_small_kernelILi1E19rocblas_complex_numIdEiiPS3_EEvT1_T3_lS5_lPS5_llPT2_S5_S5_S7_l,comdat
.Lfunc_end0:
	.size	_ZN9rocsolver6v33100L18getf2_small_kernelILi1E19rocblas_complex_numIdEiiPS3_EEvT1_T3_lS5_lPS5_llPT2_S5_S5_S7_l, .Lfunc_end0-_ZN9rocsolver6v33100L18getf2_small_kernelILi1E19rocblas_complex_numIdEiiPS3_EEvT1_T3_lS5_lPS5_llPT2_S5_S5_S7_l
                                        ; -- End function
	.set _ZN9rocsolver6v33100L18getf2_small_kernelILi1E19rocblas_complex_numIdEiiPS3_EEvT1_T3_lS5_lPS5_llPT2_S5_S5_S7_l.num_vgpr, 27
	.set _ZN9rocsolver6v33100L18getf2_small_kernelILi1E19rocblas_complex_numIdEiiPS3_EEvT1_T3_lS5_lPS5_llPT2_S5_S5_S7_l.num_agpr, 0
	.set _ZN9rocsolver6v33100L18getf2_small_kernelILi1E19rocblas_complex_numIdEiiPS3_EEvT1_T3_lS5_lPS5_llPT2_S5_S5_S7_l.numbered_sgpr, 18
	.set _ZN9rocsolver6v33100L18getf2_small_kernelILi1E19rocblas_complex_numIdEiiPS3_EEvT1_T3_lS5_lPS5_llPT2_S5_S5_S7_l.num_named_barrier, 0
	.set _ZN9rocsolver6v33100L18getf2_small_kernelILi1E19rocblas_complex_numIdEiiPS3_EEvT1_T3_lS5_lPS5_llPT2_S5_S5_S7_l.private_seg_size, 0
	.set _ZN9rocsolver6v33100L18getf2_small_kernelILi1E19rocblas_complex_numIdEiiPS3_EEvT1_T3_lS5_lPS5_llPT2_S5_S5_S7_l.uses_vcc, 1
	.set _ZN9rocsolver6v33100L18getf2_small_kernelILi1E19rocblas_complex_numIdEiiPS3_EEvT1_T3_lS5_lPS5_llPT2_S5_S5_S7_l.uses_flat_scratch, 0
	.set _ZN9rocsolver6v33100L18getf2_small_kernelILi1E19rocblas_complex_numIdEiiPS3_EEvT1_T3_lS5_lPS5_llPT2_S5_S5_S7_l.has_dyn_sized_stack, 0
	.set _ZN9rocsolver6v33100L18getf2_small_kernelILi1E19rocblas_complex_numIdEiiPS3_EEvT1_T3_lS5_lPS5_llPT2_S5_S5_S7_l.has_recursion, 0
	.set _ZN9rocsolver6v33100L18getf2_small_kernelILi1E19rocblas_complex_numIdEiiPS3_EEvT1_T3_lS5_lPS5_llPT2_S5_S5_S7_l.has_indirect_call, 0
	.section	.AMDGPU.csdata,"",@progbits
; Kernel info:
; codeLenInByte = 1572
; TotalNumSgprs: 20
; NumVgprs: 27
; ScratchSize: 0
; MemoryBound: 0
; FloatMode: 240
; IeeeMode: 1
; LDSByteSize: 0 bytes/workgroup (compile time only)
; SGPRBlocks: 0
; VGPRBlocks: 3
; NumSGPRsForWavesPerEU: 20
; NumVGPRsForWavesPerEU: 27
; Occupancy: 16
; WaveLimiterHint : 0
; COMPUTE_PGM_RSRC2:SCRATCH_EN: 0
; COMPUTE_PGM_RSRC2:USER_SGPR: 6
; COMPUTE_PGM_RSRC2:TRAP_HANDLER: 0
; COMPUTE_PGM_RSRC2:TGID_X_EN: 1
; COMPUTE_PGM_RSRC2:TGID_Y_EN: 1
; COMPUTE_PGM_RSRC2:TGID_Z_EN: 0
; COMPUTE_PGM_RSRC2:TIDIG_COMP_CNT: 1
	.section	.text._ZN9rocsolver6v33100L23getf2_npvt_small_kernelILi1E19rocblas_complex_numIdEiiPS3_EEvT1_T3_lS5_lPT2_S5_S5_,"axG",@progbits,_ZN9rocsolver6v33100L23getf2_npvt_small_kernelILi1E19rocblas_complex_numIdEiiPS3_EEvT1_T3_lS5_lPT2_S5_S5_,comdat
	.globl	_ZN9rocsolver6v33100L23getf2_npvt_small_kernelILi1E19rocblas_complex_numIdEiiPS3_EEvT1_T3_lS5_lPT2_S5_S5_ ; -- Begin function _ZN9rocsolver6v33100L23getf2_npvt_small_kernelILi1E19rocblas_complex_numIdEiiPS3_EEvT1_T3_lS5_lPT2_S5_S5_
	.p2align	8
	.type	_ZN9rocsolver6v33100L23getf2_npvt_small_kernelILi1E19rocblas_complex_numIdEiiPS3_EEvT1_T3_lS5_lPT2_S5_S5_,@function
_ZN9rocsolver6v33100L23getf2_npvt_small_kernelILi1E19rocblas_complex_numIdEiiPS3_EEvT1_T3_lS5_lPT2_S5_S5_: ; @_ZN9rocsolver6v33100L23getf2_npvt_small_kernelILi1E19rocblas_complex_numIdEiiPS3_EEvT1_T3_lS5_lPT2_S5_S5_
; %bb.0:
	s_clause 0x1
	s_load_dword s0, s[4:5], 0x44
	s_load_dwordx2 s[2:3], s[4:5], 0x30
	s_mov_b32 s1, exec_lo
	s_waitcnt lgkmcnt(0)
	s_lshr_b32 s0, s0, 16
	v_mad_u64_u32 v[10:11], null, s7, s0, v[1:2]
	v_cmpx_gt_i32_e64 s2, v10
	s_cbranch_execz .LBB1_14
; %bb.1:
	s_load_dwordx4 s[8:11], s[4:5], 0x20
	v_ashrrev_i32_e32 v11, 31, v10
	s_load_dwordx4 s[4:7], s[4:5], 0x8
	v_lshlrev_b32_e32 v1, 4, v1
	s_lshl_b32 s2, s0, 4
	v_cmp_ne_u32_e64 s1, 0, v0
	v_cmp_eq_u32_e64 s0, 0, v0
	v_add3_u32 v8, 0, s2, v1
	s_waitcnt lgkmcnt(0)
	v_mul_lo_u32 v4, s9, v10
	v_mul_lo_u32 v5, s8, v11
	v_mad_u64_u32 v[2:3], null, s8, v10, 0
	v_add3_u32 v3, v3, v5, v4
	v_lshlrev_b32_e32 v4, 4, v0
	v_lshlrev_b64 v[2:3], 4, v[2:3]
	v_add_co_u32 v2, vcc_lo, s4, v2
	v_add_co_ci_u32_e64 v3, null, s5, v3, vcc_lo
	s_lshl_b64 s[4:5], s[6:7], 4
	v_add_co_u32 v2, vcc_lo, v2, s4
	v_add_co_ci_u32_e64 v3, null, s5, v3, vcc_lo
	v_add_co_u32 v12, vcc_lo, v2, v4
	v_add_co_ci_u32_e64 v13, null, 0, v3, vcc_lo
	global_load_dwordx4 v[2:5], v[12:13], off
	s_and_saveexec_b32 s4, s0
	s_cbranch_execz .LBB1_8
; %bb.2:
	s_waitcnt vmcnt(0)
	v_cmp_neq_f64_e32 vcc_lo, 0, v[2:3]
	v_cmp_neq_f64_e64 s2, 0, v[4:5]
	ds_write2_b64 v8, v[2:3], v[4:5] offset1:1
	s_or_b32 s2, vcc_lo, s2
	s_and_b32 exec_lo, exec_lo, s2
	s_cbranch_execz .LBB1_8
; %bb.3:
	v_cmp_ngt_f64_e64 s2, |v[2:3]|, |v[4:5]|
                                        ; implicit-def: $vgpr0_vgpr1
	s_and_saveexec_b32 s5, s2
	s_xor_b32 s2, exec_lo, s5
                                        ; implicit-def: $vgpr6_vgpr7
	s_cbranch_execz .LBB1_5
; %bb.4:
	v_div_scale_f64 v[0:1], null, v[4:5], v[4:5], v[2:3]
	v_div_scale_f64 v[16:17], vcc_lo, v[2:3], v[4:5], v[2:3]
	v_rcp_f64_e32 v[6:7], v[0:1]
	v_fma_f64 v[14:15], -v[0:1], v[6:7], 1.0
	v_fma_f64 v[6:7], v[6:7], v[14:15], v[6:7]
	v_fma_f64 v[14:15], -v[0:1], v[6:7], 1.0
	v_fma_f64 v[6:7], v[6:7], v[14:15], v[6:7]
	v_mul_f64 v[14:15], v[16:17], v[6:7]
	v_fma_f64 v[0:1], -v[0:1], v[14:15], v[16:17]
	v_div_fmas_f64 v[0:1], v[0:1], v[6:7], v[14:15]
	v_div_fixup_f64 v[0:1], v[0:1], v[4:5], v[2:3]
	v_fma_f64 v[6:7], v[2:3], v[0:1], v[4:5]
	v_div_scale_f64 v[14:15], null, v[6:7], v[6:7], 1.0
	v_rcp_f64_e32 v[16:17], v[14:15]
	v_fma_f64 v[18:19], -v[14:15], v[16:17], 1.0
	v_fma_f64 v[16:17], v[16:17], v[18:19], v[16:17]
	v_fma_f64 v[18:19], -v[14:15], v[16:17], 1.0
	v_fma_f64 v[16:17], v[16:17], v[18:19], v[16:17]
	v_div_scale_f64 v[18:19], vcc_lo, 1.0, v[6:7], 1.0
	v_mul_f64 v[20:21], v[18:19], v[16:17]
	v_fma_f64 v[14:15], -v[14:15], v[20:21], v[18:19]
	v_div_fmas_f64 v[14:15], v[14:15], v[16:17], v[20:21]
	v_div_fixup_f64 v[6:7], v[14:15], v[6:7], 1.0
	v_mul_f64 v[0:1], v[0:1], v[6:7]
	v_xor_b32_e32 v7, 0x80000000, v7
.LBB1_5:
	s_andn2_saveexec_b32 s2, s2
	s_cbranch_execz .LBB1_7
; %bb.6:
	v_div_scale_f64 v[0:1], null, v[2:3], v[2:3], v[4:5]
	v_div_scale_f64 v[16:17], vcc_lo, v[4:5], v[2:3], v[4:5]
	v_rcp_f64_e32 v[6:7], v[0:1]
	v_fma_f64 v[14:15], -v[0:1], v[6:7], 1.0
	v_fma_f64 v[6:7], v[6:7], v[14:15], v[6:7]
	v_fma_f64 v[14:15], -v[0:1], v[6:7], 1.0
	v_fma_f64 v[6:7], v[6:7], v[14:15], v[6:7]
	v_mul_f64 v[14:15], v[16:17], v[6:7]
	v_fma_f64 v[0:1], -v[0:1], v[14:15], v[16:17]
	v_div_fmas_f64 v[0:1], v[0:1], v[6:7], v[14:15]
	v_div_fixup_f64 v[6:7], v[0:1], v[2:3], v[4:5]
	v_fma_f64 v[0:1], v[4:5], v[6:7], v[2:3]
	v_div_scale_f64 v[14:15], null, v[0:1], v[0:1], 1.0
	v_rcp_f64_e32 v[16:17], v[14:15]
	v_fma_f64 v[18:19], -v[14:15], v[16:17], 1.0
	v_fma_f64 v[16:17], v[16:17], v[18:19], v[16:17]
	v_fma_f64 v[18:19], -v[14:15], v[16:17], 1.0
	v_fma_f64 v[16:17], v[16:17], v[18:19], v[16:17]
	v_div_scale_f64 v[18:19], vcc_lo, 1.0, v[0:1], 1.0
	v_mul_f64 v[20:21], v[18:19], v[16:17]
	v_fma_f64 v[14:15], -v[14:15], v[20:21], v[18:19]
	v_div_fmas_f64 v[14:15], v[14:15], v[16:17], v[20:21]
	v_div_fixup_f64 v[0:1], v[14:15], v[0:1], 1.0
	v_mul_f64 v[6:7], v[6:7], -v[0:1]
.LBB1_7:
	s_or_b32 exec_lo, exec_lo, s2
	ds_write2_b64 v8, v[0:1], v[6:7] offset1:1
.LBB1_8:
	s_or_b32 exec_lo, exec_lo, s4
	s_waitcnt vmcnt(0) lgkmcnt(0)
	s_barrier
	buffer_gl0_inv
	ds_read2_b64 v[6:9], v8 offset1:1
	s_and_saveexec_b32 s2, s1
	s_cbranch_execz .LBB1_10
; %bb.9:
	s_waitcnt lgkmcnt(0)
	v_mul_f64 v[0:1], v[4:5], v[8:9]
	v_mul_f64 v[14:15], v[2:3], v[8:9]
	v_fma_f64 v[2:3], v[2:3], v[6:7], -v[0:1]
	v_fma_f64 v[4:5], v[4:5], v[6:7], v[14:15]
.LBB1_10:
	s_or_b32 exec_lo, exec_lo, s2
	s_waitcnt lgkmcnt(0)
	s_barrier
	buffer_gl0_inv
	s_and_saveexec_b32 s2, s0
	s_cbranch_execz .LBB1_13
; %bb.11:
	v_lshlrev_b64 v[0:1], 2, v[10:11]
	v_cmp_eq_f64_e64 s0, 0, v[8:9]
	v_add_co_u32 v0, vcc_lo, s10, v0
	v_add_co_ci_u32_e64 v1, null, s11, v1, vcc_lo
	v_cmp_eq_f64_e32 vcc_lo, 0, v[6:7]
	global_load_dword v10, v[0:1], off
	s_and_b32 s0, vcc_lo, s0
	s_waitcnt vmcnt(0)
	v_cmp_eq_u32_e64 s1, 0, v10
	s_and_b32 s0, s0, s1
	s_and_b32 exec_lo, exec_lo, s0
	s_cbranch_execz .LBB1_13
; %bb.12:
	s_add_i32 s0, s3, 1
	v_mov_b32_e32 v6, s0
	global_store_dword v[0:1], v6, off
.LBB1_13:
	s_or_b32 exec_lo, exec_lo, s2
	global_store_dwordx4 v[12:13], v[2:5], off
.LBB1_14:
	s_endpgm
	.section	.rodata,"a",@progbits
	.p2align	6, 0x0
	.amdhsa_kernel _ZN9rocsolver6v33100L23getf2_npvt_small_kernelILi1E19rocblas_complex_numIdEiiPS3_EEvT1_T3_lS5_lPT2_S5_S5_
		.amdhsa_group_segment_fixed_size 0
		.amdhsa_private_segment_fixed_size 0
		.amdhsa_kernarg_size 312
		.amdhsa_user_sgpr_count 6
		.amdhsa_user_sgpr_private_segment_buffer 1
		.amdhsa_user_sgpr_dispatch_ptr 0
		.amdhsa_user_sgpr_queue_ptr 0
		.amdhsa_user_sgpr_kernarg_segment_ptr 1
		.amdhsa_user_sgpr_dispatch_id 0
		.amdhsa_user_sgpr_flat_scratch_init 0
		.amdhsa_user_sgpr_private_segment_size 0
		.amdhsa_wavefront_size32 1
		.amdhsa_uses_dynamic_stack 0
		.amdhsa_system_sgpr_private_segment_wavefront_offset 0
		.amdhsa_system_sgpr_workgroup_id_x 1
		.amdhsa_system_sgpr_workgroup_id_y 1
		.amdhsa_system_sgpr_workgroup_id_z 0
		.amdhsa_system_sgpr_workgroup_info 0
		.amdhsa_system_vgpr_workitem_id 1
		.amdhsa_next_free_vgpr 22
		.amdhsa_next_free_sgpr 12
		.amdhsa_reserve_vcc 1
		.amdhsa_reserve_flat_scratch 0
		.amdhsa_float_round_mode_32 0
		.amdhsa_float_round_mode_16_64 0
		.amdhsa_float_denorm_mode_32 3
		.amdhsa_float_denorm_mode_16_64 3
		.amdhsa_dx10_clamp 1
		.amdhsa_ieee_mode 1
		.amdhsa_fp16_overflow 0
		.amdhsa_workgroup_processor_mode 1
		.amdhsa_memory_ordered 1
		.amdhsa_forward_progress 1
		.amdhsa_shared_vgpr_count 0
		.amdhsa_exception_fp_ieee_invalid_op 0
		.amdhsa_exception_fp_denorm_src 0
		.amdhsa_exception_fp_ieee_div_zero 0
		.amdhsa_exception_fp_ieee_overflow 0
		.amdhsa_exception_fp_ieee_underflow 0
		.amdhsa_exception_fp_ieee_inexact 0
		.amdhsa_exception_int_div_zero 0
	.end_amdhsa_kernel
	.section	.text._ZN9rocsolver6v33100L23getf2_npvt_small_kernelILi1E19rocblas_complex_numIdEiiPS3_EEvT1_T3_lS5_lPT2_S5_S5_,"axG",@progbits,_ZN9rocsolver6v33100L23getf2_npvt_small_kernelILi1E19rocblas_complex_numIdEiiPS3_EEvT1_T3_lS5_lPT2_S5_S5_,comdat
.Lfunc_end1:
	.size	_ZN9rocsolver6v33100L23getf2_npvt_small_kernelILi1E19rocblas_complex_numIdEiiPS3_EEvT1_T3_lS5_lPT2_S5_S5_, .Lfunc_end1-_ZN9rocsolver6v33100L23getf2_npvt_small_kernelILi1E19rocblas_complex_numIdEiiPS3_EEvT1_T3_lS5_lPT2_S5_S5_
                                        ; -- End function
	.set _ZN9rocsolver6v33100L23getf2_npvt_small_kernelILi1E19rocblas_complex_numIdEiiPS3_EEvT1_T3_lS5_lPT2_S5_S5_.num_vgpr, 22
	.set _ZN9rocsolver6v33100L23getf2_npvt_small_kernelILi1E19rocblas_complex_numIdEiiPS3_EEvT1_T3_lS5_lPT2_S5_S5_.num_agpr, 0
	.set _ZN9rocsolver6v33100L23getf2_npvt_small_kernelILi1E19rocblas_complex_numIdEiiPS3_EEvT1_T3_lS5_lPT2_S5_S5_.numbered_sgpr, 12
	.set _ZN9rocsolver6v33100L23getf2_npvt_small_kernelILi1E19rocblas_complex_numIdEiiPS3_EEvT1_T3_lS5_lPT2_S5_S5_.num_named_barrier, 0
	.set _ZN9rocsolver6v33100L23getf2_npvt_small_kernelILi1E19rocblas_complex_numIdEiiPS3_EEvT1_T3_lS5_lPT2_S5_S5_.private_seg_size, 0
	.set _ZN9rocsolver6v33100L23getf2_npvt_small_kernelILi1E19rocblas_complex_numIdEiiPS3_EEvT1_T3_lS5_lPT2_S5_S5_.uses_vcc, 1
	.set _ZN9rocsolver6v33100L23getf2_npvt_small_kernelILi1E19rocblas_complex_numIdEiiPS3_EEvT1_T3_lS5_lPT2_S5_S5_.uses_flat_scratch, 0
	.set _ZN9rocsolver6v33100L23getf2_npvt_small_kernelILi1E19rocblas_complex_numIdEiiPS3_EEvT1_T3_lS5_lPT2_S5_S5_.has_dyn_sized_stack, 0
	.set _ZN9rocsolver6v33100L23getf2_npvt_small_kernelILi1E19rocblas_complex_numIdEiiPS3_EEvT1_T3_lS5_lPT2_S5_S5_.has_recursion, 0
	.set _ZN9rocsolver6v33100L23getf2_npvt_small_kernelILi1E19rocblas_complex_numIdEiiPS3_EEvT1_T3_lS5_lPT2_S5_S5_.has_indirect_call, 0
	.section	.AMDGPU.csdata,"",@progbits
; Kernel info:
; codeLenInByte = 876
; TotalNumSgprs: 14
; NumVgprs: 22
; ScratchSize: 0
; MemoryBound: 0
; FloatMode: 240
; IeeeMode: 1
; LDSByteSize: 0 bytes/workgroup (compile time only)
; SGPRBlocks: 0
; VGPRBlocks: 2
; NumSGPRsForWavesPerEU: 14
; NumVGPRsForWavesPerEU: 22
; Occupancy: 16
; WaveLimiterHint : 0
; COMPUTE_PGM_RSRC2:SCRATCH_EN: 0
; COMPUTE_PGM_RSRC2:USER_SGPR: 6
; COMPUTE_PGM_RSRC2:TRAP_HANDLER: 0
; COMPUTE_PGM_RSRC2:TGID_X_EN: 1
; COMPUTE_PGM_RSRC2:TGID_Y_EN: 1
; COMPUTE_PGM_RSRC2:TGID_Z_EN: 0
; COMPUTE_PGM_RSRC2:TIDIG_COMP_CNT: 1
	.section	.text._ZN9rocsolver6v33100L18getf2_small_kernelILi2E19rocblas_complex_numIdEiiPS3_EEvT1_T3_lS5_lPS5_llPT2_S5_S5_S7_l,"axG",@progbits,_ZN9rocsolver6v33100L18getf2_small_kernelILi2E19rocblas_complex_numIdEiiPS3_EEvT1_T3_lS5_lPS5_llPT2_S5_S5_S7_l,comdat
	.globl	_ZN9rocsolver6v33100L18getf2_small_kernelILi2E19rocblas_complex_numIdEiiPS3_EEvT1_T3_lS5_lPS5_llPT2_S5_S5_S7_l ; -- Begin function _ZN9rocsolver6v33100L18getf2_small_kernelILi2E19rocblas_complex_numIdEiiPS3_EEvT1_T3_lS5_lPS5_llPT2_S5_S5_S7_l
	.p2align	8
	.type	_ZN9rocsolver6v33100L18getf2_small_kernelILi2E19rocblas_complex_numIdEiiPS3_EEvT1_T3_lS5_lPS5_llPT2_S5_S5_S7_l,@function
_ZN9rocsolver6v33100L18getf2_small_kernelILi2E19rocblas_complex_numIdEiiPS3_EEvT1_T3_lS5_lPS5_llPT2_S5_S5_S7_l: ; @_ZN9rocsolver6v33100L18getf2_small_kernelILi2E19rocblas_complex_numIdEiiPS3_EEvT1_T3_lS5_lPS5_llPT2_S5_S5_S7_l
; %bb.0:
	s_clause 0x1
	s_load_dword s0, s[4:5], 0x6c
	s_load_dwordx2 s[16:17], s[4:5], 0x48
	s_waitcnt lgkmcnt(0)
	s_lshr_b32 s0, s0, 16
	v_mad_u64_u32 v[14:15], null, s7, s0, v[1:2]
	s_mov_b32 s0, exec_lo
	v_cmpx_gt_i32_e64 s16, v14
	s_cbranch_execz .LBB2_45
; %bb.1:
	s_load_dwordx4 s[0:3], s[4:5], 0x50
	v_mov_b32_e32 v16, 0
	v_ashrrev_i32_e32 v15, 31, v14
	v_mov_b32_e32 v17, 0
	s_waitcnt lgkmcnt(0)
	s_cmp_eq_u64 s[0:1], 0
	s_cselect_b32 s6, -1, 0
	s_and_b32 vcc_lo, exec_lo, s6
	s_cbranch_vccnz .LBB2_3
; %bb.2:
	v_mul_lo_u32 v4, s3, v14
	v_mul_lo_u32 v5, s2, v15
	v_mad_u64_u32 v[2:3], null, s2, v14, 0
	v_add3_u32 v3, v3, v5, v4
	v_lshlrev_b64 v[2:3], 2, v[2:3]
	v_add_co_u32 v16, vcc_lo, s0, v2
	v_add_co_ci_u32_e64 v17, null, s1, v3, vcc_lo
.LBB2_3:
	s_clause 0x1
	s_load_dwordx8 s[8:15], s[4:5], 0x20
	s_load_dwordx4 s[0:3], s[4:5], 0x8
	v_lshlrev_b32_e32 v10, 4, v0
	v_mov_b32_e32 v18, 0
	s_waitcnt lgkmcnt(0)
	v_mul_lo_u32 v4, s9, v14
	v_mul_lo_u32 v5, s8, v15
	v_mad_u64_u32 v[2:3], null, s8, v14, 0
	s_load_dword s8, s[4:5], 0x18
	v_add3_u32 v3, v3, v5, v4
	v_lshlrev_b64 v[2:3], 4, v[2:3]
	v_add_co_u32 v2, vcc_lo, s0, v2
	v_add_co_ci_u32_e64 v3, null, s1, v3, vcc_lo
	s_lshl_b64 s[0:1], s[2:3], 4
	v_add_co_u32 v21, vcc_lo, v2, s0
	v_add_co_ci_u32_e64 v22, null, s1, v3, vcc_lo
	s_load_dword s1, s[4:5], 0x0
	v_add_co_u32 v6, vcc_lo, v21, v10
	v_add_co_ci_u32_e64 v7, null, 0, v22, vcc_lo
	s_waitcnt lgkmcnt(0)
	s_ashr_i32 s9, s8, 31
	s_load_dwordx2 s[4:5], s[4:5], 0x40
	s_lshl_b64 s[2:3], s[8:9], 4
	global_load_dwordx4 v[2:5], v[6:7], off
	v_add_co_u32 v6, vcc_lo, v6, s2
	v_add_co_ci_u32_e64 v7, null, s3, v7, vcc_lo
	global_load_dwordx4 v[6:9], v[6:7], off
	s_max_i32 s0, s1, 2
	s_cmp_lt_i32 s1, 2
	v_mul_lo_u32 v19, s0, v1
	v_lshl_add_u32 v1, v19, 4, 0
	v_lshlrev_b32_e32 v20, 4, v19
	v_add_nc_u32_e32 v10, v1, v10
	s_waitcnt vmcnt(1)
	ds_write2_b64 v10, v[2:3], v[4:5] offset1:1
	s_waitcnt vmcnt(0) lgkmcnt(0)
	s_barrier
	buffer_gl0_inv
	ds_read2_b64 v[10:13], v1 offset1:1
	s_cbranch_scc1 .LBB2_6
; %bb.4:
	v_add3_u32 v19, v20, 0, 16
	v_mov_b32_e32 v18, 0
	s_mov_b32 s7, 1
	s_inst_prefetch 0x1
	.p2align	6
.LBB2_5:                                ; =>This Inner Loop Header: Depth=1
	s_waitcnt lgkmcnt(0)
	v_cmp_gt_f64_e32 vcc_lo, 0, v[12:13]
	v_cmp_gt_f64_e64 s0, 0, v[10:11]
	ds_read2_b64 v[23:26], v19 offset1:1
	v_xor_b32_e32 v28, 0x80000000, v11
	v_xor_b32_e32 v30, 0x80000000, v13
	v_mov_b32_e32 v27, v10
	v_mov_b32_e32 v29, v12
	v_add_nc_u32_e32 v19, 16, v19
	s_waitcnt lgkmcnt(0)
	v_xor_b32_e32 v32, 0x80000000, v26
	v_cndmask_b32_e64 v28, v11, v28, s0
	v_cndmask_b32_e32 v30, v13, v30, vcc_lo
	v_cmp_gt_f64_e32 vcc_lo, 0, v[25:26]
	v_cmp_gt_f64_e64 s0, 0, v[23:24]
	v_mov_b32_e32 v31, v25
	v_add_f64 v[27:28], v[27:28], v[29:30]
	v_xor_b32_e32 v30, 0x80000000, v24
	v_mov_b32_e32 v29, v23
	v_cndmask_b32_e32 v32, v26, v32, vcc_lo
	v_cndmask_b32_e64 v30, v24, v30, s0
	v_add_f64 v[29:30], v[29:30], v[31:32]
	v_cmp_lt_f64_e32 vcc_lo, v[27:28], v[29:30]
	v_cndmask_b32_e32 v11, v11, v24, vcc_lo
	v_cndmask_b32_e32 v10, v10, v23, vcc_lo
	;; [unrolled: 1-line block ×4, first 2 shown]
	v_cndmask_b32_e64 v18, v18, s7, vcc_lo
	s_add_i32 s7, s7, 1
	s_cmp_eq_u32 s1, s7
	s_cbranch_scc0 .LBB2_5
.LBB2_6:
	s_inst_prefetch 0x2
	s_waitcnt lgkmcnt(0)
	v_cmp_neq_f64_e32 vcc_lo, 0, v[10:11]
	v_cmp_neq_f64_e64 s0, 0, v[12:13]
	v_mov_b32_e32 v23, 1
	v_mov_b32_e32 v24, 1
	s_or_b32 s7, vcc_lo, s0
	s_and_saveexec_b32 s0, s7
	s_cbranch_execz .LBB2_12
; %bb.7:
	v_cmp_ngt_f64_e64 s7, |v[10:11]|, |v[12:13]|
	s_and_saveexec_b32 s8, s7
	s_xor_b32 s7, exec_lo, s8
	s_cbranch_execz .LBB2_9
; %bb.8:
	v_div_scale_f64 v[23:24], null, v[12:13], v[12:13], v[10:11]
	v_div_scale_f64 v[29:30], vcc_lo, v[10:11], v[12:13], v[10:11]
	v_rcp_f64_e32 v[25:26], v[23:24]
	v_fma_f64 v[27:28], -v[23:24], v[25:26], 1.0
	v_fma_f64 v[25:26], v[25:26], v[27:28], v[25:26]
	v_fma_f64 v[27:28], -v[23:24], v[25:26], 1.0
	v_fma_f64 v[25:26], v[25:26], v[27:28], v[25:26]
	v_mul_f64 v[27:28], v[29:30], v[25:26]
	v_fma_f64 v[23:24], -v[23:24], v[27:28], v[29:30]
	v_div_fmas_f64 v[23:24], v[23:24], v[25:26], v[27:28]
	v_div_fixup_f64 v[23:24], v[23:24], v[12:13], v[10:11]
	v_fma_f64 v[10:11], v[10:11], v[23:24], v[12:13]
	v_div_scale_f64 v[12:13], null, v[10:11], v[10:11], 1.0
	v_rcp_f64_e32 v[25:26], v[12:13]
	v_fma_f64 v[27:28], -v[12:13], v[25:26], 1.0
	v_fma_f64 v[25:26], v[25:26], v[27:28], v[25:26]
	v_fma_f64 v[27:28], -v[12:13], v[25:26], 1.0
	v_fma_f64 v[25:26], v[25:26], v[27:28], v[25:26]
	v_div_scale_f64 v[27:28], vcc_lo, 1.0, v[10:11], 1.0
	v_mul_f64 v[29:30], v[27:28], v[25:26]
	v_fma_f64 v[12:13], -v[12:13], v[29:30], v[27:28]
	v_div_fmas_f64 v[12:13], v[12:13], v[25:26], v[29:30]
	v_div_fixup_f64 v[12:13], v[12:13], v[10:11], 1.0
	v_mul_f64 v[10:11], v[23:24], v[12:13]
	v_xor_b32_e32 v13, 0x80000000, v13
.LBB2_9:
	s_andn2_saveexec_b32 s7, s7
	s_cbranch_execz .LBB2_11
; %bb.10:
	v_div_scale_f64 v[23:24], null, v[10:11], v[10:11], v[12:13]
	v_div_scale_f64 v[29:30], vcc_lo, v[12:13], v[10:11], v[12:13]
	v_rcp_f64_e32 v[25:26], v[23:24]
	v_fma_f64 v[27:28], -v[23:24], v[25:26], 1.0
	v_fma_f64 v[25:26], v[25:26], v[27:28], v[25:26]
	v_fma_f64 v[27:28], -v[23:24], v[25:26], 1.0
	v_fma_f64 v[25:26], v[25:26], v[27:28], v[25:26]
	v_mul_f64 v[27:28], v[29:30], v[25:26]
	v_fma_f64 v[23:24], -v[23:24], v[27:28], v[29:30]
	v_div_fmas_f64 v[23:24], v[23:24], v[25:26], v[27:28]
	v_div_fixup_f64 v[23:24], v[23:24], v[10:11], v[12:13]
	v_fma_f64 v[10:11], v[12:13], v[23:24], v[10:11]
	v_div_scale_f64 v[12:13], null, v[10:11], v[10:11], 1.0
	v_rcp_f64_e32 v[25:26], v[12:13]
	v_fma_f64 v[27:28], -v[12:13], v[25:26], 1.0
	v_fma_f64 v[25:26], v[25:26], v[27:28], v[25:26]
	v_fma_f64 v[27:28], -v[12:13], v[25:26], 1.0
	v_fma_f64 v[25:26], v[25:26], v[27:28], v[25:26]
	v_div_scale_f64 v[27:28], vcc_lo, 1.0, v[10:11], 1.0
	v_mul_f64 v[29:30], v[27:28], v[25:26]
	v_fma_f64 v[12:13], -v[12:13], v[29:30], v[27:28]
	v_div_fmas_f64 v[12:13], v[12:13], v[25:26], v[29:30]
	v_div_fixup_f64 v[10:11], v[12:13], v[10:11], 1.0
	v_mul_f64 v[12:13], v[23:24], -v[10:11]
.LBB2_11:
	s_or_b32 exec_lo, exec_lo, s7
	v_mov_b32_e32 v24, 0
	v_mov_b32_e32 v23, 2
.LBB2_12:
	s_or_b32 exec_lo, exec_lo, s0
	s_mov_b32 s0, exec_lo
	v_cmpx_ne_u32_e64 v0, v18
	s_xor_b32 s0, exec_lo, s0
	s_cbranch_execz .LBB2_18
; %bb.13:
	s_mov_b32 s7, exec_lo
	v_cmpx_eq_u32_e32 0, v0
	s_cbranch_execz .LBB2_17
; %bb.14:
	v_cmp_ne_u32_e32 vcc_lo, 0, v18
	s_xor_b32 s8, s6, -1
	s_and_b32 s9, s8, vcc_lo
	s_and_saveexec_b32 s8, s9
	s_cbranch_execz .LBB2_16
; %bb.15:
	v_ashrrev_i32_e32 v19, 31, v18
	v_lshlrev_b64 v[25:26], 2, v[18:19]
	v_add_co_u32 v25, vcc_lo, v16, v25
	v_add_co_ci_u32_e64 v26, null, v17, v26, vcc_lo
	s_clause 0x1
	global_load_dword v0, v[25:26], off
	global_load_dword v19, v[16:17], off
	s_waitcnt vmcnt(1)
	global_store_dword v[16:17], v0, off
	s_waitcnt vmcnt(0)
	global_store_dword v[25:26], v19, off
.LBB2_16:
	s_or_b32 exec_lo, exec_lo, s8
	v_mov_b32_e32 v0, v18
.LBB2_17:
	s_or_b32 exec_lo, exec_lo, s7
.LBB2_18:
	s_or_saveexec_b32 s0, s0
	v_mov_b32_e32 v25, v0
	s_xor_b32 exec_lo, exec_lo, s0
; %bb.19:
	v_mov_b32_e32 v25, 0
	ds_write2_b64 v1, v[6:7], v[8:9] offset0:2 offset1:3
; %bb.20:
	s_or_b32 exec_lo, exec_lo, s0
	s_mov_b32 s0, exec_lo
	s_waitcnt lgkmcnt(0)
	s_waitcnt_vscnt null, 0x0
	s_barrier
	buffer_gl0_inv
	v_cmpx_lt_i32_e32 0, v25
	s_cbranch_execz .LBB2_22
; %bb.21:
	v_mul_f64 v[18:19], v[10:11], v[4:5]
	v_mul_f64 v[4:5], v[12:13], v[4:5]
	ds_read2_b64 v[26:29], v1 offset0:2 offset1:3
	v_fma_f64 v[12:13], v[12:13], v[2:3], v[18:19]
	v_fma_f64 v[2:3], v[10:11], v[2:3], -v[4:5]
	s_waitcnt lgkmcnt(0)
	v_mul_f64 v[4:5], v[28:29], v[12:13]
	v_mul_f64 v[10:11], v[26:27], v[12:13]
	v_fma_f64 v[4:5], v[26:27], v[2:3], -v[4:5]
	v_fma_f64 v[10:11], v[28:29], v[2:3], v[10:11]
	v_add_f64 v[6:7], v[6:7], -v[4:5]
	v_add_f64 v[8:9], v[8:9], -v[10:11]
	v_mov_b32_e32 v4, v12
	v_mov_b32_e32 v5, v13
.LBB2_22:
	s_or_b32 exec_lo, exec_lo, s0
	v_lshl_add_u32 v10, v25, 4, v1
	s_barrier
	buffer_gl0_inv
	v_mov_b32_e32 v18, 1
	ds_write2_b64 v10, v[6:7], v[8:9] offset1:1
	s_waitcnt lgkmcnt(0)
	s_barrier
	buffer_gl0_inv
	ds_read2_b64 v[10:13], v1 offset0:2 offset1:3
	s_cmp_lt_i32 s1, 3
	s_cbranch_scc1 .LBB2_25
; %bb.23:
	v_add3_u32 v1, v20, 0, 32
	v_mov_b32_e32 v18, 1
	s_mov_b32 s7, 2
	s_inst_prefetch 0x1
	.p2align	6
.LBB2_24:                               ; =>This Inner Loop Header: Depth=1
	s_waitcnt lgkmcnt(0)
	v_cmp_gt_f64_e32 vcc_lo, 0, v[12:13]
	v_cmp_gt_f64_e64 s0, 0, v[10:11]
	ds_read2_b64 v[26:29], v1 offset1:1
	v_xor_b32_e32 v20, 0x80000000, v11
	v_xor_b32_e32 v31, 0x80000000, v13
	v_mov_b32_e32 v19, v10
	v_mov_b32_e32 v30, v12
	v_add_nc_u32_e32 v1, 16, v1
	s_waitcnt lgkmcnt(0)
	v_xor_b32_e32 v33, 0x80000000, v29
	v_cndmask_b32_e64 v20, v11, v20, s0
	v_cndmask_b32_e32 v31, v13, v31, vcc_lo
	v_cmp_gt_f64_e32 vcc_lo, 0, v[28:29]
	v_cmp_gt_f64_e64 s0, 0, v[26:27]
	v_mov_b32_e32 v32, v28
	v_add_f64 v[19:20], v[19:20], v[30:31]
	v_xor_b32_e32 v31, 0x80000000, v27
	v_mov_b32_e32 v30, v26
	v_cndmask_b32_e32 v33, v29, v33, vcc_lo
	v_cndmask_b32_e64 v31, v27, v31, s0
	v_add_f64 v[30:31], v[30:31], v[32:33]
	v_cmp_lt_f64_e32 vcc_lo, v[19:20], v[30:31]
	v_cndmask_b32_e32 v11, v11, v27, vcc_lo
	v_cndmask_b32_e32 v10, v10, v26, vcc_lo
	;; [unrolled: 1-line block ×4, first 2 shown]
	v_cndmask_b32_e64 v18, v18, s7, vcc_lo
	s_add_i32 s7, s7, 1
	s_cmp_lg_u32 s1, s7
	s_cbranch_scc1 .LBB2_24
.LBB2_25:
	s_inst_prefetch 0x2
	s_waitcnt lgkmcnt(0)
	v_cmp_neq_f64_e32 vcc_lo, 0, v[10:11]
	v_cmp_neq_f64_e64 s0, 0, v[12:13]
	s_or_b32 s1, vcc_lo, s0
	s_and_saveexec_b32 s0, s1
	s_cbranch_execz .LBB2_31
; %bb.26:
	v_cmp_ngt_f64_e64 s1, |v[10:11]|, |v[12:13]|
	s_and_saveexec_b32 s7, s1
	s_xor_b32 s1, exec_lo, s7
	s_cbranch_execz .LBB2_28
; %bb.27:
	v_div_scale_f64 v[19:20], null, v[12:13], v[12:13], v[10:11]
	v_div_scale_f64 v[30:31], vcc_lo, v[10:11], v[12:13], v[10:11]
	v_rcp_f64_e32 v[26:27], v[19:20]
	v_fma_f64 v[28:29], -v[19:20], v[26:27], 1.0
	v_fma_f64 v[26:27], v[26:27], v[28:29], v[26:27]
	v_fma_f64 v[28:29], -v[19:20], v[26:27], 1.0
	v_fma_f64 v[26:27], v[26:27], v[28:29], v[26:27]
	v_mul_f64 v[28:29], v[30:31], v[26:27]
	v_fma_f64 v[19:20], -v[19:20], v[28:29], v[30:31]
	v_div_fmas_f64 v[19:20], v[19:20], v[26:27], v[28:29]
	v_div_fixup_f64 v[19:20], v[19:20], v[12:13], v[10:11]
	v_fma_f64 v[10:11], v[10:11], v[19:20], v[12:13]
	v_div_scale_f64 v[12:13], null, v[10:11], v[10:11], 1.0
	v_rcp_f64_e32 v[26:27], v[12:13]
	v_fma_f64 v[28:29], -v[12:13], v[26:27], 1.0
	v_fma_f64 v[26:27], v[26:27], v[28:29], v[26:27]
	v_fma_f64 v[28:29], -v[12:13], v[26:27], 1.0
	v_fma_f64 v[26:27], v[26:27], v[28:29], v[26:27]
	v_div_scale_f64 v[28:29], vcc_lo, 1.0, v[10:11], 1.0
	v_mul_f64 v[30:31], v[28:29], v[26:27]
	v_fma_f64 v[12:13], -v[12:13], v[30:31], v[28:29]
	v_div_fmas_f64 v[12:13], v[12:13], v[26:27], v[30:31]
	v_div_fixup_f64 v[12:13], v[12:13], v[10:11], 1.0
	v_mul_f64 v[10:11], v[19:20], v[12:13]
	v_xor_b32_e32 v13, 0x80000000, v13
.LBB2_28:
	s_andn2_saveexec_b32 s1, s1
	s_cbranch_execz .LBB2_30
; %bb.29:
	v_div_scale_f64 v[19:20], null, v[10:11], v[10:11], v[12:13]
	v_div_scale_f64 v[30:31], vcc_lo, v[12:13], v[10:11], v[12:13]
	v_rcp_f64_e32 v[26:27], v[19:20]
	v_fma_f64 v[28:29], -v[19:20], v[26:27], 1.0
	v_fma_f64 v[26:27], v[26:27], v[28:29], v[26:27]
	v_fma_f64 v[28:29], -v[19:20], v[26:27], 1.0
	v_fma_f64 v[26:27], v[26:27], v[28:29], v[26:27]
	v_mul_f64 v[28:29], v[30:31], v[26:27]
	v_fma_f64 v[19:20], -v[19:20], v[28:29], v[30:31]
	v_div_fmas_f64 v[19:20], v[19:20], v[26:27], v[28:29]
	v_div_fixup_f64 v[19:20], v[19:20], v[10:11], v[12:13]
	v_fma_f64 v[10:11], v[12:13], v[19:20], v[10:11]
	v_div_scale_f64 v[12:13], null, v[10:11], v[10:11], 1.0
	v_rcp_f64_e32 v[26:27], v[12:13]
	v_fma_f64 v[28:29], -v[12:13], v[26:27], 1.0
	v_fma_f64 v[26:27], v[26:27], v[28:29], v[26:27]
	v_fma_f64 v[28:29], -v[12:13], v[26:27], 1.0
	v_fma_f64 v[26:27], v[26:27], v[28:29], v[26:27]
	v_div_scale_f64 v[28:29], vcc_lo, 1.0, v[10:11], 1.0
	v_mul_f64 v[30:31], v[28:29], v[26:27]
	v_fma_f64 v[12:13], -v[12:13], v[30:31], v[28:29]
	v_div_fmas_f64 v[12:13], v[12:13], v[26:27], v[30:31]
	v_div_fixup_f64 v[10:11], v[12:13], v[10:11], 1.0
	v_mul_f64 v[12:13], v[19:20], -v[10:11]
.LBB2_30:
	s_or_b32 exec_lo, exec_lo, s1
	v_mov_b32_e32 v23, v24
.LBB2_31:
	s_or_b32 exec_lo, exec_lo, s0
	v_mov_b32_e32 v19, 1
	s_mov_b32 s0, exec_lo
	v_cmpx_ne_u32_e64 v25, v18
	s_cbranch_execz .LBB2_37
; %bb.32:
	s_mov_b32 s1, exec_lo
	v_cmpx_eq_u32_e32 1, v25
	s_cbranch_execz .LBB2_36
; %bb.33:
	v_cmp_ne_u32_e32 vcc_lo, 1, v18
	s_xor_b32 s6, s6, -1
	s_and_b32 s7, s6, vcc_lo
	s_and_saveexec_b32 s6, s7
	s_cbranch_execz .LBB2_35
; %bb.34:
	v_ashrrev_i32_e32 v19, 31, v18
	v_lshlrev_b64 v[0:1], 2, v[18:19]
	v_add_co_u32 v0, vcc_lo, v16, v0
	v_add_co_ci_u32_e64 v1, null, v17, v1, vcc_lo
	s_clause 0x1
	global_load_dword v19, v[0:1], off
	global_load_dword v20, v[16:17], off offset:4
	s_waitcnt vmcnt(1)
	global_store_dword v[16:17], v19, off offset:4
	s_waitcnt vmcnt(0)
	global_store_dword v[0:1], v20, off
.LBB2_35:
	s_or_b32 exec_lo, exec_lo, s6
	v_mov_b32_e32 v25, v18
	v_mov_b32_e32 v0, v18
.LBB2_36:
	s_or_b32 exec_lo, exec_lo, s1
	v_mov_b32_e32 v19, v25
.LBB2_37:
	s_or_b32 exec_lo, exec_lo, s0
	s_mov_b32 s0, exec_lo
	s_waitcnt_vscnt null, 0x0
	s_barrier
	buffer_gl0_inv
	v_cmpx_lt_i32_e32 1, v19
	s_cbranch_execz .LBB2_39
; %bb.38:
	v_mul_f64 v[16:17], v[12:13], v[8:9]
	v_mul_f64 v[8:9], v[10:11], v[8:9]
	v_fma_f64 v[10:11], v[10:11], v[6:7], -v[16:17]
	v_fma_f64 v[8:9], v[12:13], v[6:7], v[8:9]
	v_mov_b32_e32 v6, v10
	v_mov_b32_e32 v7, v11
.LBB2_39:
	s_or_b32 exec_lo, exec_lo, s0
	v_ashrrev_i32_e32 v20, 31, v19
	s_mov_b32 s0, exec_lo
	s_barrier
	buffer_gl0_inv
	v_cmpx_gt_i32_e32 2, v19
	s_cbranch_execz .LBB2_41
; %bb.40:
	v_mul_lo_u32 v1, s15, v14
	v_mul_lo_u32 v12, s14, v15
	v_mad_u64_u32 v[10:11], null, s14, v14, 0
	s_lshl_b64 s[6:7], s[12:13], 2
	v_add3_u32 v0, v0, s17, 1
	v_add3_u32 v11, v11, v12, v1
	v_lshlrev_b64 v[10:11], 2, v[10:11]
	v_add_co_u32 v1, vcc_lo, s10, v10
	v_add_co_ci_u32_e64 v12, null, s11, v11, vcc_lo
	v_lshlrev_b64 v[10:11], 2, v[19:20]
	v_add_co_u32 v1, vcc_lo, v1, s6
	v_add_co_ci_u32_e64 v12, null, s7, v12, vcc_lo
	v_add_co_u32 v10, vcc_lo, v1, v10
	v_add_co_ci_u32_e64 v11, null, v12, v11, vcc_lo
	global_store_dword v[10:11], v0, off
.LBB2_41:
	s_or_b32 exec_lo, exec_lo, s0
	s_mov_b32 s1, exec_lo
	v_cmpx_eq_u32_e32 0, v19
	s_cbranch_execz .LBB2_44
; %bb.42:
	v_lshlrev_b64 v[0:1], 2, v[14:15]
	v_cmp_ne_u32_e64 s0, 0, v23
	v_add_co_u32 v0, vcc_lo, s4, v0
	v_add_co_ci_u32_e64 v1, null, s5, v1, vcc_lo
	global_load_dword v10, v[0:1], off
	s_waitcnt vmcnt(0)
	v_cmp_eq_u32_e32 vcc_lo, 0, v10
	s_and_b32 s0, vcc_lo, s0
	s_and_b32 exec_lo, exec_lo, s0
	s_cbranch_execz .LBB2_44
; %bb.43:
	v_add_nc_u32_e32 v10, s17, v23
	global_store_dword v[0:1], v10, off
.LBB2_44:
	s_or_b32 exec_lo, exec_lo, s1
	v_lshlrev_b64 v[0:1], 4, v[19:20]
	v_add_co_u32 v0, vcc_lo, v21, v0
	v_add_co_ci_u32_e64 v1, null, v22, v1, vcc_lo
	v_add_co_u32 v10, vcc_lo, v0, s2
	v_add_co_ci_u32_e64 v11, null, s3, v1, vcc_lo
	global_store_dwordx4 v[0:1], v[2:5], off
	global_store_dwordx4 v[10:11], v[6:9], off
.LBB2_45:
	s_endpgm
	.section	.rodata,"a",@progbits
	.p2align	6, 0x0
	.amdhsa_kernel _ZN9rocsolver6v33100L18getf2_small_kernelILi2E19rocblas_complex_numIdEiiPS3_EEvT1_T3_lS5_lPS5_llPT2_S5_S5_S7_l
		.amdhsa_group_segment_fixed_size 0
		.amdhsa_private_segment_fixed_size 0
		.amdhsa_kernarg_size 352
		.amdhsa_user_sgpr_count 6
		.amdhsa_user_sgpr_private_segment_buffer 1
		.amdhsa_user_sgpr_dispatch_ptr 0
		.amdhsa_user_sgpr_queue_ptr 0
		.amdhsa_user_sgpr_kernarg_segment_ptr 1
		.amdhsa_user_sgpr_dispatch_id 0
		.amdhsa_user_sgpr_flat_scratch_init 0
		.amdhsa_user_sgpr_private_segment_size 0
		.amdhsa_wavefront_size32 1
		.amdhsa_uses_dynamic_stack 0
		.amdhsa_system_sgpr_private_segment_wavefront_offset 0
		.amdhsa_system_sgpr_workgroup_id_x 1
		.amdhsa_system_sgpr_workgroup_id_y 1
		.amdhsa_system_sgpr_workgroup_id_z 0
		.amdhsa_system_sgpr_workgroup_info 0
		.amdhsa_system_vgpr_workitem_id 1
		.amdhsa_next_free_vgpr 34
		.amdhsa_next_free_sgpr 18
		.amdhsa_reserve_vcc 1
		.amdhsa_reserve_flat_scratch 0
		.amdhsa_float_round_mode_32 0
		.amdhsa_float_round_mode_16_64 0
		.amdhsa_float_denorm_mode_32 3
		.amdhsa_float_denorm_mode_16_64 3
		.amdhsa_dx10_clamp 1
		.amdhsa_ieee_mode 1
		.amdhsa_fp16_overflow 0
		.amdhsa_workgroup_processor_mode 1
		.amdhsa_memory_ordered 1
		.amdhsa_forward_progress 1
		.amdhsa_shared_vgpr_count 0
		.amdhsa_exception_fp_ieee_invalid_op 0
		.amdhsa_exception_fp_denorm_src 0
		.amdhsa_exception_fp_ieee_div_zero 0
		.amdhsa_exception_fp_ieee_overflow 0
		.amdhsa_exception_fp_ieee_underflow 0
		.amdhsa_exception_fp_ieee_inexact 0
		.amdhsa_exception_int_div_zero 0
	.end_amdhsa_kernel
	.section	.text._ZN9rocsolver6v33100L18getf2_small_kernelILi2E19rocblas_complex_numIdEiiPS3_EEvT1_T3_lS5_lPS5_llPT2_S5_S5_S7_l,"axG",@progbits,_ZN9rocsolver6v33100L18getf2_small_kernelILi2E19rocblas_complex_numIdEiiPS3_EEvT1_T3_lS5_lPS5_llPT2_S5_S5_S7_l,comdat
.Lfunc_end2:
	.size	_ZN9rocsolver6v33100L18getf2_small_kernelILi2E19rocblas_complex_numIdEiiPS3_EEvT1_T3_lS5_lPS5_llPT2_S5_S5_S7_l, .Lfunc_end2-_ZN9rocsolver6v33100L18getf2_small_kernelILi2E19rocblas_complex_numIdEiiPS3_EEvT1_T3_lS5_lPS5_llPT2_S5_S5_S7_l
                                        ; -- End function
	.set _ZN9rocsolver6v33100L18getf2_small_kernelILi2E19rocblas_complex_numIdEiiPS3_EEvT1_T3_lS5_lPS5_llPT2_S5_S5_S7_l.num_vgpr, 34
	.set _ZN9rocsolver6v33100L18getf2_small_kernelILi2E19rocblas_complex_numIdEiiPS3_EEvT1_T3_lS5_lPS5_llPT2_S5_S5_S7_l.num_agpr, 0
	.set _ZN9rocsolver6v33100L18getf2_small_kernelILi2E19rocblas_complex_numIdEiiPS3_EEvT1_T3_lS5_lPS5_llPT2_S5_S5_S7_l.numbered_sgpr, 18
	.set _ZN9rocsolver6v33100L18getf2_small_kernelILi2E19rocblas_complex_numIdEiiPS3_EEvT1_T3_lS5_lPS5_llPT2_S5_S5_S7_l.num_named_barrier, 0
	.set _ZN9rocsolver6v33100L18getf2_small_kernelILi2E19rocblas_complex_numIdEiiPS3_EEvT1_T3_lS5_lPS5_llPT2_S5_S5_S7_l.private_seg_size, 0
	.set _ZN9rocsolver6v33100L18getf2_small_kernelILi2E19rocblas_complex_numIdEiiPS3_EEvT1_T3_lS5_lPS5_llPT2_S5_S5_S7_l.uses_vcc, 1
	.set _ZN9rocsolver6v33100L18getf2_small_kernelILi2E19rocblas_complex_numIdEiiPS3_EEvT1_T3_lS5_lPS5_llPT2_S5_S5_S7_l.uses_flat_scratch, 0
	.set _ZN9rocsolver6v33100L18getf2_small_kernelILi2E19rocblas_complex_numIdEiiPS3_EEvT1_T3_lS5_lPS5_llPT2_S5_S5_S7_l.has_dyn_sized_stack, 0
	.set _ZN9rocsolver6v33100L18getf2_small_kernelILi2E19rocblas_complex_numIdEiiPS3_EEvT1_T3_lS5_lPS5_llPT2_S5_S5_S7_l.has_recursion, 0
	.set _ZN9rocsolver6v33100L18getf2_small_kernelILi2E19rocblas_complex_numIdEiiPS3_EEvT1_T3_lS5_lPS5_llPT2_S5_S5_S7_l.has_indirect_call, 0
	.section	.AMDGPU.csdata,"",@progbits
; Kernel info:
; codeLenInByte = 2608
; TotalNumSgprs: 20
; NumVgprs: 34
; ScratchSize: 0
; MemoryBound: 0
; FloatMode: 240
; IeeeMode: 1
; LDSByteSize: 0 bytes/workgroup (compile time only)
; SGPRBlocks: 0
; VGPRBlocks: 4
; NumSGPRsForWavesPerEU: 20
; NumVGPRsForWavesPerEU: 34
; Occupancy: 16
; WaveLimiterHint : 0
; COMPUTE_PGM_RSRC2:SCRATCH_EN: 0
; COMPUTE_PGM_RSRC2:USER_SGPR: 6
; COMPUTE_PGM_RSRC2:TRAP_HANDLER: 0
; COMPUTE_PGM_RSRC2:TGID_X_EN: 1
; COMPUTE_PGM_RSRC2:TGID_Y_EN: 1
; COMPUTE_PGM_RSRC2:TGID_Z_EN: 0
; COMPUTE_PGM_RSRC2:TIDIG_COMP_CNT: 1
	.section	.text._ZN9rocsolver6v33100L23getf2_npvt_small_kernelILi2E19rocblas_complex_numIdEiiPS3_EEvT1_T3_lS5_lPT2_S5_S5_,"axG",@progbits,_ZN9rocsolver6v33100L23getf2_npvt_small_kernelILi2E19rocblas_complex_numIdEiiPS3_EEvT1_T3_lS5_lPT2_S5_S5_,comdat
	.globl	_ZN9rocsolver6v33100L23getf2_npvt_small_kernelILi2E19rocblas_complex_numIdEiiPS3_EEvT1_T3_lS5_lPT2_S5_S5_ ; -- Begin function _ZN9rocsolver6v33100L23getf2_npvt_small_kernelILi2E19rocblas_complex_numIdEiiPS3_EEvT1_T3_lS5_lPT2_S5_S5_
	.p2align	8
	.type	_ZN9rocsolver6v33100L23getf2_npvt_small_kernelILi2E19rocblas_complex_numIdEiiPS3_EEvT1_T3_lS5_lPT2_S5_S5_,@function
_ZN9rocsolver6v33100L23getf2_npvt_small_kernelILi2E19rocblas_complex_numIdEiiPS3_EEvT1_T3_lS5_lPT2_S5_S5_: ; @_ZN9rocsolver6v33100L23getf2_npvt_small_kernelILi2E19rocblas_complex_numIdEiiPS3_EEvT1_T3_lS5_lPT2_S5_S5_
; %bb.0:
	s_clause 0x1
	s_load_dword s0, s[4:5], 0x44
	s_load_dwordx2 s[2:3], s[4:5], 0x30
	s_mov_b32 s1, exec_lo
	s_waitcnt lgkmcnt(0)
	s_lshr_b32 s0, s0, 16
	v_mad_u64_u32 v[18:19], null, s7, s0, v[1:2]
	v_cmpx_gt_i32_e64 s2, v18
	s_cbranch_execz .LBB3_23
; %bb.1:
	s_clause 0x1
	s_load_dwordx4 s[8:11], s[4:5], 0x20
	s_load_dwordx4 s[12:15], s[4:5], 0x8
	v_ashrrev_i32_e32 v19, 31, v18
	s_load_dword s4, s[4:5], 0x18
	v_lshlrev_b32_e32 v10, 4, v1
	v_lshlrev_b32_e32 v11, 5, v1
	s_lshl_b32 s0, s0, 5
	v_cmp_ne_u32_e64 s1, 0, v0
	v_add3_u32 v1, 0, s0, v10
	v_cmp_eq_u32_e64 s0, 0, v0
	v_add_nc_u32_e32 v24, 0, v11
	s_waitcnt lgkmcnt(0)
	v_mul_lo_u32 v4, s9, v18
	v_mul_lo_u32 v5, s8, v19
	v_mad_u64_u32 v[2:3], null, s8, v18, 0
	s_lshl_b64 s[6:7], s[14:15], 4
	s_ashr_i32 s5, s4, 31
	s_lshl_b64 s[4:5], s[4:5], 4
	v_add3_u32 v3, v3, v5, v4
	v_lshlrev_b32_e32 v4, 4, v0
	v_lshlrev_b64 v[2:3], 4, v[2:3]
	v_add_co_u32 v2, vcc_lo, s12, v2
	v_add_co_ci_u32_e64 v3, null, s13, v3, vcc_lo
	v_add_co_u32 v2, vcc_lo, v2, s6
	v_add_co_ci_u32_e64 v3, null, s7, v3, vcc_lo
	v_add_co_u32 v20, vcc_lo, v2, v4
	v_add_co_ci_u32_e64 v21, null, 0, v3, vcc_lo
	v_add_co_u32 v22, vcc_lo, v20, s4
	v_add_co_ci_u32_e64 v23, null, s5, v21, vcc_lo
	s_clause 0x1
	global_load_dwordx4 v[6:9], v[20:21], off
	global_load_dwordx4 v[2:5], v[22:23], off
	s_and_saveexec_b32 s4, s0
	s_cbranch_execz .LBB3_8
; %bb.2:
	s_waitcnt vmcnt(1)
	ds_write2_b64 v1, v[6:7], v[8:9] offset1:1
	s_waitcnt vmcnt(0)
	ds_write2_b64 v24, v[2:3], v[4:5] offset0:2 offset1:3
	ds_read2_b64 v[10:13], v1 offset1:1
	s_waitcnt lgkmcnt(0)
	v_cmp_neq_f64_e32 vcc_lo, 0, v[10:11]
	v_cmp_neq_f64_e64 s2, 0, v[12:13]
	s_or_b32 s2, vcc_lo, s2
	s_and_b32 exec_lo, exec_lo, s2
	s_cbranch_execz .LBB3_8
; %bb.3:
	v_cmp_ngt_f64_e64 s2, |v[10:11]|, |v[12:13]|
                                        ; implicit-def: $vgpr14_vgpr15
	s_and_saveexec_b32 s5, s2
	s_xor_b32 s2, exec_lo, s5
                                        ; implicit-def: $vgpr16_vgpr17
	s_cbranch_execz .LBB3_5
; %bb.4:
	v_div_scale_f64 v[14:15], null, v[12:13], v[12:13], v[10:11]
	v_div_scale_f64 v[27:28], vcc_lo, v[10:11], v[12:13], v[10:11]
	v_rcp_f64_e32 v[16:17], v[14:15]
	v_fma_f64 v[25:26], -v[14:15], v[16:17], 1.0
	v_fma_f64 v[16:17], v[16:17], v[25:26], v[16:17]
	v_fma_f64 v[25:26], -v[14:15], v[16:17], 1.0
	v_fma_f64 v[16:17], v[16:17], v[25:26], v[16:17]
	v_mul_f64 v[25:26], v[27:28], v[16:17]
	v_fma_f64 v[14:15], -v[14:15], v[25:26], v[27:28]
	v_div_fmas_f64 v[14:15], v[14:15], v[16:17], v[25:26]
	v_div_fixup_f64 v[14:15], v[14:15], v[12:13], v[10:11]
	v_fma_f64 v[10:11], v[10:11], v[14:15], v[12:13]
	v_div_scale_f64 v[12:13], null, v[10:11], v[10:11], 1.0
	v_rcp_f64_e32 v[16:17], v[12:13]
	v_fma_f64 v[25:26], -v[12:13], v[16:17], 1.0
	v_fma_f64 v[16:17], v[16:17], v[25:26], v[16:17]
	v_fma_f64 v[25:26], -v[12:13], v[16:17], 1.0
	v_fma_f64 v[16:17], v[16:17], v[25:26], v[16:17]
	v_div_scale_f64 v[25:26], vcc_lo, 1.0, v[10:11], 1.0
	v_mul_f64 v[27:28], v[25:26], v[16:17]
	v_fma_f64 v[12:13], -v[12:13], v[27:28], v[25:26]
	v_div_fmas_f64 v[12:13], v[12:13], v[16:17], v[27:28]
	v_div_fixup_f64 v[16:17], v[12:13], v[10:11], 1.0
                                        ; implicit-def: $vgpr10_vgpr11
	v_mul_f64 v[14:15], v[14:15], v[16:17]
	v_xor_b32_e32 v17, 0x80000000, v17
.LBB3_5:
	s_andn2_saveexec_b32 s2, s2
	s_cbranch_execz .LBB3_7
; %bb.6:
	v_div_scale_f64 v[14:15], null, v[10:11], v[10:11], v[12:13]
	v_div_scale_f64 v[27:28], vcc_lo, v[12:13], v[10:11], v[12:13]
	v_rcp_f64_e32 v[16:17], v[14:15]
	v_fma_f64 v[25:26], -v[14:15], v[16:17], 1.0
	v_fma_f64 v[16:17], v[16:17], v[25:26], v[16:17]
	v_fma_f64 v[25:26], -v[14:15], v[16:17], 1.0
	v_fma_f64 v[16:17], v[16:17], v[25:26], v[16:17]
	v_mul_f64 v[25:26], v[27:28], v[16:17]
	v_fma_f64 v[14:15], -v[14:15], v[25:26], v[27:28]
	v_div_fmas_f64 v[14:15], v[14:15], v[16:17], v[25:26]
	v_div_fixup_f64 v[16:17], v[14:15], v[10:11], v[12:13]
	v_fma_f64 v[10:11], v[12:13], v[16:17], v[10:11]
	v_div_scale_f64 v[12:13], null, v[10:11], v[10:11], 1.0
	v_rcp_f64_e32 v[14:15], v[12:13]
	v_fma_f64 v[25:26], -v[12:13], v[14:15], 1.0
	v_fma_f64 v[14:15], v[14:15], v[25:26], v[14:15]
	v_fma_f64 v[25:26], -v[12:13], v[14:15], 1.0
	v_fma_f64 v[14:15], v[14:15], v[25:26], v[14:15]
	v_div_scale_f64 v[25:26], vcc_lo, 1.0, v[10:11], 1.0
	v_mul_f64 v[27:28], v[25:26], v[14:15]
	v_fma_f64 v[12:13], -v[12:13], v[27:28], v[25:26]
	v_div_fmas_f64 v[12:13], v[12:13], v[14:15], v[27:28]
	v_div_fixup_f64 v[14:15], v[12:13], v[10:11], 1.0
	v_mul_f64 v[16:17], v[16:17], -v[14:15]
.LBB3_7:
	s_or_b32 exec_lo, exec_lo, s2
	ds_write2_b64 v1, v[14:15], v[16:17] offset1:1
.LBB3_8:
	s_or_b32 exec_lo, exec_lo, s4
	s_waitcnt vmcnt(0) lgkmcnt(0)
	s_barrier
	buffer_gl0_inv
	ds_read2_b64 v[10:13], v1 offset1:1
	s_and_saveexec_b32 s2, s1
	s_cbranch_execz .LBB3_10
; %bb.9:
	s_waitcnt lgkmcnt(0)
	v_mul_f64 v[14:15], v[10:11], v[8:9]
	v_mul_f64 v[8:9], v[12:13], v[8:9]
	v_fma_f64 v[25:26], v[12:13], v[6:7], v[14:15]
	ds_read2_b64 v[14:17], v24 offset0:2 offset1:3
	v_fma_f64 v[6:7], v[10:11], v[6:7], -v[8:9]
	s_waitcnt lgkmcnt(0)
	v_mul_f64 v[8:9], v[16:17], v[25:26]
	v_mul_f64 v[27:28], v[14:15], v[25:26]
	v_fma_f64 v[8:9], v[14:15], v[6:7], -v[8:9]
	v_fma_f64 v[14:15], v[16:17], v[6:7], v[27:28]
	v_add_f64 v[2:3], v[2:3], -v[8:9]
	v_add_f64 v[4:5], v[4:5], -v[14:15]
	v_mov_b32_e32 v8, v25
	v_mov_b32_e32 v9, v26
.LBB3_10:
	s_or_b32 exec_lo, exec_lo, s2
	s_mov_b32 s2, exec_lo
	s_waitcnt lgkmcnt(0)
	s_barrier
	buffer_gl0_inv
	v_cmpx_eq_u32_e32 1, v0
	s_cbranch_execz .LBB3_17
; %bb.11:
	v_cmp_neq_f64_e32 vcc_lo, 0, v[2:3]
	v_cmp_neq_f64_e64 s1, 0, v[4:5]
	ds_write2_b64 v1, v[2:3], v[4:5] offset1:1
	s_or_b32 s1, vcc_lo, s1
	s_and_b32 exec_lo, exec_lo, s1
	s_cbranch_execz .LBB3_17
; %bb.12:
	v_cmp_ngt_f64_e64 s1, |v[2:3]|, |v[4:5]|
                                        ; implicit-def: $vgpr14_vgpr15
	s_and_saveexec_b32 s4, s1
	s_xor_b32 s1, exec_lo, s4
                                        ; implicit-def: $vgpr16_vgpr17
	s_cbranch_execz .LBB3_14
; %bb.13:
	v_div_scale_f64 v[14:15], null, v[4:5], v[4:5], v[2:3]
	v_div_scale_f64 v[26:27], vcc_lo, v[2:3], v[4:5], v[2:3]
	v_rcp_f64_e32 v[16:17], v[14:15]
	v_fma_f64 v[24:25], -v[14:15], v[16:17], 1.0
	v_fma_f64 v[16:17], v[16:17], v[24:25], v[16:17]
	v_fma_f64 v[24:25], -v[14:15], v[16:17], 1.0
	v_fma_f64 v[16:17], v[16:17], v[24:25], v[16:17]
	v_mul_f64 v[24:25], v[26:27], v[16:17]
	v_fma_f64 v[14:15], -v[14:15], v[24:25], v[26:27]
	v_div_fmas_f64 v[14:15], v[14:15], v[16:17], v[24:25]
	v_div_fixup_f64 v[14:15], v[14:15], v[4:5], v[2:3]
	v_fma_f64 v[16:17], v[2:3], v[14:15], v[4:5]
	v_div_scale_f64 v[24:25], null, v[16:17], v[16:17], 1.0
	v_rcp_f64_e32 v[26:27], v[24:25]
	v_fma_f64 v[28:29], -v[24:25], v[26:27], 1.0
	v_fma_f64 v[26:27], v[26:27], v[28:29], v[26:27]
	v_fma_f64 v[28:29], -v[24:25], v[26:27], 1.0
	v_fma_f64 v[26:27], v[26:27], v[28:29], v[26:27]
	v_div_scale_f64 v[28:29], vcc_lo, 1.0, v[16:17], 1.0
	v_mul_f64 v[30:31], v[28:29], v[26:27]
	v_fma_f64 v[24:25], -v[24:25], v[30:31], v[28:29]
	v_div_fmas_f64 v[24:25], v[24:25], v[26:27], v[30:31]
	v_div_fixup_f64 v[16:17], v[24:25], v[16:17], 1.0
	v_mul_f64 v[14:15], v[14:15], v[16:17]
	v_xor_b32_e32 v17, 0x80000000, v17
.LBB3_14:
	s_andn2_saveexec_b32 s1, s1
	s_cbranch_execz .LBB3_16
; %bb.15:
	v_div_scale_f64 v[14:15], null, v[2:3], v[2:3], v[4:5]
	v_div_scale_f64 v[26:27], vcc_lo, v[4:5], v[2:3], v[4:5]
	v_rcp_f64_e32 v[16:17], v[14:15]
	v_fma_f64 v[24:25], -v[14:15], v[16:17], 1.0
	v_fma_f64 v[16:17], v[16:17], v[24:25], v[16:17]
	v_fma_f64 v[24:25], -v[14:15], v[16:17], 1.0
	v_fma_f64 v[16:17], v[16:17], v[24:25], v[16:17]
	v_mul_f64 v[24:25], v[26:27], v[16:17]
	v_fma_f64 v[14:15], -v[14:15], v[24:25], v[26:27]
	v_div_fmas_f64 v[14:15], v[14:15], v[16:17], v[24:25]
	v_div_fixup_f64 v[16:17], v[14:15], v[2:3], v[4:5]
	v_fma_f64 v[14:15], v[4:5], v[16:17], v[2:3]
	v_div_scale_f64 v[24:25], null, v[14:15], v[14:15], 1.0
	v_rcp_f64_e32 v[26:27], v[24:25]
	v_fma_f64 v[28:29], -v[24:25], v[26:27], 1.0
	v_fma_f64 v[26:27], v[26:27], v[28:29], v[26:27]
	v_fma_f64 v[28:29], -v[24:25], v[26:27], 1.0
	v_fma_f64 v[26:27], v[26:27], v[28:29], v[26:27]
	v_div_scale_f64 v[28:29], vcc_lo, 1.0, v[14:15], 1.0
	v_mul_f64 v[30:31], v[28:29], v[26:27]
	v_fma_f64 v[24:25], -v[24:25], v[30:31], v[28:29]
	v_div_fmas_f64 v[24:25], v[24:25], v[26:27], v[30:31]
	v_div_fixup_f64 v[14:15], v[24:25], v[14:15], 1.0
	v_mul_f64 v[16:17], v[16:17], -v[14:15]
.LBB3_16:
	s_or_b32 exec_lo, exec_lo, s1
	ds_write2_b64 v1, v[14:15], v[16:17] offset1:1
.LBB3_17:
	s_or_b32 exec_lo, exec_lo, s2
	s_waitcnt lgkmcnt(0)
	s_barrier
	buffer_gl0_inv
	ds_read2_b64 v[14:17], v1 offset1:1
	s_mov_b32 s1, exec_lo
	v_cmpx_lt_u32_e32 1, v0
	s_cbranch_execz .LBB3_19
; %bb.18:
	s_waitcnt lgkmcnt(0)
	v_mul_f64 v[0:1], v[16:17], v[4:5]
	v_mul_f64 v[4:5], v[14:15], v[4:5]
	v_fma_f64 v[0:1], v[14:15], v[2:3], -v[0:1]
	v_fma_f64 v[4:5], v[16:17], v[2:3], v[4:5]
	v_mov_b32_e32 v3, v1
	v_mov_b32_e32 v2, v0
.LBB3_19:
	s_or_b32 exec_lo, exec_lo, s1
	s_waitcnt lgkmcnt(0)
	s_barrier
	buffer_gl0_inv
	s_and_saveexec_b32 s4, s0
	s_cbranch_execz .LBB3_22
; %bb.20:
	v_lshlrev_b64 v[0:1], 2, v[18:19]
	v_cmp_eq_f64_e64 s0, 0, v[12:13]
	v_cmp_neq_f64_e64 s1, 0, v[14:15]
	v_cmp_neq_f64_e64 s2, 0, v[16:17]
	v_add_co_u32 v0, vcc_lo, s10, v0
	v_add_co_ci_u32_e64 v1, null, s11, v1, vcc_lo
	v_cmp_eq_f64_e32 vcc_lo, 0, v[10:11]
	global_load_dword v18, v[0:1], off
	s_and_b32 s5, vcc_lo, s0
	s_or_b32 s0, s1, s2
	s_or_b32 vcc_lo, s0, s5
	s_xor_b32 s1, vcc_lo, -1
	s_or_b32 s1, s1, s5
	s_waitcnt vmcnt(0)
	v_cmp_eq_u32_e64 s0, 0, v18
	s_and_b32 s0, s0, s1
	s_and_b32 exec_lo, exec_lo, s0
	s_cbranch_execz .LBB3_22
; %bb.21:
	v_cndmask_b32_e64 v10, 0, 1, s5
	v_cndmask_b32_e32 v10, 2, v10, vcc_lo
	v_add_nc_u32_e32 v10, s3, v10
	global_store_dword v[0:1], v10, off
.LBB3_22:
	s_or_b32 exec_lo, exec_lo, s4
	global_store_dwordx4 v[20:21], v[6:9], off
	global_store_dwordx4 v[22:23], v[2:5], off
.LBB3_23:
	s_endpgm
	.section	.rodata,"a",@progbits
	.p2align	6, 0x0
	.amdhsa_kernel _ZN9rocsolver6v33100L23getf2_npvt_small_kernelILi2E19rocblas_complex_numIdEiiPS3_EEvT1_T3_lS5_lPT2_S5_S5_
		.amdhsa_group_segment_fixed_size 0
		.amdhsa_private_segment_fixed_size 0
		.amdhsa_kernarg_size 312
		.amdhsa_user_sgpr_count 6
		.amdhsa_user_sgpr_private_segment_buffer 1
		.amdhsa_user_sgpr_dispatch_ptr 0
		.amdhsa_user_sgpr_queue_ptr 0
		.amdhsa_user_sgpr_kernarg_segment_ptr 1
		.amdhsa_user_sgpr_dispatch_id 0
		.amdhsa_user_sgpr_flat_scratch_init 0
		.amdhsa_user_sgpr_private_segment_size 0
		.amdhsa_wavefront_size32 1
		.amdhsa_uses_dynamic_stack 0
		.amdhsa_system_sgpr_private_segment_wavefront_offset 0
		.amdhsa_system_sgpr_workgroup_id_x 1
		.amdhsa_system_sgpr_workgroup_id_y 1
		.amdhsa_system_sgpr_workgroup_id_z 0
		.amdhsa_system_sgpr_workgroup_info 0
		.amdhsa_system_vgpr_workitem_id 1
		.amdhsa_next_free_vgpr 32
		.amdhsa_next_free_sgpr 16
		.amdhsa_reserve_vcc 1
		.amdhsa_reserve_flat_scratch 0
		.amdhsa_float_round_mode_32 0
		.amdhsa_float_round_mode_16_64 0
		.amdhsa_float_denorm_mode_32 3
		.amdhsa_float_denorm_mode_16_64 3
		.amdhsa_dx10_clamp 1
		.amdhsa_ieee_mode 1
		.amdhsa_fp16_overflow 0
		.amdhsa_workgroup_processor_mode 1
		.amdhsa_memory_ordered 1
		.amdhsa_forward_progress 1
		.amdhsa_shared_vgpr_count 0
		.amdhsa_exception_fp_ieee_invalid_op 0
		.amdhsa_exception_fp_denorm_src 0
		.amdhsa_exception_fp_ieee_div_zero 0
		.amdhsa_exception_fp_ieee_overflow 0
		.amdhsa_exception_fp_ieee_underflow 0
		.amdhsa_exception_fp_ieee_inexact 0
		.amdhsa_exception_int_div_zero 0
	.end_amdhsa_kernel
	.section	.text._ZN9rocsolver6v33100L23getf2_npvt_small_kernelILi2E19rocblas_complex_numIdEiiPS3_EEvT1_T3_lS5_lPT2_S5_S5_,"axG",@progbits,_ZN9rocsolver6v33100L23getf2_npvt_small_kernelILi2E19rocblas_complex_numIdEiiPS3_EEvT1_T3_lS5_lPT2_S5_S5_,comdat
.Lfunc_end3:
	.size	_ZN9rocsolver6v33100L23getf2_npvt_small_kernelILi2E19rocblas_complex_numIdEiiPS3_EEvT1_T3_lS5_lPT2_S5_S5_, .Lfunc_end3-_ZN9rocsolver6v33100L23getf2_npvt_small_kernelILi2E19rocblas_complex_numIdEiiPS3_EEvT1_T3_lS5_lPT2_S5_S5_
                                        ; -- End function
	.set _ZN9rocsolver6v33100L23getf2_npvt_small_kernelILi2E19rocblas_complex_numIdEiiPS3_EEvT1_T3_lS5_lPT2_S5_S5_.num_vgpr, 32
	.set _ZN9rocsolver6v33100L23getf2_npvt_small_kernelILi2E19rocblas_complex_numIdEiiPS3_EEvT1_T3_lS5_lPT2_S5_S5_.num_agpr, 0
	.set _ZN9rocsolver6v33100L23getf2_npvt_small_kernelILi2E19rocblas_complex_numIdEiiPS3_EEvT1_T3_lS5_lPT2_S5_S5_.numbered_sgpr, 16
	.set _ZN9rocsolver6v33100L23getf2_npvt_small_kernelILi2E19rocblas_complex_numIdEiiPS3_EEvT1_T3_lS5_lPT2_S5_S5_.num_named_barrier, 0
	.set _ZN9rocsolver6v33100L23getf2_npvt_small_kernelILi2E19rocblas_complex_numIdEiiPS3_EEvT1_T3_lS5_lPT2_S5_S5_.private_seg_size, 0
	.set _ZN9rocsolver6v33100L23getf2_npvt_small_kernelILi2E19rocblas_complex_numIdEiiPS3_EEvT1_T3_lS5_lPT2_S5_S5_.uses_vcc, 1
	.set _ZN9rocsolver6v33100L23getf2_npvt_small_kernelILi2E19rocblas_complex_numIdEiiPS3_EEvT1_T3_lS5_lPT2_S5_S5_.uses_flat_scratch, 0
	.set _ZN9rocsolver6v33100L23getf2_npvt_small_kernelILi2E19rocblas_complex_numIdEiiPS3_EEvT1_T3_lS5_lPT2_S5_S5_.has_dyn_sized_stack, 0
	.set _ZN9rocsolver6v33100L23getf2_npvt_small_kernelILi2E19rocblas_complex_numIdEiiPS3_EEvT1_T3_lS5_lPT2_S5_S5_.has_recursion, 0
	.set _ZN9rocsolver6v33100L23getf2_npvt_small_kernelILi2E19rocblas_complex_numIdEiiPS3_EEvT1_T3_lS5_lPT2_S5_S5_.has_indirect_call, 0
	.section	.AMDGPU.csdata,"",@progbits
; Kernel info:
; codeLenInByte = 1636
; TotalNumSgprs: 18
; NumVgprs: 32
; ScratchSize: 0
; MemoryBound: 0
; FloatMode: 240
; IeeeMode: 1
; LDSByteSize: 0 bytes/workgroup (compile time only)
; SGPRBlocks: 0
; VGPRBlocks: 3
; NumSGPRsForWavesPerEU: 18
; NumVGPRsForWavesPerEU: 32
; Occupancy: 16
; WaveLimiterHint : 0
; COMPUTE_PGM_RSRC2:SCRATCH_EN: 0
; COMPUTE_PGM_RSRC2:USER_SGPR: 6
; COMPUTE_PGM_RSRC2:TRAP_HANDLER: 0
; COMPUTE_PGM_RSRC2:TGID_X_EN: 1
; COMPUTE_PGM_RSRC2:TGID_Y_EN: 1
; COMPUTE_PGM_RSRC2:TGID_Z_EN: 0
; COMPUTE_PGM_RSRC2:TIDIG_COMP_CNT: 1
	.section	.text._ZN9rocsolver6v33100L18getf2_small_kernelILi3E19rocblas_complex_numIdEiiPS3_EEvT1_T3_lS5_lPS5_llPT2_S5_S5_S7_l,"axG",@progbits,_ZN9rocsolver6v33100L18getf2_small_kernelILi3E19rocblas_complex_numIdEiiPS3_EEvT1_T3_lS5_lPS5_llPT2_S5_S5_S7_l,comdat
	.globl	_ZN9rocsolver6v33100L18getf2_small_kernelILi3E19rocblas_complex_numIdEiiPS3_EEvT1_T3_lS5_lPS5_llPT2_S5_S5_S7_l ; -- Begin function _ZN9rocsolver6v33100L18getf2_small_kernelILi3E19rocblas_complex_numIdEiiPS3_EEvT1_T3_lS5_lPS5_llPT2_S5_S5_S7_l
	.p2align	8
	.type	_ZN9rocsolver6v33100L18getf2_small_kernelILi3E19rocblas_complex_numIdEiiPS3_EEvT1_T3_lS5_lPS5_llPT2_S5_S5_S7_l,@function
_ZN9rocsolver6v33100L18getf2_small_kernelILi3E19rocblas_complex_numIdEiiPS3_EEvT1_T3_lS5_lPS5_llPT2_S5_S5_S7_l: ; @_ZN9rocsolver6v33100L18getf2_small_kernelILi3E19rocblas_complex_numIdEiiPS3_EEvT1_T3_lS5_lPS5_llPT2_S5_S5_S7_l
; %bb.0:
	s_clause 0x1
	s_load_dword s0, s[4:5], 0x6c
	s_load_dwordx2 s[16:17], s[4:5], 0x48
	s_waitcnt lgkmcnt(0)
	s_lshr_b32 s0, s0, 16
	v_mad_u64_u32 v[18:19], null, s7, s0, v[1:2]
	s_mov_b32 s0, exec_lo
	v_cmpx_gt_i32_e64 s16, v18
	s_cbranch_execz .LBB4_66
; %bb.1:
	s_load_dwordx4 s[0:3], s[4:5], 0x50
	v_mov_b32_e32 v20, 0
	v_ashrrev_i32_e32 v19, 31, v18
	v_mov_b32_e32 v21, 0
	s_waitcnt lgkmcnt(0)
	s_cmp_eq_u64 s[0:1], 0
	s_cselect_b32 s16, -1, 0
	s_and_b32 vcc_lo, exec_lo, s16
	s_cbranch_vccnz .LBB4_3
; %bb.2:
	v_mul_lo_u32 v4, s3, v18
	v_mul_lo_u32 v5, s2, v19
	v_mad_u64_u32 v[2:3], null, s2, v18, 0
	v_add3_u32 v3, v3, v5, v4
	v_lshlrev_b64 v[2:3], 2, v[2:3]
	v_add_co_u32 v20, vcc_lo, s0, v2
	v_add_co_ci_u32_e64 v21, null, s1, v3, vcc_lo
.LBB4_3:
	s_clause 0x2
	s_load_dwordx8 s[8:15], s[4:5], 0x20
	s_load_dwordx4 s[20:23], s[4:5], 0x8
	s_load_dword s2, s[4:5], 0x18
	v_lshlrev_b32_e32 v14, 4, v0
	v_mov_b32_e32 v22, 0
	s_waitcnt lgkmcnt(0)
	v_mul_lo_u32 v4, s9, v18
	v_mul_lo_u32 v5, s8, v19
	v_mad_u64_u32 v[2:3], null, s8, v18, 0
	s_lshl_b64 s[0:1], s[22:23], 4
	v_add3_u32 v3, v3, v5, v4
	v_lshlrev_b64 v[2:3], 4, v[2:3]
	v_add_co_u32 v2, vcc_lo, s20, v2
	v_add_co_ci_u32_e64 v3, null, s21, v3, vcc_lo
	v_add_co_u32 v25, vcc_lo, v2, s0
	v_add_co_ci_u32_e64 v26, null, s1, v3, vcc_lo
	s_load_dword s1, s[4:5], 0x0
	v_add_co_u32 v6, vcc_lo, v25, v14
	v_add_co_ci_u32_e64 v7, null, 0, v26, vcc_lo
	v_add3_u32 v8, s2, s2, v0
	s_ashr_i32 s3, s2, 31
	s_load_dwordx2 s[4:5], s[4:5], 0x40
	global_load_dwordx4 v[2:5], v[6:7], off
	s_lshl_b64 s[6:7], s[2:3], 4
	v_ashrrev_i32_e32 v9, 31, v8
	v_lshlrev_b64 v[8:9], 4, v[8:9]
	s_waitcnt lgkmcnt(0)
	s_max_i32 s0, s1, 3
	v_add_co_u32 v8, vcc_lo, v25, v8
	v_add_co_ci_u32_e64 v9, null, v26, v9, vcc_lo
	v_add_co_u32 v10, vcc_lo, v6, s6
	v_add_co_ci_u32_e64 v11, null, s7, v7, vcc_lo
	s_clause 0x1
	global_load_dwordx4 v[6:9], v[8:9], off
	global_load_dwordx4 v[10:13], v[10:11], off
	v_mul_lo_u32 v23, s0, v1
	s_cmp_lt_i32 s1, 2
	v_lshl_add_u32 v1, v23, 4, 0
	v_lshlrev_b32_e32 v24, 4, v23
	v_add_nc_u32_e32 v14, v1, v14
	s_waitcnt vmcnt(2)
	ds_write2_b64 v14, v[2:3], v[4:5] offset1:1
	s_waitcnt vmcnt(0) lgkmcnt(0)
	s_barrier
	buffer_gl0_inv
	ds_read2_b64 v[14:17], v1 offset1:1
	s_cbranch_scc1 .LBB4_6
; %bb.4:
	v_add3_u32 v23, v24, 0, 16
	v_mov_b32_e32 v22, 0
	s_mov_b32 s3, 1
	s_inst_prefetch 0x1
	.p2align	6
.LBB4_5:                                ; =>This Inner Loop Header: Depth=1
	s_waitcnt lgkmcnt(0)
	v_cmp_gt_f64_e32 vcc_lo, 0, v[16:17]
	v_cmp_gt_f64_e64 s0, 0, v[14:15]
	ds_read2_b64 v[27:30], v23 offset1:1
	v_xor_b32_e32 v32, 0x80000000, v15
	v_xor_b32_e32 v34, 0x80000000, v17
	v_mov_b32_e32 v31, v14
	v_mov_b32_e32 v33, v16
	v_add_nc_u32_e32 v23, 16, v23
	s_waitcnt lgkmcnt(0)
	v_xor_b32_e32 v36, 0x80000000, v30
	v_cndmask_b32_e64 v32, v15, v32, s0
	v_cndmask_b32_e32 v34, v17, v34, vcc_lo
	v_cmp_gt_f64_e32 vcc_lo, 0, v[29:30]
	v_cmp_gt_f64_e64 s0, 0, v[27:28]
	v_mov_b32_e32 v35, v29
	v_add_f64 v[31:32], v[31:32], v[33:34]
	v_xor_b32_e32 v34, 0x80000000, v28
	v_mov_b32_e32 v33, v27
	v_cndmask_b32_e32 v36, v30, v36, vcc_lo
	v_cndmask_b32_e64 v34, v28, v34, s0
	v_add_f64 v[33:34], v[33:34], v[35:36]
	v_cmp_lt_f64_e32 vcc_lo, v[31:32], v[33:34]
	v_cndmask_b32_e32 v15, v15, v28, vcc_lo
	v_cndmask_b32_e32 v14, v14, v27, vcc_lo
	;; [unrolled: 1-line block ×4, first 2 shown]
	v_cndmask_b32_e64 v22, v22, s3, vcc_lo
	s_add_i32 s3, s3, 1
	s_cmp_eq_u32 s1, s3
	s_cbranch_scc0 .LBB4_5
.LBB4_6:
	s_inst_prefetch 0x2
	s_waitcnt lgkmcnt(0)
	v_cmp_neq_f64_e32 vcc_lo, 0, v[14:15]
	v_cmp_neq_f64_e64 s0, 0, v[16:17]
	v_mov_b32_e32 v27, 1
	v_mov_b32_e32 v29, 1
	s_or_b32 s3, vcc_lo, s0
	s_and_saveexec_b32 s0, s3
	s_cbranch_execz .LBB4_12
; %bb.7:
	v_cmp_ngt_f64_e64 s3, |v[14:15]|, |v[16:17]|
	s_and_saveexec_b32 s8, s3
	s_xor_b32 s3, exec_lo, s8
	s_cbranch_execz .LBB4_9
; %bb.8:
	v_div_scale_f64 v[27:28], null, v[16:17], v[16:17], v[14:15]
	v_div_scale_f64 v[33:34], vcc_lo, v[14:15], v[16:17], v[14:15]
	v_rcp_f64_e32 v[29:30], v[27:28]
	v_fma_f64 v[31:32], -v[27:28], v[29:30], 1.0
	v_fma_f64 v[29:30], v[29:30], v[31:32], v[29:30]
	v_fma_f64 v[31:32], -v[27:28], v[29:30], 1.0
	v_fma_f64 v[29:30], v[29:30], v[31:32], v[29:30]
	v_mul_f64 v[31:32], v[33:34], v[29:30]
	v_fma_f64 v[27:28], -v[27:28], v[31:32], v[33:34]
	v_div_fmas_f64 v[27:28], v[27:28], v[29:30], v[31:32]
	v_div_fixup_f64 v[27:28], v[27:28], v[16:17], v[14:15]
	v_fma_f64 v[14:15], v[14:15], v[27:28], v[16:17]
	v_div_scale_f64 v[16:17], null, v[14:15], v[14:15], 1.0
	v_rcp_f64_e32 v[29:30], v[16:17]
	v_fma_f64 v[31:32], -v[16:17], v[29:30], 1.0
	v_fma_f64 v[29:30], v[29:30], v[31:32], v[29:30]
	v_fma_f64 v[31:32], -v[16:17], v[29:30], 1.0
	v_fma_f64 v[29:30], v[29:30], v[31:32], v[29:30]
	v_div_scale_f64 v[31:32], vcc_lo, 1.0, v[14:15], 1.0
	v_mul_f64 v[33:34], v[31:32], v[29:30]
	v_fma_f64 v[16:17], -v[16:17], v[33:34], v[31:32]
	v_div_fmas_f64 v[16:17], v[16:17], v[29:30], v[33:34]
	v_div_fixup_f64 v[16:17], v[16:17], v[14:15], 1.0
	v_mul_f64 v[14:15], v[27:28], v[16:17]
	v_xor_b32_e32 v17, 0x80000000, v17
.LBB4_9:
	s_andn2_saveexec_b32 s3, s3
	s_cbranch_execz .LBB4_11
; %bb.10:
	v_div_scale_f64 v[27:28], null, v[14:15], v[14:15], v[16:17]
	v_div_scale_f64 v[33:34], vcc_lo, v[16:17], v[14:15], v[16:17]
	v_rcp_f64_e32 v[29:30], v[27:28]
	v_fma_f64 v[31:32], -v[27:28], v[29:30], 1.0
	v_fma_f64 v[29:30], v[29:30], v[31:32], v[29:30]
	v_fma_f64 v[31:32], -v[27:28], v[29:30], 1.0
	v_fma_f64 v[29:30], v[29:30], v[31:32], v[29:30]
	v_mul_f64 v[31:32], v[33:34], v[29:30]
	v_fma_f64 v[27:28], -v[27:28], v[31:32], v[33:34]
	v_div_fmas_f64 v[27:28], v[27:28], v[29:30], v[31:32]
	v_div_fixup_f64 v[27:28], v[27:28], v[14:15], v[16:17]
	v_fma_f64 v[14:15], v[16:17], v[27:28], v[14:15]
	v_div_scale_f64 v[16:17], null, v[14:15], v[14:15], 1.0
	v_rcp_f64_e32 v[29:30], v[16:17]
	v_fma_f64 v[31:32], -v[16:17], v[29:30], 1.0
	v_fma_f64 v[29:30], v[29:30], v[31:32], v[29:30]
	v_fma_f64 v[31:32], -v[16:17], v[29:30], 1.0
	v_fma_f64 v[29:30], v[29:30], v[31:32], v[29:30]
	v_div_scale_f64 v[31:32], vcc_lo, 1.0, v[14:15], 1.0
	v_mul_f64 v[33:34], v[31:32], v[29:30]
	v_fma_f64 v[16:17], -v[16:17], v[33:34], v[31:32]
	v_div_fmas_f64 v[16:17], v[16:17], v[29:30], v[33:34]
	v_div_fixup_f64 v[14:15], v[16:17], v[14:15], 1.0
	v_mul_f64 v[16:17], v[27:28], -v[14:15]
.LBB4_11:
	s_or_b32 exec_lo, exec_lo, s3
	v_mov_b32_e32 v29, 0
	v_mov_b32_e32 v27, 2
.LBB4_12:
	s_or_b32 exec_lo, exec_lo, s0
	s_mov_b32 s0, exec_lo
	v_cmpx_ne_u32_e64 v0, v22
	s_xor_b32 s0, exec_lo, s0
	s_cbranch_execz .LBB4_18
; %bb.13:
	s_mov_b32 s3, exec_lo
	v_cmpx_eq_u32_e32 0, v0
	s_cbranch_execz .LBB4_17
; %bb.14:
	v_cmp_ne_u32_e32 vcc_lo, 0, v22
	s_xor_b32 s8, s16, -1
	s_and_b32 s9, s8, vcc_lo
	s_and_saveexec_b32 s8, s9
	s_cbranch_execz .LBB4_16
; %bb.15:
	v_ashrrev_i32_e32 v23, 31, v22
	v_lshlrev_b64 v[30:31], 2, v[22:23]
	v_add_co_u32 v30, vcc_lo, v20, v30
	v_add_co_ci_u32_e64 v31, null, v21, v31, vcc_lo
	s_clause 0x1
	global_load_dword v0, v[30:31], off
	global_load_dword v23, v[20:21], off
	s_waitcnt vmcnt(1)
	global_store_dword v[20:21], v0, off
	s_waitcnt vmcnt(0)
	global_store_dword v[30:31], v23, off
.LBB4_16:
	s_or_b32 exec_lo, exec_lo, s8
	v_mov_b32_e32 v0, v22
.LBB4_17:
	s_or_b32 exec_lo, exec_lo, s3
.LBB4_18:
	s_or_saveexec_b32 s0, s0
	v_mov_b32_e32 v28, v0
	s_xor_b32 exec_lo, exec_lo, s0
	s_cbranch_execz .LBB4_20
; %bb.19:
	v_mov_b32_e32 v28, 0
	ds_write2_b64 v1, v[10:11], v[12:13] offset0:2 offset1:3
	ds_write2_b64 v1, v[6:7], v[8:9] offset0:4 offset1:5
.LBB4_20:
	s_or_b32 exec_lo, exec_lo, s0
	s_mov_b32 s0, exec_lo
	s_waitcnt lgkmcnt(0)
	s_waitcnt_vscnt null, 0x0
	s_barrier
	buffer_gl0_inv
	v_cmpx_lt_i32_e32 0, v28
	s_cbranch_execz .LBB4_22
; %bb.21:
	v_mul_f64 v[22:23], v[14:15], v[4:5]
	v_mul_f64 v[4:5], v[16:17], v[4:5]
	ds_read2_b64 v[30:33], v1 offset0:2 offset1:3
	ds_read2_b64 v[34:37], v1 offset0:4 offset1:5
	v_fma_f64 v[16:17], v[16:17], v[2:3], v[22:23]
	v_fma_f64 v[2:3], v[14:15], v[2:3], -v[4:5]
	s_waitcnt lgkmcnt(1)
	v_mul_f64 v[4:5], v[32:33], v[16:17]
	v_mul_f64 v[14:15], v[30:31], v[16:17]
	s_waitcnt lgkmcnt(0)
	v_mul_f64 v[22:23], v[36:37], v[16:17]
	v_mul_f64 v[38:39], v[34:35], v[16:17]
	v_fma_f64 v[4:5], v[30:31], v[2:3], -v[4:5]
	v_fma_f64 v[14:15], v[32:33], v[2:3], v[14:15]
	v_fma_f64 v[22:23], v[34:35], v[2:3], -v[22:23]
	v_fma_f64 v[30:31], v[36:37], v[2:3], v[38:39]
	v_add_f64 v[10:11], v[10:11], -v[4:5]
	v_add_f64 v[12:13], v[12:13], -v[14:15]
	;; [unrolled: 1-line block ×4, first 2 shown]
	v_mov_b32_e32 v4, v16
	v_mov_b32_e32 v5, v17
.LBB4_22:
	s_or_b32 exec_lo, exec_lo, s0
	v_lshl_add_u32 v14, v28, 4, v1
	s_barrier
	buffer_gl0_inv
	v_mov_b32_e32 v22, 1
	ds_write2_b64 v14, v[10:11], v[12:13] offset1:1
	s_waitcnt lgkmcnt(0)
	s_barrier
	buffer_gl0_inv
	ds_read2_b64 v[14:17], v1 offset0:2 offset1:3
	s_cmp_lt_i32 s1, 3
	s_cbranch_scc1 .LBB4_25
; %bb.23:
	v_add3_u32 v23, v24, 0, 32
	v_mov_b32_e32 v22, 1
	s_mov_b32 s3, 2
	s_inst_prefetch 0x1
	.p2align	6
.LBB4_24:                               ; =>This Inner Loop Header: Depth=1
	s_waitcnt lgkmcnt(0)
	v_cmp_gt_f64_e32 vcc_lo, 0, v[16:17]
	v_cmp_gt_f64_e64 s0, 0, v[14:15]
	ds_read2_b64 v[30:33], v23 offset1:1
	v_xor_b32_e32 v35, 0x80000000, v15
	v_xor_b32_e32 v37, 0x80000000, v17
	v_mov_b32_e32 v34, v14
	v_mov_b32_e32 v36, v16
	v_add_nc_u32_e32 v23, 16, v23
	s_waitcnt lgkmcnt(0)
	v_xor_b32_e32 v39, 0x80000000, v33
	v_cndmask_b32_e64 v35, v15, v35, s0
	v_cndmask_b32_e32 v37, v17, v37, vcc_lo
	v_cmp_gt_f64_e32 vcc_lo, 0, v[32:33]
	v_cmp_gt_f64_e64 s0, 0, v[30:31]
	v_mov_b32_e32 v38, v32
	v_add_f64 v[34:35], v[34:35], v[36:37]
	v_xor_b32_e32 v37, 0x80000000, v31
	v_mov_b32_e32 v36, v30
	v_cndmask_b32_e32 v39, v33, v39, vcc_lo
	v_cndmask_b32_e64 v37, v31, v37, s0
	v_add_f64 v[36:37], v[36:37], v[38:39]
	v_cmp_lt_f64_e32 vcc_lo, v[34:35], v[36:37]
	v_cndmask_b32_e32 v15, v15, v31, vcc_lo
	v_cndmask_b32_e32 v14, v14, v30, vcc_lo
	;; [unrolled: 1-line block ×4, first 2 shown]
	v_cndmask_b32_e64 v22, v22, s3, vcc_lo
	s_add_i32 s3, s3, 1
	s_cmp_lg_u32 s1, s3
	s_cbranch_scc1 .LBB4_24
.LBB4_25:
	s_inst_prefetch 0x2
	s_waitcnt lgkmcnt(0)
	v_cmp_neq_f64_e32 vcc_lo, 0, v[14:15]
	v_cmp_neq_f64_e64 s0, 0, v[16:17]
	s_or_b32 s3, vcc_lo, s0
	s_and_saveexec_b32 s0, s3
	s_cbranch_execz .LBB4_31
; %bb.26:
	v_cmp_ngt_f64_e64 s3, |v[14:15]|, |v[16:17]|
	s_and_saveexec_b32 s8, s3
	s_xor_b32 s3, exec_lo, s8
	s_cbranch_execz .LBB4_28
; %bb.27:
	v_div_scale_f64 v[30:31], null, v[16:17], v[16:17], v[14:15]
	v_div_scale_f64 v[36:37], vcc_lo, v[14:15], v[16:17], v[14:15]
	v_rcp_f64_e32 v[32:33], v[30:31]
	v_fma_f64 v[34:35], -v[30:31], v[32:33], 1.0
	v_fma_f64 v[32:33], v[32:33], v[34:35], v[32:33]
	v_fma_f64 v[34:35], -v[30:31], v[32:33], 1.0
	v_fma_f64 v[32:33], v[32:33], v[34:35], v[32:33]
	v_mul_f64 v[34:35], v[36:37], v[32:33]
	v_fma_f64 v[30:31], -v[30:31], v[34:35], v[36:37]
	v_div_fmas_f64 v[30:31], v[30:31], v[32:33], v[34:35]
	v_div_fixup_f64 v[30:31], v[30:31], v[16:17], v[14:15]
	v_fma_f64 v[14:15], v[14:15], v[30:31], v[16:17]
	v_div_scale_f64 v[16:17], null, v[14:15], v[14:15], 1.0
	v_rcp_f64_e32 v[32:33], v[16:17]
	v_fma_f64 v[34:35], -v[16:17], v[32:33], 1.0
	v_fma_f64 v[32:33], v[32:33], v[34:35], v[32:33]
	v_fma_f64 v[34:35], -v[16:17], v[32:33], 1.0
	v_fma_f64 v[32:33], v[32:33], v[34:35], v[32:33]
	v_div_scale_f64 v[34:35], vcc_lo, 1.0, v[14:15], 1.0
	v_mul_f64 v[36:37], v[34:35], v[32:33]
	v_fma_f64 v[16:17], -v[16:17], v[36:37], v[34:35]
	v_div_fmas_f64 v[16:17], v[16:17], v[32:33], v[36:37]
	v_div_fixup_f64 v[16:17], v[16:17], v[14:15], 1.0
	v_mul_f64 v[14:15], v[30:31], v[16:17]
	v_xor_b32_e32 v17, 0x80000000, v17
.LBB4_28:
	s_andn2_saveexec_b32 s3, s3
	s_cbranch_execz .LBB4_30
; %bb.29:
	v_div_scale_f64 v[30:31], null, v[14:15], v[14:15], v[16:17]
	v_div_scale_f64 v[36:37], vcc_lo, v[16:17], v[14:15], v[16:17]
	v_rcp_f64_e32 v[32:33], v[30:31]
	v_fma_f64 v[34:35], -v[30:31], v[32:33], 1.0
	v_fma_f64 v[32:33], v[32:33], v[34:35], v[32:33]
	v_fma_f64 v[34:35], -v[30:31], v[32:33], 1.0
	v_fma_f64 v[32:33], v[32:33], v[34:35], v[32:33]
	v_mul_f64 v[34:35], v[36:37], v[32:33]
	v_fma_f64 v[30:31], -v[30:31], v[34:35], v[36:37]
	v_div_fmas_f64 v[30:31], v[30:31], v[32:33], v[34:35]
	v_div_fixup_f64 v[30:31], v[30:31], v[14:15], v[16:17]
	v_fma_f64 v[14:15], v[16:17], v[30:31], v[14:15]
	v_div_scale_f64 v[16:17], null, v[14:15], v[14:15], 1.0
	v_rcp_f64_e32 v[32:33], v[16:17]
	v_fma_f64 v[34:35], -v[16:17], v[32:33], 1.0
	v_fma_f64 v[32:33], v[32:33], v[34:35], v[32:33]
	v_fma_f64 v[34:35], -v[16:17], v[32:33], 1.0
	v_fma_f64 v[32:33], v[32:33], v[34:35], v[32:33]
	v_div_scale_f64 v[34:35], vcc_lo, 1.0, v[14:15], 1.0
	v_mul_f64 v[36:37], v[34:35], v[32:33]
	v_fma_f64 v[16:17], -v[16:17], v[36:37], v[34:35]
	v_div_fmas_f64 v[16:17], v[16:17], v[32:33], v[36:37]
	v_div_fixup_f64 v[14:15], v[16:17], v[14:15], 1.0
	v_mul_f64 v[16:17], v[30:31], -v[14:15]
.LBB4_30:
	s_or_b32 exec_lo, exec_lo, s3
	v_mov_b32_e32 v27, v29
.LBB4_31:
	s_or_b32 exec_lo, exec_lo, s0
	s_mov_b32 s0, exec_lo
	v_cmpx_ne_u32_e64 v28, v22
	s_xor_b32 s0, exec_lo, s0
	s_cbranch_execz .LBB4_37
; %bb.32:
	s_mov_b32 s3, exec_lo
	v_cmpx_eq_u32_e32 1, v28
	s_cbranch_execz .LBB4_36
; %bb.33:
	v_cmp_ne_u32_e32 vcc_lo, 1, v22
	s_xor_b32 s8, s16, -1
	s_and_b32 s9, s8, vcc_lo
	s_and_saveexec_b32 s8, s9
	s_cbranch_execz .LBB4_35
; %bb.34:
	v_ashrrev_i32_e32 v23, 31, v22
	v_lshlrev_b64 v[28:29], 2, v[22:23]
	v_add_co_u32 v28, vcc_lo, v20, v28
	v_add_co_ci_u32_e64 v29, null, v21, v29, vcc_lo
	s_clause 0x1
	global_load_dword v0, v[28:29], off
	global_load_dword v23, v[20:21], off offset:4
	s_waitcnt vmcnt(1)
	global_store_dword v[20:21], v0, off offset:4
	s_waitcnt vmcnt(0)
	global_store_dword v[28:29], v23, off
.LBB4_35:
	s_or_b32 exec_lo, exec_lo, s8
	v_mov_b32_e32 v28, v22
	v_mov_b32_e32 v0, v22
.LBB4_36:
	s_or_b32 exec_lo, exec_lo, s3
.LBB4_37:
	s_andn2_saveexec_b32 s0, s0
; %bb.38:
	v_mov_b32_e32 v28, 1
	ds_write2_b64 v1, v[6:7], v[8:9] offset0:4 offset1:5
; %bb.39:
	s_or_b32 exec_lo, exec_lo, s0
	s_mov_b32 s0, exec_lo
	s_waitcnt lgkmcnt(0)
	s_waitcnt_vscnt null, 0x0
	s_barrier
	buffer_gl0_inv
	v_cmpx_lt_i32_e32 1, v28
	s_cbranch_execz .LBB4_41
; %bb.40:
	v_mul_f64 v[22:23], v[14:15], v[12:13]
	v_mul_f64 v[12:13], v[16:17], v[12:13]
	ds_read2_b64 v[29:32], v1 offset0:4 offset1:5
	v_fma_f64 v[16:17], v[16:17], v[10:11], v[22:23]
	v_fma_f64 v[10:11], v[14:15], v[10:11], -v[12:13]
	s_waitcnt lgkmcnt(0)
	v_mul_f64 v[12:13], v[31:32], v[16:17]
	v_mul_f64 v[14:15], v[29:30], v[16:17]
	v_fma_f64 v[12:13], v[29:30], v[10:11], -v[12:13]
	v_fma_f64 v[14:15], v[31:32], v[10:11], v[14:15]
	v_add_f64 v[6:7], v[6:7], -v[12:13]
	v_add_f64 v[8:9], v[8:9], -v[14:15]
	v_mov_b32_e32 v12, v16
	v_mov_b32_e32 v13, v17
.LBB4_41:
	s_or_b32 exec_lo, exec_lo, s0
	v_lshl_add_u32 v14, v28, 4, v1
	s_barrier
	buffer_gl0_inv
	v_mov_b32_e32 v22, 2
	ds_write2_b64 v14, v[6:7], v[8:9] offset1:1
	s_waitcnt lgkmcnt(0)
	s_barrier
	buffer_gl0_inv
	ds_read2_b64 v[14:17], v1 offset0:4 offset1:5
	s_cmp_lt_i32 s1, 4
	s_cbranch_scc1 .LBB4_44
; %bb.42:
	v_add3_u32 v1, v24, 0, 48
	v_mov_b32_e32 v22, 2
	s_mov_b32 s3, 3
	s_inst_prefetch 0x1
	.p2align	6
.LBB4_43:                               ; =>This Inner Loop Header: Depth=1
	s_waitcnt lgkmcnt(0)
	v_cmp_gt_f64_e32 vcc_lo, 0, v[16:17]
	v_cmp_gt_f64_e64 s0, 0, v[14:15]
	ds_read2_b64 v[29:32], v1 offset1:1
	v_xor_b32_e32 v24, 0x80000000, v15
	v_xor_b32_e32 v34, 0x80000000, v17
	v_mov_b32_e32 v23, v14
	v_mov_b32_e32 v33, v16
	v_add_nc_u32_e32 v1, 16, v1
	s_waitcnt lgkmcnt(0)
	v_xor_b32_e32 v36, 0x80000000, v32
	v_cndmask_b32_e64 v24, v15, v24, s0
	v_cndmask_b32_e32 v34, v17, v34, vcc_lo
	v_cmp_gt_f64_e32 vcc_lo, 0, v[31:32]
	v_cmp_gt_f64_e64 s0, 0, v[29:30]
	v_mov_b32_e32 v35, v31
	v_add_f64 v[23:24], v[23:24], v[33:34]
	v_xor_b32_e32 v34, 0x80000000, v30
	v_mov_b32_e32 v33, v29
	v_cndmask_b32_e32 v36, v32, v36, vcc_lo
	v_cndmask_b32_e64 v34, v30, v34, s0
	v_add_f64 v[33:34], v[33:34], v[35:36]
	v_cmp_lt_f64_e32 vcc_lo, v[23:24], v[33:34]
	v_cndmask_b32_e32 v15, v15, v30, vcc_lo
	v_cndmask_b32_e32 v14, v14, v29, vcc_lo
	v_cndmask_b32_e32 v17, v17, v32, vcc_lo
	v_cndmask_b32_e32 v16, v16, v31, vcc_lo
	v_cndmask_b32_e64 v22, v22, s3, vcc_lo
	s_add_i32 s3, s3, 1
	s_cmp_lg_u32 s1, s3
	s_cbranch_scc1 .LBB4_43
.LBB4_44:
	s_inst_prefetch 0x2
	s_waitcnt lgkmcnt(0)
	v_cmp_eq_f64_e32 vcc_lo, 0, v[14:15]
	v_cmp_eq_f64_e64 s0, 0, v[16:17]
	s_and_b32 s0, vcc_lo, s0
	s_and_saveexec_b32 s1, s0
	s_xor_b32 s0, exec_lo, s1
; %bb.45:
	v_cmp_ne_u32_e32 vcc_lo, 0, v27
	v_cndmask_b32_e32 v27, 3, v27, vcc_lo
; %bb.46:
	s_andn2_saveexec_b32 s0, s0
	s_cbranch_execz .LBB4_52
; %bb.47:
	v_cmp_ngt_f64_e64 s1, |v[14:15]|, |v[16:17]|
	s_and_saveexec_b32 s3, s1
	s_xor_b32 s1, exec_lo, s3
	s_cbranch_execz .LBB4_49
; %bb.48:
	v_div_scale_f64 v[23:24], null, v[16:17], v[16:17], v[14:15]
	v_div_scale_f64 v[33:34], vcc_lo, v[14:15], v[16:17], v[14:15]
	v_rcp_f64_e32 v[29:30], v[23:24]
	v_fma_f64 v[31:32], -v[23:24], v[29:30], 1.0
	v_fma_f64 v[29:30], v[29:30], v[31:32], v[29:30]
	v_fma_f64 v[31:32], -v[23:24], v[29:30], 1.0
	v_fma_f64 v[29:30], v[29:30], v[31:32], v[29:30]
	v_mul_f64 v[31:32], v[33:34], v[29:30]
	v_fma_f64 v[23:24], -v[23:24], v[31:32], v[33:34]
	v_div_fmas_f64 v[23:24], v[23:24], v[29:30], v[31:32]
	v_div_fixup_f64 v[23:24], v[23:24], v[16:17], v[14:15]
	v_fma_f64 v[14:15], v[14:15], v[23:24], v[16:17]
	v_div_scale_f64 v[16:17], null, v[14:15], v[14:15], 1.0
	v_rcp_f64_e32 v[29:30], v[16:17]
	v_fma_f64 v[31:32], -v[16:17], v[29:30], 1.0
	v_fma_f64 v[29:30], v[29:30], v[31:32], v[29:30]
	v_fma_f64 v[31:32], -v[16:17], v[29:30], 1.0
	v_fma_f64 v[29:30], v[29:30], v[31:32], v[29:30]
	v_div_scale_f64 v[31:32], vcc_lo, 1.0, v[14:15], 1.0
	v_mul_f64 v[33:34], v[31:32], v[29:30]
	v_fma_f64 v[16:17], -v[16:17], v[33:34], v[31:32]
	v_div_fmas_f64 v[16:17], v[16:17], v[29:30], v[33:34]
	v_div_fixup_f64 v[16:17], v[16:17], v[14:15], 1.0
	v_mul_f64 v[14:15], v[23:24], v[16:17]
	v_xor_b32_e32 v17, 0x80000000, v17
.LBB4_49:
	s_andn2_saveexec_b32 s1, s1
	s_cbranch_execz .LBB4_51
; %bb.50:
	v_div_scale_f64 v[23:24], null, v[14:15], v[14:15], v[16:17]
	v_div_scale_f64 v[33:34], vcc_lo, v[16:17], v[14:15], v[16:17]
	v_rcp_f64_e32 v[29:30], v[23:24]
	v_fma_f64 v[31:32], -v[23:24], v[29:30], 1.0
	v_fma_f64 v[29:30], v[29:30], v[31:32], v[29:30]
	v_fma_f64 v[31:32], -v[23:24], v[29:30], 1.0
	v_fma_f64 v[29:30], v[29:30], v[31:32], v[29:30]
	v_mul_f64 v[31:32], v[33:34], v[29:30]
	v_fma_f64 v[23:24], -v[23:24], v[31:32], v[33:34]
	v_div_fmas_f64 v[23:24], v[23:24], v[29:30], v[31:32]
	v_div_fixup_f64 v[23:24], v[23:24], v[14:15], v[16:17]
	v_fma_f64 v[14:15], v[16:17], v[23:24], v[14:15]
	v_div_scale_f64 v[16:17], null, v[14:15], v[14:15], 1.0
	v_rcp_f64_e32 v[29:30], v[16:17]
	v_fma_f64 v[31:32], -v[16:17], v[29:30], 1.0
	v_fma_f64 v[29:30], v[29:30], v[31:32], v[29:30]
	v_fma_f64 v[31:32], -v[16:17], v[29:30], 1.0
	v_fma_f64 v[29:30], v[29:30], v[31:32], v[29:30]
	v_div_scale_f64 v[31:32], vcc_lo, 1.0, v[14:15], 1.0
	v_mul_f64 v[33:34], v[31:32], v[29:30]
	v_fma_f64 v[16:17], -v[16:17], v[33:34], v[31:32]
	v_div_fmas_f64 v[16:17], v[16:17], v[29:30], v[33:34]
	v_div_fixup_f64 v[14:15], v[16:17], v[14:15], 1.0
	v_mul_f64 v[16:17], v[23:24], -v[14:15]
.LBB4_51:
	s_or_b32 exec_lo, exec_lo, s1
.LBB4_52:
	s_or_b32 exec_lo, exec_lo, s0
	v_mov_b32_e32 v23, 2
	s_mov_b32 s0, exec_lo
	v_cmpx_ne_u32_e64 v28, v22
	s_cbranch_execz .LBB4_58
; %bb.53:
	s_mov_b32 s1, exec_lo
	v_cmpx_eq_u32_e32 2, v28
	s_cbranch_execz .LBB4_57
; %bb.54:
	v_cmp_ne_u32_e32 vcc_lo, 2, v22
	s_xor_b32 s3, s16, -1
	s_and_b32 s8, s3, vcc_lo
	s_and_saveexec_b32 s3, s8
	s_cbranch_execz .LBB4_56
; %bb.55:
	v_ashrrev_i32_e32 v23, 31, v22
	v_lshlrev_b64 v[0:1], 2, v[22:23]
	v_add_co_u32 v0, vcc_lo, v20, v0
	v_add_co_ci_u32_e64 v1, null, v21, v1, vcc_lo
	s_clause 0x1
	global_load_dword v23, v[0:1], off
	global_load_dword v24, v[20:21], off offset:8
	s_waitcnt vmcnt(1)
	global_store_dword v[20:21], v23, off offset:8
	s_waitcnt vmcnt(0)
	global_store_dword v[0:1], v24, off
.LBB4_56:
	s_or_b32 exec_lo, exec_lo, s3
	v_mov_b32_e32 v28, v22
	v_mov_b32_e32 v0, v22
.LBB4_57:
	s_or_b32 exec_lo, exec_lo, s1
	v_mov_b32_e32 v23, v28
.LBB4_58:
	s_or_b32 exec_lo, exec_lo, s0
	s_mov_b32 s0, exec_lo
	s_waitcnt_vscnt null, 0x0
	s_barrier
	buffer_gl0_inv
	v_cmpx_lt_i32_e32 2, v23
	s_cbranch_execz .LBB4_60
; %bb.59:
	v_mul_f64 v[20:21], v[16:17], v[8:9]
	v_mul_f64 v[8:9], v[14:15], v[8:9]
	v_fma_f64 v[14:15], v[14:15], v[6:7], -v[20:21]
	v_fma_f64 v[8:9], v[16:17], v[6:7], v[8:9]
	v_mov_b32_e32 v6, v14
	v_mov_b32_e32 v7, v15
.LBB4_60:
	s_or_b32 exec_lo, exec_lo, s0
	v_ashrrev_i32_e32 v24, 31, v23
	s_mov_b32 s0, exec_lo
	s_barrier
	buffer_gl0_inv
	v_cmpx_gt_i32_e32 3, v23
	s_cbranch_execz .LBB4_62
; %bb.61:
	v_mul_lo_u32 v1, s15, v18
	v_mul_lo_u32 v16, s14, v19
	v_mad_u64_u32 v[14:15], null, s14, v18, 0
	s_lshl_b64 s[8:9], s[12:13], 2
	v_add3_u32 v0, v0, s17, 1
	v_add3_u32 v15, v15, v16, v1
	v_lshlrev_b64 v[14:15], 2, v[14:15]
	v_add_co_u32 v1, vcc_lo, s10, v14
	v_add_co_ci_u32_e64 v16, null, s11, v15, vcc_lo
	v_lshlrev_b64 v[14:15], 2, v[23:24]
	v_add_co_u32 v1, vcc_lo, v1, s8
	v_add_co_ci_u32_e64 v16, null, s9, v16, vcc_lo
	v_add_co_u32 v14, vcc_lo, v1, v14
	v_add_co_ci_u32_e64 v15, null, v16, v15, vcc_lo
	global_store_dword v[14:15], v0, off
.LBB4_62:
	s_or_b32 exec_lo, exec_lo, s0
	s_mov_b32 s1, exec_lo
	v_cmpx_eq_u32_e32 0, v23
	s_cbranch_execz .LBB4_65
; %bb.63:
	v_lshlrev_b64 v[0:1], 2, v[18:19]
	v_cmp_ne_u32_e64 s0, 0, v27
	v_add_co_u32 v0, vcc_lo, s4, v0
	v_add_co_ci_u32_e64 v1, null, s5, v1, vcc_lo
	global_load_dword v14, v[0:1], off
	s_waitcnt vmcnt(0)
	v_cmp_eq_u32_e32 vcc_lo, 0, v14
	s_and_b32 s0, vcc_lo, s0
	s_and_b32 exec_lo, exec_lo, s0
	s_cbranch_execz .LBB4_65
; %bb.64:
	v_add_nc_u32_e32 v14, s17, v27
	global_store_dword v[0:1], v14, off
.LBB4_65:
	s_or_b32 exec_lo, exec_lo, s1
	v_add3_u32 v0, s2, s2, v23
	v_lshlrev_b64 v[14:15], 4, v[23:24]
	v_ashrrev_i32_e32 v1, 31, v0
	v_add_co_u32 v14, vcc_lo, v25, v14
	v_add_co_ci_u32_e64 v15, null, v26, v15, vcc_lo
	v_lshlrev_b64 v[0:1], 4, v[0:1]
	v_add_co_u32 v16, vcc_lo, v14, s6
	v_add_co_ci_u32_e64 v17, null, s7, v15, vcc_lo
	v_add_co_u32 v0, vcc_lo, v25, v0
	v_add_co_ci_u32_e64 v1, null, v26, v1, vcc_lo
	global_store_dwordx4 v[14:15], v[2:5], off
	global_store_dwordx4 v[16:17], v[10:13], off
	;; [unrolled: 1-line block ×3, first 2 shown]
.LBB4_66:
	s_endpgm
	.section	.rodata,"a",@progbits
	.p2align	6, 0x0
	.amdhsa_kernel _ZN9rocsolver6v33100L18getf2_small_kernelILi3E19rocblas_complex_numIdEiiPS3_EEvT1_T3_lS5_lPS5_llPT2_S5_S5_S7_l
		.amdhsa_group_segment_fixed_size 0
		.amdhsa_private_segment_fixed_size 0
		.amdhsa_kernarg_size 352
		.amdhsa_user_sgpr_count 6
		.amdhsa_user_sgpr_private_segment_buffer 1
		.amdhsa_user_sgpr_dispatch_ptr 0
		.amdhsa_user_sgpr_queue_ptr 0
		.amdhsa_user_sgpr_kernarg_segment_ptr 1
		.amdhsa_user_sgpr_dispatch_id 0
		.amdhsa_user_sgpr_flat_scratch_init 0
		.amdhsa_user_sgpr_private_segment_size 0
		.amdhsa_wavefront_size32 1
		.amdhsa_uses_dynamic_stack 0
		.amdhsa_system_sgpr_private_segment_wavefront_offset 0
		.amdhsa_system_sgpr_workgroup_id_x 1
		.amdhsa_system_sgpr_workgroup_id_y 1
		.amdhsa_system_sgpr_workgroup_id_z 0
		.amdhsa_system_sgpr_workgroup_info 0
		.amdhsa_system_vgpr_workitem_id 1
		.amdhsa_next_free_vgpr 40
		.amdhsa_next_free_sgpr 24
		.amdhsa_reserve_vcc 1
		.amdhsa_reserve_flat_scratch 0
		.amdhsa_float_round_mode_32 0
		.amdhsa_float_round_mode_16_64 0
		.amdhsa_float_denorm_mode_32 3
		.amdhsa_float_denorm_mode_16_64 3
		.amdhsa_dx10_clamp 1
		.amdhsa_ieee_mode 1
		.amdhsa_fp16_overflow 0
		.amdhsa_workgroup_processor_mode 1
		.amdhsa_memory_ordered 1
		.amdhsa_forward_progress 1
		.amdhsa_shared_vgpr_count 0
		.amdhsa_exception_fp_ieee_invalid_op 0
		.amdhsa_exception_fp_denorm_src 0
		.amdhsa_exception_fp_ieee_div_zero 0
		.amdhsa_exception_fp_ieee_overflow 0
		.amdhsa_exception_fp_ieee_underflow 0
		.amdhsa_exception_fp_ieee_inexact 0
		.amdhsa_exception_int_div_zero 0
	.end_amdhsa_kernel
	.section	.text._ZN9rocsolver6v33100L18getf2_small_kernelILi3E19rocblas_complex_numIdEiiPS3_EEvT1_T3_lS5_lPS5_llPT2_S5_S5_S7_l,"axG",@progbits,_ZN9rocsolver6v33100L18getf2_small_kernelILi3E19rocblas_complex_numIdEiiPS3_EEvT1_T3_lS5_lPS5_llPT2_S5_S5_S7_l,comdat
.Lfunc_end4:
	.size	_ZN9rocsolver6v33100L18getf2_small_kernelILi3E19rocblas_complex_numIdEiiPS3_EEvT1_T3_lS5_lPS5_llPT2_S5_S5_S7_l, .Lfunc_end4-_ZN9rocsolver6v33100L18getf2_small_kernelILi3E19rocblas_complex_numIdEiiPS3_EEvT1_T3_lS5_lPS5_llPT2_S5_S5_S7_l
                                        ; -- End function
	.set _ZN9rocsolver6v33100L18getf2_small_kernelILi3E19rocblas_complex_numIdEiiPS3_EEvT1_T3_lS5_lPS5_llPT2_S5_S5_S7_l.num_vgpr, 40
	.set _ZN9rocsolver6v33100L18getf2_small_kernelILi3E19rocblas_complex_numIdEiiPS3_EEvT1_T3_lS5_lPS5_llPT2_S5_S5_S7_l.num_agpr, 0
	.set _ZN9rocsolver6v33100L18getf2_small_kernelILi3E19rocblas_complex_numIdEiiPS3_EEvT1_T3_lS5_lPS5_llPT2_S5_S5_S7_l.numbered_sgpr, 24
	.set _ZN9rocsolver6v33100L18getf2_small_kernelILi3E19rocblas_complex_numIdEiiPS3_EEvT1_T3_lS5_lPS5_llPT2_S5_S5_S7_l.num_named_barrier, 0
	.set _ZN9rocsolver6v33100L18getf2_small_kernelILi3E19rocblas_complex_numIdEiiPS3_EEvT1_T3_lS5_lPS5_llPT2_S5_S5_S7_l.private_seg_size, 0
	.set _ZN9rocsolver6v33100L18getf2_small_kernelILi3E19rocblas_complex_numIdEiiPS3_EEvT1_T3_lS5_lPS5_llPT2_S5_S5_S7_l.uses_vcc, 1
	.set _ZN9rocsolver6v33100L18getf2_small_kernelILi3E19rocblas_complex_numIdEiiPS3_EEvT1_T3_lS5_lPS5_llPT2_S5_S5_S7_l.uses_flat_scratch, 0
	.set _ZN9rocsolver6v33100L18getf2_small_kernelILi3E19rocblas_complex_numIdEiiPS3_EEvT1_T3_lS5_lPS5_llPT2_S5_S5_S7_l.has_dyn_sized_stack, 0
	.set _ZN9rocsolver6v33100L18getf2_small_kernelILi3E19rocblas_complex_numIdEiiPS3_EEvT1_T3_lS5_lPS5_llPT2_S5_S5_S7_l.has_recursion, 0
	.set _ZN9rocsolver6v33100L18getf2_small_kernelILi3E19rocblas_complex_numIdEiiPS3_EEvT1_T3_lS5_lPS5_llPT2_S5_S5_S7_l.has_indirect_call, 0
	.section	.AMDGPU.csdata,"",@progbits
; Kernel info:
; codeLenInByte = 3816
; TotalNumSgprs: 26
; NumVgprs: 40
; ScratchSize: 0
; MemoryBound: 0
; FloatMode: 240
; IeeeMode: 1
; LDSByteSize: 0 bytes/workgroup (compile time only)
; SGPRBlocks: 0
; VGPRBlocks: 4
; NumSGPRsForWavesPerEU: 26
; NumVGPRsForWavesPerEU: 40
; Occupancy: 16
; WaveLimiterHint : 0
; COMPUTE_PGM_RSRC2:SCRATCH_EN: 0
; COMPUTE_PGM_RSRC2:USER_SGPR: 6
; COMPUTE_PGM_RSRC2:TRAP_HANDLER: 0
; COMPUTE_PGM_RSRC2:TGID_X_EN: 1
; COMPUTE_PGM_RSRC2:TGID_Y_EN: 1
; COMPUTE_PGM_RSRC2:TGID_Z_EN: 0
; COMPUTE_PGM_RSRC2:TIDIG_COMP_CNT: 1
	.section	.text._ZN9rocsolver6v33100L23getf2_npvt_small_kernelILi3E19rocblas_complex_numIdEiiPS3_EEvT1_T3_lS5_lPT2_S5_S5_,"axG",@progbits,_ZN9rocsolver6v33100L23getf2_npvt_small_kernelILi3E19rocblas_complex_numIdEiiPS3_EEvT1_T3_lS5_lPT2_S5_S5_,comdat
	.globl	_ZN9rocsolver6v33100L23getf2_npvt_small_kernelILi3E19rocblas_complex_numIdEiiPS3_EEvT1_T3_lS5_lPT2_S5_S5_ ; -- Begin function _ZN9rocsolver6v33100L23getf2_npvt_small_kernelILi3E19rocblas_complex_numIdEiiPS3_EEvT1_T3_lS5_lPT2_S5_S5_
	.p2align	8
	.type	_ZN9rocsolver6v33100L23getf2_npvt_small_kernelILi3E19rocblas_complex_numIdEiiPS3_EEvT1_T3_lS5_lPT2_S5_S5_,@function
_ZN9rocsolver6v33100L23getf2_npvt_small_kernelILi3E19rocblas_complex_numIdEiiPS3_EEvT1_T3_lS5_lPT2_S5_S5_: ; @_ZN9rocsolver6v33100L23getf2_npvt_small_kernelILi3E19rocblas_complex_numIdEiiPS3_EEvT1_T3_lS5_lPT2_S5_S5_
; %bb.0:
	s_clause 0x1
	s_load_dword s0, s[4:5], 0x44
	s_load_dwordx2 s[12:13], s[4:5], 0x30
	s_mov_b32 s1, exec_lo
	s_waitcnt lgkmcnt(0)
	s_lshr_b32 s0, s0, 16
	v_mad_u64_u32 v[26:27], null, s7, s0, v[1:2]
	v_cmpx_gt_i32_e64 s12, v26
	s_cbranch_execz .LBB5_32
; %bb.1:
	s_load_dwordx4 s[8:11], s[4:5], 0x20
	v_ashrrev_i32_e32 v27, 31, v26
	s_clause 0x1
	s_load_dword s2, s[4:5], 0x18
	s_load_dwordx4 s[4:7], s[4:5], 0x8
	v_lshlrev_b32_e32 v6, 4, v0
	v_lshlrev_b32_e32 v14, 4, v1
	v_mul_u32_u24_e32 v15, 48, v1
	s_mul_i32 s0, s0, 48
	v_cmp_ne_u32_e64 s1, 0, v0
	v_add3_u32 v1, 0, s0, v14
	v_cmp_eq_u32_e64 s0, 0, v0
	v_add_nc_u32_e32 v34, 0, v15
	s_waitcnt lgkmcnt(0)
	v_mul_lo_u32 v4, s9, v26
	v_mul_lo_u32 v5, s8, v27
	v_mad_u64_u32 v[2:3], null, s8, v26, 0
	s_lshl_b64 s[6:7], s[6:7], 4
	s_ashr_i32 s3, s2, 31
	v_add3_u32 v3, v3, v5, v4
	v_add3_u32 v4, s2, s2, v0
	s_lshl_b64 s[2:3], s[2:3], 4
	v_lshlrev_b64 v[2:3], 4, v[2:3]
	v_ashrrev_i32_e32 v5, 31, v4
	v_add_co_u32 v2, vcc_lo, s4, v2
	v_add_co_ci_u32_e64 v3, null, s5, v3, vcc_lo
	v_add_co_u32 v7, vcc_lo, v2, s6
	v_add_co_ci_u32_e64 v8, null, s7, v3, vcc_lo
	v_lshlrev_b64 v[2:3], 4, v[4:5]
	v_add_co_u32 v30, vcc_lo, v7, v6
	v_add_co_ci_u32_e64 v31, null, 0, v8, vcc_lo
	v_add_co_u32 v32, vcc_lo, v30, s2
	v_add_co_ci_u32_e64 v33, null, s3, v31, vcc_lo
	;; [unrolled: 2-line block ×3, first 2 shown]
	s_clause 0x2
	global_load_dwordx4 v[10:13], v[30:31], off
	global_load_dwordx4 v[6:9], v[32:33], off
	;; [unrolled: 1-line block ×3, first 2 shown]
	s_and_saveexec_b32 s3, s0
	s_cbranch_execz .LBB5_8
; %bb.2:
	s_waitcnt vmcnt(2)
	ds_write2_b64 v1, v[10:11], v[12:13] offset1:1
	s_waitcnt vmcnt(1)
	ds_write2_b64 v34, v[6:7], v[8:9] offset0:2 offset1:3
	s_waitcnt vmcnt(0)
	ds_write2_b64 v34, v[2:3], v[4:5] offset0:4 offset1:5
	ds_read2_b64 v[14:17], v1 offset1:1
	s_waitcnt lgkmcnt(0)
	v_cmp_neq_f64_e32 vcc_lo, 0, v[14:15]
	v_cmp_neq_f64_e64 s2, 0, v[16:17]
	s_or_b32 s2, vcc_lo, s2
	s_and_b32 exec_lo, exec_lo, s2
	s_cbranch_execz .LBB5_8
; %bb.3:
	v_cmp_ngt_f64_e64 s2, |v[14:15]|, |v[16:17]|
                                        ; implicit-def: $vgpr18_vgpr19
	s_and_saveexec_b32 s4, s2
	s_xor_b32 s2, exec_lo, s4
                                        ; implicit-def: $vgpr20_vgpr21
	s_cbranch_execz .LBB5_5
; %bb.4:
	v_div_scale_f64 v[18:19], null, v[16:17], v[16:17], v[14:15]
	v_div_scale_f64 v[24:25], vcc_lo, v[14:15], v[16:17], v[14:15]
	v_rcp_f64_e32 v[20:21], v[18:19]
	v_fma_f64 v[22:23], -v[18:19], v[20:21], 1.0
	v_fma_f64 v[20:21], v[20:21], v[22:23], v[20:21]
	v_fma_f64 v[22:23], -v[18:19], v[20:21], 1.0
	v_fma_f64 v[20:21], v[20:21], v[22:23], v[20:21]
	v_mul_f64 v[22:23], v[24:25], v[20:21]
	v_fma_f64 v[18:19], -v[18:19], v[22:23], v[24:25]
	v_div_fmas_f64 v[18:19], v[18:19], v[20:21], v[22:23]
	v_div_fixup_f64 v[18:19], v[18:19], v[16:17], v[14:15]
	v_fma_f64 v[14:15], v[14:15], v[18:19], v[16:17]
	v_div_scale_f64 v[16:17], null, v[14:15], v[14:15], 1.0
	v_rcp_f64_e32 v[20:21], v[16:17]
	v_fma_f64 v[22:23], -v[16:17], v[20:21], 1.0
	v_fma_f64 v[20:21], v[20:21], v[22:23], v[20:21]
	v_fma_f64 v[22:23], -v[16:17], v[20:21], 1.0
	v_fma_f64 v[20:21], v[20:21], v[22:23], v[20:21]
	v_div_scale_f64 v[22:23], vcc_lo, 1.0, v[14:15], 1.0
	v_mul_f64 v[24:25], v[22:23], v[20:21]
	v_fma_f64 v[16:17], -v[16:17], v[24:25], v[22:23]
	v_div_fmas_f64 v[16:17], v[16:17], v[20:21], v[24:25]
	v_div_fixup_f64 v[20:21], v[16:17], v[14:15], 1.0
                                        ; implicit-def: $vgpr14_vgpr15
	v_mul_f64 v[18:19], v[18:19], v[20:21]
	v_xor_b32_e32 v21, 0x80000000, v21
.LBB5_5:
	s_andn2_saveexec_b32 s2, s2
	s_cbranch_execz .LBB5_7
; %bb.6:
	v_div_scale_f64 v[18:19], null, v[14:15], v[14:15], v[16:17]
	v_div_scale_f64 v[24:25], vcc_lo, v[16:17], v[14:15], v[16:17]
	v_rcp_f64_e32 v[20:21], v[18:19]
	v_fma_f64 v[22:23], -v[18:19], v[20:21], 1.0
	v_fma_f64 v[20:21], v[20:21], v[22:23], v[20:21]
	v_fma_f64 v[22:23], -v[18:19], v[20:21], 1.0
	v_fma_f64 v[20:21], v[20:21], v[22:23], v[20:21]
	v_mul_f64 v[22:23], v[24:25], v[20:21]
	v_fma_f64 v[18:19], -v[18:19], v[22:23], v[24:25]
	v_div_fmas_f64 v[18:19], v[18:19], v[20:21], v[22:23]
	v_div_fixup_f64 v[20:21], v[18:19], v[14:15], v[16:17]
	v_fma_f64 v[14:15], v[16:17], v[20:21], v[14:15]
	v_div_scale_f64 v[16:17], null, v[14:15], v[14:15], 1.0
	v_rcp_f64_e32 v[18:19], v[16:17]
	v_fma_f64 v[22:23], -v[16:17], v[18:19], 1.0
	v_fma_f64 v[18:19], v[18:19], v[22:23], v[18:19]
	v_fma_f64 v[22:23], -v[16:17], v[18:19], 1.0
	v_fma_f64 v[18:19], v[18:19], v[22:23], v[18:19]
	v_div_scale_f64 v[22:23], vcc_lo, 1.0, v[14:15], 1.0
	v_mul_f64 v[24:25], v[22:23], v[18:19]
	v_fma_f64 v[16:17], -v[16:17], v[24:25], v[22:23]
	v_div_fmas_f64 v[16:17], v[16:17], v[18:19], v[24:25]
	v_div_fixup_f64 v[18:19], v[16:17], v[14:15], 1.0
	v_mul_f64 v[20:21], v[20:21], -v[18:19]
.LBB5_7:
	s_or_b32 exec_lo, exec_lo, s2
	ds_write2_b64 v1, v[18:19], v[20:21] offset1:1
.LBB5_8:
	s_or_b32 exec_lo, exec_lo, s3
	s_waitcnt vmcnt(0) lgkmcnt(0)
	s_barrier
	buffer_gl0_inv
	ds_read2_b64 v[14:17], v1 offset1:1
	s_and_saveexec_b32 s2, s1
	s_cbranch_execz .LBB5_10
; %bb.9:
	s_waitcnt lgkmcnt(0)
	v_mul_f64 v[18:19], v[14:15], v[12:13]
	v_mul_f64 v[12:13], v[16:17], v[12:13]
	v_fma_f64 v[35:36], v[16:17], v[10:11], v[18:19]
	ds_read2_b64 v[18:21], v34 offset0:2 offset1:3
	ds_read2_b64 v[22:25], v34 offset0:4 offset1:5
	v_fma_f64 v[10:11], v[14:15], v[10:11], -v[12:13]
	s_waitcnt lgkmcnt(1)
	v_mul_f64 v[12:13], v[20:21], v[35:36]
	v_mul_f64 v[37:38], v[18:19], v[35:36]
	s_waitcnt lgkmcnt(0)
	v_mul_f64 v[39:40], v[24:25], v[35:36]
	v_mul_f64 v[41:42], v[22:23], v[35:36]
	v_fma_f64 v[12:13], v[18:19], v[10:11], -v[12:13]
	v_fma_f64 v[18:19], v[20:21], v[10:11], v[37:38]
	v_fma_f64 v[20:21], v[22:23], v[10:11], -v[39:40]
	v_fma_f64 v[22:23], v[24:25], v[10:11], v[41:42]
	v_add_f64 v[6:7], v[6:7], -v[12:13]
	v_add_f64 v[8:9], v[8:9], -v[18:19]
	;; [unrolled: 1-line block ×4, first 2 shown]
	v_mov_b32_e32 v12, v35
	v_mov_b32_e32 v13, v36
.LBB5_10:
	s_or_b32 exec_lo, exec_lo, s2
	s_mov_b32 s2, exec_lo
	s_waitcnt lgkmcnt(0)
	s_barrier
	buffer_gl0_inv
	v_cmpx_eq_u32_e32 1, v0
	s_cbranch_execz .LBB5_17
; %bb.11:
	ds_write2_b64 v1, v[6:7], v[8:9] offset1:1
	ds_write2_b64 v34, v[2:3], v[4:5] offset0:4 offset1:5
	ds_read2_b64 v[18:21], v1 offset1:1
	s_waitcnt lgkmcnt(0)
	v_cmp_neq_f64_e32 vcc_lo, 0, v[18:19]
	v_cmp_neq_f64_e64 s1, 0, v[20:21]
	s_or_b32 s1, vcc_lo, s1
	s_and_b32 exec_lo, exec_lo, s1
	s_cbranch_execz .LBB5_17
; %bb.12:
	v_cmp_ngt_f64_e64 s1, |v[18:19]|, |v[20:21]|
                                        ; implicit-def: $vgpr22_vgpr23
	s_and_saveexec_b32 s3, s1
	s_xor_b32 s1, exec_lo, s3
                                        ; implicit-def: $vgpr24_vgpr25
	s_cbranch_execz .LBB5_14
; %bb.13:
	v_div_scale_f64 v[22:23], null, v[20:21], v[20:21], v[18:19]
	v_div_scale_f64 v[37:38], vcc_lo, v[18:19], v[20:21], v[18:19]
	v_rcp_f64_e32 v[24:25], v[22:23]
	v_fma_f64 v[35:36], -v[22:23], v[24:25], 1.0
	v_fma_f64 v[24:25], v[24:25], v[35:36], v[24:25]
	v_fma_f64 v[35:36], -v[22:23], v[24:25], 1.0
	v_fma_f64 v[24:25], v[24:25], v[35:36], v[24:25]
	v_mul_f64 v[35:36], v[37:38], v[24:25]
	v_fma_f64 v[22:23], -v[22:23], v[35:36], v[37:38]
	v_div_fmas_f64 v[22:23], v[22:23], v[24:25], v[35:36]
	v_div_fixup_f64 v[22:23], v[22:23], v[20:21], v[18:19]
	v_fma_f64 v[18:19], v[18:19], v[22:23], v[20:21]
	v_div_scale_f64 v[20:21], null, v[18:19], v[18:19], 1.0
	v_rcp_f64_e32 v[24:25], v[20:21]
	v_fma_f64 v[35:36], -v[20:21], v[24:25], 1.0
	v_fma_f64 v[24:25], v[24:25], v[35:36], v[24:25]
	v_fma_f64 v[35:36], -v[20:21], v[24:25], 1.0
	v_fma_f64 v[24:25], v[24:25], v[35:36], v[24:25]
	v_div_scale_f64 v[35:36], vcc_lo, 1.0, v[18:19], 1.0
	v_mul_f64 v[37:38], v[35:36], v[24:25]
	v_fma_f64 v[20:21], -v[20:21], v[37:38], v[35:36]
	v_div_fmas_f64 v[20:21], v[20:21], v[24:25], v[37:38]
	v_div_fixup_f64 v[24:25], v[20:21], v[18:19], 1.0
                                        ; implicit-def: $vgpr18_vgpr19
	v_mul_f64 v[22:23], v[22:23], v[24:25]
	v_xor_b32_e32 v25, 0x80000000, v25
.LBB5_14:
	s_andn2_saveexec_b32 s1, s1
	s_cbranch_execz .LBB5_16
; %bb.15:
	v_div_scale_f64 v[22:23], null, v[18:19], v[18:19], v[20:21]
	v_div_scale_f64 v[37:38], vcc_lo, v[20:21], v[18:19], v[20:21]
	v_rcp_f64_e32 v[24:25], v[22:23]
	v_fma_f64 v[35:36], -v[22:23], v[24:25], 1.0
	v_fma_f64 v[24:25], v[24:25], v[35:36], v[24:25]
	v_fma_f64 v[35:36], -v[22:23], v[24:25], 1.0
	v_fma_f64 v[24:25], v[24:25], v[35:36], v[24:25]
	v_mul_f64 v[35:36], v[37:38], v[24:25]
	v_fma_f64 v[22:23], -v[22:23], v[35:36], v[37:38]
	v_div_fmas_f64 v[22:23], v[22:23], v[24:25], v[35:36]
	v_div_fixup_f64 v[24:25], v[22:23], v[18:19], v[20:21]
	v_fma_f64 v[18:19], v[20:21], v[24:25], v[18:19]
	v_div_scale_f64 v[20:21], null, v[18:19], v[18:19], 1.0
	v_rcp_f64_e32 v[22:23], v[20:21]
	v_fma_f64 v[35:36], -v[20:21], v[22:23], 1.0
	v_fma_f64 v[22:23], v[22:23], v[35:36], v[22:23]
	v_fma_f64 v[35:36], -v[20:21], v[22:23], 1.0
	v_fma_f64 v[22:23], v[22:23], v[35:36], v[22:23]
	v_div_scale_f64 v[35:36], vcc_lo, 1.0, v[18:19], 1.0
	v_mul_f64 v[37:38], v[35:36], v[22:23]
	v_fma_f64 v[20:21], -v[20:21], v[37:38], v[35:36]
	v_div_fmas_f64 v[20:21], v[20:21], v[22:23], v[37:38]
	v_div_fixup_f64 v[22:23], v[20:21], v[18:19], 1.0
	v_mul_f64 v[24:25], v[24:25], -v[22:23]
.LBB5_16:
	s_or_b32 exec_lo, exec_lo, s1
	ds_write2_b64 v1, v[22:23], v[24:25] offset1:1
.LBB5_17:
	s_or_b32 exec_lo, exec_lo, s2
	s_waitcnt lgkmcnt(0)
	s_barrier
	buffer_gl0_inv
	ds_read2_b64 v[18:21], v1 offset1:1
	s_mov_b32 s1, exec_lo
	v_cmpx_lt_u32_e32 1, v0
	s_cbranch_execz .LBB5_19
; %bb.18:
	s_waitcnt lgkmcnt(0)
	v_mul_f64 v[22:23], v[18:19], v[8:9]
	v_mul_f64 v[8:9], v[20:21], v[8:9]
	v_fma_f64 v[35:36], v[20:21], v[6:7], v[22:23]
	ds_read2_b64 v[22:25], v34 offset0:4 offset1:5
	v_fma_f64 v[6:7], v[18:19], v[6:7], -v[8:9]
	s_waitcnt lgkmcnt(0)
	v_mul_f64 v[8:9], v[24:25], v[35:36]
	v_mul_f64 v[37:38], v[22:23], v[35:36]
	v_fma_f64 v[8:9], v[22:23], v[6:7], -v[8:9]
	v_fma_f64 v[22:23], v[24:25], v[6:7], v[37:38]
	v_add_f64 v[2:3], v[2:3], -v[8:9]
	v_add_f64 v[4:5], v[4:5], -v[22:23]
	v_mov_b32_e32 v8, v35
	v_mov_b32_e32 v9, v36
.LBB5_19:
	s_or_b32 exec_lo, exec_lo, s1
	s_mov_b32 s2, exec_lo
	s_waitcnt lgkmcnt(0)
	s_barrier
	buffer_gl0_inv
	v_cmpx_eq_u32_e32 2, v0
	s_cbranch_execz .LBB5_26
; %bb.20:
	v_cmp_neq_f64_e32 vcc_lo, 0, v[2:3]
	v_cmp_neq_f64_e64 s1, 0, v[4:5]
	ds_write2_b64 v1, v[2:3], v[4:5] offset1:1
	s_or_b32 s1, vcc_lo, s1
	s_and_b32 exec_lo, exec_lo, s1
	s_cbranch_execz .LBB5_26
; %bb.21:
	v_cmp_ngt_f64_e64 s1, |v[2:3]|, |v[4:5]|
                                        ; implicit-def: $vgpr22_vgpr23
	s_and_saveexec_b32 s3, s1
	s_xor_b32 s1, exec_lo, s3
                                        ; implicit-def: $vgpr24_vgpr25
	s_cbranch_execz .LBB5_23
; %bb.22:
	v_div_scale_f64 v[22:23], null, v[4:5], v[4:5], v[2:3]
	v_div_scale_f64 v[36:37], vcc_lo, v[2:3], v[4:5], v[2:3]
	v_rcp_f64_e32 v[24:25], v[22:23]
	v_fma_f64 v[34:35], -v[22:23], v[24:25], 1.0
	v_fma_f64 v[24:25], v[24:25], v[34:35], v[24:25]
	v_fma_f64 v[34:35], -v[22:23], v[24:25], 1.0
	v_fma_f64 v[24:25], v[24:25], v[34:35], v[24:25]
	v_mul_f64 v[34:35], v[36:37], v[24:25]
	v_fma_f64 v[22:23], -v[22:23], v[34:35], v[36:37]
	v_div_fmas_f64 v[22:23], v[22:23], v[24:25], v[34:35]
	v_div_fixup_f64 v[22:23], v[22:23], v[4:5], v[2:3]
	v_fma_f64 v[24:25], v[2:3], v[22:23], v[4:5]
	v_div_scale_f64 v[34:35], null, v[24:25], v[24:25], 1.0
	v_rcp_f64_e32 v[36:37], v[34:35]
	v_fma_f64 v[38:39], -v[34:35], v[36:37], 1.0
	v_fma_f64 v[36:37], v[36:37], v[38:39], v[36:37]
	v_fma_f64 v[38:39], -v[34:35], v[36:37], 1.0
	v_fma_f64 v[36:37], v[36:37], v[38:39], v[36:37]
	v_div_scale_f64 v[38:39], vcc_lo, 1.0, v[24:25], 1.0
	v_mul_f64 v[40:41], v[38:39], v[36:37]
	v_fma_f64 v[34:35], -v[34:35], v[40:41], v[38:39]
	v_div_fmas_f64 v[34:35], v[34:35], v[36:37], v[40:41]
	v_div_fixup_f64 v[24:25], v[34:35], v[24:25], 1.0
	v_mul_f64 v[22:23], v[22:23], v[24:25]
	v_xor_b32_e32 v25, 0x80000000, v25
.LBB5_23:
	s_andn2_saveexec_b32 s1, s1
	s_cbranch_execz .LBB5_25
; %bb.24:
	v_div_scale_f64 v[22:23], null, v[2:3], v[2:3], v[4:5]
	v_div_scale_f64 v[36:37], vcc_lo, v[4:5], v[2:3], v[4:5]
	v_rcp_f64_e32 v[24:25], v[22:23]
	v_fma_f64 v[34:35], -v[22:23], v[24:25], 1.0
	v_fma_f64 v[24:25], v[24:25], v[34:35], v[24:25]
	v_fma_f64 v[34:35], -v[22:23], v[24:25], 1.0
	v_fma_f64 v[24:25], v[24:25], v[34:35], v[24:25]
	v_mul_f64 v[34:35], v[36:37], v[24:25]
	v_fma_f64 v[22:23], -v[22:23], v[34:35], v[36:37]
	v_div_fmas_f64 v[22:23], v[22:23], v[24:25], v[34:35]
	v_div_fixup_f64 v[24:25], v[22:23], v[2:3], v[4:5]
	v_fma_f64 v[22:23], v[4:5], v[24:25], v[2:3]
	v_div_scale_f64 v[34:35], null, v[22:23], v[22:23], 1.0
	v_rcp_f64_e32 v[36:37], v[34:35]
	v_fma_f64 v[38:39], -v[34:35], v[36:37], 1.0
	v_fma_f64 v[36:37], v[36:37], v[38:39], v[36:37]
	v_fma_f64 v[38:39], -v[34:35], v[36:37], 1.0
	v_fma_f64 v[36:37], v[36:37], v[38:39], v[36:37]
	v_div_scale_f64 v[38:39], vcc_lo, 1.0, v[22:23], 1.0
	v_mul_f64 v[40:41], v[38:39], v[36:37]
	v_fma_f64 v[34:35], -v[34:35], v[40:41], v[38:39]
	v_div_fmas_f64 v[34:35], v[34:35], v[36:37], v[40:41]
	v_div_fixup_f64 v[22:23], v[34:35], v[22:23], 1.0
	v_mul_f64 v[24:25], v[24:25], -v[22:23]
.LBB5_25:
	s_or_b32 exec_lo, exec_lo, s1
	ds_write2_b64 v1, v[22:23], v[24:25] offset1:1
.LBB5_26:
	s_or_b32 exec_lo, exec_lo, s2
	s_waitcnt lgkmcnt(0)
	s_barrier
	buffer_gl0_inv
	ds_read2_b64 v[22:25], v1 offset1:1
	s_mov_b32 s1, exec_lo
	v_cmpx_lt_u32_e32 2, v0
	s_cbranch_execz .LBB5_28
; %bb.27:
	s_waitcnt lgkmcnt(0)
	v_mul_f64 v[0:1], v[24:25], v[4:5]
	v_mul_f64 v[4:5], v[22:23], v[4:5]
	v_fma_f64 v[0:1], v[22:23], v[2:3], -v[0:1]
	v_fma_f64 v[4:5], v[24:25], v[2:3], v[4:5]
	v_mov_b32_e32 v3, v1
	v_mov_b32_e32 v2, v0
.LBB5_28:
	s_or_b32 exec_lo, exec_lo, s1
	s_waitcnt lgkmcnt(0)
	s_barrier
	buffer_gl0_inv
	s_and_saveexec_b32 s5, s0
	s_cbranch_execz .LBB5_31
; %bb.29:
	v_lshlrev_b64 v[0:1], 2, v[26:27]
	v_cmp_eq_f64_e64 s0, 0, v[16:17]
	v_cmp_neq_f64_e64 s1, 0, v[18:19]
	v_cmp_neq_f64_e64 s2, 0, v[20:21]
	v_cmp_eq_f64_e64 s3, 0, v[22:23]
	v_cmp_eq_f64_e64 s4, 0, v[24:25]
	v_add_co_u32 v0, vcc_lo, s10, v0
	v_add_co_ci_u32_e64 v1, null, s11, v1, vcc_lo
	v_cmp_eq_f64_e32 vcc_lo, 0, v[14:15]
	global_load_dword v26, v[0:1], off
	s_or_b32 s1, s1, s2
	s_and_b32 s0, vcc_lo, s0
	v_cndmask_b32_e64 v14, 0, 1, s0
	s_or_b32 vcc_lo, s1, s0
	s_and_b32 s0, s3, s4
	v_cndmask_b32_e32 v14, 2, v14, vcc_lo
	v_cmp_eq_u32_e32 vcc_lo, 0, v14
	s_and_b32 s0, s0, vcc_lo
	v_cndmask_b32_e64 v14, v14, 3, s0
	v_cmp_ne_u32_e64 s0, 0, v14
	s_waitcnt vmcnt(0)
	v_cmp_eq_u32_e32 vcc_lo, 0, v26
	s_and_b32 s0, vcc_lo, s0
	s_and_b32 exec_lo, exec_lo, s0
	s_cbranch_execz .LBB5_31
; %bb.30:
	v_add_nc_u32_e32 v14, s13, v14
	global_store_dword v[0:1], v14, off
.LBB5_31:
	s_or_b32 exec_lo, exec_lo, s5
	global_store_dwordx4 v[30:31], v[10:13], off
	global_store_dwordx4 v[32:33], v[6:9], off
	;; [unrolled: 1-line block ×3, first 2 shown]
.LBB5_32:
	s_endpgm
	.section	.rodata,"a",@progbits
	.p2align	6, 0x0
	.amdhsa_kernel _ZN9rocsolver6v33100L23getf2_npvt_small_kernelILi3E19rocblas_complex_numIdEiiPS3_EEvT1_T3_lS5_lPT2_S5_S5_
		.amdhsa_group_segment_fixed_size 0
		.amdhsa_private_segment_fixed_size 0
		.amdhsa_kernarg_size 312
		.amdhsa_user_sgpr_count 6
		.amdhsa_user_sgpr_private_segment_buffer 1
		.amdhsa_user_sgpr_dispatch_ptr 0
		.amdhsa_user_sgpr_queue_ptr 0
		.amdhsa_user_sgpr_kernarg_segment_ptr 1
		.amdhsa_user_sgpr_dispatch_id 0
		.amdhsa_user_sgpr_flat_scratch_init 0
		.amdhsa_user_sgpr_private_segment_size 0
		.amdhsa_wavefront_size32 1
		.amdhsa_uses_dynamic_stack 0
		.amdhsa_system_sgpr_private_segment_wavefront_offset 0
		.amdhsa_system_sgpr_workgroup_id_x 1
		.amdhsa_system_sgpr_workgroup_id_y 1
		.amdhsa_system_sgpr_workgroup_id_z 0
		.amdhsa_system_sgpr_workgroup_info 0
		.amdhsa_system_vgpr_workitem_id 1
		.amdhsa_next_free_vgpr 43
		.amdhsa_next_free_sgpr 14
		.amdhsa_reserve_vcc 1
		.amdhsa_reserve_flat_scratch 0
		.amdhsa_float_round_mode_32 0
		.amdhsa_float_round_mode_16_64 0
		.amdhsa_float_denorm_mode_32 3
		.amdhsa_float_denorm_mode_16_64 3
		.amdhsa_dx10_clamp 1
		.amdhsa_ieee_mode 1
		.amdhsa_fp16_overflow 0
		.amdhsa_workgroup_processor_mode 1
		.amdhsa_memory_ordered 1
		.amdhsa_forward_progress 1
		.amdhsa_shared_vgpr_count 0
		.amdhsa_exception_fp_ieee_invalid_op 0
		.amdhsa_exception_fp_denorm_src 0
		.amdhsa_exception_fp_ieee_div_zero 0
		.amdhsa_exception_fp_ieee_overflow 0
		.amdhsa_exception_fp_ieee_underflow 0
		.amdhsa_exception_fp_ieee_inexact 0
		.amdhsa_exception_int_div_zero 0
	.end_amdhsa_kernel
	.section	.text._ZN9rocsolver6v33100L23getf2_npvt_small_kernelILi3E19rocblas_complex_numIdEiiPS3_EEvT1_T3_lS5_lPT2_S5_S5_,"axG",@progbits,_ZN9rocsolver6v33100L23getf2_npvt_small_kernelILi3E19rocblas_complex_numIdEiiPS3_EEvT1_T3_lS5_lPT2_S5_S5_,comdat
.Lfunc_end5:
	.size	_ZN9rocsolver6v33100L23getf2_npvt_small_kernelILi3E19rocblas_complex_numIdEiiPS3_EEvT1_T3_lS5_lPT2_S5_S5_, .Lfunc_end5-_ZN9rocsolver6v33100L23getf2_npvt_small_kernelILi3E19rocblas_complex_numIdEiiPS3_EEvT1_T3_lS5_lPT2_S5_S5_
                                        ; -- End function
	.set _ZN9rocsolver6v33100L23getf2_npvt_small_kernelILi3E19rocblas_complex_numIdEiiPS3_EEvT1_T3_lS5_lPT2_S5_S5_.num_vgpr, 43
	.set _ZN9rocsolver6v33100L23getf2_npvt_small_kernelILi3E19rocblas_complex_numIdEiiPS3_EEvT1_T3_lS5_lPT2_S5_S5_.num_agpr, 0
	.set _ZN9rocsolver6v33100L23getf2_npvt_small_kernelILi3E19rocblas_complex_numIdEiiPS3_EEvT1_T3_lS5_lPT2_S5_S5_.numbered_sgpr, 14
	.set _ZN9rocsolver6v33100L23getf2_npvt_small_kernelILi3E19rocblas_complex_numIdEiiPS3_EEvT1_T3_lS5_lPT2_S5_S5_.num_named_barrier, 0
	.set _ZN9rocsolver6v33100L23getf2_npvt_small_kernelILi3E19rocblas_complex_numIdEiiPS3_EEvT1_T3_lS5_lPT2_S5_S5_.private_seg_size, 0
	.set _ZN9rocsolver6v33100L23getf2_npvt_small_kernelILi3E19rocblas_complex_numIdEiiPS3_EEvT1_T3_lS5_lPT2_S5_S5_.uses_vcc, 1
	.set _ZN9rocsolver6v33100L23getf2_npvt_small_kernelILi3E19rocblas_complex_numIdEiiPS3_EEvT1_T3_lS5_lPT2_S5_S5_.uses_flat_scratch, 0
	.set _ZN9rocsolver6v33100L23getf2_npvt_small_kernelILi3E19rocblas_complex_numIdEiiPS3_EEvT1_T3_lS5_lPT2_S5_S5_.has_dyn_sized_stack, 0
	.set _ZN9rocsolver6v33100L23getf2_npvt_small_kernelILi3E19rocblas_complex_numIdEiiPS3_EEvT1_T3_lS5_lPT2_S5_S5_.has_recursion, 0
	.set _ZN9rocsolver6v33100L23getf2_npvt_small_kernelILi3E19rocblas_complex_numIdEiiPS3_EEvT1_T3_lS5_lPT2_S5_S5_.has_indirect_call, 0
	.section	.AMDGPU.csdata,"",@progbits
; Kernel info:
; codeLenInByte = 2436
; TotalNumSgprs: 16
; NumVgprs: 43
; ScratchSize: 0
; MemoryBound: 0
; FloatMode: 240
; IeeeMode: 1
; LDSByteSize: 0 bytes/workgroup (compile time only)
; SGPRBlocks: 0
; VGPRBlocks: 5
; NumSGPRsForWavesPerEU: 16
; NumVGPRsForWavesPerEU: 43
; Occupancy: 16
; WaveLimiterHint : 0
; COMPUTE_PGM_RSRC2:SCRATCH_EN: 0
; COMPUTE_PGM_RSRC2:USER_SGPR: 6
; COMPUTE_PGM_RSRC2:TRAP_HANDLER: 0
; COMPUTE_PGM_RSRC2:TGID_X_EN: 1
; COMPUTE_PGM_RSRC2:TGID_Y_EN: 1
; COMPUTE_PGM_RSRC2:TGID_Z_EN: 0
; COMPUTE_PGM_RSRC2:TIDIG_COMP_CNT: 1
	.section	.text._ZN9rocsolver6v33100L18getf2_small_kernelILi4E19rocblas_complex_numIdEiiPS3_EEvT1_T3_lS5_lPS5_llPT2_S5_S5_S7_l,"axG",@progbits,_ZN9rocsolver6v33100L18getf2_small_kernelILi4E19rocblas_complex_numIdEiiPS3_EEvT1_T3_lS5_lPS5_llPT2_S5_S5_S7_l,comdat
	.globl	_ZN9rocsolver6v33100L18getf2_small_kernelILi4E19rocblas_complex_numIdEiiPS3_EEvT1_T3_lS5_lPS5_llPT2_S5_S5_S7_l ; -- Begin function _ZN9rocsolver6v33100L18getf2_small_kernelILi4E19rocblas_complex_numIdEiiPS3_EEvT1_T3_lS5_lPS5_llPT2_S5_S5_S7_l
	.p2align	8
	.type	_ZN9rocsolver6v33100L18getf2_small_kernelILi4E19rocblas_complex_numIdEiiPS3_EEvT1_T3_lS5_lPS5_llPT2_S5_S5_S7_l,@function
_ZN9rocsolver6v33100L18getf2_small_kernelILi4E19rocblas_complex_numIdEiiPS3_EEvT1_T3_lS5_lPS5_llPT2_S5_S5_S7_l: ; @_ZN9rocsolver6v33100L18getf2_small_kernelILi4E19rocblas_complex_numIdEiiPS3_EEvT1_T3_lS5_lPS5_llPT2_S5_S5_S7_l
; %bb.0:
	s_clause 0x1
	s_load_dword s0, s[4:5], 0x6c
	s_load_dwordx2 s[16:17], s[4:5], 0x48
	s_waitcnt lgkmcnt(0)
	s_lshr_b32 s0, s0, 16
	v_mad_u64_u32 v[22:23], null, s7, s0, v[1:2]
	s_mov_b32 s0, exec_lo
	v_cmpx_gt_i32_e64 s16, v22
	s_cbranch_execz .LBB6_87
; %bb.1:
	s_load_dwordx4 s[0:3], s[4:5], 0x50
	v_mov_b32_e32 v24, 0
	v_ashrrev_i32_e32 v23, 31, v22
	v_mov_b32_e32 v25, 0
	s_waitcnt lgkmcnt(0)
	s_cmp_eq_u64 s[0:1], 0
	s_cselect_b32 s16, -1, 0
	s_and_b32 vcc_lo, exec_lo, s16
	s_cbranch_vccnz .LBB6_3
; %bb.2:
	v_mul_lo_u32 v4, s3, v22
	v_mul_lo_u32 v5, s2, v23
	v_mad_u64_u32 v[2:3], null, s2, v22, 0
	v_add3_u32 v3, v3, v5, v4
	v_lshlrev_b64 v[2:3], 2, v[2:3]
	v_add_co_u32 v24, vcc_lo, s0, v2
	v_add_co_ci_u32_e64 v25, null, s1, v3, vcc_lo
.LBB6_3:
	s_clause 0x2
	s_load_dwordx8 s[8:15], s[4:5], 0x20
	s_load_dwordx4 s[20:23], s[4:5], 0x8
	s_load_dword s2, s[4:5], 0x18
	v_lshlrev_b32_e32 v18, 4, v0
	v_mov_b32_e32 v26, 0
	s_waitcnt lgkmcnt(0)
	v_mul_lo_u32 v4, s9, v22
	v_mul_lo_u32 v5, s8, v23
	v_mad_u64_u32 v[2:3], null, s8, v22, 0
	s_lshl_b64 s[0:1], s[22:23], 4
	v_add3_u32 v3, v3, v5, v4
	v_lshlrev_b64 v[2:3], 4, v[2:3]
	v_add_co_u32 v2, vcc_lo, s20, v2
	v_add_co_ci_u32_e64 v3, null, s21, v3, vcc_lo
	v_add_co_u32 v29, vcc_lo, v2, s0
	v_add_co_ci_u32_e64 v30, null, s1, v3, vcc_lo
	s_load_dword s1, s[4:5], 0x0
	v_add3_u32 v6, s2, s2, v0
	v_add_co_u32 v8, vcc_lo, v29, v18
	v_add_co_ci_u32_e64 v9, null, 0, v30, vcc_lo
	v_add_nc_u32_e32 v10, s2, v6
	v_ashrrev_i32_e32 v7, 31, v6
	s_ashr_i32 s3, s2, 31
	global_load_dwordx4 v[2:5], v[8:9], off
	s_lshl_b64 s[6:7], s[2:3], 4
	v_ashrrev_i32_e32 v11, 31, v10
	v_lshlrev_b64 v[6:7], 4, v[6:7]
	s_load_dwordx2 s[4:5], s[4:5], 0x40
	v_lshlrev_b64 v[10:11], 4, v[10:11]
	v_add_co_u32 v6, vcc_lo, v29, v6
	v_add_co_ci_u32_e64 v7, null, v30, v7, vcc_lo
	v_add_co_u32 v14, vcc_lo, v29, v10
	v_add_co_ci_u32_e64 v15, null, v30, v11, vcc_lo
	;; [unrolled: 2-line block ×3, first 2 shown]
	s_clause 0x2
	global_load_dwordx4 v[10:13], v[6:7], off
	global_load_dwordx4 v[6:9], v[14:15], off
	;; [unrolled: 1-line block ×3, first 2 shown]
	s_waitcnt lgkmcnt(0)
	s_max_i32 s0, s1, 4
	s_cmp_lt_i32 s1, 2
	v_mul_lo_u32 v27, s0, v1
	v_lshl_add_u32 v1, v27, 4, 0
	v_lshlrev_b32_e32 v28, 4, v27
	v_add_nc_u32_e32 v18, v1, v18
	s_waitcnt vmcnt(3)
	ds_write2_b64 v18, v[2:3], v[4:5] offset1:1
	s_waitcnt vmcnt(0) lgkmcnt(0)
	s_barrier
	buffer_gl0_inv
	ds_read2_b64 v[18:21], v1 offset1:1
	s_cbranch_scc1 .LBB6_6
; %bb.4:
	v_add3_u32 v27, v28, 0, 16
	v_mov_b32_e32 v26, 0
	s_mov_b32 s3, 1
	s_inst_prefetch 0x1
	.p2align	6
.LBB6_5:                                ; =>This Inner Loop Header: Depth=1
	s_waitcnt lgkmcnt(0)
	v_cmp_gt_f64_e32 vcc_lo, 0, v[20:21]
	v_cmp_gt_f64_e64 s0, 0, v[18:19]
	ds_read2_b64 v[31:34], v27 offset1:1
	v_xor_b32_e32 v36, 0x80000000, v19
	v_xor_b32_e32 v38, 0x80000000, v21
	v_mov_b32_e32 v35, v18
	v_mov_b32_e32 v37, v20
	v_add_nc_u32_e32 v27, 16, v27
	s_waitcnt lgkmcnt(0)
	v_xor_b32_e32 v40, 0x80000000, v34
	v_cndmask_b32_e64 v36, v19, v36, s0
	v_cndmask_b32_e32 v38, v21, v38, vcc_lo
	v_cmp_gt_f64_e32 vcc_lo, 0, v[33:34]
	v_cmp_gt_f64_e64 s0, 0, v[31:32]
	v_mov_b32_e32 v39, v33
	v_add_f64 v[35:36], v[35:36], v[37:38]
	v_xor_b32_e32 v38, 0x80000000, v32
	v_mov_b32_e32 v37, v31
	v_cndmask_b32_e32 v40, v34, v40, vcc_lo
	v_cndmask_b32_e64 v38, v32, v38, s0
	v_add_f64 v[37:38], v[37:38], v[39:40]
	v_cmp_lt_f64_e32 vcc_lo, v[35:36], v[37:38]
	v_cndmask_b32_e32 v19, v19, v32, vcc_lo
	v_cndmask_b32_e32 v18, v18, v31, vcc_lo
	;; [unrolled: 1-line block ×4, first 2 shown]
	v_cndmask_b32_e64 v26, v26, s3, vcc_lo
	s_add_i32 s3, s3, 1
	s_cmp_eq_u32 s1, s3
	s_cbranch_scc0 .LBB6_5
.LBB6_6:
	s_inst_prefetch 0x2
	s_waitcnt lgkmcnt(0)
	v_cmp_neq_f64_e32 vcc_lo, 0, v[18:19]
	v_cmp_neq_f64_e64 s0, 0, v[20:21]
	v_mov_b32_e32 v31, 1
	v_mov_b32_e32 v33, 1
	s_or_b32 s3, vcc_lo, s0
	s_and_saveexec_b32 s0, s3
	s_cbranch_execz .LBB6_12
; %bb.7:
	v_cmp_ngt_f64_e64 s3, |v[18:19]|, |v[20:21]|
	s_and_saveexec_b32 s8, s3
	s_xor_b32 s3, exec_lo, s8
	s_cbranch_execz .LBB6_9
; %bb.8:
	v_div_scale_f64 v[31:32], null, v[20:21], v[20:21], v[18:19]
	v_div_scale_f64 v[37:38], vcc_lo, v[18:19], v[20:21], v[18:19]
	v_rcp_f64_e32 v[33:34], v[31:32]
	v_fma_f64 v[35:36], -v[31:32], v[33:34], 1.0
	v_fma_f64 v[33:34], v[33:34], v[35:36], v[33:34]
	v_fma_f64 v[35:36], -v[31:32], v[33:34], 1.0
	v_fma_f64 v[33:34], v[33:34], v[35:36], v[33:34]
	v_mul_f64 v[35:36], v[37:38], v[33:34]
	v_fma_f64 v[31:32], -v[31:32], v[35:36], v[37:38]
	v_div_fmas_f64 v[31:32], v[31:32], v[33:34], v[35:36]
	v_div_fixup_f64 v[31:32], v[31:32], v[20:21], v[18:19]
	v_fma_f64 v[18:19], v[18:19], v[31:32], v[20:21]
	v_div_scale_f64 v[20:21], null, v[18:19], v[18:19], 1.0
	v_rcp_f64_e32 v[33:34], v[20:21]
	v_fma_f64 v[35:36], -v[20:21], v[33:34], 1.0
	v_fma_f64 v[33:34], v[33:34], v[35:36], v[33:34]
	v_fma_f64 v[35:36], -v[20:21], v[33:34], 1.0
	v_fma_f64 v[33:34], v[33:34], v[35:36], v[33:34]
	v_div_scale_f64 v[35:36], vcc_lo, 1.0, v[18:19], 1.0
	v_mul_f64 v[37:38], v[35:36], v[33:34]
	v_fma_f64 v[20:21], -v[20:21], v[37:38], v[35:36]
	v_div_fmas_f64 v[20:21], v[20:21], v[33:34], v[37:38]
	v_div_fixup_f64 v[20:21], v[20:21], v[18:19], 1.0
	v_mul_f64 v[18:19], v[31:32], v[20:21]
	v_xor_b32_e32 v21, 0x80000000, v21
.LBB6_9:
	s_andn2_saveexec_b32 s3, s3
	s_cbranch_execz .LBB6_11
; %bb.10:
	v_div_scale_f64 v[31:32], null, v[18:19], v[18:19], v[20:21]
	v_div_scale_f64 v[37:38], vcc_lo, v[20:21], v[18:19], v[20:21]
	v_rcp_f64_e32 v[33:34], v[31:32]
	v_fma_f64 v[35:36], -v[31:32], v[33:34], 1.0
	v_fma_f64 v[33:34], v[33:34], v[35:36], v[33:34]
	v_fma_f64 v[35:36], -v[31:32], v[33:34], 1.0
	v_fma_f64 v[33:34], v[33:34], v[35:36], v[33:34]
	v_mul_f64 v[35:36], v[37:38], v[33:34]
	v_fma_f64 v[31:32], -v[31:32], v[35:36], v[37:38]
	v_div_fmas_f64 v[31:32], v[31:32], v[33:34], v[35:36]
	v_div_fixup_f64 v[31:32], v[31:32], v[18:19], v[20:21]
	v_fma_f64 v[18:19], v[20:21], v[31:32], v[18:19]
	v_div_scale_f64 v[20:21], null, v[18:19], v[18:19], 1.0
	v_rcp_f64_e32 v[33:34], v[20:21]
	v_fma_f64 v[35:36], -v[20:21], v[33:34], 1.0
	v_fma_f64 v[33:34], v[33:34], v[35:36], v[33:34]
	v_fma_f64 v[35:36], -v[20:21], v[33:34], 1.0
	v_fma_f64 v[33:34], v[33:34], v[35:36], v[33:34]
	v_div_scale_f64 v[35:36], vcc_lo, 1.0, v[18:19], 1.0
	v_mul_f64 v[37:38], v[35:36], v[33:34]
	v_fma_f64 v[20:21], -v[20:21], v[37:38], v[35:36]
	v_div_fmas_f64 v[20:21], v[20:21], v[33:34], v[37:38]
	v_div_fixup_f64 v[18:19], v[20:21], v[18:19], 1.0
	v_mul_f64 v[20:21], v[31:32], -v[18:19]
.LBB6_11:
	s_or_b32 exec_lo, exec_lo, s3
	v_mov_b32_e32 v33, 0
	v_mov_b32_e32 v31, 2
.LBB6_12:
	s_or_b32 exec_lo, exec_lo, s0
	s_mov_b32 s0, exec_lo
	v_cmpx_ne_u32_e64 v0, v26
	s_xor_b32 s0, exec_lo, s0
	s_cbranch_execz .LBB6_18
; %bb.13:
	s_mov_b32 s3, exec_lo
	v_cmpx_eq_u32_e32 0, v0
	s_cbranch_execz .LBB6_17
; %bb.14:
	v_cmp_ne_u32_e32 vcc_lo, 0, v26
	s_xor_b32 s8, s16, -1
	s_and_b32 s9, s8, vcc_lo
	s_and_saveexec_b32 s8, s9
	s_cbranch_execz .LBB6_16
; %bb.15:
	v_ashrrev_i32_e32 v27, 31, v26
	v_lshlrev_b64 v[34:35], 2, v[26:27]
	v_add_co_u32 v34, vcc_lo, v24, v34
	v_add_co_ci_u32_e64 v35, null, v25, v35, vcc_lo
	s_clause 0x1
	global_load_dword v0, v[34:35], off
	global_load_dword v27, v[24:25], off
	s_waitcnt vmcnt(1)
	global_store_dword v[24:25], v0, off
	s_waitcnt vmcnt(0)
	global_store_dword v[34:35], v27, off
.LBB6_16:
	s_or_b32 exec_lo, exec_lo, s8
	v_mov_b32_e32 v0, v26
.LBB6_17:
	s_or_b32 exec_lo, exec_lo, s3
.LBB6_18:
	s_or_saveexec_b32 s0, s0
	v_mov_b32_e32 v32, v0
	s_xor_b32 exec_lo, exec_lo, s0
	s_cbranch_execz .LBB6_20
; %bb.19:
	v_mov_b32_e32 v32, 0
	ds_write2_b64 v1, v[14:15], v[16:17] offset0:2 offset1:3
	ds_write2_b64 v1, v[10:11], v[12:13] offset0:4 offset1:5
	;; [unrolled: 1-line block ×3, first 2 shown]
.LBB6_20:
	s_or_b32 exec_lo, exec_lo, s0
	s_mov_b32 s0, exec_lo
	s_waitcnt lgkmcnt(0)
	s_waitcnt_vscnt null, 0x0
	s_barrier
	buffer_gl0_inv
	v_cmpx_lt_i32_e32 0, v32
	s_cbranch_execz .LBB6_22
; %bb.21:
	v_mul_f64 v[26:27], v[18:19], v[4:5]
	v_mul_f64 v[4:5], v[20:21], v[4:5]
	ds_read2_b64 v[34:37], v1 offset0:2 offset1:3
	ds_read2_b64 v[38:41], v1 offset0:4 offset1:5
	;; [unrolled: 1-line block ×3, first 2 shown]
	v_fma_f64 v[20:21], v[20:21], v[2:3], v[26:27]
	v_fma_f64 v[2:3], v[18:19], v[2:3], -v[4:5]
	s_waitcnt lgkmcnt(2)
	v_mul_f64 v[4:5], v[36:37], v[20:21]
	v_mul_f64 v[18:19], v[34:35], v[20:21]
	s_waitcnt lgkmcnt(1)
	v_mul_f64 v[26:27], v[40:41], v[20:21]
	v_mul_f64 v[46:47], v[38:39], v[20:21]
	;; [unrolled: 3-line block ×3, first 2 shown]
	v_fma_f64 v[4:5], v[34:35], v[2:3], -v[4:5]
	v_fma_f64 v[18:19], v[36:37], v[2:3], v[18:19]
	v_fma_f64 v[26:27], v[38:39], v[2:3], -v[26:27]
	v_fma_f64 v[34:35], v[40:41], v[2:3], v[46:47]
	;; [unrolled: 2-line block ×3, first 2 shown]
	v_add_f64 v[14:15], v[14:15], -v[4:5]
	v_add_f64 v[16:17], v[16:17], -v[18:19]
	;; [unrolled: 1-line block ×6, first 2 shown]
	v_mov_b32_e32 v4, v20
	v_mov_b32_e32 v5, v21
.LBB6_22:
	s_or_b32 exec_lo, exec_lo, s0
	v_lshl_add_u32 v18, v32, 4, v1
	s_barrier
	buffer_gl0_inv
	v_mov_b32_e32 v26, 1
	ds_write2_b64 v18, v[14:15], v[16:17] offset1:1
	s_waitcnt lgkmcnt(0)
	s_barrier
	buffer_gl0_inv
	ds_read2_b64 v[18:21], v1 offset0:2 offset1:3
	s_cmp_lt_i32 s1, 3
	s_cbranch_scc1 .LBB6_25
; %bb.23:
	v_add3_u32 v27, v28, 0, 32
	v_mov_b32_e32 v26, 1
	s_mov_b32 s3, 2
	s_inst_prefetch 0x1
	.p2align	6
.LBB6_24:                               ; =>This Inner Loop Header: Depth=1
	s_waitcnt lgkmcnt(0)
	v_cmp_gt_f64_e32 vcc_lo, 0, v[20:21]
	v_cmp_gt_f64_e64 s0, 0, v[18:19]
	ds_read2_b64 v[34:37], v27 offset1:1
	v_xor_b32_e32 v39, 0x80000000, v19
	v_xor_b32_e32 v41, 0x80000000, v21
	v_mov_b32_e32 v38, v18
	v_mov_b32_e32 v40, v20
	v_add_nc_u32_e32 v27, 16, v27
	s_waitcnt lgkmcnt(0)
	v_xor_b32_e32 v43, 0x80000000, v37
	v_cndmask_b32_e64 v39, v19, v39, s0
	v_cndmask_b32_e32 v41, v21, v41, vcc_lo
	v_cmp_gt_f64_e32 vcc_lo, 0, v[36:37]
	v_cmp_gt_f64_e64 s0, 0, v[34:35]
	v_mov_b32_e32 v42, v36
	v_add_f64 v[38:39], v[38:39], v[40:41]
	v_xor_b32_e32 v41, 0x80000000, v35
	v_mov_b32_e32 v40, v34
	v_cndmask_b32_e32 v43, v37, v43, vcc_lo
	v_cndmask_b32_e64 v41, v35, v41, s0
	v_add_f64 v[40:41], v[40:41], v[42:43]
	v_cmp_lt_f64_e32 vcc_lo, v[38:39], v[40:41]
	v_cndmask_b32_e32 v19, v19, v35, vcc_lo
	v_cndmask_b32_e32 v18, v18, v34, vcc_lo
	;; [unrolled: 1-line block ×4, first 2 shown]
	v_cndmask_b32_e64 v26, v26, s3, vcc_lo
	s_add_i32 s3, s3, 1
	s_cmp_lg_u32 s1, s3
	s_cbranch_scc1 .LBB6_24
.LBB6_25:
	s_inst_prefetch 0x2
	s_waitcnt lgkmcnt(0)
	v_cmp_neq_f64_e32 vcc_lo, 0, v[18:19]
	v_cmp_neq_f64_e64 s0, 0, v[20:21]
	s_or_b32 s3, vcc_lo, s0
	s_and_saveexec_b32 s0, s3
	s_cbranch_execz .LBB6_31
; %bb.26:
	v_cmp_ngt_f64_e64 s3, |v[18:19]|, |v[20:21]|
	s_and_saveexec_b32 s8, s3
	s_xor_b32 s3, exec_lo, s8
	s_cbranch_execz .LBB6_28
; %bb.27:
	v_div_scale_f64 v[34:35], null, v[20:21], v[20:21], v[18:19]
	v_div_scale_f64 v[40:41], vcc_lo, v[18:19], v[20:21], v[18:19]
	v_rcp_f64_e32 v[36:37], v[34:35]
	v_fma_f64 v[38:39], -v[34:35], v[36:37], 1.0
	v_fma_f64 v[36:37], v[36:37], v[38:39], v[36:37]
	v_fma_f64 v[38:39], -v[34:35], v[36:37], 1.0
	v_fma_f64 v[36:37], v[36:37], v[38:39], v[36:37]
	v_mul_f64 v[38:39], v[40:41], v[36:37]
	v_fma_f64 v[34:35], -v[34:35], v[38:39], v[40:41]
	v_div_fmas_f64 v[34:35], v[34:35], v[36:37], v[38:39]
	v_div_fixup_f64 v[34:35], v[34:35], v[20:21], v[18:19]
	v_fma_f64 v[18:19], v[18:19], v[34:35], v[20:21]
	v_div_scale_f64 v[20:21], null, v[18:19], v[18:19], 1.0
	v_rcp_f64_e32 v[36:37], v[20:21]
	v_fma_f64 v[38:39], -v[20:21], v[36:37], 1.0
	v_fma_f64 v[36:37], v[36:37], v[38:39], v[36:37]
	v_fma_f64 v[38:39], -v[20:21], v[36:37], 1.0
	v_fma_f64 v[36:37], v[36:37], v[38:39], v[36:37]
	v_div_scale_f64 v[38:39], vcc_lo, 1.0, v[18:19], 1.0
	v_mul_f64 v[40:41], v[38:39], v[36:37]
	v_fma_f64 v[20:21], -v[20:21], v[40:41], v[38:39]
	v_div_fmas_f64 v[20:21], v[20:21], v[36:37], v[40:41]
	v_div_fixup_f64 v[20:21], v[20:21], v[18:19], 1.0
	v_mul_f64 v[18:19], v[34:35], v[20:21]
	v_xor_b32_e32 v21, 0x80000000, v21
.LBB6_28:
	s_andn2_saveexec_b32 s3, s3
	s_cbranch_execz .LBB6_30
; %bb.29:
	v_div_scale_f64 v[34:35], null, v[18:19], v[18:19], v[20:21]
	v_div_scale_f64 v[40:41], vcc_lo, v[20:21], v[18:19], v[20:21]
	v_rcp_f64_e32 v[36:37], v[34:35]
	v_fma_f64 v[38:39], -v[34:35], v[36:37], 1.0
	v_fma_f64 v[36:37], v[36:37], v[38:39], v[36:37]
	v_fma_f64 v[38:39], -v[34:35], v[36:37], 1.0
	v_fma_f64 v[36:37], v[36:37], v[38:39], v[36:37]
	v_mul_f64 v[38:39], v[40:41], v[36:37]
	v_fma_f64 v[34:35], -v[34:35], v[38:39], v[40:41]
	v_div_fmas_f64 v[34:35], v[34:35], v[36:37], v[38:39]
	v_div_fixup_f64 v[34:35], v[34:35], v[18:19], v[20:21]
	v_fma_f64 v[18:19], v[20:21], v[34:35], v[18:19]
	v_div_scale_f64 v[20:21], null, v[18:19], v[18:19], 1.0
	v_rcp_f64_e32 v[36:37], v[20:21]
	v_fma_f64 v[38:39], -v[20:21], v[36:37], 1.0
	v_fma_f64 v[36:37], v[36:37], v[38:39], v[36:37]
	v_fma_f64 v[38:39], -v[20:21], v[36:37], 1.0
	v_fma_f64 v[36:37], v[36:37], v[38:39], v[36:37]
	v_div_scale_f64 v[38:39], vcc_lo, 1.0, v[18:19], 1.0
	v_mul_f64 v[40:41], v[38:39], v[36:37]
	v_fma_f64 v[20:21], -v[20:21], v[40:41], v[38:39]
	v_div_fmas_f64 v[20:21], v[20:21], v[36:37], v[40:41]
	v_div_fixup_f64 v[18:19], v[20:21], v[18:19], 1.0
	v_mul_f64 v[20:21], v[34:35], -v[18:19]
.LBB6_30:
	s_or_b32 exec_lo, exec_lo, s3
	v_mov_b32_e32 v31, v33
.LBB6_31:
	s_or_b32 exec_lo, exec_lo, s0
	s_mov_b32 s0, exec_lo
	v_cmpx_ne_u32_e64 v32, v26
	s_xor_b32 s0, exec_lo, s0
	s_cbranch_execz .LBB6_37
; %bb.32:
	s_mov_b32 s3, exec_lo
	v_cmpx_eq_u32_e32 1, v32
	s_cbranch_execz .LBB6_36
; %bb.33:
	v_cmp_ne_u32_e32 vcc_lo, 1, v26
	s_xor_b32 s8, s16, -1
	s_and_b32 s9, s8, vcc_lo
	s_and_saveexec_b32 s8, s9
	s_cbranch_execz .LBB6_35
; %bb.34:
	v_ashrrev_i32_e32 v27, 31, v26
	v_lshlrev_b64 v[32:33], 2, v[26:27]
	v_add_co_u32 v32, vcc_lo, v24, v32
	v_add_co_ci_u32_e64 v33, null, v25, v33, vcc_lo
	s_clause 0x1
	global_load_dword v0, v[32:33], off
	global_load_dword v27, v[24:25], off offset:4
	s_waitcnt vmcnt(1)
	global_store_dword v[24:25], v0, off offset:4
	s_waitcnt vmcnt(0)
	global_store_dword v[32:33], v27, off
.LBB6_35:
	s_or_b32 exec_lo, exec_lo, s8
	v_mov_b32_e32 v32, v26
	v_mov_b32_e32 v0, v26
.LBB6_36:
	s_or_b32 exec_lo, exec_lo, s3
.LBB6_37:
	s_andn2_saveexec_b32 s0, s0
	s_cbranch_execz .LBB6_39
; %bb.38:
	v_mov_b32_e32 v32, 1
	ds_write2_b64 v1, v[10:11], v[12:13] offset0:4 offset1:5
	ds_write2_b64 v1, v[6:7], v[8:9] offset0:6 offset1:7
.LBB6_39:
	s_or_b32 exec_lo, exec_lo, s0
	s_mov_b32 s0, exec_lo
	s_waitcnt lgkmcnt(0)
	s_waitcnt_vscnt null, 0x0
	s_barrier
	buffer_gl0_inv
	v_cmpx_lt_i32_e32 1, v32
	s_cbranch_execz .LBB6_41
; %bb.40:
	v_mul_f64 v[26:27], v[18:19], v[16:17]
	v_mul_f64 v[16:17], v[20:21], v[16:17]
	ds_read2_b64 v[33:36], v1 offset0:4 offset1:5
	ds_read2_b64 v[37:40], v1 offset0:6 offset1:7
	v_fma_f64 v[20:21], v[20:21], v[14:15], v[26:27]
	v_fma_f64 v[14:15], v[18:19], v[14:15], -v[16:17]
	s_waitcnt lgkmcnt(1)
	v_mul_f64 v[16:17], v[35:36], v[20:21]
	v_mul_f64 v[18:19], v[33:34], v[20:21]
	s_waitcnt lgkmcnt(0)
	v_mul_f64 v[26:27], v[39:40], v[20:21]
	v_mul_f64 v[41:42], v[37:38], v[20:21]
	v_fma_f64 v[16:17], v[33:34], v[14:15], -v[16:17]
	v_fma_f64 v[18:19], v[35:36], v[14:15], v[18:19]
	v_fma_f64 v[26:27], v[37:38], v[14:15], -v[26:27]
	v_fma_f64 v[33:34], v[39:40], v[14:15], v[41:42]
	v_add_f64 v[10:11], v[10:11], -v[16:17]
	v_add_f64 v[12:13], v[12:13], -v[18:19]
	;; [unrolled: 1-line block ×4, first 2 shown]
	v_mov_b32_e32 v16, v20
	v_mov_b32_e32 v17, v21
.LBB6_41:
	s_or_b32 exec_lo, exec_lo, s0
	v_lshl_add_u32 v18, v32, 4, v1
	s_barrier
	buffer_gl0_inv
	v_mov_b32_e32 v26, 2
	ds_write2_b64 v18, v[10:11], v[12:13] offset1:1
	s_waitcnt lgkmcnt(0)
	s_barrier
	buffer_gl0_inv
	ds_read2_b64 v[18:21], v1 offset0:4 offset1:5
	s_cmp_lt_i32 s1, 4
	s_cbranch_scc1 .LBB6_44
; %bb.42:
	v_add3_u32 v27, v28, 0, 48
	v_mov_b32_e32 v26, 2
	s_mov_b32 s3, 3
	s_inst_prefetch 0x1
	.p2align	6
.LBB6_43:                               ; =>This Inner Loop Header: Depth=1
	s_waitcnt lgkmcnt(0)
	v_cmp_gt_f64_e32 vcc_lo, 0, v[20:21]
	v_cmp_gt_f64_e64 s0, 0, v[18:19]
	ds_read2_b64 v[33:36], v27 offset1:1
	v_xor_b32_e32 v38, 0x80000000, v19
	v_xor_b32_e32 v40, 0x80000000, v21
	v_mov_b32_e32 v37, v18
	v_mov_b32_e32 v39, v20
	v_add_nc_u32_e32 v27, 16, v27
	s_waitcnt lgkmcnt(0)
	v_xor_b32_e32 v42, 0x80000000, v36
	v_cndmask_b32_e64 v38, v19, v38, s0
	v_cndmask_b32_e32 v40, v21, v40, vcc_lo
	v_cmp_gt_f64_e32 vcc_lo, 0, v[35:36]
	v_cmp_gt_f64_e64 s0, 0, v[33:34]
	v_mov_b32_e32 v41, v35
	v_add_f64 v[37:38], v[37:38], v[39:40]
	v_xor_b32_e32 v40, 0x80000000, v34
	v_mov_b32_e32 v39, v33
	v_cndmask_b32_e32 v42, v36, v42, vcc_lo
	v_cndmask_b32_e64 v40, v34, v40, s0
	v_add_f64 v[39:40], v[39:40], v[41:42]
	v_cmp_lt_f64_e32 vcc_lo, v[37:38], v[39:40]
	v_cndmask_b32_e32 v19, v19, v34, vcc_lo
	v_cndmask_b32_e32 v18, v18, v33, vcc_lo
	;; [unrolled: 1-line block ×4, first 2 shown]
	v_cndmask_b32_e64 v26, v26, s3, vcc_lo
	s_add_i32 s3, s3, 1
	s_cmp_lg_u32 s1, s3
	s_cbranch_scc1 .LBB6_43
.LBB6_44:
	s_inst_prefetch 0x2
	s_waitcnt lgkmcnt(0)
	v_cmp_eq_f64_e32 vcc_lo, 0, v[18:19]
	v_cmp_eq_f64_e64 s0, 0, v[20:21]
	s_and_b32 s0, vcc_lo, s0
	s_and_saveexec_b32 s3, s0
	s_xor_b32 s0, exec_lo, s3
; %bb.45:
	v_cmp_ne_u32_e32 vcc_lo, 0, v31
	v_cndmask_b32_e32 v31, 3, v31, vcc_lo
; %bb.46:
	s_andn2_saveexec_b32 s0, s0
	s_cbranch_execz .LBB6_52
; %bb.47:
	v_cmp_ngt_f64_e64 s3, |v[18:19]|, |v[20:21]|
	s_and_saveexec_b32 s8, s3
	s_xor_b32 s3, exec_lo, s8
	s_cbranch_execz .LBB6_49
; %bb.48:
	v_div_scale_f64 v[33:34], null, v[20:21], v[20:21], v[18:19]
	v_div_scale_f64 v[39:40], vcc_lo, v[18:19], v[20:21], v[18:19]
	v_rcp_f64_e32 v[35:36], v[33:34]
	v_fma_f64 v[37:38], -v[33:34], v[35:36], 1.0
	v_fma_f64 v[35:36], v[35:36], v[37:38], v[35:36]
	v_fma_f64 v[37:38], -v[33:34], v[35:36], 1.0
	v_fma_f64 v[35:36], v[35:36], v[37:38], v[35:36]
	v_mul_f64 v[37:38], v[39:40], v[35:36]
	v_fma_f64 v[33:34], -v[33:34], v[37:38], v[39:40]
	v_div_fmas_f64 v[33:34], v[33:34], v[35:36], v[37:38]
	v_div_fixup_f64 v[33:34], v[33:34], v[20:21], v[18:19]
	v_fma_f64 v[18:19], v[18:19], v[33:34], v[20:21]
	v_div_scale_f64 v[20:21], null, v[18:19], v[18:19], 1.0
	v_rcp_f64_e32 v[35:36], v[20:21]
	v_fma_f64 v[37:38], -v[20:21], v[35:36], 1.0
	v_fma_f64 v[35:36], v[35:36], v[37:38], v[35:36]
	v_fma_f64 v[37:38], -v[20:21], v[35:36], 1.0
	v_fma_f64 v[35:36], v[35:36], v[37:38], v[35:36]
	v_div_scale_f64 v[37:38], vcc_lo, 1.0, v[18:19], 1.0
	v_mul_f64 v[39:40], v[37:38], v[35:36]
	v_fma_f64 v[20:21], -v[20:21], v[39:40], v[37:38]
	v_div_fmas_f64 v[20:21], v[20:21], v[35:36], v[39:40]
	v_div_fixup_f64 v[20:21], v[20:21], v[18:19], 1.0
	v_mul_f64 v[18:19], v[33:34], v[20:21]
	v_xor_b32_e32 v21, 0x80000000, v21
.LBB6_49:
	s_andn2_saveexec_b32 s3, s3
	s_cbranch_execz .LBB6_51
; %bb.50:
	v_div_scale_f64 v[33:34], null, v[18:19], v[18:19], v[20:21]
	v_div_scale_f64 v[39:40], vcc_lo, v[20:21], v[18:19], v[20:21]
	v_rcp_f64_e32 v[35:36], v[33:34]
	v_fma_f64 v[37:38], -v[33:34], v[35:36], 1.0
	v_fma_f64 v[35:36], v[35:36], v[37:38], v[35:36]
	v_fma_f64 v[37:38], -v[33:34], v[35:36], 1.0
	v_fma_f64 v[35:36], v[35:36], v[37:38], v[35:36]
	v_mul_f64 v[37:38], v[39:40], v[35:36]
	v_fma_f64 v[33:34], -v[33:34], v[37:38], v[39:40]
	v_div_fmas_f64 v[33:34], v[33:34], v[35:36], v[37:38]
	v_div_fixup_f64 v[33:34], v[33:34], v[18:19], v[20:21]
	v_fma_f64 v[18:19], v[20:21], v[33:34], v[18:19]
	v_div_scale_f64 v[20:21], null, v[18:19], v[18:19], 1.0
	v_rcp_f64_e32 v[35:36], v[20:21]
	v_fma_f64 v[37:38], -v[20:21], v[35:36], 1.0
	v_fma_f64 v[35:36], v[35:36], v[37:38], v[35:36]
	v_fma_f64 v[37:38], -v[20:21], v[35:36], 1.0
	v_fma_f64 v[35:36], v[35:36], v[37:38], v[35:36]
	v_div_scale_f64 v[37:38], vcc_lo, 1.0, v[18:19], 1.0
	v_mul_f64 v[39:40], v[37:38], v[35:36]
	v_fma_f64 v[20:21], -v[20:21], v[39:40], v[37:38]
	v_div_fmas_f64 v[20:21], v[20:21], v[35:36], v[39:40]
	v_div_fixup_f64 v[18:19], v[20:21], v[18:19], 1.0
	v_mul_f64 v[20:21], v[33:34], -v[18:19]
.LBB6_51:
	s_or_b32 exec_lo, exec_lo, s3
.LBB6_52:
	s_or_b32 exec_lo, exec_lo, s0
	s_mov_b32 s0, exec_lo
	v_cmpx_ne_u32_e64 v32, v26
	s_xor_b32 s0, exec_lo, s0
	s_cbranch_execz .LBB6_58
; %bb.53:
	s_mov_b32 s3, exec_lo
	v_cmpx_eq_u32_e32 2, v32
	s_cbranch_execz .LBB6_57
; %bb.54:
	v_cmp_ne_u32_e32 vcc_lo, 2, v26
	s_xor_b32 s8, s16, -1
	s_and_b32 s9, s8, vcc_lo
	s_and_saveexec_b32 s8, s9
	s_cbranch_execz .LBB6_56
; %bb.55:
	v_ashrrev_i32_e32 v27, 31, v26
	v_lshlrev_b64 v[32:33], 2, v[26:27]
	v_add_co_u32 v32, vcc_lo, v24, v32
	v_add_co_ci_u32_e64 v33, null, v25, v33, vcc_lo
	s_clause 0x1
	global_load_dword v0, v[32:33], off
	global_load_dword v27, v[24:25], off offset:8
	s_waitcnt vmcnt(1)
	global_store_dword v[24:25], v0, off offset:8
	s_waitcnt vmcnt(0)
	global_store_dword v[32:33], v27, off
.LBB6_56:
	s_or_b32 exec_lo, exec_lo, s8
	v_mov_b32_e32 v32, v26
	v_mov_b32_e32 v0, v26
.LBB6_57:
	s_or_b32 exec_lo, exec_lo, s3
.LBB6_58:
	s_andn2_saveexec_b32 s0, s0
; %bb.59:
	v_mov_b32_e32 v32, 2
	ds_write2_b64 v1, v[6:7], v[8:9] offset0:6 offset1:7
; %bb.60:
	s_or_b32 exec_lo, exec_lo, s0
	s_mov_b32 s0, exec_lo
	s_waitcnt lgkmcnt(0)
	s_waitcnt_vscnt null, 0x0
	s_barrier
	buffer_gl0_inv
	v_cmpx_lt_i32_e32 2, v32
	s_cbranch_execz .LBB6_62
; %bb.61:
	v_mul_f64 v[26:27], v[18:19], v[12:13]
	v_mul_f64 v[12:13], v[20:21], v[12:13]
	ds_read2_b64 v[33:36], v1 offset0:6 offset1:7
	v_fma_f64 v[20:21], v[20:21], v[10:11], v[26:27]
	v_fma_f64 v[10:11], v[18:19], v[10:11], -v[12:13]
	s_waitcnt lgkmcnt(0)
	v_mul_f64 v[12:13], v[35:36], v[20:21]
	v_mul_f64 v[18:19], v[33:34], v[20:21]
	v_fma_f64 v[12:13], v[33:34], v[10:11], -v[12:13]
	v_fma_f64 v[18:19], v[35:36], v[10:11], v[18:19]
	v_add_f64 v[6:7], v[6:7], -v[12:13]
	v_add_f64 v[8:9], v[8:9], -v[18:19]
	v_mov_b32_e32 v12, v20
	v_mov_b32_e32 v13, v21
.LBB6_62:
	s_or_b32 exec_lo, exec_lo, s0
	v_lshl_add_u32 v18, v32, 4, v1
	s_barrier
	buffer_gl0_inv
	v_mov_b32_e32 v26, 3
	ds_write2_b64 v18, v[6:7], v[8:9] offset1:1
	s_waitcnt lgkmcnt(0)
	s_barrier
	buffer_gl0_inv
	ds_read2_b64 v[18:21], v1 offset0:6 offset1:7
	s_cmp_lt_i32 s1, 5
	s_mov_b32 s3, 4
	s_cbranch_scc1 .LBB6_65
; %bb.63:
	v_add3_u32 v1, v28, 0, 64
	v_mov_b32_e32 v26, 3
	s_inst_prefetch 0x1
	.p2align	6
.LBB6_64:                               ; =>This Inner Loop Header: Depth=1
	s_waitcnt lgkmcnt(0)
	v_cmp_gt_f64_e32 vcc_lo, 0, v[20:21]
	v_cmp_gt_f64_e64 s0, 0, v[18:19]
	ds_read2_b64 v[33:36], v1 offset1:1
	v_xor_b32_e32 v28, 0x80000000, v19
	v_xor_b32_e32 v38, 0x80000000, v21
	v_mov_b32_e32 v27, v18
	v_mov_b32_e32 v37, v20
	v_add_nc_u32_e32 v1, 16, v1
	s_waitcnt lgkmcnt(0)
	v_xor_b32_e32 v40, 0x80000000, v36
	v_cndmask_b32_e64 v28, v19, v28, s0
	v_cndmask_b32_e32 v38, v21, v38, vcc_lo
	v_cmp_gt_f64_e32 vcc_lo, 0, v[35:36]
	v_cmp_gt_f64_e64 s0, 0, v[33:34]
	v_mov_b32_e32 v39, v35
	v_add_f64 v[27:28], v[27:28], v[37:38]
	v_xor_b32_e32 v38, 0x80000000, v34
	v_mov_b32_e32 v37, v33
	v_cndmask_b32_e32 v40, v36, v40, vcc_lo
	v_cndmask_b32_e64 v38, v34, v38, s0
	v_add_f64 v[37:38], v[37:38], v[39:40]
	v_cmp_lt_f64_e32 vcc_lo, v[27:28], v[37:38]
	v_cndmask_b32_e32 v19, v19, v34, vcc_lo
	v_cndmask_b32_e32 v18, v18, v33, vcc_lo
	;; [unrolled: 1-line block ×4, first 2 shown]
	v_cndmask_b32_e64 v26, v26, s3, vcc_lo
	s_add_i32 s3, s3, 1
	s_cmp_lg_u32 s1, s3
	s_cbranch_scc1 .LBB6_64
.LBB6_65:
	s_inst_prefetch 0x2
	s_waitcnt lgkmcnt(0)
	v_cmp_eq_f64_e32 vcc_lo, 0, v[18:19]
	v_cmp_eq_f64_e64 s0, 0, v[20:21]
	s_and_b32 s0, vcc_lo, s0
	s_and_saveexec_b32 s1, s0
	s_xor_b32 s0, exec_lo, s1
; %bb.66:
	v_cmp_ne_u32_e32 vcc_lo, 0, v31
	v_cndmask_b32_e32 v31, 4, v31, vcc_lo
; %bb.67:
	s_andn2_saveexec_b32 s0, s0
	s_cbranch_execz .LBB6_73
; %bb.68:
	v_cmp_ngt_f64_e64 s1, |v[18:19]|, |v[20:21]|
	s_and_saveexec_b32 s3, s1
	s_xor_b32 s1, exec_lo, s3
	s_cbranch_execz .LBB6_70
; %bb.69:
	v_div_scale_f64 v[27:28], null, v[20:21], v[20:21], v[18:19]
	v_div_scale_f64 v[37:38], vcc_lo, v[18:19], v[20:21], v[18:19]
	v_rcp_f64_e32 v[33:34], v[27:28]
	v_fma_f64 v[35:36], -v[27:28], v[33:34], 1.0
	v_fma_f64 v[33:34], v[33:34], v[35:36], v[33:34]
	v_fma_f64 v[35:36], -v[27:28], v[33:34], 1.0
	v_fma_f64 v[33:34], v[33:34], v[35:36], v[33:34]
	v_mul_f64 v[35:36], v[37:38], v[33:34]
	v_fma_f64 v[27:28], -v[27:28], v[35:36], v[37:38]
	v_div_fmas_f64 v[27:28], v[27:28], v[33:34], v[35:36]
	v_div_fixup_f64 v[27:28], v[27:28], v[20:21], v[18:19]
	v_fma_f64 v[18:19], v[18:19], v[27:28], v[20:21]
	v_div_scale_f64 v[20:21], null, v[18:19], v[18:19], 1.0
	v_rcp_f64_e32 v[33:34], v[20:21]
	v_fma_f64 v[35:36], -v[20:21], v[33:34], 1.0
	v_fma_f64 v[33:34], v[33:34], v[35:36], v[33:34]
	v_fma_f64 v[35:36], -v[20:21], v[33:34], 1.0
	v_fma_f64 v[33:34], v[33:34], v[35:36], v[33:34]
	v_div_scale_f64 v[35:36], vcc_lo, 1.0, v[18:19], 1.0
	v_mul_f64 v[37:38], v[35:36], v[33:34]
	v_fma_f64 v[20:21], -v[20:21], v[37:38], v[35:36]
	v_div_fmas_f64 v[20:21], v[20:21], v[33:34], v[37:38]
	v_div_fixup_f64 v[20:21], v[20:21], v[18:19], 1.0
	v_mul_f64 v[18:19], v[27:28], v[20:21]
	v_xor_b32_e32 v21, 0x80000000, v21
.LBB6_70:
	s_andn2_saveexec_b32 s1, s1
	s_cbranch_execz .LBB6_72
; %bb.71:
	v_div_scale_f64 v[27:28], null, v[18:19], v[18:19], v[20:21]
	v_div_scale_f64 v[37:38], vcc_lo, v[20:21], v[18:19], v[20:21]
	v_rcp_f64_e32 v[33:34], v[27:28]
	v_fma_f64 v[35:36], -v[27:28], v[33:34], 1.0
	v_fma_f64 v[33:34], v[33:34], v[35:36], v[33:34]
	v_fma_f64 v[35:36], -v[27:28], v[33:34], 1.0
	v_fma_f64 v[33:34], v[33:34], v[35:36], v[33:34]
	v_mul_f64 v[35:36], v[37:38], v[33:34]
	v_fma_f64 v[27:28], -v[27:28], v[35:36], v[37:38]
	v_div_fmas_f64 v[27:28], v[27:28], v[33:34], v[35:36]
	v_div_fixup_f64 v[27:28], v[27:28], v[18:19], v[20:21]
	v_fma_f64 v[18:19], v[20:21], v[27:28], v[18:19]
	v_div_scale_f64 v[20:21], null, v[18:19], v[18:19], 1.0
	v_rcp_f64_e32 v[33:34], v[20:21]
	v_fma_f64 v[35:36], -v[20:21], v[33:34], 1.0
	v_fma_f64 v[33:34], v[33:34], v[35:36], v[33:34]
	v_fma_f64 v[35:36], -v[20:21], v[33:34], 1.0
	v_fma_f64 v[33:34], v[33:34], v[35:36], v[33:34]
	v_div_scale_f64 v[35:36], vcc_lo, 1.0, v[18:19], 1.0
	v_mul_f64 v[37:38], v[35:36], v[33:34]
	v_fma_f64 v[20:21], -v[20:21], v[37:38], v[35:36]
	v_div_fmas_f64 v[20:21], v[20:21], v[33:34], v[37:38]
	v_div_fixup_f64 v[18:19], v[20:21], v[18:19], 1.0
	v_mul_f64 v[20:21], v[27:28], -v[18:19]
.LBB6_72:
	s_or_b32 exec_lo, exec_lo, s1
.LBB6_73:
	s_or_b32 exec_lo, exec_lo, s0
	v_mov_b32_e32 v27, 3
	s_mov_b32 s0, exec_lo
	v_cmpx_ne_u32_e64 v32, v26
	s_cbranch_execz .LBB6_79
; %bb.74:
	s_mov_b32 s1, exec_lo
	v_cmpx_eq_u32_e32 3, v32
	s_cbranch_execz .LBB6_78
; %bb.75:
	v_cmp_ne_u32_e32 vcc_lo, 3, v26
	s_xor_b32 s3, s16, -1
	s_and_b32 s8, s3, vcc_lo
	s_and_saveexec_b32 s3, s8
	s_cbranch_execz .LBB6_77
; %bb.76:
	v_ashrrev_i32_e32 v27, 31, v26
	v_lshlrev_b64 v[0:1], 2, v[26:27]
	v_add_co_u32 v0, vcc_lo, v24, v0
	v_add_co_ci_u32_e64 v1, null, v25, v1, vcc_lo
	s_clause 0x1
	global_load_dword v27, v[0:1], off
	global_load_dword v28, v[24:25], off offset:12
	s_waitcnt vmcnt(1)
	global_store_dword v[24:25], v27, off offset:12
	s_waitcnt vmcnt(0)
	global_store_dword v[0:1], v28, off
.LBB6_77:
	s_or_b32 exec_lo, exec_lo, s3
	v_mov_b32_e32 v32, v26
	v_mov_b32_e32 v0, v26
.LBB6_78:
	s_or_b32 exec_lo, exec_lo, s1
	v_mov_b32_e32 v27, v32
.LBB6_79:
	s_or_b32 exec_lo, exec_lo, s0
	s_mov_b32 s0, exec_lo
	s_waitcnt_vscnt null, 0x0
	s_barrier
	buffer_gl0_inv
	v_cmpx_lt_i32_e32 3, v27
	s_cbranch_execz .LBB6_81
; %bb.80:
	v_mul_f64 v[24:25], v[20:21], v[8:9]
	v_mul_f64 v[8:9], v[18:19], v[8:9]
	v_fma_f64 v[18:19], v[18:19], v[6:7], -v[24:25]
	v_fma_f64 v[8:9], v[20:21], v[6:7], v[8:9]
	v_mov_b32_e32 v6, v18
	v_mov_b32_e32 v7, v19
.LBB6_81:
	s_or_b32 exec_lo, exec_lo, s0
	v_ashrrev_i32_e32 v28, 31, v27
	s_mov_b32 s0, exec_lo
	s_barrier
	buffer_gl0_inv
	v_cmpx_gt_i32_e32 4, v27
	s_cbranch_execz .LBB6_83
; %bb.82:
	v_mul_lo_u32 v1, s15, v22
	v_mul_lo_u32 v20, s14, v23
	v_mad_u64_u32 v[18:19], null, s14, v22, 0
	s_lshl_b64 s[8:9], s[12:13], 2
	v_add3_u32 v0, v0, s17, 1
	v_add3_u32 v19, v19, v20, v1
	v_lshlrev_b64 v[18:19], 2, v[18:19]
	v_add_co_u32 v1, vcc_lo, s10, v18
	v_add_co_ci_u32_e64 v20, null, s11, v19, vcc_lo
	v_lshlrev_b64 v[18:19], 2, v[27:28]
	v_add_co_u32 v1, vcc_lo, v1, s8
	v_add_co_ci_u32_e64 v20, null, s9, v20, vcc_lo
	v_add_co_u32 v18, vcc_lo, v1, v18
	v_add_co_ci_u32_e64 v19, null, v20, v19, vcc_lo
	global_store_dword v[18:19], v0, off
.LBB6_83:
	s_or_b32 exec_lo, exec_lo, s0
	s_mov_b32 s1, exec_lo
	v_cmpx_eq_u32_e32 0, v27
	s_cbranch_execz .LBB6_86
; %bb.84:
	v_lshlrev_b64 v[0:1], 2, v[22:23]
	v_cmp_ne_u32_e64 s0, 0, v31
	v_add_co_u32 v0, vcc_lo, s4, v0
	v_add_co_ci_u32_e64 v1, null, s5, v1, vcc_lo
	global_load_dword v18, v[0:1], off
	s_waitcnt vmcnt(0)
	v_cmp_eq_u32_e32 vcc_lo, 0, v18
	s_and_b32 s0, vcc_lo, s0
	s_and_b32 exec_lo, exec_lo, s0
	s_cbranch_execz .LBB6_86
; %bb.85:
	v_add_nc_u32_e32 v18, s17, v31
	global_store_dword v[0:1], v18, off
.LBB6_86:
	s_or_b32 exec_lo, exec_lo, s1
	v_add3_u32 v0, s2, s2, v27
	v_lshlrev_b64 v[18:19], 4, v[27:28]
	v_add_nc_u32_e32 v20, s2, v0
	v_ashrrev_i32_e32 v1, 31, v0
	v_add_co_u32 v18, vcc_lo, v29, v18
	v_add_co_ci_u32_e64 v19, null, v30, v19, vcc_lo
	v_ashrrev_i32_e32 v21, 31, v20
	v_lshlrev_b64 v[0:1], 4, v[0:1]
	v_add_co_u32 v22, vcc_lo, v18, s6
	v_add_co_ci_u32_e64 v23, null, s7, v19, vcc_lo
	v_lshlrev_b64 v[20:21], 4, v[20:21]
	v_add_co_u32 v0, vcc_lo, v29, v0
	v_add_co_ci_u32_e64 v1, null, v30, v1, vcc_lo
	v_add_co_u32 v20, vcc_lo, v29, v20
	v_add_co_ci_u32_e64 v21, null, v30, v21, vcc_lo
	global_store_dwordx4 v[18:19], v[2:5], off
	global_store_dwordx4 v[22:23], v[14:17], off
	;; [unrolled: 1-line block ×4, first 2 shown]
.LBB6_87:
	s_endpgm
	.section	.rodata,"a",@progbits
	.p2align	6, 0x0
	.amdhsa_kernel _ZN9rocsolver6v33100L18getf2_small_kernelILi4E19rocblas_complex_numIdEiiPS3_EEvT1_T3_lS5_lPS5_llPT2_S5_S5_S7_l
		.amdhsa_group_segment_fixed_size 0
		.amdhsa_private_segment_fixed_size 0
		.amdhsa_kernarg_size 352
		.amdhsa_user_sgpr_count 6
		.amdhsa_user_sgpr_private_segment_buffer 1
		.amdhsa_user_sgpr_dispatch_ptr 0
		.amdhsa_user_sgpr_queue_ptr 0
		.amdhsa_user_sgpr_kernarg_segment_ptr 1
		.amdhsa_user_sgpr_dispatch_id 0
		.amdhsa_user_sgpr_flat_scratch_init 0
		.amdhsa_user_sgpr_private_segment_size 0
		.amdhsa_wavefront_size32 1
		.amdhsa_uses_dynamic_stack 0
		.amdhsa_system_sgpr_private_segment_wavefront_offset 0
		.amdhsa_system_sgpr_workgroup_id_x 1
		.amdhsa_system_sgpr_workgroup_id_y 1
		.amdhsa_system_sgpr_workgroup_id_z 0
		.amdhsa_system_sgpr_workgroup_info 0
		.amdhsa_system_vgpr_workitem_id 1
		.amdhsa_next_free_vgpr 52
		.amdhsa_next_free_sgpr 24
		.amdhsa_reserve_vcc 1
		.amdhsa_reserve_flat_scratch 0
		.amdhsa_float_round_mode_32 0
		.amdhsa_float_round_mode_16_64 0
		.amdhsa_float_denorm_mode_32 3
		.amdhsa_float_denorm_mode_16_64 3
		.amdhsa_dx10_clamp 1
		.amdhsa_ieee_mode 1
		.amdhsa_fp16_overflow 0
		.amdhsa_workgroup_processor_mode 1
		.amdhsa_memory_ordered 1
		.amdhsa_forward_progress 1
		.amdhsa_shared_vgpr_count 0
		.amdhsa_exception_fp_ieee_invalid_op 0
		.amdhsa_exception_fp_denorm_src 0
		.amdhsa_exception_fp_ieee_div_zero 0
		.amdhsa_exception_fp_ieee_overflow 0
		.amdhsa_exception_fp_ieee_underflow 0
		.amdhsa_exception_fp_ieee_inexact 0
		.amdhsa_exception_int_div_zero 0
	.end_amdhsa_kernel
	.section	.text._ZN9rocsolver6v33100L18getf2_small_kernelILi4E19rocblas_complex_numIdEiiPS3_EEvT1_T3_lS5_lPS5_llPT2_S5_S5_S7_l,"axG",@progbits,_ZN9rocsolver6v33100L18getf2_small_kernelILi4E19rocblas_complex_numIdEiiPS3_EEvT1_T3_lS5_lPS5_llPT2_S5_S5_S7_l,comdat
.Lfunc_end6:
	.size	_ZN9rocsolver6v33100L18getf2_small_kernelILi4E19rocblas_complex_numIdEiiPS3_EEvT1_T3_lS5_lPS5_llPT2_S5_S5_S7_l, .Lfunc_end6-_ZN9rocsolver6v33100L18getf2_small_kernelILi4E19rocblas_complex_numIdEiiPS3_EEvT1_T3_lS5_lPS5_llPT2_S5_S5_S7_l
                                        ; -- End function
	.set _ZN9rocsolver6v33100L18getf2_small_kernelILi4E19rocblas_complex_numIdEiiPS3_EEvT1_T3_lS5_lPS5_llPT2_S5_S5_S7_l.num_vgpr, 52
	.set _ZN9rocsolver6v33100L18getf2_small_kernelILi4E19rocblas_complex_numIdEiiPS3_EEvT1_T3_lS5_lPS5_llPT2_S5_S5_S7_l.num_agpr, 0
	.set _ZN9rocsolver6v33100L18getf2_small_kernelILi4E19rocblas_complex_numIdEiiPS3_EEvT1_T3_lS5_lPS5_llPT2_S5_S5_S7_l.numbered_sgpr, 24
	.set _ZN9rocsolver6v33100L18getf2_small_kernelILi4E19rocblas_complex_numIdEiiPS3_EEvT1_T3_lS5_lPS5_llPT2_S5_S5_S7_l.num_named_barrier, 0
	.set _ZN9rocsolver6v33100L18getf2_small_kernelILi4E19rocblas_complex_numIdEiiPS3_EEvT1_T3_lS5_lPS5_llPT2_S5_S5_S7_l.private_seg_size, 0
	.set _ZN9rocsolver6v33100L18getf2_small_kernelILi4E19rocblas_complex_numIdEiiPS3_EEvT1_T3_lS5_lPS5_llPT2_S5_S5_S7_l.uses_vcc, 1
	.set _ZN9rocsolver6v33100L18getf2_small_kernelILi4E19rocblas_complex_numIdEiiPS3_EEvT1_T3_lS5_lPS5_llPT2_S5_S5_S7_l.uses_flat_scratch, 0
	.set _ZN9rocsolver6v33100L18getf2_small_kernelILi4E19rocblas_complex_numIdEiiPS3_EEvT1_T3_lS5_lPS5_llPT2_S5_S5_S7_l.has_dyn_sized_stack, 0
	.set _ZN9rocsolver6v33100L18getf2_small_kernelILi4E19rocblas_complex_numIdEiiPS3_EEvT1_T3_lS5_lPS5_llPT2_S5_S5_S7_l.has_recursion, 0
	.set _ZN9rocsolver6v33100L18getf2_small_kernelILi4E19rocblas_complex_numIdEiiPS3_EEvT1_T3_lS5_lPS5_llPT2_S5_S5_S7_l.has_indirect_call, 0
	.section	.AMDGPU.csdata,"",@progbits
; Kernel info:
; codeLenInByte = 5136
; TotalNumSgprs: 26
; NumVgprs: 52
; ScratchSize: 0
; MemoryBound: 0
; FloatMode: 240
; IeeeMode: 1
; LDSByteSize: 0 bytes/workgroup (compile time only)
; SGPRBlocks: 0
; VGPRBlocks: 6
; NumSGPRsForWavesPerEU: 26
; NumVGPRsForWavesPerEU: 52
; Occupancy: 16
; WaveLimiterHint : 0
; COMPUTE_PGM_RSRC2:SCRATCH_EN: 0
; COMPUTE_PGM_RSRC2:USER_SGPR: 6
; COMPUTE_PGM_RSRC2:TRAP_HANDLER: 0
; COMPUTE_PGM_RSRC2:TGID_X_EN: 1
; COMPUTE_PGM_RSRC2:TGID_Y_EN: 1
; COMPUTE_PGM_RSRC2:TGID_Z_EN: 0
; COMPUTE_PGM_RSRC2:TIDIG_COMP_CNT: 1
	.section	.text._ZN9rocsolver6v33100L23getf2_npvt_small_kernelILi4E19rocblas_complex_numIdEiiPS3_EEvT1_T3_lS5_lPT2_S5_S5_,"axG",@progbits,_ZN9rocsolver6v33100L23getf2_npvt_small_kernelILi4E19rocblas_complex_numIdEiiPS3_EEvT1_T3_lS5_lPT2_S5_S5_,comdat
	.globl	_ZN9rocsolver6v33100L23getf2_npvt_small_kernelILi4E19rocblas_complex_numIdEiiPS3_EEvT1_T3_lS5_lPT2_S5_S5_ ; -- Begin function _ZN9rocsolver6v33100L23getf2_npvt_small_kernelILi4E19rocblas_complex_numIdEiiPS3_EEvT1_T3_lS5_lPT2_S5_S5_
	.p2align	8
	.type	_ZN9rocsolver6v33100L23getf2_npvt_small_kernelILi4E19rocblas_complex_numIdEiiPS3_EEvT1_T3_lS5_lPT2_S5_S5_,@function
_ZN9rocsolver6v33100L23getf2_npvt_small_kernelILi4E19rocblas_complex_numIdEiiPS3_EEvT1_T3_lS5_lPT2_S5_S5_: ; @_ZN9rocsolver6v33100L23getf2_npvt_small_kernelILi4E19rocblas_complex_numIdEiiPS3_EEvT1_T3_lS5_lPT2_S5_S5_
; %bb.0:
	s_clause 0x1
	s_load_dword s0, s[4:5], 0x44
	s_load_dwordx2 s[12:13], s[4:5], 0x30
	s_waitcnt lgkmcnt(0)
	s_lshr_b32 s6, s0, 16
	s_mov_b32 s0, exec_lo
	v_mad_u64_u32 v[34:35], null, s7, s6, v[1:2]
	v_cmpx_gt_i32_e64 s12, v34
	s_cbranch_execz .LBB7_41
; %bb.1:
	s_clause 0x1
	s_load_dwordx4 s[8:11], s[4:5], 0x20
	s_load_dword s14, s[4:5], 0x18
	v_ashrrev_i32_e32 v35, 31, v34
	s_load_dwordx4 s[0:3], s[4:5], 0x8
	v_lshlrev_b32_e32 v8, 4, v0
	v_lshlrev_b32_e32 v18, 4, v1
	;; [unrolled: 1-line block ×3, first 2 shown]
	v_add_nc_u32_e32 v44, 0, v19
	s_waitcnt lgkmcnt(0)
	v_mul_lo_u32 v5, s9, v34
	v_mul_lo_u32 v6, s8, v35
	v_mad_u64_u32 v[2:3], null, s8, v34, 0
	v_add3_u32 v4, s14, s14, v0
	s_lshl_b64 s[2:3], s[2:3], 4
	s_ashr_i32 s15, s14, 31
	s_lshl_b64 s[4:5], s[14:15], 4
	v_add3_u32 v3, v3, v6, v5
	v_add_nc_u32_e32 v6, s14, v4
	v_ashrrev_i32_e32 v5, 31, v4
	v_lshlrev_b64 v[2:3], 4, v[2:3]
	v_ashrrev_i32_e32 v7, 31, v6
	v_lshlrev_b64 v[4:5], 4, v[4:5]
	v_add_co_u32 v2, vcc_lo, s0, v2
	v_add_co_ci_u32_e64 v3, null, s1, v3, vcc_lo
	s_lshl_b32 s0, s6, 6
	v_add_co_u32 v9, vcc_lo, v2, s2
	v_add_co_ci_u32_e64 v10, null, s3, v3, vcc_lo
	v_lshlrev_b64 v[2:3], 4, v[6:7]
	v_add_co_u32 v42, vcc_lo, v9, v8
	v_add_co_ci_u32_e64 v43, null, 0, v10, vcc_lo
	v_add_co_u32 v38, vcc_lo, v9, v4
	v_add_co_ci_u32_e64 v39, null, v10, v5, vcc_lo
	;; [unrolled: 2-line block ×4, first 2 shown]
	s_clause 0x3
	global_load_dwordx4 v[14:17], v[42:43], off
	global_load_dwordx4 v[10:13], v[40:41], off
	;; [unrolled: 1-line block ×4, first 2 shown]
	v_add3_u32 v1, 0, s0, v18
	v_cmp_ne_u32_e64 s1, 0, v0
	v_cmp_eq_u32_e64 s0, 0, v0
	s_and_saveexec_b32 s3, s0
	s_cbranch_execz .LBB7_8
; %bb.2:
	s_waitcnt vmcnt(3)
	ds_write2_b64 v1, v[14:15], v[16:17] offset1:1
	s_waitcnt vmcnt(2)
	ds_write2_b64 v44, v[10:11], v[12:13] offset0:2 offset1:3
	s_waitcnt vmcnt(1)
	ds_write2_b64 v44, v[6:7], v[8:9] offset0:4 offset1:5
	;; [unrolled: 2-line block ×3, first 2 shown]
	ds_read2_b64 v[18:21], v1 offset1:1
	s_waitcnt lgkmcnt(0)
	v_cmp_neq_f64_e32 vcc_lo, 0, v[18:19]
	v_cmp_neq_f64_e64 s2, 0, v[20:21]
	s_or_b32 s2, vcc_lo, s2
	s_and_b32 exec_lo, exec_lo, s2
	s_cbranch_execz .LBB7_8
; %bb.3:
	v_cmp_ngt_f64_e64 s2, |v[18:19]|, |v[20:21]|
                                        ; implicit-def: $vgpr22_vgpr23
	s_and_saveexec_b32 s4, s2
	s_xor_b32 s2, exec_lo, s4
                                        ; implicit-def: $vgpr24_vgpr25
	s_cbranch_execz .LBB7_5
; %bb.4:
	v_div_scale_f64 v[22:23], null, v[20:21], v[20:21], v[18:19]
	v_div_scale_f64 v[28:29], vcc_lo, v[18:19], v[20:21], v[18:19]
	v_rcp_f64_e32 v[24:25], v[22:23]
	v_fma_f64 v[26:27], -v[22:23], v[24:25], 1.0
	v_fma_f64 v[24:25], v[24:25], v[26:27], v[24:25]
	v_fma_f64 v[26:27], -v[22:23], v[24:25], 1.0
	v_fma_f64 v[24:25], v[24:25], v[26:27], v[24:25]
	v_mul_f64 v[26:27], v[28:29], v[24:25]
	v_fma_f64 v[22:23], -v[22:23], v[26:27], v[28:29]
	v_div_fmas_f64 v[22:23], v[22:23], v[24:25], v[26:27]
	v_div_fixup_f64 v[22:23], v[22:23], v[20:21], v[18:19]
	v_fma_f64 v[18:19], v[18:19], v[22:23], v[20:21]
	v_div_scale_f64 v[20:21], null, v[18:19], v[18:19], 1.0
	v_rcp_f64_e32 v[24:25], v[20:21]
	v_fma_f64 v[26:27], -v[20:21], v[24:25], 1.0
	v_fma_f64 v[24:25], v[24:25], v[26:27], v[24:25]
	v_fma_f64 v[26:27], -v[20:21], v[24:25], 1.0
	v_fma_f64 v[24:25], v[24:25], v[26:27], v[24:25]
	v_div_scale_f64 v[26:27], vcc_lo, 1.0, v[18:19], 1.0
	v_mul_f64 v[28:29], v[26:27], v[24:25]
	v_fma_f64 v[20:21], -v[20:21], v[28:29], v[26:27]
	v_div_fmas_f64 v[20:21], v[20:21], v[24:25], v[28:29]
	v_div_fixup_f64 v[24:25], v[20:21], v[18:19], 1.0
                                        ; implicit-def: $vgpr18_vgpr19
	v_mul_f64 v[22:23], v[22:23], v[24:25]
	v_xor_b32_e32 v25, 0x80000000, v25
.LBB7_5:
	s_andn2_saveexec_b32 s2, s2
	s_cbranch_execz .LBB7_7
; %bb.6:
	v_div_scale_f64 v[22:23], null, v[18:19], v[18:19], v[20:21]
	v_div_scale_f64 v[28:29], vcc_lo, v[20:21], v[18:19], v[20:21]
	v_rcp_f64_e32 v[24:25], v[22:23]
	v_fma_f64 v[26:27], -v[22:23], v[24:25], 1.0
	v_fma_f64 v[24:25], v[24:25], v[26:27], v[24:25]
	v_fma_f64 v[26:27], -v[22:23], v[24:25], 1.0
	v_fma_f64 v[24:25], v[24:25], v[26:27], v[24:25]
	v_mul_f64 v[26:27], v[28:29], v[24:25]
	v_fma_f64 v[22:23], -v[22:23], v[26:27], v[28:29]
	v_div_fmas_f64 v[22:23], v[22:23], v[24:25], v[26:27]
	v_div_fixup_f64 v[24:25], v[22:23], v[18:19], v[20:21]
	v_fma_f64 v[18:19], v[20:21], v[24:25], v[18:19]
	v_div_scale_f64 v[20:21], null, v[18:19], v[18:19], 1.0
	v_rcp_f64_e32 v[22:23], v[20:21]
	v_fma_f64 v[26:27], -v[20:21], v[22:23], 1.0
	v_fma_f64 v[22:23], v[22:23], v[26:27], v[22:23]
	v_fma_f64 v[26:27], -v[20:21], v[22:23], 1.0
	v_fma_f64 v[22:23], v[22:23], v[26:27], v[22:23]
	v_div_scale_f64 v[26:27], vcc_lo, 1.0, v[18:19], 1.0
	v_mul_f64 v[28:29], v[26:27], v[22:23]
	v_fma_f64 v[20:21], -v[20:21], v[28:29], v[26:27]
	v_div_fmas_f64 v[20:21], v[20:21], v[22:23], v[28:29]
	v_div_fixup_f64 v[22:23], v[20:21], v[18:19], 1.0
	v_mul_f64 v[24:25], v[24:25], -v[22:23]
.LBB7_7:
	s_or_b32 exec_lo, exec_lo, s2
	ds_write2_b64 v1, v[22:23], v[24:25] offset1:1
.LBB7_8:
	s_or_b32 exec_lo, exec_lo, s3
	s_waitcnt vmcnt(0) lgkmcnt(0)
	s_barrier
	buffer_gl0_inv
	ds_read2_b64 v[18:21], v1 offset1:1
	s_and_saveexec_b32 s2, s1
	s_cbranch_execz .LBB7_10
; %bb.9:
	s_waitcnt lgkmcnt(0)
	v_mul_f64 v[22:23], v[18:19], v[16:17]
	v_mul_f64 v[16:17], v[20:21], v[16:17]
	v_fma_f64 v[45:46], v[20:21], v[14:15], v[22:23]
	ds_read2_b64 v[22:25], v44 offset0:2 offset1:3
	ds_read2_b64 v[26:29], v44 offset0:4 offset1:5
	;; [unrolled: 1-line block ×3, first 2 shown]
	v_fma_f64 v[14:15], v[18:19], v[14:15], -v[16:17]
	s_waitcnt lgkmcnt(2)
	v_mul_f64 v[16:17], v[24:25], v[45:46]
	v_mul_f64 v[47:48], v[22:23], v[45:46]
	s_waitcnt lgkmcnt(1)
	v_mul_f64 v[49:50], v[28:29], v[45:46]
	v_mul_f64 v[51:52], v[26:27], v[45:46]
	;; [unrolled: 3-line block ×3, first 2 shown]
	v_fma_f64 v[16:17], v[22:23], v[14:15], -v[16:17]
	v_fma_f64 v[22:23], v[24:25], v[14:15], v[47:48]
	v_fma_f64 v[24:25], v[26:27], v[14:15], -v[49:50]
	v_fma_f64 v[26:27], v[28:29], v[14:15], v[51:52]
	;; [unrolled: 2-line block ×3, first 2 shown]
	v_add_f64 v[10:11], v[10:11], -v[16:17]
	v_add_f64 v[12:13], v[12:13], -v[22:23]
	;; [unrolled: 1-line block ×6, first 2 shown]
	v_mov_b32_e32 v16, v45
	v_mov_b32_e32 v17, v46
.LBB7_10:
	s_or_b32 exec_lo, exec_lo, s2
	s_mov_b32 s2, exec_lo
	s_waitcnt lgkmcnt(0)
	s_barrier
	buffer_gl0_inv
	v_cmpx_eq_u32_e32 1, v0
	s_cbranch_execz .LBB7_17
; %bb.11:
	ds_write2_b64 v1, v[10:11], v[12:13] offset1:1
	ds_write2_b64 v44, v[6:7], v[8:9] offset0:4 offset1:5
	ds_write2_b64 v44, v[2:3], v[4:5] offset0:6 offset1:7
	ds_read2_b64 v[22:25], v1 offset1:1
	s_waitcnt lgkmcnt(0)
	v_cmp_neq_f64_e32 vcc_lo, 0, v[22:23]
	v_cmp_neq_f64_e64 s1, 0, v[24:25]
	s_or_b32 s1, vcc_lo, s1
	s_and_b32 exec_lo, exec_lo, s1
	s_cbranch_execz .LBB7_17
; %bb.12:
	v_cmp_ngt_f64_e64 s1, |v[22:23]|, |v[24:25]|
                                        ; implicit-def: $vgpr26_vgpr27
	s_and_saveexec_b32 s3, s1
	s_xor_b32 s1, exec_lo, s3
                                        ; implicit-def: $vgpr28_vgpr29
	s_cbranch_execz .LBB7_14
; %bb.13:
	v_div_scale_f64 v[26:27], null, v[24:25], v[24:25], v[22:23]
	v_div_scale_f64 v[32:33], vcc_lo, v[22:23], v[24:25], v[22:23]
	v_rcp_f64_e32 v[28:29], v[26:27]
	v_fma_f64 v[30:31], -v[26:27], v[28:29], 1.0
	v_fma_f64 v[28:29], v[28:29], v[30:31], v[28:29]
	v_fma_f64 v[30:31], -v[26:27], v[28:29], 1.0
	v_fma_f64 v[28:29], v[28:29], v[30:31], v[28:29]
	v_mul_f64 v[30:31], v[32:33], v[28:29]
	v_fma_f64 v[26:27], -v[26:27], v[30:31], v[32:33]
	v_div_fmas_f64 v[26:27], v[26:27], v[28:29], v[30:31]
	v_div_fixup_f64 v[26:27], v[26:27], v[24:25], v[22:23]
	v_fma_f64 v[22:23], v[22:23], v[26:27], v[24:25]
	v_div_scale_f64 v[24:25], null, v[22:23], v[22:23], 1.0
	v_rcp_f64_e32 v[28:29], v[24:25]
	v_fma_f64 v[30:31], -v[24:25], v[28:29], 1.0
	v_fma_f64 v[28:29], v[28:29], v[30:31], v[28:29]
	v_fma_f64 v[30:31], -v[24:25], v[28:29], 1.0
	v_fma_f64 v[28:29], v[28:29], v[30:31], v[28:29]
	v_div_scale_f64 v[30:31], vcc_lo, 1.0, v[22:23], 1.0
	v_mul_f64 v[32:33], v[30:31], v[28:29]
	v_fma_f64 v[24:25], -v[24:25], v[32:33], v[30:31]
	v_div_fmas_f64 v[24:25], v[24:25], v[28:29], v[32:33]
	v_div_fixup_f64 v[28:29], v[24:25], v[22:23], 1.0
                                        ; implicit-def: $vgpr22_vgpr23
	v_mul_f64 v[26:27], v[26:27], v[28:29]
	v_xor_b32_e32 v29, 0x80000000, v29
.LBB7_14:
	s_andn2_saveexec_b32 s1, s1
	s_cbranch_execz .LBB7_16
; %bb.15:
	v_div_scale_f64 v[26:27], null, v[22:23], v[22:23], v[24:25]
	v_div_scale_f64 v[32:33], vcc_lo, v[24:25], v[22:23], v[24:25]
	v_rcp_f64_e32 v[28:29], v[26:27]
	v_fma_f64 v[30:31], -v[26:27], v[28:29], 1.0
	v_fma_f64 v[28:29], v[28:29], v[30:31], v[28:29]
	v_fma_f64 v[30:31], -v[26:27], v[28:29], 1.0
	v_fma_f64 v[28:29], v[28:29], v[30:31], v[28:29]
	v_mul_f64 v[30:31], v[32:33], v[28:29]
	v_fma_f64 v[26:27], -v[26:27], v[30:31], v[32:33]
	v_div_fmas_f64 v[26:27], v[26:27], v[28:29], v[30:31]
	v_div_fixup_f64 v[28:29], v[26:27], v[22:23], v[24:25]
	v_fma_f64 v[22:23], v[24:25], v[28:29], v[22:23]
	v_div_scale_f64 v[24:25], null, v[22:23], v[22:23], 1.0
	v_rcp_f64_e32 v[26:27], v[24:25]
	v_fma_f64 v[30:31], -v[24:25], v[26:27], 1.0
	v_fma_f64 v[26:27], v[26:27], v[30:31], v[26:27]
	v_fma_f64 v[30:31], -v[24:25], v[26:27], 1.0
	v_fma_f64 v[26:27], v[26:27], v[30:31], v[26:27]
	v_div_scale_f64 v[30:31], vcc_lo, 1.0, v[22:23], 1.0
	v_mul_f64 v[32:33], v[30:31], v[26:27]
	v_fma_f64 v[24:25], -v[24:25], v[32:33], v[30:31]
	v_div_fmas_f64 v[24:25], v[24:25], v[26:27], v[32:33]
	v_div_fixup_f64 v[26:27], v[24:25], v[22:23], 1.0
	v_mul_f64 v[28:29], v[28:29], -v[26:27]
.LBB7_16:
	s_or_b32 exec_lo, exec_lo, s1
	ds_write2_b64 v1, v[26:27], v[28:29] offset1:1
.LBB7_17:
	s_or_b32 exec_lo, exec_lo, s2
	s_waitcnt lgkmcnt(0)
	s_barrier
	buffer_gl0_inv
	ds_read2_b64 v[22:25], v1 offset1:1
	s_mov_b32 s1, exec_lo
	v_cmpx_lt_u32_e32 1, v0
	s_cbranch_execz .LBB7_19
; %bb.18:
	s_waitcnt lgkmcnt(0)
	v_mul_f64 v[26:27], v[22:23], v[12:13]
	v_mul_f64 v[12:13], v[24:25], v[12:13]
	v_fma_f64 v[45:46], v[24:25], v[10:11], v[26:27]
	ds_read2_b64 v[26:29], v44 offset0:4 offset1:5
	ds_read2_b64 v[30:33], v44 offset0:6 offset1:7
	v_fma_f64 v[10:11], v[22:23], v[10:11], -v[12:13]
	s_waitcnt lgkmcnt(1)
	v_mul_f64 v[12:13], v[28:29], v[45:46]
	v_mul_f64 v[47:48], v[26:27], v[45:46]
	s_waitcnt lgkmcnt(0)
	v_mul_f64 v[49:50], v[32:33], v[45:46]
	v_mul_f64 v[51:52], v[30:31], v[45:46]
	v_fma_f64 v[12:13], v[26:27], v[10:11], -v[12:13]
	v_fma_f64 v[26:27], v[28:29], v[10:11], v[47:48]
	v_fma_f64 v[28:29], v[30:31], v[10:11], -v[49:50]
	v_fma_f64 v[30:31], v[32:33], v[10:11], v[51:52]
	v_add_f64 v[6:7], v[6:7], -v[12:13]
	v_add_f64 v[8:9], v[8:9], -v[26:27]
	;; [unrolled: 1-line block ×4, first 2 shown]
	v_mov_b32_e32 v12, v45
	v_mov_b32_e32 v13, v46
.LBB7_19:
	s_or_b32 exec_lo, exec_lo, s1
	s_mov_b32 s2, exec_lo
	s_waitcnt lgkmcnt(0)
	s_barrier
	buffer_gl0_inv
	v_cmpx_eq_u32_e32 2, v0
	s_cbranch_execz .LBB7_26
; %bb.20:
	ds_write2_b64 v1, v[6:7], v[8:9] offset1:1
	ds_write2_b64 v44, v[2:3], v[4:5] offset0:6 offset1:7
	ds_read2_b64 v[26:29], v1 offset1:1
	s_waitcnt lgkmcnt(0)
	v_cmp_neq_f64_e32 vcc_lo, 0, v[26:27]
	v_cmp_neq_f64_e64 s1, 0, v[28:29]
	s_or_b32 s1, vcc_lo, s1
	s_and_b32 exec_lo, exec_lo, s1
	s_cbranch_execz .LBB7_26
; %bb.21:
	v_cmp_ngt_f64_e64 s1, |v[26:27]|, |v[28:29]|
                                        ; implicit-def: $vgpr30_vgpr31
	s_and_saveexec_b32 s3, s1
	s_xor_b32 s1, exec_lo, s3
                                        ; implicit-def: $vgpr32_vgpr33
	s_cbranch_execz .LBB7_23
; %bb.22:
	v_div_scale_f64 v[30:31], null, v[28:29], v[28:29], v[26:27]
	v_div_scale_f64 v[47:48], vcc_lo, v[26:27], v[28:29], v[26:27]
	v_rcp_f64_e32 v[32:33], v[30:31]
	v_fma_f64 v[45:46], -v[30:31], v[32:33], 1.0
	v_fma_f64 v[32:33], v[32:33], v[45:46], v[32:33]
	v_fma_f64 v[45:46], -v[30:31], v[32:33], 1.0
	v_fma_f64 v[32:33], v[32:33], v[45:46], v[32:33]
	v_mul_f64 v[45:46], v[47:48], v[32:33]
	v_fma_f64 v[30:31], -v[30:31], v[45:46], v[47:48]
	v_div_fmas_f64 v[30:31], v[30:31], v[32:33], v[45:46]
	v_div_fixup_f64 v[30:31], v[30:31], v[28:29], v[26:27]
	v_fma_f64 v[26:27], v[26:27], v[30:31], v[28:29]
	v_div_scale_f64 v[28:29], null, v[26:27], v[26:27], 1.0
	v_rcp_f64_e32 v[32:33], v[28:29]
	v_fma_f64 v[45:46], -v[28:29], v[32:33], 1.0
	v_fma_f64 v[32:33], v[32:33], v[45:46], v[32:33]
	v_fma_f64 v[45:46], -v[28:29], v[32:33], 1.0
	v_fma_f64 v[32:33], v[32:33], v[45:46], v[32:33]
	v_div_scale_f64 v[45:46], vcc_lo, 1.0, v[26:27], 1.0
	v_mul_f64 v[47:48], v[45:46], v[32:33]
	v_fma_f64 v[28:29], -v[28:29], v[47:48], v[45:46]
	v_div_fmas_f64 v[28:29], v[28:29], v[32:33], v[47:48]
	v_div_fixup_f64 v[32:33], v[28:29], v[26:27], 1.0
                                        ; implicit-def: $vgpr26_vgpr27
	v_mul_f64 v[30:31], v[30:31], v[32:33]
	v_xor_b32_e32 v33, 0x80000000, v33
.LBB7_23:
	s_andn2_saveexec_b32 s1, s1
	s_cbranch_execz .LBB7_25
; %bb.24:
	v_div_scale_f64 v[30:31], null, v[26:27], v[26:27], v[28:29]
	v_div_scale_f64 v[47:48], vcc_lo, v[28:29], v[26:27], v[28:29]
	v_rcp_f64_e32 v[32:33], v[30:31]
	v_fma_f64 v[45:46], -v[30:31], v[32:33], 1.0
	v_fma_f64 v[32:33], v[32:33], v[45:46], v[32:33]
	v_fma_f64 v[45:46], -v[30:31], v[32:33], 1.0
	v_fma_f64 v[32:33], v[32:33], v[45:46], v[32:33]
	v_mul_f64 v[45:46], v[47:48], v[32:33]
	v_fma_f64 v[30:31], -v[30:31], v[45:46], v[47:48]
	v_div_fmas_f64 v[30:31], v[30:31], v[32:33], v[45:46]
	v_div_fixup_f64 v[32:33], v[30:31], v[26:27], v[28:29]
	v_fma_f64 v[26:27], v[28:29], v[32:33], v[26:27]
	v_div_scale_f64 v[28:29], null, v[26:27], v[26:27], 1.0
	v_rcp_f64_e32 v[30:31], v[28:29]
	v_fma_f64 v[45:46], -v[28:29], v[30:31], 1.0
	v_fma_f64 v[30:31], v[30:31], v[45:46], v[30:31]
	v_fma_f64 v[45:46], -v[28:29], v[30:31], 1.0
	v_fma_f64 v[30:31], v[30:31], v[45:46], v[30:31]
	v_div_scale_f64 v[45:46], vcc_lo, 1.0, v[26:27], 1.0
	v_mul_f64 v[47:48], v[45:46], v[30:31]
	v_fma_f64 v[28:29], -v[28:29], v[47:48], v[45:46]
	v_div_fmas_f64 v[28:29], v[28:29], v[30:31], v[47:48]
	v_div_fixup_f64 v[30:31], v[28:29], v[26:27], 1.0
	v_mul_f64 v[32:33], v[32:33], -v[30:31]
.LBB7_25:
	s_or_b32 exec_lo, exec_lo, s1
	ds_write2_b64 v1, v[30:31], v[32:33] offset1:1
.LBB7_26:
	s_or_b32 exec_lo, exec_lo, s2
	s_waitcnt lgkmcnt(0)
	s_barrier
	buffer_gl0_inv
	ds_read2_b64 v[26:29], v1 offset1:1
	s_mov_b32 s1, exec_lo
	v_cmpx_lt_u32_e32 2, v0
	s_cbranch_execz .LBB7_28
; %bb.27:
	s_waitcnt lgkmcnt(0)
	v_mul_f64 v[30:31], v[26:27], v[8:9]
	v_mul_f64 v[8:9], v[28:29], v[8:9]
	v_fma_f64 v[45:46], v[28:29], v[6:7], v[30:31]
	ds_read2_b64 v[30:33], v44 offset0:6 offset1:7
	v_fma_f64 v[6:7], v[26:27], v[6:7], -v[8:9]
	s_waitcnt lgkmcnt(0)
	v_mul_f64 v[8:9], v[32:33], v[45:46]
	v_mul_f64 v[47:48], v[30:31], v[45:46]
	v_fma_f64 v[8:9], v[30:31], v[6:7], -v[8:9]
	v_fma_f64 v[30:31], v[32:33], v[6:7], v[47:48]
	v_add_f64 v[2:3], v[2:3], -v[8:9]
	v_add_f64 v[4:5], v[4:5], -v[30:31]
	v_mov_b32_e32 v8, v45
	v_mov_b32_e32 v9, v46
.LBB7_28:
	s_or_b32 exec_lo, exec_lo, s1
	s_mov_b32 s2, exec_lo
	s_waitcnt lgkmcnt(0)
	s_barrier
	buffer_gl0_inv
	v_cmpx_eq_u32_e32 3, v0
	s_cbranch_execz .LBB7_35
; %bb.29:
	v_cmp_neq_f64_e32 vcc_lo, 0, v[2:3]
	v_cmp_neq_f64_e64 s1, 0, v[4:5]
	ds_write2_b64 v1, v[2:3], v[4:5] offset1:1
	s_or_b32 s1, vcc_lo, s1
	s_and_b32 exec_lo, exec_lo, s1
	s_cbranch_execz .LBB7_35
; %bb.30:
	v_cmp_ngt_f64_e64 s1, |v[2:3]|, |v[4:5]|
                                        ; implicit-def: $vgpr30_vgpr31
	s_and_saveexec_b32 s3, s1
	s_xor_b32 s1, exec_lo, s3
                                        ; implicit-def: $vgpr32_vgpr33
	s_cbranch_execz .LBB7_32
; %bb.31:
	v_div_scale_f64 v[30:31], null, v[4:5], v[4:5], v[2:3]
	v_div_scale_f64 v[46:47], vcc_lo, v[2:3], v[4:5], v[2:3]
	v_rcp_f64_e32 v[32:33], v[30:31]
	v_fma_f64 v[44:45], -v[30:31], v[32:33], 1.0
	v_fma_f64 v[32:33], v[32:33], v[44:45], v[32:33]
	v_fma_f64 v[44:45], -v[30:31], v[32:33], 1.0
	v_fma_f64 v[32:33], v[32:33], v[44:45], v[32:33]
	v_mul_f64 v[44:45], v[46:47], v[32:33]
	v_fma_f64 v[30:31], -v[30:31], v[44:45], v[46:47]
	v_div_fmas_f64 v[30:31], v[30:31], v[32:33], v[44:45]
	v_div_fixup_f64 v[30:31], v[30:31], v[4:5], v[2:3]
	v_fma_f64 v[32:33], v[2:3], v[30:31], v[4:5]
	v_div_scale_f64 v[44:45], null, v[32:33], v[32:33], 1.0
	v_rcp_f64_e32 v[46:47], v[44:45]
	v_fma_f64 v[48:49], -v[44:45], v[46:47], 1.0
	v_fma_f64 v[46:47], v[46:47], v[48:49], v[46:47]
	v_fma_f64 v[48:49], -v[44:45], v[46:47], 1.0
	v_fma_f64 v[46:47], v[46:47], v[48:49], v[46:47]
	v_div_scale_f64 v[48:49], vcc_lo, 1.0, v[32:33], 1.0
	v_mul_f64 v[50:51], v[48:49], v[46:47]
	v_fma_f64 v[44:45], -v[44:45], v[50:51], v[48:49]
	v_div_fmas_f64 v[44:45], v[44:45], v[46:47], v[50:51]
	v_div_fixup_f64 v[32:33], v[44:45], v[32:33], 1.0
	v_mul_f64 v[30:31], v[30:31], v[32:33]
	v_xor_b32_e32 v33, 0x80000000, v33
.LBB7_32:
	s_andn2_saveexec_b32 s1, s1
	s_cbranch_execz .LBB7_34
; %bb.33:
	v_div_scale_f64 v[30:31], null, v[2:3], v[2:3], v[4:5]
	v_div_scale_f64 v[46:47], vcc_lo, v[4:5], v[2:3], v[4:5]
	v_rcp_f64_e32 v[32:33], v[30:31]
	v_fma_f64 v[44:45], -v[30:31], v[32:33], 1.0
	v_fma_f64 v[32:33], v[32:33], v[44:45], v[32:33]
	v_fma_f64 v[44:45], -v[30:31], v[32:33], 1.0
	v_fma_f64 v[32:33], v[32:33], v[44:45], v[32:33]
	v_mul_f64 v[44:45], v[46:47], v[32:33]
	v_fma_f64 v[30:31], -v[30:31], v[44:45], v[46:47]
	v_div_fmas_f64 v[30:31], v[30:31], v[32:33], v[44:45]
	v_div_fixup_f64 v[32:33], v[30:31], v[2:3], v[4:5]
	v_fma_f64 v[30:31], v[4:5], v[32:33], v[2:3]
	v_div_scale_f64 v[44:45], null, v[30:31], v[30:31], 1.0
	v_rcp_f64_e32 v[46:47], v[44:45]
	v_fma_f64 v[48:49], -v[44:45], v[46:47], 1.0
	v_fma_f64 v[46:47], v[46:47], v[48:49], v[46:47]
	v_fma_f64 v[48:49], -v[44:45], v[46:47], 1.0
	v_fma_f64 v[46:47], v[46:47], v[48:49], v[46:47]
	v_div_scale_f64 v[48:49], vcc_lo, 1.0, v[30:31], 1.0
	v_mul_f64 v[50:51], v[48:49], v[46:47]
	v_fma_f64 v[44:45], -v[44:45], v[50:51], v[48:49]
	v_div_fmas_f64 v[44:45], v[44:45], v[46:47], v[50:51]
	v_div_fixup_f64 v[30:31], v[44:45], v[30:31], 1.0
	v_mul_f64 v[32:33], v[32:33], -v[30:31]
.LBB7_34:
	s_or_b32 exec_lo, exec_lo, s1
	ds_write2_b64 v1, v[30:31], v[32:33] offset1:1
.LBB7_35:
	s_or_b32 exec_lo, exec_lo, s2
	s_waitcnt lgkmcnt(0)
	s_barrier
	buffer_gl0_inv
	ds_read2_b64 v[30:33], v1 offset1:1
	s_mov_b32 s1, exec_lo
	v_cmpx_lt_u32_e32 3, v0
	s_cbranch_execz .LBB7_37
; %bb.36:
	s_waitcnt lgkmcnt(0)
	v_mul_f64 v[0:1], v[32:33], v[4:5]
	v_mul_f64 v[4:5], v[30:31], v[4:5]
	v_fma_f64 v[0:1], v[30:31], v[2:3], -v[0:1]
	v_fma_f64 v[4:5], v[32:33], v[2:3], v[4:5]
	v_mov_b32_e32 v3, v1
	v_mov_b32_e32 v2, v0
.LBB7_37:
	s_or_b32 exec_lo, exec_lo, s1
	s_waitcnt lgkmcnt(0)
	s_barrier
	buffer_gl0_inv
	s_and_saveexec_b32 s6, s0
	s_cbranch_execz .LBB7_40
; %bb.38:
	v_lshlrev_b64 v[0:1], 2, v[34:35]
	v_cmp_eq_f64_e64 s0, 0, v[20:21]
	v_cmp_neq_f64_e64 s1, 0, v[22:23]
	v_cmp_neq_f64_e64 s2, 0, v[24:25]
	v_cmp_eq_f64_e64 s3, 0, v[26:27]
	v_cmp_eq_f64_e64 s4, 0, v[28:29]
	v_add_co_u32 v0, vcc_lo, s10, v0
	v_add_co_ci_u32_e64 v1, null, s11, v1, vcc_lo
	v_cmp_eq_f64_e32 vcc_lo, 0, v[18:19]
	v_cmp_eq_f64_e64 s5, 0, v[30:31]
	global_load_dword v34, v[0:1], off
	s_or_b32 s1, s1, s2
	s_and_b32 s0, vcc_lo, s0
	v_cmp_eq_f64_e32 vcc_lo, 0, v[32:33]
	v_cndmask_b32_e64 v18, 0, 1, s0
	s_or_b32 s0, s1, s0
	s_and_b32 s1, s3, s4
	v_cndmask_b32_e64 v18, 2, v18, s0
	v_cmp_eq_u32_e64 s0, 0, v18
	s_and_b32 s0, s1, s0
	v_cndmask_b32_e64 v18, v18, 3, s0
	s_and_b32 s1, s5, vcc_lo
	v_cmp_eq_u32_e64 s0, 0, v18
	s_and_b32 s0, s1, s0
	v_cndmask_b32_e64 v18, v18, 4, s0
	v_cmp_ne_u32_e64 s0, 0, v18
	s_waitcnt vmcnt(0)
	v_cmp_eq_u32_e32 vcc_lo, 0, v34
	s_and_b32 s0, vcc_lo, s0
	s_and_b32 exec_lo, exec_lo, s0
	s_cbranch_execz .LBB7_40
; %bb.39:
	v_add_nc_u32_e32 v18, s13, v18
	global_store_dword v[0:1], v18, off
.LBB7_40:
	s_or_b32 exec_lo, exec_lo, s6
	global_store_dwordx4 v[42:43], v[14:17], off
	global_store_dwordx4 v[40:41], v[10:13], off
	;; [unrolled: 1-line block ×4, first 2 shown]
.LBB7_41:
	s_endpgm
	.section	.rodata,"a",@progbits
	.p2align	6, 0x0
	.amdhsa_kernel _ZN9rocsolver6v33100L23getf2_npvt_small_kernelILi4E19rocblas_complex_numIdEiiPS3_EEvT1_T3_lS5_lPT2_S5_S5_
		.amdhsa_group_segment_fixed_size 0
		.amdhsa_private_segment_fixed_size 0
		.amdhsa_kernarg_size 312
		.amdhsa_user_sgpr_count 6
		.amdhsa_user_sgpr_private_segment_buffer 1
		.amdhsa_user_sgpr_dispatch_ptr 0
		.amdhsa_user_sgpr_queue_ptr 0
		.amdhsa_user_sgpr_kernarg_segment_ptr 1
		.amdhsa_user_sgpr_dispatch_id 0
		.amdhsa_user_sgpr_flat_scratch_init 0
		.amdhsa_user_sgpr_private_segment_size 0
		.amdhsa_wavefront_size32 1
		.amdhsa_uses_dynamic_stack 0
		.amdhsa_system_sgpr_private_segment_wavefront_offset 0
		.amdhsa_system_sgpr_workgroup_id_x 1
		.amdhsa_system_sgpr_workgroup_id_y 1
		.amdhsa_system_sgpr_workgroup_id_z 0
		.amdhsa_system_sgpr_workgroup_info 0
		.amdhsa_system_vgpr_workitem_id 1
		.amdhsa_next_free_vgpr 57
		.amdhsa_next_free_sgpr 16
		.amdhsa_reserve_vcc 1
		.amdhsa_reserve_flat_scratch 0
		.amdhsa_float_round_mode_32 0
		.amdhsa_float_round_mode_16_64 0
		.amdhsa_float_denorm_mode_32 3
		.amdhsa_float_denorm_mode_16_64 3
		.amdhsa_dx10_clamp 1
		.amdhsa_ieee_mode 1
		.amdhsa_fp16_overflow 0
		.amdhsa_workgroup_processor_mode 1
		.amdhsa_memory_ordered 1
		.amdhsa_forward_progress 1
		.amdhsa_shared_vgpr_count 0
		.amdhsa_exception_fp_ieee_invalid_op 0
		.amdhsa_exception_fp_denorm_src 0
		.amdhsa_exception_fp_ieee_div_zero 0
		.amdhsa_exception_fp_ieee_overflow 0
		.amdhsa_exception_fp_ieee_underflow 0
		.amdhsa_exception_fp_ieee_inexact 0
		.amdhsa_exception_int_div_zero 0
	.end_amdhsa_kernel
	.section	.text._ZN9rocsolver6v33100L23getf2_npvt_small_kernelILi4E19rocblas_complex_numIdEiiPS3_EEvT1_T3_lS5_lPT2_S5_S5_,"axG",@progbits,_ZN9rocsolver6v33100L23getf2_npvt_small_kernelILi4E19rocblas_complex_numIdEiiPS3_EEvT1_T3_lS5_lPT2_S5_S5_,comdat
.Lfunc_end7:
	.size	_ZN9rocsolver6v33100L23getf2_npvt_small_kernelILi4E19rocblas_complex_numIdEiiPS3_EEvT1_T3_lS5_lPT2_S5_S5_, .Lfunc_end7-_ZN9rocsolver6v33100L23getf2_npvt_small_kernelILi4E19rocblas_complex_numIdEiiPS3_EEvT1_T3_lS5_lPT2_S5_S5_
                                        ; -- End function
	.set _ZN9rocsolver6v33100L23getf2_npvt_small_kernelILi4E19rocblas_complex_numIdEiiPS3_EEvT1_T3_lS5_lPT2_S5_S5_.num_vgpr, 57
	.set _ZN9rocsolver6v33100L23getf2_npvt_small_kernelILi4E19rocblas_complex_numIdEiiPS3_EEvT1_T3_lS5_lPT2_S5_S5_.num_agpr, 0
	.set _ZN9rocsolver6v33100L23getf2_npvt_small_kernelILi4E19rocblas_complex_numIdEiiPS3_EEvT1_T3_lS5_lPT2_S5_S5_.numbered_sgpr, 16
	.set _ZN9rocsolver6v33100L23getf2_npvt_small_kernelILi4E19rocblas_complex_numIdEiiPS3_EEvT1_T3_lS5_lPT2_S5_S5_.num_named_barrier, 0
	.set _ZN9rocsolver6v33100L23getf2_npvt_small_kernelILi4E19rocblas_complex_numIdEiiPS3_EEvT1_T3_lS5_lPT2_S5_S5_.private_seg_size, 0
	.set _ZN9rocsolver6v33100L23getf2_npvt_small_kernelILi4E19rocblas_complex_numIdEiiPS3_EEvT1_T3_lS5_lPT2_S5_S5_.uses_vcc, 1
	.set _ZN9rocsolver6v33100L23getf2_npvt_small_kernelILi4E19rocblas_complex_numIdEiiPS3_EEvT1_T3_lS5_lPT2_S5_S5_.uses_flat_scratch, 0
	.set _ZN9rocsolver6v33100L23getf2_npvt_small_kernelILi4E19rocblas_complex_numIdEiiPS3_EEvT1_T3_lS5_lPT2_S5_S5_.has_dyn_sized_stack, 0
	.set _ZN9rocsolver6v33100L23getf2_npvt_small_kernelILi4E19rocblas_complex_numIdEiiPS3_EEvT1_T3_lS5_lPT2_S5_S5_.has_recursion, 0
	.set _ZN9rocsolver6v33100L23getf2_npvt_small_kernelILi4E19rocblas_complex_numIdEiiPS3_EEvT1_T3_lS5_lPT2_S5_S5_.has_indirect_call, 0
	.section	.AMDGPU.csdata,"",@progbits
; Kernel info:
; codeLenInByte = 3312
; TotalNumSgprs: 18
; NumVgprs: 57
; ScratchSize: 0
; MemoryBound: 0
; FloatMode: 240
; IeeeMode: 1
; LDSByteSize: 0 bytes/workgroup (compile time only)
; SGPRBlocks: 0
; VGPRBlocks: 7
; NumSGPRsForWavesPerEU: 18
; NumVGPRsForWavesPerEU: 57
; Occupancy: 16
; WaveLimiterHint : 0
; COMPUTE_PGM_RSRC2:SCRATCH_EN: 0
; COMPUTE_PGM_RSRC2:USER_SGPR: 6
; COMPUTE_PGM_RSRC2:TRAP_HANDLER: 0
; COMPUTE_PGM_RSRC2:TGID_X_EN: 1
; COMPUTE_PGM_RSRC2:TGID_Y_EN: 1
; COMPUTE_PGM_RSRC2:TGID_Z_EN: 0
; COMPUTE_PGM_RSRC2:TIDIG_COMP_CNT: 1
	.section	.text._ZN9rocsolver6v33100L18getf2_small_kernelILi5E19rocblas_complex_numIdEiiPS3_EEvT1_T3_lS5_lPS5_llPT2_S5_S5_S7_l,"axG",@progbits,_ZN9rocsolver6v33100L18getf2_small_kernelILi5E19rocblas_complex_numIdEiiPS3_EEvT1_T3_lS5_lPS5_llPT2_S5_S5_S7_l,comdat
	.globl	_ZN9rocsolver6v33100L18getf2_small_kernelILi5E19rocblas_complex_numIdEiiPS3_EEvT1_T3_lS5_lPS5_llPT2_S5_S5_S7_l ; -- Begin function _ZN9rocsolver6v33100L18getf2_small_kernelILi5E19rocblas_complex_numIdEiiPS3_EEvT1_T3_lS5_lPS5_llPT2_S5_S5_S7_l
	.p2align	8
	.type	_ZN9rocsolver6v33100L18getf2_small_kernelILi5E19rocblas_complex_numIdEiiPS3_EEvT1_T3_lS5_lPS5_llPT2_S5_S5_S7_l,@function
_ZN9rocsolver6v33100L18getf2_small_kernelILi5E19rocblas_complex_numIdEiiPS3_EEvT1_T3_lS5_lPS5_llPT2_S5_S5_S7_l: ; @_ZN9rocsolver6v33100L18getf2_small_kernelILi5E19rocblas_complex_numIdEiiPS3_EEvT1_T3_lS5_lPS5_llPT2_S5_S5_S7_l
; %bb.0:
	s_clause 0x1
	s_load_dword s0, s[4:5], 0x6c
	s_load_dwordx2 s[16:17], s[4:5], 0x48
	s_waitcnt lgkmcnt(0)
	s_lshr_b32 s0, s0, 16
	v_mad_u64_u32 v[26:27], null, s7, s0, v[1:2]
	s_mov_b32 s0, exec_lo
	v_cmpx_gt_i32_e64 s16, v26
	s_cbranch_execz .LBB8_108
; %bb.1:
	s_load_dwordx4 s[0:3], s[4:5], 0x50
	v_mov_b32_e32 v28, 0
	v_ashrrev_i32_e32 v27, 31, v26
	v_mov_b32_e32 v29, 0
	s_waitcnt lgkmcnt(0)
	s_cmp_eq_u64 s[0:1], 0
	s_cselect_b32 s16, -1, 0
	s_and_b32 vcc_lo, exec_lo, s16
	s_cbranch_vccnz .LBB8_3
; %bb.2:
	v_mul_lo_u32 v4, s3, v26
	v_mul_lo_u32 v5, s2, v27
	v_mad_u64_u32 v[2:3], null, s2, v26, 0
	v_add3_u32 v3, v3, v5, v4
	v_lshlrev_b64 v[2:3], 2, v[2:3]
	v_add_co_u32 v28, vcc_lo, s0, v2
	v_add_co_ci_u32_e64 v29, null, s1, v3, vcc_lo
.LBB8_3:
	s_clause 0x2
	s_load_dwordx8 s[8:15], s[4:5], 0x20
	s_load_dword s2, s[4:5], 0x18
	s_load_dwordx4 s[20:23], s[4:5], 0x8
	v_lshlrev_b32_e32 v22, 4, v0
	v_mov_b32_e32 v30, 0
	s_waitcnt lgkmcnt(0)
	v_mul_lo_u32 v4, s9, v26
	v_mul_lo_u32 v5, s8, v27
	v_mad_u64_u32 v[2:3], null, s8, v26, 0
	s_lshl_b64 s[0:1], s[22:23], 4
	s_ashr_i32 s3, s2, 31
	s_lshl_b64 s[6:7], s[2:3], 4
	v_add3_u32 v3, v3, v5, v4
	v_add3_u32 v4, s2, s2, v0
	v_lshlrev_b64 v[2:3], 4, v[2:3]
	v_add_nc_u32_e32 v6, s2, v4
	v_ashrrev_i32_e32 v5, 31, v4
	v_add_nc_u32_e32 v8, s2, v6
	v_add_co_u32 v2, vcc_lo, s20, v2
	v_add_co_ci_u32_e64 v3, null, s21, v3, vcc_lo
	v_ashrrev_i32_e32 v7, 31, v6
	v_add_co_u32 v33, vcc_lo, v2, s0
	v_add_co_ci_u32_e64 v34, null, s1, v3, vcc_lo
	v_lshlrev_b64 v[12:13], 4, v[4:5]
	v_add_co_u32 v10, vcc_lo, v33, v22
	v_add_co_ci_u32_e64 v11, null, 0, v34, vcc_lo
	v_ashrrev_i32_e32 v9, 31, v8
	v_lshlrev_b64 v[6:7], 4, v[6:7]
	v_add_co_u32 v12, vcc_lo, v33, v12
	global_load_dwordx4 v[2:5], v[10:11], off
	v_lshlrev_b64 v[8:9], 4, v[8:9]
	v_add_co_ci_u32_e64 v13, null, v34, v13, vcc_lo
	v_add_co_u32 v6, vcc_lo, v33, v6
	v_add_co_ci_u32_e64 v7, null, v34, v7, vcc_lo
	v_add_co_u32 v8, vcc_lo, v33, v8
	;; [unrolled: 2-line block ×3, first 2 shown]
	v_add_co_ci_u32_e64 v19, null, s7, v11, vcc_lo
	s_clause 0x3
	global_load_dwordx4 v[14:17], v[12:13], off
	global_load_dwordx4 v[10:13], v[6:7], off
	;; [unrolled: 1-line block ×4, first 2 shown]
	s_clause 0x1
	s_load_dword s1, s[4:5], 0x0
	s_load_dwordx2 s[4:5], s[4:5], 0x40
	s_waitcnt lgkmcnt(0)
	s_max_i32 s0, s1, 5
	s_cmp_lt_i32 s1, 2
	v_mul_lo_u32 v31, s0, v1
	v_lshl_add_u32 v1, v31, 4, 0
	v_lshlrev_b32_e32 v32, 4, v31
	v_add_nc_u32_e32 v22, v1, v22
	s_waitcnt vmcnt(4)
	ds_write2_b64 v22, v[2:3], v[4:5] offset1:1
	s_waitcnt vmcnt(0) lgkmcnt(0)
	s_barrier
	buffer_gl0_inv
	ds_read2_b64 v[22:25], v1 offset1:1
	s_cbranch_scc1 .LBB8_6
; %bb.4:
	v_add3_u32 v31, v32, 0, 16
	v_mov_b32_e32 v30, 0
	s_mov_b32 s3, 1
	s_inst_prefetch 0x1
	.p2align	6
.LBB8_5:                                ; =>This Inner Loop Header: Depth=1
	s_waitcnt lgkmcnt(0)
	v_cmp_gt_f64_e32 vcc_lo, 0, v[24:25]
	v_cmp_gt_f64_e64 s0, 0, v[22:23]
	ds_read2_b64 v[35:38], v31 offset1:1
	v_xor_b32_e32 v40, 0x80000000, v23
	v_xor_b32_e32 v42, 0x80000000, v25
	v_mov_b32_e32 v39, v22
	v_mov_b32_e32 v41, v24
	v_add_nc_u32_e32 v31, 16, v31
	s_waitcnt lgkmcnt(0)
	v_xor_b32_e32 v44, 0x80000000, v38
	v_cndmask_b32_e64 v40, v23, v40, s0
	v_cndmask_b32_e32 v42, v25, v42, vcc_lo
	v_cmp_gt_f64_e32 vcc_lo, 0, v[37:38]
	v_cmp_gt_f64_e64 s0, 0, v[35:36]
	v_mov_b32_e32 v43, v37
	v_add_f64 v[39:40], v[39:40], v[41:42]
	v_xor_b32_e32 v42, 0x80000000, v36
	v_mov_b32_e32 v41, v35
	v_cndmask_b32_e32 v44, v38, v44, vcc_lo
	v_cndmask_b32_e64 v42, v36, v42, s0
	v_add_f64 v[41:42], v[41:42], v[43:44]
	v_cmp_lt_f64_e32 vcc_lo, v[39:40], v[41:42]
	v_cndmask_b32_e32 v23, v23, v36, vcc_lo
	v_cndmask_b32_e32 v22, v22, v35, vcc_lo
	;; [unrolled: 1-line block ×4, first 2 shown]
	v_cndmask_b32_e64 v30, v30, s3, vcc_lo
	s_add_i32 s3, s3, 1
	s_cmp_eq_u32 s1, s3
	s_cbranch_scc0 .LBB8_5
.LBB8_6:
	s_inst_prefetch 0x2
	s_waitcnt lgkmcnt(0)
	v_cmp_neq_f64_e32 vcc_lo, 0, v[22:23]
	v_cmp_neq_f64_e64 s0, 0, v[24:25]
	v_mov_b32_e32 v35, 1
	v_mov_b32_e32 v37, 1
	s_or_b32 s3, vcc_lo, s0
	s_and_saveexec_b32 s0, s3
	s_cbranch_execz .LBB8_12
; %bb.7:
	v_cmp_ngt_f64_e64 s3, |v[22:23]|, |v[24:25]|
	s_and_saveexec_b32 s8, s3
	s_xor_b32 s3, exec_lo, s8
	s_cbranch_execz .LBB8_9
; %bb.8:
	v_div_scale_f64 v[35:36], null, v[24:25], v[24:25], v[22:23]
	v_div_scale_f64 v[41:42], vcc_lo, v[22:23], v[24:25], v[22:23]
	v_rcp_f64_e32 v[37:38], v[35:36]
	v_fma_f64 v[39:40], -v[35:36], v[37:38], 1.0
	v_fma_f64 v[37:38], v[37:38], v[39:40], v[37:38]
	v_fma_f64 v[39:40], -v[35:36], v[37:38], 1.0
	v_fma_f64 v[37:38], v[37:38], v[39:40], v[37:38]
	v_mul_f64 v[39:40], v[41:42], v[37:38]
	v_fma_f64 v[35:36], -v[35:36], v[39:40], v[41:42]
	v_div_fmas_f64 v[35:36], v[35:36], v[37:38], v[39:40]
	v_div_fixup_f64 v[35:36], v[35:36], v[24:25], v[22:23]
	v_fma_f64 v[22:23], v[22:23], v[35:36], v[24:25]
	v_div_scale_f64 v[24:25], null, v[22:23], v[22:23], 1.0
	v_rcp_f64_e32 v[37:38], v[24:25]
	v_fma_f64 v[39:40], -v[24:25], v[37:38], 1.0
	v_fma_f64 v[37:38], v[37:38], v[39:40], v[37:38]
	v_fma_f64 v[39:40], -v[24:25], v[37:38], 1.0
	v_fma_f64 v[37:38], v[37:38], v[39:40], v[37:38]
	v_div_scale_f64 v[39:40], vcc_lo, 1.0, v[22:23], 1.0
	v_mul_f64 v[41:42], v[39:40], v[37:38]
	v_fma_f64 v[24:25], -v[24:25], v[41:42], v[39:40]
	v_div_fmas_f64 v[24:25], v[24:25], v[37:38], v[41:42]
	v_div_fixup_f64 v[24:25], v[24:25], v[22:23], 1.0
	v_mul_f64 v[22:23], v[35:36], v[24:25]
	v_xor_b32_e32 v25, 0x80000000, v25
.LBB8_9:
	s_andn2_saveexec_b32 s3, s3
	s_cbranch_execz .LBB8_11
; %bb.10:
	v_div_scale_f64 v[35:36], null, v[22:23], v[22:23], v[24:25]
	v_div_scale_f64 v[41:42], vcc_lo, v[24:25], v[22:23], v[24:25]
	v_rcp_f64_e32 v[37:38], v[35:36]
	v_fma_f64 v[39:40], -v[35:36], v[37:38], 1.0
	v_fma_f64 v[37:38], v[37:38], v[39:40], v[37:38]
	v_fma_f64 v[39:40], -v[35:36], v[37:38], 1.0
	v_fma_f64 v[37:38], v[37:38], v[39:40], v[37:38]
	v_mul_f64 v[39:40], v[41:42], v[37:38]
	v_fma_f64 v[35:36], -v[35:36], v[39:40], v[41:42]
	v_div_fmas_f64 v[35:36], v[35:36], v[37:38], v[39:40]
	v_div_fixup_f64 v[35:36], v[35:36], v[22:23], v[24:25]
	v_fma_f64 v[22:23], v[24:25], v[35:36], v[22:23]
	v_div_scale_f64 v[24:25], null, v[22:23], v[22:23], 1.0
	v_rcp_f64_e32 v[37:38], v[24:25]
	v_fma_f64 v[39:40], -v[24:25], v[37:38], 1.0
	v_fma_f64 v[37:38], v[37:38], v[39:40], v[37:38]
	v_fma_f64 v[39:40], -v[24:25], v[37:38], 1.0
	v_fma_f64 v[37:38], v[37:38], v[39:40], v[37:38]
	v_div_scale_f64 v[39:40], vcc_lo, 1.0, v[22:23], 1.0
	v_mul_f64 v[41:42], v[39:40], v[37:38]
	v_fma_f64 v[24:25], -v[24:25], v[41:42], v[39:40]
	v_div_fmas_f64 v[24:25], v[24:25], v[37:38], v[41:42]
	v_div_fixup_f64 v[22:23], v[24:25], v[22:23], 1.0
	v_mul_f64 v[24:25], v[35:36], -v[22:23]
.LBB8_11:
	s_or_b32 exec_lo, exec_lo, s3
	v_mov_b32_e32 v37, 0
	v_mov_b32_e32 v35, 2
.LBB8_12:
	s_or_b32 exec_lo, exec_lo, s0
	s_mov_b32 s0, exec_lo
	v_cmpx_ne_u32_e64 v0, v30
	s_xor_b32 s0, exec_lo, s0
	s_cbranch_execz .LBB8_18
; %bb.13:
	s_mov_b32 s3, exec_lo
	v_cmpx_eq_u32_e32 0, v0
	s_cbranch_execz .LBB8_17
; %bb.14:
	v_cmp_ne_u32_e32 vcc_lo, 0, v30
	s_xor_b32 s8, s16, -1
	s_and_b32 s9, s8, vcc_lo
	s_and_saveexec_b32 s8, s9
	s_cbranch_execz .LBB8_16
; %bb.15:
	v_ashrrev_i32_e32 v31, 31, v30
	v_lshlrev_b64 v[38:39], 2, v[30:31]
	v_add_co_u32 v38, vcc_lo, v28, v38
	v_add_co_ci_u32_e64 v39, null, v29, v39, vcc_lo
	s_clause 0x1
	global_load_dword v0, v[38:39], off
	global_load_dword v31, v[28:29], off
	s_waitcnt vmcnt(1)
	global_store_dword v[28:29], v0, off
	s_waitcnt vmcnt(0)
	global_store_dword v[38:39], v31, off
.LBB8_16:
	s_or_b32 exec_lo, exec_lo, s8
	v_mov_b32_e32 v0, v30
.LBB8_17:
	s_or_b32 exec_lo, exec_lo, s3
.LBB8_18:
	s_or_saveexec_b32 s0, s0
	v_mov_b32_e32 v36, v0
	s_xor_b32 exec_lo, exec_lo, s0
	s_cbranch_execz .LBB8_20
; %bb.19:
	v_mov_b32_e32 v36, 0
	ds_write2_b64 v1, v[18:19], v[20:21] offset0:2 offset1:3
	ds_write2_b64 v1, v[14:15], v[16:17] offset0:4 offset1:5
	;; [unrolled: 1-line block ×4, first 2 shown]
.LBB8_20:
	s_or_b32 exec_lo, exec_lo, s0
	s_mov_b32 s0, exec_lo
	s_waitcnt lgkmcnt(0)
	s_waitcnt_vscnt null, 0x0
	s_barrier
	buffer_gl0_inv
	v_cmpx_lt_i32_e32 0, v36
	s_cbranch_execz .LBB8_22
; %bb.21:
	v_mul_f64 v[30:31], v[22:23], v[4:5]
	v_mul_f64 v[4:5], v[24:25], v[4:5]
	v_fma_f64 v[30:31], v[24:25], v[2:3], v[30:31]
	v_fma_f64 v[2:3], v[22:23], v[2:3], -v[4:5]
	ds_read2_b64 v[22:25], v1 offset0:2 offset1:3
	s_waitcnt lgkmcnt(0)
	v_mul_f64 v[4:5], v[24:25], v[30:31]
	v_fma_f64 v[4:5], v[22:23], v[2:3], -v[4:5]
	v_mul_f64 v[22:23], v[22:23], v[30:31]
	v_add_f64 v[18:19], v[18:19], -v[4:5]
	v_fma_f64 v[22:23], v[24:25], v[2:3], v[22:23]
	v_add_f64 v[20:21], v[20:21], -v[22:23]
	ds_read2_b64 v[22:25], v1 offset0:4 offset1:5
	s_waitcnt lgkmcnt(0)
	v_mul_f64 v[4:5], v[24:25], v[30:31]
	v_fma_f64 v[4:5], v[22:23], v[2:3], -v[4:5]
	v_mul_f64 v[22:23], v[22:23], v[30:31]
	v_add_f64 v[14:15], v[14:15], -v[4:5]
	v_fma_f64 v[22:23], v[24:25], v[2:3], v[22:23]
	v_add_f64 v[16:17], v[16:17], -v[22:23]
	;; [unrolled: 8-line block ×3, first 2 shown]
	ds_read2_b64 v[22:25], v1 offset0:8 offset1:9
	s_waitcnt lgkmcnt(0)
	v_mul_f64 v[4:5], v[24:25], v[30:31]
	v_fma_f64 v[4:5], v[22:23], v[2:3], -v[4:5]
	v_mul_f64 v[22:23], v[22:23], v[30:31]
	v_add_f64 v[6:7], v[6:7], -v[4:5]
	v_fma_f64 v[22:23], v[24:25], v[2:3], v[22:23]
	v_mov_b32_e32 v4, v30
	v_mov_b32_e32 v5, v31
	v_add_f64 v[8:9], v[8:9], -v[22:23]
.LBB8_22:
	s_or_b32 exec_lo, exec_lo, s0
	v_lshl_add_u32 v22, v36, 4, v1
	s_barrier
	buffer_gl0_inv
	v_mov_b32_e32 v30, 1
	ds_write2_b64 v22, v[18:19], v[20:21] offset1:1
	s_waitcnt lgkmcnt(0)
	s_barrier
	buffer_gl0_inv
	ds_read2_b64 v[22:25], v1 offset0:2 offset1:3
	s_cmp_lt_i32 s1, 3
	s_cbranch_scc1 .LBB8_25
; %bb.23:
	v_add3_u32 v31, v32, 0, 32
	v_mov_b32_e32 v30, 1
	s_mov_b32 s3, 2
	s_inst_prefetch 0x1
	.p2align	6
.LBB8_24:                               ; =>This Inner Loop Header: Depth=1
	s_waitcnt lgkmcnt(0)
	v_cmp_gt_f64_e32 vcc_lo, 0, v[24:25]
	v_cmp_gt_f64_e64 s0, 0, v[22:23]
	ds_read2_b64 v[38:41], v31 offset1:1
	v_xor_b32_e32 v43, 0x80000000, v23
	v_xor_b32_e32 v45, 0x80000000, v25
	v_mov_b32_e32 v42, v22
	v_mov_b32_e32 v44, v24
	v_add_nc_u32_e32 v31, 16, v31
	s_waitcnt lgkmcnt(0)
	v_xor_b32_e32 v47, 0x80000000, v41
	v_cndmask_b32_e64 v43, v23, v43, s0
	v_cndmask_b32_e32 v45, v25, v45, vcc_lo
	v_cmp_gt_f64_e32 vcc_lo, 0, v[40:41]
	v_cmp_gt_f64_e64 s0, 0, v[38:39]
	v_mov_b32_e32 v46, v40
	v_add_f64 v[42:43], v[42:43], v[44:45]
	v_xor_b32_e32 v45, 0x80000000, v39
	v_mov_b32_e32 v44, v38
	v_cndmask_b32_e32 v47, v41, v47, vcc_lo
	v_cndmask_b32_e64 v45, v39, v45, s0
	v_add_f64 v[44:45], v[44:45], v[46:47]
	v_cmp_lt_f64_e32 vcc_lo, v[42:43], v[44:45]
	v_cndmask_b32_e32 v23, v23, v39, vcc_lo
	v_cndmask_b32_e32 v22, v22, v38, vcc_lo
	;; [unrolled: 1-line block ×4, first 2 shown]
	v_cndmask_b32_e64 v30, v30, s3, vcc_lo
	s_add_i32 s3, s3, 1
	s_cmp_lg_u32 s1, s3
	s_cbranch_scc1 .LBB8_24
.LBB8_25:
	s_inst_prefetch 0x2
	s_waitcnt lgkmcnt(0)
	v_cmp_neq_f64_e32 vcc_lo, 0, v[22:23]
	v_cmp_neq_f64_e64 s0, 0, v[24:25]
	s_or_b32 s3, vcc_lo, s0
	s_and_saveexec_b32 s0, s3
	s_cbranch_execz .LBB8_31
; %bb.26:
	v_cmp_ngt_f64_e64 s3, |v[22:23]|, |v[24:25]|
	s_and_saveexec_b32 s8, s3
	s_xor_b32 s3, exec_lo, s8
	s_cbranch_execz .LBB8_28
; %bb.27:
	v_div_scale_f64 v[38:39], null, v[24:25], v[24:25], v[22:23]
	v_div_scale_f64 v[44:45], vcc_lo, v[22:23], v[24:25], v[22:23]
	v_rcp_f64_e32 v[40:41], v[38:39]
	v_fma_f64 v[42:43], -v[38:39], v[40:41], 1.0
	v_fma_f64 v[40:41], v[40:41], v[42:43], v[40:41]
	v_fma_f64 v[42:43], -v[38:39], v[40:41], 1.0
	v_fma_f64 v[40:41], v[40:41], v[42:43], v[40:41]
	v_mul_f64 v[42:43], v[44:45], v[40:41]
	v_fma_f64 v[38:39], -v[38:39], v[42:43], v[44:45]
	v_div_fmas_f64 v[38:39], v[38:39], v[40:41], v[42:43]
	v_div_fixup_f64 v[38:39], v[38:39], v[24:25], v[22:23]
	v_fma_f64 v[22:23], v[22:23], v[38:39], v[24:25]
	v_div_scale_f64 v[24:25], null, v[22:23], v[22:23], 1.0
	v_rcp_f64_e32 v[40:41], v[24:25]
	v_fma_f64 v[42:43], -v[24:25], v[40:41], 1.0
	v_fma_f64 v[40:41], v[40:41], v[42:43], v[40:41]
	v_fma_f64 v[42:43], -v[24:25], v[40:41], 1.0
	v_fma_f64 v[40:41], v[40:41], v[42:43], v[40:41]
	v_div_scale_f64 v[42:43], vcc_lo, 1.0, v[22:23], 1.0
	v_mul_f64 v[44:45], v[42:43], v[40:41]
	v_fma_f64 v[24:25], -v[24:25], v[44:45], v[42:43]
	v_div_fmas_f64 v[24:25], v[24:25], v[40:41], v[44:45]
	v_div_fixup_f64 v[24:25], v[24:25], v[22:23], 1.0
	v_mul_f64 v[22:23], v[38:39], v[24:25]
	v_xor_b32_e32 v25, 0x80000000, v25
.LBB8_28:
	s_andn2_saveexec_b32 s3, s3
	s_cbranch_execz .LBB8_30
; %bb.29:
	v_div_scale_f64 v[38:39], null, v[22:23], v[22:23], v[24:25]
	v_div_scale_f64 v[44:45], vcc_lo, v[24:25], v[22:23], v[24:25]
	v_rcp_f64_e32 v[40:41], v[38:39]
	v_fma_f64 v[42:43], -v[38:39], v[40:41], 1.0
	v_fma_f64 v[40:41], v[40:41], v[42:43], v[40:41]
	v_fma_f64 v[42:43], -v[38:39], v[40:41], 1.0
	v_fma_f64 v[40:41], v[40:41], v[42:43], v[40:41]
	v_mul_f64 v[42:43], v[44:45], v[40:41]
	v_fma_f64 v[38:39], -v[38:39], v[42:43], v[44:45]
	v_div_fmas_f64 v[38:39], v[38:39], v[40:41], v[42:43]
	v_div_fixup_f64 v[38:39], v[38:39], v[22:23], v[24:25]
	v_fma_f64 v[22:23], v[24:25], v[38:39], v[22:23]
	v_div_scale_f64 v[24:25], null, v[22:23], v[22:23], 1.0
	v_rcp_f64_e32 v[40:41], v[24:25]
	v_fma_f64 v[42:43], -v[24:25], v[40:41], 1.0
	v_fma_f64 v[40:41], v[40:41], v[42:43], v[40:41]
	v_fma_f64 v[42:43], -v[24:25], v[40:41], 1.0
	v_fma_f64 v[40:41], v[40:41], v[42:43], v[40:41]
	v_div_scale_f64 v[42:43], vcc_lo, 1.0, v[22:23], 1.0
	v_mul_f64 v[44:45], v[42:43], v[40:41]
	v_fma_f64 v[24:25], -v[24:25], v[44:45], v[42:43]
	v_div_fmas_f64 v[24:25], v[24:25], v[40:41], v[44:45]
	v_div_fixup_f64 v[22:23], v[24:25], v[22:23], 1.0
	v_mul_f64 v[24:25], v[38:39], -v[22:23]
.LBB8_30:
	s_or_b32 exec_lo, exec_lo, s3
	v_mov_b32_e32 v35, v37
.LBB8_31:
	s_or_b32 exec_lo, exec_lo, s0
	s_mov_b32 s0, exec_lo
	v_cmpx_ne_u32_e64 v36, v30
	s_xor_b32 s0, exec_lo, s0
	s_cbranch_execz .LBB8_37
; %bb.32:
	s_mov_b32 s3, exec_lo
	v_cmpx_eq_u32_e32 1, v36
	s_cbranch_execz .LBB8_36
; %bb.33:
	v_cmp_ne_u32_e32 vcc_lo, 1, v30
	s_xor_b32 s8, s16, -1
	s_and_b32 s9, s8, vcc_lo
	s_and_saveexec_b32 s8, s9
	s_cbranch_execz .LBB8_35
; %bb.34:
	v_ashrrev_i32_e32 v31, 31, v30
	v_lshlrev_b64 v[36:37], 2, v[30:31]
	v_add_co_u32 v36, vcc_lo, v28, v36
	v_add_co_ci_u32_e64 v37, null, v29, v37, vcc_lo
	s_clause 0x1
	global_load_dword v0, v[36:37], off
	global_load_dword v31, v[28:29], off offset:4
	s_waitcnt vmcnt(1)
	global_store_dword v[28:29], v0, off offset:4
	s_waitcnt vmcnt(0)
	global_store_dword v[36:37], v31, off
.LBB8_35:
	s_or_b32 exec_lo, exec_lo, s8
	v_mov_b32_e32 v36, v30
	v_mov_b32_e32 v0, v30
.LBB8_36:
	s_or_b32 exec_lo, exec_lo, s3
.LBB8_37:
	s_andn2_saveexec_b32 s0, s0
	s_cbranch_execz .LBB8_39
; %bb.38:
	v_mov_b32_e32 v36, 1
	ds_write2_b64 v1, v[14:15], v[16:17] offset0:4 offset1:5
	ds_write2_b64 v1, v[10:11], v[12:13] offset0:6 offset1:7
	;; [unrolled: 1-line block ×3, first 2 shown]
.LBB8_39:
	s_or_b32 exec_lo, exec_lo, s0
	s_mov_b32 s0, exec_lo
	s_waitcnt lgkmcnt(0)
	s_waitcnt_vscnt null, 0x0
	s_barrier
	buffer_gl0_inv
	v_cmpx_lt_i32_e32 1, v36
	s_cbranch_execz .LBB8_41
; %bb.40:
	v_mul_f64 v[30:31], v[22:23], v[20:21]
	v_mul_f64 v[20:21], v[24:25], v[20:21]
	ds_read2_b64 v[37:40], v1 offset0:4 offset1:5
	ds_read2_b64 v[41:44], v1 offset0:6 offset1:7
	;; [unrolled: 1-line block ×3, first 2 shown]
	v_fma_f64 v[24:25], v[24:25], v[18:19], v[30:31]
	v_fma_f64 v[18:19], v[22:23], v[18:19], -v[20:21]
	s_waitcnt lgkmcnt(2)
	v_mul_f64 v[20:21], v[39:40], v[24:25]
	v_mul_f64 v[22:23], v[37:38], v[24:25]
	s_waitcnt lgkmcnt(1)
	v_mul_f64 v[30:31], v[43:44], v[24:25]
	v_mul_f64 v[49:50], v[41:42], v[24:25]
	;; [unrolled: 3-line block ×3, first 2 shown]
	v_fma_f64 v[20:21], v[37:38], v[18:19], -v[20:21]
	v_fma_f64 v[22:23], v[39:40], v[18:19], v[22:23]
	v_fma_f64 v[30:31], v[41:42], v[18:19], -v[30:31]
	v_fma_f64 v[37:38], v[43:44], v[18:19], v[49:50]
	;; [unrolled: 2-line block ×3, first 2 shown]
	v_add_f64 v[14:15], v[14:15], -v[20:21]
	v_add_f64 v[16:17], v[16:17], -v[22:23]
	;; [unrolled: 1-line block ×6, first 2 shown]
	v_mov_b32_e32 v20, v24
	v_mov_b32_e32 v21, v25
.LBB8_41:
	s_or_b32 exec_lo, exec_lo, s0
	v_lshl_add_u32 v22, v36, 4, v1
	s_barrier
	buffer_gl0_inv
	v_mov_b32_e32 v30, 2
	ds_write2_b64 v22, v[14:15], v[16:17] offset1:1
	s_waitcnt lgkmcnt(0)
	s_barrier
	buffer_gl0_inv
	ds_read2_b64 v[22:25], v1 offset0:4 offset1:5
	s_cmp_lt_i32 s1, 4
	s_cbranch_scc1 .LBB8_44
; %bb.42:
	v_add3_u32 v31, v32, 0, 48
	v_mov_b32_e32 v30, 2
	s_mov_b32 s3, 3
	s_inst_prefetch 0x1
	.p2align	6
.LBB8_43:                               ; =>This Inner Loop Header: Depth=1
	s_waitcnt lgkmcnt(0)
	v_cmp_gt_f64_e32 vcc_lo, 0, v[24:25]
	v_cmp_gt_f64_e64 s0, 0, v[22:23]
	ds_read2_b64 v[37:40], v31 offset1:1
	v_xor_b32_e32 v42, 0x80000000, v23
	v_xor_b32_e32 v44, 0x80000000, v25
	v_mov_b32_e32 v41, v22
	v_mov_b32_e32 v43, v24
	v_add_nc_u32_e32 v31, 16, v31
	s_waitcnt lgkmcnt(0)
	v_xor_b32_e32 v46, 0x80000000, v40
	v_cndmask_b32_e64 v42, v23, v42, s0
	v_cndmask_b32_e32 v44, v25, v44, vcc_lo
	v_cmp_gt_f64_e32 vcc_lo, 0, v[39:40]
	v_cmp_gt_f64_e64 s0, 0, v[37:38]
	v_mov_b32_e32 v45, v39
	v_add_f64 v[41:42], v[41:42], v[43:44]
	v_xor_b32_e32 v44, 0x80000000, v38
	v_mov_b32_e32 v43, v37
	v_cndmask_b32_e32 v46, v40, v46, vcc_lo
	v_cndmask_b32_e64 v44, v38, v44, s0
	v_add_f64 v[43:44], v[43:44], v[45:46]
	v_cmp_lt_f64_e32 vcc_lo, v[41:42], v[43:44]
	v_cndmask_b32_e32 v23, v23, v38, vcc_lo
	v_cndmask_b32_e32 v22, v22, v37, vcc_lo
	v_cndmask_b32_e32 v25, v25, v40, vcc_lo
	v_cndmask_b32_e32 v24, v24, v39, vcc_lo
	v_cndmask_b32_e64 v30, v30, s3, vcc_lo
	s_add_i32 s3, s3, 1
	s_cmp_lg_u32 s1, s3
	s_cbranch_scc1 .LBB8_43
.LBB8_44:
	s_inst_prefetch 0x2
	s_waitcnt lgkmcnt(0)
	v_cmp_eq_f64_e32 vcc_lo, 0, v[22:23]
	v_cmp_eq_f64_e64 s0, 0, v[24:25]
	s_and_b32 s0, vcc_lo, s0
	s_and_saveexec_b32 s3, s0
	s_xor_b32 s0, exec_lo, s3
; %bb.45:
	v_cmp_ne_u32_e32 vcc_lo, 0, v35
	v_cndmask_b32_e32 v35, 3, v35, vcc_lo
; %bb.46:
	s_andn2_saveexec_b32 s0, s0
	s_cbranch_execz .LBB8_52
; %bb.47:
	v_cmp_ngt_f64_e64 s3, |v[22:23]|, |v[24:25]|
	s_and_saveexec_b32 s8, s3
	s_xor_b32 s3, exec_lo, s8
	s_cbranch_execz .LBB8_49
; %bb.48:
	v_div_scale_f64 v[37:38], null, v[24:25], v[24:25], v[22:23]
	v_div_scale_f64 v[43:44], vcc_lo, v[22:23], v[24:25], v[22:23]
	v_rcp_f64_e32 v[39:40], v[37:38]
	v_fma_f64 v[41:42], -v[37:38], v[39:40], 1.0
	v_fma_f64 v[39:40], v[39:40], v[41:42], v[39:40]
	v_fma_f64 v[41:42], -v[37:38], v[39:40], 1.0
	v_fma_f64 v[39:40], v[39:40], v[41:42], v[39:40]
	v_mul_f64 v[41:42], v[43:44], v[39:40]
	v_fma_f64 v[37:38], -v[37:38], v[41:42], v[43:44]
	v_div_fmas_f64 v[37:38], v[37:38], v[39:40], v[41:42]
	v_div_fixup_f64 v[37:38], v[37:38], v[24:25], v[22:23]
	v_fma_f64 v[22:23], v[22:23], v[37:38], v[24:25]
	v_div_scale_f64 v[24:25], null, v[22:23], v[22:23], 1.0
	v_rcp_f64_e32 v[39:40], v[24:25]
	v_fma_f64 v[41:42], -v[24:25], v[39:40], 1.0
	v_fma_f64 v[39:40], v[39:40], v[41:42], v[39:40]
	v_fma_f64 v[41:42], -v[24:25], v[39:40], 1.0
	v_fma_f64 v[39:40], v[39:40], v[41:42], v[39:40]
	v_div_scale_f64 v[41:42], vcc_lo, 1.0, v[22:23], 1.0
	v_mul_f64 v[43:44], v[41:42], v[39:40]
	v_fma_f64 v[24:25], -v[24:25], v[43:44], v[41:42]
	v_div_fmas_f64 v[24:25], v[24:25], v[39:40], v[43:44]
	v_div_fixup_f64 v[24:25], v[24:25], v[22:23], 1.0
	v_mul_f64 v[22:23], v[37:38], v[24:25]
	v_xor_b32_e32 v25, 0x80000000, v25
.LBB8_49:
	s_andn2_saveexec_b32 s3, s3
	s_cbranch_execz .LBB8_51
; %bb.50:
	v_div_scale_f64 v[37:38], null, v[22:23], v[22:23], v[24:25]
	v_div_scale_f64 v[43:44], vcc_lo, v[24:25], v[22:23], v[24:25]
	v_rcp_f64_e32 v[39:40], v[37:38]
	v_fma_f64 v[41:42], -v[37:38], v[39:40], 1.0
	v_fma_f64 v[39:40], v[39:40], v[41:42], v[39:40]
	v_fma_f64 v[41:42], -v[37:38], v[39:40], 1.0
	v_fma_f64 v[39:40], v[39:40], v[41:42], v[39:40]
	v_mul_f64 v[41:42], v[43:44], v[39:40]
	v_fma_f64 v[37:38], -v[37:38], v[41:42], v[43:44]
	v_div_fmas_f64 v[37:38], v[37:38], v[39:40], v[41:42]
	v_div_fixup_f64 v[37:38], v[37:38], v[22:23], v[24:25]
	v_fma_f64 v[22:23], v[24:25], v[37:38], v[22:23]
	v_div_scale_f64 v[24:25], null, v[22:23], v[22:23], 1.0
	v_rcp_f64_e32 v[39:40], v[24:25]
	v_fma_f64 v[41:42], -v[24:25], v[39:40], 1.0
	v_fma_f64 v[39:40], v[39:40], v[41:42], v[39:40]
	v_fma_f64 v[41:42], -v[24:25], v[39:40], 1.0
	v_fma_f64 v[39:40], v[39:40], v[41:42], v[39:40]
	v_div_scale_f64 v[41:42], vcc_lo, 1.0, v[22:23], 1.0
	v_mul_f64 v[43:44], v[41:42], v[39:40]
	v_fma_f64 v[24:25], -v[24:25], v[43:44], v[41:42]
	v_div_fmas_f64 v[24:25], v[24:25], v[39:40], v[43:44]
	v_div_fixup_f64 v[22:23], v[24:25], v[22:23], 1.0
	v_mul_f64 v[24:25], v[37:38], -v[22:23]
.LBB8_51:
	s_or_b32 exec_lo, exec_lo, s3
.LBB8_52:
	s_or_b32 exec_lo, exec_lo, s0
	s_mov_b32 s0, exec_lo
	v_cmpx_ne_u32_e64 v36, v30
	s_xor_b32 s0, exec_lo, s0
	s_cbranch_execz .LBB8_58
; %bb.53:
	s_mov_b32 s3, exec_lo
	v_cmpx_eq_u32_e32 2, v36
	s_cbranch_execz .LBB8_57
; %bb.54:
	v_cmp_ne_u32_e32 vcc_lo, 2, v30
	s_xor_b32 s8, s16, -1
	s_and_b32 s9, s8, vcc_lo
	s_and_saveexec_b32 s8, s9
	s_cbranch_execz .LBB8_56
; %bb.55:
	v_ashrrev_i32_e32 v31, 31, v30
	v_lshlrev_b64 v[36:37], 2, v[30:31]
	v_add_co_u32 v36, vcc_lo, v28, v36
	v_add_co_ci_u32_e64 v37, null, v29, v37, vcc_lo
	s_clause 0x1
	global_load_dword v0, v[36:37], off
	global_load_dword v31, v[28:29], off offset:8
	s_waitcnt vmcnt(1)
	global_store_dword v[28:29], v0, off offset:8
	s_waitcnt vmcnt(0)
	global_store_dword v[36:37], v31, off
.LBB8_56:
	s_or_b32 exec_lo, exec_lo, s8
	v_mov_b32_e32 v36, v30
	v_mov_b32_e32 v0, v30
.LBB8_57:
	s_or_b32 exec_lo, exec_lo, s3
.LBB8_58:
	s_andn2_saveexec_b32 s0, s0
	s_cbranch_execz .LBB8_60
; %bb.59:
	v_mov_b32_e32 v36, 2
	ds_write2_b64 v1, v[10:11], v[12:13] offset0:6 offset1:7
	ds_write2_b64 v1, v[6:7], v[8:9] offset0:8 offset1:9
.LBB8_60:
	s_or_b32 exec_lo, exec_lo, s0
	s_mov_b32 s0, exec_lo
	s_waitcnt lgkmcnt(0)
	s_waitcnt_vscnt null, 0x0
	s_barrier
	buffer_gl0_inv
	v_cmpx_lt_i32_e32 2, v36
	s_cbranch_execz .LBB8_62
; %bb.61:
	v_mul_f64 v[30:31], v[22:23], v[16:17]
	v_mul_f64 v[16:17], v[24:25], v[16:17]
	ds_read2_b64 v[37:40], v1 offset0:6 offset1:7
	ds_read2_b64 v[41:44], v1 offset0:8 offset1:9
	v_fma_f64 v[24:25], v[24:25], v[14:15], v[30:31]
	v_fma_f64 v[14:15], v[22:23], v[14:15], -v[16:17]
	s_waitcnt lgkmcnt(1)
	v_mul_f64 v[16:17], v[39:40], v[24:25]
	v_mul_f64 v[22:23], v[37:38], v[24:25]
	s_waitcnt lgkmcnt(0)
	v_mul_f64 v[30:31], v[43:44], v[24:25]
	v_mul_f64 v[45:46], v[41:42], v[24:25]
	v_fma_f64 v[16:17], v[37:38], v[14:15], -v[16:17]
	v_fma_f64 v[22:23], v[39:40], v[14:15], v[22:23]
	v_fma_f64 v[30:31], v[41:42], v[14:15], -v[30:31]
	v_fma_f64 v[37:38], v[43:44], v[14:15], v[45:46]
	v_add_f64 v[10:11], v[10:11], -v[16:17]
	v_add_f64 v[12:13], v[12:13], -v[22:23]
	;; [unrolled: 1-line block ×4, first 2 shown]
	v_mov_b32_e32 v16, v24
	v_mov_b32_e32 v17, v25
.LBB8_62:
	s_or_b32 exec_lo, exec_lo, s0
	v_lshl_add_u32 v22, v36, 4, v1
	s_barrier
	buffer_gl0_inv
	v_mov_b32_e32 v30, 3
	ds_write2_b64 v22, v[10:11], v[12:13] offset1:1
	s_waitcnt lgkmcnt(0)
	s_barrier
	buffer_gl0_inv
	ds_read2_b64 v[22:25], v1 offset0:6 offset1:7
	s_cmp_lt_i32 s1, 5
	s_mov_b32 s3, 4
	s_cbranch_scc1 .LBB8_65
; %bb.63:
	v_add3_u32 v31, v32, 0, 64
	v_mov_b32_e32 v30, 3
	s_inst_prefetch 0x1
	.p2align	6
.LBB8_64:                               ; =>This Inner Loop Header: Depth=1
	s_waitcnt lgkmcnt(0)
	v_cmp_gt_f64_e32 vcc_lo, 0, v[24:25]
	v_cmp_gt_f64_e64 s0, 0, v[22:23]
	ds_read2_b64 v[37:40], v31 offset1:1
	v_xor_b32_e32 v42, 0x80000000, v23
	v_xor_b32_e32 v44, 0x80000000, v25
	v_mov_b32_e32 v41, v22
	v_mov_b32_e32 v43, v24
	v_add_nc_u32_e32 v31, 16, v31
	s_waitcnt lgkmcnt(0)
	v_xor_b32_e32 v46, 0x80000000, v40
	v_cndmask_b32_e64 v42, v23, v42, s0
	v_cndmask_b32_e32 v44, v25, v44, vcc_lo
	v_cmp_gt_f64_e32 vcc_lo, 0, v[39:40]
	v_cmp_gt_f64_e64 s0, 0, v[37:38]
	v_mov_b32_e32 v45, v39
	v_add_f64 v[41:42], v[41:42], v[43:44]
	v_xor_b32_e32 v44, 0x80000000, v38
	v_mov_b32_e32 v43, v37
	v_cndmask_b32_e32 v46, v40, v46, vcc_lo
	v_cndmask_b32_e64 v44, v38, v44, s0
	v_add_f64 v[43:44], v[43:44], v[45:46]
	v_cmp_lt_f64_e32 vcc_lo, v[41:42], v[43:44]
	v_cndmask_b32_e32 v23, v23, v38, vcc_lo
	v_cndmask_b32_e32 v22, v22, v37, vcc_lo
	;; [unrolled: 1-line block ×4, first 2 shown]
	v_cndmask_b32_e64 v30, v30, s3, vcc_lo
	s_add_i32 s3, s3, 1
	s_cmp_lg_u32 s1, s3
	s_cbranch_scc1 .LBB8_64
.LBB8_65:
	s_inst_prefetch 0x2
	s_waitcnt lgkmcnt(0)
	v_cmp_eq_f64_e32 vcc_lo, 0, v[22:23]
	v_cmp_eq_f64_e64 s0, 0, v[24:25]
	s_and_b32 s0, vcc_lo, s0
	s_and_saveexec_b32 s3, s0
	s_xor_b32 s0, exec_lo, s3
; %bb.66:
	v_cmp_ne_u32_e32 vcc_lo, 0, v35
	v_cndmask_b32_e32 v35, 4, v35, vcc_lo
; %bb.67:
	s_andn2_saveexec_b32 s0, s0
	s_cbranch_execz .LBB8_73
; %bb.68:
	v_cmp_ngt_f64_e64 s3, |v[22:23]|, |v[24:25]|
	s_and_saveexec_b32 s8, s3
	s_xor_b32 s3, exec_lo, s8
	s_cbranch_execz .LBB8_70
; %bb.69:
	v_div_scale_f64 v[37:38], null, v[24:25], v[24:25], v[22:23]
	v_div_scale_f64 v[43:44], vcc_lo, v[22:23], v[24:25], v[22:23]
	v_rcp_f64_e32 v[39:40], v[37:38]
	v_fma_f64 v[41:42], -v[37:38], v[39:40], 1.0
	v_fma_f64 v[39:40], v[39:40], v[41:42], v[39:40]
	v_fma_f64 v[41:42], -v[37:38], v[39:40], 1.0
	v_fma_f64 v[39:40], v[39:40], v[41:42], v[39:40]
	v_mul_f64 v[41:42], v[43:44], v[39:40]
	v_fma_f64 v[37:38], -v[37:38], v[41:42], v[43:44]
	v_div_fmas_f64 v[37:38], v[37:38], v[39:40], v[41:42]
	v_div_fixup_f64 v[37:38], v[37:38], v[24:25], v[22:23]
	v_fma_f64 v[22:23], v[22:23], v[37:38], v[24:25]
	v_div_scale_f64 v[24:25], null, v[22:23], v[22:23], 1.0
	v_rcp_f64_e32 v[39:40], v[24:25]
	v_fma_f64 v[41:42], -v[24:25], v[39:40], 1.0
	v_fma_f64 v[39:40], v[39:40], v[41:42], v[39:40]
	v_fma_f64 v[41:42], -v[24:25], v[39:40], 1.0
	v_fma_f64 v[39:40], v[39:40], v[41:42], v[39:40]
	v_div_scale_f64 v[41:42], vcc_lo, 1.0, v[22:23], 1.0
	v_mul_f64 v[43:44], v[41:42], v[39:40]
	v_fma_f64 v[24:25], -v[24:25], v[43:44], v[41:42]
	v_div_fmas_f64 v[24:25], v[24:25], v[39:40], v[43:44]
	v_div_fixup_f64 v[24:25], v[24:25], v[22:23], 1.0
	v_mul_f64 v[22:23], v[37:38], v[24:25]
	v_xor_b32_e32 v25, 0x80000000, v25
.LBB8_70:
	s_andn2_saveexec_b32 s3, s3
	s_cbranch_execz .LBB8_72
; %bb.71:
	v_div_scale_f64 v[37:38], null, v[22:23], v[22:23], v[24:25]
	v_div_scale_f64 v[43:44], vcc_lo, v[24:25], v[22:23], v[24:25]
	v_rcp_f64_e32 v[39:40], v[37:38]
	v_fma_f64 v[41:42], -v[37:38], v[39:40], 1.0
	v_fma_f64 v[39:40], v[39:40], v[41:42], v[39:40]
	v_fma_f64 v[41:42], -v[37:38], v[39:40], 1.0
	v_fma_f64 v[39:40], v[39:40], v[41:42], v[39:40]
	v_mul_f64 v[41:42], v[43:44], v[39:40]
	v_fma_f64 v[37:38], -v[37:38], v[41:42], v[43:44]
	v_div_fmas_f64 v[37:38], v[37:38], v[39:40], v[41:42]
	v_div_fixup_f64 v[37:38], v[37:38], v[22:23], v[24:25]
	v_fma_f64 v[22:23], v[24:25], v[37:38], v[22:23]
	v_div_scale_f64 v[24:25], null, v[22:23], v[22:23], 1.0
	v_rcp_f64_e32 v[39:40], v[24:25]
	v_fma_f64 v[41:42], -v[24:25], v[39:40], 1.0
	v_fma_f64 v[39:40], v[39:40], v[41:42], v[39:40]
	v_fma_f64 v[41:42], -v[24:25], v[39:40], 1.0
	v_fma_f64 v[39:40], v[39:40], v[41:42], v[39:40]
	v_div_scale_f64 v[41:42], vcc_lo, 1.0, v[22:23], 1.0
	v_mul_f64 v[43:44], v[41:42], v[39:40]
	v_fma_f64 v[24:25], -v[24:25], v[43:44], v[41:42]
	v_div_fmas_f64 v[24:25], v[24:25], v[39:40], v[43:44]
	v_div_fixup_f64 v[22:23], v[24:25], v[22:23], 1.0
	v_mul_f64 v[24:25], v[37:38], -v[22:23]
.LBB8_72:
	s_or_b32 exec_lo, exec_lo, s3
.LBB8_73:
	s_or_b32 exec_lo, exec_lo, s0
	s_mov_b32 s0, exec_lo
	v_cmpx_ne_u32_e64 v36, v30
	s_xor_b32 s0, exec_lo, s0
	s_cbranch_execz .LBB8_79
; %bb.74:
	s_mov_b32 s3, exec_lo
	v_cmpx_eq_u32_e32 3, v36
	s_cbranch_execz .LBB8_78
; %bb.75:
	v_cmp_ne_u32_e32 vcc_lo, 3, v30
	s_xor_b32 s8, s16, -1
	s_and_b32 s9, s8, vcc_lo
	s_and_saveexec_b32 s8, s9
	s_cbranch_execz .LBB8_77
; %bb.76:
	v_ashrrev_i32_e32 v31, 31, v30
	v_lshlrev_b64 v[36:37], 2, v[30:31]
	v_add_co_u32 v36, vcc_lo, v28, v36
	v_add_co_ci_u32_e64 v37, null, v29, v37, vcc_lo
	s_clause 0x1
	global_load_dword v0, v[36:37], off
	global_load_dword v31, v[28:29], off offset:12
	s_waitcnt vmcnt(1)
	global_store_dword v[28:29], v0, off offset:12
	s_waitcnt vmcnt(0)
	global_store_dword v[36:37], v31, off
.LBB8_77:
	s_or_b32 exec_lo, exec_lo, s8
	v_mov_b32_e32 v36, v30
	v_mov_b32_e32 v0, v30
.LBB8_78:
	s_or_b32 exec_lo, exec_lo, s3
.LBB8_79:
	s_andn2_saveexec_b32 s0, s0
; %bb.80:
	v_mov_b32_e32 v36, 3
	ds_write2_b64 v1, v[6:7], v[8:9] offset0:8 offset1:9
; %bb.81:
	s_or_b32 exec_lo, exec_lo, s0
	s_mov_b32 s0, exec_lo
	s_waitcnt lgkmcnt(0)
	s_waitcnt_vscnt null, 0x0
	s_barrier
	buffer_gl0_inv
	v_cmpx_lt_i32_e32 3, v36
	s_cbranch_execz .LBB8_83
; %bb.82:
	v_mul_f64 v[30:31], v[22:23], v[12:13]
	v_mul_f64 v[12:13], v[24:25], v[12:13]
	ds_read2_b64 v[37:40], v1 offset0:8 offset1:9
	v_fma_f64 v[24:25], v[24:25], v[10:11], v[30:31]
	v_fma_f64 v[10:11], v[22:23], v[10:11], -v[12:13]
	s_waitcnt lgkmcnt(0)
	v_mul_f64 v[12:13], v[39:40], v[24:25]
	v_mul_f64 v[22:23], v[37:38], v[24:25]
	v_fma_f64 v[12:13], v[37:38], v[10:11], -v[12:13]
	v_fma_f64 v[22:23], v[39:40], v[10:11], v[22:23]
	v_add_f64 v[6:7], v[6:7], -v[12:13]
	v_add_f64 v[8:9], v[8:9], -v[22:23]
	v_mov_b32_e32 v12, v24
	v_mov_b32_e32 v13, v25
.LBB8_83:
	s_or_b32 exec_lo, exec_lo, s0
	v_lshl_add_u32 v22, v36, 4, v1
	s_barrier
	buffer_gl0_inv
	v_mov_b32_e32 v30, 4
	ds_write2_b64 v22, v[6:7], v[8:9] offset1:1
	s_waitcnt lgkmcnt(0)
	s_barrier
	buffer_gl0_inv
	ds_read2_b64 v[22:25], v1 offset0:8 offset1:9
	s_cmp_lt_i32 s1, 6
	s_cbranch_scc1 .LBB8_86
; %bb.84:
	v_mov_b32_e32 v30, 4
	v_add3_u32 v1, v32, 0, 0x50
	s_mov_b32 s3, 5
	s_inst_prefetch 0x1
	.p2align	6
.LBB8_85:                               ; =>This Inner Loop Header: Depth=1
	s_waitcnt lgkmcnt(0)
	v_cmp_gt_f64_e32 vcc_lo, 0, v[24:25]
	v_cmp_gt_f64_e64 s0, 0, v[22:23]
	ds_read2_b64 v[37:40], v1 offset1:1
	v_xor_b32_e32 v32, 0x80000000, v23
	v_xor_b32_e32 v42, 0x80000000, v25
	v_mov_b32_e32 v31, v22
	v_mov_b32_e32 v41, v24
	v_add_nc_u32_e32 v1, 16, v1
	s_waitcnt lgkmcnt(0)
	v_xor_b32_e32 v44, 0x80000000, v40
	v_cndmask_b32_e64 v32, v23, v32, s0
	v_cndmask_b32_e32 v42, v25, v42, vcc_lo
	v_cmp_gt_f64_e32 vcc_lo, 0, v[39:40]
	v_cmp_gt_f64_e64 s0, 0, v[37:38]
	v_mov_b32_e32 v43, v39
	v_add_f64 v[31:32], v[31:32], v[41:42]
	v_xor_b32_e32 v42, 0x80000000, v38
	v_mov_b32_e32 v41, v37
	v_cndmask_b32_e32 v44, v40, v44, vcc_lo
	v_cndmask_b32_e64 v42, v38, v42, s0
	v_add_f64 v[41:42], v[41:42], v[43:44]
	v_cmp_lt_f64_e32 vcc_lo, v[31:32], v[41:42]
	v_cndmask_b32_e32 v23, v23, v38, vcc_lo
	v_cndmask_b32_e32 v22, v22, v37, vcc_lo
	;; [unrolled: 1-line block ×4, first 2 shown]
	v_cndmask_b32_e64 v30, v30, s3, vcc_lo
	s_add_i32 s3, s3, 1
	s_cmp_lg_u32 s1, s3
	s_cbranch_scc1 .LBB8_85
.LBB8_86:
	s_inst_prefetch 0x2
	s_waitcnt lgkmcnt(0)
	v_cmp_eq_f64_e32 vcc_lo, 0, v[22:23]
	v_cmp_eq_f64_e64 s0, 0, v[24:25]
	s_and_b32 s0, vcc_lo, s0
	s_and_saveexec_b32 s1, s0
	s_xor_b32 s0, exec_lo, s1
; %bb.87:
	v_cmp_ne_u32_e32 vcc_lo, 0, v35
	v_cndmask_b32_e32 v35, 5, v35, vcc_lo
; %bb.88:
	s_andn2_saveexec_b32 s0, s0
	s_cbranch_execz .LBB8_94
; %bb.89:
	v_cmp_ngt_f64_e64 s1, |v[22:23]|, |v[24:25]|
	s_and_saveexec_b32 s3, s1
	s_xor_b32 s1, exec_lo, s3
	s_cbranch_execz .LBB8_91
; %bb.90:
	v_div_scale_f64 v[31:32], null, v[24:25], v[24:25], v[22:23]
	v_div_scale_f64 v[41:42], vcc_lo, v[22:23], v[24:25], v[22:23]
	v_rcp_f64_e32 v[37:38], v[31:32]
	v_fma_f64 v[39:40], -v[31:32], v[37:38], 1.0
	v_fma_f64 v[37:38], v[37:38], v[39:40], v[37:38]
	v_fma_f64 v[39:40], -v[31:32], v[37:38], 1.0
	v_fma_f64 v[37:38], v[37:38], v[39:40], v[37:38]
	v_mul_f64 v[39:40], v[41:42], v[37:38]
	v_fma_f64 v[31:32], -v[31:32], v[39:40], v[41:42]
	v_div_fmas_f64 v[31:32], v[31:32], v[37:38], v[39:40]
	v_div_fixup_f64 v[31:32], v[31:32], v[24:25], v[22:23]
	v_fma_f64 v[22:23], v[22:23], v[31:32], v[24:25]
	v_div_scale_f64 v[24:25], null, v[22:23], v[22:23], 1.0
	v_rcp_f64_e32 v[37:38], v[24:25]
	v_fma_f64 v[39:40], -v[24:25], v[37:38], 1.0
	v_fma_f64 v[37:38], v[37:38], v[39:40], v[37:38]
	v_fma_f64 v[39:40], -v[24:25], v[37:38], 1.0
	v_fma_f64 v[37:38], v[37:38], v[39:40], v[37:38]
	v_div_scale_f64 v[39:40], vcc_lo, 1.0, v[22:23], 1.0
	v_mul_f64 v[41:42], v[39:40], v[37:38]
	v_fma_f64 v[24:25], -v[24:25], v[41:42], v[39:40]
	v_div_fmas_f64 v[24:25], v[24:25], v[37:38], v[41:42]
	v_div_fixup_f64 v[24:25], v[24:25], v[22:23], 1.0
	v_mul_f64 v[22:23], v[31:32], v[24:25]
	v_xor_b32_e32 v25, 0x80000000, v25
.LBB8_91:
	s_andn2_saveexec_b32 s1, s1
	s_cbranch_execz .LBB8_93
; %bb.92:
	v_div_scale_f64 v[31:32], null, v[22:23], v[22:23], v[24:25]
	v_div_scale_f64 v[41:42], vcc_lo, v[24:25], v[22:23], v[24:25]
	v_rcp_f64_e32 v[37:38], v[31:32]
	v_fma_f64 v[39:40], -v[31:32], v[37:38], 1.0
	v_fma_f64 v[37:38], v[37:38], v[39:40], v[37:38]
	v_fma_f64 v[39:40], -v[31:32], v[37:38], 1.0
	v_fma_f64 v[37:38], v[37:38], v[39:40], v[37:38]
	v_mul_f64 v[39:40], v[41:42], v[37:38]
	v_fma_f64 v[31:32], -v[31:32], v[39:40], v[41:42]
	v_div_fmas_f64 v[31:32], v[31:32], v[37:38], v[39:40]
	v_div_fixup_f64 v[31:32], v[31:32], v[22:23], v[24:25]
	v_fma_f64 v[22:23], v[24:25], v[31:32], v[22:23]
	v_div_scale_f64 v[24:25], null, v[22:23], v[22:23], 1.0
	v_rcp_f64_e32 v[37:38], v[24:25]
	v_fma_f64 v[39:40], -v[24:25], v[37:38], 1.0
	v_fma_f64 v[37:38], v[37:38], v[39:40], v[37:38]
	v_fma_f64 v[39:40], -v[24:25], v[37:38], 1.0
	v_fma_f64 v[37:38], v[37:38], v[39:40], v[37:38]
	v_div_scale_f64 v[39:40], vcc_lo, 1.0, v[22:23], 1.0
	v_mul_f64 v[41:42], v[39:40], v[37:38]
	v_fma_f64 v[24:25], -v[24:25], v[41:42], v[39:40]
	v_div_fmas_f64 v[24:25], v[24:25], v[37:38], v[41:42]
	v_div_fixup_f64 v[22:23], v[24:25], v[22:23], 1.0
	v_mul_f64 v[24:25], v[31:32], -v[22:23]
.LBB8_93:
	s_or_b32 exec_lo, exec_lo, s1
.LBB8_94:
	s_or_b32 exec_lo, exec_lo, s0
	v_mov_b32_e32 v31, 4
	s_mov_b32 s0, exec_lo
	v_cmpx_ne_u32_e64 v36, v30
	s_cbranch_execz .LBB8_100
; %bb.95:
	s_mov_b32 s1, exec_lo
	v_cmpx_eq_u32_e32 4, v36
	s_cbranch_execz .LBB8_99
; %bb.96:
	v_cmp_ne_u32_e32 vcc_lo, 4, v30
	s_xor_b32 s3, s16, -1
	s_and_b32 s8, s3, vcc_lo
	s_and_saveexec_b32 s3, s8
	s_cbranch_execz .LBB8_98
; %bb.97:
	v_ashrrev_i32_e32 v31, 31, v30
	v_lshlrev_b64 v[0:1], 2, v[30:31]
	v_add_co_u32 v0, vcc_lo, v28, v0
	v_add_co_ci_u32_e64 v1, null, v29, v1, vcc_lo
	s_clause 0x1
	global_load_dword v31, v[0:1], off
	global_load_dword v32, v[28:29], off offset:16
	s_waitcnt vmcnt(1)
	global_store_dword v[28:29], v31, off offset:16
	s_waitcnt vmcnt(0)
	global_store_dword v[0:1], v32, off
.LBB8_98:
	s_or_b32 exec_lo, exec_lo, s3
	v_mov_b32_e32 v36, v30
	v_mov_b32_e32 v0, v30
.LBB8_99:
	s_or_b32 exec_lo, exec_lo, s1
	v_mov_b32_e32 v31, v36
.LBB8_100:
	s_or_b32 exec_lo, exec_lo, s0
	s_mov_b32 s0, exec_lo
	s_waitcnt_vscnt null, 0x0
	s_barrier
	buffer_gl0_inv
	v_cmpx_lt_i32_e32 4, v31
	s_cbranch_execz .LBB8_102
; %bb.101:
	v_mul_f64 v[28:29], v[24:25], v[8:9]
	v_mul_f64 v[8:9], v[22:23], v[8:9]
	v_fma_f64 v[22:23], v[22:23], v[6:7], -v[28:29]
	v_fma_f64 v[8:9], v[24:25], v[6:7], v[8:9]
	v_mov_b32_e32 v6, v22
	v_mov_b32_e32 v7, v23
.LBB8_102:
	s_or_b32 exec_lo, exec_lo, s0
	v_ashrrev_i32_e32 v32, 31, v31
	s_mov_b32 s0, exec_lo
	s_barrier
	buffer_gl0_inv
	v_cmpx_gt_i32_e32 5, v31
	s_cbranch_execz .LBB8_104
; %bb.103:
	v_mul_lo_u32 v1, s15, v26
	v_mul_lo_u32 v24, s14, v27
	v_mad_u64_u32 v[22:23], null, s14, v26, 0
	s_lshl_b64 s[8:9], s[12:13], 2
	v_add3_u32 v0, v0, s17, 1
	v_add3_u32 v23, v23, v24, v1
	v_lshlrev_b64 v[22:23], 2, v[22:23]
	v_add_co_u32 v1, vcc_lo, s10, v22
	v_add_co_ci_u32_e64 v24, null, s11, v23, vcc_lo
	v_lshlrev_b64 v[22:23], 2, v[31:32]
	v_add_co_u32 v1, vcc_lo, v1, s8
	v_add_co_ci_u32_e64 v24, null, s9, v24, vcc_lo
	v_add_co_u32 v22, vcc_lo, v1, v22
	v_add_co_ci_u32_e64 v23, null, v24, v23, vcc_lo
	global_store_dword v[22:23], v0, off
.LBB8_104:
	s_or_b32 exec_lo, exec_lo, s0
	s_mov_b32 s1, exec_lo
	v_cmpx_eq_u32_e32 0, v31
	s_cbranch_execz .LBB8_107
; %bb.105:
	v_lshlrev_b64 v[0:1], 2, v[26:27]
	v_cmp_ne_u32_e64 s0, 0, v35
	v_add_co_u32 v0, vcc_lo, s4, v0
	v_add_co_ci_u32_e64 v1, null, s5, v1, vcc_lo
	global_load_dword v22, v[0:1], off
	s_waitcnt vmcnt(0)
	v_cmp_eq_u32_e32 vcc_lo, 0, v22
	s_and_b32 s0, vcc_lo, s0
	s_and_b32 exec_lo, exec_lo, s0
	s_cbranch_execz .LBB8_107
; %bb.106:
	v_add_nc_u32_e32 v22, s17, v35
	global_store_dword v[0:1], v22, off
.LBB8_107:
	s_or_b32 exec_lo, exec_lo, s1
	v_add3_u32 v0, s2, s2, v31
	v_lshlrev_b64 v[22:23], 4, v[31:32]
	v_add_nc_u32_e32 v24, s2, v0
	v_ashrrev_i32_e32 v1, 31, v0
	v_add_co_u32 v22, vcc_lo, v33, v22
	v_add_co_ci_u32_e64 v23, null, v34, v23, vcc_lo
	v_add_nc_u32_e32 v26, s2, v24
	v_ashrrev_i32_e32 v25, 31, v24
	v_lshlrev_b64 v[0:1], 4, v[0:1]
	v_add_co_u32 v28, vcc_lo, v22, s6
	v_ashrrev_i32_e32 v27, 31, v26
	v_lshlrev_b64 v[24:25], 4, v[24:25]
	v_add_co_ci_u32_e64 v29, null, s7, v23, vcc_lo
	v_add_co_u32 v0, vcc_lo, v33, v0
	v_lshlrev_b64 v[26:27], 4, v[26:27]
	v_add_co_ci_u32_e64 v1, null, v34, v1, vcc_lo
	v_add_co_u32 v24, vcc_lo, v33, v24
	v_add_co_ci_u32_e64 v25, null, v34, v25, vcc_lo
	v_add_co_u32 v26, vcc_lo, v33, v26
	v_add_co_ci_u32_e64 v27, null, v34, v27, vcc_lo
	global_store_dwordx4 v[22:23], v[2:5], off
	global_store_dwordx4 v[28:29], v[18:21], off
	;; [unrolled: 1-line block ×5, first 2 shown]
.LBB8_108:
	s_endpgm
	.section	.rodata,"a",@progbits
	.p2align	6, 0x0
	.amdhsa_kernel _ZN9rocsolver6v33100L18getf2_small_kernelILi5E19rocblas_complex_numIdEiiPS3_EEvT1_T3_lS5_lPS5_llPT2_S5_S5_S7_l
		.amdhsa_group_segment_fixed_size 0
		.amdhsa_private_segment_fixed_size 0
		.amdhsa_kernarg_size 352
		.amdhsa_user_sgpr_count 6
		.amdhsa_user_sgpr_private_segment_buffer 1
		.amdhsa_user_sgpr_dispatch_ptr 0
		.amdhsa_user_sgpr_queue_ptr 0
		.amdhsa_user_sgpr_kernarg_segment_ptr 1
		.amdhsa_user_sgpr_dispatch_id 0
		.amdhsa_user_sgpr_flat_scratch_init 0
		.amdhsa_user_sgpr_private_segment_size 0
		.amdhsa_wavefront_size32 1
		.amdhsa_uses_dynamic_stack 0
		.amdhsa_system_sgpr_private_segment_wavefront_offset 0
		.amdhsa_system_sgpr_workgroup_id_x 1
		.amdhsa_system_sgpr_workgroup_id_y 1
		.amdhsa_system_sgpr_workgroup_id_z 0
		.amdhsa_system_sgpr_workgroup_info 0
		.amdhsa_system_vgpr_workitem_id 1
		.amdhsa_next_free_vgpr 55
		.amdhsa_next_free_sgpr 24
		.amdhsa_reserve_vcc 1
		.amdhsa_reserve_flat_scratch 0
		.amdhsa_float_round_mode_32 0
		.amdhsa_float_round_mode_16_64 0
		.amdhsa_float_denorm_mode_32 3
		.amdhsa_float_denorm_mode_16_64 3
		.amdhsa_dx10_clamp 1
		.amdhsa_ieee_mode 1
		.amdhsa_fp16_overflow 0
		.amdhsa_workgroup_processor_mode 1
		.amdhsa_memory_ordered 1
		.amdhsa_forward_progress 1
		.amdhsa_shared_vgpr_count 0
		.amdhsa_exception_fp_ieee_invalid_op 0
		.amdhsa_exception_fp_denorm_src 0
		.amdhsa_exception_fp_ieee_div_zero 0
		.amdhsa_exception_fp_ieee_overflow 0
		.amdhsa_exception_fp_ieee_underflow 0
		.amdhsa_exception_fp_ieee_inexact 0
		.amdhsa_exception_int_div_zero 0
	.end_amdhsa_kernel
	.section	.text._ZN9rocsolver6v33100L18getf2_small_kernelILi5E19rocblas_complex_numIdEiiPS3_EEvT1_T3_lS5_lPS5_llPT2_S5_S5_S7_l,"axG",@progbits,_ZN9rocsolver6v33100L18getf2_small_kernelILi5E19rocblas_complex_numIdEiiPS3_EEvT1_T3_lS5_lPS5_llPT2_S5_S5_S7_l,comdat
.Lfunc_end8:
	.size	_ZN9rocsolver6v33100L18getf2_small_kernelILi5E19rocblas_complex_numIdEiiPS3_EEvT1_T3_lS5_lPS5_llPT2_S5_S5_S7_l, .Lfunc_end8-_ZN9rocsolver6v33100L18getf2_small_kernelILi5E19rocblas_complex_numIdEiiPS3_EEvT1_T3_lS5_lPS5_llPT2_S5_S5_S7_l
                                        ; -- End function
	.set _ZN9rocsolver6v33100L18getf2_small_kernelILi5E19rocblas_complex_numIdEiiPS3_EEvT1_T3_lS5_lPS5_llPT2_S5_S5_S7_l.num_vgpr, 55
	.set _ZN9rocsolver6v33100L18getf2_small_kernelILi5E19rocblas_complex_numIdEiiPS3_EEvT1_T3_lS5_lPS5_llPT2_S5_S5_S7_l.num_agpr, 0
	.set _ZN9rocsolver6v33100L18getf2_small_kernelILi5E19rocblas_complex_numIdEiiPS3_EEvT1_T3_lS5_lPS5_llPT2_S5_S5_S7_l.numbered_sgpr, 24
	.set _ZN9rocsolver6v33100L18getf2_small_kernelILi5E19rocblas_complex_numIdEiiPS3_EEvT1_T3_lS5_lPS5_llPT2_S5_S5_S7_l.num_named_barrier, 0
	.set _ZN9rocsolver6v33100L18getf2_small_kernelILi5E19rocblas_complex_numIdEiiPS3_EEvT1_T3_lS5_lPS5_llPT2_S5_S5_S7_l.private_seg_size, 0
	.set _ZN9rocsolver6v33100L18getf2_small_kernelILi5E19rocblas_complex_numIdEiiPS3_EEvT1_T3_lS5_lPS5_llPT2_S5_S5_S7_l.uses_vcc, 1
	.set _ZN9rocsolver6v33100L18getf2_small_kernelILi5E19rocblas_complex_numIdEiiPS3_EEvT1_T3_lS5_lPS5_llPT2_S5_S5_S7_l.uses_flat_scratch, 0
	.set _ZN9rocsolver6v33100L18getf2_small_kernelILi5E19rocblas_complex_numIdEiiPS3_EEvT1_T3_lS5_lPS5_llPT2_S5_S5_S7_l.has_dyn_sized_stack, 0
	.set _ZN9rocsolver6v33100L18getf2_small_kernelILi5E19rocblas_complex_numIdEiiPS3_EEvT1_T3_lS5_lPS5_llPT2_S5_S5_S7_l.has_recursion, 0
	.set _ZN9rocsolver6v33100L18getf2_small_kernelILi5E19rocblas_complex_numIdEiiPS3_EEvT1_T3_lS5_lPS5_llPT2_S5_S5_S7_l.has_indirect_call, 0
	.section	.AMDGPU.csdata,"",@progbits
; Kernel info:
; codeLenInByte = 6392
; TotalNumSgprs: 26
; NumVgprs: 55
; ScratchSize: 0
; MemoryBound: 0
; FloatMode: 240
; IeeeMode: 1
; LDSByteSize: 0 bytes/workgroup (compile time only)
; SGPRBlocks: 0
; VGPRBlocks: 6
; NumSGPRsForWavesPerEU: 26
; NumVGPRsForWavesPerEU: 55
; Occupancy: 16
; WaveLimiterHint : 0
; COMPUTE_PGM_RSRC2:SCRATCH_EN: 0
; COMPUTE_PGM_RSRC2:USER_SGPR: 6
; COMPUTE_PGM_RSRC2:TRAP_HANDLER: 0
; COMPUTE_PGM_RSRC2:TGID_X_EN: 1
; COMPUTE_PGM_RSRC2:TGID_Y_EN: 1
; COMPUTE_PGM_RSRC2:TGID_Z_EN: 0
; COMPUTE_PGM_RSRC2:TIDIG_COMP_CNT: 1
	.section	.text._ZN9rocsolver6v33100L23getf2_npvt_small_kernelILi5E19rocblas_complex_numIdEiiPS3_EEvT1_T3_lS5_lPT2_S5_S5_,"axG",@progbits,_ZN9rocsolver6v33100L23getf2_npvt_small_kernelILi5E19rocblas_complex_numIdEiiPS3_EEvT1_T3_lS5_lPT2_S5_S5_,comdat
	.globl	_ZN9rocsolver6v33100L23getf2_npvt_small_kernelILi5E19rocblas_complex_numIdEiiPS3_EEvT1_T3_lS5_lPT2_S5_S5_ ; -- Begin function _ZN9rocsolver6v33100L23getf2_npvt_small_kernelILi5E19rocblas_complex_numIdEiiPS3_EEvT1_T3_lS5_lPT2_S5_S5_
	.p2align	8
	.type	_ZN9rocsolver6v33100L23getf2_npvt_small_kernelILi5E19rocblas_complex_numIdEiiPS3_EEvT1_T3_lS5_lPT2_S5_S5_,@function
_ZN9rocsolver6v33100L23getf2_npvt_small_kernelILi5E19rocblas_complex_numIdEiiPS3_EEvT1_T3_lS5_lPT2_S5_S5_: ; @_ZN9rocsolver6v33100L23getf2_npvt_small_kernelILi5E19rocblas_complex_numIdEiiPS3_EEvT1_T3_lS5_lPT2_S5_S5_
; %bb.0:
	s_clause 0x1
	s_load_dword s0, s[4:5], 0x44
	s_load_dwordx2 s[12:13], s[4:5], 0x30
	s_waitcnt lgkmcnt(0)
	s_lshr_b32 s6, s0, 16
	s_mov_b32 s0, exec_lo
	v_mad_u64_u32 v[42:43], null, s7, s6, v[1:2]
	v_cmpx_gt_i32_e64 s12, v42
	s_cbranch_execz .LBB9_50
; %bb.1:
	s_clause 0x2
	s_load_dwordx4 s[8:11], s[4:5], 0x20
	s_load_dword s14, s[4:5], 0x18
	s_load_dwordx4 s[0:3], s[4:5], 0x8
	v_ashrrev_i32_e32 v43, 31, v42
	v_lshlrev_b32_e32 v10, 4, v0
	v_lshlrev_b32_e32 v22, 4, v1
	v_mul_u32_u24_e32 v23, 0x50, v1
	s_mulk_i32 s6, 0x50
	v_add3_u32 v1, 0, s6, v22
	v_add_nc_u32_e32 v54, 0, v23
	s_waitcnt lgkmcnt(0)
	v_mul_lo_u32 v5, s9, v42
	v_mul_lo_u32 v7, s8, v43
	v_mad_u64_u32 v[2:3], null, s8, v42, 0
	v_add3_u32 v4, s14, s14, v0
	s_lshl_b64 s[2:3], s[2:3], 4
	s_ashr_i32 s15, s14, 31
	s_lshl_b64 s[4:5], s[14:15], 4
	v_add_nc_u32_e32 v6, s14, v4
	v_add3_u32 v3, v3, v7, v5
	v_ashrrev_i32_e32 v5, 31, v4
	v_add_nc_u32_e32 v8, s14, v6
	v_lshlrev_b64 v[2:3], 4, v[2:3]
	v_ashrrev_i32_e32 v7, 31, v6
	v_lshlrev_b64 v[4:5], 4, v[4:5]
	v_ashrrev_i32_e32 v9, 31, v8
	v_add_co_u32 v2, vcc_lo, s0, v2
	v_add_co_ci_u32_e64 v3, null, s1, v3, vcc_lo
	v_lshlrev_b64 v[6:7], 4, v[6:7]
	v_add_co_u32 v11, vcc_lo, v2, s2
	v_add_co_ci_u32_e64 v12, null, s3, v3, vcc_lo
	v_lshlrev_b64 v[2:3], 4, v[8:9]
	v_add_co_u32 v50, vcc_lo, v11, v10
	v_add_co_ci_u32_e64 v51, null, 0, v12, vcc_lo
	v_add_co_u32 v48, vcc_lo, v11, v4
	v_add_co_ci_u32_e64 v49, null, v12, v5, vcc_lo
	;; [unrolled: 2-line block ×5, first 2 shown]
	s_clause 0x4
	global_load_dwordx4 v[10:13], v[48:49], off
	global_load_dwordx4 v[6:9], v[46:47], off
	;; [unrolled: 1-line block ×5, first 2 shown]
	v_cmp_ne_u32_e64 s1, 0, v0
	v_cmp_eq_u32_e64 s0, 0, v0
	s_and_saveexec_b32 s3, s0
	s_cbranch_execz .LBB9_8
; %bb.2:
	s_waitcnt vmcnt(2)
	ds_write2_b64 v1, v[18:19], v[20:21] offset1:1
	s_waitcnt vmcnt(1)
	ds_write2_b64 v54, v[14:15], v[16:17] offset0:2 offset1:3
	ds_write2_b64 v54, v[10:11], v[12:13] offset0:4 offset1:5
	;; [unrolled: 1-line block ×3, first 2 shown]
	s_waitcnt vmcnt(0)
	ds_write2_b64 v54, v[2:3], v[4:5] offset0:8 offset1:9
	ds_read2_b64 v[22:25], v1 offset1:1
	s_waitcnt lgkmcnt(0)
	v_cmp_neq_f64_e32 vcc_lo, 0, v[22:23]
	v_cmp_neq_f64_e64 s2, 0, v[24:25]
	s_or_b32 s2, vcc_lo, s2
	s_and_b32 exec_lo, exec_lo, s2
	s_cbranch_execz .LBB9_8
; %bb.3:
	v_cmp_ngt_f64_e64 s2, |v[22:23]|, |v[24:25]|
                                        ; implicit-def: $vgpr26_vgpr27
	s_and_saveexec_b32 s4, s2
	s_xor_b32 s2, exec_lo, s4
                                        ; implicit-def: $vgpr28_vgpr29
	s_cbranch_execz .LBB9_5
; %bb.4:
	v_div_scale_f64 v[26:27], null, v[24:25], v[24:25], v[22:23]
	v_div_scale_f64 v[32:33], vcc_lo, v[22:23], v[24:25], v[22:23]
	v_rcp_f64_e32 v[28:29], v[26:27]
	v_fma_f64 v[30:31], -v[26:27], v[28:29], 1.0
	v_fma_f64 v[28:29], v[28:29], v[30:31], v[28:29]
	v_fma_f64 v[30:31], -v[26:27], v[28:29], 1.0
	v_fma_f64 v[28:29], v[28:29], v[30:31], v[28:29]
	v_mul_f64 v[30:31], v[32:33], v[28:29]
	v_fma_f64 v[26:27], -v[26:27], v[30:31], v[32:33]
	v_div_fmas_f64 v[26:27], v[26:27], v[28:29], v[30:31]
	v_div_fixup_f64 v[26:27], v[26:27], v[24:25], v[22:23]
	v_fma_f64 v[22:23], v[22:23], v[26:27], v[24:25]
	v_div_scale_f64 v[24:25], null, v[22:23], v[22:23], 1.0
	v_rcp_f64_e32 v[28:29], v[24:25]
	v_fma_f64 v[30:31], -v[24:25], v[28:29], 1.0
	v_fma_f64 v[28:29], v[28:29], v[30:31], v[28:29]
	v_fma_f64 v[30:31], -v[24:25], v[28:29], 1.0
	v_fma_f64 v[28:29], v[28:29], v[30:31], v[28:29]
	v_div_scale_f64 v[30:31], vcc_lo, 1.0, v[22:23], 1.0
	v_mul_f64 v[32:33], v[30:31], v[28:29]
	v_fma_f64 v[24:25], -v[24:25], v[32:33], v[30:31]
	v_div_fmas_f64 v[24:25], v[24:25], v[28:29], v[32:33]
	v_div_fixup_f64 v[28:29], v[24:25], v[22:23], 1.0
                                        ; implicit-def: $vgpr22_vgpr23
	v_mul_f64 v[26:27], v[26:27], v[28:29]
	v_xor_b32_e32 v29, 0x80000000, v29
.LBB9_5:
	s_andn2_saveexec_b32 s2, s2
	s_cbranch_execz .LBB9_7
; %bb.6:
	v_div_scale_f64 v[26:27], null, v[22:23], v[22:23], v[24:25]
	v_div_scale_f64 v[32:33], vcc_lo, v[24:25], v[22:23], v[24:25]
	v_rcp_f64_e32 v[28:29], v[26:27]
	v_fma_f64 v[30:31], -v[26:27], v[28:29], 1.0
	v_fma_f64 v[28:29], v[28:29], v[30:31], v[28:29]
	v_fma_f64 v[30:31], -v[26:27], v[28:29], 1.0
	v_fma_f64 v[28:29], v[28:29], v[30:31], v[28:29]
	v_mul_f64 v[30:31], v[32:33], v[28:29]
	v_fma_f64 v[26:27], -v[26:27], v[30:31], v[32:33]
	v_div_fmas_f64 v[26:27], v[26:27], v[28:29], v[30:31]
	v_div_fixup_f64 v[28:29], v[26:27], v[22:23], v[24:25]
	v_fma_f64 v[22:23], v[24:25], v[28:29], v[22:23]
	v_div_scale_f64 v[24:25], null, v[22:23], v[22:23], 1.0
	v_rcp_f64_e32 v[26:27], v[24:25]
	v_fma_f64 v[30:31], -v[24:25], v[26:27], 1.0
	v_fma_f64 v[26:27], v[26:27], v[30:31], v[26:27]
	v_fma_f64 v[30:31], -v[24:25], v[26:27], 1.0
	v_fma_f64 v[26:27], v[26:27], v[30:31], v[26:27]
	v_div_scale_f64 v[30:31], vcc_lo, 1.0, v[22:23], 1.0
	v_mul_f64 v[32:33], v[30:31], v[26:27]
	v_fma_f64 v[24:25], -v[24:25], v[32:33], v[30:31]
	v_div_fmas_f64 v[24:25], v[24:25], v[26:27], v[32:33]
	v_div_fixup_f64 v[26:27], v[24:25], v[22:23], 1.0
	v_mul_f64 v[28:29], v[28:29], -v[26:27]
.LBB9_7:
	s_or_b32 exec_lo, exec_lo, s2
	ds_write2_b64 v1, v[26:27], v[28:29] offset1:1
.LBB9_8:
	s_or_b32 exec_lo, exec_lo, s3
	s_waitcnt vmcnt(0) lgkmcnt(0)
	s_barrier
	buffer_gl0_inv
	ds_read2_b64 v[22:25], v1 offset1:1
	s_and_saveexec_b32 s2, s1
	s_cbranch_execz .LBB9_10
; %bb.9:
	s_waitcnt lgkmcnt(0)
	v_mul_f64 v[26:27], v[22:23], v[20:21]
	v_mul_f64 v[20:21], v[24:25], v[20:21]
	v_fma_f64 v[30:31], v[24:25], v[18:19], v[26:27]
	ds_read2_b64 v[26:29], v54 offset0:2 offset1:3
	v_fma_f64 v[18:19], v[22:23], v[18:19], -v[20:21]
	s_waitcnt lgkmcnt(0)
	v_mul_f64 v[20:21], v[28:29], v[30:31]
	v_fma_f64 v[20:21], v[26:27], v[18:19], -v[20:21]
	v_mul_f64 v[26:27], v[26:27], v[30:31]
	v_add_f64 v[14:15], v[14:15], -v[20:21]
	v_fma_f64 v[26:27], v[28:29], v[18:19], v[26:27]
	v_add_f64 v[16:17], v[16:17], -v[26:27]
	ds_read2_b64 v[26:29], v54 offset0:4 offset1:5
	s_waitcnt lgkmcnt(0)
	v_mul_f64 v[20:21], v[28:29], v[30:31]
	v_fma_f64 v[20:21], v[26:27], v[18:19], -v[20:21]
	v_mul_f64 v[26:27], v[26:27], v[30:31]
	v_add_f64 v[10:11], v[10:11], -v[20:21]
	v_fma_f64 v[26:27], v[28:29], v[18:19], v[26:27]
	v_add_f64 v[12:13], v[12:13], -v[26:27]
	ds_read2_b64 v[26:29], v54 offset0:6 offset1:7
	;; [unrolled: 8-line block ×3, first 2 shown]
	s_waitcnt lgkmcnt(0)
	v_mul_f64 v[20:21], v[28:29], v[30:31]
	v_fma_f64 v[20:21], v[26:27], v[18:19], -v[20:21]
	v_mul_f64 v[26:27], v[26:27], v[30:31]
	v_add_f64 v[2:3], v[2:3], -v[20:21]
	v_fma_f64 v[26:27], v[28:29], v[18:19], v[26:27]
	v_mov_b32_e32 v20, v30
	v_mov_b32_e32 v21, v31
	v_add_f64 v[4:5], v[4:5], -v[26:27]
.LBB9_10:
	s_or_b32 exec_lo, exec_lo, s2
	s_mov_b32 s2, exec_lo
	s_waitcnt lgkmcnt(0)
	s_barrier
	buffer_gl0_inv
	v_cmpx_eq_u32_e32 1, v0
	s_cbranch_execz .LBB9_17
; %bb.11:
	ds_write2_b64 v1, v[14:15], v[16:17] offset1:1
	ds_write2_b64 v54, v[10:11], v[12:13] offset0:4 offset1:5
	ds_write2_b64 v54, v[6:7], v[8:9] offset0:6 offset1:7
	;; [unrolled: 1-line block ×3, first 2 shown]
	ds_read2_b64 v[26:29], v1 offset1:1
	s_waitcnt lgkmcnt(0)
	v_cmp_neq_f64_e32 vcc_lo, 0, v[26:27]
	v_cmp_neq_f64_e64 s1, 0, v[28:29]
	s_or_b32 s1, vcc_lo, s1
	s_and_b32 exec_lo, exec_lo, s1
	s_cbranch_execz .LBB9_17
; %bb.12:
	v_cmp_ngt_f64_e64 s1, |v[26:27]|, |v[28:29]|
                                        ; implicit-def: $vgpr30_vgpr31
	s_and_saveexec_b32 s3, s1
	s_xor_b32 s1, exec_lo, s3
                                        ; implicit-def: $vgpr32_vgpr33
	s_cbranch_execz .LBB9_14
; %bb.13:
	v_div_scale_f64 v[30:31], null, v[28:29], v[28:29], v[26:27]
	v_div_scale_f64 v[36:37], vcc_lo, v[26:27], v[28:29], v[26:27]
	v_rcp_f64_e32 v[32:33], v[30:31]
	v_fma_f64 v[34:35], -v[30:31], v[32:33], 1.0
	v_fma_f64 v[32:33], v[32:33], v[34:35], v[32:33]
	v_fma_f64 v[34:35], -v[30:31], v[32:33], 1.0
	v_fma_f64 v[32:33], v[32:33], v[34:35], v[32:33]
	v_mul_f64 v[34:35], v[36:37], v[32:33]
	v_fma_f64 v[30:31], -v[30:31], v[34:35], v[36:37]
	v_div_fmas_f64 v[30:31], v[30:31], v[32:33], v[34:35]
	v_div_fixup_f64 v[30:31], v[30:31], v[28:29], v[26:27]
	v_fma_f64 v[26:27], v[26:27], v[30:31], v[28:29]
	v_div_scale_f64 v[28:29], null, v[26:27], v[26:27], 1.0
	v_rcp_f64_e32 v[32:33], v[28:29]
	v_fma_f64 v[34:35], -v[28:29], v[32:33], 1.0
	v_fma_f64 v[32:33], v[32:33], v[34:35], v[32:33]
	v_fma_f64 v[34:35], -v[28:29], v[32:33], 1.0
	v_fma_f64 v[32:33], v[32:33], v[34:35], v[32:33]
	v_div_scale_f64 v[34:35], vcc_lo, 1.0, v[26:27], 1.0
	v_mul_f64 v[36:37], v[34:35], v[32:33]
	v_fma_f64 v[28:29], -v[28:29], v[36:37], v[34:35]
	v_div_fmas_f64 v[28:29], v[28:29], v[32:33], v[36:37]
	v_div_fixup_f64 v[32:33], v[28:29], v[26:27], 1.0
                                        ; implicit-def: $vgpr26_vgpr27
	v_mul_f64 v[30:31], v[30:31], v[32:33]
	v_xor_b32_e32 v33, 0x80000000, v33
.LBB9_14:
	s_andn2_saveexec_b32 s1, s1
	s_cbranch_execz .LBB9_16
; %bb.15:
	v_div_scale_f64 v[30:31], null, v[26:27], v[26:27], v[28:29]
	v_div_scale_f64 v[36:37], vcc_lo, v[28:29], v[26:27], v[28:29]
	v_rcp_f64_e32 v[32:33], v[30:31]
	v_fma_f64 v[34:35], -v[30:31], v[32:33], 1.0
	v_fma_f64 v[32:33], v[32:33], v[34:35], v[32:33]
	v_fma_f64 v[34:35], -v[30:31], v[32:33], 1.0
	v_fma_f64 v[32:33], v[32:33], v[34:35], v[32:33]
	v_mul_f64 v[34:35], v[36:37], v[32:33]
	v_fma_f64 v[30:31], -v[30:31], v[34:35], v[36:37]
	v_div_fmas_f64 v[30:31], v[30:31], v[32:33], v[34:35]
	v_div_fixup_f64 v[32:33], v[30:31], v[26:27], v[28:29]
	v_fma_f64 v[26:27], v[28:29], v[32:33], v[26:27]
	v_div_scale_f64 v[28:29], null, v[26:27], v[26:27], 1.0
	v_rcp_f64_e32 v[30:31], v[28:29]
	v_fma_f64 v[34:35], -v[28:29], v[30:31], 1.0
	v_fma_f64 v[30:31], v[30:31], v[34:35], v[30:31]
	v_fma_f64 v[34:35], -v[28:29], v[30:31], 1.0
	v_fma_f64 v[30:31], v[30:31], v[34:35], v[30:31]
	v_div_scale_f64 v[34:35], vcc_lo, 1.0, v[26:27], 1.0
	v_mul_f64 v[36:37], v[34:35], v[30:31]
	v_fma_f64 v[28:29], -v[28:29], v[36:37], v[34:35]
	v_div_fmas_f64 v[28:29], v[28:29], v[30:31], v[36:37]
	v_div_fixup_f64 v[30:31], v[28:29], v[26:27], 1.0
	v_mul_f64 v[32:33], v[32:33], -v[30:31]
.LBB9_16:
	s_or_b32 exec_lo, exec_lo, s1
	ds_write2_b64 v1, v[30:31], v[32:33] offset1:1
.LBB9_17:
	s_or_b32 exec_lo, exec_lo, s2
	s_waitcnt lgkmcnt(0)
	s_barrier
	buffer_gl0_inv
	ds_read2_b64 v[26:29], v1 offset1:1
	s_mov_b32 s1, exec_lo
	v_cmpx_lt_u32_e32 1, v0
	s_cbranch_execz .LBB9_19
; %bb.18:
	s_waitcnt lgkmcnt(0)
	v_mul_f64 v[30:31], v[26:27], v[16:17]
	v_mul_f64 v[16:17], v[28:29], v[16:17]
	v_fma_f64 v[34:35], v[28:29], v[14:15], v[30:31]
	ds_read2_b64 v[30:33], v54 offset0:4 offset1:5
	v_fma_f64 v[14:15], v[26:27], v[14:15], -v[16:17]
	s_waitcnt lgkmcnt(0)
	v_mul_f64 v[16:17], v[32:33], v[34:35]
	v_fma_f64 v[16:17], v[30:31], v[14:15], -v[16:17]
	v_mul_f64 v[30:31], v[30:31], v[34:35]
	v_add_f64 v[10:11], v[10:11], -v[16:17]
	v_fma_f64 v[30:31], v[32:33], v[14:15], v[30:31]
	v_add_f64 v[12:13], v[12:13], -v[30:31]
	ds_read2_b64 v[30:33], v54 offset0:6 offset1:7
	s_waitcnt lgkmcnt(0)
	v_mul_f64 v[16:17], v[32:33], v[34:35]
	v_fma_f64 v[16:17], v[30:31], v[14:15], -v[16:17]
	v_mul_f64 v[30:31], v[30:31], v[34:35]
	v_add_f64 v[6:7], v[6:7], -v[16:17]
	v_fma_f64 v[30:31], v[32:33], v[14:15], v[30:31]
	v_add_f64 v[8:9], v[8:9], -v[30:31]
	ds_read2_b64 v[30:33], v54 offset0:8 offset1:9
	s_waitcnt lgkmcnt(0)
	v_mul_f64 v[16:17], v[32:33], v[34:35]
	v_fma_f64 v[16:17], v[30:31], v[14:15], -v[16:17]
	v_mul_f64 v[30:31], v[30:31], v[34:35]
	v_add_f64 v[2:3], v[2:3], -v[16:17]
	v_fma_f64 v[30:31], v[32:33], v[14:15], v[30:31]
	v_mov_b32_e32 v16, v34
	v_mov_b32_e32 v17, v35
	v_add_f64 v[4:5], v[4:5], -v[30:31]
.LBB9_19:
	s_or_b32 exec_lo, exec_lo, s1
	s_mov_b32 s2, exec_lo
	s_waitcnt lgkmcnt(0)
	s_barrier
	buffer_gl0_inv
	v_cmpx_eq_u32_e32 2, v0
	s_cbranch_execz .LBB9_26
; %bb.20:
	ds_write2_b64 v1, v[10:11], v[12:13] offset1:1
	ds_write2_b64 v54, v[6:7], v[8:9] offset0:6 offset1:7
	ds_write2_b64 v54, v[2:3], v[4:5] offset0:8 offset1:9
	ds_read2_b64 v[30:33], v1 offset1:1
	s_waitcnt lgkmcnt(0)
	v_cmp_neq_f64_e32 vcc_lo, 0, v[30:31]
	v_cmp_neq_f64_e64 s1, 0, v[32:33]
	s_or_b32 s1, vcc_lo, s1
	s_and_b32 exec_lo, exec_lo, s1
	s_cbranch_execz .LBB9_26
; %bb.21:
	v_cmp_ngt_f64_e64 s1, |v[30:31]|, |v[32:33]|
                                        ; implicit-def: $vgpr34_vgpr35
	s_and_saveexec_b32 s3, s1
	s_xor_b32 s1, exec_lo, s3
                                        ; implicit-def: $vgpr36_vgpr37
	s_cbranch_execz .LBB9_23
; %bb.22:
	v_div_scale_f64 v[34:35], null, v[32:33], v[32:33], v[30:31]
	v_div_scale_f64 v[40:41], vcc_lo, v[30:31], v[32:33], v[30:31]
	v_rcp_f64_e32 v[36:37], v[34:35]
	v_fma_f64 v[38:39], -v[34:35], v[36:37], 1.0
	v_fma_f64 v[36:37], v[36:37], v[38:39], v[36:37]
	v_fma_f64 v[38:39], -v[34:35], v[36:37], 1.0
	v_fma_f64 v[36:37], v[36:37], v[38:39], v[36:37]
	v_mul_f64 v[38:39], v[40:41], v[36:37]
	v_fma_f64 v[34:35], -v[34:35], v[38:39], v[40:41]
	v_div_fmas_f64 v[34:35], v[34:35], v[36:37], v[38:39]
	v_div_fixup_f64 v[34:35], v[34:35], v[32:33], v[30:31]
	v_fma_f64 v[30:31], v[30:31], v[34:35], v[32:33]
	v_div_scale_f64 v[32:33], null, v[30:31], v[30:31], 1.0
	v_rcp_f64_e32 v[36:37], v[32:33]
	v_fma_f64 v[38:39], -v[32:33], v[36:37], 1.0
	v_fma_f64 v[36:37], v[36:37], v[38:39], v[36:37]
	v_fma_f64 v[38:39], -v[32:33], v[36:37], 1.0
	v_fma_f64 v[36:37], v[36:37], v[38:39], v[36:37]
	v_div_scale_f64 v[38:39], vcc_lo, 1.0, v[30:31], 1.0
	v_mul_f64 v[40:41], v[38:39], v[36:37]
	v_fma_f64 v[32:33], -v[32:33], v[40:41], v[38:39]
	v_div_fmas_f64 v[32:33], v[32:33], v[36:37], v[40:41]
	v_div_fixup_f64 v[36:37], v[32:33], v[30:31], 1.0
                                        ; implicit-def: $vgpr30_vgpr31
	v_mul_f64 v[34:35], v[34:35], v[36:37]
	v_xor_b32_e32 v37, 0x80000000, v37
.LBB9_23:
	s_andn2_saveexec_b32 s1, s1
	s_cbranch_execz .LBB9_25
; %bb.24:
	v_div_scale_f64 v[34:35], null, v[30:31], v[30:31], v[32:33]
	v_div_scale_f64 v[40:41], vcc_lo, v[32:33], v[30:31], v[32:33]
	v_rcp_f64_e32 v[36:37], v[34:35]
	v_fma_f64 v[38:39], -v[34:35], v[36:37], 1.0
	v_fma_f64 v[36:37], v[36:37], v[38:39], v[36:37]
	v_fma_f64 v[38:39], -v[34:35], v[36:37], 1.0
	v_fma_f64 v[36:37], v[36:37], v[38:39], v[36:37]
	v_mul_f64 v[38:39], v[40:41], v[36:37]
	v_fma_f64 v[34:35], -v[34:35], v[38:39], v[40:41]
	v_div_fmas_f64 v[34:35], v[34:35], v[36:37], v[38:39]
	v_div_fixup_f64 v[36:37], v[34:35], v[30:31], v[32:33]
	v_fma_f64 v[30:31], v[32:33], v[36:37], v[30:31]
	v_div_scale_f64 v[32:33], null, v[30:31], v[30:31], 1.0
	v_rcp_f64_e32 v[34:35], v[32:33]
	v_fma_f64 v[38:39], -v[32:33], v[34:35], 1.0
	v_fma_f64 v[34:35], v[34:35], v[38:39], v[34:35]
	v_fma_f64 v[38:39], -v[32:33], v[34:35], 1.0
	v_fma_f64 v[34:35], v[34:35], v[38:39], v[34:35]
	v_div_scale_f64 v[38:39], vcc_lo, 1.0, v[30:31], 1.0
	v_mul_f64 v[40:41], v[38:39], v[34:35]
	v_fma_f64 v[32:33], -v[32:33], v[40:41], v[38:39]
	v_div_fmas_f64 v[32:33], v[32:33], v[34:35], v[40:41]
	v_div_fixup_f64 v[34:35], v[32:33], v[30:31], 1.0
	v_mul_f64 v[36:37], v[36:37], -v[34:35]
.LBB9_25:
	s_or_b32 exec_lo, exec_lo, s1
	ds_write2_b64 v1, v[34:35], v[36:37] offset1:1
.LBB9_26:
	s_or_b32 exec_lo, exec_lo, s2
	s_waitcnt lgkmcnt(0)
	s_barrier
	buffer_gl0_inv
	ds_read2_b64 v[30:33], v1 offset1:1
	s_mov_b32 s1, exec_lo
	v_cmpx_lt_u32_e32 2, v0
	s_cbranch_execz .LBB9_28
; %bb.27:
	s_waitcnt lgkmcnt(0)
	v_mul_f64 v[34:35], v[30:31], v[12:13]
	v_mul_f64 v[12:13], v[32:33], v[12:13]
	v_fma_f64 v[38:39], v[32:33], v[10:11], v[34:35]
	ds_read2_b64 v[34:37], v54 offset0:6 offset1:7
	v_fma_f64 v[10:11], v[30:31], v[10:11], -v[12:13]
	s_waitcnt lgkmcnt(0)
	v_mul_f64 v[12:13], v[36:37], v[38:39]
	v_fma_f64 v[12:13], v[34:35], v[10:11], -v[12:13]
	v_mul_f64 v[34:35], v[34:35], v[38:39]
	v_add_f64 v[6:7], v[6:7], -v[12:13]
	v_fma_f64 v[34:35], v[36:37], v[10:11], v[34:35]
	v_add_f64 v[8:9], v[8:9], -v[34:35]
	ds_read2_b64 v[34:37], v54 offset0:8 offset1:9
	s_waitcnt lgkmcnt(0)
	v_mul_f64 v[12:13], v[36:37], v[38:39]
	v_fma_f64 v[12:13], v[34:35], v[10:11], -v[12:13]
	v_mul_f64 v[34:35], v[34:35], v[38:39]
	v_add_f64 v[2:3], v[2:3], -v[12:13]
	v_fma_f64 v[34:35], v[36:37], v[10:11], v[34:35]
	v_mov_b32_e32 v12, v38
	v_mov_b32_e32 v13, v39
	v_add_f64 v[4:5], v[4:5], -v[34:35]
.LBB9_28:
	s_or_b32 exec_lo, exec_lo, s1
	s_mov_b32 s2, exec_lo
	s_waitcnt lgkmcnt(0)
	s_barrier
	buffer_gl0_inv
	v_cmpx_eq_u32_e32 3, v0
	s_cbranch_execz .LBB9_35
; %bb.29:
	ds_write2_b64 v1, v[6:7], v[8:9] offset1:1
	ds_write2_b64 v54, v[2:3], v[4:5] offset0:8 offset1:9
	ds_read2_b64 v[34:37], v1 offset1:1
	s_waitcnt lgkmcnt(0)
	v_cmp_neq_f64_e32 vcc_lo, 0, v[34:35]
	v_cmp_neq_f64_e64 s1, 0, v[36:37]
	s_or_b32 s1, vcc_lo, s1
	s_and_b32 exec_lo, exec_lo, s1
	s_cbranch_execz .LBB9_35
; %bb.30:
	v_cmp_ngt_f64_e64 s1, |v[34:35]|, |v[36:37]|
                                        ; implicit-def: $vgpr38_vgpr39
	s_and_saveexec_b32 s3, s1
	s_xor_b32 s1, exec_lo, s3
                                        ; implicit-def: $vgpr40_vgpr41
	s_cbranch_execz .LBB9_32
; %bb.31:
	v_div_scale_f64 v[38:39], null, v[36:37], v[36:37], v[34:35]
	v_div_scale_f64 v[57:58], vcc_lo, v[34:35], v[36:37], v[34:35]
	v_rcp_f64_e32 v[40:41], v[38:39]
	v_fma_f64 v[55:56], -v[38:39], v[40:41], 1.0
	v_fma_f64 v[40:41], v[40:41], v[55:56], v[40:41]
	v_fma_f64 v[55:56], -v[38:39], v[40:41], 1.0
	v_fma_f64 v[40:41], v[40:41], v[55:56], v[40:41]
	v_mul_f64 v[55:56], v[57:58], v[40:41]
	v_fma_f64 v[38:39], -v[38:39], v[55:56], v[57:58]
	v_div_fmas_f64 v[38:39], v[38:39], v[40:41], v[55:56]
	v_div_fixup_f64 v[38:39], v[38:39], v[36:37], v[34:35]
	v_fma_f64 v[34:35], v[34:35], v[38:39], v[36:37]
	v_div_scale_f64 v[36:37], null, v[34:35], v[34:35], 1.0
	v_rcp_f64_e32 v[40:41], v[36:37]
	v_fma_f64 v[55:56], -v[36:37], v[40:41], 1.0
	v_fma_f64 v[40:41], v[40:41], v[55:56], v[40:41]
	v_fma_f64 v[55:56], -v[36:37], v[40:41], 1.0
	v_fma_f64 v[40:41], v[40:41], v[55:56], v[40:41]
	v_div_scale_f64 v[55:56], vcc_lo, 1.0, v[34:35], 1.0
	v_mul_f64 v[57:58], v[55:56], v[40:41]
	v_fma_f64 v[36:37], -v[36:37], v[57:58], v[55:56]
	v_div_fmas_f64 v[36:37], v[36:37], v[40:41], v[57:58]
	v_div_fixup_f64 v[40:41], v[36:37], v[34:35], 1.0
                                        ; implicit-def: $vgpr34_vgpr35
	v_mul_f64 v[38:39], v[38:39], v[40:41]
	v_xor_b32_e32 v41, 0x80000000, v41
.LBB9_32:
	s_andn2_saveexec_b32 s1, s1
	s_cbranch_execz .LBB9_34
; %bb.33:
	v_div_scale_f64 v[38:39], null, v[34:35], v[34:35], v[36:37]
	v_div_scale_f64 v[57:58], vcc_lo, v[36:37], v[34:35], v[36:37]
	v_rcp_f64_e32 v[40:41], v[38:39]
	v_fma_f64 v[55:56], -v[38:39], v[40:41], 1.0
	v_fma_f64 v[40:41], v[40:41], v[55:56], v[40:41]
	v_fma_f64 v[55:56], -v[38:39], v[40:41], 1.0
	v_fma_f64 v[40:41], v[40:41], v[55:56], v[40:41]
	v_mul_f64 v[55:56], v[57:58], v[40:41]
	v_fma_f64 v[38:39], -v[38:39], v[55:56], v[57:58]
	v_div_fmas_f64 v[38:39], v[38:39], v[40:41], v[55:56]
	v_div_fixup_f64 v[40:41], v[38:39], v[34:35], v[36:37]
	v_fma_f64 v[34:35], v[36:37], v[40:41], v[34:35]
	v_div_scale_f64 v[36:37], null, v[34:35], v[34:35], 1.0
	v_rcp_f64_e32 v[38:39], v[36:37]
	v_fma_f64 v[55:56], -v[36:37], v[38:39], 1.0
	v_fma_f64 v[38:39], v[38:39], v[55:56], v[38:39]
	v_fma_f64 v[55:56], -v[36:37], v[38:39], 1.0
	v_fma_f64 v[38:39], v[38:39], v[55:56], v[38:39]
	v_div_scale_f64 v[55:56], vcc_lo, 1.0, v[34:35], 1.0
	v_mul_f64 v[57:58], v[55:56], v[38:39]
	v_fma_f64 v[36:37], -v[36:37], v[57:58], v[55:56]
	v_div_fmas_f64 v[36:37], v[36:37], v[38:39], v[57:58]
	v_div_fixup_f64 v[38:39], v[36:37], v[34:35], 1.0
	v_mul_f64 v[40:41], v[40:41], -v[38:39]
.LBB9_34:
	s_or_b32 exec_lo, exec_lo, s1
	ds_write2_b64 v1, v[38:39], v[40:41] offset1:1
.LBB9_35:
	s_or_b32 exec_lo, exec_lo, s2
	s_waitcnt lgkmcnt(0)
	s_barrier
	buffer_gl0_inv
	ds_read2_b64 v[34:37], v1 offset1:1
	s_mov_b32 s1, exec_lo
	v_cmpx_lt_u32_e32 3, v0
	s_cbranch_execz .LBB9_37
; %bb.36:
	s_waitcnt lgkmcnt(0)
	v_mul_f64 v[38:39], v[34:35], v[8:9]
	v_mul_f64 v[8:9], v[36:37], v[8:9]
	v_fma_f64 v[55:56], v[36:37], v[6:7], v[38:39]
	ds_read2_b64 v[38:41], v54 offset0:8 offset1:9
	v_fma_f64 v[6:7], v[34:35], v[6:7], -v[8:9]
	s_waitcnt lgkmcnt(0)
	v_mul_f64 v[8:9], v[40:41], v[55:56]
	v_mul_f64 v[57:58], v[38:39], v[55:56]
	v_fma_f64 v[8:9], v[38:39], v[6:7], -v[8:9]
	v_fma_f64 v[38:39], v[40:41], v[6:7], v[57:58]
	v_add_f64 v[2:3], v[2:3], -v[8:9]
	v_add_f64 v[4:5], v[4:5], -v[38:39]
	v_mov_b32_e32 v8, v55
	v_mov_b32_e32 v9, v56
.LBB9_37:
	s_or_b32 exec_lo, exec_lo, s1
	s_mov_b32 s2, exec_lo
	s_waitcnt lgkmcnt(0)
	s_barrier
	buffer_gl0_inv
	v_cmpx_eq_u32_e32 4, v0
	s_cbranch_execz .LBB9_44
; %bb.38:
	v_cmp_neq_f64_e32 vcc_lo, 0, v[2:3]
	v_cmp_neq_f64_e64 s1, 0, v[4:5]
	ds_write2_b64 v1, v[2:3], v[4:5] offset1:1
	s_or_b32 s1, vcc_lo, s1
	s_and_b32 exec_lo, exec_lo, s1
	s_cbranch_execz .LBB9_44
; %bb.39:
	v_cmp_ngt_f64_e64 s1, |v[2:3]|, |v[4:5]|
                                        ; implicit-def: $vgpr38_vgpr39
	s_and_saveexec_b32 s3, s1
	s_xor_b32 s1, exec_lo, s3
                                        ; implicit-def: $vgpr40_vgpr41
	s_cbranch_execz .LBB9_41
; %bb.40:
	v_div_scale_f64 v[38:39], null, v[4:5], v[4:5], v[2:3]
	v_div_scale_f64 v[56:57], vcc_lo, v[2:3], v[4:5], v[2:3]
	v_rcp_f64_e32 v[40:41], v[38:39]
	v_fma_f64 v[54:55], -v[38:39], v[40:41], 1.0
	v_fma_f64 v[40:41], v[40:41], v[54:55], v[40:41]
	v_fma_f64 v[54:55], -v[38:39], v[40:41], 1.0
	v_fma_f64 v[40:41], v[40:41], v[54:55], v[40:41]
	v_mul_f64 v[54:55], v[56:57], v[40:41]
	v_fma_f64 v[38:39], -v[38:39], v[54:55], v[56:57]
	v_div_fmas_f64 v[38:39], v[38:39], v[40:41], v[54:55]
	v_div_fixup_f64 v[38:39], v[38:39], v[4:5], v[2:3]
	v_fma_f64 v[40:41], v[2:3], v[38:39], v[4:5]
	v_div_scale_f64 v[54:55], null, v[40:41], v[40:41], 1.0
	v_rcp_f64_e32 v[56:57], v[54:55]
	v_fma_f64 v[58:59], -v[54:55], v[56:57], 1.0
	v_fma_f64 v[56:57], v[56:57], v[58:59], v[56:57]
	v_fma_f64 v[58:59], -v[54:55], v[56:57], 1.0
	v_fma_f64 v[56:57], v[56:57], v[58:59], v[56:57]
	v_div_scale_f64 v[58:59], vcc_lo, 1.0, v[40:41], 1.0
	v_mul_f64 v[60:61], v[58:59], v[56:57]
	v_fma_f64 v[54:55], -v[54:55], v[60:61], v[58:59]
	v_div_fmas_f64 v[54:55], v[54:55], v[56:57], v[60:61]
	v_div_fixup_f64 v[40:41], v[54:55], v[40:41], 1.0
	v_mul_f64 v[38:39], v[38:39], v[40:41]
	v_xor_b32_e32 v41, 0x80000000, v41
.LBB9_41:
	s_andn2_saveexec_b32 s1, s1
	s_cbranch_execz .LBB9_43
; %bb.42:
	v_div_scale_f64 v[38:39], null, v[2:3], v[2:3], v[4:5]
	v_div_scale_f64 v[56:57], vcc_lo, v[4:5], v[2:3], v[4:5]
	v_rcp_f64_e32 v[40:41], v[38:39]
	v_fma_f64 v[54:55], -v[38:39], v[40:41], 1.0
	v_fma_f64 v[40:41], v[40:41], v[54:55], v[40:41]
	v_fma_f64 v[54:55], -v[38:39], v[40:41], 1.0
	v_fma_f64 v[40:41], v[40:41], v[54:55], v[40:41]
	v_mul_f64 v[54:55], v[56:57], v[40:41]
	v_fma_f64 v[38:39], -v[38:39], v[54:55], v[56:57]
	v_div_fmas_f64 v[38:39], v[38:39], v[40:41], v[54:55]
	v_div_fixup_f64 v[40:41], v[38:39], v[2:3], v[4:5]
	v_fma_f64 v[38:39], v[4:5], v[40:41], v[2:3]
	v_div_scale_f64 v[54:55], null, v[38:39], v[38:39], 1.0
	v_rcp_f64_e32 v[56:57], v[54:55]
	v_fma_f64 v[58:59], -v[54:55], v[56:57], 1.0
	v_fma_f64 v[56:57], v[56:57], v[58:59], v[56:57]
	v_fma_f64 v[58:59], -v[54:55], v[56:57], 1.0
	v_fma_f64 v[56:57], v[56:57], v[58:59], v[56:57]
	v_div_scale_f64 v[58:59], vcc_lo, 1.0, v[38:39], 1.0
	v_mul_f64 v[60:61], v[58:59], v[56:57]
	v_fma_f64 v[54:55], -v[54:55], v[60:61], v[58:59]
	v_div_fmas_f64 v[54:55], v[54:55], v[56:57], v[60:61]
	v_div_fixup_f64 v[38:39], v[54:55], v[38:39], 1.0
	v_mul_f64 v[40:41], v[40:41], -v[38:39]
.LBB9_43:
	s_or_b32 exec_lo, exec_lo, s1
	ds_write2_b64 v1, v[38:39], v[40:41] offset1:1
.LBB9_44:
	s_or_b32 exec_lo, exec_lo, s2
	s_waitcnt lgkmcnt(0)
	s_barrier
	buffer_gl0_inv
	ds_read2_b64 v[38:41], v1 offset1:1
	s_mov_b32 s1, exec_lo
	v_cmpx_lt_u32_e32 4, v0
	s_cbranch_execz .LBB9_46
; %bb.45:
	s_waitcnt lgkmcnt(0)
	v_mul_f64 v[0:1], v[40:41], v[4:5]
	v_mul_f64 v[4:5], v[38:39], v[4:5]
	v_fma_f64 v[0:1], v[38:39], v[2:3], -v[0:1]
	v_fma_f64 v[4:5], v[40:41], v[2:3], v[4:5]
	v_mov_b32_e32 v3, v1
	v_mov_b32_e32 v2, v0
.LBB9_46:
	s_or_b32 exec_lo, exec_lo, s1
	s_waitcnt lgkmcnt(0)
	s_barrier
	buffer_gl0_inv
	s_and_saveexec_b32 s6, s0
	s_cbranch_execz .LBB9_49
; %bb.47:
	v_lshlrev_b64 v[0:1], 2, v[42:43]
	v_cmp_eq_f64_e64 s0, 0, v[24:25]
	v_cmp_neq_f64_e64 s1, 0, v[26:27]
	v_cmp_neq_f64_e64 s2, 0, v[28:29]
	v_cmp_eq_f64_e64 s3, 0, v[30:31]
	v_cmp_eq_f64_e64 s4, 0, v[32:33]
	v_add_co_u32 v0, vcc_lo, s10, v0
	v_add_co_ci_u32_e64 v1, null, s11, v1, vcc_lo
	v_cmp_eq_f64_e32 vcc_lo, 0, v[22:23]
	v_cmp_eq_f64_e64 s5, 0, v[34:35]
	global_load_dword v42, v[0:1], off
	s_or_b32 s1, s1, s2
	v_cmp_eq_f64_e64 s2, 0, v[40:41]
	s_and_b32 s3, s3, s4
	s_and_b32 s0, vcc_lo, s0
	v_cmp_eq_f64_e32 vcc_lo, 0, v[36:37]
	v_cndmask_b32_e64 v22, 0, 1, s0
	s_or_b32 s0, s1, s0
	v_cmp_eq_f64_e64 s1, 0, v[38:39]
	v_cndmask_b32_e64 v22, 2, v22, s0
	v_cmp_eq_u32_e64 s0, 0, v22
	s_and_b32 s0, s3, s0
	v_cndmask_b32_e64 v22, v22, 3, s0
	s_and_b32 s3, s5, vcc_lo
	v_cmp_eq_u32_e64 s0, 0, v22
	s_and_b32 s0, s3, s0
	v_cndmask_b32_e64 v22, v22, 4, s0
	s_and_b32 s0, s1, s2
	v_cmp_eq_u32_e32 vcc_lo, 0, v22
	s_and_b32 s0, s0, vcc_lo
	v_cndmask_b32_e64 v22, v22, 5, s0
	v_cmp_ne_u32_e64 s0, 0, v22
	s_waitcnt vmcnt(0)
	v_cmp_eq_u32_e32 vcc_lo, 0, v42
	s_and_b32 s0, vcc_lo, s0
	s_and_b32 exec_lo, exec_lo, s0
	s_cbranch_execz .LBB9_49
; %bb.48:
	v_add_nc_u32_e32 v22, s13, v22
	global_store_dword v[0:1], v22, off
.LBB9_49:
	s_or_b32 exec_lo, exec_lo, s6
	global_store_dwordx4 v[50:51], v[18:21], off
	global_store_dwordx4 v[52:53], v[14:17], off
	;; [unrolled: 1-line block ×5, first 2 shown]
.LBB9_50:
	s_endpgm
	.section	.rodata,"a",@progbits
	.p2align	6, 0x0
	.amdhsa_kernel _ZN9rocsolver6v33100L23getf2_npvt_small_kernelILi5E19rocblas_complex_numIdEiiPS3_EEvT1_T3_lS5_lPT2_S5_S5_
		.amdhsa_group_segment_fixed_size 0
		.amdhsa_private_segment_fixed_size 0
		.amdhsa_kernarg_size 312
		.amdhsa_user_sgpr_count 6
		.amdhsa_user_sgpr_private_segment_buffer 1
		.amdhsa_user_sgpr_dispatch_ptr 0
		.amdhsa_user_sgpr_queue_ptr 0
		.amdhsa_user_sgpr_kernarg_segment_ptr 1
		.amdhsa_user_sgpr_dispatch_id 0
		.amdhsa_user_sgpr_flat_scratch_init 0
		.amdhsa_user_sgpr_private_segment_size 0
		.amdhsa_wavefront_size32 1
		.amdhsa_uses_dynamic_stack 0
		.amdhsa_system_sgpr_private_segment_wavefront_offset 0
		.amdhsa_system_sgpr_workgroup_id_x 1
		.amdhsa_system_sgpr_workgroup_id_y 1
		.amdhsa_system_sgpr_workgroup_id_z 0
		.amdhsa_system_sgpr_workgroup_info 0
		.amdhsa_system_vgpr_workitem_id 1
		.amdhsa_next_free_vgpr 62
		.amdhsa_next_free_sgpr 16
		.amdhsa_reserve_vcc 1
		.amdhsa_reserve_flat_scratch 0
		.amdhsa_float_round_mode_32 0
		.amdhsa_float_round_mode_16_64 0
		.amdhsa_float_denorm_mode_32 3
		.amdhsa_float_denorm_mode_16_64 3
		.amdhsa_dx10_clamp 1
		.amdhsa_ieee_mode 1
		.amdhsa_fp16_overflow 0
		.amdhsa_workgroup_processor_mode 1
		.amdhsa_memory_ordered 1
		.amdhsa_forward_progress 1
		.amdhsa_shared_vgpr_count 0
		.amdhsa_exception_fp_ieee_invalid_op 0
		.amdhsa_exception_fp_denorm_src 0
		.amdhsa_exception_fp_ieee_div_zero 0
		.amdhsa_exception_fp_ieee_overflow 0
		.amdhsa_exception_fp_ieee_underflow 0
		.amdhsa_exception_fp_ieee_inexact 0
		.amdhsa_exception_int_div_zero 0
	.end_amdhsa_kernel
	.section	.text._ZN9rocsolver6v33100L23getf2_npvt_small_kernelILi5E19rocblas_complex_numIdEiiPS3_EEvT1_T3_lS5_lPT2_S5_S5_,"axG",@progbits,_ZN9rocsolver6v33100L23getf2_npvt_small_kernelILi5E19rocblas_complex_numIdEiiPS3_EEvT1_T3_lS5_lPT2_S5_S5_,comdat
.Lfunc_end9:
	.size	_ZN9rocsolver6v33100L23getf2_npvt_small_kernelILi5E19rocblas_complex_numIdEiiPS3_EEvT1_T3_lS5_lPT2_S5_S5_, .Lfunc_end9-_ZN9rocsolver6v33100L23getf2_npvt_small_kernelILi5E19rocblas_complex_numIdEiiPS3_EEvT1_T3_lS5_lPT2_S5_S5_
                                        ; -- End function
	.set _ZN9rocsolver6v33100L23getf2_npvt_small_kernelILi5E19rocblas_complex_numIdEiiPS3_EEvT1_T3_lS5_lPT2_S5_S5_.num_vgpr, 62
	.set _ZN9rocsolver6v33100L23getf2_npvt_small_kernelILi5E19rocblas_complex_numIdEiiPS3_EEvT1_T3_lS5_lPT2_S5_S5_.num_agpr, 0
	.set _ZN9rocsolver6v33100L23getf2_npvt_small_kernelILi5E19rocblas_complex_numIdEiiPS3_EEvT1_T3_lS5_lPT2_S5_S5_.numbered_sgpr, 16
	.set _ZN9rocsolver6v33100L23getf2_npvt_small_kernelILi5E19rocblas_complex_numIdEiiPS3_EEvT1_T3_lS5_lPT2_S5_S5_.num_named_barrier, 0
	.set _ZN9rocsolver6v33100L23getf2_npvt_small_kernelILi5E19rocblas_complex_numIdEiiPS3_EEvT1_T3_lS5_lPT2_S5_S5_.private_seg_size, 0
	.set _ZN9rocsolver6v33100L23getf2_npvt_small_kernelILi5E19rocblas_complex_numIdEiiPS3_EEvT1_T3_lS5_lPT2_S5_S5_.uses_vcc, 1
	.set _ZN9rocsolver6v33100L23getf2_npvt_small_kernelILi5E19rocblas_complex_numIdEiiPS3_EEvT1_T3_lS5_lPT2_S5_S5_.uses_flat_scratch, 0
	.set _ZN9rocsolver6v33100L23getf2_npvt_small_kernelILi5E19rocblas_complex_numIdEiiPS3_EEvT1_T3_lS5_lPT2_S5_S5_.has_dyn_sized_stack, 0
	.set _ZN9rocsolver6v33100L23getf2_npvt_small_kernelILi5E19rocblas_complex_numIdEiiPS3_EEvT1_T3_lS5_lPT2_S5_S5_.has_recursion, 0
	.set _ZN9rocsolver6v33100L23getf2_npvt_small_kernelILi5E19rocblas_complex_numIdEiiPS3_EEvT1_T3_lS5_lPT2_S5_S5_.has_indirect_call, 0
	.section	.AMDGPU.csdata,"",@progbits
; Kernel info:
; codeLenInByte = 4244
; TotalNumSgprs: 18
; NumVgprs: 62
; ScratchSize: 0
; MemoryBound: 0
; FloatMode: 240
; IeeeMode: 1
; LDSByteSize: 0 bytes/workgroup (compile time only)
; SGPRBlocks: 0
; VGPRBlocks: 7
; NumSGPRsForWavesPerEU: 18
; NumVGPRsForWavesPerEU: 62
; Occupancy: 16
; WaveLimiterHint : 0
; COMPUTE_PGM_RSRC2:SCRATCH_EN: 0
; COMPUTE_PGM_RSRC2:USER_SGPR: 6
; COMPUTE_PGM_RSRC2:TRAP_HANDLER: 0
; COMPUTE_PGM_RSRC2:TGID_X_EN: 1
; COMPUTE_PGM_RSRC2:TGID_Y_EN: 1
; COMPUTE_PGM_RSRC2:TGID_Z_EN: 0
; COMPUTE_PGM_RSRC2:TIDIG_COMP_CNT: 1
	.section	.text._ZN9rocsolver6v33100L18getf2_small_kernelILi6E19rocblas_complex_numIdEiiPS3_EEvT1_T3_lS5_lPS5_llPT2_S5_S5_S7_l,"axG",@progbits,_ZN9rocsolver6v33100L18getf2_small_kernelILi6E19rocblas_complex_numIdEiiPS3_EEvT1_T3_lS5_lPS5_llPT2_S5_S5_S7_l,comdat
	.globl	_ZN9rocsolver6v33100L18getf2_small_kernelILi6E19rocblas_complex_numIdEiiPS3_EEvT1_T3_lS5_lPS5_llPT2_S5_S5_S7_l ; -- Begin function _ZN9rocsolver6v33100L18getf2_small_kernelILi6E19rocblas_complex_numIdEiiPS3_EEvT1_T3_lS5_lPS5_llPT2_S5_S5_S7_l
	.p2align	8
	.type	_ZN9rocsolver6v33100L18getf2_small_kernelILi6E19rocblas_complex_numIdEiiPS3_EEvT1_T3_lS5_lPS5_llPT2_S5_S5_S7_l,@function
_ZN9rocsolver6v33100L18getf2_small_kernelILi6E19rocblas_complex_numIdEiiPS3_EEvT1_T3_lS5_lPS5_llPT2_S5_S5_S7_l: ; @_ZN9rocsolver6v33100L18getf2_small_kernelILi6E19rocblas_complex_numIdEiiPS3_EEvT1_T3_lS5_lPS5_llPT2_S5_S5_S7_l
; %bb.0:
	s_clause 0x1
	s_load_dword s0, s[4:5], 0x6c
	s_load_dwordx2 s[16:17], s[4:5], 0x48
	s_waitcnt lgkmcnt(0)
	s_lshr_b32 s0, s0, 16
	v_mad_u64_u32 v[30:31], null, s7, s0, v[1:2]
	s_mov_b32 s0, exec_lo
	v_cmpx_gt_i32_e64 s16, v30
	s_cbranch_execz .LBB10_129
; %bb.1:
	s_load_dwordx4 s[0:3], s[4:5], 0x50
	v_mov_b32_e32 v32, 0
	v_ashrrev_i32_e32 v31, 31, v30
	v_mov_b32_e32 v33, 0
	s_waitcnt lgkmcnt(0)
	s_cmp_eq_u64 s[0:1], 0
	s_cselect_b32 s16, -1, 0
	s_and_b32 vcc_lo, exec_lo, s16
	s_cbranch_vccnz .LBB10_3
; %bb.2:
	v_mul_lo_u32 v4, s3, v30
	v_mul_lo_u32 v5, s2, v31
	v_mad_u64_u32 v[2:3], null, s2, v30, 0
	v_add3_u32 v3, v3, v5, v4
	v_lshlrev_b64 v[2:3], 2, v[2:3]
	v_add_co_u32 v32, vcc_lo, s0, v2
	v_add_co_ci_u32_e64 v33, null, s1, v3, vcc_lo
.LBB10_3:
	s_clause 0x2
	s_load_dwordx8 s[8:15], s[4:5], 0x20
	s_load_dword s6, s[4:5], 0x18
	s_load_dwordx4 s[0:3], s[4:5], 0x8
	v_lshlrev_b32_e32 v26, 4, v0
	v_mov_b32_e32 v34, 0
	s_waitcnt lgkmcnt(0)
	v_mul_lo_u32 v5, s9, v30
	v_mul_lo_u32 v7, s8, v31
	v_mad_u64_u32 v[2:3], null, s8, v30, 0
	v_add3_u32 v4, s6, s6, v0
	s_lshl_b64 s[8:9], s[2:3], 4
	s_ashr_i32 s7, s6, 31
	s_lshl_b64 s[2:3], s[6:7], 4
	v_add_nc_u32_e32 v6, s6, v4
	v_add3_u32 v3, v3, v7, v5
	v_ashrrev_i32_e32 v5, 31, v4
	v_add_nc_u32_e32 v8, s6, v6
	v_lshlrev_b64 v[2:3], 4, v[2:3]
	v_ashrrev_i32_e32 v7, 31, v6
	v_lshlrev_b64 v[4:5], 4, v[4:5]
	v_ashrrev_i32_e32 v9, 31, v8
	v_add_co_u32 v10, vcc_lo, s0, v2
	v_add_co_ci_u32_e64 v3, null, s1, v3, vcc_lo
	v_add_nc_u32_e32 v2, s6, v8
	v_add_co_u32 v37, vcc_lo, v10, s8
	v_add_co_ci_u32_e64 v38, null, s9, v3, vcc_lo
	v_ashrrev_i32_e32 v3, 31, v2
	v_add_co_u32 v10, vcc_lo, v37, v26
	v_add_co_ci_u32_e64 v11, null, 0, v38, vcc_lo
	v_lshlrev_b64 v[6:7], 4, v[6:7]
	v_lshlrev_b64 v[8:9], 4, v[8:9]
	;; [unrolled: 1-line block ×3, first 2 shown]
	global_load_dwordx4 v[22:25], v[10:11], off
	v_add_co_u32 v4, vcc_lo, v37, v4
	v_add_co_ci_u32_e64 v5, null, v38, v5, vcc_lo
	v_add_co_u32 v6, vcc_lo, v37, v6
	v_add_co_ci_u32_e64 v7, null, v38, v7, vcc_lo
	;; [unrolled: 2-line block ×5, first 2 shown]
	s_clause 0x4
	global_load_dwordx4 v[14:17], v[4:5], off
	global_load_dwordx4 v[10:13], v[6:7], off
	;; [unrolled: 1-line block ×5, first 2 shown]
	s_clause 0x1
	s_load_dword s1, s[4:5], 0x0
	s_load_dwordx2 s[4:5], s[4:5], 0x40
	s_waitcnt lgkmcnt(0)
	s_max_i32 s0, s1, 6
	s_cmp_lt_i32 s1, 2
	v_mul_lo_u32 v35, s0, v1
	v_lshl_add_u32 v1, v35, 4, 0
	v_lshlrev_b32_e32 v36, 4, v35
	v_add_nc_u32_e32 v26, v1, v26
	s_waitcnt vmcnt(5)
	ds_write2_b64 v26, v[22:23], v[24:25] offset1:1
	s_waitcnt vmcnt(0) lgkmcnt(0)
	s_barrier
	buffer_gl0_inv
	ds_read2_b64 v[26:29], v1 offset1:1
	s_cbranch_scc1 .LBB10_6
; %bb.4:
	v_add3_u32 v35, v36, 0, 16
	v_mov_b32_e32 v34, 0
	s_mov_b32 s7, 1
	s_inst_prefetch 0x1
	.p2align	6
.LBB10_5:                               ; =>This Inner Loop Header: Depth=1
	s_waitcnt lgkmcnt(0)
	v_cmp_gt_f64_e32 vcc_lo, 0, v[28:29]
	v_cmp_gt_f64_e64 s0, 0, v[26:27]
	ds_read2_b64 v[39:42], v35 offset1:1
	v_xor_b32_e32 v44, 0x80000000, v27
	v_xor_b32_e32 v46, 0x80000000, v29
	v_mov_b32_e32 v43, v26
	v_mov_b32_e32 v45, v28
	v_add_nc_u32_e32 v35, 16, v35
	s_waitcnt lgkmcnt(0)
	v_xor_b32_e32 v48, 0x80000000, v42
	v_cndmask_b32_e64 v44, v27, v44, s0
	v_cndmask_b32_e32 v46, v29, v46, vcc_lo
	v_cmp_gt_f64_e32 vcc_lo, 0, v[41:42]
	v_cmp_gt_f64_e64 s0, 0, v[39:40]
	v_mov_b32_e32 v47, v41
	v_add_f64 v[43:44], v[43:44], v[45:46]
	v_xor_b32_e32 v46, 0x80000000, v40
	v_mov_b32_e32 v45, v39
	v_cndmask_b32_e32 v48, v42, v48, vcc_lo
	v_cndmask_b32_e64 v46, v40, v46, s0
	v_add_f64 v[45:46], v[45:46], v[47:48]
	v_cmp_lt_f64_e32 vcc_lo, v[43:44], v[45:46]
	v_cndmask_b32_e32 v27, v27, v40, vcc_lo
	v_cndmask_b32_e32 v26, v26, v39, vcc_lo
	;; [unrolled: 1-line block ×4, first 2 shown]
	v_cndmask_b32_e64 v34, v34, s7, vcc_lo
	s_add_i32 s7, s7, 1
	s_cmp_eq_u32 s1, s7
	s_cbranch_scc0 .LBB10_5
.LBB10_6:
	s_inst_prefetch 0x2
	s_waitcnt lgkmcnt(0)
	v_cmp_neq_f64_e32 vcc_lo, 0, v[26:27]
	v_cmp_neq_f64_e64 s0, 0, v[28:29]
	v_mov_b32_e32 v39, 1
	v_mov_b32_e32 v41, 1
	s_or_b32 s7, vcc_lo, s0
	s_and_saveexec_b32 s0, s7
	s_cbranch_execz .LBB10_12
; %bb.7:
	v_cmp_ngt_f64_e64 s7, |v[26:27]|, |v[28:29]|
	s_and_saveexec_b32 s8, s7
	s_xor_b32 s7, exec_lo, s8
	s_cbranch_execz .LBB10_9
; %bb.8:
	v_div_scale_f64 v[39:40], null, v[28:29], v[28:29], v[26:27]
	v_div_scale_f64 v[45:46], vcc_lo, v[26:27], v[28:29], v[26:27]
	v_rcp_f64_e32 v[41:42], v[39:40]
	v_fma_f64 v[43:44], -v[39:40], v[41:42], 1.0
	v_fma_f64 v[41:42], v[41:42], v[43:44], v[41:42]
	v_fma_f64 v[43:44], -v[39:40], v[41:42], 1.0
	v_fma_f64 v[41:42], v[41:42], v[43:44], v[41:42]
	v_mul_f64 v[43:44], v[45:46], v[41:42]
	v_fma_f64 v[39:40], -v[39:40], v[43:44], v[45:46]
	v_div_fmas_f64 v[39:40], v[39:40], v[41:42], v[43:44]
	v_div_fixup_f64 v[39:40], v[39:40], v[28:29], v[26:27]
	v_fma_f64 v[26:27], v[26:27], v[39:40], v[28:29]
	v_div_scale_f64 v[28:29], null, v[26:27], v[26:27], 1.0
	v_rcp_f64_e32 v[41:42], v[28:29]
	v_fma_f64 v[43:44], -v[28:29], v[41:42], 1.0
	v_fma_f64 v[41:42], v[41:42], v[43:44], v[41:42]
	v_fma_f64 v[43:44], -v[28:29], v[41:42], 1.0
	v_fma_f64 v[41:42], v[41:42], v[43:44], v[41:42]
	v_div_scale_f64 v[43:44], vcc_lo, 1.0, v[26:27], 1.0
	v_mul_f64 v[45:46], v[43:44], v[41:42]
	v_fma_f64 v[28:29], -v[28:29], v[45:46], v[43:44]
	v_div_fmas_f64 v[28:29], v[28:29], v[41:42], v[45:46]
	v_div_fixup_f64 v[28:29], v[28:29], v[26:27], 1.0
	v_mul_f64 v[26:27], v[39:40], v[28:29]
	v_xor_b32_e32 v29, 0x80000000, v29
.LBB10_9:
	s_andn2_saveexec_b32 s7, s7
	s_cbranch_execz .LBB10_11
; %bb.10:
	v_div_scale_f64 v[39:40], null, v[26:27], v[26:27], v[28:29]
	v_div_scale_f64 v[45:46], vcc_lo, v[28:29], v[26:27], v[28:29]
	v_rcp_f64_e32 v[41:42], v[39:40]
	v_fma_f64 v[43:44], -v[39:40], v[41:42], 1.0
	v_fma_f64 v[41:42], v[41:42], v[43:44], v[41:42]
	v_fma_f64 v[43:44], -v[39:40], v[41:42], 1.0
	v_fma_f64 v[41:42], v[41:42], v[43:44], v[41:42]
	v_mul_f64 v[43:44], v[45:46], v[41:42]
	v_fma_f64 v[39:40], -v[39:40], v[43:44], v[45:46]
	v_div_fmas_f64 v[39:40], v[39:40], v[41:42], v[43:44]
	v_div_fixup_f64 v[39:40], v[39:40], v[26:27], v[28:29]
	v_fma_f64 v[26:27], v[28:29], v[39:40], v[26:27]
	v_div_scale_f64 v[28:29], null, v[26:27], v[26:27], 1.0
	v_rcp_f64_e32 v[41:42], v[28:29]
	v_fma_f64 v[43:44], -v[28:29], v[41:42], 1.0
	v_fma_f64 v[41:42], v[41:42], v[43:44], v[41:42]
	v_fma_f64 v[43:44], -v[28:29], v[41:42], 1.0
	v_fma_f64 v[41:42], v[41:42], v[43:44], v[41:42]
	v_div_scale_f64 v[43:44], vcc_lo, 1.0, v[26:27], 1.0
	v_mul_f64 v[45:46], v[43:44], v[41:42]
	v_fma_f64 v[28:29], -v[28:29], v[45:46], v[43:44]
	v_div_fmas_f64 v[28:29], v[28:29], v[41:42], v[45:46]
	v_div_fixup_f64 v[26:27], v[28:29], v[26:27], 1.0
	v_mul_f64 v[28:29], v[39:40], -v[26:27]
.LBB10_11:
	s_or_b32 exec_lo, exec_lo, s7
	v_mov_b32_e32 v41, 0
	v_mov_b32_e32 v39, 2
.LBB10_12:
	s_or_b32 exec_lo, exec_lo, s0
	s_mov_b32 s0, exec_lo
	v_cmpx_ne_u32_e64 v0, v34
	s_xor_b32 s0, exec_lo, s0
	s_cbranch_execz .LBB10_18
; %bb.13:
	s_mov_b32 s7, exec_lo
	v_cmpx_eq_u32_e32 0, v0
	s_cbranch_execz .LBB10_17
; %bb.14:
	v_cmp_ne_u32_e32 vcc_lo, 0, v34
	s_xor_b32 s8, s16, -1
	s_and_b32 s9, s8, vcc_lo
	s_and_saveexec_b32 s8, s9
	s_cbranch_execz .LBB10_16
; %bb.15:
	v_ashrrev_i32_e32 v35, 31, v34
	v_lshlrev_b64 v[42:43], 2, v[34:35]
	v_add_co_u32 v42, vcc_lo, v32, v42
	v_add_co_ci_u32_e64 v43, null, v33, v43, vcc_lo
	s_clause 0x1
	global_load_dword v0, v[42:43], off
	global_load_dword v35, v[32:33], off
	s_waitcnt vmcnt(1)
	global_store_dword v[32:33], v0, off
	s_waitcnt vmcnt(0)
	global_store_dword v[42:43], v35, off
.LBB10_16:
	s_or_b32 exec_lo, exec_lo, s8
	v_mov_b32_e32 v0, v34
.LBB10_17:
	s_or_b32 exec_lo, exec_lo, s7
.LBB10_18:
	s_or_saveexec_b32 s0, s0
	v_mov_b32_e32 v40, v0
	s_xor_b32 exec_lo, exec_lo, s0
	s_cbranch_execz .LBB10_20
; %bb.19:
	v_mov_b32_e32 v40, 0
	ds_write2_b64 v1, v[18:19], v[20:21] offset0:2 offset1:3
	ds_write2_b64 v1, v[14:15], v[16:17] offset0:4 offset1:5
	ds_write2_b64 v1, v[10:11], v[12:13] offset0:6 offset1:7
	ds_write2_b64 v1, v[6:7], v[8:9] offset0:8 offset1:9
	ds_write2_b64 v1, v[2:3], v[4:5] offset0:10 offset1:11
.LBB10_20:
	s_or_b32 exec_lo, exec_lo, s0
	s_mov_b32 s0, exec_lo
	s_waitcnt lgkmcnt(0)
	s_waitcnt_vscnt null, 0x0
	s_barrier
	buffer_gl0_inv
	v_cmpx_lt_i32_e32 0, v40
	s_cbranch_execz .LBB10_22
; %bb.21:
	v_mul_f64 v[34:35], v[26:27], v[24:25]
	v_mul_f64 v[24:25], v[28:29], v[24:25]
	v_fma_f64 v[34:35], v[28:29], v[22:23], v[34:35]
	v_fma_f64 v[22:23], v[26:27], v[22:23], -v[24:25]
	ds_read2_b64 v[24:27], v1 offset0:2 offset1:3
	s_waitcnt lgkmcnt(0)
	v_mul_f64 v[28:29], v[26:27], v[34:35]
	v_fma_f64 v[28:29], v[24:25], v[22:23], -v[28:29]
	v_mul_f64 v[24:25], v[24:25], v[34:35]
	v_add_f64 v[18:19], v[18:19], -v[28:29]
	v_fma_f64 v[24:25], v[26:27], v[22:23], v[24:25]
	v_add_f64 v[20:21], v[20:21], -v[24:25]
	ds_read2_b64 v[24:27], v1 offset0:4 offset1:5
	s_waitcnt lgkmcnt(0)
	v_mul_f64 v[28:29], v[26:27], v[34:35]
	v_fma_f64 v[28:29], v[24:25], v[22:23], -v[28:29]
	v_mul_f64 v[24:25], v[24:25], v[34:35]
	v_add_f64 v[14:15], v[14:15], -v[28:29]
	v_fma_f64 v[24:25], v[26:27], v[22:23], v[24:25]
	v_add_f64 v[16:17], v[16:17], -v[24:25]
	;; [unrolled: 8-line block ×5, first 2 shown]
	v_mov_b32_e32 v24, v34
	v_mov_b32_e32 v25, v35
.LBB10_22:
	s_or_b32 exec_lo, exec_lo, s0
	v_lshl_add_u32 v26, v40, 4, v1
	s_barrier
	buffer_gl0_inv
	v_mov_b32_e32 v34, 1
	ds_write2_b64 v26, v[18:19], v[20:21] offset1:1
	s_waitcnt lgkmcnt(0)
	s_barrier
	buffer_gl0_inv
	ds_read2_b64 v[26:29], v1 offset0:2 offset1:3
	s_cmp_lt_i32 s1, 3
	s_cbranch_scc1 .LBB10_25
; %bb.23:
	v_add3_u32 v35, v36, 0, 32
	v_mov_b32_e32 v34, 1
	s_mov_b32 s7, 2
	s_inst_prefetch 0x1
	.p2align	6
.LBB10_24:                              ; =>This Inner Loop Header: Depth=1
	s_waitcnt lgkmcnt(0)
	v_cmp_gt_f64_e32 vcc_lo, 0, v[28:29]
	v_cmp_gt_f64_e64 s0, 0, v[26:27]
	ds_read2_b64 v[42:45], v35 offset1:1
	v_xor_b32_e32 v47, 0x80000000, v27
	v_xor_b32_e32 v49, 0x80000000, v29
	v_mov_b32_e32 v46, v26
	v_mov_b32_e32 v48, v28
	v_add_nc_u32_e32 v35, 16, v35
	s_waitcnt lgkmcnt(0)
	v_xor_b32_e32 v51, 0x80000000, v45
	v_cndmask_b32_e64 v47, v27, v47, s0
	v_cndmask_b32_e32 v49, v29, v49, vcc_lo
	v_cmp_gt_f64_e32 vcc_lo, 0, v[44:45]
	v_cmp_gt_f64_e64 s0, 0, v[42:43]
	v_mov_b32_e32 v50, v44
	v_add_f64 v[46:47], v[46:47], v[48:49]
	v_xor_b32_e32 v49, 0x80000000, v43
	v_mov_b32_e32 v48, v42
	v_cndmask_b32_e32 v51, v45, v51, vcc_lo
	v_cndmask_b32_e64 v49, v43, v49, s0
	v_add_f64 v[48:49], v[48:49], v[50:51]
	v_cmp_lt_f64_e32 vcc_lo, v[46:47], v[48:49]
	v_cndmask_b32_e32 v27, v27, v43, vcc_lo
	v_cndmask_b32_e32 v26, v26, v42, vcc_lo
	;; [unrolled: 1-line block ×4, first 2 shown]
	v_cndmask_b32_e64 v34, v34, s7, vcc_lo
	s_add_i32 s7, s7, 1
	s_cmp_lg_u32 s1, s7
	s_cbranch_scc1 .LBB10_24
.LBB10_25:
	s_inst_prefetch 0x2
	s_waitcnt lgkmcnt(0)
	v_cmp_neq_f64_e32 vcc_lo, 0, v[26:27]
	v_cmp_neq_f64_e64 s0, 0, v[28:29]
	s_or_b32 s7, vcc_lo, s0
	s_and_saveexec_b32 s0, s7
	s_cbranch_execz .LBB10_31
; %bb.26:
	v_cmp_ngt_f64_e64 s7, |v[26:27]|, |v[28:29]|
	s_and_saveexec_b32 s8, s7
	s_xor_b32 s7, exec_lo, s8
	s_cbranch_execz .LBB10_28
; %bb.27:
	v_div_scale_f64 v[42:43], null, v[28:29], v[28:29], v[26:27]
	v_div_scale_f64 v[48:49], vcc_lo, v[26:27], v[28:29], v[26:27]
	v_rcp_f64_e32 v[44:45], v[42:43]
	v_fma_f64 v[46:47], -v[42:43], v[44:45], 1.0
	v_fma_f64 v[44:45], v[44:45], v[46:47], v[44:45]
	v_fma_f64 v[46:47], -v[42:43], v[44:45], 1.0
	v_fma_f64 v[44:45], v[44:45], v[46:47], v[44:45]
	v_mul_f64 v[46:47], v[48:49], v[44:45]
	v_fma_f64 v[42:43], -v[42:43], v[46:47], v[48:49]
	v_div_fmas_f64 v[42:43], v[42:43], v[44:45], v[46:47]
	v_div_fixup_f64 v[42:43], v[42:43], v[28:29], v[26:27]
	v_fma_f64 v[26:27], v[26:27], v[42:43], v[28:29]
	v_div_scale_f64 v[28:29], null, v[26:27], v[26:27], 1.0
	v_rcp_f64_e32 v[44:45], v[28:29]
	v_fma_f64 v[46:47], -v[28:29], v[44:45], 1.0
	v_fma_f64 v[44:45], v[44:45], v[46:47], v[44:45]
	v_fma_f64 v[46:47], -v[28:29], v[44:45], 1.0
	v_fma_f64 v[44:45], v[44:45], v[46:47], v[44:45]
	v_div_scale_f64 v[46:47], vcc_lo, 1.0, v[26:27], 1.0
	v_mul_f64 v[48:49], v[46:47], v[44:45]
	v_fma_f64 v[28:29], -v[28:29], v[48:49], v[46:47]
	v_div_fmas_f64 v[28:29], v[28:29], v[44:45], v[48:49]
	v_div_fixup_f64 v[28:29], v[28:29], v[26:27], 1.0
	v_mul_f64 v[26:27], v[42:43], v[28:29]
	v_xor_b32_e32 v29, 0x80000000, v29
.LBB10_28:
	s_andn2_saveexec_b32 s7, s7
	s_cbranch_execz .LBB10_30
; %bb.29:
	v_div_scale_f64 v[42:43], null, v[26:27], v[26:27], v[28:29]
	v_div_scale_f64 v[48:49], vcc_lo, v[28:29], v[26:27], v[28:29]
	v_rcp_f64_e32 v[44:45], v[42:43]
	v_fma_f64 v[46:47], -v[42:43], v[44:45], 1.0
	v_fma_f64 v[44:45], v[44:45], v[46:47], v[44:45]
	v_fma_f64 v[46:47], -v[42:43], v[44:45], 1.0
	v_fma_f64 v[44:45], v[44:45], v[46:47], v[44:45]
	v_mul_f64 v[46:47], v[48:49], v[44:45]
	v_fma_f64 v[42:43], -v[42:43], v[46:47], v[48:49]
	v_div_fmas_f64 v[42:43], v[42:43], v[44:45], v[46:47]
	v_div_fixup_f64 v[42:43], v[42:43], v[26:27], v[28:29]
	v_fma_f64 v[26:27], v[28:29], v[42:43], v[26:27]
	v_div_scale_f64 v[28:29], null, v[26:27], v[26:27], 1.0
	v_rcp_f64_e32 v[44:45], v[28:29]
	v_fma_f64 v[46:47], -v[28:29], v[44:45], 1.0
	v_fma_f64 v[44:45], v[44:45], v[46:47], v[44:45]
	v_fma_f64 v[46:47], -v[28:29], v[44:45], 1.0
	v_fma_f64 v[44:45], v[44:45], v[46:47], v[44:45]
	v_div_scale_f64 v[46:47], vcc_lo, 1.0, v[26:27], 1.0
	v_mul_f64 v[48:49], v[46:47], v[44:45]
	v_fma_f64 v[28:29], -v[28:29], v[48:49], v[46:47]
	v_div_fmas_f64 v[28:29], v[28:29], v[44:45], v[48:49]
	v_div_fixup_f64 v[26:27], v[28:29], v[26:27], 1.0
	v_mul_f64 v[28:29], v[42:43], -v[26:27]
.LBB10_30:
	s_or_b32 exec_lo, exec_lo, s7
	v_mov_b32_e32 v39, v41
.LBB10_31:
	s_or_b32 exec_lo, exec_lo, s0
	s_mov_b32 s0, exec_lo
	v_cmpx_ne_u32_e64 v40, v34
	s_xor_b32 s0, exec_lo, s0
	s_cbranch_execz .LBB10_37
; %bb.32:
	s_mov_b32 s7, exec_lo
	v_cmpx_eq_u32_e32 1, v40
	s_cbranch_execz .LBB10_36
; %bb.33:
	v_cmp_ne_u32_e32 vcc_lo, 1, v34
	s_xor_b32 s8, s16, -1
	s_and_b32 s9, s8, vcc_lo
	s_and_saveexec_b32 s8, s9
	s_cbranch_execz .LBB10_35
; %bb.34:
	v_ashrrev_i32_e32 v35, 31, v34
	v_lshlrev_b64 v[40:41], 2, v[34:35]
	v_add_co_u32 v40, vcc_lo, v32, v40
	v_add_co_ci_u32_e64 v41, null, v33, v41, vcc_lo
	s_clause 0x1
	global_load_dword v0, v[40:41], off
	global_load_dword v35, v[32:33], off offset:4
	s_waitcnt vmcnt(1)
	global_store_dword v[32:33], v0, off offset:4
	s_waitcnt vmcnt(0)
	global_store_dword v[40:41], v35, off
.LBB10_35:
	s_or_b32 exec_lo, exec_lo, s8
	v_mov_b32_e32 v40, v34
	v_mov_b32_e32 v0, v34
.LBB10_36:
	s_or_b32 exec_lo, exec_lo, s7
.LBB10_37:
	s_andn2_saveexec_b32 s0, s0
	s_cbranch_execz .LBB10_39
; %bb.38:
	v_mov_b32_e32 v40, 1
	ds_write2_b64 v1, v[14:15], v[16:17] offset0:4 offset1:5
	ds_write2_b64 v1, v[10:11], v[12:13] offset0:6 offset1:7
	;; [unrolled: 1-line block ×4, first 2 shown]
.LBB10_39:
	s_or_b32 exec_lo, exec_lo, s0
	s_mov_b32 s0, exec_lo
	s_waitcnt lgkmcnt(0)
	s_waitcnt_vscnt null, 0x0
	s_barrier
	buffer_gl0_inv
	v_cmpx_lt_i32_e32 1, v40
	s_cbranch_execz .LBB10_41
; %bb.40:
	v_mul_f64 v[34:35], v[26:27], v[20:21]
	v_mul_f64 v[20:21], v[28:29], v[20:21]
	v_fma_f64 v[34:35], v[28:29], v[18:19], v[34:35]
	v_fma_f64 v[18:19], v[26:27], v[18:19], -v[20:21]
	ds_read2_b64 v[26:29], v1 offset0:4 offset1:5
	s_waitcnt lgkmcnt(0)
	v_mul_f64 v[20:21], v[28:29], v[34:35]
	v_fma_f64 v[20:21], v[26:27], v[18:19], -v[20:21]
	v_mul_f64 v[26:27], v[26:27], v[34:35]
	v_add_f64 v[14:15], v[14:15], -v[20:21]
	v_fma_f64 v[26:27], v[28:29], v[18:19], v[26:27]
	v_add_f64 v[16:17], v[16:17], -v[26:27]
	ds_read2_b64 v[26:29], v1 offset0:6 offset1:7
	s_waitcnt lgkmcnt(0)
	v_mul_f64 v[20:21], v[28:29], v[34:35]
	v_fma_f64 v[20:21], v[26:27], v[18:19], -v[20:21]
	v_mul_f64 v[26:27], v[26:27], v[34:35]
	v_add_f64 v[10:11], v[10:11], -v[20:21]
	v_fma_f64 v[26:27], v[28:29], v[18:19], v[26:27]
	v_add_f64 v[12:13], v[12:13], -v[26:27]
	;; [unrolled: 8-line block ×3, first 2 shown]
	ds_read2_b64 v[26:29], v1 offset0:10 offset1:11
	s_waitcnt lgkmcnt(0)
	v_mul_f64 v[20:21], v[28:29], v[34:35]
	v_fma_f64 v[20:21], v[26:27], v[18:19], -v[20:21]
	v_mul_f64 v[26:27], v[26:27], v[34:35]
	v_add_f64 v[2:3], v[2:3], -v[20:21]
	v_fma_f64 v[26:27], v[28:29], v[18:19], v[26:27]
	v_mov_b32_e32 v20, v34
	v_mov_b32_e32 v21, v35
	v_add_f64 v[4:5], v[4:5], -v[26:27]
.LBB10_41:
	s_or_b32 exec_lo, exec_lo, s0
	v_lshl_add_u32 v26, v40, 4, v1
	s_barrier
	buffer_gl0_inv
	v_mov_b32_e32 v34, 2
	ds_write2_b64 v26, v[14:15], v[16:17] offset1:1
	s_waitcnt lgkmcnt(0)
	s_barrier
	buffer_gl0_inv
	ds_read2_b64 v[26:29], v1 offset0:4 offset1:5
	s_cmp_lt_i32 s1, 4
	s_cbranch_scc1 .LBB10_44
; %bb.42:
	v_add3_u32 v35, v36, 0, 48
	v_mov_b32_e32 v34, 2
	s_mov_b32 s7, 3
	s_inst_prefetch 0x1
	.p2align	6
.LBB10_43:                              ; =>This Inner Loop Header: Depth=1
	s_waitcnt lgkmcnt(0)
	v_cmp_gt_f64_e32 vcc_lo, 0, v[28:29]
	v_cmp_gt_f64_e64 s0, 0, v[26:27]
	ds_read2_b64 v[41:44], v35 offset1:1
	v_xor_b32_e32 v46, 0x80000000, v27
	v_xor_b32_e32 v48, 0x80000000, v29
	v_mov_b32_e32 v45, v26
	v_mov_b32_e32 v47, v28
	v_add_nc_u32_e32 v35, 16, v35
	s_waitcnt lgkmcnt(0)
	v_xor_b32_e32 v50, 0x80000000, v44
	v_cndmask_b32_e64 v46, v27, v46, s0
	v_cndmask_b32_e32 v48, v29, v48, vcc_lo
	v_cmp_gt_f64_e32 vcc_lo, 0, v[43:44]
	v_cmp_gt_f64_e64 s0, 0, v[41:42]
	v_mov_b32_e32 v49, v43
	v_add_f64 v[45:46], v[45:46], v[47:48]
	v_xor_b32_e32 v48, 0x80000000, v42
	v_mov_b32_e32 v47, v41
	v_cndmask_b32_e32 v50, v44, v50, vcc_lo
	v_cndmask_b32_e64 v48, v42, v48, s0
	v_add_f64 v[47:48], v[47:48], v[49:50]
	v_cmp_lt_f64_e32 vcc_lo, v[45:46], v[47:48]
	v_cndmask_b32_e32 v27, v27, v42, vcc_lo
	v_cndmask_b32_e32 v26, v26, v41, vcc_lo
	;; [unrolled: 1-line block ×4, first 2 shown]
	v_cndmask_b32_e64 v34, v34, s7, vcc_lo
	s_add_i32 s7, s7, 1
	s_cmp_lg_u32 s1, s7
	s_cbranch_scc1 .LBB10_43
.LBB10_44:
	s_inst_prefetch 0x2
	s_waitcnt lgkmcnt(0)
	v_cmp_eq_f64_e32 vcc_lo, 0, v[26:27]
	v_cmp_eq_f64_e64 s0, 0, v[28:29]
	s_and_b32 s0, vcc_lo, s0
	s_and_saveexec_b32 s7, s0
	s_xor_b32 s0, exec_lo, s7
; %bb.45:
	v_cmp_ne_u32_e32 vcc_lo, 0, v39
	v_cndmask_b32_e32 v39, 3, v39, vcc_lo
; %bb.46:
	s_andn2_saveexec_b32 s0, s0
	s_cbranch_execz .LBB10_52
; %bb.47:
	v_cmp_ngt_f64_e64 s7, |v[26:27]|, |v[28:29]|
	s_and_saveexec_b32 s8, s7
	s_xor_b32 s7, exec_lo, s8
	s_cbranch_execz .LBB10_49
; %bb.48:
	v_div_scale_f64 v[41:42], null, v[28:29], v[28:29], v[26:27]
	v_div_scale_f64 v[47:48], vcc_lo, v[26:27], v[28:29], v[26:27]
	v_rcp_f64_e32 v[43:44], v[41:42]
	v_fma_f64 v[45:46], -v[41:42], v[43:44], 1.0
	v_fma_f64 v[43:44], v[43:44], v[45:46], v[43:44]
	v_fma_f64 v[45:46], -v[41:42], v[43:44], 1.0
	v_fma_f64 v[43:44], v[43:44], v[45:46], v[43:44]
	v_mul_f64 v[45:46], v[47:48], v[43:44]
	v_fma_f64 v[41:42], -v[41:42], v[45:46], v[47:48]
	v_div_fmas_f64 v[41:42], v[41:42], v[43:44], v[45:46]
	v_div_fixup_f64 v[41:42], v[41:42], v[28:29], v[26:27]
	v_fma_f64 v[26:27], v[26:27], v[41:42], v[28:29]
	v_div_scale_f64 v[28:29], null, v[26:27], v[26:27], 1.0
	v_rcp_f64_e32 v[43:44], v[28:29]
	v_fma_f64 v[45:46], -v[28:29], v[43:44], 1.0
	v_fma_f64 v[43:44], v[43:44], v[45:46], v[43:44]
	v_fma_f64 v[45:46], -v[28:29], v[43:44], 1.0
	v_fma_f64 v[43:44], v[43:44], v[45:46], v[43:44]
	v_div_scale_f64 v[45:46], vcc_lo, 1.0, v[26:27], 1.0
	v_mul_f64 v[47:48], v[45:46], v[43:44]
	v_fma_f64 v[28:29], -v[28:29], v[47:48], v[45:46]
	v_div_fmas_f64 v[28:29], v[28:29], v[43:44], v[47:48]
	v_div_fixup_f64 v[28:29], v[28:29], v[26:27], 1.0
	v_mul_f64 v[26:27], v[41:42], v[28:29]
	v_xor_b32_e32 v29, 0x80000000, v29
.LBB10_49:
	s_andn2_saveexec_b32 s7, s7
	s_cbranch_execz .LBB10_51
; %bb.50:
	v_div_scale_f64 v[41:42], null, v[26:27], v[26:27], v[28:29]
	v_div_scale_f64 v[47:48], vcc_lo, v[28:29], v[26:27], v[28:29]
	v_rcp_f64_e32 v[43:44], v[41:42]
	v_fma_f64 v[45:46], -v[41:42], v[43:44], 1.0
	v_fma_f64 v[43:44], v[43:44], v[45:46], v[43:44]
	v_fma_f64 v[45:46], -v[41:42], v[43:44], 1.0
	v_fma_f64 v[43:44], v[43:44], v[45:46], v[43:44]
	v_mul_f64 v[45:46], v[47:48], v[43:44]
	v_fma_f64 v[41:42], -v[41:42], v[45:46], v[47:48]
	v_div_fmas_f64 v[41:42], v[41:42], v[43:44], v[45:46]
	v_div_fixup_f64 v[41:42], v[41:42], v[26:27], v[28:29]
	v_fma_f64 v[26:27], v[28:29], v[41:42], v[26:27]
	v_div_scale_f64 v[28:29], null, v[26:27], v[26:27], 1.0
	v_rcp_f64_e32 v[43:44], v[28:29]
	v_fma_f64 v[45:46], -v[28:29], v[43:44], 1.0
	v_fma_f64 v[43:44], v[43:44], v[45:46], v[43:44]
	v_fma_f64 v[45:46], -v[28:29], v[43:44], 1.0
	v_fma_f64 v[43:44], v[43:44], v[45:46], v[43:44]
	v_div_scale_f64 v[45:46], vcc_lo, 1.0, v[26:27], 1.0
	v_mul_f64 v[47:48], v[45:46], v[43:44]
	v_fma_f64 v[28:29], -v[28:29], v[47:48], v[45:46]
	v_div_fmas_f64 v[28:29], v[28:29], v[43:44], v[47:48]
	v_div_fixup_f64 v[26:27], v[28:29], v[26:27], 1.0
	v_mul_f64 v[28:29], v[41:42], -v[26:27]
.LBB10_51:
	s_or_b32 exec_lo, exec_lo, s7
.LBB10_52:
	s_or_b32 exec_lo, exec_lo, s0
	s_mov_b32 s0, exec_lo
	v_cmpx_ne_u32_e64 v40, v34
	s_xor_b32 s0, exec_lo, s0
	s_cbranch_execz .LBB10_58
; %bb.53:
	s_mov_b32 s7, exec_lo
	v_cmpx_eq_u32_e32 2, v40
	s_cbranch_execz .LBB10_57
; %bb.54:
	v_cmp_ne_u32_e32 vcc_lo, 2, v34
	s_xor_b32 s8, s16, -1
	s_and_b32 s9, s8, vcc_lo
	s_and_saveexec_b32 s8, s9
	s_cbranch_execz .LBB10_56
; %bb.55:
	v_ashrrev_i32_e32 v35, 31, v34
	v_lshlrev_b64 v[40:41], 2, v[34:35]
	v_add_co_u32 v40, vcc_lo, v32, v40
	v_add_co_ci_u32_e64 v41, null, v33, v41, vcc_lo
	s_clause 0x1
	global_load_dword v0, v[40:41], off
	global_load_dword v35, v[32:33], off offset:8
	s_waitcnt vmcnt(1)
	global_store_dword v[32:33], v0, off offset:8
	s_waitcnt vmcnt(0)
	global_store_dword v[40:41], v35, off
.LBB10_56:
	s_or_b32 exec_lo, exec_lo, s8
	v_mov_b32_e32 v40, v34
	v_mov_b32_e32 v0, v34
.LBB10_57:
	s_or_b32 exec_lo, exec_lo, s7
.LBB10_58:
	s_andn2_saveexec_b32 s0, s0
	s_cbranch_execz .LBB10_60
; %bb.59:
	v_mov_b32_e32 v40, 2
	ds_write2_b64 v1, v[10:11], v[12:13] offset0:6 offset1:7
	ds_write2_b64 v1, v[6:7], v[8:9] offset0:8 offset1:9
	;; [unrolled: 1-line block ×3, first 2 shown]
.LBB10_60:
	s_or_b32 exec_lo, exec_lo, s0
	s_mov_b32 s0, exec_lo
	s_waitcnt lgkmcnt(0)
	s_waitcnt_vscnt null, 0x0
	s_barrier
	buffer_gl0_inv
	v_cmpx_lt_i32_e32 2, v40
	s_cbranch_execz .LBB10_62
; %bb.61:
	v_mul_f64 v[34:35], v[26:27], v[16:17]
	v_mul_f64 v[16:17], v[28:29], v[16:17]
	ds_read2_b64 v[41:44], v1 offset0:6 offset1:7
	ds_read2_b64 v[45:48], v1 offset0:8 offset1:9
	ds_read2_b64 v[49:52], v1 offset0:10 offset1:11
	v_fma_f64 v[28:29], v[28:29], v[14:15], v[34:35]
	v_fma_f64 v[14:15], v[26:27], v[14:15], -v[16:17]
	s_waitcnt lgkmcnt(2)
	v_mul_f64 v[16:17], v[43:44], v[28:29]
	v_mul_f64 v[26:27], v[41:42], v[28:29]
	s_waitcnt lgkmcnt(1)
	v_mul_f64 v[34:35], v[47:48], v[28:29]
	v_mul_f64 v[53:54], v[45:46], v[28:29]
	;; [unrolled: 3-line block ×3, first 2 shown]
	v_fma_f64 v[16:17], v[41:42], v[14:15], -v[16:17]
	v_fma_f64 v[26:27], v[43:44], v[14:15], v[26:27]
	v_fma_f64 v[34:35], v[45:46], v[14:15], -v[34:35]
	v_fma_f64 v[41:42], v[47:48], v[14:15], v[53:54]
	;; [unrolled: 2-line block ×3, first 2 shown]
	v_add_f64 v[10:11], v[10:11], -v[16:17]
	v_add_f64 v[12:13], v[12:13], -v[26:27]
	;; [unrolled: 1-line block ×6, first 2 shown]
	v_mov_b32_e32 v16, v28
	v_mov_b32_e32 v17, v29
.LBB10_62:
	s_or_b32 exec_lo, exec_lo, s0
	v_lshl_add_u32 v26, v40, 4, v1
	s_barrier
	buffer_gl0_inv
	v_mov_b32_e32 v34, 3
	ds_write2_b64 v26, v[10:11], v[12:13] offset1:1
	s_waitcnt lgkmcnt(0)
	s_barrier
	buffer_gl0_inv
	ds_read2_b64 v[26:29], v1 offset0:6 offset1:7
	s_cmp_lt_i32 s1, 5
	s_mov_b32 s7, 4
	s_cbranch_scc1 .LBB10_65
; %bb.63:
	v_add3_u32 v35, v36, 0, 64
	v_mov_b32_e32 v34, 3
	s_inst_prefetch 0x1
	.p2align	6
.LBB10_64:                              ; =>This Inner Loop Header: Depth=1
	s_waitcnt lgkmcnt(0)
	v_cmp_gt_f64_e32 vcc_lo, 0, v[28:29]
	v_cmp_gt_f64_e64 s0, 0, v[26:27]
	ds_read2_b64 v[41:44], v35 offset1:1
	v_xor_b32_e32 v46, 0x80000000, v27
	v_xor_b32_e32 v48, 0x80000000, v29
	v_mov_b32_e32 v45, v26
	v_mov_b32_e32 v47, v28
	v_add_nc_u32_e32 v35, 16, v35
	s_waitcnt lgkmcnt(0)
	v_xor_b32_e32 v50, 0x80000000, v44
	v_cndmask_b32_e64 v46, v27, v46, s0
	v_cndmask_b32_e32 v48, v29, v48, vcc_lo
	v_cmp_gt_f64_e32 vcc_lo, 0, v[43:44]
	v_cmp_gt_f64_e64 s0, 0, v[41:42]
	v_mov_b32_e32 v49, v43
	v_add_f64 v[45:46], v[45:46], v[47:48]
	v_xor_b32_e32 v48, 0x80000000, v42
	v_mov_b32_e32 v47, v41
	v_cndmask_b32_e32 v50, v44, v50, vcc_lo
	v_cndmask_b32_e64 v48, v42, v48, s0
	v_add_f64 v[47:48], v[47:48], v[49:50]
	v_cmp_lt_f64_e32 vcc_lo, v[45:46], v[47:48]
	v_cndmask_b32_e32 v27, v27, v42, vcc_lo
	v_cndmask_b32_e32 v26, v26, v41, vcc_lo
	;; [unrolled: 1-line block ×4, first 2 shown]
	v_cndmask_b32_e64 v34, v34, s7, vcc_lo
	s_add_i32 s7, s7, 1
	s_cmp_lg_u32 s1, s7
	s_cbranch_scc1 .LBB10_64
.LBB10_65:
	s_inst_prefetch 0x2
	s_waitcnt lgkmcnt(0)
	v_cmp_eq_f64_e32 vcc_lo, 0, v[26:27]
	v_cmp_eq_f64_e64 s0, 0, v[28:29]
	s_and_b32 s0, vcc_lo, s0
	s_and_saveexec_b32 s7, s0
	s_xor_b32 s0, exec_lo, s7
; %bb.66:
	v_cmp_ne_u32_e32 vcc_lo, 0, v39
	v_cndmask_b32_e32 v39, 4, v39, vcc_lo
; %bb.67:
	s_andn2_saveexec_b32 s0, s0
	s_cbranch_execz .LBB10_73
; %bb.68:
	v_cmp_ngt_f64_e64 s7, |v[26:27]|, |v[28:29]|
	s_and_saveexec_b32 s8, s7
	s_xor_b32 s7, exec_lo, s8
	s_cbranch_execz .LBB10_70
; %bb.69:
	v_div_scale_f64 v[41:42], null, v[28:29], v[28:29], v[26:27]
	v_div_scale_f64 v[47:48], vcc_lo, v[26:27], v[28:29], v[26:27]
	v_rcp_f64_e32 v[43:44], v[41:42]
	v_fma_f64 v[45:46], -v[41:42], v[43:44], 1.0
	v_fma_f64 v[43:44], v[43:44], v[45:46], v[43:44]
	v_fma_f64 v[45:46], -v[41:42], v[43:44], 1.0
	v_fma_f64 v[43:44], v[43:44], v[45:46], v[43:44]
	v_mul_f64 v[45:46], v[47:48], v[43:44]
	v_fma_f64 v[41:42], -v[41:42], v[45:46], v[47:48]
	v_div_fmas_f64 v[41:42], v[41:42], v[43:44], v[45:46]
	v_div_fixup_f64 v[41:42], v[41:42], v[28:29], v[26:27]
	v_fma_f64 v[26:27], v[26:27], v[41:42], v[28:29]
	v_div_scale_f64 v[28:29], null, v[26:27], v[26:27], 1.0
	v_rcp_f64_e32 v[43:44], v[28:29]
	v_fma_f64 v[45:46], -v[28:29], v[43:44], 1.0
	v_fma_f64 v[43:44], v[43:44], v[45:46], v[43:44]
	v_fma_f64 v[45:46], -v[28:29], v[43:44], 1.0
	v_fma_f64 v[43:44], v[43:44], v[45:46], v[43:44]
	v_div_scale_f64 v[45:46], vcc_lo, 1.0, v[26:27], 1.0
	v_mul_f64 v[47:48], v[45:46], v[43:44]
	v_fma_f64 v[28:29], -v[28:29], v[47:48], v[45:46]
	v_div_fmas_f64 v[28:29], v[28:29], v[43:44], v[47:48]
	v_div_fixup_f64 v[28:29], v[28:29], v[26:27], 1.0
	v_mul_f64 v[26:27], v[41:42], v[28:29]
	v_xor_b32_e32 v29, 0x80000000, v29
.LBB10_70:
	s_andn2_saveexec_b32 s7, s7
	s_cbranch_execz .LBB10_72
; %bb.71:
	v_div_scale_f64 v[41:42], null, v[26:27], v[26:27], v[28:29]
	v_div_scale_f64 v[47:48], vcc_lo, v[28:29], v[26:27], v[28:29]
	v_rcp_f64_e32 v[43:44], v[41:42]
	v_fma_f64 v[45:46], -v[41:42], v[43:44], 1.0
	v_fma_f64 v[43:44], v[43:44], v[45:46], v[43:44]
	v_fma_f64 v[45:46], -v[41:42], v[43:44], 1.0
	v_fma_f64 v[43:44], v[43:44], v[45:46], v[43:44]
	v_mul_f64 v[45:46], v[47:48], v[43:44]
	v_fma_f64 v[41:42], -v[41:42], v[45:46], v[47:48]
	v_div_fmas_f64 v[41:42], v[41:42], v[43:44], v[45:46]
	v_div_fixup_f64 v[41:42], v[41:42], v[26:27], v[28:29]
	v_fma_f64 v[26:27], v[28:29], v[41:42], v[26:27]
	v_div_scale_f64 v[28:29], null, v[26:27], v[26:27], 1.0
	v_rcp_f64_e32 v[43:44], v[28:29]
	v_fma_f64 v[45:46], -v[28:29], v[43:44], 1.0
	v_fma_f64 v[43:44], v[43:44], v[45:46], v[43:44]
	v_fma_f64 v[45:46], -v[28:29], v[43:44], 1.0
	v_fma_f64 v[43:44], v[43:44], v[45:46], v[43:44]
	v_div_scale_f64 v[45:46], vcc_lo, 1.0, v[26:27], 1.0
	v_mul_f64 v[47:48], v[45:46], v[43:44]
	v_fma_f64 v[28:29], -v[28:29], v[47:48], v[45:46]
	v_div_fmas_f64 v[28:29], v[28:29], v[43:44], v[47:48]
	v_div_fixup_f64 v[26:27], v[28:29], v[26:27], 1.0
	v_mul_f64 v[28:29], v[41:42], -v[26:27]
.LBB10_72:
	s_or_b32 exec_lo, exec_lo, s7
.LBB10_73:
	s_or_b32 exec_lo, exec_lo, s0
	s_mov_b32 s0, exec_lo
	v_cmpx_ne_u32_e64 v40, v34
	s_xor_b32 s0, exec_lo, s0
	s_cbranch_execz .LBB10_79
; %bb.74:
	s_mov_b32 s7, exec_lo
	v_cmpx_eq_u32_e32 3, v40
	s_cbranch_execz .LBB10_78
; %bb.75:
	v_cmp_ne_u32_e32 vcc_lo, 3, v34
	s_xor_b32 s8, s16, -1
	s_and_b32 s9, s8, vcc_lo
	s_and_saveexec_b32 s8, s9
	s_cbranch_execz .LBB10_77
; %bb.76:
	v_ashrrev_i32_e32 v35, 31, v34
	v_lshlrev_b64 v[40:41], 2, v[34:35]
	v_add_co_u32 v40, vcc_lo, v32, v40
	v_add_co_ci_u32_e64 v41, null, v33, v41, vcc_lo
	s_clause 0x1
	global_load_dword v0, v[40:41], off
	global_load_dword v35, v[32:33], off offset:12
	s_waitcnt vmcnt(1)
	global_store_dword v[32:33], v0, off offset:12
	s_waitcnt vmcnt(0)
	global_store_dword v[40:41], v35, off
.LBB10_77:
	s_or_b32 exec_lo, exec_lo, s8
	v_mov_b32_e32 v40, v34
	v_mov_b32_e32 v0, v34
.LBB10_78:
	s_or_b32 exec_lo, exec_lo, s7
.LBB10_79:
	s_andn2_saveexec_b32 s0, s0
	s_cbranch_execz .LBB10_81
; %bb.80:
	v_mov_b32_e32 v40, 3
	ds_write2_b64 v1, v[6:7], v[8:9] offset0:8 offset1:9
	ds_write2_b64 v1, v[2:3], v[4:5] offset0:10 offset1:11
.LBB10_81:
	s_or_b32 exec_lo, exec_lo, s0
	s_mov_b32 s0, exec_lo
	s_waitcnt lgkmcnt(0)
	s_waitcnt_vscnt null, 0x0
	s_barrier
	buffer_gl0_inv
	v_cmpx_lt_i32_e32 3, v40
	s_cbranch_execz .LBB10_83
; %bb.82:
	v_mul_f64 v[34:35], v[26:27], v[12:13]
	v_mul_f64 v[12:13], v[28:29], v[12:13]
	ds_read2_b64 v[41:44], v1 offset0:8 offset1:9
	ds_read2_b64 v[45:48], v1 offset0:10 offset1:11
	v_fma_f64 v[28:29], v[28:29], v[10:11], v[34:35]
	v_fma_f64 v[10:11], v[26:27], v[10:11], -v[12:13]
	s_waitcnt lgkmcnt(1)
	v_mul_f64 v[12:13], v[43:44], v[28:29]
	v_mul_f64 v[26:27], v[41:42], v[28:29]
	s_waitcnt lgkmcnt(0)
	v_mul_f64 v[34:35], v[47:48], v[28:29]
	v_mul_f64 v[49:50], v[45:46], v[28:29]
	v_fma_f64 v[12:13], v[41:42], v[10:11], -v[12:13]
	v_fma_f64 v[26:27], v[43:44], v[10:11], v[26:27]
	v_fma_f64 v[34:35], v[45:46], v[10:11], -v[34:35]
	v_fma_f64 v[41:42], v[47:48], v[10:11], v[49:50]
	v_add_f64 v[6:7], v[6:7], -v[12:13]
	v_add_f64 v[8:9], v[8:9], -v[26:27]
	;; [unrolled: 1-line block ×4, first 2 shown]
	v_mov_b32_e32 v12, v28
	v_mov_b32_e32 v13, v29
.LBB10_83:
	s_or_b32 exec_lo, exec_lo, s0
	v_lshl_add_u32 v26, v40, 4, v1
	s_barrier
	buffer_gl0_inv
	v_mov_b32_e32 v34, 4
	ds_write2_b64 v26, v[6:7], v[8:9] offset1:1
	s_waitcnt lgkmcnt(0)
	s_barrier
	buffer_gl0_inv
	ds_read2_b64 v[26:29], v1 offset0:8 offset1:9
	s_cmp_lt_i32 s1, 6
	s_cbranch_scc1 .LBB10_86
; %bb.84:
	v_mov_b32_e32 v34, 4
	v_add3_u32 v35, v36, 0, 0x50
	s_mov_b32 s7, 5
	s_inst_prefetch 0x1
	.p2align	6
.LBB10_85:                              ; =>This Inner Loop Header: Depth=1
	s_waitcnt lgkmcnt(0)
	v_cmp_gt_f64_e32 vcc_lo, 0, v[28:29]
	v_cmp_gt_f64_e64 s0, 0, v[26:27]
	ds_read2_b64 v[41:44], v35 offset1:1
	v_xor_b32_e32 v46, 0x80000000, v27
	v_xor_b32_e32 v48, 0x80000000, v29
	v_mov_b32_e32 v45, v26
	v_mov_b32_e32 v47, v28
	v_add_nc_u32_e32 v35, 16, v35
	s_waitcnt lgkmcnt(0)
	v_xor_b32_e32 v50, 0x80000000, v44
	v_cndmask_b32_e64 v46, v27, v46, s0
	v_cndmask_b32_e32 v48, v29, v48, vcc_lo
	v_cmp_gt_f64_e32 vcc_lo, 0, v[43:44]
	v_cmp_gt_f64_e64 s0, 0, v[41:42]
	v_mov_b32_e32 v49, v43
	v_add_f64 v[45:46], v[45:46], v[47:48]
	v_xor_b32_e32 v48, 0x80000000, v42
	v_mov_b32_e32 v47, v41
	v_cndmask_b32_e32 v50, v44, v50, vcc_lo
	v_cndmask_b32_e64 v48, v42, v48, s0
	v_add_f64 v[47:48], v[47:48], v[49:50]
	v_cmp_lt_f64_e32 vcc_lo, v[45:46], v[47:48]
	v_cndmask_b32_e32 v27, v27, v42, vcc_lo
	v_cndmask_b32_e32 v26, v26, v41, vcc_lo
	;; [unrolled: 1-line block ×4, first 2 shown]
	v_cndmask_b32_e64 v34, v34, s7, vcc_lo
	s_add_i32 s7, s7, 1
	s_cmp_lg_u32 s1, s7
	s_cbranch_scc1 .LBB10_85
.LBB10_86:
	s_inst_prefetch 0x2
	s_waitcnt lgkmcnt(0)
	v_cmp_eq_f64_e32 vcc_lo, 0, v[26:27]
	v_cmp_eq_f64_e64 s0, 0, v[28:29]
	s_and_b32 s0, vcc_lo, s0
	s_and_saveexec_b32 s7, s0
	s_xor_b32 s0, exec_lo, s7
; %bb.87:
	v_cmp_ne_u32_e32 vcc_lo, 0, v39
	v_cndmask_b32_e32 v39, 5, v39, vcc_lo
; %bb.88:
	s_andn2_saveexec_b32 s0, s0
	s_cbranch_execz .LBB10_94
; %bb.89:
	v_cmp_ngt_f64_e64 s7, |v[26:27]|, |v[28:29]|
	s_and_saveexec_b32 s8, s7
	s_xor_b32 s7, exec_lo, s8
	s_cbranch_execz .LBB10_91
; %bb.90:
	v_div_scale_f64 v[41:42], null, v[28:29], v[28:29], v[26:27]
	v_div_scale_f64 v[47:48], vcc_lo, v[26:27], v[28:29], v[26:27]
	v_rcp_f64_e32 v[43:44], v[41:42]
	v_fma_f64 v[45:46], -v[41:42], v[43:44], 1.0
	v_fma_f64 v[43:44], v[43:44], v[45:46], v[43:44]
	v_fma_f64 v[45:46], -v[41:42], v[43:44], 1.0
	v_fma_f64 v[43:44], v[43:44], v[45:46], v[43:44]
	v_mul_f64 v[45:46], v[47:48], v[43:44]
	v_fma_f64 v[41:42], -v[41:42], v[45:46], v[47:48]
	v_div_fmas_f64 v[41:42], v[41:42], v[43:44], v[45:46]
	v_div_fixup_f64 v[41:42], v[41:42], v[28:29], v[26:27]
	v_fma_f64 v[26:27], v[26:27], v[41:42], v[28:29]
	v_div_scale_f64 v[28:29], null, v[26:27], v[26:27], 1.0
	v_rcp_f64_e32 v[43:44], v[28:29]
	v_fma_f64 v[45:46], -v[28:29], v[43:44], 1.0
	v_fma_f64 v[43:44], v[43:44], v[45:46], v[43:44]
	v_fma_f64 v[45:46], -v[28:29], v[43:44], 1.0
	v_fma_f64 v[43:44], v[43:44], v[45:46], v[43:44]
	v_div_scale_f64 v[45:46], vcc_lo, 1.0, v[26:27], 1.0
	v_mul_f64 v[47:48], v[45:46], v[43:44]
	v_fma_f64 v[28:29], -v[28:29], v[47:48], v[45:46]
	v_div_fmas_f64 v[28:29], v[28:29], v[43:44], v[47:48]
	v_div_fixup_f64 v[28:29], v[28:29], v[26:27], 1.0
	v_mul_f64 v[26:27], v[41:42], v[28:29]
	v_xor_b32_e32 v29, 0x80000000, v29
.LBB10_91:
	s_andn2_saveexec_b32 s7, s7
	s_cbranch_execz .LBB10_93
; %bb.92:
	v_div_scale_f64 v[41:42], null, v[26:27], v[26:27], v[28:29]
	v_div_scale_f64 v[47:48], vcc_lo, v[28:29], v[26:27], v[28:29]
	v_rcp_f64_e32 v[43:44], v[41:42]
	v_fma_f64 v[45:46], -v[41:42], v[43:44], 1.0
	v_fma_f64 v[43:44], v[43:44], v[45:46], v[43:44]
	v_fma_f64 v[45:46], -v[41:42], v[43:44], 1.0
	v_fma_f64 v[43:44], v[43:44], v[45:46], v[43:44]
	v_mul_f64 v[45:46], v[47:48], v[43:44]
	v_fma_f64 v[41:42], -v[41:42], v[45:46], v[47:48]
	v_div_fmas_f64 v[41:42], v[41:42], v[43:44], v[45:46]
	v_div_fixup_f64 v[41:42], v[41:42], v[26:27], v[28:29]
	v_fma_f64 v[26:27], v[28:29], v[41:42], v[26:27]
	v_div_scale_f64 v[28:29], null, v[26:27], v[26:27], 1.0
	v_rcp_f64_e32 v[43:44], v[28:29]
	v_fma_f64 v[45:46], -v[28:29], v[43:44], 1.0
	v_fma_f64 v[43:44], v[43:44], v[45:46], v[43:44]
	v_fma_f64 v[45:46], -v[28:29], v[43:44], 1.0
	v_fma_f64 v[43:44], v[43:44], v[45:46], v[43:44]
	v_div_scale_f64 v[45:46], vcc_lo, 1.0, v[26:27], 1.0
	v_mul_f64 v[47:48], v[45:46], v[43:44]
	v_fma_f64 v[28:29], -v[28:29], v[47:48], v[45:46]
	v_div_fmas_f64 v[28:29], v[28:29], v[43:44], v[47:48]
	v_div_fixup_f64 v[26:27], v[28:29], v[26:27], 1.0
	v_mul_f64 v[28:29], v[41:42], -v[26:27]
.LBB10_93:
	s_or_b32 exec_lo, exec_lo, s7
.LBB10_94:
	s_or_b32 exec_lo, exec_lo, s0
	s_mov_b32 s0, exec_lo
	v_cmpx_ne_u32_e64 v40, v34
	s_xor_b32 s0, exec_lo, s0
	s_cbranch_execz .LBB10_100
; %bb.95:
	s_mov_b32 s7, exec_lo
	v_cmpx_eq_u32_e32 4, v40
	s_cbranch_execz .LBB10_99
; %bb.96:
	v_cmp_ne_u32_e32 vcc_lo, 4, v34
	s_xor_b32 s8, s16, -1
	s_and_b32 s9, s8, vcc_lo
	s_and_saveexec_b32 s8, s9
	s_cbranch_execz .LBB10_98
; %bb.97:
	v_ashrrev_i32_e32 v35, 31, v34
	v_lshlrev_b64 v[40:41], 2, v[34:35]
	v_add_co_u32 v40, vcc_lo, v32, v40
	v_add_co_ci_u32_e64 v41, null, v33, v41, vcc_lo
	s_clause 0x1
	global_load_dword v0, v[40:41], off
	global_load_dword v35, v[32:33], off offset:16
	s_waitcnt vmcnt(1)
	global_store_dword v[32:33], v0, off offset:16
	s_waitcnt vmcnt(0)
	global_store_dword v[40:41], v35, off
.LBB10_98:
	s_or_b32 exec_lo, exec_lo, s8
	v_mov_b32_e32 v40, v34
	v_mov_b32_e32 v0, v34
.LBB10_99:
	s_or_b32 exec_lo, exec_lo, s7
.LBB10_100:
	s_andn2_saveexec_b32 s0, s0
; %bb.101:
	v_mov_b32_e32 v40, 4
	ds_write2_b64 v1, v[2:3], v[4:5] offset0:10 offset1:11
; %bb.102:
	s_or_b32 exec_lo, exec_lo, s0
	s_mov_b32 s0, exec_lo
	s_waitcnt lgkmcnt(0)
	s_waitcnt_vscnt null, 0x0
	s_barrier
	buffer_gl0_inv
	v_cmpx_lt_i32_e32 4, v40
	s_cbranch_execz .LBB10_104
; %bb.103:
	v_mul_f64 v[34:35], v[26:27], v[8:9]
	v_mul_f64 v[8:9], v[28:29], v[8:9]
	ds_read2_b64 v[41:44], v1 offset0:10 offset1:11
	v_fma_f64 v[28:29], v[28:29], v[6:7], v[34:35]
	v_fma_f64 v[6:7], v[26:27], v[6:7], -v[8:9]
	s_waitcnt lgkmcnt(0)
	v_mul_f64 v[8:9], v[43:44], v[28:29]
	v_mul_f64 v[26:27], v[41:42], v[28:29]
	v_fma_f64 v[8:9], v[41:42], v[6:7], -v[8:9]
	v_fma_f64 v[26:27], v[43:44], v[6:7], v[26:27]
	v_add_f64 v[2:3], v[2:3], -v[8:9]
	v_add_f64 v[4:5], v[4:5], -v[26:27]
	v_mov_b32_e32 v8, v28
	v_mov_b32_e32 v9, v29
.LBB10_104:
	s_or_b32 exec_lo, exec_lo, s0
	v_lshl_add_u32 v26, v40, 4, v1
	s_barrier
	buffer_gl0_inv
	v_mov_b32_e32 v34, 5
	ds_write2_b64 v26, v[2:3], v[4:5] offset1:1
	s_waitcnt lgkmcnt(0)
	s_barrier
	buffer_gl0_inv
	ds_read2_b64 v[26:29], v1 offset0:10 offset1:11
	s_cmp_lt_i32 s1, 7
	s_cbranch_scc1 .LBB10_107
; %bb.105:
	v_add3_u32 v1, v36, 0, 0x60
	v_mov_b32_e32 v34, 5
	s_mov_b32 s7, 6
	s_inst_prefetch 0x1
	.p2align	6
.LBB10_106:                             ; =>This Inner Loop Header: Depth=1
	s_waitcnt lgkmcnt(0)
	v_cmp_gt_f64_e32 vcc_lo, 0, v[28:29]
	v_cmp_gt_f64_e64 s0, 0, v[26:27]
	ds_read2_b64 v[41:44], v1 offset1:1
	v_xor_b32_e32 v36, 0x80000000, v27
	v_xor_b32_e32 v46, 0x80000000, v29
	v_mov_b32_e32 v35, v26
	v_mov_b32_e32 v45, v28
	v_add_nc_u32_e32 v1, 16, v1
	s_waitcnt lgkmcnt(0)
	v_xor_b32_e32 v48, 0x80000000, v44
	v_cndmask_b32_e64 v36, v27, v36, s0
	v_cndmask_b32_e32 v46, v29, v46, vcc_lo
	v_cmp_gt_f64_e32 vcc_lo, 0, v[43:44]
	v_cmp_gt_f64_e64 s0, 0, v[41:42]
	v_mov_b32_e32 v47, v43
	v_add_f64 v[35:36], v[35:36], v[45:46]
	v_xor_b32_e32 v46, 0x80000000, v42
	v_mov_b32_e32 v45, v41
	v_cndmask_b32_e32 v48, v44, v48, vcc_lo
	v_cndmask_b32_e64 v46, v42, v46, s0
	v_add_f64 v[45:46], v[45:46], v[47:48]
	v_cmp_lt_f64_e32 vcc_lo, v[35:36], v[45:46]
	v_cndmask_b32_e32 v27, v27, v42, vcc_lo
	v_cndmask_b32_e32 v26, v26, v41, vcc_lo
	;; [unrolled: 1-line block ×4, first 2 shown]
	v_cndmask_b32_e64 v34, v34, s7, vcc_lo
	s_add_i32 s7, s7, 1
	s_cmp_lg_u32 s1, s7
	s_cbranch_scc1 .LBB10_106
.LBB10_107:
	s_inst_prefetch 0x2
	s_waitcnt lgkmcnt(0)
	v_cmp_eq_f64_e32 vcc_lo, 0, v[26:27]
	v_cmp_eq_f64_e64 s0, 0, v[28:29]
	s_and_b32 s0, vcc_lo, s0
	s_and_saveexec_b32 s1, s0
	s_xor_b32 s0, exec_lo, s1
; %bb.108:
	v_cmp_ne_u32_e32 vcc_lo, 0, v39
	v_cndmask_b32_e32 v39, 6, v39, vcc_lo
; %bb.109:
	s_andn2_saveexec_b32 s0, s0
	s_cbranch_execz .LBB10_115
; %bb.110:
	v_cmp_ngt_f64_e64 s1, |v[26:27]|, |v[28:29]|
	s_and_saveexec_b32 s7, s1
	s_xor_b32 s1, exec_lo, s7
	s_cbranch_execz .LBB10_112
; %bb.111:
	v_div_scale_f64 v[35:36], null, v[28:29], v[28:29], v[26:27]
	v_div_scale_f64 v[45:46], vcc_lo, v[26:27], v[28:29], v[26:27]
	v_rcp_f64_e32 v[41:42], v[35:36]
	v_fma_f64 v[43:44], -v[35:36], v[41:42], 1.0
	v_fma_f64 v[41:42], v[41:42], v[43:44], v[41:42]
	v_fma_f64 v[43:44], -v[35:36], v[41:42], 1.0
	v_fma_f64 v[41:42], v[41:42], v[43:44], v[41:42]
	v_mul_f64 v[43:44], v[45:46], v[41:42]
	v_fma_f64 v[35:36], -v[35:36], v[43:44], v[45:46]
	v_div_fmas_f64 v[35:36], v[35:36], v[41:42], v[43:44]
	v_div_fixup_f64 v[35:36], v[35:36], v[28:29], v[26:27]
	v_fma_f64 v[26:27], v[26:27], v[35:36], v[28:29]
	v_div_scale_f64 v[28:29], null, v[26:27], v[26:27], 1.0
	v_rcp_f64_e32 v[41:42], v[28:29]
	v_fma_f64 v[43:44], -v[28:29], v[41:42], 1.0
	v_fma_f64 v[41:42], v[41:42], v[43:44], v[41:42]
	v_fma_f64 v[43:44], -v[28:29], v[41:42], 1.0
	v_fma_f64 v[41:42], v[41:42], v[43:44], v[41:42]
	v_div_scale_f64 v[43:44], vcc_lo, 1.0, v[26:27], 1.0
	v_mul_f64 v[45:46], v[43:44], v[41:42]
	v_fma_f64 v[28:29], -v[28:29], v[45:46], v[43:44]
	v_div_fmas_f64 v[28:29], v[28:29], v[41:42], v[45:46]
	v_div_fixup_f64 v[28:29], v[28:29], v[26:27], 1.0
	v_mul_f64 v[26:27], v[35:36], v[28:29]
	v_xor_b32_e32 v29, 0x80000000, v29
.LBB10_112:
	s_andn2_saveexec_b32 s1, s1
	s_cbranch_execz .LBB10_114
; %bb.113:
	v_div_scale_f64 v[35:36], null, v[26:27], v[26:27], v[28:29]
	v_div_scale_f64 v[45:46], vcc_lo, v[28:29], v[26:27], v[28:29]
	v_rcp_f64_e32 v[41:42], v[35:36]
	v_fma_f64 v[43:44], -v[35:36], v[41:42], 1.0
	v_fma_f64 v[41:42], v[41:42], v[43:44], v[41:42]
	v_fma_f64 v[43:44], -v[35:36], v[41:42], 1.0
	v_fma_f64 v[41:42], v[41:42], v[43:44], v[41:42]
	v_mul_f64 v[43:44], v[45:46], v[41:42]
	v_fma_f64 v[35:36], -v[35:36], v[43:44], v[45:46]
	v_div_fmas_f64 v[35:36], v[35:36], v[41:42], v[43:44]
	v_div_fixup_f64 v[35:36], v[35:36], v[26:27], v[28:29]
	v_fma_f64 v[26:27], v[28:29], v[35:36], v[26:27]
	v_div_scale_f64 v[28:29], null, v[26:27], v[26:27], 1.0
	v_rcp_f64_e32 v[41:42], v[28:29]
	v_fma_f64 v[43:44], -v[28:29], v[41:42], 1.0
	v_fma_f64 v[41:42], v[41:42], v[43:44], v[41:42]
	v_fma_f64 v[43:44], -v[28:29], v[41:42], 1.0
	v_fma_f64 v[41:42], v[41:42], v[43:44], v[41:42]
	v_div_scale_f64 v[43:44], vcc_lo, 1.0, v[26:27], 1.0
	v_mul_f64 v[45:46], v[43:44], v[41:42]
	v_fma_f64 v[28:29], -v[28:29], v[45:46], v[43:44]
	v_div_fmas_f64 v[28:29], v[28:29], v[41:42], v[45:46]
	v_div_fixup_f64 v[26:27], v[28:29], v[26:27], 1.0
	v_mul_f64 v[28:29], v[35:36], -v[26:27]
.LBB10_114:
	s_or_b32 exec_lo, exec_lo, s1
.LBB10_115:
	s_or_b32 exec_lo, exec_lo, s0
	v_mov_b32_e32 v35, 5
	s_mov_b32 s0, exec_lo
	v_cmpx_ne_u32_e64 v40, v34
	s_cbranch_execz .LBB10_121
; %bb.116:
	s_mov_b32 s1, exec_lo
	v_cmpx_eq_u32_e32 5, v40
	s_cbranch_execz .LBB10_120
; %bb.117:
	v_cmp_ne_u32_e32 vcc_lo, 5, v34
	s_xor_b32 s7, s16, -1
	s_and_b32 s8, s7, vcc_lo
	s_and_saveexec_b32 s7, s8
	s_cbranch_execz .LBB10_119
; %bb.118:
	v_ashrrev_i32_e32 v35, 31, v34
	v_lshlrev_b64 v[0:1], 2, v[34:35]
	v_add_co_u32 v0, vcc_lo, v32, v0
	v_add_co_ci_u32_e64 v1, null, v33, v1, vcc_lo
	s_clause 0x1
	global_load_dword v35, v[0:1], off
	global_load_dword v36, v[32:33], off offset:20
	s_waitcnt vmcnt(1)
	global_store_dword v[32:33], v35, off offset:20
	s_waitcnt vmcnt(0)
	global_store_dword v[0:1], v36, off
.LBB10_119:
	s_or_b32 exec_lo, exec_lo, s7
	v_mov_b32_e32 v40, v34
	v_mov_b32_e32 v0, v34
.LBB10_120:
	s_or_b32 exec_lo, exec_lo, s1
	v_mov_b32_e32 v35, v40
.LBB10_121:
	s_or_b32 exec_lo, exec_lo, s0
	s_mov_b32 s0, exec_lo
	s_waitcnt_vscnt null, 0x0
	s_barrier
	buffer_gl0_inv
	v_cmpx_lt_i32_e32 5, v35
	s_cbranch_execz .LBB10_123
; %bb.122:
	v_mul_f64 v[32:33], v[28:29], v[4:5]
	v_mul_f64 v[4:5], v[26:27], v[4:5]
	v_fma_f64 v[26:27], v[26:27], v[2:3], -v[32:33]
	v_fma_f64 v[4:5], v[28:29], v[2:3], v[4:5]
	v_mov_b32_e32 v2, v26
	v_mov_b32_e32 v3, v27
.LBB10_123:
	s_or_b32 exec_lo, exec_lo, s0
	v_ashrrev_i32_e32 v36, 31, v35
	s_mov_b32 s0, exec_lo
	s_barrier
	buffer_gl0_inv
	v_cmpx_gt_i32_e32 6, v35
	s_cbranch_execz .LBB10_125
; %bb.124:
	v_mul_lo_u32 v1, s15, v30
	v_mul_lo_u32 v28, s14, v31
	v_mad_u64_u32 v[26:27], null, s14, v30, 0
	s_lshl_b64 s[8:9], s[12:13], 2
	v_add3_u32 v0, v0, s17, 1
	v_add3_u32 v27, v27, v28, v1
	v_lshlrev_b64 v[26:27], 2, v[26:27]
	v_add_co_u32 v1, vcc_lo, s10, v26
	v_add_co_ci_u32_e64 v28, null, s11, v27, vcc_lo
	v_lshlrev_b64 v[26:27], 2, v[35:36]
	v_add_co_u32 v1, vcc_lo, v1, s8
	v_add_co_ci_u32_e64 v28, null, s9, v28, vcc_lo
	v_add_co_u32 v26, vcc_lo, v1, v26
	v_add_co_ci_u32_e64 v27, null, v28, v27, vcc_lo
	global_store_dword v[26:27], v0, off
.LBB10_125:
	s_or_b32 exec_lo, exec_lo, s0
	s_mov_b32 s1, exec_lo
	v_cmpx_eq_u32_e32 0, v35
	s_cbranch_execz .LBB10_128
; %bb.126:
	v_lshlrev_b64 v[0:1], 2, v[30:31]
	v_cmp_ne_u32_e64 s0, 0, v39
	v_add_co_u32 v0, vcc_lo, s4, v0
	v_add_co_ci_u32_e64 v1, null, s5, v1, vcc_lo
	global_load_dword v26, v[0:1], off
	s_waitcnt vmcnt(0)
	v_cmp_eq_u32_e32 vcc_lo, 0, v26
	s_and_b32 s0, vcc_lo, s0
	s_and_b32 exec_lo, exec_lo, s0
	s_cbranch_execz .LBB10_128
; %bb.127:
	v_add_nc_u32_e32 v26, s17, v39
	global_store_dword v[0:1], v26, off
.LBB10_128:
	s_or_b32 exec_lo, exec_lo, s1
	v_add3_u32 v0, s6, s6, v35
	v_lshlrev_b64 v[26:27], 4, v[35:36]
	v_add_nc_u32_e32 v28, s6, v0
	v_ashrrev_i32_e32 v1, 31, v0
	v_add_co_u32 v26, vcc_lo, v37, v26
	v_add_co_ci_u32_e64 v27, null, v38, v27, vcc_lo
	v_add_nc_u32_e32 v30, s6, v28
	v_ashrrev_i32_e32 v29, 31, v28
	v_lshlrev_b64 v[0:1], 4, v[0:1]
	global_store_dwordx4 v[26:27], v[22:25], off
	v_add_co_u32 v22, vcc_lo, v26, s2
	v_add_nc_u32_e32 v26, s6, v30
	v_ashrrev_i32_e32 v31, 31, v30
	v_add_co_ci_u32_e64 v23, null, s3, v27, vcc_lo
	v_lshlrev_b64 v[24:25], 4, v[28:29]
	v_ashrrev_i32_e32 v27, 31, v26
	v_lshlrev_b64 v[28:29], 4, v[30:31]
	v_add_co_u32 v0, vcc_lo, v37, v0
	v_add_co_ci_u32_e64 v1, null, v38, v1, vcc_lo
	v_lshlrev_b64 v[26:27], 4, v[26:27]
	v_add_co_u32 v24, vcc_lo, v37, v24
	v_add_co_ci_u32_e64 v25, null, v38, v25, vcc_lo
	v_add_co_u32 v28, vcc_lo, v37, v28
	v_add_co_ci_u32_e64 v29, null, v38, v29, vcc_lo
	;; [unrolled: 2-line block ×3, first 2 shown]
	global_store_dwordx4 v[22:23], v[18:21], off
	global_store_dwordx4 v[0:1], v[14:17], off
	;; [unrolled: 1-line block ×5, first 2 shown]
.LBB10_129:
	s_endpgm
	.section	.rodata,"a",@progbits
	.p2align	6, 0x0
	.amdhsa_kernel _ZN9rocsolver6v33100L18getf2_small_kernelILi6E19rocblas_complex_numIdEiiPS3_EEvT1_T3_lS5_lPS5_llPT2_S5_S5_S7_l
		.amdhsa_group_segment_fixed_size 0
		.amdhsa_private_segment_fixed_size 0
		.amdhsa_kernarg_size 352
		.amdhsa_user_sgpr_count 6
		.amdhsa_user_sgpr_private_segment_buffer 1
		.amdhsa_user_sgpr_dispatch_ptr 0
		.amdhsa_user_sgpr_queue_ptr 0
		.amdhsa_user_sgpr_kernarg_segment_ptr 1
		.amdhsa_user_sgpr_dispatch_id 0
		.amdhsa_user_sgpr_flat_scratch_init 0
		.amdhsa_user_sgpr_private_segment_size 0
		.amdhsa_wavefront_size32 1
		.amdhsa_uses_dynamic_stack 0
		.amdhsa_system_sgpr_private_segment_wavefront_offset 0
		.amdhsa_system_sgpr_workgroup_id_x 1
		.amdhsa_system_sgpr_workgroup_id_y 1
		.amdhsa_system_sgpr_workgroup_id_z 0
		.amdhsa_system_sgpr_workgroup_info 0
		.amdhsa_system_vgpr_workitem_id 1
		.amdhsa_next_free_vgpr 59
		.amdhsa_next_free_sgpr 18
		.amdhsa_reserve_vcc 1
		.amdhsa_reserve_flat_scratch 0
		.amdhsa_float_round_mode_32 0
		.amdhsa_float_round_mode_16_64 0
		.amdhsa_float_denorm_mode_32 3
		.amdhsa_float_denorm_mode_16_64 3
		.amdhsa_dx10_clamp 1
		.amdhsa_ieee_mode 1
		.amdhsa_fp16_overflow 0
		.amdhsa_workgroup_processor_mode 1
		.amdhsa_memory_ordered 1
		.amdhsa_forward_progress 1
		.amdhsa_shared_vgpr_count 0
		.amdhsa_exception_fp_ieee_invalid_op 0
		.amdhsa_exception_fp_denorm_src 0
		.amdhsa_exception_fp_ieee_div_zero 0
		.amdhsa_exception_fp_ieee_overflow 0
		.amdhsa_exception_fp_ieee_underflow 0
		.amdhsa_exception_fp_ieee_inexact 0
		.amdhsa_exception_int_div_zero 0
	.end_amdhsa_kernel
	.section	.text._ZN9rocsolver6v33100L18getf2_small_kernelILi6E19rocblas_complex_numIdEiiPS3_EEvT1_T3_lS5_lPS5_llPT2_S5_S5_S7_l,"axG",@progbits,_ZN9rocsolver6v33100L18getf2_small_kernelILi6E19rocblas_complex_numIdEiiPS3_EEvT1_T3_lS5_lPS5_llPT2_S5_S5_S7_l,comdat
.Lfunc_end10:
	.size	_ZN9rocsolver6v33100L18getf2_small_kernelILi6E19rocblas_complex_numIdEiiPS3_EEvT1_T3_lS5_lPS5_llPT2_S5_S5_S7_l, .Lfunc_end10-_ZN9rocsolver6v33100L18getf2_small_kernelILi6E19rocblas_complex_numIdEiiPS3_EEvT1_T3_lS5_lPS5_llPT2_S5_S5_S7_l
                                        ; -- End function
	.set _ZN9rocsolver6v33100L18getf2_small_kernelILi6E19rocblas_complex_numIdEiiPS3_EEvT1_T3_lS5_lPS5_llPT2_S5_S5_S7_l.num_vgpr, 59
	.set _ZN9rocsolver6v33100L18getf2_small_kernelILi6E19rocblas_complex_numIdEiiPS3_EEvT1_T3_lS5_lPS5_llPT2_S5_S5_S7_l.num_agpr, 0
	.set _ZN9rocsolver6v33100L18getf2_small_kernelILi6E19rocblas_complex_numIdEiiPS3_EEvT1_T3_lS5_lPS5_llPT2_S5_S5_S7_l.numbered_sgpr, 18
	.set _ZN9rocsolver6v33100L18getf2_small_kernelILi6E19rocblas_complex_numIdEiiPS3_EEvT1_T3_lS5_lPS5_llPT2_S5_S5_S7_l.num_named_barrier, 0
	.set _ZN9rocsolver6v33100L18getf2_small_kernelILi6E19rocblas_complex_numIdEiiPS3_EEvT1_T3_lS5_lPS5_llPT2_S5_S5_S7_l.private_seg_size, 0
	.set _ZN9rocsolver6v33100L18getf2_small_kernelILi6E19rocblas_complex_numIdEiiPS3_EEvT1_T3_lS5_lPS5_llPT2_S5_S5_S7_l.uses_vcc, 1
	.set _ZN9rocsolver6v33100L18getf2_small_kernelILi6E19rocblas_complex_numIdEiiPS3_EEvT1_T3_lS5_lPS5_llPT2_S5_S5_S7_l.uses_flat_scratch, 0
	.set _ZN9rocsolver6v33100L18getf2_small_kernelILi6E19rocblas_complex_numIdEiiPS3_EEvT1_T3_lS5_lPS5_llPT2_S5_S5_S7_l.has_dyn_sized_stack, 0
	.set _ZN9rocsolver6v33100L18getf2_small_kernelILi6E19rocblas_complex_numIdEiiPS3_EEvT1_T3_lS5_lPS5_llPT2_S5_S5_S7_l.has_recursion, 0
	.set _ZN9rocsolver6v33100L18getf2_small_kernelILi6E19rocblas_complex_numIdEiiPS3_EEvT1_T3_lS5_lPS5_llPT2_S5_S5_S7_l.has_indirect_call, 0
	.section	.AMDGPU.csdata,"",@progbits
; Kernel info:
; codeLenInByte = 7776
; TotalNumSgprs: 20
; NumVgprs: 59
; ScratchSize: 0
; MemoryBound: 0
; FloatMode: 240
; IeeeMode: 1
; LDSByteSize: 0 bytes/workgroup (compile time only)
; SGPRBlocks: 0
; VGPRBlocks: 7
; NumSGPRsForWavesPerEU: 20
; NumVGPRsForWavesPerEU: 59
; Occupancy: 16
; WaveLimiterHint : 0
; COMPUTE_PGM_RSRC2:SCRATCH_EN: 0
; COMPUTE_PGM_RSRC2:USER_SGPR: 6
; COMPUTE_PGM_RSRC2:TRAP_HANDLER: 0
; COMPUTE_PGM_RSRC2:TGID_X_EN: 1
; COMPUTE_PGM_RSRC2:TGID_Y_EN: 1
; COMPUTE_PGM_RSRC2:TGID_Z_EN: 0
; COMPUTE_PGM_RSRC2:TIDIG_COMP_CNT: 1
	.section	.text._ZN9rocsolver6v33100L23getf2_npvt_small_kernelILi6E19rocblas_complex_numIdEiiPS3_EEvT1_T3_lS5_lPT2_S5_S5_,"axG",@progbits,_ZN9rocsolver6v33100L23getf2_npvt_small_kernelILi6E19rocblas_complex_numIdEiiPS3_EEvT1_T3_lS5_lPT2_S5_S5_,comdat
	.globl	_ZN9rocsolver6v33100L23getf2_npvt_small_kernelILi6E19rocblas_complex_numIdEiiPS3_EEvT1_T3_lS5_lPT2_S5_S5_ ; -- Begin function _ZN9rocsolver6v33100L23getf2_npvt_small_kernelILi6E19rocblas_complex_numIdEiiPS3_EEvT1_T3_lS5_lPT2_S5_S5_
	.p2align	8
	.type	_ZN9rocsolver6v33100L23getf2_npvt_small_kernelILi6E19rocblas_complex_numIdEiiPS3_EEvT1_T3_lS5_lPT2_S5_S5_,@function
_ZN9rocsolver6v33100L23getf2_npvt_small_kernelILi6E19rocblas_complex_numIdEiiPS3_EEvT1_T3_lS5_lPT2_S5_S5_: ; @_ZN9rocsolver6v33100L23getf2_npvt_small_kernelILi6E19rocblas_complex_numIdEiiPS3_EEvT1_T3_lS5_lPT2_S5_S5_
; %bb.0:
	s_clause 0x1
	s_load_dword s0, s[4:5], 0x44
	s_load_dwordx2 s[12:13], s[4:5], 0x30
	s_waitcnt lgkmcnt(0)
	s_lshr_b32 s14, s0, 16
	s_mov_b32 s0, exec_lo
	v_mad_u64_u32 v[50:51], null, s7, s14, v[1:2]
	v_cmpx_gt_i32_e64 s12, v50
	s_cbranch_execz .LBB11_59
; %bb.1:
	s_clause 0x2
	s_load_dwordx4 s[8:11], s[4:5], 0x20
	s_load_dword s6, s[4:5], 0x18
	s_load_dwordx4 s[0:3], s[4:5], 0x8
	v_ashrrev_i32_e32 v51, 31, v50
	v_lshlrev_b32_e32 v12, 4, v0
	v_lshlrev_b32_e32 v26, 4, v1
	s_mulk_i32 s14, 0x60
	v_mad_u32_u24 v64, 0x60, v1, 0
	v_add3_u32 v1, 0, s14, v26
	s_waitcnt lgkmcnt(0)
	v_mul_lo_u32 v5, s9, v50
	v_mul_lo_u32 v7, s8, v51
	v_mad_u64_u32 v[2:3], null, s8, v50, 0
	v_add3_u32 v4, s6, s6, v0
	s_lshl_b64 s[2:3], s[2:3], 4
	s_ashr_i32 s7, s6, 31
	s_lshl_b64 s[4:5], s[6:7], 4
	v_add_nc_u32_e32 v6, s6, v4
	v_add3_u32 v3, v3, v7, v5
	v_ashrrev_i32_e32 v5, 31, v4
	v_add_nc_u32_e32 v8, s6, v6
	v_lshlrev_b64 v[2:3], 4, v[2:3]
	v_ashrrev_i32_e32 v7, 31, v6
	v_lshlrev_b64 v[4:5], 4, v[4:5]
	v_ashrrev_i32_e32 v9, 31, v8
	v_add_nc_u32_e32 v10, s6, v8
	v_add_co_u32 v13, vcc_lo, s0, v2
	v_add_co_ci_u32_e64 v14, null, s1, v3, vcc_lo
	v_lshlrev_b64 v[6:7], 4, v[6:7]
	v_add_co_u32 v13, vcc_lo, v13, s2
	v_add_co_ci_u32_e64 v14, null, s3, v14, vcc_lo
	v_lshlrev_b64 v[2:3], 4, v[8:9]
	v_add_co_u32 v60, vcc_lo, v13, v12
	v_ashrrev_i32_e32 v11, 31, v10
	v_add_co_ci_u32_e64 v61, null, 0, v14, vcc_lo
	v_add_co_u32 v58, vcc_lo, v13, v4
	v_add_co_ci_u32_e64 v59, null, v14, v5, vcc_lo
	v_add_co_u32 v56, vcc_lo, v13, v6
	v_lshlrev_b64 v[8:9], 4, v[10:11]
	v_add_co_ci_u32_e64 v57, null, v14, v7, vcc_lo
	v_add_co_u32 v54, vcc_lo, v13, v2
	v_add_co_ci_u32_e64 v55, null, v14, v3, vcc_lo
	v_add_co_u32 v62, vcc_lo, v60, s4
	;; [unrolled: 2-line block ×3, first 2 shown]
	v_add_co_ci_u32_e64 v53, null, v14, v9, vcc_lo
	s_clause 0x5
	global_load_dwordx4 v[22:25], v[60:61], off
	global_load_dwordx4 v[18:21], v[62:63], off
	global_load_dwordx4 v[14:17], v[58:59], off
	global_load_dwordx4 v[10:13], v[56:57], off
	global_load_dwordx4 v[6:9], v[54:55], off
	global_load_dwordx4 v[2:5], v[52:53], off
	v_cmp_ne_u32_e64 s1, 0, v0
	v_cmp_eq_u32_e64 s0, 0, v0
	s_and_saveexec_b32 s3, s0
	s_cbranch_execz .LBB11_8
; %bb.2:
	s_waitcnt vmcnt(5)
	ds_write2_b64 v1, v[22:23], v[24:25] offset1:1
	s_waitcnt vmcnt(4)
	ds_write2_b64 v64, v[18:19], v[20:21] offset0:2 offset1:3
	s_waitcnt vmcnt(3)
	ds_write2_b64 v64, v[14:15], v[16:17] offset0:4 offset1:5
	;; [unrolled: 2-line block ×5, first 2 shown]
	ds_read2_b64 v[26:29], v1 offset1:1
	s_waitcnt lgkmcnt(0)
	v_cmp_neq_f64_e32 vcc_lo, 0, v[26:27]
	v_cmp_neq_f64_e64 s2, 0, v[28:29]
	s_or_b32 s2, vcc_lo, s2
	s_and_b32 exec_lo, exec_lo, s2
	s_cbranch_execz .LBB11_8
; %bb.3:
	v_cmp_ngt_f64_e64 s2, |v[26:27]|, |v[28:29]|
                                        ; implicit-def: $vgpr30_vgpr31
	s_and_saveexec_b32 s4, s2
	s_xor_b32 s2, exec_lo, s4
                                        ; implicit-def: $vgpr32_vgpr33
	s_cbranch_execz .LBB11_5
; %bb.4:
	v_div_scale_f64 v[30:31], null, v[28:29], v[28:29], v[26:27]
	v_div_scale_f64 v[36:37], vcc_lo, v[26:27], v[28:29], v[26:27]
	v_rcp_f64_e32 v[32:33], v[30:31]
	v_fma_f64 v[34:35], -v[30:31], v[32:33], 1.0
	v_fma_f64 v[32:33], v[32:33], v[34:35], v[32:33]
	v_fma_f64 v[34:35], -v[30:31], v[32:33], 1.0
	v_fma_f64 v[32:33], v[32:33], v[34:35], v[32:33]
	v_mul_f64 v[34:35], v[36:37], v[32:33]
	v_fma_f64 v[30:31], -v[30:31], v[34:35], v[36:37]
	v_div_fmas_f64 v[30:31], v[30:31], v[32:33], v[34:35]
	v_div_fixup_f64 v[30:31], v[30:31], v[28:29], v[26:27]
	v_fma_f64 v[26:27], v[26:27], v[30:31], v[28:29]
	v_div_scale_f64 v[28:29], null, v[26:27], v[26:27], 1.0
	v_rcp_f64_e32 v[32:33], v[28:29]
	v_fma_f64 v[34:35], -v[28:29], v[32:33], 1.0
	v_fma_f64 v[32:33], v[32:33], v[34:35], v[32:33]
	v_fma_f64 v[34:35], -v[28:29], v[32:33], 1.0
	v_fma_f64 v[32:33], v[32:33], v[34:35], v[32:33]
	v_div_scale_f64 v[34:35], vcc_lo, 1.0, v[26:27], 1.0
	v_mul_f64 v[36:37], v[34:35], v[32:33]
	v_fma_f64 v[28:29], -v[28:29], v[36:37], v[34:35]
	v_div_fmas_f64 v[28:29], v[28:29], v[32:33], v[36:37]
	v_div_fixup_f64 v[32:33], v[28:29], v[26:27], 1.0
                                        ; implicit-def: $vgpr26_vgpr27
	v_mul_f64 v[30:31], v[30:31], v[32:33]
	v_xor_b32_e32 v33, 0x80000000, v33
.LBB11_5:
	s_andn2_saveexec_b32 s2, s2
	s_cbranch_execz .LBB11_7
; %bb.6:
	v_div_scale_f64 v[30:31], null, v[26:27], v[26:27], v[28:29]
	v_div_scale_f64 v[36:37], vcc_lo, v[28:29], v[26:27], v[28:29]
	v_rcp_f64_e32 v[32:33], v[30:31]
	v_fma_f64 v[34:35], -v[30:31], v[32:33], 1.0
	v_fma_f64 v[32:33], v[32:33], v[34:35], v[32:33]
	v_fma_f64 v[34:35], -v[30:31], v[32:33], 1.0
	v_fma_f64 v[32:33], v[32:33], v[34:35], v[32:33]
	v_mul_f64 v[34:35], v[36:37], v[32:33]
	v_fma_f64 v[30:31], -v[30:31], v[34:35], v[36:37]
	v_div_fmas_f64 v[30:31], v[30:31], v[32:33], v[34:35]
	v_div_fixup_f64 v[32:33], v[30:31], v[26:27], v[28:29]
	v_fma_f64 v[26:27], v[28:29], v[32:33], v[26:27]
	v_div_scale_f64 v[28:29], null, v[26:27], v[26:27], 1.0
	v_rcp_f64_e32 v[30:31], v[28:29]
	v_fma_f64 v[34:35], -v[28:29], v[30:31], 1.0
	v_fma_f64 v[30:31], v[30:31], v[34:35], v[30:31]
	v_fma_f64 v[34:35], -v[28:29], v[30:31], 1.0
	v_fma_f64 v[30:31], v[30:31], v[34:35], v[30:31]
	v_div_scale_f64 v[34:35], vcc_lo, 1.0, v[26:27], 1.0
	v_mul_f64 v[36:37], v[34:35], v[30:31]
	v_fma_f64 v[28:29], -v[28:29], v[36:37], v[34:35]
	v_div_fmas_f64 v[28:29], v[28:29], v[30:31], v[36:37]
	v_div_fixup_f64 v[30:31], v[28:29], v[26:27], 1.0
	v_mul_f64 v[32:33], v[32:33], -v[30:31]
.LBB11_7:
	s_or_b32 exec_lo, exec_lo, s2
	ds_write2_b64 v1, v[30:31], v[32:33] offset1:1
.LBB11_8:
	s_or_b32 exec_lo, exec_lo, s3
	s_waitcnt vmcnt(0) lgkmcnt(0)
	s_barrier
	buffer_gl0_inv
	ds_read2_b64 v[26:29], v1 offset1:1
	s_and_saveexec_b32 s2, s1
	s_cbranch_execz .LBB11_10
; %bb.9:
	s_waitcnt lgkmcnt(0)
	v_mul_f64 v[30:31], v[26:27], v[24:25]
	v_mul_f64 v[24:25], v[28:29], v[24:25]
	v_fma_f64 v[34:35], v[28:29], v[22:23], v[30:31]
	ds_read2_b64 v[30:33], v64 offset0:2 offset1:3
	v_fma_f64 v[22:23], v[26:27], v[22:23], -v[24:25]
	s_waitcnt lgkmcnt(0)
	v_mul_f64 v[24:25], v[32:33], v[34:35]
	v_fma_f64 v[24:25], v[30:31], v[22:23], -v[24:25]
	v_mul_f64 v[30:31], v[30:31], v[34:35]
	v_add_f64 v[18:19], v[18:19], -v[24:25]
	v_fma_f64 v[30:31], v[32:33], v[22:23], v[30:31]
	v_add_f64 v[20:21], v[20:21], -v[30:31]
	ds_read2_b64 v[30:33], v64 offset0:4 offset1:5
	s_waitcnt lgkmcnt(0)
	v_mul_f64 v[24:25], v[32:33], v[34:35]
	v_fma_f64 v[24:25], v[30:31], v[22:23], -v[24:25]
	v_mul_f64 v[30:31], v[30:31], v[34:35]
	v_add_f64 v[14:15], v[14:15], -v[24:25]
	v_fma_f64 v[30:31], v[32:33], v[22:23], v[30:31]
	v_add_f64 v[16:17], v[16:17], -v[30:31]
	ds_read2_b64 v[30:33], v64 offset0:6 offset1:7
	s_waitcnt lgkmcnt(0)
	v_mul_f64 v[24:25], v[32:33], v[34:35]
	v_fma_f64 v[24:25], v[30:31], v[22:23], -v[24:25]
	v_mul_f64 v[30:31], v[30:31], v[34:35]
	v_add_f64 v[10:11], v[10:11], -v[24:25]
	v_fma_f64 v[30:31], v[32:33], v[22:23], v[30:31]
	v_add_f64 v[12:13], v[12:13], -v[30:31]
	ds_read2_b64 v[30:33], v64 offset0:8 offset1:9
	s_waitcnt lgkmcnt(0)
	v_mul_f64 v[24:25], v[32:33], v[34:35]
	v_fma_f64 v[24:25], v[30:31], v[22:23], -v[24:25]
	v_mul_f64 v[30:31], v[30:31], v[34:35]
	v_add_f64 v[6:7], v[6:7], -v[24:25]
	v_fma_f64 v[30:31], v[32:33], v[22:23], v[30:31]
	v_add_f64 v[8:9], v[8:9], -v[30:31]
	ds_read2_b64 v[30:33], v64 offset0:10 offset1:11
	s_waitcnt lgkmcnt(0)
	v_mul_f64 v[24:25], v[32:33], v[34:35]
	v_fma_f64 v[24:25], v[30:31], v[22:23], -v[24:25]
	v_mul_f64 v[30:31], v[30:31], v[34:35]
	v_add_f64 v[2:3], v[2:3], -v[24:25]
	v_fma_f64 v[30:31], v[32:33], v[22:23], v[30:31]
	v_mov_b32_e32 v24, v34
	v_mov_b32_e32 v25, v35
	v_add_f64 v[4:5], v[4:5], -v[30:31]
.LBB11_10:
	s_or_b32 exec_lo, exec_lo, s2
	s_mov_b32 s2, exec_lo
	s_waitcnt lgkmcnt(0)
	s_barrier
	buffer_gl0_inv
	v_cmpx_eq_u32_e32 1, v0
	s_cbranch_execz .LBB11_17
; %bb.11:
	ds_write2_b64 v1, v[18:19], v[20:21] offset1:1
	ds_write2_b64 v64, v[14:15], v[16:17] offset0:4 offset1:5
	ds_write2_b64 v64, v[10:11], v[12:13] offset0:6 offset1:7
	;; [unrolled: 1-line block ×4, first 2 shown]
	ds_read2_b64 v[30:33], v1 offset1:1
	s_waitcnt lgkmcnt(0)
	v_cmp_neq_f64_e32 vcc_lo, 0, v[30:31]
	v_cmp_neq_f64_e64 s1, 0, v[32:33]
	s_or_b32 s1, vcc_lo, s1
	s_and_b32 exec_lo, exec_lo, s1
	s_cbranch_execz .LBB11_17
; %bb.12:
	v_cmp_ngt_f64_e64 s1, |v[30:31]|, |v[32:33]|
                                        ; implicit-def: $vgpr34_vgpr35
	s_and_saveexec_b32 s3, s1
	s_xor_b32 s1, exec_lo, s3
                                        ; implicit-def: $vgpr36_vgpr37
	s_cbranch_execz .LBB11_14
; %bb.13:
	v_div_scale_f64 v[34:35], null, v[32:33], v[32:33], v[30:31]
	v_div_scale_f64 v[40:41], vcc_lo, v[30:31], v[32:33], v[30:31]
	v_rcp_f64_e32 v[36:37], v[34:35]
	v_fma_f64 v[38:39], -v[34:35], v[36:37], 1.0
	v_fma_f64 v[36:37], v[36:37], v[38:39], v[36:37]
	v_fma_f64 v[38:39], -v[34:35], v[36:37], 1.0
	v_fma_f64 v[36:37], v[36:37], v[38:39], v[36:37]
	v_mul_f64 v[38:39], v[40:41], v[36:37]
	v_fma_f64 v[34:35], -v[34:35], v[38:39], v[40:41]
	v_div_fmas_f64 v[34:35], v[34:35], v[36:37], v[38:39]
	v_div_fixup_f64 v[34:35], v[34:35], v[32:33], v[30:31]
	v_fma_f64 v[30:31], v[30:31], v[34:35], v[32:33]
	v_div_scale_f64 v[32:33], null, v[30:31], v[30:31], 1.0
	v_rcp_f64_e32 v[36:37], v[32:33]
	v_fma_f64 v[38:39], -v[32:33], v[36:37], 1.0
	v_fma_f64 v[36:37], v[36:37], v[38:39], v[36:37]
	v_fma_f64 v[38:39], -v[32:33], v[36:37], 1.0
	v_fma_f64 v[36:37], v[36:37], v[38:39], v[36:37]
	v_div_scale_f64 v[38:39], vcc_lo, 1.0, v[30:31], 1.0
	v_mul_f64 v[40:41], v[38:39], v[36:37]
	v_fma_f64 v[32:33], -v[32:33], v[40:41], v[38:39]
	v_div_fmas_f64 v[32:33], v[32:33], v[36:37], v[40:41]
	v_div_fixup_f64 v[36:37], v[32:33], v[30:31], 1.0
                                        ; implicit-def: $vgpr30_vgpr31
	v_mul_f64 v[34:35], v[34:35], v[36:37]
	v_xor_b32_e32 v37, 0x80000000, v37
.LBB11_14:
	s_andn2_saveexec_b32 s1, s1
	s_cbranch_execz .LBB11_16
; %bb.15:
	v_div_scale_f64 v[34:35], null, v[30:31], v[30:31], v[32:33]
	v_div_scale_f64 v[40:41], vcc_lo, v[32:33], v[30:31], v[32:33]
	v_rcp_f64_e32 v[36:37], v[34:35]
	v_fma_f64 v[38:39], -v[34:35], v[36:37], 1.0
	v_fma_f64 v[36:37], v[36:37], v[38:39], v[36:37]
	v_fma_f64 v[38:39], -v[34:35], v[36:37], 1.0
	v_fma_f64 v[36:37], v[36:37], v[38:39], v[36:37]
	v_mul_f64 v[38:39], v[40:41], v[36:37]
	v_fma_f64 v[34:35], -v[34:35], v[38:39], v[40:41]
	v_div_fmas_f64 v[34:35], v[34:35], v[36:37], v[38:39]
	v_div_fixup_f64 v[36:37], v[34:35], v[30:31], v[32:33]
	v_fma_f64 v[30:31], v[32:33], v[36:37], v[30:31]
	v_div_scale_f64 v[32:33], null, v[30:31], v[30:31], 1.0
	v_rcp_f64_e32 v[34:35], v[32:33]
	v_fma_f64 v[38:39], -v[32:33], v[34:35], 1.0
	v_fma_f64 v[34:35], v[34:35], v[38:39], v[34:35]
	v_fma_f64 v[38:39], -v[32:33], v[34:35], 1.0
	v_fma_f64 v[34:35], v[34:35], v[38:39], v[34:35]
	v_div_scale_f64 v[38:39], vcc_lo, 1.0, v[30:31], 1.0
	v_mul_f64 v[40:41], v[38:39], v[34:35]
	v_fma_f64 v[32:33], -v[32:33], v[40:41], v[38:39]
	v_div_fmas_f64 v[32:33], v[32:33], v[34:35], v[40:41]
	v_div_fixup_f64 v[34:35], v[32:33], v[30:31], 1.0
	v_mul_f64 v[36:37], v[36:37], -v[34:35]
.LBB11_16:
	s_or_b32 exec_lo, exec_lo, s1
	ds_write2_b64 v1, v[34:35], v[36:37] offset1:1
.LBB11_17:
	s_or_b32 exec_lo, exec_lo, s2
	s_waitcnt lgkmcnt(0)
	s_barrier
	buffer_gl0_inv
	ds_read2_b64 v[30:33], v1 offset1:1
	s_mov_b32 s1, exec_lo
	v_cmpx_lt_u32_e32 1, v0
	s_cbranch_execz .LBB11_19
; %bb.18:
	s_waitcnt lgkmcnt(0)
	v_mul_f64 v[34:35], v[30:31], v[20:21]
	v_mul_f64 v[20:21], v[32:33], v[20:21]
	v_fma_f64 v[38:39], v[32:33], v[18:19], v[34:35]
	ds_read2_b64 v[34:37], v64 offset0:4 offset1:5
	v_fma_f64 v[18:19], v[30:31], v[18:19], -v[20:21]
	s_waitcnt lgkmcnt(0)
	v_mul_f64 v[20:21], v[36:37], v[38:39]
	v_fma_f64 v[20:21], v[34:35], v[18:19], -v[20:21]
	v_mul_f64 v[34:35], v[34:35], v[38:39]
	v_add_f64 v[14:15], v[14:15], -v[20:21]
	v_fma_f64 v[34:35], v[36:37], v[18:19], v[34:35]
	v_add_f64 v[16:17], v[16:17], -v[34:35]
	ds_read2_b64 v[34:37], v64 offset0:6 offset1:7
	s_waitcnt lgkmcnt(0)
	v_mul_f64 v[20:21], v[36:37], v[38:39]
	v_fma_f64 v[20:21], v[34:35], v[18:19], -v[20:21]
	v_mul_f64 v[34:35], v[34:35], v[38:39]
	v_add_f64 v[10:11], v[10:11], -v[20:21]
	v_fma_f64 v[34:35], v[36:37], v[18:19], v[34:35]
	v_add_f64 v[12:13], v[12:13], -v[34:35]
	ds_read2_b64 v[34:37], v64 offset0:8 offset1:9
	;; [unrolled: 8-line block ×3, first 2 shown]
	s_waitcnt lgkmcnt(0)
	v_mul_f64 v[20:21], v[36:37], v[38:39]
	v_fma_f64 v[20:21], v[34:35], v[18:19], -v[20:21]
	v_mul_f64 v[34:35], v[34:35], v[38:39]
	v_add_f64 v[2:3], v[2:3], -v[20:21]
	v_fma_f64 v[34:35], v[36:37], v[18:19], v[34:35]
	v_mov_b32_e32 v20, v38
	v_mov_b32_e32 v21, v39
	v_add_f64 v[4:5], v[4:5], -v[34:35]
.LBB11_19:
	s_or_b32 exec_lo, exec_lo, s1
	s_mov_b32 s2, exec_lo
	s_waitcnt lgkmcnt(0)
	s_barrier
	buffer_gl0_inv
	v_cmpx_eq_u32_e32 2, v0
	s_cbranch_execz .LBB11_26
; %bb.20:
	ds_write2_b64 v1, v[14:15], v[16:17] offset1:1
	ds_write2_b64 v64, v[10:11], v[12:13] offset0:6 offset1:7
	ds_write2_b64 v64, v[6:7], v[8:9] offset0:8 offset1:9
	ds_write2_b64 v64, v[2:3], v[4:5] offset0:10 offset1:11
	ds_read2_b64 v[34:37], v1 offset1:1
	s_waitcnt lgkmcnt(0)
	v_cmp_neq_f64_e32 vcc_lo, 0, v[34:35]
	v_cmp_neq_f64_e64 s1, 0, v[36:37]
	s_or_b32 s1, vcc_lo, s1
	s_and_b32 exec_lo, exec_lo, s1
	s_cbranch_execz .LBB11_26
; %bb.21:
	v_cmp_ngt_f64_e64 s1, |v[34:35]|, |v[36:37]|
                                        ; implicit-def: $vgpr38_vgpr39
	s_and_saveexec_b32 s3, s1
	s_xor_b32 s1, exec_lo, s3
                                        ; implicit-def: $vgpr40_vgpr41
	s_cbranch_execz .LBB11_23
; %bb.22:
	v_div_scale_f64 v[38:39], null, v[36:37], v[36:37], v[34:35]
	v_div_scale_f64 v[44:45], vcc_lo, v[34:35], v[36:37], v[34:35]
	v_rcp_f64_e32 v[40:41], v[38:39]
	v_fma_f64 v[42:43], -v[38:39], v[40:41], 1.0
	v_fma_f64 v[40:41], v[40:41], v[42:43], v[40:41]
	v_fma_f64 v[42:43], -v[38:39], v[40:41], 1.0
	v_fma_f64 v[40:41], v[40:41], v[42:43], v[40:41]
	v_mul_f64 v[42:43], v[44:45], v[40:41]
	v_fma_f64 v[38:39], -v[38:39], v[42:43], v[44:45]
	v_div_fmas_f64 v[38:39], v[38:39], v[40:41], v[42:43]
	v_div_fixup_f64 v[38:39], v[38:39], v[36:37], v[34:35]
	v_fma_f64 v[34:35], v[34:35], v[38:39], v[36:37]
	v_div_scale_f64 v[36:37], null, v[34:35], v[34:35], 1.0
	v_rcp_f64_e32 v[40:41], v[36:37]
	v_fma_f64 v[42:43], -v[36:37], v[40:41], 1.0
	v_fma_f64 v[40:41], v[40:41], v[42:43], v[40:41]
	v_fma_f64 v[42:43], -v[36:37], v[40:41], 1.0
	v_fma_f64 v[40:41], v[40:41], v[42:43], v[40:41]
	v_div_scale_f64 v[42:43], vcc_lo, 1.0, v[34:35], 1.0
	v_mul_f64 v[44:45], v[42:43], v[40:41]
	v_fma_f64 v[36:37], -v[36:37], v[44:45], v[42:43]
	v_div_fmas_f64 v[36:37], v[36:37], v[40:41], v[44:45]
	v_div_fixup_f64 v[40:41], v[36:37], v[34:35], 1.0
                                        ; implicit-def: $vgpr34_vgpr35
	v_mul_f64 v[38:39], v[38:39], v[40:41]
	v_xor_b32_e32 v41, 0x80000000, v41
.LBB11_23:
	s_andn2_saveexec_b32 s1, s1
	s_cbranch_execz .LBB11_25
; %bb.24:
	v_div_scale_f64 v[38:39], null, v[34:35], v[34:35], v[36:37]
	v_div_scale_f64 v[44:45], vcc_lo, v[36:37], v[34:35], v[36:37]
	v_rcp_f64_e32 v[40:41], v[38:39]
	v_fma_f64 v[42:43], -v[38:39], v[40:41], 1.0
	v_fma_f64 v[40:41], v[40:41], v[42:43], v[40:41]
	v_fma_f64 v[42:43], -v[38:39], v[40:41], 1.0
	v_fma_f64 v[40:41], v[40:41], v[42:43], v[40:41]
	v_mul_f64 v[42:43], v[44:45], v[40:41]
	v_fma_f64 v[38:39], -v[38:39], v[42:43], v[44:45]
	v_div_fmas_f64 v[38:39], v[38:39], v[40:41], v[42:43]
	v_div_fixup_f64 v[40:41], v[38:39], v[34:35], v[36:37]
	v_fma_f64 v[34:35], v[36:37], v[40:41], v[34:35]
	v_div_scale_f64 v[36:37], null, v[34:35], v[34:35], 1.0
	v_rcp_f64_e32 v[38:39], v[36:37]
	v_fma_f64 v[42:43], -v[36:37], v[38:39], 1.0
	v_fma_f64 v[38:39], v[38:39], v[42:43], v[38:39]
	v_fma_f64 v[42:43], -v[36:37], v[38:39], 1.0
	v_fma_f64 v[38:39], v[38:39], v[42:43], v[38:39]
	v_div_scale_f64 v[42:43], vcc_lo, 1.0, v[34:35], 1.0
	v_mul_f64 v[44:45], v[42:43], v[38:39]
	v_fma_f64 v[36:37], -v[36:37], v[44:45], v[42:43]
	v_div_fmas_f64 v[36:37], v[36:37], v[38:39], v[44:45]
	v_div_fixup_f64 v[38:39], v[36:37], v[34:35], 1.0
	v_mul_f64 v[40:41], v[40:41], -v[38:39]
.LBB11_25:
	s_or_b32 exec_lo, exec_lo, s1
	ds_write2_b64 v1, v[38:39], v[40:41] offset1:1
.LBB11_26:
	s_or_b32 exec_lo, exec_lo, s2
	s_waitcnt lgkmcnt(0)
	s_barrier
	buffer_gl0_inv
	ds_read2_b64 v[34:37], v1 offset1:1
	s_mov_b32 s1, exec_lo
	v_cmpx_lt_u32_e32 2, v0
	s_cbranch_execz .LBB11_28
; %bb.27:
	s_waitcnt lgkmcnt(0)
	v_mul_f64 v[38:39], v[34:35], v[16:17]
	v_mul_f64 v[16:17], v[36:37], v[16:17]
	v_fma_f64 v[42:43], v[36:37], v[14:15], v[38:39]
	ds_read2_b64 v[38:41], v64 offset0:6 offset1:7
	v_fma_f64 v[14:15], v[34:35], v[14:15], -v[16:17]
	s_waitcnt lgkmcnt(0)
	v_mul_f64 v[16:17], v[40:41], v[42:43]
	v_fma_f64 v[16:17], v[38:39], v[14:15], -v[16:17]
	v_mul_f64 v[38:39], v[38:39], v[42:43]
	v_add_f64 v[10:11], v[10:11], -v[16:17]
	v_fma_f64 v[38:39], v[40:41], v[14:15], v[38:39]
	v_add_f64 v[12:13], v[12:13], -v[38:39]
	ds_read2_b64 v[38:41], v64 offset0:8 offset1:9
	s_waitcnt lgkmcnt(0)
	v_mul_f64 v[16:17], v[40:41], v[42:43]
	v_fma_f64 v[16:17], v[38:39], v[14:15], -v[16:17]
	v_mul_f64 v[38:39], v[38:39], v[42:43]
	v_add_f64 v[6:7], v[6:7], -v[16:17]
	v_fma_f64 v[38:39], v[40:41], v[14:15], v[38:39]
	v_add_f64 v[8:9], v[8:9], -v[38:39]
	ds_read2_b64 v[38:41], v64 offset0:10 offset1:11
	s_waitcnt lgkmcnt(0)
	v_mul_f64 v[16:17], v[40:41], v[42:43]
	v_fma_f64 v[16:17], v[38:39], v[14:15], -v[16:17]
	v_mul_f64 v[38:39], v[38:39], v[42:43]
	v_add_f64 v[2:3], v[2:3], -v[16:17]
	v_fma_f64 v[38:39], v[40:41], v[14:15], v[38:39]
	v_mov_b32_e32 v16, v42
	v_mov_b32_e32 v17, v43
	v_add_f64 v[4:5], v[4:5], -v[38:39]
.LBB11_28:
	s_or_b32 exec_lo, exec_lo, s1
	s_mov_b32 s2, exec_lo
	s_waitcnt lgkmcnt(0)
	s_barrier
	buffer_gl0_inv
	v_cmpx_eq_u32_e32 3, v0
	s_cbranch_execz .LBB11_35
; %bb.29:
	ds_write2_b64 v1, v[10:11], v[12:13] offset1:1
	ds_write2_b64 v64, v[6:7], v[8:9] offset0:8 offset1:9
	ds_write2_b64 v64, v[2:3], v[4:5] offset0:10 offset1:11
	ds_read2_b64 v[38:41], v1 offset1:1
	s_waitcnt lgkmcnt(0)
	v_cmp_neq_f64_e32 vcc_lo, 0, v[38:39]
	v_cmp_neq_f64_e64 s1, 0, v[40:41]
	s_or_b32 s1, vcc_lo, s1
	s_and_b32 exec_lo, exec_lo, s1
	s_cbranch_execz .LBB11_35
; %bb.30:
	v_cmp_ngt_f64_e64 s1, |v[38:39]|, |v[40:41]|
                                        ; implicit-def: $vgpr42_vgpr43
	s_and_saveexec_b32 s3, s1
	s_xor_b32 s1, exec_lo, s3
                                        ; implicit-def: $vgpr44_vgpr45
	s_cbranch_execz .LBB11_32
; %bb.31:
	v_div_scale_f64 v[42:43], null, v[40:41], v[40:41], v[38:39]
	v_div_scale_f64 v[48:49], vcc_lo, v[38:39], v[40:41], v[38:39]
	v_rcp_f64_e32 v[44:45], v[42:43]
	v_fma_f64 v[46:47], -v[42:43], v[44:45], 1.0
	v_fma_f64 v[44:45], v[44:45], v[46:47], v[44:45]
	v_fma_f64 v[46:47], -v[42:43], v[44:45], 1.0
	v_fma_f64 v[44:45], v[44:45], v[46:47], v[44:45]
	v_mul_f64 v[46:47], v[48:49], v[44:45]
	v_fma_f64 v[42:43], -v[42:43], v[46:47], v[48:49]
	v_div_fmas_f64 v[42:43], v[42:43], v[44:45], v[46:47]
	v_div_fixup_f64 v[42:43], v[42:43], v[40:41], v[38:39]
	v_fma_f64 v[38:39], v[38:39], v[42:43], v[40:41]
	v_div_scale_f64 v[40:41], null, v[38:39], v[38:39], 1.0
	v_rcp_f64_e32 v[44:45], v[40:41]
	v_fma_f64 v[46:47], -v[40:41], v[44:45], 1.0
	v_fma_f64 v[44:45], v[44:45], v[46:47], v[44:45]
	v_fma_f64 v[46:47], -v[40:41], v[44:45], 1.0
	v_fma_f64 v[44:45], v[44:45], v[46:47], v[44:45]
	v_div_scale_f64 v[46:47], vcc_lo, 1.0, v[38:39], 1.0
	v_mul_f64 v[48:49], v[46:47], v[44:45]
	v_fma_f64 v[40:41], -v[40:41], v[48:49], v[46:47]
	v_div_fmas_f64 v[40:41], v[40:41], v[44:45], v[48:49]
	v_div_fixup_f64 v[44:45], v[40:41], v[38:39], 1.0
                                        ; implicit-def: $vgpr38_vgpr39
	v_mul_f64 v[42:43], v[42:43], v[44:45]
	v_xor_b32_e32 v45, 0x80000000, v45
.LBB11_32:
	s_andn2_saveexec_b32 s1, s1
	s_cbranch_execz .LBB11_34
; %bb.33:
	v_div_scale_f64 v[42:43], null, v[38:39], v[38:39], v[40:41]
	v_div_scale_f64 v[48:49], vcc_lo, v[40:41], v[38:39], v[40:41]
	v_rcp_f64_e32 v[44:45], v[42:43]
	v_fma_f64 v[46:47], -v[42:43], v[44:45], 1.0
	v_fma_f64 v[44:45], v[44:45], v[46:47], v[44:45]
	v_fma_f64 v[46:47], -v[42:43], v[44:45], 1.0
	v_fma_f64 v[44:45], v[44:45], v[46:47], v[44:45]
	v_mul_f64 v[46:47], v[48:49], v[44:45]
	v_fma_f64 v[42:43], -v[42:43], v[46:47], v[48:49]
	v_div_fmas_f64 v[42:43], v[42:43], v[44:45], v[46:47]
	v_div_fixup_f64 v[44:45], v[42:43], v[38:39], v[40:41]
	v_fma_f64 v[38:39], v[40:41], v[44:45], v[38:39]
	v_div_scale_f64 v[40:41], null, v[38:39], v[38:39], 1.0
	v_rcp_f64_e32 v[42:43], v[40:41]
	v_fma_f64 v[46:47], -v[40:41], v[42:43], 1.0
	v_fma_f64 v[42:43], v[42:43], v[46:47], v[42:43]
	v_fma_f64 v[46:47], -v[40:41], v[42:43], 1.0
	v_fma_f64 v[42:43], v[42:43], v[46:47], v[42:43]
	v_div_scale_f64 v[46:47], vcc_lo, 1.0, v[38:39], 1.0
	v_mul_f64 v[48:49], v[46:47], v[42:43]
	v_fma_f64 v[40:41], -v[40:41], v[48:49], v[46:47]
	v_div_fmas_f64 v[40:41], v[40:41], v[42:43], v[48:49]
	v_div_fixup_f64 v[42:43], v[40:41], v[38:39], 1.0
	v_mul_f64 v[44:45], v[44:45], -v[42:43]
.LBB11_34:
	s_or_b32 exec_lo, exec_lo, s1
	ds_write2_b64 v1, v[42:43], v[44:45] offset1:1
.LBB11_35:
	s_or_b32 exec_lo, exec_lo, s2
	s_waitcnt lgkmcnt(0)
	s_barrier
	buffer_gl0_inv
	ds_read2_b64 v[38:41], v1 offset1:1
	s_mov_b32 s1, exec_lo
	v_cmpx_lt_u32_e32 3, v0
	s_cbranch_execz .LBB11_37
; %bb.36:
	s_waitcnt lgkmcnt(0)
	v_mul_f64 v[42:43], v[38:39], v[12:13]
	v_mul_f64 v[12:13], v[40:41], v[12:13]
	v_fma_f64 v[65:66], v[40:41], v[10:11], v[42:43]
	ds_read2_b64 v[42:45], v64 offset0:8 offset1:9
	ds_read2_b64 v[46:49], v64 offset0:10 offset1:11
	v_fma_f64 v[10:11], v[38:39], v[10:11], -v[12:13]
	s_waitcnt lgkmcnt(1)
	v_mul_f64 v[12:13], v[44:45], v[65:66]
	v_mul_f64 v[67:68], v[42:43], v[65:66]
	s_waitcnt lgkmcnt(0)
	v_mul_f64 v[69:70], v[48:49], v[65:66]
	v_mul_f64 v[71:72], v[46:47], v[65:66]
	v_fma_f64 v[12:13], v[42:43], v[10:11], -v[12:13]
	v_fma_f64 v[42:43], v[44:45], v[10:11], v[67:68]
	v_fma_f64 v[44:45], v[46:47], v[10:11], -v[69:70]
	v_fma_f64 v[46:47], v[48:49], v[10:11], v[71:72]
	v_add_f64 v[6:7], v[6:7], -v[12:13]
	v_add_f64 v[8:9], v[8:9], -v[42:43]
	;; [unrolled: 1-line block ×4, first 2 shown]
	v_mov_b32_e32 v12, v65
	v_mov_b32_e32 v13, v66
.LBB11_37:
	s_or_b32 exec_lo, exec_lo, s1
	s_mov_b32 s2, exec_lo
	s_waitcnt lgkmcnt(0)
	s_barrier
	buffer_gl0_inv
	v_cmpx_eq_u32_e32 4, v0
	s_cbranch_execz .LBB11_44
; %bb.38:
	ds_write2_b64 v1, v[6:7], v[8:9] offset1:1
	ds_write2_b64 v64, v[2:3], v[4:5] offset0:10 offset1:11
	ds_read2_b64 v[42:45], v1 offset1:1
	s_waitcnt lgkmcnt(0)
	v_cmp_neq_f64_e32 vcc_lo, 0, v[42:43]
	v_cmp_neq_f64_e64 s1, 0, v[44:45]
	s_or_b32 s1, vcc_lo, s1
	s_and_b32 exec_lo, exec_lo, s1
	s_cbranch_execz .LBB11_44
; %bb.39:
	v_cmp_ngt_f64_e64 s1, |v[42:43]|, |v[44:45]|
                                        ; implicit-def: $vgpr46_vgpr47
	s_and_saveexec_b32 s3, s1
	s_xor_b32 s1, exec_lo, s3
                                        ; implicit-def: $vgpr48_vgpr49
	s_cbranch_execz .LBB11_41
; %bb.40:
	v_div_scale_f64 v[46:47], null, v[44:45], v[44:45], v[42:43]
	v_div_scale_f64 v[67:68], vcc_lo, v[42:43], v[44:45], v[42:43]
	v_rcp_f64_e32 v[48:49], v[46:47]
	v_fma_f64 v[65:66], -v[46:47], v[48:49], 1.0
	v_fma_f64 v[48:49], v[48:49], v[65:66], v[48:49]
	v_fma_f64 v[65:66], -v[46:47], v[48:49], 1.0
	v_fma_f64 v[48:49], v[48:49], v[65:66], v[48:49]
	v_mul_f64 v[65:66], v[67:68], v[48:49]
	v_fma_f64 v[46:47], -v[46:47], v[65:66], v[67:68]
	v_div_fmas_f64 v[46:47], v[46:47], v[48:49], v[65:66]
	v_div_fixup_f64 v[46:47], v[46:47], v[44:45], v[42:43]
	v_fma_f64 v[42:43], v[42:43], v[46:47], v[44:45]
	v_div_scale_f64 v[44:45], null, v[42:43], v[42:43], 1.0
	v_rcp_f64_e32 v[48:49], v[44:45]
	v_fma_f64 v[65:66], -v[44:45], v[48:49], 1.0
	v_fma_f64 v[48:49], v[48:49], v[65:66], v[48:49]
	v_fma_f64 v[65:66], -v[44:45], v[48:49], 1.0
	v_fma_f64 v[48:49], v[48:49], v[65:66], v[48:49]
	v_div_scale_f64 v[65:66], vcc_lo, 1.0, v[42:43], 1.0
	v_mul_f64 v[67:68], v[65:66], v[48:49]
	v_fma_f64 v[44:45], -v[44:45], v[67:68], v[65:66]
	v_div_fmas_f64 v[44:45], v[44:45], v[48:49], v[67:68]
	v_div_fixup_f64 v[48:49], v[44:45], v[42:43], 1.0
                                        ; implicit-def: $vgpr42_vgpr43
	v_mul_f64 v[46:47], v[46:47], v[48:49]
	v_xor_b32_e32 v49, 0x80000000, v49
.LBB11_41:
	s_andn2_saveexec_b32 s1, s1
	s_cbranch_execz .LBB11_43
; %bb.42:
	v_div_scale_f64 v[46:47], null, v[42:43], v[42:43], v[44:45]
	v_div_scale_f64 v[67:68], vcc_lo, v[44:45], v[42:43], v[44:45]
	v_rcp_f64_e32 v[48:49], v[46:47]
	v_fma_f64 v[65:66], -v[46:47], v[48:49], 1.0
	v_fma_f64 v[48:49], v[48:49], v[65:66], v[48:49]
	v_fma_f64 v[65:66], -v[46:47], v[48:49], 1.0
	v_fma_f64 v[48:49], v[48:49], v[65:66], v[48:49]
	v_mul_f64 v[65:66], v[67:68], v[48:49]
	v_fma_f64 v[46:47], -v[46:47], v[65:66], v[67:68]
	v_div_fmas_f64 v[46:47], v[46:47], v[48:49], v[65:66]
	v_div_fixup_f64 v[48:49], v[46:47], v[42:43], v[44:45]
	v_fma_f64 v[42:43], v[44:45], v[48:49], v[42:43]
	v_div_scale_f64 v[44:45], null, v[42:43], v[42:43], 1.0
	v_rcp_f64_e32 v[46:47], v[44:45]
	v_fma_f64 v[65:66], -v[44:45], v[46:47], 1.0
	v_fma_f64 v[46:47], v[46:47], v[65:66], v[46:47]
	v_fma_f64 v[65:66], -v[44:45], v[46:47], 1.0
	v_fma_f64 v[46:47], v[46:47], v[65:66], v[46:47]
	v_div_scale_f64 v[65:66], vcc_lo, 1.0, v[42:43], 1.0
	v_mul_f64 v[67:68], v[65:66], v[46:47]
	v_fma_f64 v[44:45], -v[44:45], v[67:68], v[65:66]
	v_div_fmas_f64 v[44:45], v[44:45], v[46:47], v[67:68]
	v_div_fixup_f64 v[46:47], v[44:45], v[42:43], 1.0
	v_mul_f64 v[48:49], v[48:49], -v[46:47]
.LBB11_43:
	s_or_b32 exec_lo, exec_lo, s1
	ds_write2_b64 v1, v[46:47], v[48:49] offset1:1
.LBB11_44:
	s_or_b32 exec_lo, exec_lo, s2
	s_waitcnt lgkmcnt(0)
	s_barrier
	buffer_gl0_inv
	ds_read2_b64 v[42:45], v1 offset1:1
	s_mov_b32 s1, exec_lo
	v_cmpx_lt_u32_e32 4, v0
	s_cbranch_execz .LBB11_46
; %bb.45:
	s_waitcnt lgkmcnt(0)
	v_mul_f64 v[46:47], v[42:43], v[8:9]
	v_mul_f64 v[8:9], v[44:45], v[8:9]
	v_fma_f64 v[65:66], v[44:45], v[6:7], v[46:47]
	ds_read2_b64 v[46:49], v64 offset0:10 offset1:11
	v_fma_f64 v[6:7], v[42:43], v[6:7], -v[8:9]
	s_waitcnt lgkmcnt(0)
	v_mul_f64 v[8:9], v[48:49], v[65:66]
	v_mul_f64 v[67:68], v[46:47], v[65:66]
	v_fma_f64 v[8:9], v[46:47], v[6:7], -v[8:9]
	v_fma_f64 v[46:47], v[48:49], v[6:7], v[67:68]
	v_add_f64 v[2:3], v[2:3], -v[8:9]
	v_add_f64 v[4:5], v[4:5], -v[46:47]
	v_mov_b32_e32 v8, v65
	v_mov_b32_e32 v9, v66
.LBB11_46:
	s_or_b32 exec_lo, exec_lo, s1
	s_mov_b32 s2, exec_lo
	s_waitcnt lgkmcnt(0)
	s_barrier
	buffer_gl0_inv
	v_cmpx_eq_u32_e32 5, v0
	s_cbranch_execz .LBB11_53
; %bb.47:
	v_cmp_neq_f64_e32 vcc_lo, 0, v[2:3]
	v_cmp_neq_f64_e64 s1, 0, v[4:5]
	ds_write2_b64 v1, v[2:3], v[4:5] offset1:1
	s_or_b32 s1, vcc_lo, s1
	s_and_b32 exec_lo, exec_lo, s1
	s_cbranch_execz .LBB11_53
; %bb.48:
	v_cmp_ngt_f64_e64 s1, |v[2:3]|, |v[4:5]|
                                        ; implicit-def: $vgpr46_vgpr47
	s_and_saveexec_b32 s3, s1
	s_xor_b32 s1, exec_lo, s3
                                        ; implicit-def: $vgpr48_vgpr49
	s_cbranch_execz .LBB11_50
; %bb.49:
	v_div_scale_f64 v[46:47], null, v[4:5], v[4:5], v[2:3]
	v_div_scale_f64 v[66:67], vcc_lo, v[2:3], v[4:5], v[2:3]
	v_rcp_f64_e32 v[48:49], v[46:47]
	v_fma_f64 v[64:65], -v[46:47], v[48:49], 1.0
	v_fma_f64 v[48:49], v[48:49], v[64:65], v[48:49]
	v_fma_f64 v[64:65], -v[46:47], v[48:49], 1.0
	v_fma_f64 v[48:49], v[48:49], v[64:65], v[48:49]
	v_mul_f64 v[64:65], v[66:67], v[48:49]
	v_fma_f64 v[46:47], -v[46:47], v[64:65], v[66:67]
	v_div_fmas_f64 v[46:47], v[46:47], v[48:49], v[64:65]
	v_div_fixup_f64 v[46:47], v[46:47], v[4:5], v[2:3]
	v_fma_f64 v[48:49], v[2:3], v[46:47], v[4:5]
	v_div_scale_f64 v[64:65], null, v[48:49], v[48:49], 1.0
	v_rcp_f64_e32 v[66:67], v[64:65]
	v_fma_f64 v[68:69], -v[64:65], v[66:67], 1.0
	v_fma_f64 v[66:67], v[66:67], v[68:69], v[66:67]
	v_fma_f64 v[68:69], -v[64:65], v[66:67], 1.0
	v_fma_f64 v[66:67], v[66:67], v[68:69], v[66:67]
	v_div_scale_f64 v[68:69], vcc_lo, 1.0, v[48:49], 1.0
	v_mul_f64 v[70:71], v[68:69], v[66:67]
	v_fma_f64 v[64:65], -v[64:65], v[70:71], v[68:69]
	v_div_fmas_f64 v[64:65], v[64:65], v[66:67], v[70:71]
	v_div_fixup_f64 v[48:49], v[64:65], v[48:49], 1.0
	v_mul_f64 v[46:47], v[46:47], v[48:49]
	v_xor_b32_e32 v49, 0x80000000, v49
.LBB11_50:
	s_andn2_saveexec_b32 s1, s1
	s_cbranch_execz .LBB11_52
; %bb.51:
	v_div_scale_f64 v[46:47], null, v[2:3], v[2:3], v[4:5]
	v_div_scale_f64 v[66:67], vcc_lo, v[4:5], v[2:3], v[4:5]
	v_rcp_f64_e32 v[48:49], v[46:47]
	v_fma_f64 v[64:65], -v[46:47], v[48:49], 1.0
	v_fma_f64 v[48:49], v[48:49], v[64:65], v[48:49]
	v_fma_f64 v[64:65], -v[46:47], v[48:49], 1.0
	v_fma_f64 v[48:49], v[48:49], v[64:65], v[48:49]
	v_mul_f64 v[64:65], v[66:67], v[48:49]
	v_fma_f64 v[46:47], -v[46:47], v[64:65], v[66:67]
	v_div_fmas_f64 v[46:47], v[46:47], v[48:49], v[64:65]
	v_div_fixup_f64 v[48:49], v[46:47], v[2:3], v[4:5]
	v_fma_f64 v[46:47], v[4:5], v[48:49], v[2:3]
	v_div_scale_f64 v[64:65], null, v[46:47], v[46:47], 1.0
	v_rcp_f64_e32 v[66:67], v[64:65]
	v_fma_f64 v[68:69], -v[64:65], v[66:67], 1.0
	v_fma_f64 v[66:67], v[66:67], v[68:69], v[66:67]
	v_fma_f64 v[68:69], -v[64:65], v[66:67], 1.0
	v_fma_f64 v[66:67], v[66:67], v[68:69], v[66:67]
	v_div_scale_f64 v[68:69], vcc_lo, 1.0, v[46:47], 1.0
	v_mul_f64 v[70:71], v[68:69], v[66:67]
	v_fma_f64 v[64:65], -v[64:65], v[70:71], v[68:69]
	v_div_fmas_f64 v[64:65], v[64:65], v[66:67], v[70:71]
	v_div_fixup_f64 v[46:47], v[64:65], v[46:47], 1.0
	v_mul_f64 v[48:49], v[48:49], -v[46:47]
.LBB11_52:
	s_or_b32 exec_lo, exec_lo, s1
	ds_write2_b64 v1, v[46:47], v[48:49] offset1:1
.LBB11_53:
	s_or_b32 exec_lo, exec_lo, s2
	s_waitcnt lgkmcnt(0)
	s_barrier
	buffer_gl0_inv
	ds_read2_b64 v[46:49], v1 offset1:1
	s_mov_b32 s1, exec_lo
	v_cmpx_lt_u32_e32 5, v0
	s_cbranch_execz .LBB11_55
; %bb.54:
	s_waitcnt lgkmcnt(0)
	v_mul_f64 v[0:1], v[48:49], v[4:5]
	v_mul_f64 v[4:5], v[46:47], v[4:5]
	v_fma_f64 v[0:1], v[46:47], v[2:3], -v[0:1]
	v_fma_f64 v[4:5], v[48:49], v[2:3], v[4:5]
	v_mov_b32_e32 v3, v1
	v_mov_b32_e32 v2, v0
.LBB11_55:
	s_or_b32 exec_lo, exec_lo, s1
	s_waitcnt lgkmcnt(0)
	s_barrier
	buffer_gl0_inv
	s_and_saveexec_b32 s6, s0
	s_cbranch_execz .LBB11_58
; %bb.56:
	v_lshlrev_b64 v[0:1], 2, v[50:51]
	v_cmp_eq_f64_e64 s0, 0, v[28:29]
	v_cmp_neq_f64_e64 s1, 0, v[30:31]
	v_cmp_neq_f64_e64 s2, 0, v[32:33]
	v_cmp_eq_f64_e64 s3, 0, v[34:35]
	v_cmp_eq_f64_e64 s4, 0, v[36:37]
	v_add_co_u32 v0, vcc_lo, s10, v0
	v_add_co_ci_u32_e64 v1, null, s11, v1, vcc_lo
	v_cmp_eq_f64_e32 vcc_lo, 0, v[26:27]
	v_cmp_eq_f64_e64 s5, 0, v[38:39]
	global_load_dword v50, v[0:1], off
	s_or_b32 s1, s1, s2
	v_cmp_eq_f64_e64 s2, 0, v[44:45]
	s_and_b32 s3, s3, s4
	v_cmp_eq_f64_e64 s4, 0, v[48:49]
	s_and_b32 s0, vcc_lo, s0
	v_cmp_eq_f64_e32 vcc_lo, 0, v[40:41]
	v_cndmask_b32_e64 v26, 0, 1, s0
	s_or_b32 s0, s1, s0
	v_cmp_eq_f64_e64 s1, 0, v[42:43]
	v_cndmask_b32_e64 v26, 2, v26, s0
	v_cmp_eq_u32_e64 s0, 0, v26
	s_and_b32 s0, s3, s0
	v_cmp_eq_f64_e64 s3, 0, v[46:47]
	v_cndmask_b32_e64 v26, v26, 3, s0
	s_and_b32 s5, s5, vcc_lo
	v_cmp_eq_u32_e64 s0, 0, v26
	s_and_b32 s0, s5, s0
	v_cndmask_b32_e64 v26, v26, 4, s0
	s_and_b32 s0, s1, s2
	v_cmp_eq_u32_e32 vcc_lo, 0, v26
	s_and_b32 s0, s0, vcc_lo
	v_cndmask_b32_e64 v26, v26, 5, s0
	s_and_b32 s0, s3, s4
	v_cmp_eq_u32_e32 vcc_lo, 0, v26
	s_and_b32 s0, s0, vcc_lo
	v_cndmask_b32_e64 v26, v26, 6, s0
	v_cmp_ne_u32_e64 s0, 0, v26
	s_waitcnt vmcnt(0)
	v_cmp_eq_u32_e32 vcc_lo, 0, v50
	s_and_b32 s0, vcc_lo, s0
	s_and_b32 exec_lo, exec_lo, s0
	s_cbranch_execz .LBB11_58
; %bb.57:
	v_add_nc_u32_e32 v26, s13, v26
	global_store_dword v[0:1], v26, off
.LBB11_58:
	s_or_b32 exec_lo, exec_lo, s6
	global_store_dwordx4 v[60:61], v[22:25], off
	global_store_dwordx4 v[62:63], v[18:21], off
	;; [unrolled: 1-line block ×6, first 2 shown]
.LBB11_59:
	s_endpgm
	.section	.rodata,"a",@progbits
	.p2align	6, 0x0
	.amdhsa_kernel _ZN9rocsolver6v33100L23getf2_npvt_small_kernelILi6E19rocblas_complex_numIdEiiPS3_EEvT1_T3_lS5_lPT2_S5_S5_
		.amdhsa_group_segment_fixed_size 0
		.amdhsa_private_segment_fixed_size 0
		.amdhsa_kernarg_size 312
		.amdhsa_user_sgpr_count 6
		.amdhsa_user_sgpr_private_segment_buffer 1
		.amdhsa_user_sgpr_dispatch_ptr 0
		.amdhsa_user_sgpr_queue_ptr 0
		.amdhsa_user_sgpr_kernarg_segment_ptr 1
		.amdhsa_user_sgpr_dispatch_id 0
		.amdhsa_user_sgpr_flat_scratch_init 0
		.amdhsa_user_sgpr_private_segment_size 0
		.amdhsa_wavefront_size32 1
		.amdhsa_uses_dynamic_stack 0
		.amdhsa_system_sgpr_private_segment_wavefront_offset 0
		.amdhsa_system_sgpr_workgroup_id_x 1
		.amdhsa_system_sgpr_workgroup_id_y 1
		.amdhsa_system_sgpr_workgroup_id_z 0
		.amdhsa_system_sgpr_workgroup_info 0
		.amdhsa_system_vgpr_workitem_id 1
		.amdhsa_next_free_vgpr 73
		.amdhsa_next_free_sgpr 15
		.amdhsa_reserve_vcc 1
		.amdhsa_reserve_flat_scratch 0
		.amdhsa_float_round_mode_32 0
		.amdhsa_float_round_mode_16_64 0
		.amdhsa_float_denorm_mode_32 3
		.amdhsa_float_denorm_mode_16_64 3
		.amdhsa_dx10_clamp 1
		.amdhsa_ieee_mode 1
		.amdhsa_fp16_overflow 0
		.amdhsa_workgroup_processor_mode 1
		.amdhsa_memory_ordered 1
		.amdhsa_forward_progress 1
		.amdhsa_shared_vgpr_count 0
		.amdhsa_exception_fp_ieee_invalid_op 0
		.amdhsa_exception_fp_denorm_src 0
		.amdhsa_exception_fp_ieee_div_zero 0
		.amdhsa_exception_fp_ieee_overflow 0
		.amdhsa_exception_fp_ieee_underflow 0
		.amdhsa_exception_fp_ieee_inexact 0
		.amdhsa_exception_int_div_zero 0
	.end_amdhsa_kernel
	.section	.text._ZN9rocsolver6v33100L23getf2_npvt_small_kernelILi6E19rocblas_complex_numIdEiiPS3_EEvT1_T3_lS5_lPT2_S5_S5_,"axG",@progbits,_ZN9rocsolver6v33100L23getf2_npvt_small_kernelILi6E19rocblas_complex_numIdEiiPS3_EEvT1_T3_lS5_lPT2_S5_S5_,comdat
.Lfunc_end11:
	.size	_ZN9rocsolver6v33100L23getf2_npvt_small_kernelILi6E19rocblas_complex_numIdEiiPS3_EEvT1_T3_lS5_lPT2_S5_S5_, .Lfunc_end11-_ZN9rocsolver6v33100L23getf2_npvt_small_kernelILi6E19rocblas_complex_numIdEiiPS3_EEvT1_T3_lS5_lPT2_S5_S5_
                                        ; -- End function
	.set _ZN9rocsolver6v33100L23getf2_npvt_small_kernelILi6E19rocblas_complex_numIdEiiPS3_EEvT1_T3_lS5_lPT2_S5_S5_.num_vgpr, 73
	.set _ZN9rocsolver6v33100L23getf2_npvt_small_kernelILi6E19rocblas_complex_numIdEiiPS3_EEvT1_T3_lS5_lPT2_S5_S5_.num_agpr, 0
	.set _ZN9rocsolver6v33100L23getf2_npvt_small_kernelILi6E19rocblas_complex_numIdEiiPS3_EEvT1_T3_lS5_lPT2_S5_S5_.numbered_sgpr, 15
	.set _ZN9rocsolver6v33100L23getf2_npvt_small_kernelILi6E19rocblas_complex_numIdEiiPS3_EEvT1_T3_lS5_lPT2_S5_S5_.num_named_barrier, 0
	.set _ZN9rocsolver6v33100L23getf2_npvt_small_kernelILi6E19rocblas_complex_numIdEiiPS3_EEvT1_T3_lS5_lPT2_S5_S5_.private_seg_size, 0
	.set _ZN9rocsolver6v33100L23getf2_npvt_small_kernelILi6E19rocblas_complex_numIdEiiPS3_EEvT1_T3_lS5_lPT2_S5_S5_.uses_vcc, 1
	.set _ZN9rocsolver6v33100L23getf2_npvt_small_kernelILi6E19rocblas_complex_numIdEiiPS3_EEvT1_T3_lS5_lPT2_S5_S5_.uses_flat_scratch, 0
	.set _ZN9rocsolver6v33100L23getf2_npvt_small_kernelILi6E19rocblas_complex_numIdEiiPS3_EEvT1_T3_lS5_lPT2_S5_S5_.has_dyn_sized_stack, 0
	.set _ZN9rocsolver6v33100L23getf2_npvt_small_kernelILi6E19rocblas_complex_numIdEiiPS3_EEvT1_T3_lS5_lPT2_S5_S5_.has_recursion, 0
	.set _ZN9rocsolver6v33100L23getf2_npvt_small_kernelILi6E19rocblas_complex_numIdEiiPS3_EEvT1_T3_lS5_lPT2_S5_S5_.has_indirect_call, 0
	.section	.AMDGPU.csdata,"",@progbits
; Kernel info:
; codeLenInByte = 5256
; TotalNumSgprs: 17
; NumVgprs: 73
; ScratchSize: 0
; MemoryBound: 0
; FloatMode: 240
; IeeeMode: 1
; LDSByteSize: 0 bytes/workgroup (compile time only)
; SGPRBlocks: 0
; VGPRBlocks: 9
; NumSGPRsForWavesPerEU: 17
; NumVGPRsForWavesPerEU: 73
; Occupancy: 12
; WaveLimiterHint : 0
; COMPUTE_PGM_RSRC2:SCRATCH_EN: 0
; COMPUTE_PGM_RSRC2:USER_SGPR: 6
; COMPUTE_PGM_RSRC2:TRAP_HANDLER: 0
; COMPUTE_PGM_RSRC2:TGID_X_EN: 1
; COMPUTE_PGM_RSRC2:TGID_Y_EN: 1
; COMPUTE_PGM_RSRC2:TGID_Z_EN: 0
; COMPUTE_PGM_RSRC2:TIDIG_COMP_CNT: 1
	.section	.text._ZN9rocsolver6v33100L18getf2_small_kernelILi7E19rocblas_complex_numIdEiiPS3_EEvT1_T3_lS5_lPS5_llPT2_S5_S5_S7_l,"axG",@progbits,_ZN9rocsolver6v33100L18getf2_small_kernelILi7E19rocblas_complex_numIdEiiPS3_EEvT1_T3_lS5_lPS5_llPT2_S5_S5_S7_l,comdat
	.globl	_ZN9rocsolver6v33100L18getf2_small_kernelILi7E19rocblas_complex_numIdEiiPS3_EEvT1_T3_lS5_lPS5_llPT2_S5_S5_S7_l ; -- Begin function _ZN9rocsolver6v33100L18getf2_small_kernelILi7E19rocblas_complex_numIdEiiPS3_EEvT1_T3_lS5_lPS5_llPT2_S5_S5_S7_l
	.p2align	8
	.type	_ZN9rocsolver6v33100L18getf2_small_kernelILi7E19rocblas_complex_numIdEiiPS3_EEvT1_T3_lS5_lPS5_llPT2_S5_S5_S7_l,@function
_ZN9rocsolver6v33100L18getf2_small_kernelILi7E19rocblas_complex_numIdEiiPS3_EEvT1_T3_lS5_lPS5_llPT2_S5_S5_S7_l: ; @_ZN9rocsolver6v33100L18getf2_small_kernelILi7E19rocblas_complex_numIdEiiPS3_EEvT1_T3_lS5_lPS5_llPT2_S5_S5_S7_l
; %bb.0:
	s_clause 0x1
	s_load_dword s0, s[4:5], 0x6c
	s_load_dwordx2 s[16:17], s[4:5], 0x48
	s_waitcnt lgkmcnt(0)
	s_lshr_b32 s0, s0, 16
	v_mad_u64_u32 v[34:35], null, s7, s0, v[1:2]
	s_mov_b32 s0, exec_lo
	v_cmpx_gt_i32_e64 s16, v34
	s_cbranch_execz .LBB12_150
; %bb.1:
	s_load_dwordx4 s[0:3], s[4:5], 0x50
	v_mov_b32_e32 v36, 0
	v_ashrrev_i32_e32 v35, 31, v34
	v_mov_b32_e32 v37, 0
	s_waitcnt lgkmcnt(0)
	s_cmp_eq_u64 s[0:1], 0
	s_cselect_b32 s16, -1, 0
	s_and_b32 vcc_lo, exec_lo, s16
	s_cbranch_vccnz .LBB12_3
; %bb.2:
	v_mul_lo_u32 v4, s3, v34
	v_mul_lo_u32 v5, s2, v35
	v_mad_u64_u32 v[2:3], null, s2, v34, 0
	v_add3_u32 v3, v3, v5, v4
	v_lshlrev_b64 v[2:3], 2, v[2:3]
	v_add_co_u32 v36, vcc_lo, s0, v2
	v_add_co_ci_u32_e64 v37, null, s1, v3, vcc_lo
.LBB12_3:
	s_clause 0x2
	s_load_dwordx8 s[8:15], s[4:5], 0x20
	s_load_dword s6, s[4:5], 0x18
	s_load_dwordx4 s[0:3], s[4:5], 0x8
	v_lshlrev_b32_e32 v32, 4, v0
	v_mov_b32_e32 v38, 0
	s_waitcnt lgkmcnt(0)
	v_mul_lo_u32 v5, s9, v34
	v_mul_lo_u32 v7, s8, v35
	v_mad_u64_u32 v[2:3], null, s8, v34, 0
	v_add3_u32 v4, s6, s6, v0
	s_lshl_b64 s[8:9], s[2:3], 4
	s_ashr_i32 s7, s6, 31
	s_lshl_b64 s[2:3], s[6:7], 4
	v_add_nc_u32_e32 v6, s6, v4
	v_add3_u32 v3, v3, v7, v5
	v_ashrrev_i32_e32 v5, 31, v4
	v_add_nc_u32_e32 v8, s6, v6
	v_lshlrev_b64 v[2:3], 4, v[2:3]
	v_ashrrev_i32_e32 v7, 31, v6
	v_lshlrev_b64 v[4:5], 4, v[4:5]
	v_ashrrev_i32_e32 v9, 31, v8
	v_add_nc_u32_e32 v10, s6, v8
	v_add_co_u32 v12, vcc_lo, s0, v2
	v_add_co_ci_u32_e64 v13, null, s1, v3, vcc_lo
	v_lshlrev_b64 v[2:3], 4, v[8:9]
	v_add_co_u32 v41, vcc_lo, v12, s8
	v_add_co_ci_u32_e64 v42, null, s9, v13, vcc_lo
	v_add_nc_u32_e32 v8, s6, v10
	v_add_co_u32 v12, vcc_lo, v41, v32
	v_add_co_ci_u32_e64 v13, null, 0, v42, vcc_lo
	v_ashrrev_i32_e32 v11, 31, v10
	v_lshlrev_b64 v[6:7], 4, v[6:7]
	v_ashrrev_i32_e32 v9, 31, v8
	global_load_dwordx4 v[22:25], v[12:13], off
	v_add_co_u32 v4, vcc_lo, v41, v4
	v_lshlrev_b64 v[10:11], 4, v[10:11]
	v_add_co_ci_u32_e64 v5, null, v42, v5, vcc_lo
	v_add_co_u32 v6, vcc_lo, v41, v6
	v_add_co_ci_u32_e64 v7, null, v42, v7, vcc_lo
	v_add_co_u32 v2, vcc_lo, v41, v2
	v_lshlrev_b64 v[8:9], 4, v[8:9]
	v_add_co_ci_u32_e64 v3, null, v42, v3, vcc_lo
	v_add_co_u32 v26, vcc_lo, v41, v10
	v_add_co_ci_u32_e64 v27, null, v42, v11, vcc_lo
	v_add_co_u32 v28, vcc_lo, v12, s2
	;; [unrolled: 2-line block ×3, first 2 shown]
	v_add_co_ci_u32_e64 v31, null, v42, v9, vcc_lo
	s_clause 0x5
	global_load_dwordx4 v[18:21], v[4:5], off
	global_load_dwordx4 v[14:17], v[6:7], off
	;; [unrolled: 1-line block ×6, first 2 shown]
	s_clause 0x1
	s_load_dword s1, s[4:5], 0x0
	s_load_dwordx2 s[4:5], s[4:5], 0x40
	s_waitcnt lgkmcnt(0)
	s_max_i32 s0, s1, 7
	s_cmp_lt_i32 s1, 2
	v_mul_lo_u32 v39, s0, v1
	v_lshl_add_u32 v1, v39, 4, 0
	v_lshlrev_b32_e32 v40, 4, v39
	v_add_nc_u32_e32 v30, v1, v32
	s_waitcnt vmcnt(6)
	ds_write2_b64 v30, v[22:23], v[24:25] offset1:1
	s_waitcnt vmcnt(0) lgkmcnt(0)
	s_barrier
	buffer_gl0_inv
	ds_read2_b64 v[30:33], v1 offset1:1
	s_cbranch_scc1 .LBB12_6
; %bb.4:
	v_add3_u32 v39, v40, 0, 16
	v_mov_b32_e32 v38, 0
	s_mov_b32 s7, 1
	s_inst_prefetch 0x1
	.p2align	6
.LBB12_5:                               ; =>This Inner Loop Header: Depth=1
	s_waitcnt lgkmcnt(0)
	v_cmp_gt_f64_e32 vcc_lo, 0, v[32:33]
	v_cmp_gt_f64_e64 s0, 0, v[30:31]
	ds_read2_b64 v[43:46], v39 offset1:1
	v_xor_b32_e32 v48, 0x80000000, v31
	v_xor_b32_e32 v50, 0x80000000, v33
	v_mov_b32_e32 v47, v30
	v_mov_b32_e32 v49, v32
	v_add_nc_u32_e32 v39, 16, v39
	s_waitcnt lgkmcnt(0)
	v_xor_b32_e32 v52, 0x80000000, v46
	v_cndmask_b32_e64 v48, v31, v48, s0
	v_cndmask_b32_e32 v50, v33, v50, vcc_lo
	v_cmp_gt_f64_e32 vcc_lo, 0, v[45:46]
	v_cmp_gt_f64_e64 s0, 0, v[43:44]
	v_mov_b32_e32 v51, v45
	v_add_f64 v[47:48], v[47:48], v[49:50]
	v_xor_b32_e32 v50, 0x80000000, v44
	v_mov_b32_e32 v49, v43
	v_cndmask_b32_e32 v52, v46, v52, vcc_lo
	v_cndmask_b32_e64 v50, v44, v50, s0
	v_add_f64 v[49:50], v[49:50], v[51:52]
	v_cmp_lt_f64_e32 vcc_lo, v[47:48], v[49:50]
	v_cndmask_b32_e32 v31, v31, v44, vcc_lo
	v_cndmask_b32_e32 v30, v30, v43, vcc_lo
	;; [unrolled: 1-line block ×4, first 2 shown]
	v_cndmask_b32_e64 v38, v38, s7, vcc_lo
	s_add_i32 s7, s7, 1
	s_cmp_eq_u32 s1, s7
	s_cbranch_scc0 .LBB12_5
.LBB12_6:
	s_inst_prefetch 0x2
	s_waitcnt lgkmcnt(0)
	v_cmp_neq_f64_e32 vcc_lo, 0, v[30:31]
	v_cmp_neq_f64_e64 s0, 0, v[32:33]
	v_mov_b32_e32 v43, 1
	v_mov_b32_e32 v45, 1
	s_or_b32 s7, vcc_lo, s0
	s_and_saveexec_b32 s0, s7
	s_cbranch_execz .LBB12_12
; %bb.7:
	v_cmp_ngt_f64_e64 s7, |v[30:31]|, |v[32:33]|
	s_and_saveexec_b32 s8, s7
	s_xor_b32 s7, exec_lo, s8
	s_cbranch_execz .LBB12_9
; %bb.8:
	v_div_scale_f64 v[43:44], null, v[32:33], v[32:33], v[30:31]
	v_div_scale_f64 v[49:50], vcc_lo, v[30:31], v[32:33], v[30:31]
	v_rcp_f64_e32 v[45:46], v[43:44]
	v_fma_f64 v[47:48], -v[43:44], v[45:46], 1.0
	v_fma_f64 v[45:46], v[45:46], v[47:48], v[45:46]
	v_fma_f64 v[47:48], -v[43:44], v[45:46], 1.0
	v_fma_f64 v[45:46], v[45:46], v[47:48], v[45:46]
	v_mul_f64 v[47:48], v[49:50], v[45:46]
	v_fma_f64 v[43:44], -v[43:44], v[47:48], v[49:50]
	v_div_fmas_f64 v[43:44], v[43:44], v[45:46], v[47:48]
	v_div_fixup_f64 v[43:44], v[43:44], v[32:33], v[30:31]
	v_fma_f64 v[30:31], v[30:31], v[43:44], v[32:33]
	v_div_scale_f64 v[32:33], null, v[30:31], v[30:31], 1.0
	v_rcp_f64_e32 v[45:46], v[32:33]
	v_fma_f64 v[47:48], -v[32:33], v[45:46], 1.0
	v_fma_f64 v[45:46], v[45:46], v[47:48], v[45:46]
	v_fma_f64 v[47:48], -v[32:33], v[45:46], 1.0
	v_fma_f64 v[45:46], v[45:46], v[47:48], v[45:46]
	v_div_scale_f64 v[47:48], vcc_lo, 1.0, v[30:31], 1.0
	v_mul_f64 v[49:50], v[47:48], v[45:46]
	v_fma_f64 v[32:33], -v[32:33], v[49:50], v[47:48]
	v_div_fmas_f64 v[32:33], v[32:33], v[45:46], v[49:50]
	v_div_fixup_f64 v[32:33], v[32:33], v[30:31], 1.0
	v_mul_f64 v[30:31], v[43:44], v[32:33]
	v_xor_b32_e32 v33, 0x80000000, v33
.LBB12_9:
	s_andn2_saveexec_b32 s7, s7
	s_cbranch_execz .LBB12_11
; %bb.10:
	v_div_scale_f64 v[43:44], null, v[30:31], v[30:31], v[32:33]
	v_div_scale_f64 v[49:50], vcc_lo, v[32:33], v[30:31], v[32:33]
	v_rcp_f64_e32 v[45:46], v[43:44]
	v_fma_f64 v[47:48], -v[43:44], v[45:46], 1.0
	v_fma_f64 v[45:46], v[45:46], v[47:48], v[45:46]
	v_fma_f64 v[47:48], -v[43:44], v[45:46], 1.0
	v_fma_f64 v[45:46], v[45:46], v[47:48], v[45:46]
	v_mul_f64 v[47:48], v[49:50], v[45:46]
	v_fma_f64 v[43:44], -v[43:44], v[47:48], v[49:50]
	v_div_fmas_f64 v[43:44], v[43:44], v[45:46], v[47:48]
	v_div_fixup_f64 v[43:44], v[43:44], v[30:31], v[32:33]
	v_fma_f64 v[30:31], v[32:33], v[43:44], v[30:31]
	v_div_scale_f64 v[32:33], null, v[30:31], v[30:31], 1.0
	v_rcp_f64_e32 v[45:46], v[32:33]
	v_fma_f64 v[47:48], -v[32:33], v[45:46], 1.0
	v_fma_f64 v[45:46], v[45:46], v[47:48], v[45:46]
	v_fma_f64 v[47:48], -v[32:33], v[45:46], 1.0
	v_fma_f64 v[45:46], v[45:46], v[47:48], v[45:46]
	v_div_scale_f64 v[47:48], vcc_lo, 1.0, v[30:31], 1.0
	v_mul_f64 v[49:50], v[47:48], v[45:46]
	v_fma_f64 v[32:33], -v[32:33], v[49:50], v[47:48]
	v_div_fmas_f64 v[32:33], v[32:33], v[45:46], v[49:50]
	v_div_fixup_f64 v[30:31], v[32:33], v[30:31], 1.0
	v_mul_f64 v[32:33], v[43:44], -v[30:31]
.LBB12_11:
	s_or_b32 exec_lo, exec_lo, s7
	v_mov_b32_e32 v45, 0
	v_mov_b32_e32 v43, 2
.LBB12_12:
	s_or_b32 exec_lo, exec_lo, s0
	s_mov_b32 s0, exec_lo
	v_cmpx_ne_u32_e64 v0, v38
	s_xor_b32 s0, exec_lo, s0
	s_cbranch_execz .LBB12_18
; %bb.13:
	s_mov_b32 s7, exec_lo
	v_cmpx_eq_u32_e32 0, v0
	s_cbranch_execz .LBB12_17
; %bb.14:
	v_cmp_ne_u32_e32 vcc_lo, 0, v38
	s_xor_b32 s8, s16, -1
	s_and_b32 s9, s8, vcc_lo
	s_and_saveexec_b32 s8, s9
	s_cbranch_execz .LBB12_16
; %bb.15:
	v_ashrrev_i32_e32 v39, 31, v38
	v_lshlrev_b64 v[46:47], 2, v[38:39]
	v_add_co_u32 v46, vcc_lo, v36, v46
	v_add_co_ci_u32_e64 v47, null, v37, v47, vcc_lo
	s_clause 0x1
	global_load_dword v0, v[46:47], off
	global_load_dword v39, v[36:37], off
	s_waitcnt vmcnt(1)
	global_store_dword v[36:37], v0, off
	s_waitcnt vmcnt(0)
	global_store_dword v[46:47], v39, off
.LBB12_16:
	s_or_b32 exec_lo, exec_lo, s8
	v_mov_b32_e32 v0, v38
.LBB12_17:
	s_or_b32 exec_lo, exec_lo, s7
.LBB12_18:
	s_or_saveexec_b32 s0, s0
	v_mov_b32_e32 v44, v0
	s_xor_b32 exec_lo, exec_lo, s0
	s_cbranch_execz .LBB12_20
; %bb.19:
	v_mov_b32_e32 v44, 0
	ds_write2_b64 v1, v[26:27], v[28:29] offset0:2 offset1:3
	ds_write2_b64 v1, v[18:19], v[20:21] offset0:4 offset1:5
	;; [unrolled: 1-line block ×6, first 2 shown]
.LBB12_20:
	s_or_b32 exec_lo, exec_lo, s0
	s_mov_b32 s0, exec_lo
	s_waitcnt lgkmcnt(0)
	s_waitcnt_vscnt null, 0x0
	s_barrier
	buffer_gl0_inv
	v_cmpx_lt_i32_e32 0, v44
	s_cbranch_execz .LBB12_22
; %bb.21:
	v_mul_f64 v[38:39], v[30:31], v[24:25]
	v_mul_f64 v[24:25], v[32:33], v[24:25]
	v_fma_f64 v[38:39], v[32:33], v[22:23], v[38:39]
	v_fma_f64 v[22:23], v[30:31], v[22:23], -v[24:25]
	ds_read2_b64 v[30:33], v1 offset0:2 offset1:3
	s_waitcnt lgkmcnt(0)
	v_mul_f64 v[24:25], v[32:33], v[38:39]
	v_fma_f64 v[24:25], v[30:31], v[22:23], -v[24:25]
	v_mul_f64 v[30:31], v[30:31], v[38:39]
	v_add_f64 v[26:27], v[26:27], -v[24:25]
	v_fma_f64 v[30:31], v[32:33], v[22:23], v[30:31]
	v_add_f64 v[28:29], v[28:29], -v[30:31]
	ds_read2_b64 v[30:33], v1 offset0:4 offset1:5
	s_waitcnt lgkmcnt(0)
	v_mul_f64 v[24:25], v[32:33], v[38:39]
	v_fma_f64 v[24:25], v[30:31], v[22:23], -v[24:25]
	v_mul_f64 v[30:31], v[30:31], v[38:39]
	v_add_f64 v[18:19], v[18:19], -v[24:25]
	v_fma_f64 v[30:31], v[32:33], v[22:23], v[30:31]
	v_add_f64 v[20:21], v[20:21], -v[30:31]
	;; [unrolled: 8-line block ×5, first 2 shown]
	ds_read2_b64 v[30:33], v1 offset0:12 offset1:13
	s_waitcnt lgkmcnt(0)
	v_mul_f64 v[24:25], v[32:33], v[38:39]
	v_fma_f64 v[24:25], v[30:31], v[22:23], -v[24:25]
	v_mul_f64 v[30:31], v[30:31], v[38:39]
	v_add_f64 v[2:3], v[2:3], -v[24:25]
	v_fma_f64 v[30:31], v[32:33], v[22:23], v[30:31]
	v_mov_b32_e32 v24, v38
	v_mov_b32_e32 v25, v39
	v_add_f64 v[4:5], v[4:5], -v[30:31]
.LBB12_22:
	s_or_b32 exec_lo, exec_lo, s0
	v_lshl_add_u32 v30, v44, 4, v1
	s_barrier
	buffer_gl0_inv
	v_mov_b32_e32 v38, 1
	ds_write2_b64 v30, v[26:27], v[28:29] offset1:1
	s_waitcnt lgkmcnt(0)
	s_barrier
	buffer_gl0_inv
	ds_read2_b64 v[30:33], v1 offset0:2 offset1:3
	s_cmp_lt_i32 s1, 3
	s_cbranch_scc1 .LBB12_25
; %bb.23:
	v_add3_u32 v39, v40, 0, 32
	v_mov_b32_e32 v38, 1
	s_mov_b32 s7, 2
	s_inst_prefetch 0x1
	.p2align	6
.LBB12_24:                              ; =>This Inner Loop Header: Depth=1
	s_waitcnt lgkmcnt(0)
	v_cmp_gt_f64_e32 vcc_lo, 0, v[32:33]
	v_cmp_gt_f64_e64 s0, 0, v[30:31]
	ds_read2_b64 v[46:49], v39 offset1:1
	v_xor_b32_e32 v51, 0x80000000, v31
	v_xor_b32_e32 v53, 0x80000000, v33
	v_mov_b32_e32 v50, v30
	v_mov_b32_e32 v52, v32
	v_add_nc_u32_e32 v39, 16, v39
	s_waitcnt lgkmcnt(0)
	v_xor_b32_e32 v55, 0x80000000, v49
	v_cndmask_b32_e64 v51, v31, v51, s0
	v_cndmask_b32_e32 v53, v33, v53, vcc_lo
	v_cmp_gt_f64_e32 vcc_lo, 0, v[48:49]
	v_cmp_gt_f64_e64 s0, 0, v[46:47]
	v_mov_b32_e32 v54, v48
	v_add_f64 v[50:51], v[50:51], v[52:53]
	v_xor_b32_e32 v53, 0x80000000, v47
	v_mov_b32_e32 v52, v46
	v_cndmask_b32_e32 v55, v49, v55, vcc_lo
	v_cndmask_b32_e64 v53, v47, v53, s0
	v_add_f64 v[52:53], v[52:53], v[54:55]
	v_cmp_lt_f64_e32 vcc_lo, v[50:51], v[52:53]
	v_cndmask_b32_e32 v31, v31, v47, vcc_lo
	v_cndmask_b32_e32 v30, v30, v46, vcc_lo
	;; [unrolled: 1-line block ×4, first 2 shown]
	v_cndmask_b32_e64 v38, v38, s7, vcc_lo
	s_add_i32 s7, s7, 1
	s_cmp_lg_u32 s1, s7
	s_cbranch_scc1 .LBB12_24
.LBB12_25:
	s_inst_prefetch 0x2
	s_waitcnt lgkmcnt(0)
	v_cmp_neq_f64_e32 vcc_lo, 0, v[30:31]
	v_cmp_neq_f64_e64 s0, 0, v[32:33]
	s_or_b32 s7, vcc_lo, s0
	s_and_saveexec_b32 s0, s7
	s_cbranch_execz .LBB12_31
; %bb.26:
	v_cmp_ngt_f64_e64 s7, |v[30:31]|, |v[32:33]|
	s_and_saveexec_b32 s8, s7
	s_xor_b32 s7, exec_lo, s8
	s_cbranch_execz .LBB12_28
; %bb.27:
	v_div_scale_f64 v[46:47], null, v[32:33], v[32:33], v[30:31]
	v_div_scale_f64 v[52:53], vcc_lo, v[30:31], v[32:33], v[30:31]
	v_rcp_f64_e32 v[48:49], v[46:47]
	v_fma_f64 v[50:51], -v[46:47], v[48:49], 1.0
	v_fma_f64 v[48:49], v[48:49], v[50:51], v[48:49]
	v_fma_f64 v[50:51], -v[46:47], v[48:49], 1.0
	v_fma_f64 v[48:49], v[48:49], v[50:51], v[48:49]
	v_mul_f64 v[50:51], v[52:53], v[48:49]
	v_fma_f64 v[46:47], -v[46:47], v[50:51], v[52:53]
	v_div_fmas_f64 v[46:47], v[46:47], v[48:49], v[50:51]
	v_div_fixup_f64 v[46:47], v[46:47], v[32:33], v[30:31]
	v_fma_f64 v[30:31], v[30:31], v[46:47], v[32:33]
	v_div_scale_f64 v[32:33], null, v[30:31], v[30:31], 1.0
	v_rcp_f64_e32 v[48:49], v[32:33]
	v_fma_f64 v[50:51], -v[32:33], v[48:49], 1.0
	v_fma_f64 v[48:49], v[48:49], v[50:51], v[48:49]
	v_fma_f64 v[50:51], -v[32:33], v[48:49], 1.0
	v_fma_f64 v[48:49], v[48:49], v[50:51], v[48:49]
	v_div_scale_f64 v[50:51], vcc_lo, 1.0, v[30:31], 1.0
	v_mul_f64 v[52:53], v[50:51], v[48:49]
	v_fma_f64 v[32:33], -v[32:33], v[52:53], v[50:51]
	v_div_fmas_f64 v[32:33], v[32:33], v[48:49], v[52:53]
	v_div_fixup_f64 v[32:33], v[32:33], v[30:31], 1.0
	v_mul_f64 v[30:31], v[46:47], v[32:33]
	v_xor_b32_e32 v33, 0x80000000, v33
.LBB12_28:
	s_andn2_saveexec_b32 s7, s7
	s_cbranch_execz .LBB12_30
; %bb.29:
	v_div_scale_f64 v[46:47], null, v[30:31], v[30:31], v[32:33]
	v_div_scale_f64 v[52:53], vcc_lo, v[32:33], v[30:31], v[32:33]
	v_rcp_f64_e32 v[48:49], v[46:47]
	v_fma_f64 v[50:51], -v[46:47], v[48:49], 1.0
	v_fma_f64 v[48:49], v[48:49], v[50:51], v[48:49]
	v_fma_f64 v[50:51], -v[46:47], v[48:49], 1.0
	v_fma_f64 v[48:49], v[48:49], v[50:51], v[48:49]
	v_mul_f64 v[50:51], v[52:53], v[48:49]
	v_fma_f64 v[46:47], -v[46:47], v[50:51], v[52:53]
	v_div_fmas_f64 v[46:47], v[46:47], v[48:49], v[50:51]
	v_div_fixup_f64 v[46:47], v[46:47], v[30:31], v[32:33]
	v_fma_f64 v[30:31], v[32:33], v[46:47], v[30:31]
	v_div_scale_f64 v[32:33], null, v[30:31], v[30:31], 1.0
	v_rcp_f64_e32 v[48:49], v[32:33]
	v_fma_f64 v[50:51], -v[32:33], v[48:49], 1.0
	v_fma_f64 v[48:49], v[48:49], v[50:51], v[48:49]
	v_fma_f64 v[50:51], -v[32:33], v[48:49], 1.0
	v_fma_f64 v[48:49], v[48:49], v[50:51], v[48:49]
	v_div_scale_f64 v[50:51], vcc_lo, 1.0, v[30:31], 1.0
	v_mul_f64 v[52:53], v[50:51], v[48:49]
	v_fma_f64 v[32:33], -v[32:33], v[52:53], v[50:51]
	v_div_fmas_f64 v[32:33], v[32:33], v[48:49], v[52:53]
	v_div_fixup_f64 v[30:31], v[32:33], v[30:31], 1.0
	v_mul_f64 v[32:33], v[46:47], -v[30:31]
.LBB12_30:
	s_or_b32 exec_lo, exec_lo, s7
	v_mov_b32_e32 v43, v45
.LBB12_31:
	s_or_b32 exec_lo, exec_lo, s0
	s_mov_b32 s0, exec_lo
	v_cmpx_ne_u32_e64 v44, v38
	s_xor_b32 s0, exec_lo, s0
	s_cbranch_execz .LBB12_37
; %bb.32:
	s_mov_b32 s7, exec_lo
	v_cmpx_eq_u32_e32 1, v44
	s_cbranch_execz .LBB12_36
; %bb.33:
	v_cmp_ne_u32_e32 vcc_lo, 1, v38
	s_xor_b32 s8, s16, -1
	s_and_b32 s9, s8, vcc_lo
	s_and_saveexec_b32 s8, s9
	s_cbranch_execz .LBB12_35
; %bb.34:
	v_ashrrev_i32_e32 v39, 31, v38
	v_lshlrev_b64 v[44:45], 2, v[38:39]
	v_add_co_u32 v44, vcc_lo, v36, v44
	v_add_co_ci_u32_e64 v45, null, v37, v45, vcc_lo
	s_clause 0x1
	global_load_dword v0, v[44:45], off
	global_load_dword v39, v[36:37], off offset:4
	s_waitcnt vmcnt(1)
	global_store_dword v[36:37], v0, off offset:4
	s_waitcnt vmcnt(0)
	global_store_dword v[44:45], v39, off
.LBB12_35:
	s_or_b32 exec_lo, exec_lo, s8
	v_mov_b32_e32 v44, v38
	v_mov_b32_e32 v0, v38
.LBB12_36:
	s_or_b32 exec_lo, exec_lo, s7
.LBB12_37:
	s_andn2_saveexec_b32 s0, s0
	s_cbranch_execz .LBB12_39
; %bb.38:
	v_mov_b32_e32 v44, 1
	ds_write2_b64 v1, v[18:19], v[20:21] offset0:4 offset1:5
	ds_write2_b64 v1, v[14:15], v[16:17] offset0:6 offset1:7
	;; [unrolled: 1-line block ×5, first 2 shown]
.LBB12_39:
	s_or_b32 exec_lo, exec_lo, s0
	s_mov_b32 s0, exec_lo
	s_waitcnt lgkmcnt(0)
	s_waitcnt_vscnt null, 0x0
	s_barrier
	buffer_gl0_inv
	v_cmpx_lt_i32_e32 1, v44
	s_cbranch_execz .LBB12_41
; %bb.40:
	v_mul_f64 v[38:39], v[30:31], v[28:29]
	v_mul_f64 v[28:29], v[32:33], v[28:29]
	v_fma_f64 v[38:39], v[32:33], v[26:27], v[38:39]
	v_fma_f64 v[26:27], v[30:31], v[26:27], -v[28:29]
	ds_read2_b64 v[28:31], v1 offset0:4 offset1:5
	s_waitcnt lgkmcnt(0)
	v_mul_f64 v[32:33], v[30:31], v[38:39]
	v_fma_f64 v[32:33], v[28:29], v[26:27], -v[32:33]
	v_mul_f64 v[28:29], v[28:29], v[38:39]
	v_add_f64 v[18:19], v[18:19], -v[32:33]
	v_fma_f64 v[28:29], v[30:31], v[26:27], v[28:29]
	v_add_f64 v[20:21], v[20:21], -v[28:29]
	ds_read2_b64 v[28:31], v1 offset0:6 offset1:7
	s_waitcnt lgkmcnt(0)
	v_mul_f64 v[32:33], v[30:31], v[38:39]
	v_fma_f64 v[32:33], v[28:29], v[26:27], -v[32:33]
	v_mul_f64 v[28:29], v[28:29], v[38:39]
	v_add_f64 v[14:15], v[14:15], -v[32:33]
	v_fma_f64 v[28:29], v[30:31], v[26:27], v[28:29]
	v_add_f64 v[16:17], v[16:17], -v[28:29]
	;; [unrolled: 8-line block ×5, first 2 shown]
	v_mov_b32_e32 v28, v38
	v_mov_b32_e32 v29, v39
.LBB12_41:
	s_or_b32 exec_lo, exec_lo, s0
	v_lshl_add_u32 v30, v44, 4, v1
	s_barrier
	buffer_gl0_inv
	v_mov_b32_e32 v38, 2
	ds_write2_b64 v30, v[18:19], v[20:21] offset1:1
	s_waitcnt lgkmcnt(0)
	s_barrier
	buffer_gl0_inv
	ds_read2_b64 v[30:33], v1 offset0:4 offset1:5
	s_cmp_lt_i32 s1, 4
	s_cbranch_scc1 .LBB12_44
; %bb.42:
	v_add3_u32 v39, v40, 0, 48
	v_mov_b32_e32 v38, 2
	s_mov_b32 s7, 3
	s_inst_prefetch 0x1
	.p2align	6
.LBB12_43:                              ; =>This Inner Loop Header: Depth=1
	s_waitcnt lgkmcnt(0)
	v_cmp_gt_f64_e32 vcc_lo, 0, v[32:33]
	v_cmp_gt_f64_e64 s0, 0, v[30:31]
	ds_read2_b64 v[45:48], v39 offset1:1
	v_xor_b32_e32 v50, 0x80000000, v31
	v_xor_b32_e32 v52, 0x80000000, v33
	v_mov_b32_e32 v49, v30
	v_mov_b32_e32 v51, v32
	v_add_nc_u32_e32 v39, 16, v39
	s_waitcnt lgkmcnt(0)
	v_xor_b32_e32 v54, 0x80000000, v48
	v_cndmask_b32_e64 v50, v31, v50, s0
	v_cndmask_b32_e32 v52, v33, v52, vcc_lo
	v_cmp_gt_f64_e32 vcc_lo, 0, v[47:48]
	v_cmp_gt_f64_e64 s0, 0, v[45:46]
	v_mov_b32_e32 v53, v47
	v_add_f64 v[49:50], v[49:50], v[51:52]
	v_xor_b32_e32 v52, 0x80000000, v46
	v_mov_b32_e32 v51, v45
	v_cndmask_b32_e32 v54, v48, v54, vcc_lo
	v_cndmask_b32_e64 v52, v46, v52, s0
	v_add_f64 v[51:52], v[51:52], v[53:54]
	v_cmp_lt_f64_e32 vcc_lo, v[49:50], v[51:52]
	v_cndmask_b32_e32 v31, v31, v46, vcc_lo
	v_cndmask_b32_e32 v30, v30, v45, vcc_lo
	;; [unrolled: 1-line block ×4, first 2 shown]
	v_cndmask_b32_e64 v38, v38, s7, vcc_lo
	s_add_i32 s7, s7, 1
	s_cmp_lg_u32 s1, s7
	s_cbranch_scc1 .LBB12_43
.LBB12_44:
	s_inst_prefetch 0x2
	s_waitcnt lgkmcnt(0)
	v_cmp_eq_f64_e32 vcc_lo, 0, v[30:31]
	v_cmp_eq_f64_e64 s0, 0, v[32:33]
	s_and_b32 s0, vcc_lo, s0
	s_and_saveexec_b32 s7, s0
	s_xor_b32 s0, exec_lo, s7
; %bb.45:
	v_cmp_ne_u32_e32 vcc_lo, 0, v43
	v_cndmask_b32_e32 v43, 3, v43, vcc_lo
; %bb.46:
	s_andn2_saveexec_b32 s0, s0
	s_cbranch_execz .LBB12_52
; %bb.47:
	v_cmp_ngt_f64_e64 s7, |v[30:31]|, |v[32:33]|
	s_and_saveexec_b32 s8, s7
	s_xor_b32 s7, exec_lo, s8
	s_cbranch_execz .LBB12_49
; %bb.48:
	v_div_scale_f64 v[45:46], null, v[32:33], v[32:33], v[30:31]
	v_div_scale_f64 v[51:52], vcc_lo, v[30:31], v[32:33], v[30:31]
	v_rcp_f64_e32 v[47:48], v[45:46]
	v_fma_f64 v[49:50], -v[45:46], v[47:48], 1.0
	v_fma_f64 v[47:48], v[47:48], v[49:50], v[47:48]
	v_fma_f64 v[49:50], -v[45:46], v[47:48], 1.0
	v_fma_f64 v[47:48], v[47:48], v[49:50], v[47:48]
	v_mul_f64 v[49:50], v[51:52], v[47:48]
	v_fma_f64 v[45:46], -v[45:46], v[49:50], v[51:52]
	v_div_fmas_f64 v[45:46], v[45:46], v[47:48], v[49:50]
	v_div_fixup_f64 v[45:46], v[45:46], v[32:33], v[30:31]
	v_fma_f64 v[30:31], v[30:31], v[45:46], v[32:33]
	v_div_scale_f64 v[32:33], null, v[30:31], v[30:31], 1.0
	v_rcp_f64_e32 v[47:48], v[32:33]
	v_fma_f64 v[49:50], -v[32:33], v[47:48], 1.0
	v_fma_f64 v[47:48], v[47:48], v[49:50], v[47:48]
	v_fma_f64 v[49:50], -v[32:33], v[47:48], 1.0
	v_fma_f64 v[47:48], v[47:48], v[49:50], v[47:48]
	v_div_scale_f64 v[49:50], vcc_lo, 1.0, v[30:31], 1.0
	v_mul_f64 v[51:52], v[49:50], v[47:48]
	v_fma_f64 v[32:33], -v[32:33], v[51:52], v[49:50]
	v_div_fmas_f64 v[32:33], v[32:33], v[47:48], v[51:52]
	v_div_fixup_f64 v[32:33], v[32:33], v[30:31], 1.0
	v_mul_f64 v[30:31], v[45:46], v[32:33]
	v_xor_b32_e32 v33, 0x80000000, v33
.LBB12_49:
	s_andn2_saveexec_b32 s7, s7
	s_cbranch_execz .LBB12_51
; %bb.50:
	v_div_scale_f64 v[45:46], null, v[30:31], v[30:31], v[32:33]
	v_div_scale_f64 v[51:52], vcc_lo, v[32:33], v[30:31], v[32:33]
	v_rcp_f64_e32 v[47:48], v[45:46]
	v_fma_f64 v[49:50], -v[45:46], v[47:48], 1.0
	v_fma_f64 v[47:48], v[47:48], v[49:50], v[47:48]
	v_fma_f64 v[49:50], -v[45:46], v[47:48], 1.0
	v_fma_f64 v[47:48], v[47:48], v[49:50], v[47:48]
	v_mul_f64 v[49:50], v[51:52], v[47:48]
	v_fma_f64 v[45:46], -v[45:46], v[49:50], v[51:52]
	v_div_fmas_f64 v[45:46], v[45:46], v[47:48], v[49:50]
	v_div_fixup_f64 v[45:46], v[45:46], v[30:31], v[32:33]
	v_fma_f64 v[30:31], v[32:33], v[45:46], v[30:31]
	v_div_scale_f64 v[32:33], null, v[30:31], v[30:31], 1.0
	v_rcp_f64_e32 v[47:48], v[32:33]
	v_fma_f64 v[49:50], -v[32:33], v[47:48], 1.0
	v_fma_f64 v[47:48], v[47:48], v[49:50], v[47:48]
	v_fma_f64 v[49:50], -v[32:33], v[47:48], 1.0
	v_fma_f64 v[47:48], v[47:48], v[49:50], v[47:48]
	v_div_scale_f64 v[49:50], vcc_lo, 1.0, v[30:31], 1.0
	v_mul_f64 v[51:52], v[49:50], v[47:48]
	v_fma_f64 v[32:33], -v[32:33], v[51:52], v[49:50]
	v_div_fmas_f64 v[32:33], v[32:33], v[47:48], v[51:52]
	v_div_fixup_f64 v[30:31], v[32:33], v[30:31], 1.0
	v_mul_f64 v[32:33], v[45:46], -v[30:31]
.LBB12_51:
	s_or_b32 exec_lo, exec_lo, s7
.LBB12_52:
	s_or_b32 exec_lo, exec_lo, s0
	s_mov_b32 s0, exec_lo
	v_cmpx_ne_u32_e64 v44, v38
	s_xor_b32 s0, exec_lo, s0
	s_cbranch_execz .LBB12_58
; %bb.53:
	s_mov_b32 s7, exec_lo
	v_cmpx_eq_u32_e32 2, v44
	s_cbranch_execz .LBB12_57
; %bb.54:
	v_cmp_ne_u32_e32 vcc_lo, 2, v38
	s_xor_b32 s8, s16, -1
	s_and_b32 s9, s8, vcc_lo
	s_and_saveexec_b32 s8, s9
	s_cbranch_execz .LBB12_56
; %bb.55:
	v_ashrrev_i32_e32 v39, 31, v38
	v_lshlrev_b64 v[44:45], 2, v[38:39]
	v_add_co_u32 v44, vcc_lo, v36, v44
	v_add_co_ci_u32_e64 v45, null, v37, v45, vcc_lo
	s_clause 0x1
	global_load_dword v0, v[44:45], off
	global_load_dword v39, v[36:37], off offset:8
	s_waitcnt vmcnt(1)
	global_store_dword v[36:37], v0, off offset:8
	s_waitcnt vmcnt(0)
	global_store_dword v[44:45], v39, off
.LBB12_56:
	s_or_b32 exec_lo, exec_lo, s8
	v_mov_b32_e32 v44, v38
	v_mov_b32_e32 v0, v38
.LBB12_57:
	s_or_b32 exec_lo, exec_lo, s7
.LBB12_58:
	s_andn2_saveexec_b32 s0, s0
	s_cbranch_execz .LBB12_60
; %bb.59:
	v_mov_b32_e32 v44, 2
	ds_write2_b64 v1, v[14:15], v[16:17] offset0:6 offset1:7
	ds_write2_b64 v1, v[10:11], v[12:13] offset0:8 offset1:9
	ds_write2_b64 v1, v[6:7], v[8:9] offset0:10 offset1:11
	ds_write2_b64 v1, v[2:3], v[4:5] offset0:12 offset1:13
.LBB12_60:
	s_or_b32 exec_lo, exec_lo, s0
	s_mov_b32 s0, exec_lo
	s_waitcnt lgkmcnt(0)
	s_waitcnt_vscnt null, 0x0
	s_barrier
	buffer_gl0_inv
	v_cmpx_lt_i32_e32 2, v44
	s_cbranch_execz .LBB12_62
; %bb.61:
	v_mul_f64 v[38:39], v[30:31], v[20:21]
	v_mul_f64 v[20:21], v[32:33], v[20:21]
	v_fma_f64 v[38:39], v[32:33], v[18:19], v[38:39]
	v_fma_f64 v[18:19], v[30:31], v[18:19], -v[20:21]
	ds_read2_b64 v[30:33], v1 offset0:6 offset1:7
	s_waitcnt lgkmcnt(0)
	v_mul_f64 v[20:21], v[32:33], v[38:39]
	v_fma_f64 v[20:21], v[30:31], v[18:19], -v[20:21]
	v_mul_f64 v[30:31], v[30:31], v[38:39]
	v_add_f64 v[14:15], v[14:15], -v[20:21]
	v_fma_f64 v[30:31], v[32:33], v[18:19], v[30:31]
	v_add_f64 v[16:17], v[16:17], -v[30:31]
	ds_read2_b64 v[30:33], v1 offset0:8 offset1:9
	s_waitcnt lgkmcnt(0)
	v_mul_f64 v[20:21], v[32:33], v[38:39]
	v_fma_f64 v[20:21], v[30:31], v[18:19], -v[20:21]
	v_mul_f64 v[30:31], v[30:31], v[38:39]
	v_add_f64 v[10:11], v[10:11], -v[20:21]
	v_fma_f64 v[30:31], v[32:33], v[18:19], v[30:31]
	v_add_f64 v[12:13], v[12:13], -v[30:31]
	;; [unrolled: 8-line block ×3, first 2 shown]
	ds_read2_b64 v[30:33], v1 offset0:12 offset1:13
	s_waitcnt lgkmcnt(0)
	v_mul_f64 v[20:21], v[32:33], v[38:39]
	v_fma_f64 v[20:21], v[30:31], v[18:19], -v[20:21]
	v_mul_f64 v[30:31], v[30:31], v[38:39]
	v_add_f64 v[2:3], v[2:3], -v[20:21]
	v_fma_f64 v[30:31], v[32:33], v[18:19], v[30:31]
	v_mov_b32_e32 v20, v38
	v_mov_b32_e32 v21, v39
	v_add_f64 v[4:5], v[4:5], -v[30:31]
.LBB12_62:
	s_or_b32 exec_lo, exec_lo, s0
	v_lshl_add_u32 v30, v44, 4, v1
	s_barrier
	buffer_gl0_inv
	v_mov_b32_e32 v38, 3
	ds_write2_b64 v30, v[14:15], v[16:17] offset1:1
	s_waitcnt lgkmcnt(0)
	s_barrier
	buffer_gl0_inv
	ds_read2_b64 v[30:33], v1 offset0:6 offset1:7
	s_cmp_lt_i32 s1, 5
	s_mov_b32 s7, 4
	s_cbranch_scc1 .LBB12_65
; %bb.63:
	v_add3_u32 v39, v40, 0, 64
	v_mov_b32_e32 v38, 3
	s_inst_prefetch 0x1
	.p2align	6
.LBB12_64:                              ; =>This Inner Loop Header: Depth=1
	s_waitcnt lgkmcnt(0)
	v_cmp_gt_f64_e32 vcc_lo, 0, v[32:33]
	v_cmp_gt_f64_e64 s0, 0, v[30:31]
	ds_read2_b64 v[45:48], v39 offset1:1
	v_xor_b32_e32 v50, 0x80000000, v31
	v_xor_b32_e32 v52, 0x80000000, v33
	v_mov_b32_e32 v49, v30
	v_mov_b32_e32 v51, v32
	v_add_nc_u32_e32 v39, 16, v39
	s_waitcnt lgkmcnt(0)
	v_xor_b32_e32 v54, 0x80000000, v48
	v_cndmask_b32_e64 v50, v31, v50, s0
	v_cndmask_b32_e32 v52, v33, v52, vcc_lo
	v_cmp_gt_f64_e32 vcc_lo, 0, v[47:48]
	v_cmp_gt_f64_e64 s0, 0, v[45:46]
	v_mov_b32_e32 v53, v47
	v_add_f64 v[49:50], v[49:50], v[51:52]
	v_xor_b32_e32 v52, 0x80000000, v46
	v_mov_b32_e32 v51, v45
	v_cndmask_b32_e32 v54, v48, v54, vcc_lo
	v_cndmask_b32_e64 v52, v46, v52, s0
	v_add_f64 v[51:52], v[51:52], v[53:54]
	v_cmp_lt_f64_e32 vcc_lo, v[49:50], v[51:52]
	v_cndmask_b32_e32 v31, v31, v46, vcc_lo
	v_cndmask_b32_e32 v30, v30, v45, vcc_lo
	;; [unrolled: 1-line block ×4, first 2 shown]
	v_cndmask_b32_e64 v38, v38, s7, vcc_lo
	s_add_i32 s7, s7, 1
	s_cmp_lg_u32 s1, s7
	s_cbranch_scc1 .LBB12_64
.LBB12_65:
	s_inst_prefetch 0x2
	s_waitcnt lgkmcnt(0)
	v_cmp_eq_f64_e32 vcc_lo, 0, v[30:31]
	v_cmp_eq_f64_e64 s0, 0, v[32:33]
	s_and_b32 s0, vcc_lo, s0
	s_and_saveexec_b32 s7, s0
	s_xor_b32 s0, exec_lo, s7
; %bb.66:
	v_cmp_ne_u32_e32 vcc_lo, 0, v43
	v_cndmask_b32_e32 v43, 4, v43, vcc_lo
; %bb.67:
	s_andn2_saveexec_b32 s0, s0
	s_cbranch_execz .LBB12_73
; %bb.68:
	v_cmp_ngt_f64_e64 s7, |v[30:31]|, |v[32:33]|
	s_and_saveexec_b32 s8, s7
	s_xor_b32 s7, exec_lo, s8
	s_cbranch_execz .LBB12_70
; %bb.69:
	v_div_scale_f64 v[45:46], null, v[32:33], v[32:33], v[30:31]
	v_div_scale_f64 v[51:52], vcc_lo, v[30:31], v[32:33], v[30:31]
	v_rcp_f64_e32 v[47:48], v[45:46]
	v_fma_f64 v[49:50], -v[45:46], v[47:48], 1.0
	v_fma_f64 v[47:48], v[47:48], v[49:50], v[47:48]
	v_fma_f64 v[49:50], -v[45:46], v[47:48], 1.0
	v_fma_f64 v[47:48], v[47:48], v[49:50], v[47:48]
	v_mul_f64 v[49:50], v[51:52], v[47:48]
	v_fma_f64 v[45:46], -v[45:46], v[49:50], v[51:52]
	v_div_fmas_f64 v[45:46], v[45:46], v[47:48], v[49:50]
	v_div_fixup_f64 v[45:46], v[45:46], v[32:33], v[30:31]
	v_fma_f64 v[30:31], v[30:31], v[45:46], v[32:33]
	v_div_scale_f64 v[32:33], null, v[30:31], v[30:31], 1.0
	v_rcp_f64_e32 v[47:48], v[32:33]
	v_fma_f64 v[49:50], -v[32:33], v[47:48], 1.0
	v_fma_f64 v[47:48], v[47:48], v[49:50], v[47:48]
	v_fma_f64 v[49:50], -v[32:33], v[47:48], 1.0
	v_fma_f64 v[47:48], v[47:48], v[49:50], v[47:48]
	v_div_scale_f64 v[49:50], vcc_lo, 1.0, v[30:31], 1.0
	v_mul_f64 v[51:52], v[49:50], v[47:48]
	v_fma_f64 v[32:33], -v[32:33], v[51:52], v[49:50]
	v_div_fmas_f64 v[32:33], v[32:33], v[47:48], v[51:52]
	v_div_fixup_f64 v[32:33], v[32:33], v[30:31], 1.0
	v_mul_f64 v[30:31], v[45:46], v[32:33]
	v_xor_b32_e32 v33, 0x80000000, v33
.LBB12_70:
	s_andn2_saveexec_b32 s7, s7
	s_cbranch_execz .LBB12_72
; %bb.71:
	v_div_scale_f64 v[45:46], null, v[30:31], v[30:31], v[32:33]
	v_div_scale_f64 v[51:52], vcc_lo, v[32:33], v[30:31], v[32:33]
	v_rcp_f64_e32 v[47:48], v[45:46]
	v_fma_f64 v[49:50], -v[45:46], v[47:48], 1.0
	v_fma_f64 v[47:48], v[47:48], v[49:50], v[47:48]
	v_fma_f64 v[49:50], -v[45:46], v[47:48], 1.0
	v_fma_f64 v[47:48], v[47:48], v[49:50], v[47:48]
	v_mul_f64 v[49:50], v[51:52], v[47:48]
	v_fma_f64 v[45:46], -v[45:46], v[49:50], v[51:52]
	v_div_fmas_f64 v[45:46], v[45:46], v[47:48], v[49:50]
	v_div_fixup_f64 v[45:46], v[45:46], v[30:31], v[32:33]
	v_fma_f64 v[30:31], v[32:33], v[45:46], v[30:31]
	v_div_scale_f64 v[32:33], null, v[30:31], v[30:31], 1.0
	v_rcp_f64_e32 v[47:48], v[32:33]
	v_fma_f64 v[49:50], -v[32:33], v[47:48], 1.0
	v_fma_f64 v[47:48], v[47:48], v[49:50], v[47:48]
	v_fma_f64 v[49:50], -v[32:33], v[47:48], 1.0
	v_fma_f64 v[47:48], v[47:48], v[49:50], v[47:48]
	v_div_scale_f64 v[49:50], vcc_lo, 1.0, v[30:31], 1.0
	v_mul_f64 v[51:52], v[49:50], v[47:48]
	v_fma_f64 v[32:33], -v[32:33], v[51:52], v[49:50]
	v_div_fmas_f64 v[32:33], v[32:33], v[47:48], v[51:52]
	v_div_fixup_f64 v[30:31], v[32:33], v[30:31], 1.0
	v_mul_f64 v[32:33], v[45:46], -v[30:31]
.LBB12_72:
	s_or_b32 exec_lo, exec_lo, s7
.LBB12_73:
	s_or_b32 exec_lo, exec_lo, s0
	s_mov_b32 s0, exec_lo
	v_cmpx_ne_u32_e64 v44, v38
	s_xor_b32 s0, exec_lo, s0
	s_cbranch_execz .LBB12_79
; %bb.74:
	s_mov_b32 s7, exec_lo
	v_cmpx_eq_u32_e32 3, v44
	s_cbranch_execz .LBB12_78
; %bb.75:
	v_cmp_ne_u32_e32 vcc_lo, 3, v38
	s_xor_b32 s8, s16, -1
	s_and_b32 s9, s8, vcc_lo
	s_and_saveexec_b32 s8, s9
	s_cbranch_execz .LBB12_77
; %bb.76:
	v_ashrrev_i32_e32 v39, 31, v38
	v_lshlrev_b64 v[44:45], 2, v[38:39]
	v_add_co_u32 v44, vcc_lo, v36, v44
	v_add_co_ci_u32_e64 v45, null, v37, v45, vcc_lo
	s_clause 0x1
	global_load_dword v0, v[44:45], off
	global_load_dword v39, v[36:37], off offset:12
	s_waitcnt vmcnt(1)
	global_store_dword v[36:37], v0, off offset:12
	s_waitcnt vmcnt(0)
	global_store_dword v[44:45], v39, off
.LBB12_77:
	s_or_b32 exec_lo, exec_lo, s8
	v_mov_b32_e32 v44, v38
	v_mov_b32_e32 v0, v38
.LBB12_78:
	s_or_b32 exec_lo, exec_lo, s7
.LBB12_79:
	s_andn2_saveexec_b32 s0, s0
	s_cbranch_execz .LBB12_81
; %bb.80:
	v_mov_b32_e32 v44, 3
	ds_write2_b64 v1, v[10:11], v[12:13] offset0:8 offset1:9
	ds_write2_b64 v1, v[6:7], v[8:9] offset0:10 offset1:11
	;; [unrolled: 1-line block ×3, first 2 shown]
.LBB12_81:
	s_or_b32 exec_lo, exec_lo, s0
	s_mov_b32 s0, exec_lo
	s_waitcnt lgkmcnt(0)
	s_waitcnt_vscnt null, 0x0
	s_barrier
	buffer_gl0_inv
	v_cmpx_lt_i32_e32 3, v44
	s_cbranch_execz .LBB12_83
; %bb.82:
	v_mul_f64 v[38:39], v[30:31], v[16:17]
	v_mul_f64 v[16:17], v[32:33], v[16:17]
	v_fma_f64 v[38:39], v[32:33], v[14:15], v[38:39]
	v_fma_f64 v[14:15], v[30:31], v[14:15], -v[16:17]
	ds_read2_b64 v[30:33], v1 offset0:8 offset1:9
	s_waitcnt lgkmcnt(0)
	v_mul_f64 v[16:17], v[32:33], v[38:39]
	v_fma_f64 v[16:17], v[30:31], v[14:15], -v[16:17]
	v_mul_f64 v[30:31], v[30:31], v[38:39]
	v_add_f64 v[10:11], v[10:11], -v[16:17]
	v_fma_f64 v[30:31], v[32:33], v[14:15], v[30:31]
	v_add_f64 v[12:13], v[12:13], -v[30:31]
	ds_read2_b64 v[30:33], v1 offset0:10 offset1:11
	s_waitcnt lgkmcnt(0)
	v_mul_f64 v[16:17], v[32:33], v[38:39]
	v_fma_f64 v[16:17], v[30:31], v[14:15], -v[16:17]
	v_mul_f64 v[30:31], v[30:31], v[38:39]
	v_add_f64 v[6:7], v[6:7], -v[16:17]
	v_fma_f64 v[30:31], v[32:33], v[14:15], v[30:31]
	v_add_f64 v[8:9], v[8:9], -v[30:31]
	ds_read2_b64 v[30:33], v1 offset0:12 offset1:13
	s_waitcnt lgkmcnt(0)
	v_mul_f64 v[16:17], v[32:33], v[38:39]
	v_fma_f64 v[16:17], v[30:31], v[14:15], -v[16:17]
	v_mul_f64 v[30:31], v[30:31], v[38:39]
	v_add_f64 v[2:3], v[2:3], -v[16:17]
	v_fma_f64 v[30:31], v[32:33], v[14:15], v[30:31]
	v_mov_b32_e32 v16, v38
	v_mov_b32_e32 v17, v39
	v_add_f64 v[4:5], v[4:5], -v[30:31]
.LBB12_83:
	s_or_b32 exec_lo, exec_lo, s0
	v_lshl_add_u32 v30, v44, 4, v1
	s_barrier
	buffer_gl0_inv
	v_mov_b32_e32 v38, 4
	ds_write2_b64 v30, v[10:11], v[12:13] offset1:1
	s_waitcnt lgkmcnt(0)
	s_barrier
	buffer_gl0_inv
	ds_read2_b64 v[30:33], v1 offset0:8 offset1:9
	s_cmp_lt_i32 s1, 6
	s_cbranch_scc1 .LBB12_86
; %bb.84:
	v_mov_b32_e32 v38, 4
	v_add3_u32 v39, v40, 0, 0x50
	s_mov_b32 s7, 5
	s_inst_prefetch 0x1
	.p2align	6
.LBB12_85:                              ; =>This Inner Loop Header: Depth=1
	s_waitcnt lgkmcnt(0)
	v_cmp_gt_f64_e32 vcc_lo, 0, v[32:33]
	v_cmp_gt_f64_e64 s0, 0, v[30:31]
	ds_read2_b64 v[45:48], v39 offset1:1
	v_xor_b32_e32 v50, 0x80000000, v31
	v_xor_b32_e32 v52, 0x80000000, v33
	v_mov_b32_e32 v49, v30
	v_mov_b32_e32 v51, v32
	v_add_nc_u32_e32 v39, 16, v39
	s_waitcnt lgkmcnt(0)
	v_xor_b32_e32 v54, 0x80000000, v48
	v_cndmask_b32_e64 v50, v31, v50, s0
	v_cndmask_b32_e32 v52, v33, v52, vcc_lo
	v_cmp_gt_f64_e32 vcc_lo, 0, v[47:48]
	v_cmp_gt_f64_e64 s0, 0, v[45:46]
	v_mov_b32_e32 v53, v47
	v_add_f64 v[49:50], v[49:50], v[51:52]
	v_xor_b32_e32 v52, 0x80000000, v46
	v_mov_b32_e32 v51, v45
	v_cndmask_b32_e32 v54, v48, v54, vcc_lo
	v_cndmask_b32_e64 v52, v46, v52, s0
	v_add_f64 v[51:52], v[51:52], v[53:54]
	v_cmp_lt_f64_e32 vcc_lo, v[49:50], v[51:52]
	v_cndmask_b32_e32 v31, v31, v46, vcc_lo
	v_cndmask_b32_e32 v30, v30, v45, vcc_lo
	v_cndmask_b32_e32 v33, v33, v48, vcc_lo
	v_cndmask_b32_e32 v32, v32, v47, vcc_lo
	v_cndmask_b32_e64 v38, v38, s7, vcc_lo
	s_add_i32 s7, s7, 1
	s_cmp_lg_u32 s1, s7
	s_cbranch_scc1 .LBB12_85
.LBB12_86:
	s_inst_prefetch 0x2
	s_waitcnt lgkmcnt(0)
	v_cmp_eq_f64_e32 vcc_lo, 0, v[30:31]
	v_cmp_eq_f64_e64 s0, 0, v[32:33]
	s_and_b32 s0, vcc_lo, s0
	s_and_saveexec_b32 s7, s0
	s_xor_b32 s0, exec_lo, s7
; %bb.87:
	v_cmp_ne_u32_e32 vcc_lo, 0, v43
	v_cndmask_b32_e32 v43, 5, v43, vcc_lo
; %bb.88:
	s_andn2_saveexec_b32 s0, s0
	s_cbranch_execz .LBB12_94
; %bb.89:
	v_cmp_ngt_f64_e64 s7, |v[30:31]|, |v[32:33]|
	s_and_saveexec_b32 s8, s7
	s_xor_b32 s7, exec_lo, s8
	s_cbranch_execz .LBB12_91
; %bb.90:
	v_div_scale_f64 v[45:46], null, v[32:33], v[32:33], v[30:31]
	v_div_scale_f64 v[51:52], vcc_lo, v[30:31], v[32:33], v[30:31]
	v_rcp_f64_e32 v[47:48], v[45:46]
	v_fma_f64 v[49:50], -v[45:46], v[47:48], 1.0
	v_fma_f64 v[47:48], v[47:48], v[49:50], v[47:48]
	v_fma_f64 v[49:50], -v[45:46], v[47:48], 1.0
	v_fma_f64 v[47:48], v[47:48], v[49:50], v[47:48]
	v_mul_f64 v[49:50], v[51:52], v[47:48]
	v_fma_f64 v[45:46], -v[45:46], v[49:50], v[51:52]
	v_div_fmas_f64 v[45:46], v[45:46], v[47:48], v[49:50]
	v_div_fixup_f64 v[45:46], v[45:46], v[32:33], v[30:31]
	v_fma_f64 v[30:31], v[30:31], v[45:46], v[32:33]
	v_div_scale_f64 v[32:33], null, v[30:31], v[30:31], 1.0
	v_rcp_f64_e32 v[47:48], v[32:33]
	v_fma_f64 v[49:50], -v[32:33], v[47:48], 1.0
	v_fma_f64 v[47:48], v[47:48], v[49:50], v[47:48]
	v_fma_f64 v[49:50], -v[32:33], v[47:48], 1.0
	v_fma_f64 v[47:48], v[47:48], v[49:50], v[47:48]
	v_div_scale_f64 v[49:50], vcc_lo, 1.0, v[30:31], 1.0
	v_mul_f64 v[51:52], v[49:50], v[47:48]
	v_fma_f64 v[32:33], -v[32:33], v[51:52], v[49:50]
	v_div_fmas_f64 v[32:33], v[32:33], v[47:48], v[51:52]
	v_div_fixup_f64 v[32:33], v[32:33], v[30:31], 1.0
	v_mul_f64 v[30:31], v[45:46], v[32:33]
	v_xor_b32_e32 v33, 0x80000000, v33
.LBB12_91:
	s_andn2_saveexec_b32 s7, s7
	s_cbranch_execz .LBB12_93
; %bb.92:
	v_div_scale_f64 v[45:46], null, v[30:31], v[30:31], v[32:33]
	v_div_scale_f64 v[51:52], vcc_lo, v[32:33], v[30:31], v[32:33]
	v_rcp_f64_e32 v[47:48], v[45:46]
	v_fma_f64 v[49:50], -v[45:46], v[47:48], 1.0
	v_fma_f64 v[47:48], v[47:48], v[49:50], v[47:48]
	v_fma_f64 v[49:50], -v[45:46], v[47:48], 1.0
	v_fma_f64 v[47:48], v[47:48], v[49:50], v[47:48]
	v_mul_f64 v[49:50], v[51:52], v[47:48]
	v_fma_f64 v[45:46], -v[45:46], v[49:50], v[51:52]
	v_div_fmas_f64 v[45:46], v[45:46], v[47:48], v[49:50]
	v_div_fixup_f64 v[45:46], v[45:46], v[30:31], v[32:33]
	v_fma_f64 v[30:31], v[32:33], v[45:46], v[30:31]
	v_div_scale_f64 v[32:33], null, v[30:31], v[30:31], 1.0
	v_rcp_f64_e32 v[47:48], v[32:33]
	v_fma_f64 v[49:50], -v[32:33], v[47:48], 1.0
	v_fma_f64 v[47:48], v[47:48], v[49:50], v[47:48]
	v_fma_f64 v[49:50], -v[32:33], v[47:48], 1.0
	v_fma_f64 v[47:48], v[47:48], v[49:50], v[47:48]
	v_div_scale_f64 v[49:50], vcc_lo, 1.0, v[30:31], 1.0
	v_mul_f64 v[51:52], v[49:50], v[47:48]
	v_fma_f64 v[32:33], -v[32:33], v[51:52], v[49:50]
	v_div_fmas_f64 v[32:33], v[32:33], v[47:48], v[51:52]
	v_div_fixup_f64 v[30:31], v[32:33], v[30:31], 1.0
	v_mul_f64 v[32:33], v[45:46], -v[30:31]
.LBB12_93:
	s_or_b32 exec_lo, exec_lo, s7
.LBB12_94:
	s_or_b32 exec_lo, exec_lo, s0
	s_mov_b32 s0, exec_lo
	v_cmpx_ne_u32_e64 v44, v38
	s_xor_b32 s0, exec_lo, s0
	s_cbranch_execz .LBB12_100
; %bb.95:
	s_mov_b32 s7, exec_lo
	v_cmpx_eq_u32_e32 4, v44
	s_cbranch_execz .LBB12_99
; %bb.96:
	v_cmp_ne_u32_e32 vcc_lo, 4, v38
	s_xor_b32 s8, s16, -1
	s_and_b32 s9, s8, vcc_lo
	s_and_saveexec_b32 s8, s9
	s_cbranch_execz .LBB12_98
; %bb.97:
	v_ashrrev_i32_e32 v39, 31, v38
	v_lshlrev_b64 v[44:45], 2, v[38:39]
	v_add_co_u32 v44, vcc_lo, v36, v44
	v_add_co_ci_u32_e64 v45, null, v37, v45, vcc_lo
	s_clause 0x1
	global_load_dword v0, v[44:45], off
	global_load_dword v39, v[36:37], off offset:16
	s_waitcnt vmcnt(1)
	global_store_dword v[36:37], v0, off offset:16
	s_waitcnt vmcnt(0)
	global_store_dword v[44:45], v39, off
.LBB12_98:
	s_or_b32 exec_lo, exec_lo, s8
	v_mov_b32_e32 v44, v38
	v_mov_b32_e32 v0, v38
.LBB12_99:
	s_or_b32 exec_lo, exec_lo, s7
.LBB12_100:
	s_andn2_saveexec_b32 s0, s0
	s_cbranch_execz .LBB12_102
; %bb.101:
	v_mov_b32_e32 v44, 4
	ds_write2_b64 v1, v[6:7], v[8:9] offset0:10 offset1:11
	ds_write2_b64 v1, v[2:3], v[4:5] offset0:12 offset1:13
.LBB12_102:
	s_or_b32 exec_lo, exec_lo, s0
	s_mov_b32 s0, exec_lo
	s_waitcnt lgkmcnt(0)
	s_waitcnt_vscnt null, 0x0
	s_barrier
	buffer_gl0_inv
	v_cmpx_lt_i32_e32 4, v44
	s_cbranch_execz .LBB12_104
; %bb.103:
	v_mul_f64 v[38:39], v[30:31], v[12:13]
	v_mul_f64 v[12:13], v[32:33], v[12:13]
	ds_read2_b64 v[45:48], v1 offset0:10 offset1:11
	ds_read2_b64 v[49:52], v1 offset0:12 offset1:13
	v_fma_f64 v[32:33], v[32:33], v[10:11], v[38:39]
	v_fma_f64 v[10:11], v[30:31], v[10:11], -v[12:13]
	s_waitcnt lgkmcnt(1)
	v_mul_f64 v[12:13], v[47:48], v[32:33]
	v_mul_f64 v[30:31], v[45:46], v[32:33]
	s_waitcnt lgkmcnt(0)
	v_mul_f64 v[38:39], v[51:52], v[32:33]
	v_mul_f64 v[53:54], v[49:50], v[32:33]
	v_fma_f64 v[12:13], v[45:46], v[10:11], -v[12:13]
	v_fma_f64 v[30:31], v[47:48], v[10:11], v[30:31]
	v_fma_f64 v[38:39], v[49:50], v[10:11], -v[38:39]
	v_fma_f64 v[45:46], v[51:52], v[10:11], v[53:54]
	v_add_f64 v[6:7], v[6:7], -v[12:13]
	v_add_f64 v[8:9], v[8:9], -v[30:31]
	;; [unrolled: 1-line block ×4, first 2 shown]
	v_mov_b32_e32 v12, v32
	v_mov_b32_e32 v13, v33
.LBB12_104:
	s_or_b32 exec_lo, exec_lo, s0
	v_lshl_add_u32 v30, v44, 4, v1
	s_barrier
	buffer_gl0_inv
	v_mov_b32_e32 v38, 5
	ds_write2_b64 v30, v[6:7], v[8:9] offset1:1
	s_waitcnt lgkmcnt(0)
	s_barrier
	buffer_gl0_inv
	ds_read2_b64 v[30:33], v1 offset0:10 offset1:11
	s_cmp_lt_i32 s1, 7
	s_cbranch_scc1 .LBB12_107
; %bb.105:
	v_add3_u32 v39, v40, 0, 0x60
	v_mov_b32_e32 v38, 5
	s_mov_b32 s7, 6
	s_inst_prefetch 0x1
	.p2align	6
.LBB12_106:                             ; =>This Inner Loop Header: Depth=1
	s_waitcnt lgkmcnt(0)
	v_cmp_gt_f64_e32 vcc_lo, 0, v[32:33]
	v_cmp_gt_f64_e64 s0, 0, v[30:31]
	ds_read2_b64 v[45:48], v39 offset1:1
	v_xor_b32_e32 v50, 0x80000000, v31
	v_xor_b32_e32 v52, 0x80000000, v33
	v_mov_b32_e32 v49, v30
	v_mov_b32_e32 v51, v32
	v_add_nc_u32_e32 v39, 16, v39
	s_waitcnt lgkmcnt(0)
	v_xor_b32_e32 v54, 0x80000000, v48
	v_cndmask_b32_e64 v50, v31, v50, s0
	v_cndmask_b32_e32 v52, v33, v52, vcc_lo
	v_cmp_gt_f64_e32 vcc_lo, 0, v[47:48]
	v_cmp_gt_f64_e64 s0, 0, v[45:46]
	v_mov_b32_e32 v53, v47
	v_add_f64 v[49:50], v[49:50], v[51:52]
	v_xor_b32_e32 v52, 0x80000000, v46
	v_mov_b32_e32 v51, v45
	v_cndmask_b32_e32 v54, v48, v54, vcc_lo
	v_cndmask_b32_e64 v52, v46, v52, s0
	v_add_f64 v[51:52], v[51:52], v[53:54]
	v_cmp_lt_f64_e32 vcc_lo, v[49:50], v[51:52]
	v_cndmask_b32_e32 v31, v31, v46, vcc_lo
	v_cndmask_b32_e32 v30, v30, v45, vcc_lo
	;; [unrolled: 1-line block ×4, first 2 shown]
	v_cndmask_b32_e64 v38, v38, s7, vcc_lo
	s_add_i32 s7, s7, 1
	s_cmp_lg_u32 s1, s7
	s_cbranch_scc1 .LBB12_106
.LBB12_107:
	s_inst_prefetch 0x2
	s_waitcnt lgkmcnt(0)
	v_cmp_eq_f64_e32 vcc_lo, 0, v[30:31]
	v_cmp_eq_f64_e64 s0, 0, v[32:33]
	s_and_b32 s0, vcc_lo, s0
	s_and_saveexec_b32 s7, s0
	s_xor_b32 s0, exec_lo, s7
; %bb.108:
	v_cmp_ne_u32_e32 vcc_lo, 0, v43
	v_cndmask_b32_e32 v43, 6, v43, vcc_lo
; %bb.109:
	s_andn2_saveexec_b32 s0, s0
	s_cbranch_execz .LBB12_115
; %bb.110:
	v_cmp_ngt_f64_e64 s7, |v[30:31]|, |v[32:33]|
	s_and_saveexec_b32 s8, s7
	s_xor_b32 s7, exec_lo, s8
	s_cbranch_execz .LBB12_112
; %bb.111:
	v_div_scale_f64 v[45:46], null, v[32:33], v[32:33], v[30:31]
	v_div_scale_f64 v[51:52], vcc_lo, v[30:31], v[32:33], v[30:31]
	v_rcp_f64_e32 v[47:48], v[45:46]
	v_fma_f64 v[49:50], -v[45:46], v[47:48], 1.0
	v_fma_f64 v[47:48], v[47:48], v[49:50], v[47:48]
	v_fma_f64 v[49:50], -v[45:46], v[47:48], 1.0
	v_fma_f64 v[47:48], v[47:48], v[49:50], v[47:48]
	v_mul_f64 v[49:50], v[51:52], v[47:48]
	v_fma_f64 v[45:46], -v[45:46], v[49:50], v[51:52]
	v_div_fmas_f64 v[45:46], v[45:46], v[47:48], v[49:50]
	v_div_fixup_f64 v[45:46], v[45:46], v[32:33], v[30:31]
	v_fma_f64 v[30:31], v[30:31], v[45:46], v[32:33]
	v_div_scale_f64 v[32:33], null, v[30:31], v[30:31], 1.0
	v_rcp_f64_e32 v[47:48], v[32:33]
	v_fma_f64 v[49:50], -v[32:33], v[47:48], 1.0
	v_fma_f64 v[47:48], v[47:48], v[49:50], v[47:48]
	v_fma_f64 v[49:50], -v[32:33], v[47:48], 1.0
	v_fma_f64 v[47:48], v[47:48], v[49:50], v[47:48]
	v_div_scale_f64 v[49:50], vcc_lo, 1.0, v[30:31], 1.0
	v_mul_f64 v[51:52], v[49:50], v[47:48]
	v_fma_f64 v[32:33], -v[32:33], v[51:52], v[49:50]
	v_div_fmas_f64 v[32:33], v[32:33], v[47:48], v[51:52]
	v_div_fixup_f64 v[32:33], v[32:33], v[30:31], 1.0
	v_mul_f64 v[30:31], v[45:46], v[32:33]
	v_xor_b32_e32 v33, 0x80000000, v33
.LBB12_112:
	s_andn2_saveexec_b32 s7, s7
	s_cbranch_execz .LBB12_114
; %bb.113:
	v_div_scale_f64 v[45:46], null, v[30:31], v[30:31], v[32:33]
	v_div_scale_f64 v[51:52], vcc_lo, v[32:33], v[30:31], v[32:33]
	v_rcp_f64_e32 v[47:48], v[45:46]
	v_fma_f64 v[49:50], -v[45:46], v[47:48], 1.0
	v_fma_f64 v[47:48], v[47:48], v[49:50], v[47:48]
	v_fma_f64 v[49:50], -v[45:46], v[47:48], 1.0
	v_fma_f64 v[47:48], v[47:48], v[49:50], v[47:48]
	v_mul_f64 v[49:50], v[51:52], v[47:48]
	v_fma_f64 v[45:46], -v[45:46], v[49:50], v[51:52]
	v_div_fmas_f64 v[45:46], v[45:46], v[47:48], v[49:50]
	v_div_fixup_f64 v[45:46], v[45:46], v[30:31], v[32:33]
	v_fma_f64 v[30:31], v[32:33], v[45:46], v[30:31]
	v_div_scale_f64 v[32:33], null, v[30:31], v[30:31], 1.0
	v_rcp_f64_e32 v[47:48], v[32:33]
	v_fma_f64 v[49:50], -v[32:33], v[47:48], 1.0
	v_fma_f64 v[47:48], v[47:48], v[49:50], v[47:48]
	v_fma_f64 v[49:50], -v[32:33], v[47:48], 1.0
	v_fma_f64 v[47:48], v[47:48], v[49:50], v[47:48]
	v_div_scale_f64 v[49:50], vcc_lo, 1.0, v[30:31], 1.0
	v_mul_f64 v[51:52], v[49:50], v[47:48]
	v_fma_f64 v[32:33], -v[32:33], v[51:52], v[49:50]
	v_div_fmas_f64 v[32:33], v[32:33], v[47:48], v[51:52]
	v_div_fixup_f64 v[30:31], v[32:33], v[30:31], 1.0
	v_mul_f64 v[32:33], v[45:46], -v[30:31]
.LBB12_114:
	s_or_b32 exec_lo, exec_lo, s7
.LBB12_115:
	s_or_b32 exec_lo, exec_lo, s0
	s_mov_b32 s0, exec_lo
	v_cmpx_ne_u32_e64 v44, v38
	s_xor_b32 s0, exec_lo, s0
	s_cbranch_execz .LBB12_121
; %bb.116:
	s_mov_b32 s7, exec_lo
	v_cmpx_eq_u32_e32 5, v44
	s_cbranch_execz .LBB12_120
; %bb.117:
	v_cmp_ne_u32_e32 vcc_lo, 5, v38
	s_xor_b32 s8, s16, -1
	s_and_b32 s9, s8, vcc_lo
	s_and_saveexec_b32 s8, s9
	s_cbranch_execz .LBB12_119
; %bb.118:
	v_ashrrev_i32_e32 v39, 31, v38
	v_lshlrev_b64 v[44:45], 2, v[38:39]
	v_add_co_u32 v44, vcc_lo, v36, v44
	v_add_co_ci_u32_e64 v45, null, v37, v45, vcc_lo
	s_clause 0x1
	global_load_dword v0, v[44:45], off
	global_load_dword v39, v[36:37], off offset:20
	s_waitcnt vmcnt(1)
	global_store_dword v[36:37], v0, off offset:20
	s_waitcnt vmcnt(0)
	global_store_dword v[44:45], v39, off
.LBB12_119:
	s_or_b32 exec_lo, exec_lo, s8
	v_mov_b32_e32 v44, v38
	v_mov_b32_e32 v0, v38
.LBB12_120:
	s_or_b32 exec_lo, exec_lo, s7
.LBB12_121:
	s_andn2_saveexec_b32 s0, s0
; %bb.122:
	v_mov_b32_e32 v44, 5
	ds_write2_b64 v1, v[2:3], v[4:5] offset0:12 offset1:13
; %bb.123:
	s_or_b32 exec_lo, exec_lo, s0
	s_mov_b32 s0, exec_lo
	s_waitcnt lgkmcnt(0)
	s_waitcnt_vscnt null, 0x0
	s_barrier
	buffer_gl0_inv
	v_cmpx_lt_i32_e32 5, v44
	s_cbranch_execz .LBB12_125
; %bb.124:
	v_mul_f64 v[38:39], v[30:31], v[8:9]
	v_mul_f64 v[8:9], v[32:33], v[8:9]
	ds_read2_b64 v[45:48], v1 offset0:12 offset1:13
	v_fma_f64 v[32:33], v[32:33], v[6:7], v[38:39]
	v_fma_f64 v[6:7], v[30:31], v[6:7], -v[8:9]
	s_waitcnt lgkmcnt(0)
	v_mul_f64 v[8:9], v[47:48], v[32:33]
	v_mul_f64 v[30:31], v[45:46], v[32:33]
	v_fma_f64 v[8:9], v[45:46], v[6:7], -v[8:9]
	v_fma_f64 v[30:31], v[47:48], v[6:7], v[30:31]
	v_add_f64 v[2:3], v[2:3], -v[8:9]
	v_add_f64 v[4:5], v[4:5], -v[30:31]
	v_mov_b32_e32 v8, v32
	v_mov_b32_e32 v9, v33
.LBB12_125:
	s_or_b32 exec_lo, exec_lo, s0
	v_lshl_add_u32 v30, v44, 4, v1
	s_barrier
	buffer_gl0_inv
	v_mov_b32_e32 v38, 6
	ds_write2_b64 v30, v[2:3], v[4:5] offset1:1
	s_waitcnt lgkmcnt(0)
	s_barrier
	buffer_gl0_inv
	ds_read2_b64 v[30:33], v1 offset0:12 offset1:13
	s_cmp_lt_i32 s1, 8
	s_cbranch_scc1 .LBB12_128
; %bb.126:
	v_add3_u32 v1, v40, 0, 0x70
	v_mov_b32_e32 v38, 6
	s_mov_b32 s7, 7
	s_inst_prefetch 0x1
	.p2align	6
.LBB12_127:                             ; =>This Inner Loop Header: Depth=1
	s_waitcnt lgkmcnt(0)
	v_cmp_gt_f64_e32 vcc_lo, 0, v[32:33]
	v_cmp_gt_f64_e64 s0, 0, v[30:31]
	ds_read2_b64 v[45:48], v1 offset1:1
	v_xor_b32_e32 v40, 0x80000000, v31
	v_xor_b32_e32 v50, 0x80000000, v33
	v_mov_b32_e32 v39, v30
	v_mov_b32_e32 v49, v32
	v_add_nc_u32_e32 v1, 16, v1
	s_waitcnt lgkmcnt(0)
	v_xor_b32_e32 v52, 0x80000000, v48
	v_cndmask_b32_e64 v40, v31, v40, s0
	v_cndmask_b32_e32 v50, v33, v50, vcc_lo
	v_cmp_gt_f64_e32 vcc_lo, 0, v[47:48]
	v_cmp_gt_f64_e64 s0, 0, v[45:46]
	v_mov_b32_e32 v51, v47
	v_add_f64 v[39:40], v[39:40], v[49:50]
	v_xor_b32_e32 v50, 0x80000000, v46
	v_mov_b32_e32 v49, v45
	v_cndmask_b32_e32 v52, v48, v52, vcc_lo
	v_cndmask_b32_e64 v50, v46, v50, s0
	v_add_f64 v[49:50], v[49:50], v[51:52]
	v_cmp_lt_f64_e32 vcc_lo, v[39:40], v[49:50]
	v_cndmask_b32_e32 v31, v31, v46, vcc_lo
	v_cndmask_b32_e32 v30, v30, v45, vcc_lo
	;; [unrolled: 1-line block ×4, first 2 shown]
	v_cndmask_b32_e64 v38, v38, s7, vcc_lo
	s_add_i32 s7, s7, 1
	s_cmp_lg_u32 s1, s7
	s_cbranch_scc1 .LBB12_127
.LBB12_128:
	s_inst_prefetch 0x2
	s_waitcnt lgkmcnt(0)
	v_cmp_eq_f64_e32 vcc_lo, 0, v[30:31]
	v_cmp_eq_f64_e64 s0, 0, v[32:33]
	s_and_b32 s0, vcc_lo, s0
	s_and_saveexec_b32 s1, s0
	s_xor_b32 s0, exec_lo, s1
; %bb.129:
	v_cmp_ne_u32_e32 vcc_lo, 0, v43
	v_cndmask_b32_e32 v43, 7, v43, vcc_lo
; %bb.130:
	s_andn2_saveexec_b32 s0, s0
	s_cbranch_execz .LBB12_136
; %bb.131:
	v_cmp_ngt_f64_e64 s1, |v[30:31]|, |v[32:33]|
	s_and_saveexec_b32 s7, s1
	s_xor_b32 s1, exec_lo, s7
	s_cbranch_execz .LBB12_133
; %bb.132:
	v_div_scale_f64 v[39:40], null, v[32:33], v[32:33], v[30:31]
	v_div_scale_f64 v[49:50], vcc_lo, v[30:31], v[32:33], v[30:31]
	v_rcp_f64_e32 v[45:46], v[39:40]
	v_fma_f64 v[47:48], -v[39:40], v[45:46], 1.0
	v_fma_f64 v[45:46], v[45:46], v[47:48], v[45:46]
	v_fma_f64 v[47:48], -v[39:40], v[45:46], 1.0
	v_fma_f64 v[45:46], v[45:46], v[47:48], v[45:46]
	v_mul_f64 v[47:48], v[49:50], v[45:46]
	v_fma_f64 v[39:40], -v[39:40], v[47:48], v[49:50]
	v_div_fmas_f64 v[39:40], v[39:40], v[45:46], v[47:48]
	v_div_fixup_f64 v[39:40], v[39:40], v[32:33], v[30:31]
	v_fma_f64 v[30:31], v[30:31], v[39:40], v[32:33]
	v_div_scale_f64 v[32:33], null, v[30:31], v[30:31], 1.0
	v_rcp_f64_e32 v[45:46], v[32:33]
	v_fma_f64 v[47:48], -v[32:33], v[45:46], 1.0
	v_fma_f64 v[45:46], v[45:46], v[47:48], v[45:46]
	v_fma_f64 v[47:48], -v[32:33], v[45:46], 1.0
	v_fma_f64 v[45:46], v[45:46], v[47:48], v[45:46]
	v_div_scale_f64 v[47:48], vcc_lo, 1.0, v[30:31], 1.0
	v_mul_f64 v[49:50], v[47:48], v[45:46]
	v_fma_f64 v[32:33], -v[32:33], v[49:50], v[47:48]
	v_div_fmas_f64 v[32:33], v[32:33], v[45:46], v[49:50]
	v_div_fixup_f64 v[32:33], v[32:33], v[30:31], 1.0
	v_mul_f64 v[30:31], v[39:40], v[32:33]
	v_xor_b32_e32 v33, 0x80000000, v33
.LBB12_133:
	s_andn2_saveexec_b32 s1, s1
	s_cbranch_execz .LBB12_135
; %bb.134:
	v_div_scale_f64 v[39:40], null, v[30:31], v[30:31], v[32:33]
	v_div_scale_f64 v[49:50], vcc_lo, v[32:33], v[30:31], v[32:33]
	v_rcp_f64_e32 v[45:46], v[39:40]
	v_fma_f64 v[47:48], -v[39:40], v[45:46], 1.0
	v_fma_f64 v[45:46], v[45:46], v[47:48], v[45:46]
	v_fma_f64 v[47:48], -v[39:40], v[45:46], 1.0
	v_fma_f64 v[45:46], v[45:46], v[47:48], v[45:46]
	v_mul_f64 v[47:48], v[49:50], v[45:46]
	v_fma_f64 v[39:40], -v[39:40], v[47:48], v[49:50]
	v_div_fmas_f64 v[39:40], v[39:40], v[45:46], v[47:48]
	v_div_fixup_f64 v[39:40], v[39:40], v[30:31], v[32:33]
	v_fma_f64 v[30:31], v[32:33], v[39:40], v[30:31]
	v_div_scale_f64 v[32:33], null, v[30:31], v[30:31], 1.0
	v_rcp_f64_e32 v[45:46], v[32:33]
	v_fma_f64 v[47:48], -v[32:33], v[45:46], 1.0
	v_fma_f64 v[45:46], v[45:46], v[47:48], v[45:46]
	v_fma_f64 v[47:48], -v[32:33], v[45:46], 1.0
	v_fma_f64 v[45:46], v[45:46], v[47:48], v[45:46]
	v_div_scale_f64 v[47:48], vcc_lo, 1.0, v[30:31], 1.0
	v_mul_f64 v[49:50], v[47:48], v[45:46]
	v_fma_f64 v[32:33], -v[32:33], v[49:50], v[47:48]
	v_div_fmas_f64 v[32:33], v[32:33], v[45:46], v[49:50]
	v_div_fixup_f64 v[30:31], v[32:33], v[30:31], 1.0
	v_mul_f64 v[32:33], v[39:40], -v[30:31]
.LBB12_135:
	s_or_b32 exec_lo, exec_lo, s1
.LBB12_136:
	s_or_b32 exec_lo, exec_lo, s0
	v_mov_b32_e32 v39, 6
	s_mov_b32 s0, exec_lo
	v_cmpx_ne_u32_e64 v44, v38
	s_cbranch_execz .LBB12_142
; %bb.137:
	s_mov_b32 s1, exec_lo
	v_cmpx_eq_u32_e32 6, v44
	s_cbranch_execz .LBB12_141
; %bb.138:
	v_cmp_ne_u32_e32 vcc_lo, 6, v38
	s_xor_b32 s7, s16, -1
	s_and_b32 s8, s7, vcc_lo
	s_and_saveexec_b32 s7, s8
	s_cbranch_execz .LBB12_140
; %bb.139:
	v_ashrrev_i32_e32 v39, 31, v38
	v_lshlrev_b64 v[0:1], 2, v[38:39]
	v_add_co_u32 v0, vcc_lo, v36, v0
	v_add_co_ci_u32_e64 v1, null, v37, v1, vcc_lo
	s_clause 0x1
	global_load_dword v39, v[0:1], off
	global_load_dword v40, v[36:37], off offset:24
	s_waitcnt vmcnt(1)
	global_store_dword v[36:37], v39, off offset:24
	s_waitcnt vmcnt(0)
	global_store_dword v[0:1], v40, off
.LBB12_140:
	s_or_b32 exec_lo, exec_lo, s7
	v_mov_b32_e32 v44, v38
	v_mov_b32_e32 v0, v38
.LBB12_141:
	s_or_b32 exec_lo, exec_lo, s1
	v_mov_b32_e32 v39, v44
.LBB12_142:
	s_or_b32 exec_lo, exec_lo, s0
	s_mov_b32 s0, exec_lo
	s_waitcnt_vscnt null, 0x0
	s_barrier
	buffer_gl0_inv
	v_cmpx_lt_i32_e32 6, v39
	s_cbranch_execz .LBB12_144
; %bb.143:
	v_mul_f64 v[36:37], v[32:33], v[4:5]
	v_mul_f64 v[4:5], v[30:31], v[4:5]
	v_fma_f64 v[30:31], v[30:31], v[2:3], -v[36:37]
	v_fma_f64 v[4:5], v[32:33], v[2:3], v[4:5]
	v_mov_b32_e32 v2, v30
	v_mov_b32_e32 v3, v31
.LBB12_144:
	s_or_b32 exec_lo, exec_lo, s0
	v_ashrrev_i32_e32 v40, 31, v39
	s_mov_b32 s0, exec_lo
	s_barrier
	buffer_gl0_inv
	v_cmpx_gt_i32_e32 7, v39
	s_cbranch_execz .LBB12_146
; %bb.145:
	v_mul_lo_u32 v1, s15, v34
	v_mul_lo_u32 v32, s14, v35
	v_mad_u64_u32 v[30:31], null, s14, v34, 0
	s_lshl_b64 s[8:9], s[12:13], 2
	v_add3_u32 v0, v0, s17, 1
	v_add3_u32 v31, v31, v32, v1
	v_lshlrev_b64 v[30:31], 2, v[30:31]
	v_add_co_u32 v1, vcc_lo, s10, v30
	v_add_co_ci_u32_e64 v32, null, s11, v31, vcc_lo
	v_lshlrev_b64 v[30:31], 2, v[39:40]
	v_add_co_u32 v1, vcc_lo, v1, s8
	v_add_co_ci_u32_e64 v32, null, s9, v32, vcc_lo
	v_add_co_u32 v30, vcc_lo, v1, v30
	v_add_co_ci_u32_e64 v31, null, v32, v31, vcc_lo
	global_store_dword v[30:31], v0, off
.LBB12_146:
	s_or_b32 exec_lo, exec_lo, s0
	s_mov_b32 s1, exec_lo
	v_cmpx_eq_u32_e32 0, v39
	s_cbranch_execz .LBB12_149
; %bb.147:
	v_lshlrev_b64 v[0:1], 2, v[34:35]
	v_cmp_ne_u32_e64 s0, 0, v43
	v_add_co_u32 v0, vcc_lo, s4, v0
	v_add_co_ci_u32_e64 v1, null, s5, v1, vcc_lo
	global_load_dword v30, v[0:1], off
	s_waitcnt vmcnt(0)
	v_cmp_eq_u32_e32 vcc_lo, 0, v30
	s_and_b32 s0, vcc_lo, s0
	s_and_b32 exec_lo, exec_lo, s0
	s_cbranch_execz .LBB12_149
; %bb.148:
	v_add_nc_u32_e32 v30, s17, v43
	global_store_dword v[0:1], v30, off
.LBB12_149:
	s_or_b32 exec_lo, exec_lo, s1
	v_lshlrev_b64 v[30:31], 4, v[39:40]
	v_add3_u32 v0, s6, s6, v39
	v_add_nc_u32_e32 v32, s6, v0
	v_add_co_u32 v30, vcc_lo, v41, v30
	v_add_co_ci_u32_e64 v31, null, v42, v31, vcc_lo
	v_add_nc_u32_e32 v36, s6, v32
	v_add_co_u32 v34, vcc_lo, v30, s2
	v_add_co_ci_u32_e64 v35, null, s3, v31, vcc_lo
	v_ashrrev_i32_e32 v1, 31, v0
	global_store_dwordx4 v[30:31], v[22:25], off
	global_store_dwordx4 v[34:35], v[26:29], off
	v_add_nc_u32_e32 v24, s6, v36
	v_ashrrev_i32_e32 v33, 31, v32
	v_ashrrev_i32_e32 v37, 31, v36
	v_lshlrev_b64 v[0:1], 4, v[0:1]
	v_add_nc_u32_e32 v28, s6, v24
	v_ashrrev_i32_e32 v25, 31, v24
	v_lshlrev_b64 v[22:23], 4, v[32:33]
	v_lshlrev_b64 v[26:27], 4, v[36:37]
	v_add_co_u32 v0, vcc_lo, v41, v0
	v_ashrrev_i32_e32 v29, 31, v28
	v_lshlrev_b64 v[24:25], 4, v[24:25]
	v_add_co_ci_u32_e64 v1, null, v42, v1, vcc_lo
	v_add_co_u32 v22, vcc_lo, v41, v22
	v_lshlrev_b64 v[28:29], 4, v[28:29]
	v_add_co_ci_u32_e64 v23, null, v42, v23, vcc_lo
	v_add_co_u32 v26, vcc_lo, v41, v26
	v_add_co_ci_u32_e64 v27, null, v42, v27, vcc_lo
	v_add_co_u32 v24, vcc_lo, v41, v24
	;; [unrolled: 2-line block ×3, first 2 shown]
	v_add_co_ci_u32_e64 v29, null, v42, v29, vcc_lo
	global_store_dwordx4 v[0:1], v[18:21], off
	global_store_dwordx4 v[22:23], v[14:17], off
	;; [unrolled: 1-line block ×5, first 2 shown]
.LBB12_150:
	s_endpgm
	.section	.rodata,"a",@progbits
	.p2align	6, 0x0
	.amdhsa_kernel _ZN9rocsolver6v33100L18getf2_small_kernelILi7E19rocblas_complex_numIdEiiPS3_EEvT1_T3_lS5_lPS5_llPT2_S5_S5_S7_l
		.amdhsa_group_segment_fixed_size 0
		.amdhsa_private_segment_fixed_size 0
		.amdhsa_kernarg_size 352
		.amdhsa_user_sgpr_count 6
		.amdhsa_user_sgpr_private_segment_buffer 1
		.amdhsa_user_sgpr_dispatch_ptr 0
		.amdhsa_user_sgpr_queue_ptr 0
		.amdhsa_user_sgpr_kernarg_segment_ptr 1
		.amdhsa_user_sgpr_dispatch_id 0
		.amdhsa_user_sgpr_flat_scratch_init 0
		.amdhsa_user_sgpr_private_segment_size 0
		.amdhsa_wavefront_size32 1
		.amdhsa_uses_dynamic_stack 0
		.amdhsa_system_sgpr_private_segment_wavefront_offset 0
		.amdhsa_system_sgpr_workgroup_id_x 1
		.amdhsa_system_sgpr_workgroup_id_y 1
		.amdhsa_system_sgpr_workgroup_id_z 0
		.amdhsa_system_sgpr_workgroup_info 0
		.amdhsa_system_vgpr_workitem_id 1
		.amdhsa_next_free_vgpr 56
		.amdhsa_next_free_sgpr 18
		.amdhsa_reserve_vcc 1
		.amdhsa_reserve_flat_scratch 0
		.amdhsa_float_round_mode_32 0
		.amdhsa_float_round_mode_16_64 0
		.amdhsa_float_denorm_mode_32 3
		.amdhsa_float_denorm_mode_16_64 3
		.amdhsa_dx10_clamp 1
		.amdhsa_ieee_mode 1
		.amdhsa_fp16_overflow 0
		.amdhsa_workgroup_processor_mode 1
		.amdhsa_memory_ordered 1
		.amdhsa_forward_progress 1
		.amdhsa_shared_vgpr_count 0
		.amdhsa_exception_fp_ieee_invalid_op 0
		.amdhsa_exception_fp_denorm_src 0
		.amdhsa_exception_fp_ieee_div_zero 0
		.amdhsa_exception_fp_ieee_overflow 0
		.amdhsa_exception_fp_ieee_underflow 0
		.amdhsa_exception_fp_ieee_inexact 0
		.amdhsa_exception_int_div_zero 0
	.end_amdhsa_kernel
	.section	.text._ZN9rocsolver6v33100L18getf2_small_kernelILi7E19rocblas_complex_numIdEiiPS3_EEvT1_T3_lS5_lPS5_llPT2_S5_S5_S7_l,"axG",@progbits,_ZN9rocsolver6v33100L18getf2_small_kernelILi7E19rocblas_complex_numIdEiiPS3_EEvT1_T3_lS5_lPS5_llPT2_S5_S5_S7_l,comdat
.Lfunc_end12:
	.size	_ZN9rocsolver6v33100L18getf2_small_kernelILi7E19rocblas_complex_numIdEiiPS3_EEvT1_T3_lS5_lPS5_llPT2_S5_S5_S7_l, .Lfunc_end12-_ZN9rocsolver6v33100L18getf2_small_kernelILi7E19rocblas_complex_numIdEiiPS3_EEvT1_T3_lS5_lPS5_llPT2_S5_S5_S7_l
                                        ; -- End function
	.set _ZN9rocsolver6v33100L18getf2_small_kernelILi7E19rocblas_complex_numIdEiiPS3_EEvT1_T3_lS5_lPS5_llPT2_S5_S5_S7_l.num_vgpr, 56
	.set _ZN9rocsolver6v33100L18getf2_small_kernelILi7E19rocblas_complex_numIdEiiPS3_EEvT1_T3_lS5_lPS5_llPT2_S5_S5_S7_l.num_agpr, 0
	.set _ZN9rocsolver6v33100L18getf2_small_kernelILi7E19rocblas_complex_numIdEiiPS3_EEvT1_T3_lS5_lPS5_llPT2_S5_S5_S7_l.numbered_sgpr, 18
	.set _ZN9rocsolver6v33100L18getf2_small_kernelILi7E19rocblas_complex_numIdEiiPS3_EEvT1_T3_lS5_lPS5_llPT2_S5_S5_S7_l.num_named_barrier, 0
	.set _ZN9rocsolver6v33100L18getf2_small_kernelILi7E19rocblas_complex_numIdEiiPS3_EEvT1_T3_lS5_lPS5_llPT2_S5_S5_S7_l.private_seg_size, 0
	.set _ZN9rocsolver6v33100L18getf2_small_kernelILi7E19rocblas_complex_numIdEiiPS3_EEvT1_T3_lS5_lPS5_llPT2_S5_S5_S7_l.uses_vcc, 1
	.set _ZN9rocsolver6v33100L18getf2_small_kernelILi7E19rocblas_complex_numIdEiiPS3_EEvT1_T3_lS5_lPS5_llPT2_S5_S5_S7_l.uses_flat_scratch, 0
	.set _ZN9rocsolver6v33100L18getf2_small_kernelILi7E19rocblas_complex_numIdEiiPS3_EEvT1_T3_lS5_lPS5_llPT2_S5_S5_S7_l.has_dyn_sized_stack, 0
	.set _ZN9rocsolver6v33100L18getf2_small_kernelILi7E19rocblas_complex_numIdEiiPS3_EEvT1_T3_lS5_lPS5_llPT2_S5_S5_S7_l.has_recursion, 0
	.set _ZN9rocsolver6v33100L18getf2_small_kernelILi7E19rocblas_complex_numIdEiiPS3_EEvT1_T3_lS5_lPS5_llPT2_S5_S5_S7_l.has_indirect_call, 0
	.section	.AMDGPU.csdata,"",@progbits
; Kernel info:
; codeLenInByte = 9352
; TotalNumSgprs: 20
; NumVgprs: 56
; ScratchSize: 0
; MemoryBound: 0
; FloatMode: 240
; IeeeMode: 1
; LDSByteSize: 0 bytes/workgroup (compile time only)
; SGPRBlocks: 0
; VGPRBlocks: 6
; NumSGPRsForWavesPerEU: 20
; NumVGPRsForWavesPerEU: 56
; Occupancy: 16
; WaveLimiterHint : 0
; COMPUTE_PGM_RSRC2:SCRATCH_EN: 0
; COMPUTE_PGM_RSRC2:USER_SGPR: 6
; COMPUTE_PGM_RSRC2:TRAP_HANDLER: 0
; COMPUTE_PGM_RSRC2:TGID_X_EN: 1
; COMPUTE_PGM_RSRC2:TGID_Y_EN: 1
; COMPUTE_PGM_RSRC2:TGID_Z_EN: 0
; COMPUTE_PGM_RSRC2:TIDIG_COMP_CNT: 1
	.section	.text._ZN9rocsolver6v33100L23getf2_npvt_small_kernelILi7E19rocblas_complex_numIdEiiPS3_EEvT1_T3_lS5_lPT2_S5_S5_,"axG",@progbits,_ZN9rocsolver6v33100L23getf2_npvt_small_kernelILi7E19rocblas_complex_numIdEiiPS3_EEvT1_T3_lS5_lPT2_S5_S5_,comdat
	.globl	_ZN9rocsolver6v33100L23getf2_npvt_small_kernelILi7E19rocblas_complex_numIdEiiPS3_EEvT1_T3_lS5_lPT2_S5_S5_ ; -- Begin function _ZN9rocsolver6v33100L23getf2_npvt_small_kernelILi7E19rocblas_complex_numIdEiiPS3_EEvT1_T3_lS5_lPT2_S5_S5_
	.p2align	8
	.type	_ZN9rocsolver6v33100L23getf2_npvt_small_kernelILi7E19rocblas_complex_numIdEiiPS3_EEvT1_T3_lS5_lPT2_S5_S5_,@function
_ZN9rocsolver6v33100L23getf2_npvt_small_kernelILi7E19rocblas_complex_numIdEiiPS3_EEvT1_T3_lS5_lPT2_S5_S5_: ; @_ZN9rocsolver6v33100L23getf2_npvt_small_kernelILi7E19rocblas_complex_numIdEiiPS3_EEvT1_T3_lS5_lPT2_S5_S5_
; %bb.0:
	s_clause 0x1
	s_load_dword s0, s[4:5], 0x44
	s_load_dwordx2 s[12:13], s[4:5], 0x30
	s_waitcnt lgkmcnt(0)
	s_lshr_b32 s14, s0, 16
	s_mov_b32 s0, exec_lo
	v_mad_u64_u32 v[58:59], null, s7, s14, v[1:2]
	v_cmpx_gt_i32_e64 s12, v58
	s_cbranch_execz .LBB13_68
; %bb.1:
	s_clause 0x2
	s_load_dwordx4 s[8:11], s[4:5], 0x20
	s_load_dword s6, s[4:5], 0x18
	s_load_dwordx4 s[0:3], s[4:5], 0x8
	v_ashrrev_i32_e32 v59, 31, v58
	v_lshlrev_b32_e32 v12, 4, v0
	v_lshlrev_b32_e32 v30, 4, v1
	s_mulk_i32 s14, 0x70
	v_mad_u32_u24 v74, 0x70, v1, 0
	v_add3_u32 v1, 0, s14, v30
	s_waitcnt lgkmcnt(0)
	v_mul_lo_u32 v5, s9, v58
	v_mul_lo_u32 v7, s8, v59
	v_mad_u64_u32 v[2:3], null, s8, v58, 0
	v_add3_u32 v4, s6, s6, v0
	s_lshl_b64 s[2:3], s[2:3], 4
	s_ashr_i32 s7, s6, 31
	s_lshl_b64 s[4:5], s[6:7], 4
	v_add_nc_u32_e32 v6, s6, v4
	v_add3_u32 v3, v3, v7, v5
	v_ashrrev_i32_e32 v5, 31, v4
	v_add_nc_u32_e32 v8, s6, v6
	v_lshlrev_b64 v[2:3], 4, v[2:3]
	v_ashrrev_i32_e32 v7, 31, v6
	v_lshlrev_b64 v[4:5], 4, v[4:5]
	v_ashrrev_i32_e32 v9, 31, v8
	v_add_nc_u32_e32 v10, s6, v8
	v_add_co_u32 v13, vcc_lo, s0, v2
	v_add_co_ci_u32_e64 v14, null, s1, v3, vcc_lo
	v_lshlrev_b64 v[6:7], 4, v[6:7]
	v_add_co_u32 v13, vcc_lo, v13, s2
	v_add_co_ci_u32_e64 v14, null, s3, v14, vcc_lo
	v_lshlrev_b64 v[2:3], 4, v[8:9]
	v_add_nc_u32_e32 v8, s6, v10
	v_add_co_u32 v70, vcc_lo, v13, v12
	v_add_co_ci_u32_e64 v71, null, 0, v14, vcc_lo
	v_add_co_u32 v68, vcc_lo, v13, v4
	v_ashrrev_i32_e32 v11, 31, v10
	v_add_co_ci_u32_e64 v69, null, v14, v5, vcc_lo
	v_add_co_u32 v64, vcc_lo, v13, v6
	v_ashrrev_i32_e32 v9, 31, v8
	v_add_co_ci_u32_e64 v65, null, v14, v7, vcc_lo
	v_add_co_u32 v72, vcc_lo, v70, s4
	v_lshlrev_b64 v[10:11], 4, v[10:11]
	v_add_co_ci_u32_e64 v73, null, s5, v71, vcc_lo
	v_add_co_u32 v62, vcc_lo, v13, v2
	v_add_co_ci_u32_e64 v63, null, v14, v3, vcc_lo
	v_lshlrev_b64 v[2:3], 4, v[8:9]
	v_add_co_u32 v66, vcc_lo, v13, v10
	v_add_co_ci_u32_e64 v67, null, v14, v11, vcc_lo
	s_clause 0x1
	global_load_dwordx4 v[26:29], v[70:71], off
	global_load_dwordx4 v[22:25], v[72:73], off
	v_add_co_u32 v60, vcc_lo, v13, v2
	v_add_co_ci_u32_e64 v61, null, v14, v3, vcc_lo
	s_clause 0x4
	global_load_dwordx4 v[18:21], v[68:69], off
	global_load_dwordx4 v[14:17], v[64:65], off
	;; [unrolled: 1-line block ×5, first 2 shown]
	v_cmp_ne_u32_e64 s1, 0, v0
	v_cmp_eq_u32_e64 s0, 0, v0
	s_and_saveexec_b32 s3, s0
	s_cbranch_execz .LBB13_8
; %bb.2:
	s_waitcnt vmcnt(6)
	ds_write2_b64 v1, v[26:27], v[28:29] offset1:1
	s_waitcnt vmcnt(5)
	ds_write2_b64 v74, v[22:23], v[24:25] offset0:2 offset1:3
	s_waitcnt vmcnt(4)
	ds_write2_b64 v74, v[18:19], v[20:21] offset0:4 offset1:5
	s_waitcnt vmcnt(3)
	ds_write2_b64 v74, v[14:15], v[16:17] offset0:6 offset1:7
	s_waitcnt vmcnt(2)
	ds_write2_b64 v74, v[10:11], v[12:13] offset0:8 offset1:9
	s_waitcnt vmcnt(1)
	ds_write2_b64 v74, v[6:7], v[8:9] offset0:10 offset1:11
	s_waitcnt vmcnt(0)
	ds_write2_b64 v74, v[2:3], v[4:5] offset0:12 offset1:13
	ds_read2_b64 v[30:33], v1 offset1:1
	s_waitcnt lgkmcnt(0)
	v_cmp_neq_f64_e32 vcc_lo, 0, v[30:31]
	v_cmp_neq_f64_e64 s2, 0, v[32:33]
	s_or_b32 s2, vcc_lo, s2
	s_and_b32 exec_lo, exec_lo, s2
	s_cbranch_execz .LBB13_8
; %bb.3:
	v_cmp_ngt_f64_e64 s2, |v[30:31]|, |v[32:33]|
                                        ; implicit-def: $vgpr34_vgpr35
	s_and_saveexec_b32 s4, s2
	s_xor_b32 s2, exec_lo, s4
                                        ; implicit-def: $vgpr36_vgpr37
	s_cbranch_execz .LBB13_5
; %bb.4:
	v_div_scale_f64 v[34:35], null, v[32:33], v[32:33], v[30:31]
	v_div_scale_f64 v[40:41], vcc_lo, v[30:31], v[32:33], v[30:31]
	v_rcp_f64_e32 v[36:37], v[34:35]
	v_fma_f64 v[38:39], -v[34:35], v[36:37], 1.0
	v_fma_f64 v[36:37], v[36:37], v[38:39], v[36:37]
	v_fma_f64 v[38:39], -v[34:35], v[36:37], 1.0
	v_fma_f64 v[36:37], v[36:37], v[38:39], v[36:37]
	v_mul_f64 v[38:39], v[40:41], v[36:37]
	v_fma_f64 v[34:35], -v[34:35], v[38:39], v[40:41]
	v_div_fmas_f64 v[34:35], v[34:35], v[36:37], v[38:39]
	v_div_fixup_f64 v[34:35], v[34:35], v[32:33], v[30:31]
	v_fma_f64 v[30:31], v[30:31], v[34:35], v[32:33]
	v_div_scale_f64 v[32:33], null, v[30:31], v[30:31], 1.0
	v_rcp_f64_e32 v[36:37], v[32:33]
	v_fma_f64 v[38:39], -v[32:33], v[36:37], 1.0
	v_fma_f64 v[36:37], v[36:37], v[38:39], v[36:37]
	v_fma_f64 v[38:39], -v[32:33], v[36:37], 1.0
	v_fma_f64 v[36:37], v[36:37], v[38:39], v[36:37]
	v_div_scale_f64 v[38:39], vcc_lo, 1.0, v[30:31], 1.0
	v_mul_f64 v[40:41], v[38:39], v[36:37]
	v_fma_f64 v[32:33], -v[32:33], v[40:41], v[38:39]
	v_div_fmas_f64 v[32:33], v[32:33], v[36:37], v[40:41]
	v_div_fixup_f64 v[36:37], v[32:33], v[30:31], 1.0
                                        ; implicit-def: $vgpr30_vgpr31
	v_mul_f64 v[34:35], v[34:35], v[36:37]
	v_xor_b32_e32 v37, 0x80000000, v37
.LBB13_5:
	s_andn2_saveexec_b32 s2, s2
	s_cbranch_execz .LBB13_7
; %bb.6:
	v_div_scale_f64 v[34:35], null, v[30:31], v[30:31], v[32:33]
	v_div_scale_f64 v[40:41], vcc_lo, v[32:33], v[30:31], v[32:33]
	v_rcp_f64_e32 v[36:37], v[34:35]
	v_fma_f64 v[38:39], -v[34:35], v[36:37], 1.0
	v_fma_f64 v[36:37], v[36:37], v[38:39], v[36:37]
	v_fma_f64 v[38:39], -v[34:35], v[36:37], 1.0
	v_fma_f64 v[36:37], v[36:37], v[38:39], v[36:37]
	v_mul_f64 v[38:39], v[40:41], v[36:37]
	v_fma_f64 v[34:35], -v[34:35], v[38:39], v[40:41]
	v_div_fmas_f64 v[34:35], v[34:35], v[36:37], v[38:39]
	v_div_fixup_f64 v[36:37], v[34:35], v[30:31], v[32:33]
	v_fma_f64 v[30:31], v[32:33], v[36:37], v[30:31]
	v_div_scale_f64 v[32:33], null, v[30:31], v[30:31], 1.0
	v_rcp_f64_e32 v[34:35], v[32:33]
	v_fma_f64 v[38:39], -v[32:33], v[34:35], 1.0
	v_fma_f64 v[34:35], v[34:35], v[38:39], v[34:35]
	v_fma_f64 v[38:39], -v[32:33], v[34:35], 1.0
	v_fma_f64 v[34:35], v[34:35], v[38:39], v[34:35]
	v_div_scale_f64 v[38:39], vcc_lo, 1.0, v[30:31], 1.0
	v_mul_f64 v[40:41], v[38:39], v[34:35]
	v_fma_f64 v[32:33], -v[32:33], v[40:41], v[38:39]
	v_div_fmas_f64 v[32:33], v[32:33], v[34:35], v[40:41]
	v_div_fixup_f64 v[34:35], v[32:33], v[30:31], 1.0
	v_mul_f64 v[36:37], v[36:37], -v[34:35]
.LBB13_7:
	s_or_b32 exec_lo, exec_lo, s2
	ds_write2_b64 v1, v[34:35], v[36:37] offset1:1
.LBB13_8:
	s_or_b32 exec_lo, exec_lo, s3
	s_waitcnt vmcnt(0) lgkmcnt(0)
	s_barrier
	buffer_gl0_inv
	ds_read2_b64 v[30:33], v1 offset1:1
	s_and_saveexec_b32 s2, s1
	s_cbranch_execz .LBB13_10
; %bb.9:
	s_waitcnt lgkmcnt(0)
	v_mul_f64 v[34:35], v[30:31], v[28:29]
	v_mul_f64 v[28:29], v[32:33], v[28:29]
	v_fma_f64 v[38:39], v[32:33], v[26:27], v[34:35]
	ds_read2_b64 v[34:37], v74 offset0:2 offset1:3
	v_fma_f64 v[26:27], v[30:31], v[26:27], -v[28:29]
	s_waitcnt lgkmcnt(0)
	v_mul_f64 v[28:29], v[36:37], v[38:39]
	v_fma_f64 v[28:29], v[34:35], v[26:27], -v[28:29]
	v_mul_f64 v[34:35], v[34:35], v[38:39]
	v_add_f64 v[22:23], v[22:23], -v[28:29]
	v_fma_f64 v[34:35], v[36:37], v[26:27], v[34:35]
	v_add_f64 v[24:25], v[24:25], -v[34:35]
	ds_read2_b64 v[34:37], v74 offset0:4 offset1:5
	s_waitcnt lgkmcnt(0)
	v_mul_f64 v[28:29], v[36:37], v[38:39]
	v_fma_f64 v[28:29], v[34:35], v[26:27], -v[28:29]
	v_mul_f64 v[34:35], v[34:35], v[38:39]
	v_add_f64 v[18:19], v[18:19], -v[28:29]
	v_fma_f64 v[34:35], v[36:37], v[26:27], v[34:35]
	v_add_f64 v[20:21], v[20:21], -v[34:35]
	ds_read2_b64 v[34:37], v74 offset0:6 offset1:7
	;; [unrolled: 8-line block ×5, first 2 shown]
	s_waitcnt lgkmcnt(0)
	v_mul_f64 v[28:29], v[36:37], v[38:39]
	v_fma_f64 v[28:29], v[34:35], v[26:27], -v[28:29]
	v_mul_f64 v[34:35], v[34:35], v[38:39]
	v_add_f64 v[2:3], v[2:3], -v[28:29]
	v_fma_f64 v[34:35], v[36:37], v[26:27], v[34:35]
	v_mov_b32_e32 v28, v38
	v_mov_b32_e32 v29, v39
	v_add_f64 v[4:5], v[4:5], -v[34:35]
.LBB13_10:
	s_or_b32 exec_lo, exec_lo, s2
	s_mov_b32 s2, exec_lo
	s_waitcnt lgkmcnt(0)
	s_barrier
	buffer_gl0_inv
	v_cmpx_eq_u32_e32 1, v0
	s_cbranch_execz .LBB13_17
; %bb.11:
	ds_write2_b64 v1, v[22:23], v[24:25] offset1:1
	ds_write2_b64 v74, v[18:19], v[20:21] offset0:4 offset1:5
	ds_write2_b64 v74, v[14:15], v[16:17] offset0:6 offset1:7
	;; [unrolled: 1-line block ×5, first 2 shown]
	ds_read2_b64 v[34:37], v1 offset1:1
	s_waitcnt lgkmcnt(0)
	v_cmp_neq_f64_e32 vcc_lo, 0, v[34:35]
	v_cmp_neq_f64_e64 s1, 0, v[36:37]
	s_or_b32 s1, vcc_lo, s1
	s_and_b32 exec_lo, exec_lo, s1
	s_cbranch_execz .LBB13_17
; %bb.12:
	v_cmp_ngt_f64_e64 s1, |v[34:35]|, |v[36:37]|
                                        ; implicit-def: $vgpr38_vgpr39
	s_and_saveexec_b32 s3, s1
	s_xor_b32 s1, exec_lo, s3
                                        ; implicit-def: $vgpr40_vgpr41
	s_cbranch_execz .LBB13_14
; %bb.13:
	v_div_scale_f64 v[38:39], null, v[36:37], v[36:37], v[34:35]
	v_div_scale_f64 v[44:45], vcc_lo, v[34:35], v[36:37], v[34:35]
	v_rcp_f64_e32 v[40:41], v[38:39]
	v_fma_f64 v[42:43], -v[38:39], v[40:41], 1.0
	v_fma_f64 v[40:41], v[40:41], v[42:43], v[40:41]
	v_fma_f64 v[42:43], -v[38:39], v[40:41], 1.0
	v_fma_f64 v[40:41], v[40:41], v[42:43], v[40:41]
	v_mul_f64 v[42:43], v[44:45], v[40:41]
	v_fma_f64 v[38:39], -v[38:39], v[42:43], v[44:45]
	v_div_fmas_f64 v[38:39], v[38:39], v[40:41], v[42:43]
	v_div_fixup_f64 v[38:39], v[38:39], v[36:37], v[34:35]
	v_fma_f64 v[34:35], v[34:35], v[38:39], v[36:37]
	v_div_scale_f64 v[36:37], null, v[34:35], v[34:35], 1.0
	v_rcp_f64_e32 v[40:41], v[36:37]
	v_fma_f64 v[42:43], -v[36:37], v[40:41], 1.0
	v_fma_f64 v[40:41], v[40:41], v[42:43], v[40:41]
	v_fma_f64 v[42:43], -v[36:37], v[40:41], 1.0
	v_fma_f64 v[40:41], v[40:41], v[42:43], v[40:41]
	v_div_scale_f64 v[42:43], vcc_lo, 1.0, v[34:35], 1.0
	v_mul_f64 v[44:45], v[42:43], v[40:41]
	v_fma_f64 v[36:37], -v[36:37], v[44:45], v[42:43]
	v_div_fmas_f64 v[36:37], v[36:37], v[40:41], v[44:45]
	v_div_fixup_f64 v[40:41], v[36:37], v[34:35], 1.0
                                        ; implicit-def: $vgpr34_vgpr35
	v_mul_f64 v[38:39], v[38:39], v[40:41]
	v_xor_b32_e32 v41, 0x80000000, v41
.LBB13_14:
	s_andn2_saveexec_b32 s1, s1
	s_cbranch_execz .LBB13_16
; %bb.15:
	v_div_scale_f64 v[38:39], null, v[34:35], v[34:35], v[36:37]
	v_div_scale_f64 v[44:45], vcc_lo, v[36:37], v[34:35], v[36:37]
	v_rcp_f64_e32 v[40:41], v[38:39]
	v_fma_f64 v[42:43], -v[38:39], v[40:41], 1.0
	v_fma_f64 v[40:41], v[40:41], v[42:43], v[40:41]
	v_fma_f64 v[42:43], -v[38:39], v[40:41], 1.0
	v_fma_f64 v[40:41], v[40:41], v[42:43], v[40:41]
	v_mul_f64 v[42:43], v[44:45], v[40:41]
	v_fma_f64 v[38:39], -v[38:39], v[42:43], v[44:45]
	v_div_fmas_f64 v[38:39], v[38:39], v[40:41], v[42:43]
	v_div_fixup_f64 v[40:41], v[38:39], v[34:35], v[36:37]
	v_fma_f64 v[34:35], v[36:37], v[40:41], v[34:35]
	v_div_scale_f64 v[36:37], null, v[34:35], v[34:35], 1.0
	v_rcp_f64_e32 v[38:39], v[36:37]
	v_fma_f64 v[42:43], -v[36:37], v[38:39], 1.0
	v_fma_f64 v[38:39], v[38:39], v[42:43], v[38:39]
	v_fma_f64 v[42:43], -v[36:37], v[38:39], 1.0
	v_fma_f64 v[38:39], v[38:39], v[42:43], v[38:39]
	v_div_scale_f64 v[42:43], vcc_lo, 1.0, v[34:35], 1.0
	v_mul_f64 v[44:45], v[42:43], v[38:39]
	v_fma_f64 v[36:37], -v[36:37], v[44:45], v[42:43]
	v_div_fmas_f64 v[36:37], v[36:37], v[38:39], v[44:45]
	v_div_fixup_f64 v[38:39], v[36:37], v[34:35], 1.0
	v_mul_f64 v[40:41], v[40:41], -v[38:39]
.LBB13_16:
	s_or_b32 exec_lo, exec_lo, s1
	ds_write2_b64 v1, v[38:39], v[40:41] offset1:1
.LBB13_17:
	s_or_b32 exec_lo, exec_lo, s2
	s_waitcnt lgkmcnt(0)
	s_barrier
	buffer_gl0_inv
	ds_read2_b64 v[34:37], v1 offset1:1
	s_mov_b32 s1, exec_lo
	v_cmpx_lt_u32_e32 1, v0
	s_cbranch_execz .LBB13_19
; %bb.18:
	s_waitcnt lgkmcnt(0)
	v_mul_f64 v[38:39], v[34:35], v[24:25]
	v_mul_f64 v[24:25], v[36:37], v[24:25]
	v_fma_f64 v[42:43], v[36:37], v[22:23], v[38:39]
	ds_read2_b64 v[38:41], v74 offset0:4 offset1:5
	v_fma_f64 v[22:23], v[34:35], v[22:23], -v[24:25]
	s_waitcnt lgkmcnt(0)
	v_mul_f64 v[24:25], v[40:41], v[42:43]
	v_fma_f64 v[24:25], v[38:39], v[22:23], -v[24:25]
	v_mul_f64 v[38:39], v[38:39], v[42:43]
	v_add_f64 v[18:19], v[18:19], -v[24:25]
	v_fma_f64 v[38:39], v[40:41], v[22:23], v[38:39]
	v_add_f64 v[20:21], v[20:21], -v[38:39]
	ds_read2_b64 v[38:41], v74 offset0:6 offset1:7
	s_waitcnt lgkmcnt(0)
	v_mul_f64 v[24:25], v[40:41], v[42:43]
	v_fma_f64 v[24:25], v[38:39], v[22:23], -v[24:25]
	v_mul_f64 v[38:39], v[38:39], v[42:43]
	v_add_f64 v[14:15], v[14:15], -v[24:25]
	v_fma_f64 v[38:39], v[40:41], v[22:23], v[38:39]
	v_add_f64 v[16:17], v[16:17], -v[38:39]
	ds_read2_b64 v[38:41], v74 offset0:8 offset1:9
	;; [unrolled: 8-line block ×4, first 2 shown]
	s_waitcnt lgkmcnt(0)
	v_mul_f64 v[24:25], v[40:41], v[42:43]
	v_fma_f64 v[24:25], v[38:39], v[22:23], -v[24:25]
	v_mul_f64 v[38:39], v[38:39], v[42:43]
	v_add_f64 v[2:3], v[2:3], -v[24:25]
	v_fma_f64 v[38:39], v[40:41], v[22:23], v[38:39]
	v_mov_b32_e32 v24, v42
	v_mov_b32_e32 v25, v43
	v_add_f64 v[4:5], v[4:5], -v[38:39]
.LBB13_19:
	s_or_b32 exec_lo, exec_lo, s1
	s_mov_b32 s2, exec_lo
	s_waitcnt lgkmcnt(0)
	s_barrier
	buffer_gl0_inv
	v_cmpx_eq_u32_e32 2, v0
	s_cbranch_execz .LBB13_26
; %bb.20:
	ds_write2_b64 v1, v[18:19], v[20:21] offset1:1
	ds_write2_b64 v74, v[14:15], v[16:17] offset0:6 offset1:7
	ds_write2_b64 v74, v[10:11], v[12:13] offset0:8 offset1:9
	;; [unrolled: 1-line block ×4, first 2 shown]
	ds_read2_b64 v[38:41], v1 offset1:1
	s_waitcnt lgkmcnt(0)
	v_cmp_neq_f64_e32 vcc_lo, 0, v[38:39]
	v_cmp_neq_f64_e64 s1, 0, v[40:41]
	s_or_b32 s1, vcc_lo, s1
	s_and_b32 exec_lo, exec_lo, s1
	s_cbranch_execz .LBB13_26
; %bb.21:
	v_cmp_ngt_f64_e64 s1, |v[38:39]|, |v[40:41]|
                                        ; implicit-def: $vgpr42_vgpr43
	s_and_saveexec_b32 s3, s1
	s_xor_b32 s1, exec_lo, s3
                                        ; implicit-def: $vgpr44_vgpr45
	s_cbranch_execz .LBB13_23
; %bb.22:
	v_div_scale_f64 v[42:43], null, v[40:41], v[40:41], v[38:39]
	v_div_scale_f64 v[48:49], vcc_lo, v[38:39], v[40:41], v[38:39]
	v_rcp_f64_e32 v[44:45], v[42:43]
	v_fma_f64 v[46:47], -v[42:43], v[44:45], 1.0
	v_fma_f64 v[44:45], v[44:45], v[46:47], v[44:45]
	v_fma_f64 v[46:47], -v[42:43], v[44:45], 1.0
	v_fma_f64 v[44:45], v[44:45], v[46:47], v[44:45]
	v_mul_f64 v[46:47], v[48:49], v[44:45]
	v_fma_f64 v[42:43], -v[42:43], v[46:47], v[48:49]
	v_div_fmas_f64 v[42:43], v[42:43], v[44:45], v[46:47]
	v_div_fixup_f64 v[42:43], v[42:43], v[40:41], v[38:39]
	v_fma_f64 v[38:39], v[38:39], v[42:43], v[40:41]
	v_div_scale_f64 v[40:41], null, v[38:39], v[38:39], 1.0
	v_rcp_f64_e32 v[44:45], v[40:41]
	v_fma_f64 v[46:47], -v[40:41], v[44:45], 1.0
	v_fma_f64 v[44:45], v[44:45], v[46:47], v[44:45]
	v_fma_f64 v[46:47], -v[40:41], v[44:45], 1.0
	v_fma_f64 v[44:45], v[44:45], v[46:47], v[44:45]
	v_div_scale_f64 v[46:47], vcc_lo, 1.0, v[38:39], 1.0
	v_mul_f64 v[48:49], v[46:47], v[44:45]
	v_fma_f64 v[40:41], -v[40:41], v[48:49], v[46:47]
	v_div_fmas_f64 v[40:41], v[40:41], v[44:45], v[48:49]
	v_div_fixup_f64 v[44:45], v[40:41], v[38:39], 1.0
                                        ; implicit-def: $vgpr38_vgpr39
	v_mul_f64 v[42:43], v[42:43], v[44:45]
	v_xor_b32_e32 v45, 0x80000000, v45
.LBB13_23:
	s_andn2_saveexec_b32 s1, s1
	s_cbranch_execz .LBB13_25
; %bb.24:
	v_div_scale_f64 v[42:43], null, v[38:39], v[38:39], v[40:41]
	v_div_scale_f64 v[48:49], vcc_lo, v[40:41], v[38:39], v[40:41]
	v_rcp_f64_e32 v[44:45], v[42:43]
	v_fma_f64 v[46:47], -v[42:43], v[44:45], 1.0
	v_fma_f64 v[44:45], v[44:45], v[46:47], v[44:45]
	v_fma_f64 v[46:47], -v[42:43], v[44:45], 1.0
	v_fma_f64 v[44:45], v[44:45], v[46:47], v[44:45]
	v_mul_f64 v[46:47], v[48:49], v[44:45]
	v_fma_f64 v[42:43], -v[42:43], v[46:47], v[48:49]
	v_div_fmas_f64 v[42:43], v[42:43], v[44:45], v[46:47]
	v_div_fixup_f64 v[44:45], v[42:43], v[38:39], v[40:41]
	v_fma_f64 v[38:39], v[40:41], v[44:45], v[38:39]
	v_div_scale_f64 v[40:41], null, v[38:39], v[38:39], 1.0
	v_rcp_f64_e32 v[42:43], v[40:41]
	v_fma_f64 v[46:47], -v[40:41], v[42:43], 1.0
	v_fma_f64 v[42:43], v[42:43], v[46:47], v[42:43]
	v_fma_f64 v[46:47], -v[40:41], v[42:43], 1.0
	v_fma_f64 v[42:43], v[42:43], v[46:47], v[42:43]
	v_div_scale_f64 v[46:47], vcc_lo, 1.0, v[38:39], 1.0
	v_mul_f64 v[48:49], v[46:47], v[42:43]
	v_fma_f64 v[40:41], -v[40:41], v[48:49], v[46:47]
	v_div_fmas_f64 v[40:41], v[40:41], v[42:43], v[48:49]
	v_div_fixup_f64 v[42:43], v[40:41], v[38:39], 1.0
	v_mul_f64 v[44:45], v[44:45], -v[42:43]
.LBB13_25:
	s_or_b32 exec_lo, exec_lo, s1
	ds_write2_b64 v1, v[42:43], v[44:45] offset1:1
.LBB13_26:
	s_or_b32 exec_lo, exec_lo, s2
	s_waitcnt lgkmcnt(0)
	s_barrier
	buffer_gl0_inv
	ds_read2_b64 v[38:41], v1 offset1:1
	s_mov_b32 s1, exec_lo
	v_cmpx_lt_u32_e32 2, v0
	s_cbranch_execz .LBB13_28
; %bb.27:
	s_waitcnt lgkmcnt(0)
	v_mul_f64 v[42:43], v[38:39], v[20:21]
	v_mul_f64 v[20:21], v[40:41], v[20:21]
	v_fma_f64 v[46:47], v[40:41], v[18:19], v[42:43]
	ds_read2_b64 v[42:45], v74 offset0:6 offset1:7
	v_fma_f64 v[18:19], v[38:39], v[18:19], -v[20:21]
	s_waitcnt lgkmcnt(0)
	v_mul_f64 v[20:21], v[44:45], v[46:47]
	v_fma_f64 v[20:21], v[42:43], v[18:19], -v[20:21]
	v_mul_f64 v[42:43], v[42:43], v[46:47]
	v_add_f64 v[14:15], v[14:15], -v[20:21]
	v_fma_f64 v[42:43], v[44:45], v[18:19], v[42:43]
	v_add_f64 v[16:17], v[16:17], -v[42:43]
	ds_read2_b64 v[42:45], v74 offset0:8 offset1:9
	s_waitcnt lgkmcnt(0)
	v_mul_f64 v[20:21], v[44:45], v[46:47]
	v_fma_f64 v[20:21], v[42:43], v[18:19], -v[20:21]
	v_mul_f64 v[42:43], v[42:43], v[46:47]
	v_add_f64 v[10:11], v[10:11], -v[20:21]
	v_fma_f64 v[42:43], v[44:45], v[18:19], v[42:43]
	v_add_f64 v[12:13], v[12:13], -v[42:43]
	ds_read2_b64 v[42:45], v74 offset0:10 offset1:11
	;; [unrolled: 8-line block ×3, first 2 shown]
	s_waitcnt lgkmcnt(0)
	v_mul_f64 v[20:21], v[44:45], v[46:47]
	v_fma_f64 v[20:21], v[42:43], v[18:19], -v[20:21]
	v_mul_f64 v[42:43], v[42:43], v[46:47]
	v_add_f64 v[2:3], v[2:3], -v[20:21]
	v_fma_f64 v[42:43], v[44:45], v[18:19], v[42:43]
	v_mov_b32_e32 v20, v46
	v_mov_b32_e32 v21, v47
	v_add_f64 v[4:5], v[4:5], -v[42:43]
.LBB13_28:
	s_or_b32 exec_lo, exec_lo, s1
	s_mov_b32 s2, exec_lo
	s_waitcnt lgkmcnt(0)
	s_barrier
	buffer_gl0_inv
	v_cmpx_eq_u32_e32 3, v0
	s_cbranch_execz .LBB13_35
; %bb.29:
	ds_write2_b64 v1, v[14:15], v[16:17] offset1:1
	ds_write2_b64 v74, v[10:11], v[12:13] offset0:8 offset1:9
	ds_write2_b64 v74, v[6:7], v[8:9] offset0:10 offset1:11
	ds_write2_b64 v74, v[2:3], v[4:5] offset0:12 offset1:13
	ds_read2_b64 v[42:45], v1 offset1:1
	s_waitcnt lgkmcnt(0)
	v_cmp_neq_f64_e32 vcc_lo, 0, v[42:43]
	v_cmp_neq_f64_e64 s1, 0, v[44:45]
	s_or_b32 s1, vcc_lo, s1
	s_and_b32 exec_lo, exec_lo, s1
	s_cbranch_execz .LBB13_35
; %bb.30:
	v_cmp_ngt_f64_e64 s1, |v[42:43]|, |v[44:45]|
                                        ; implicit-def: $vgpr46_vgpr47
	s_and_saveexec_b32 s3, s1
	s_xor_b32 s1, exec_lo, s3
                                        ; implicit-def: $vgpr48_vgpr49
	s_cbranch_execz .LBB13_32
; %bb.31:
	v_div_scale_f64 v[46:47], null, v[44:45], v[44:45], v[42:43]
	v_div_scale_f64 v[52:53], vcc_lo, v[42:43], v[44:45], v[42:43]
	v_rcp_f64_e32 v[48:49], v[46:47]
	v_fma_f64 v[50:51], -v[46:47], v[48:49], 1.0
	v_fma_f64 v[48:49], v[48:49], v[50:51], v[48:49]
	v_fma_f64 v[50:51], -v[46:47], v[48:49], 1.0
	v_fma_f64 v[48:49], v[48:49], v[50:51], v[48:49]
	v_mul_f64 v[50:51], v[52:53], v[48:49]
	v_fma_f64 v[46:47], -v[46:47], v[50:51], v[52:53]
	v_div_fmas_f64 v[46:47], v[46:47], v[48:49], v[50:51]
	v_div_fixup_f64 v[46:47], v[46:47], v[44:45], v[42:43]
	v_fma_f64 v[42:43], v[42:43], v[46:47], v[44:45]
	v_div_scale_f64 v[44:45], null, v[42:43], v[42:43], 1.0
	v_rcp_f64_e32 v[48:49], v[44:45]
	v_fma_f64 v[50:51], -v[44:45], v[48:49], 1.0
	v_fma_f64 v[48:49], v[48:49], v[50:51], v[48:49]
	v_fma_f64 v[50:51], -v[44:45], v[48:49], 1.0
	v_fma_f64 v[48:49], v[48:49], v[50:51], v[48:49]
	v_div_scale_f64 v[50:51], vcc_lo, 1.0, v[42:43], 1.0
	v_mul_f64 v[52:53], v[50:51], v[48:49]
	v_fma_f64 v[44:45], -v[44:45], v[52:53], v[50:51]
	v_div_fmas_f64 v[44:45], v[44:45], v[48:49], v[52:53]
	v_div_fixup_f64 v[48:49], v[44:45], v[42:43], 1.0
                                        ; implicit-def: $vgpr42_vgpr43
	v_mul_f64 v[46:47], v[46:47], v[48:49]
	v_xor_b32_e32 v49, 0x80000000, v49
.LBB13_32:
	s_andn2_saveexec_b32 s1, s1
	s_cbranch_execz .LBB13_34
; %bb.33:
	v_div_scale_f64 v[46:47], null, v[42:43], v[42:43], v[44:45]
	v_div_scale_f64 v[52:53], vcc_lo, v[44:45], v[42:43], v[44:45]
	v_rcp_f64_e32 v[48:49], v[46:47]
	v_fma_f64 v[50:51], -v[46:47], v[48:49], 1.0
	v_fma_f64 v[48:49], v[48:49], v[50:51], v[48:49]
	v_fma_f64 v[50:51], -v[46:47], v[48:49], 1.0
	v_fma_f64 v[48:49], v[48:49], v[50:51], v[48:49]
	v_mul_f64 v[50:51], v[52:53], v[48:49]
	v_fma_f64 v[46:47], -v[46:47], v[50:51], v[52:53]
	v_div_fmas_f64 v[46:47], v[46:47], v[48:49], v[50:51]
	v_div_fixup_f64 v[48:49], v[46:47], v[42:43], v[44:45]
	v_fma_f64 v[42:43], v[44:45], v[48:49], v[42:43]
	v_div_scale_f64 v[44:45], null, v[42:43], v[42:43], 1.0
	v_rcp_f64_e32 v[46:47], v[44:45]
	v_fma_f64 v[50:51], -v[44:45], v[46:47], 1.0
	v_fma_f64 v[46:47], v[46:47], v[50:51], v[46:47]
	v_fma_f64 v[50:51], -v[44:45], v[46:47], 1.0
	v_fma_f64 v[46:47], v[46:47], v[50:51], v[46:47]
	v_div_scale_f64 v[50:51], vcc_lo, 1.0, v[42:43], 1.0
	v_mul_f64 v[52:53], v[50:51], v[46:47]
	v_fma_f64 v[44:45], -v[44:45], v[52:53], v[50:51]
	v_div_fmas_f64 v[44:45], v[44:45], v[46:47], v[52:53]
	v_div_fixup_f64 v[46:47], v[44:45], v[42:43], 1.0
	v_mul_f64 v[48:49], v[48:49], -v[46:47]
.LBB13_34:
	s_or_b32 exec_lo, exec_lo, s1
	ds_write2_b64 v1, v[46:47], v[48:49] offset1:1
.LBB13_35:
	s_or_b32 exec_lo, exec_lo, s2
	s_waitcnt lgkmcnt(0)
	s_barrier
	buffer_gl0_inv
	ds_read2_b64 v[42:45], v1 offset1:1
	s_mov_b32 s1, exec_lo
	v_cmpx_lt_u32_e32 3, v0
	s_cbranch_execz .LBB13_37
; %bb.36:
	s_waitcnt lgkmcnt(0)
	v_mul_f64 v[46:47], v[42:43], v[16:17]
	v_mul_f64 v[16:17], v[44:45], v[16:17]
	v_fma_f64 v[50:51], v[44:45], v[14:15], v[46:47]
	ds_read2_b64 v[46:49], v74 offset0:8 offset1:9
	v_fma_f64 v[14:15], v[42:43], v[14:15], -v[16:17]
	s_waitcnt lgkmcnt(0)
	v_mul_f64 v[16:17], v[48:49], v[50:51]
	v_fma_f64 v[16:17], v[46:47], v[14:15], -v[16:17]
	v_mul_f64 v[46:47], v[46:47], v[50:51]
	v_add_f64 v[10:11], v[10:11], -v[16:17]
	v_fma_f64 v[46:47], v[48:49], v[14:15], v[46:47]
	v_add_f64 v[12:13], v[12:13], -v[46:47]
	ds_read2_b64 v[46:49], v74 offset0:10 offset1:11
	s_waitcnt lgkmcnt(0)
	v_mul_f64 v[16:17], v[48:49], v[50:51]
	v_fma_f64 v[16:17], v[46:47], v[14:15], -v[16:17]
	v_mul_f64 v[46:47], v[46:47], v[50:51]
	v_add_f64 v[6:7], v[6:7], -v[16:17]
	v_fma_f64 v[46:47], v[48:49], v[14:15], v[46:47]
	v_add_f64 v[8:9], v[8:9], -v[46:47]
	ds_read2_b64 v[46:49], v74 offset0:12 offset1:13
	s_waitcnt lgkmcnt(0)
	v_mul_f64 v[16:17], v[48:49], v[50:51]
	v_fma_f64 v[16:17], v[46:47], v[14:15], -v[16:17]
	v_mul_f64 v[46:47], v[46:47], v[50:51]
	v_add_f64 v[2:3], v[2:3], -v[16:17]
	v_fma_f64 v[46:47], v[48:49], v[14:15], v[46:47]
	v_mov_b32_e32 v16, v50
	v_mov_b32_e32 v17, v51
	v_add_f64 v[4:5], v[4:5], -v[46:47]
.LBB13_37:
	s_or_b32 exec_lo, exec_lo, s1
	s_mov_b32 s2, exec_lo
	s_waitcnt lgkmcnt(0)
	s_barrier
	buffer_gl0_inv
	v_cmpx_eq_u32_e32 4, v0
	s_cbranch_execz .LBB13_44
; %bb.38:
	ds_write2_b64 v1, v[10:11], v[12:13] offset1:1
	ds_write2_b64 v74, v[6:7], v[8:9] offset0:10 offset1:11
	ds_write2_b64 v74, v[2:3], v[4:5] offset0:12 offset1:13
	ds_read2_b64 v[46:49], v1 offset1:1
	s_waitcnt lgkmcnt(0)
	v_cmp_neq_f64_e32 vcc_lo, 0, v[46:47]
	v_cmp_neq_f64_e64 s1, 0, v[48:49]
	s_or_b32 s1, vcc_lo, s1
	s_and_b32 exec_lo, exec_lo, s1
	s_cbranch_execz .LBB13_44
; %bb.39:
	v_cmp_ngt_f64_e64 s1, |v[46:47]|, |v[48:49]|
                                        ; implicit-def: $vgpr50_vgpr51
	s_and_saveexec_b32 s3, s1
	s_xor_b32 s1, exec_lo, s3
                                        ; implicit-def: $vgpr52_vgpr53
	s_cbranch_execz .LBB13_41
; %bb.40:
	v_div_scale_f64 v[50:51], null, v[48:49], v[48:49], v[46:47]
	v_div_scale_f64 v[56:57], vcc_lo, v[46:47], v[48:49], v[46:47]
	v_rcp_f64_e32 v[52:53], v[50:51]
	v_fma_f64 v[54:55], -v[50:51], v[52:53], 1.0
	v_fma_f64 v[52:53], v[52:53], v[54:55], v[52:53]
	v_fma_f64 v[54:55], -v[50:51], v[52:53], 1.0
	v_fma_f64 v[52:53], v[52:53], v[54:55], v[52:53]
	v_mul_f64 v[54:55], v[56:57], v[52:53]
	v_fma_f64 v[50:51], -v[50:51], v[54:55], v[56:57]
	v_div_fmas_f64 v[50:51], v[50:51], v[52:53], v[54:55]
	v_div_fixup_f64 v[50:51], v[50:51], v[48:49], v[46:47]
	v_fma_f64 v[46:47], v[46:47], v[50:51], v[48:49]
	v_div_scale_f64 v[48:49], null, v[46:47], v[46:47], 1.0
	v_rcp_f64_e32 v[52:53], v[48:49]
	v_fma_f64 v[54:55], -v[48:49], v[52:53], 1.0
	v_fma_f64 v[52:53], v[52:53], v[54:55], v[52:53]
	v_fma_f64 v[54:55], -v[48:49], v[52:53], 1.0
	v_fma_f64 v[52:53], v[52:53], v[54:55], v[52:53]
	v_div_scale_f64 v[54:55], vcc_lo, 1.0, v[46:47], 1.0
	v_mul_f64 v[56:57], v[54:55], v[52:53]
	v_fma_f64 v[48:49], -v[48:49], v[56:57], v[54:55]
	v_div_fmas_f64 v[48:49], v[48:49], v[52:53], v[56:57]
	v_div_fixup_f64 v[52:53], v[48:49], v[46:47], 1.0
                                        ; implicit-def: $vgpr46_vgpr47
	v_mul_f64 v[50:51], v[50:51], v[52:53]
	v_xor_b32_e32 v53, 0x80000000, v53
.LBB13_41:
	s_andn2_saveexec_b32 s1, s1
	s_cbranch_execz .LBB13_43
; %bb.42:
	v_div_scale_f64 v[50:51], null, v[46:47], v[46:47], v[48:49]
	v_div_scale_f64 v[56:57], vcc_lo, v[48:49], v[46:47], v[48:49]
	v_rcp_f64_e32 v[52:53], v[50:51]
	v_fma_f64 v[54:55], -v[50:51], v[52:53], 1.0
	v_fma_f64 v[52:53], v[52:53], v[54:55], v[52:53]
	v_fma_f64 v[54:55], -v[50:51], v[52:53], 1.0
	v_fma_f64 v[52:53], v[52:53], v[54:55], v[52:53]
	v_mul_f64 v[54:55], v[56:57], v[52:53]
	v_fma_f64 v[50:51], -v[50:51], v[54:55], v[56:57]
	v_div_fmas_f64 v[50:51], v[50:51], v[52:53], v[54:55]
	v_div_fixup_f64 v[52:53], v[50:51], v[46:47], v[48:49]
	v_fma_f64 v[46:47], v[48:49], v[52:53], v[46:47]
	v_div_scale_f64 v[48:49], null, v[46:47], v[46:47], 1.0
	v_rcp_f64_e32 v[50:51], v[48:49]
	v_fma_f64 v[54:55], -v[48:49], v[50:51], 1.0
	v_fma_f64 v[50:51], v[50:51], v[54:55], v[50:51]
	v_fma_f64 v[54:55], -v[48:49], v[50:51], 1.0
	v_fma_f64 v[50:51], v[50:51], v[54:55], v[50:51]
	v_div_scale_f64 v[54:55], vcc_lo, 1.0, v[46:47], 1.0
	v_mul_f64 v[56:57], v[54:55], v[50:51]
	v_fma_f64 v[48:49], -v[48:49], v[56:57], v[54:55]
	v_div_fmas_f64 v[48:49], v[48:49], v[50:51], v[56:57]
	v_div_fixup_f64 v[50:51], v[48:49], v[46:47], 1.0
	v_mul_f64 v[52:53], v[52:53], -v[50:51]
.LBB13_43:
	s_or_b32 exec_lo, exec_lo, s1
	ds_write2_b64 v1, v[50:51], v[52:53] offset1:1
.LBB13_44:
	s_or_b32 exec_lo, exec_lo, s2
	s_waitcnt lgkmcnt(0)
	s_barrier
	buffer_gl0_inv
	ds_read2_b64 v[46:49], v1 offset1:1
	s_mov_b32 s1, exec_lo
	v_cmpx_lt_u32_e32 4, v0
	s_cbranch_execz .LBB13_46
; %bb.45:
	s_waitcnt lgkmcnt(0)
	v_mul_f64 v[50:51], v[46:47], v[12:13]
	v_mul_f64 v[12:13], v[48:49], v[12:13]
	v_fma_f64 v[54:55], v[48:49], v[10:11], v[50:51]
	ds_read2_b64 v[50:53], v74 offset0:10 offset1:11
	v_fma_f64 v[10:11], v[46:47], v[10:11], -v[12:13]
	s_waitcnt lgkmcnt(0)
	v_mul_f64 v[12:13], v[52:53], v[54:55]
	v_fma_f64 v[12:13], v[50:51], v[10:11], -v[12:13]
	v_mul_f64 v[50:51], v[50:51], v[54:55]
	v_add_f64 v[6:7], v[6:7], -v[12:13]
	v_fma_f64 v[50:51], v[52:53], v[10:11], v[50:51]
	v_add_f64 v[8:9], v[8:9], -v[50:51]
	ds_read2_b64 v[50:53], v74 offset0:12 offset1:13
	s_waitcnt lgkmcnt(0)
	v_mul_f64 v[12:13], v[52:53], v[54:55]
	v_fma_f64 v[12:13], v[50:51], v[10:11], -v[12:13]
	v_mul_f64 v[50:51], v[50:51], v[54:55]
	v_add_f64 v[2:3], v[2:3], -v[12:13]
	v_fma_f64 v[50:51], v[52:53], v[10:11], v[50:51]
	v_mov_b32_e32 v12, v54
	v_mov_b32_e32 v13, v55
	v_add_f64 v[4:5], v[4:5], -v[50:51]
.LBB13_46:
	s_or_b32 exec_lo, exec_lo, s1
	s_mov_b32 s2, exec_lo
	s_waitcnt lgkmcnt(0)
	s_barrier
	buffer_gl0_inv
	v_cmpx_eq_u32_e32 5, v0
	s_cbranch_execz .LBB13_53
; %bb.47:
	ds_write2_b64 v1, v[6:7], v[8:9] offset1:1
	ds_write2_b64 v74, v[2:3], v[4:5] offset0:12 offset1:13
	ds_read2_b64 v[50:53], v1 offset1:1
	s_waitcnt lgkmcnt(0)
	v_cmp_neq_f64_e32 vcc_lo, 0, v[50:51]
	v_cmp_neq_f64_e64 s1, 0, v[52:53]
	s_or_b32 s1, vcc_lo, s1
	s_and_b32 exec_lo, exec_lo, s1
	s_cbranch_execz .LBB13_53
; %bb.48:
	v_cmp_ngt_f64_e64 s1, |v[50:51]|, |v[52:53]|
                                        ; implicit-def: $vgpr54_vgpr55
	s_and_saveexec_b32 s3, s1
	s_xor_b32 s1, exec_lo, s3
                                        ; implicit-def: $vgpr56_vgpr57
	s_cbranch_execz .LBB13_50
; %bb.49:
	v_div_scale_f64 v[54:55], null, v[52:53], v[52:53], v[50:51]
	v_div_scale_f64 v[77:78], vcc_lo, v[50:51], v[52:53], v[50:51]
	v_rcp_f64_e32 v[56:57], v[54:55]
	v_fma_f64 v[75:76], -v[54:55], v[56:57], 1.0
	v_fma_f64 v[56:57], v[56:57], v[75:76], v[56:57]
	v_fma_f64 v[75:76], -v[54:55], v[56:57], 1.0
	v_fma_f64 v[56:57], v[56:57], v[75:76], v[56:57]
	v_mul_f64 v[75:76], v[77:78], v[56:57]
	v_fma_f64 v[54:55], -v[54:55], v[75:76], v[77:78]
	v_div_fmas_f64 v[54:55], v[54:55], v[56:57], v[75:76]
	v_div_fixup_f64 v[54:55], v[54:55], v[52:53], v[50:51]
	v_fma_f64 v[50:51], v[50:51], v[54:55], v[52:53]
	v_div_scale_f64 v[52:53], null, v[50:51], v[50:51], 1.0
	v_rcp_f64_e32 v[56:57], v[52:53]
	v_fma_f64 v[75:76], -v[52:53], v[56:57], 1.0
	v_fma_f64 v[56:57], v[56:57], v[75:76], v[56:57]
	v_fma_f64 v[75:76], -v[52:53], v[56:57], 1.0
	v_fma_f64 v[56:57], v[56:57], v[75:76], v[56:57]
	v_div_scale_f64 v[75:76], vcc_lo, 1.0, v[50:51], 1.0
	v_mul_f64 v[77:78], v[75:76], v[56:57]
	v_fma_f64 v[52:53], -v[52:53], v[77:78], v[75:76]
	v_div_fmas_f64 v[52:53], v[52:53], v[56:57], v[77:78]
	v_div_fixup_f64 v[56:57], v[52:53], v[50:51], 1.0
                                        ; implicit-def: $vgpr50_vgpr51
	v_mul_f64 v[54:55], v[54:55], v[56:57]
	v_xor_b32_e32 v57, 0x80000000, v57
.LBB13_50:
	s_andn2_saveexec_b32 s1, s1
	s_cbranch_execz .LBB13_52
; %bb.51:
	v_div_scale_f64 v[54:55], null, v[50:51], v[50:51], v[52:53]
	v_div_scale_f64 v[77:78], vcc_lo, v[52:53], v[50:51], v[52:53]
	v_rcp_f64_e32 v[56:57], v[54:55]
	v_fma_f64 v[75:76], -v[54:55], v[56:57], 1.0
	v_fma_f64 v[56:57], v[56:57], v[75:76], v[56:57]
	v_fma_f64 v[75:76], -v[54:55], v[56:57], 1.0
	v_fma_f64 v[56:57], v[56:57], v[75:76], v[56:57]
	v_mul_f64 v[75:76], v[77:78], v[56:57]
	v_fma_f64 v[54:55], -v[54:55], v[75:76], v[77:78]
	v_div_fmas_f64 v[54:55], v[54:55], v[56:57], v[75:76]
	v_div_fixup_f64 v[56:57], v[54:55], v[50:51], v[52:53]
	v_fma_f64 v[50:51], v[52:53], v[56:57], v[50:51]
	v_div_scale_f64 v[52:53], null, v[50:51], v[50:51], 1.0
	v_rcp_f64_e32 v[54:55], v[52:53]
	v_fma_f64 v[75:76], -v[52:53], v[54:55], 1.0
	v_fma_f64 v[54:55], v[54:55], v[75:76], v[54:55]
	v_fma_f64 v[75:76], -v[52:53], v[54:55], 1.0
	v_fma_f64 v[54:55], v[54:55], v[75:76], v[54:55]
	v_div_scale_f64 v[75:76], vcc_lo, 1.0, v[50:51], 1.0
	v_mul_f64 v[77:78], v[75:76], v[54:55]
	v_fma_f64 v[52:53], -v[52:53], v[77:78], v[75:76]
	v_div_fmas_f64 v[52:53], v[52:53], v[54:55], v[77:78]
	v_div_fixup_f64 v[54:55], v[52:53], v[50:51], 1.0
	v_mul_f64 v[56:57], v[56:57], -v[54:55]
.LBB13_52:
	s_or_b32 exec_lo, exec_lo, s1
	ds_write2_b64 v1, v[54:55], v[56:57] offset1:1
.LBB13_53:
	s_or_b32 exec_lo, exec_lo, s2
	s_waitcnt lgkmcnt(0)
	s_barrier
	buffer_gl0_inv
	ds_read2_b64 v[50:53], v1 offset1:1
	s_mov_b32 s1, exec_lo
	v_cmpx_lt_u32_e32 5, v0
	s_cbranch_execz .LBB13_55
; %bb.54:
	s_waitcnt lgkmcnt(0)
	v_mul_f64 v[54:55], v[50:51], v[8:9]
	v_mul_f64 v[8:9], v[52:53], v[8:9]
	v_fma_f64 v[75:76], v[52:53], v[6:7], v[54:55]
	ds_read2_b64 v[54:57], v74 offset0:12 offset1:13
	v_fma_f64 v[6:7], v[50:51], v[6:7], -v[8:9]
	s_waitcnt lgkmcnt(0)
	v_mul_f64 v[8:9], v[56:57], v[75:76]
	v_mul_f64 v[77:78], v[54:55], v[75:76]
	v_fma_f64 v[8:9], v[54:55], v[6:7], -v[8:9]
	v_fma_f64 v[54:55], v[56:57], v[6:7], v[77:78]
	v_add_f64 v[2:3], v[2:3], -v[8:9]
	v_add_f64 v[4:5], v[4:5], -v[54:55]
	v_mov_b32_e32 v8, v75
	v_mov_b32_e32 v9, v76
.LBB13_55:
	s_or_b32 exec_lo, exec_lo, s1
	s_mov_b32 s2, exec_lo
	s_waitcnt lgkmcnt(0)
	s_barrier
	buffer_gl0_inv
	v_cmpx_eq_u32_e32 6, v0
	s_cbranch_execz .LBB13_62
; %bb.56:
	v_cmp_neq_f64_e32 vcc_lo, 0, v[2:3]
	v_cmp_neq_f64_e64 s1, 0, v[4:5]
	ds_write2_b64 v1, v[2:3], v[4:5] offset1:1
	s_or_b32 s1, vcc_lo, s1
	s_and_b32 exec_lo, exec_lo, s1
	s_cbranch_execz .LBB13_62
; %bb.57:
	v_cmp_ngt_f64_e64 s1, |v[2:3]|, |v[4:5]|
                                        ; implicit-def: $vgpr54_vgpr55
	s_and_saveexec_b32 s3, s1
	s_xor_b32 s1, exec_lo, s3
                                        ; implicit-def: $vgpr56_vgpr57
	s_cbranch_execz .LBB13_59
; %bb.58:
	v_div_scale_f64 v[54:55], null, v[4:5], v[4:5], v[2:3]
	v_div_scale_f64 v[76:77], vcc_lo, v[2:3], v[4:5], v[2:3]
	v_rcp_f64_e32 v[56:57], v[54:55]
	v_fma_f64 v[74:75], -v[54:55], v[56:57], 1.0
	v_fma_f64 v[56:57], v[56:57], v[74:75], v[56:57]
	v_fma_f64 v[74:75], -v[54:55], v[56:57], 1.0
	v_fma_f64 v[56:57], v[56:57], v[74:75], v[56:57]
	v_mul_f64 v[74:75], v[76:77], v[56:57]
	v_fma_f64 v[54:55], -v[54:55], v[74:75], v[76:77]
	v_div_fmas_f64 v[54:55], v[54:55], v[56:57], v[74:75]
	v_div_fixup_f64 v[54:55], v[54:55], v[4:5], v[2:3]
	v_fma_f64 v[56:57], v[2:3], v[54:55], v[4:5]
	v_div_scale_f64 v[74:75], null, v[56:57], v[56:57], 1.0
	v_rcp_f64_e32 v[76:77], v[74:75]
	v_fma_f64 v[78:79], -v[74:75], v[76:77], 1.0
	v_fma_f64 v[76:77], v[76:77], v[78:79], v[76:77]
	v_fma_f64 v[78:79], -v[74:75], v[76:77], 1.0
	v_fma_f64 v[76:77], v[76:77], v[78:79], v[76:77]
	v_div_scale_f64 v[78:79], vcc_lo, 1.0, v[56:57], 1.0
	v_mul_f64 v[80:81], v[78:79], v[76:77]
	v_fma_f64 v[74:75], -v[74:75], v[80:81], v[78:79]
	v_div_fmas_f64 v[74:75], v[74:75], v[76:77], v[80:81]
	v_div_fixup_f64 v[56:57], v[74:75], v[56:57], 1.0
	v_mul_f64 v[54:55], v[54:55], v[56:57]
	v_xor_b32_e32 v57, 0x80000000, v57
.LBB13_59:
	s_andn2_saveexec_b32 s1, s1
	s_cbranch_execz .LBB13_61
; %bb.60:
	v_div_scale_f64 v[54:55], null, v[2:3], v[2:3], v[4:5]
	v_div_scale_f64 v[76:77], vcc_lo, v[4:5], v[2:3], v[4:5]
	v_rcp_f64_e32 v[56:57], v[54:55]
	v_fma_f64 v[74:75], -v[54:55], v[56:57], 1.0
	v_fma_f64 v[56:57], v[56:57], v[74:75], v[56:57]
	v_fma_f64 v[74:75], -v[54:55], v[56:57], 1.0
	v_fma_f64 v[56:57], v[56:57], v[74:75], v[56:57]
	v_mul_f64 v[74:75], v[76:77], v[56:57]
	v_fma_f64 v[54:55], -v[54:55], v[74:75], v[76:77]
	v_div_fmas_f64 v[54:55], v[54:55], v[56:57], v[74:75]
	v_div_fixup_f64 v[56:57], v[54:55], v[2:3], v[4:5]
	v_fma_f64 v[54:55], v[4:5], v[56:57], v[2:3]
	v_div_scale_f64 v[74:75], null, v[54:55], v[54:55], 1.0
	v_rcp_f64_e32 v[76:77], v[74:75]
	v_fma_f64 v[78:79], -v[74:75], v[76:77], 1.0
	v_fma_f64 v[76:77], v[76:77], v[78:79], v[76:77]
	v_fma_f64 v[78:79], -v[74:75], v[76:77], 1.0
	v_fma_f64 v[76:77], v[76:77], v[78:79], v[76:77]
	v_div_scale_f64 v[78:79], vcc_lo, 1.0, v[54:55], 1.0
	v_mul_f64 v[80:81], v[78:79], v[76:77]
	v_fma_f64 v[74:75], -v[74:75], v[80:81], v[78:79]
	v_div_fmas_f64 v[74:75], v[74:75], v[76:77], v[80:81]
	v_div_fixup_f64 v[54:55], v[74:75], v[54:55], 1.0
	v_mul_f64 v[56:57], v[56:57], -v[54:55]
.LBB13_61:
	s_or_b32 exec_lo, exec_lo, s1
	ds_write2_b64 v1, v[54:55], v[56:57] offset1:1
.LBB13_62:
	s_or_b32 exec_lo, exec_lo, s2
	s_waitcnt lgkmcnt(0)
	s_barrier
	buffer_gl0_inv
	ds_read2_b64 v[54:57], v1 offset1:1
	s_mov_b32 s1, exec_lo
	v_cmpx_lt_u32_e32 6, v0
	s_cbranch_execz .LBB13_64
; %bb.63:
	s_waitcnt lgkmcnt(0)
	v_mul_f64 v[0:1], v[56:57], v[4:5]
	v_mul_f64 v[4:5], v[54:55], v[4:5]
	v_fma_f64 v[0:1], v[54:55], v[2:3], -v[0:1]
	v_fma_f64 v[4:5], v[56:57], v[2:3], v[4:5]
	v_mov_b32_e32 v3, v1
	v_mov_b32_e32 v2, v0
.LBB13_64:
	s_or_b32 exec_lo, exec_lo, s1
	s_waitcnt lgkmcnt(0)
	s_barrier
	buffer_gl0_inv
	s_and_saveexec_b32 s6, s0
	s_cbranch_execz .LBB13_67
; %bb.65:
	v_lshlrev_b64 v[0:1], 2, v[58:59]
	v_cmp_eq_f64_e64 s0, 0, v[32:33]
	v_cmp_neq_f64_e64 s1, 0, v[34:35]
	v_cmp_neq_f64_e64 s2, 0, v[36:37]
	v_cmp_eq_f64_e64 s3, 0, v[38:39]
	v_cmp_eq_f64_e64 s4, 0, v[40:41]
	v_add_co_u32 v0, vcc_lo, s10, v0
	v_add_co_ci_u32_e64 v1, null, s11, v1, vcc_lo
	v_cmp_eq_f64_e32 vcc_lo, 0, v[30:31]
	v_cmp_eq_f64_e64 s5, 0, v[42:43]
	global_load_dword v58, v[0:1], off
	s_or_b32 s1, s1, s2
	v_cmp_eq_f64_e64 s2, 0, v[48:49]
	s_and_b32 s3, s3, s4
	v_cmp_eq_f64_e64 s4, 0, v[52:53]
	s_and_b32 s0, vcc_lo, s0
	v_cmp_eq_f64_e32 vcc_lo, 0, v[44:45]
	v_cndmask_b32_e64 v30, 0, 1, s0
	s_or_b32 s0, s1, s0
	v_cmp_eq_f64_e64 s1, 0, v[46:47]
	v_cndmask_b32_e64 v30, 2, v30, s0
	v_cmp_eq_u32_e64 s0, 0, v30
	s_and_b32 s0, s3, s0
	v_cmp_eq_f64_e64 s3, 0, v[50:51]
	v_cndmask_b32_e64 v30, v30, 3, s0
	s_and_b32 s5, s5, vcc_lo
	v_cmp_eq_u32_e64 s0, 0, v30
	s_and_b32 s1, s1, s2
	s_and_b32 s0, s5, s0
	v_cmp_eq_f64_e64 s5, 0, v[56:57]
	v_cndmask_b32_e64 v30, v30, 4, s0
	v_cmp_eq_f64_e64 s0, 0, v[54:55]
	v_cmp_eq_u32_e32 vcc_lo, 0, v30
	s_and_b32 s1, s1, vcc_lo
	v_cndmask_b32_e64 v30, v30, 5, s1
	s_and_b32 s1, s3, s4
	v_cmp_eq_u32_e32 vcc_lo, 0, v30
	s_and_b32 s1, s1, vcc_lo
	s_and_b32 s0, s0, s5
	v_cndmask_b32_e64 v30, v30, 6, s1
	v_cmp_eq_u32_e32 vcc_lo, 0, v30
	s_and_b32 s0, s0, vcc_lo
	v_cndmask_b32_e64 v30, v30, 7, s0
	v_cmp_ne_u32_e64 s0, 0, v30
	s_waitcnt vmcnt(0)
	v_cmp_eq_u32_e32 vcc_lo, 0, v58
	s_and_b32 s0, vcc_lo, s0
	s_and_b32 exec_lo, exec_lo, s0
	s_cbranch_execz .LBB13_67
; %bb.66:
	v_add_nc_u32_e32 v30, s13, v30
	global_store_dword v[0:1], v30, off
.LBB13_67:
	s_or_b32 exec_lo, exec_lo, s6
	global_store_dwordx4 v[70:71], v[26:29], off
	global_store_dwordx4 v[72:73], v[22:25], off
	;; [unrolled: 1-line block ×7, first 2 shown]
.LBB13_68:
	s_endpgm
	.section	.rodata,"a",@progbits
	.p2align	6, 0x0
	.amdhsa_kernel _ZN9rocsolver6v33100L23getf2_npvt_small_kernelILi7E19rocblas_complex_numIdEiiPS3_EEvT1_T3_lS5_lPT2_S5_S5_
		.amdhsa_group_segment_fixed_size 0
		.amdhsa_private_segment_fixed_size 0
		.amdhsa_kernarg_size 312
		.amdhsa_user_sgpr_count 6
		.amdhsa_user_sgpr_private_segment_buffer 1
		.amdhsa_user_sgpr_dispatch_ptr 0
		.amdhsa_user_sgpr_queue_ptr 0
		.amdhsa_user_sgpr_kernarg_segment_ptr 1
		.amdhsa_user_sgpr_dispatch_id 0
		.amdhsa_user_sgpr_flat_scratch_init 0
		.amdhsa_user_sgpr_private_segment_size 0
		.amdhsa_wavefront_size32 1
		.amdhsa_uses_dynamic_stack 0
		.amdhsa_system_sgpr_private_segment_wavefront_offset 0
		.amdhsa_system_sgpr_workgroup_id_x 1
		.amdhsa_system_sgpr_workgroup_id_y 1
		.amdhsa_system_sgpr_workgroup_id_z 0
		.amdhsa_system_sgpr_workgroup_info 0
		.amdhsa_system_vgpr_workitem_id 1
		.amdhsa_next_free_vgpr 82
		.amdhsa_next_free_sgpr 15
		.amdhsa_reserve_vcc 1
		.amdhsa_reserve_flat_scratch 0
		.amdhsa_float_round_mode_32 0
		.amdhsa_float_round_mode_16_64 0
		.amdhsa_float_denorm_mode_32 3
		.amdhsa_float_denorm_mode_16_64 3
		.amdhsa_dx10_clamp 1
		.amdhsa_ieee_mode 1
		.amdhsa_fp16_overflow 0
		.amdhsa_workgroup_processor_mode 1
		.amdhsa_memory_ordered 1
		.amdhsa_forward_progress 1
		.amdhsa_shared_vgpr_count 0
		.amdhsa_exception_fp_ieee_invalid_op 0
		.amdhsa_exception_fp_denorm_src 0
		.amdhsa_exception_fp_ieee_div_zero 0
		.amdhsa_exception_fp_ieee_overflow 0
		.amdhsa_exception_fp_ieee_underflow 0
		.amdhsa_exception_fp_ieee_inexact 0
		.amdhsa_exception_int_div_zero 0
	.end_amdhsa_kernel
	.section	.text._ZN9rocsolver6v33100L23getf2_npvt_small_kernelILi7E19rocblas_complex_numIdEiiPS3_EEvT1_T3_lS5_lPT2_S5_S5_,"axG",@progbits,_ZN9rocsolver6v33100L23getf2_npvt_small_kernelILi7E19rocblas_complex_numIdEiiPS3_EEvT1_T3_lS5_lPT2_S5_S5_,comdat
.Lfunc_end13:
	.size	_ZN9rocsolver6v33100L23getf2_npvt_small_kernelILi7E19rocblas_complex_numIdEiiPS3_EEvT1_T3_lS5_lPT2_S5_S5_, .Lfunc_end13-_ZN9rocsolver6v33100L23getf2_npvt_small_kernelILi7E19rocblas_complex_numIdEiiPS3_EEvT1_T3_lS5_lPT2_S5_S5_
                                        ; -- End function
	.set _ZN9rocsolver6v33100L23getf2_npvt_small_kernelILi7E19rocblas_complex_numIdEiiPS3_EEvT1_T3_lS5_lPT2_S5_S5_.num_vgpr, 82
	.set _ZN9rocsolver6v33100L23getf2_npvt_small_kernelILi7E19rocblas_complex_numIdEiiPS3_EEvT1_T3_lS5_lPT2_S5_S5_.num_agpr, 0
	.set _ZN9rocsolver6v33100L23getf2_npvt_small_kernelILi7E19rocblas_complex_numIdEiiPS3_EEvT1_T3_lS5_lPT2_S5_S5_.numbered_sgpr, 15
	.set _ZN9rocsolver6v33100L23getf2_npvt_small_kernelILi7E19rocblas_complex_numIdEiiPS3_EEvT1_T3_lS5_lPT2_S5_S5_.num_named_barrier, 0
	.set _ZN9rocsolver6v33100L23getf2_npvt_small_kernelILi7E19rocblas_complex_numIdEiiPS3_EEvT1_T3_lS5_lPT2_S5_S5_.private_seg_size, 0
	.set _ZN9rocsolver6v33100L23getf2_npvt_small_kernelILi7E19rocblas_complex_numIdEiiPS3_EEvT1_T3_lS5_lPT2_S5_S5_.uses_vcc, 1
	.set _ZN9rocsolver6v33100L23getf2_npvt_small_kernelILi7E19rocblas_complex_numIdEiiPS3_EEvT1_T3_lS5_lPT2_S5_S5_.uses_flat_scratch, 0
	.set _ZN9rocsolver6v33100L23getf2_npvt_small_kernelILi7E19rocblas_complex_numIdEiiPS3_EEvT1_T3_lS5_lPT2_S5_S5_.has_dyn_sized_stack, 0
	.set _ZN9rocsolver6v33100L23getf2_npvt_small_kernelILi7E19rocblas_complex_numIdEiiPS3_EEvT1_T3_lS5_lPT2_S5_S5_.has_recursion, 0
	.set _ZN9rocsolver6v33100L23getf2_npvt_small_kernelILi7E19rocblas_complex_numIdEiiPS3_EEvT1_T3_lS5_lPT2_S5_S5_.has_indirect_call, 0
	.section	.AMDGPU.csdata,"",@progbits
; Kernel info:
; codeLenInByte = 6332
; TotalNumSgprs: 17
; NumVgprs: 82
; ScratchSize: 0
; MemoryBound: 0
; FloatMode: 240
; IeeeMode: 1
; LDSByteSize: 0 bytes/workgroup (compile time only)
; SGPRBlocks: 0
; VGPRBlocks: 10
; NumSGPRsForWavesPerEU: 17
; NumVGPRsForWavesPerEU: 82
; Occupancy: 10
; WaveLimiterHint : 0
; COMPUTE_PGM_RSRC2:SCRATCH_EN: 0
; COMPUTE_PGM_RSRC2:USER_SGPR: 6
; COMPUTE_PGM_RSRC2:TRAP_HANDLER: 0
; COMPUTE_PGM_RSRC2:TGID_X_EN: 1
; COMPUTE_PGM_RSRC2:TGID_Y_EN: 1
; COMPUTE_PGM_RSRC2:TGID_Z_EN: 0
; COMPUTE_PGM_RSRC2:TIDIG_COMP_CNT: 1
	.section	.text._ZN9rocsolver6v33100L18getf2_small_kernelILi8E19rocblas_complex_numIdEiiPS3_EEvT1_T3_lS5_lPS5_llPT2_S5_S5_S7_l,"axG",@progbits,_ZN9rocsolver6v33100L18getf2_small_kernelILi8E19rocblas_complex_numIdEiiPS3_EEvT1_T3_lS5_lPS5_llPT2_S5_S5_S7_l,comdat
	.globl	_ZN9rocsolver6v33100L18getf2_small_kernelILi8E19rocblas_complex_numIdEiiPS3_EEvT1_T3_lS5_lPS5_llPT2_S5_S5_S7_l ; -- Begin function _ZN9rocsolver6v33100L18getf2_small_kernelILi8E19rocblas_complex_numIdEiiPS3_EEvT1_T3_lS5_lPS5_llPT2_S5_S5_S7_l
	.p2align	8
	.type	_ZN9rocsolver6v33100L18getf2_small_kernelILi8E19rocblas_complex_numIdEiiPS3_EEvT1_T3_lS5_lPS5_llPT2_S5_S5_S7_l,@function
_ZN9rocsolver6v33100L18getf2_small_kernelILi8E19rocblas_complex_numIdEiiPS3_EEvT1_T3_lS5_lPS5_llPT2_S5_S5_S7_l: ; @_ZN9rocsolver6v33100L18getf2_small_kernelILi8E19rocblas_complex_numIdEiiPS3_EEvT1_T3_lS5_lPS5_llPT2_S5_S5_S7_l
; %bb.0:
	s_clause 0x1
	s_load_dword s0, s[4:5], 0x6c
	s_load_dwordx2 s[16:17], s[4:5], 0x48
	s_waitcnt lgkmcnt(0)
	s_lshr_b32 s0, s0, 16
	v_mad_u64_u32 v[38:39], null, s7, s0, v[1:2]
	s_mov_b32 s0, exec_lo
	v_cmpx_gt_i32_e64 s16, v38
	s_cbranch_execz .LBB14_171
; %bb.1:
	s_load_dwordx4 s[0:3], s[4:5], 0x50
	v_mov_b32_e32 v40, 0
	v_ashrrev_i32_e32 v39, 31, v38
	v_mov_b32_e32 v41, 0
	s_waitcnt lgkmcnt(0)
	s_cmp_eq_u64 s[0:1], 0
	s_cselect_b32 s16, -1, 0
	s_and_b32 vcc_lo, exec_lo, s16
	s_cbranch_vccnz .LBB14_3
; %bb.2:
	v_mul_lo_u32 v4, s3, v38
	v_mul_lo_u32 v5, s2, v39
	v_mad_u64_u32 v[2:3], null, s2, v38, 0
	v_add3_u32 v3, v3, v5, v4
	v_lshlrev_b64 v[2:3], 2, v[2:3]
	v_add_co_u32 v40, vcc_lo, s0, v2
	v_add_co_ci_u32_e64 v41, null, s1, v3, vcc_lo
.LBB14_3:
	s_clause 0x2
	s_load_dwordx8 s[8:15], s[4:5], 0x20
	s_load_dword s6, s[4:5], 0x18
	s_load_dwordx4 s[0:3], s[4:5], 0x8
	v_lshlrev_b32_e32 v34, 4, v0
	v_mov_b32_e32 v42, 0
	s_waitcnt lgkmcnt(0)
	v_mul_lo_u32 v5, s9, v38
	v_mul_lo_u32 v7, s8, v39
	v_mad_u64_u32 v[2:3], null, s8, v38, 0
	v_add3_u32 v4, s6, s6, v0
	s_lshl_b64 s[8:9], s[2:3], 4
	s_ashr_i32 s7, s6, 31
	s_lshl_b64 s[2:3], s[6:7], 4
	v_add_nc_u32_e32 v6, s6, v4
	v_add3_u32 v3, v3, v7, v5
	v_ashrrev_i32_e32 v5, 31, v4
	v_add_nc_u32_e32 v8, s6, v6
	v_lshlrev_b64 v[2:3], 4, v[2:3]
	v_ashrrev_i32_e32 v7, 31, v6
	v_lshlrev_b64 v[4:5], 4, v[4:5]
	v_ashrrev_i32_e32 v9, 31, v8
	v_add_nc_u32_e32 v10, s6, v8
	v_add_co_u32 v12, vcc_lo, s0, v2
	v_add_co_ci_u32_e64 v13, null, s1, v3, vcc_lo
	v_lshlrev_b64 v[2:3], 4, v[8:9]
	v_add_co_u32 v45, vcc_lo, v12, s8
	v_add_co_ci_u32_e64 v46, null, s9, v13, vcc_lo
	v_add_nc_u32_e32 v8, s6, v10
	v_add_co_u32 v14, vcc_lo, v45, v34
	v_add_co_ci_u32_e64 v15, null, 0, v46, vcc_lo
	v_lshlrev_b64 v[6:7], 4, v[6:7]
	v_ashrrev_i32_e32 v11, 31, v10
	v_add_nc_u32_e32 v12, s6, v8
	v_add_co_u32 v4, vcc_lo, v45, v4
	global_load_dwordx4 v[30:33], v[14:15], off
	v_ashrrev_i32_e32 v9, 31, v8
	v_lshlrev_b64 v[10:11], 4, v[10:11]
	v_add_co_ci_u32_e64 v5, null, v46, v5, vcc_lo
	v_add_co_u32 v6, vcc_lo, v45, v6
	v_ashrrev_i32_e32 v13, 31, v12
	v_add_co_ci_u32_e64 v7, null, v46, v7, vcc_lo
	v_add_co_u32 v16, vcc_lo, v45, v2
	v_lshlrev_b64 v[8:9], 4, v[8:9]
	v_add_co_ci_u32_e64 v17, null, v46, v3, vcc_lo
	v_add_co_u32 v10, vcc_lo, v45, v10
	s_clause 0x1
	global_load_dwordx4 v[22:25], v[4:5], off
	global_load_dwordx4 v[2:5], v[6:7], off
	v_lshlrev_b64 v[6:7], 4, v[12:13]
	v_add_co_ci_u32_e64 v11, null, v46, v11, vcc_lo
	v_add_co_u32 v18, vcc_lo, v14, s2
	v_add_co_ci_u32_e64 v19, null, s3, v15, vcc_lo
	v_add_co_u32 v8, vcc_lo, v45, v8
	;; [unrolled: 2-line block ×3, first 2 shown]
	v_add_co_ci_u32_e64 v7, null, v46, v7, vcc_lo
	s_clause 0x4
	global_load_dwordx4 v[14:17], v[16:17], off
	global_load_dwordx4 v[10:13], v[10:11], off
	;; [unrolled: 1-line block ×5, first 2 shown]
	s_clause 0x1
	s_load_dword s1, s[4:5], 0x0
	s_load_dwordx2 s[4:5], s[4:5], 0x40
	s_waitcnt lgkmcnt(0)
	s_max_i32 s0, s1, 8
	s_cmp_lt_i32 s1, 2
	v_mul_lo_u32 v43, s0, v1
	v_lshl_add_u32 v1, v43, 4, 0
	v_lshlrev_b32_e32 v44, 4, v43
	v_add_nc_u32_e32 v34, v1, v34
	s_waitcnt vmcnt(7)
	ds_write2_b64 v34, v[30:31], v[32:33] offset1:1
	s_waitcnt vmcnt(0) lgkmcnt(0)
	s_barrier
	buffer_gl0_inv
	ds_read2_b64 v[34:37], v1 offset1:1
	s_cbranch_scc1 .LBB14_6
; %bb.4:
	v_add3_u32 v43, v44, 0, 16
	v_mov_b32_e32 v42, 0
	s_mov_b32 s7, 1
	s_inst_prefetch 0x1
	.p2align	6
.LBB14_5:                               ; =>This Inner Loop Header: Depth=1
	s_waitcnt lgkmcnt(0)
	v_cmp_gt_f64_e32 vcc_lo, 0, v[36:37]
	v_cmp_gt_f64_e64 s0, 0, v[34:35]
	ds_read2_b64 v[47:50], v43 offset1:1
	v_xor_b32_e32 v52, 0x80000000, v35
	v_xor_b32_e32 v54, 0x80000000, v37
	v_mov_b32_e32 v51, v34
	v_mov_b32_e32 v53, v36
	v_add_nc_u32_e32 v43, 16, v43
	s_waitcnt lgkmcnt(0)
	v_xor_b32_e32 v56, 0x80000000, v50
	v_cndmask_b32_e64 v52, v35, v52, s0
	v_cndmask_b32_e32 v54, v37, v54, vcc_lo
	v_cmp_gt_f64_e32 vcc_lo, 0, v[49:50]
	v_cmp_gt_f64_e64 s0, 0, v[47:48]
	v_mov_b32_e32 v55, v49
	v_add_f64 v[51:52], v[51:52], v[53:54]
	v_xor_b32_e32 v54, 0x80000000, v48
	v_mov_b32_e32 v53, v47
	v_cndmask_b32_e32 v56, v50, v56, vcc_lo
	v_cndmask_b32_e64 v54, v48, v54, s0
	v_add_f64 v[53:54], v[53:54], v[55:56]
	v_cmp_lt_f64_e32 vcc_lo, v[51:52], v[53:54]
	v_cndmask_b32_e32 v35, v35, v48, vcc_lo
	v_cndmask_b32_e32 v34, v34, v47, vcc_lo
	;; [unrolled: 1-line block ×4, first 2 shown]
	v_cndmask_b32_e64 v42, v42, s7, vcc_lo
	s_add_i32 s7, s7, 1
	s_cmp_eq_u32 s1, s7
	s_cbranch_scc0 .LBB14_5
.LBB14_6:
	s_inst_prefetch 0x2
	s_waitcnt lgkmcnt(0)
	v_cmp_neq_f64_e32 vcc_lo, 0, v[34:35]
	v_cmp_neq_f64_e64 s0, 0, v[36:37]
	v_mov_b32_e32 v47, 1
	v_mov_b32_e32 v49, 1
	s_or_b32 s7, vcc_lo, s0
	s_and_saveexec_b32 s0, s7
	s_cbranch_execz .LBB14_12
; %bb.7:
	v_cmp_ngt_f64_e64 s7, |v[34:35]|, |v[36:37]|
	s_and_saveexec_b32 s8, s7
	s_xor_b32 s7, exec_lo, s8
	s_cbranch_execz .LBB14_9
; %bb.8:
	v_div_scale_f64 v[47:48], null, v[36:37], v[36:37], v[34:35]
	v_div_scale_f64 v[53:54], vcc_lo, v[34:35], v[36:37], v[34:35]
	v_rcp_f64_e32 v[49:50], v[47:48]
	v_fma_f64 v[51:52], -v[47:48], v[49:50], 1.0
	v_fma_f64 v[49:50], v[49:50], v[51:52], v[49:50]
	v_fma_f64 v[51:52], -v[47:48], v[49:50], 1.0
	v_fma_f64 v[49:50], v[49:50], v[51:52], v[49:50]
	v_mul_f64 v[51:52], v[53:54], v[49:50]
	v_fma_f64 v[47:48], -v[47:48], v[51:52], v[53:54]
	v_div_fmas_f64 v[47:48], v[47:48], v[49:50], v[51:52]
	v_div_fixup_f64 v[47:48], v[47:48], v[36:37], v[34:35]
	v_fma_f64 v[34:35], v[34:35], v[47:48], v[36:37]
	v_div_scale_f64 v[36:37], null, v[34:35], v[34:35], 1.0
	v_rcp_f64_e32 v[49:50], v[36:37]
	v_fma_f64 v[51:52], -v[36:37], v[49:50], 1.0
	v_fma_f64 v[49:50], v[49:50], v[51:52], v[49:50]
	v_fma_f64 v[51:52], -v[36:37], v[49:50], 1.0
	v_fma_f64 v[49:50], v[49:50], v[51:52], v[49:50]
	v_div_scale_f64 v[51:52], vcc_lo, 1.0, v[34:35], 1.0
	v_mul_f64 v[53:54], v[51:52], v[49:50]
	v_fma_f64 v[36:37], -v[36:37], v[53:54], v[51:52]
	v_div_fmas_f64 v[36:37], v[36:37], v[49:50], v[53:54]
	v_div_fixup_f64 v[36:37], v[36:37], v[34:35], 1.0
	v_mul_f64 v[34:35], v[47:48], v[36:37]
	v_xor_b32_e32 v37, 0x80000000, v37
.LBB14_9:
	s_andn2_saveexec_b32 s7, s7
	s_cbranch_execz .LBB14_11
; %bb.10:
	v_div_scale_f64 v[47:48], null, v[34:35], v[34:35], v[36:37]
	v_div_scale_f64 v[53:54], vcc_lo, v[36:37], v[34:35], v[36:37]
	v_rcp_f64_e32 v[49:50], v[47:48]
	v_fma_f64 v[51:52], -v[47:48], v[49:50], 1.0
	v_fma_f64 v[49:50], v[49:50], v[51:52], v[49:50]
	v_fma_f64 v[51:52], -v[47:48], v[49:50], 1.0
	v_fma_f64 v[49:50], v[49:50], v[51:52], v[49:50]
	v_mul_f64 v[51:52], v[53:54], v[49:50]
	v_fma_f64 v[47:48], -v[47:48], v[51:52], v[53:54]
	v_div_fmas_f64 v[47:48], v[47:48], v[49:50], v[51:52]
	v_div_fixup_f64 v[47:48], v[47:48], v[34:35], v[36:37]
	v_fma_f64 v[34:35], v[36:37], v[47:48], v[34:35]
	v_div_scale_f64 v[36:37], null, v[34:35], v[34:35], 1.0
	v_rcp_f64_e32 v[49:50], v[36:37]
	v_fma_f64 v[51:52], -v[36:37], v[49:50], 1.0
	v_fma_f64 v[49:50], v[49:50], v[51:52], v[49:50]
	v_fma_f64 v[51:52], -v[36:37], v[49:50], 1.0
	v_fma_f64 v[49:50], v[49:50], v[51:52], v[49:50]
	v_div_scale_f64 v[51:52], vcc_lo, 1.0, v[34:35], 1.0
	v_mul_f64 v[53:54], v[51:52], v[49:50]
	v_fma_f64 v[36:37], -v[36:37], v[53:54], v[51:52]
	v_div_fmas_f64 v[36:37], v[36:37], v[49:50], v[53:54]
	v_div_fixup_f64 v[34:35], v[36:37], v[34:35], 1.0
	v_mul_f64 v[36:37], v[47:48], -v[34:35]
.LBB14_11:
	s_or_b32 exec_lo, exec_lo, s7
	v_mov_b32_e32 v49, 0
	v_mov_b32_e32 v47, 2
.LBB14_12:
	s_or_b32 exec_lo, exec_lo, s0
	s_mov_b32 s0, exec_lo
	v_cmpx_ne_u32_e64 v0, v42
	s_xor_b32 s0, exec_lo, s0
	s_cbranch_execz .LBB14_18
; %bb.13:
	s_mov_b32 s7, exec_lo
	v_cmpx_eq_u32_e32 0, v0
	s_cbranch_execz .LBB14_17
; %bb.14:
	v_cmp_ne_u32_e32 vcc_lo, 0, v42
	s_xor_b32 s8, s16, -1
	s_and_b32 s9, s8, vcc_lo
	s_and_saveexec_b32 s8, s9
	s_cbranch_execz .LBB14_16
; %bb.15:
	v_ashrrev_i32_e32 v43, 31, v42
	v_lshlrev_b64 v[50:51], 2, v[42:43]
	v_add_co_u32 v50, vcc_lo, v40, v50
	v_add_co_ci_u32_e64 v51, null, v41, v51, vcc_lo
	s_clause 0x1
	global_load_dword v0, v[50:51], off
	global_load_dword v43, v[40:41], off
	s_waitcnt vmcnt(1)
	global_store_dword v[40:41], v0, off
	s_waitcnt vmcnt(0)
	global_store_dword v[50:51], v43, off
.LBB14_16:
	s_or_b32 exec_lo, exec_lo, s8
	v_mov_b32_e32 v0, v42
.LBB14_17:
	s_or_b32 exec_lo, exec_lo, s7
.LBB14_18:
	s_or_saveexec_b32 s0, s0
	v_mov_b32_e32 v48, v0
	s_xor_b32 exec_lo, exec_lo, s0
	s_cbranch_execz .LBB14_20
; %bb.19:
	v_mov_b32_e32 v48, 0
	ds_write2_b64 v1, v[26:27], v[28:29] offset0:2 offset1:3
	ds_write2_b64 v1, v[22:23], v[24:25] offset0:4 offset1:5
	;; [unrolled: 1-line block ×7, first 2 shown]
.LBB14_20:
	s_or_b32 exec_lo, exec_lo, s0
	s_mov_b32 s0, exec_lo
	s_waitcnt lgkmcnt(0)
	s_waitcnt_vscnt null, 0x0
	s_barrier
	buffer_gl0_inv
	v_cmpx_lt_i32_e32 0, v48
	s_cbranch_execz .LBB14_22
; %bb.21:
	v_mul_f64 v[42:43], v[34:35], v[32:33]
	v_mul_f64 v[32:33], v[36:37], v[32:33]
	v_fma_f64 v[42:43], v[36:37], v[30:31], v[42:43]
	v_fma_f64 v[30:31], v[34:35], v[30:31], -v[32:33]
	ds_read2_b64 v[32:35], v1 offset0:2 offset1:3
	s_waitcnt lgkmcnt(0)
	v_mul_f64 v[36:37], v[34:35], v[42:43]
	v_fma_f64 v[36:37], v[32:33], v[30:31], -v[36:37]
	v_mul_f64 v[32:33], v[32:33], v[42:43]
	v_add_f64 v[26:27], v[26:27], -v[36:37]
	v_fma_f64 v[32:33], v[34:35], v[30:31], v[32:33]
	v_add_f64 v[28:29], v[28:29], -v[32:33]
	ds_read2_b64 v[32:35], v1 offset0:4 offset1:5
	s_waitcnt lgkmcnt(0)
	v_mul_f64 v[36:37], v[34:35], v[42:43]
	v_fma_f64 v[36:37], v[32:33], v[30:31], -v[36:37]
	v_mul_f64 v[32:33], v[32:33], v[42:43]
	v_add_f64 v[22:23], v[22:23], -v[36:37]
	v_fma_f64 v[32:33], v[34:35], v[30:31], v[32:33]
	v_add_f64 v[24:25], v[24:25], -v[32:33]
	ds_read2_b64 v[32:35], v1 offset0:6 offset1:7
	s_waitcnt lgkmcnt(0)
	v_mul_f64 v[36:37], v[34:35], v[42:43]
	v_fma_f64 v[36:37], v[32:33], v[30:31], -v[36:37]
	v_mul_f64 v[32:33], v[32:33], v[42:43]
	v_add_f64 v[2:3], v[2:3], -v[36:37]
	v_fma_f64 v[32:33], v[34:35], v[30:31], v[32:33]
	v_add_f64 v[4:5], v[4:5], -v[32:33]
	ds_read2_b64 v[32:35], v1 offset0:8 offset1:9
	s_waitcnt lgkmcnt(0)
	v_mul_f64 v[36:37], v[34:35], v[42:43]
	v_fma_f64 v[36:37], v[32:33], v[30:31], -v[36:37]
	v_mul_f64 v[32:33], v[32:33], v[42:43]
	v_add_f64 v[14:15], v[14:15], -v[36:37]
	v_fma_f64 v[32:33], v[34:35], v[30:31], v[32:33]
	v_add_f64 v[16:17], v[16:17], -v[32:33]
	ds_read2_b64 v[32:35], v1 offset0:10 offset1:11
	s_waitcnt lgkmcnt(0)
	v_mul_f64 v[36:37], v[34:35], v[42:43]
	v_fma_f64 v[36:37], v[32:33], v[30:31], -v[36:37]
	v_mul_f64 v[32:33], v[32:33], v[42:43]
	v_add_f64 v[10:11], v[10:11], -v[36:37]
	v_fma_f64 v[32:33], v[34:35], v[30:31], v[32:33]
	v_add_f64 v[12:13], v[12:13], -v[32:33]
	ds_read2_b64 v[32:35], v1 offset0:12 offset1:13
	s_waitcnt lgkmcnt(0)
	v_mul_f64 v[36:37], v[34:35], v[42:43]
	v_fma_f64 v[36:37], v[32:33], v[30:31], -v[36:37]
	v_mul_f64 v[32:33], v[32:33], v[42:43]
	v_add_f64 v[18:19], v[18:19], -v[36:37]
	v_fma_f64 v[32:33], v[34:35], v[30:31], v[32:33]
	v_add_f64 v[20:21], v[20:21], -v[32:33]
	ds_read2_b64 v[32:35], v1 offset0:14 offset1:15
	s_waitcnt lgkmcnt(0)
	v_mul_f64 v[36:37], v[34:35], v[42:43]
	v_fma_f64 v[36:37], v[32:33], v[30:31], -v[36:37]
	v_mul_f64 v[32:33], v[32:33], v[42:43]
	v_add_f64 v[6:7], v[6:7], -v[36:37]
	v_fma_f64 v[32:33], v[34:35], v[30:31], v[32:33]
	v_add_f64 v[8:9], v[8:9], -v[32:33]
	v_mov_b32_e32 v32, v42
	v_mov_b32_e32 v33, v43
.LBB14_22:
	s_or_b32 exec_lo, exec_lo, s0
	v_lshl_add_u32 v34, v48, 4, v1
	s_barrier
	buffer_gl0_inv
	v_mov_b32_e32 v42, 1
	ds_write2_b64 v34, v[26:27], v[28:29] offset1:1
	s_waitcnt lgkmcnt(0)
	s_barrier
	buffer_gl0_inv
	ds_read2_b64 v[34:37], v1 offset0:2 offset1:3
	s_cmp_lt_i32 s1, 3
	s_cbranch_scc1 .LBB14_25
; %bb.23:
	v_add3_u32 v43, v44, 0, 32
	v_mov_b32_e32 v42, 1
	s_mov_b32 s7, 2
	s_inst_prefetch 0x1
	.p2align	6
.LBB14_24:                              ; =>This Inner Loop Header: Depth=1
	s_waitcnt lgkmcnt(0)
	v_cmp_gt_f64_e32 vcc_lo, 0, v[36:37]
	v_cmp_gt_f64_e64 s0, 0, v[34:35]
	ds_read2_b64 v[50:53], v43 offset1:1
	v_xor_b32_e32 v55, 0x80000000, v35
	v_xor_b32_e32 v57, 0x80000000, v37
	v_mov_b32_e32 v54, v34
	v_mov_b32_e32 v56, v36
	v_add_nc_u32_e32 v43, 16, v43
	s_waitcnt lgkmcnt(0)
	v_xor_b32_e32 v59, 0x80000000, v53
	v_cndmask_b32_e64 v55, v35, v55, s0
	v_cndmask_b32_e32 v57, v37, v57, vcc_lo
	v_cmp_gt_f64_e32 vcc_lo, 0, v[52:53]
	v_cmp_gt_f64_e64 s0, 0, v[50:51]
	v_mov_b32_e32 v58, v52
	v_add_f64 v[54:55], v[54:55], v[56:57]
	v_xor_b32_e32 v57, 0x80000000, v51
	v_mov_b32_e32 v56, v50
	v_cndmask_b32_e32 v59, v53, v59, vcc_lo
	v_cndmask_b32_e64 v57, v51, v57, s0
	v_add_f64 v[56:57], v[56:57], v[58:59]
	v_cmp_lt_f64_e32 vcc_lo, v[54:55], v[56:57]
	v_cndmask_b32_e32 v35, v35, v51, vcc_lo
	v_cndmask_b32_e32 v34, v34, v50, vcc_lo
	;; [unrolled: 1-line block ×4, first 2 shown]
	v_cndmask_b32_e64 v42, v42, s7, vcc_lo
	s_add_i32 s7, s7, 1
	s_cmp_lg_u32 s1, s7
	s_cbranch_scc1 .LBB14_24
.LBB14_25:
	s_inst_prefetch 0x2
	s_waitcnt lgkmcnt(0)
	v_cmp_neq_f64_e32 vcc_lo, 0, v[34:35]
	v_cmp_neq_f64_e64 s0, 0, v[36:37]
	s_or_b32 s7, vcc_lo, s0
	s_and_saveexec_b32 s0, s7
	s_cbranch_execz .LBB14_31
; %bb.26:
	v_cmp_ngt_f64_e64 s7, |v[34:35]|, |v[36:37]|
	s_and_saveexec_b32 s8, s7
	s_xor_b32 s7, exec_lo, s8
	s_cbranch_execz .LBB14_28
; %bb.27:
	v_div_scale_f64 v[50:51], null, v[36:37], v[36:37], v[34:35]
	v_div_scale_f64 v[56:57], vcc_lo, v[34:35], v[36:37], v[34:35]
	v_rcp_f64_e32 v[52:53], v[50:51]
	v_fma_f64 v[54:55], -v[50:51], v[52:53], 1.0
	v_fma_f64 v[52:53], v[52:53], v[54:55], v[52:53]
	v_fma_f64 v[54:55], -v[50:51], v[52:53], 1.0
	v_fma_f64 v[52:53], v[52:53], v[54:55], v[52:53]
	v_mul_f64 v[54:55], v[56:57], v[52:53]
	v_fma_f64 v[50:51], -v[50:51], v[54:55], v[56:57]
	v_div_fmas_f64 v[50:51], v[50:51], v[52:53], v[54:55]
	v_div_fixup_f64 v[50:51], v[50:51], v[36:37], v[34:35]
	v_fma_f64 v[34:35], v[34:35], v[50:51], v[36:37]
	v_div_scale_f64 v[36:37], null, v[34:35], v[34:35], 1.0
	v_rcp_f64_e32 v[52:53], v[36:37]
	v_fma_f64 v[54:55], -v[36:37], v[52:53], 1.0
	v_fma_f64 v[52:53], v[52:53], v[54:55], v[52:53]
	v_fma_f64 v[54:55], -v[36:37], v[52:53], 1.0
	v_fma_f64 v[52:53], v[52:53], v[54:55], v[52:53]
	v_div_scale_f64 v[54:55], vcc_lo, 1.0, v[34:35], 1.0
	v_mul_f64 v[56:57], v[54:55], v[52:53]
	v_fma_f64 v[36:37], -v[36:37], v[56:57], v[54:55]
	v_div_fmas_f64 v[36:37], v[36:37], v[52:53], v[56:57]
	v_div_fixup_f64 v[36:37], v[36:37], v[34:35], 1.0
	v_mul_f64 v[34:35], v[50:51], v[36:37]
	v_xor_b32_e32 v37, 0x80000000, v37
.LBB14_28:
	s_andn2_saveexec_b32 s7, s7
	s_cbranch_execz .LBB14_30
; %bb.29:
	v_div_scale_f64 v[50:51], null, v[34:35], v[34:35], v[36:37]
	v_div_scale_f64 v[56:57], vcc_lo, v[36:37], v[34:35], v[36:37]
	v_rcp_f64_e32 v[52:53], v[50:51]
	v_fma_f64 v[54:55], -v[50:51], v[52:53], 1.0
	v_fma_f64 v[52:53], v[52:53], v[54:55], v[52:53]
	v_fma_f64 v[54:55], -v[50:51], v[52:53], 1.0
	v_fma_f64 v[52:53], v[52:53], v[54:55], v[52:53]
	v_mul_f64 v[54:55], v[56:57], v[52:53]
	v_fma_f64 v[50:51], -v[50:51], v[54:55], v[56:57]
	v_div_fmas_f64 v[50:51], v[50:51], v[52:53], v[54:55]
	v_div_fixup_f64 v[50:51], v[50:51], v[34:35], v[36:37]
	v_fma_f64 v[34:35], v[36:37], v[50:51], v[34:35]
	v_div_scale_f64 v[36:37], null, v[34:35], v[34:35], 1.0
	v_rcp_f64_e32 v[52:53], v[36:37]
	v_fma_f64 v[54:55], -v[36:37], v[52:53], 1.0
	v_fma_f64 v[52:53], v[52:53], v[54:55], v[52:53]
	v_fma_f64 v[54:55], -v[36:37], v[52:53], 1.0
	v_fma_f64 v[52:53], v[52:53], v[54:55], v[52:53]
	v_div_scale_f64 v[54:55], vcc_lo, 1.0, v[34:35], 1.0
	v_mul_f64 v[56:57], v[54:55], v[52:53]
	v_fma_f64 v[36:37], -v[36:37], v[56:57], v[54:55]
	v_div_fmas_f64 v[36:37], v[36:37], v[52:53], v[56:57]
	v_div_fixup_f64 v[34:35], v[36:37], v[34:35], 1.0
	v_mul_f64 v[36:37], v[50:51], -v[34:35]
.LBB14_30:
	s_or_b32 exec_lo, exec_lo, s7
	v_mov_b32_e32 v47, v49
.LBB14_31:
	s_or_b32 exec_lo, exec_lo, s0
	s_mov_b32 s0, exec_lo
	v_cmpx_ne_u32_e64 v48, v42
	s_xor_b32 s0, exec_lo, s0
	s_cbranch_execz .LBB14_37
; %bb.32:
	s_mov_b32 s7, exec_lo
	v_cmpx_eq_u32_e32 1, v48
	s_cbranch_execz .LBB14_36
; %bb.33:
	v_cmp_ne_u32_e32 vcc_lo, 1, v42
	s_xor_b32 s8, s16, -1
	s_and_b32 s9, s8, vcc_lo
	s_and_saveexec_b32 s8, s9
	s_cbranch_execz .LBB14_35
; %bb.34:
	v_ashrrev_i32_e32 v43, 31, v42
	v_lshlrev_b64 v[48:49], 2, v[42:43]
	v_add_co_u32 v48, vcc_lo, v40, v48
	v_add_co_ci_u32_e64 v49, null, v41, v49, vcc_lo
	s_clause 0x1
	global_load_dword v0, v[48:49], off
	global_load_dword v43, v[40:41], off offset:4
	s_waitcnt vmcnt(1)
	global_store_dword v[40:41], v0, off offset:4
	s_waitcnt vmcnt(0)
	global_store_dword v[48:49], v43, off
.LBB14_35:
	s_or_b32 exec_lo, exec_lo, s8
	v_mov_b32_e32 v48, v42
	v_mov_b32_e32 v0, v42
.LBB14_36:
	s_or_b32 exec_lo, exec_lo, s7
.LBB14_37:
	s_andn2_saveexec_b32 s0, s0
	s_cbranch_execz .LBB14_39
; %bb.38:
	v_mov_b32_e32 v48, 1
	ds_write2_b64 v1, v[22:23], v[24:25] offset0:4 offset1:5
	ds_write2_b64 v1, v[2:3], v[4:5] offset0:6 offset1:7
	ds_write2_b64 v1, v[14:15], v[16:17] offset0:8 offset1:9
	ds_write2_b64 v1, v[10:11], v[12:13] offset0:10 offset1:11
	ds_write2_b64 v1, v[18:19], v[20:21] offset0:12 offset1:13
	ds_write2_b64 v1, v[6:7], v[8:9] offset0:14 offset1:15
.LBB14_39:
	s_or_b32 exec_lo, exec_lo, s0
	s_mov_b32 s0, exec_lo
	s_waitcnt lgkmcnt(0)
	s_waitcnt_vscnt null, 0x0
	s_barrier
	buffer_gl0_inv
	v_cmpx_lt_i32_e32 1, v48
	s_cbranch_execz .LBB14_41
; %bb.40:
	v_mul_f64 v[42:43], v[34:35], v[28:29]
	v_mul_f64 v[28:29], v[36:37], v[28:29]
	v_fma_f64 v[42:43], v[36:37], v[26:27], v[42:43]
	v_fma_f64 v[26:27], v[34:35], v[26:27], -v[28:29]
	ds_read2_b64 v[34:37], v1 offset0:4 offset1:5
	s_waitcnt lgkmcnt(0)
	v_mul_f64 v[28:29], v[36:37], v[42:43]
	v_fma_f64 v[28:29], v[34:35], v[26:27], -v[28:29]
	v_mul_f64 v[34:35], v[34:35], v[42:43]
	v_add_f64 v[22:23], v[22:23], -v[28:29]
	v_fma_f64 v[34:35], v[36:37], v[26:27], v[34:35]
	v_add_f64 v[24:25], v[24:25], -v[34:35]
	ds_read2_b64 v[34:37], v1 offset0:6 offset1:7
	s_waitcnt lgkmcnt(0)
	v_mul_f64 v[28:29], v[36:37], v[42:43]
	v_fma_f64 v[28:29], v[34:35], v[26:27], -v[28:29]
	v_mul_f64 v[34:35], v[34:35], v[42:43]
	v_add_f64 v[2:3], v[2:3], -v[28:29]
	v_fma_f64 v[34:35], v[36:37], v[26:27], v[34:35]
	v_add_f64 v[4:5], v[4:5], -v[34:35]
	ds_read2_b64 v[34:37], v1 offset0:8 offset1:9
	s_waitcnt lgkmcnt(0)
	v_mul_f64 v[28:29], v[36:37], v[42:43]
	v_fma_f64 v[28:29], v[34:35], v[26:27], -v[28:29]
	v_mul_f64 v[34:35], v[34:35], v[42:43]
	v_add_f64 v[14:15], v[14:15], -v[28:29]
	v_fma_f64 v[34:35], v[36:37], v[26:27], v[34:35]
	v_add_f64 v[16:17], v[16:17], -v[34:35]
	ds_read2_b64 v[34:37], v1 offset0:10 offset1:11
	s_waitcnt lgkmcnt(0)
	v_mul_f64 v[28:29], v[36:37], v[42:43]
	v_fma_f64 v[28:29], v[34:35], v[26:27], -v[28:29]
	v_mul_f64 v[34:35], v[34:35], v[42:43]
	v_add_f64 v[10:11], v[10:11], -v[28:29]
	v_fma_f64 v[34:35], v[36:37], v[26:27], v[34:35]
	v_add_f64 v[12:13], v[12:13], -v[34:35]
	ds_read2_b64 v[34:37], v1 offset0:12 offset1:13
	s_waitcnt lgkmcnt(0)
	v_mul_f64 v[28:29], v[36:37], v[42:43]
	v_fma_f64 v[28:29], v[34:35], v[26:27], -v[28:29]
	v_mul_f64 v[34:35], v[34:35], v[42:43]
	v_add_f64 v[18:19], v[18:19], -v[28:29]
	v_fma_f64 v[34:35], v[36:37], v[26:27], v[34:35]
	v_add_f64 v[20:21], v[20:21], -v[34:35]
	ds_read2_b64 v[34:37], v1 offset0:14 offset1:15
	s_waitcnt lgkmcnt(0)
	v_mul_f64 v[28:29], v[36:37], v[42:43]
	v_fma_f64 v[28:29], v[34:35], v[26:27], -v[28:29]
	v_mul_f64 v[34:35], v[34:35], v[42:43]
	v_add_f64 v[6:7], v[6:7], -v[28:29]
	v_fma_f64 v[34:35], v[36:37], v[26:27], v[34:35]
	v_mov_b32_e32 v28, v42
	v_mov_b32_e32 v29, v43
	v_add_f64 v[8:9], v[8:9], -v[34:35]
.LBB14_41:
	s_or_b32 exec_lo, exec_lo, s0
	v_lshl_add_u32 v34, v48, 4, v1
	s_barrier
	buffer_gl0_inv
	v_mov_b32_e32 v42, 2
	ds_write2_b64 v34, v[22:23], v[24:25] offset1:1
	s_waitcnt lgkmcnt(0)
	s_barrier
	buffer_gl0_inv
	ds_read2_b64 v[34:37], v1 offset0:4 offset1:5
	s_cmp_lt_i32 s1, 4
	s_cbranch_scc1 .LBB14_44
; %bb.42:
	v_add3_u32 v43, v44, 0, 48
	v_mov_b32_e32 v42, 2
	s_mov_b32 s7, 3
	s_inst_prefetch 0x1
	.p2align	6
.LBB14_43:                              ; =>This Inner Loop Header: Depth=1
	s_waitcnt lgkmcnt(0)
	v_cmp_gt_f64_e32 vcc_lo, 0, v[36:37]
	v_cmp_gt_f64_e64 s0, 0, v[34:35]
	ds_read2_b64 v[49:52], v43 offset1:1
	v_xor_b32_e32 v54, 0x80000000, v35
	v_xor_b32_e32 v56, 0x80000000, v37
	v_mov_b32_e32 v53, v34
	v_mov_b32_e32 v55, v36
	v_add_nc_u32_e32 v43, 16, v43
	s_waitcnt lgkmcnt(0)
	v_xor_b32_e32 v58, 0x80000000, v52
	v_cndmask_b32_e64 v54, v35, v54, s0
	v_cndmask_b32_e32 v56, v37, v56, vcc_lo
	v_cmp_gt_f64_e32 vcc_lo, 0, v[51:52]
	v_cmp_gt_f64_e64 s0, 0, v[49:50]
	v_mov_b32_e32 v57, v51
	v_add_f64 v[53:54], v[53:54], v[55:56]
	v_xor_b32_e32 v56, 0x80000000, v50
	v_mov_b32_e32 v55, v49
	v_cndmask_b32_e32 v58, v52, v58, vcc_lo
	v_cndmask_b32_e64 v56, v50, v56, s0
	v_add_f64 v[55:56], v[55:56], v[57:58]
	v_cmp_lt_f64_e32 vcc_lo, v[53:54], v[55:56]
	v_cndmask_b32_e32 v35, v35, v50, vcc_lo
	v_cndmask_b32_e32 v34, v34, v49, vcc_lo
	;; [unrolled: 1-line block ×4, first 2 shown]
	v_cndmask_b32_e64 v42, v42, s7, vcc_lo
	s_add_i32 s7, s7, 1
	s_cmp_lg_u32 s1, s7
	s_cbranch_scc1 .LBB14_43
.LBB14_44:
	s_inst_prefetch 0x2
	s_waitcnt lgkmcnt(0)
	v_cmp_eq_f64_e32 vcc_lo, 0, v[34:35]
	v_cmp_eq_f64_e64 s0, 0, v[36:37]
	s_and_b32 s0, vcc_lo, s0
	s_and_saveexec_b32 s7, s0
	s_xor_b32 s0, exec_lo, s7
; %bb.45:
	v_cmp_ne_u32_e32 vcc_lo, 0, v47
	v_cndmask_b32_e32 v47, 3, v47, vcc_lo
; %bb.46:
	s_andn2_saveexec_b32 s0, s0
	s_cbranch_execz .LBB14_52
; %bb.47:
	v_cmp_ngt_f64_e64 s7, |v[34:35]|, |v[36:37]|
	s_and_saveexec_b32 s8, s7
	s_xor_b32 s7, exec_lo, s8
	s_cbranch_execz .LBB14_49
; %bb.48:
	v_div_scale_f64 v[49:50], null, v[36:37], v[36:37], v[34:35]
	v_div_scale_f64 v[55:56], vcc_lo, v[34:35], v[36:37], v[34:35]
	v_rcp_f64_e32 v[51:52], v[49:50]
	v_fma_f64 v[53:54], -v[49:50], v[51:52], 1.0
	v_fma_f64 v[51:52], v[51:52], v[53:54], v[51:52]
	v_fma_f64 v[53:54], -v[49:50], v[51:52], 1.0
	v_fma_f64 v[51:52], v[51:52], v[53:54], v[51:52]
	v_mul_f64 v[53:54], v[55:56], v[51:52]
	v_fma_f64 v[49:50], -v[49:50], v[53:54], v[55:56]
	v_div_fmas_f64 v[49:50], v[49:50], v[51:52], v[53:54]
	v_div_fixup_f64 v[49:50], v[49:50], v[36:37], v[34:35]
	v_fma_f64 v[34:35], v[34:35], v[49:50], v[36:37]
	v_div_scale_f64 v[36:37], null, v[34:35], v[34:35], 1.0
	v_rcp_f64_e32 v[51:52], v[36:37]
	v_fma_f64 v[53:54], -v[36:37], v[51:52], 1.0
	v_fma_f64 v[51:52], v[51:52], v[53:54], v[51:52]
	v_fma_f64 v[53:54], -v[36:37], v[51:52], 1.0
	v_fma_f64 v[51:52], v[51:52], v[53:54], v[51:52]
	v_div_scale_f64 v[53:54], vcc_lo, 1.0, v[34:35], 1.0
	v_mul_f64 v[55:56], v[53:54], v[51:52]
	v_fma_f64 v[36:37], -v[36:37], v[55:56], v[53:54]
	v_div_fmas_f64 v[36:37], v[36:37], v[51:52], v[55:56]
	v_div_fixup_f64 v[36:37], v[36:37], v[34:35], 1.0
	v_mul_f64 v[34:35], v[49:50], v[36:37]
	v_xor_b32_e32 v37, 0x80000000, v37
.LBB14_49:
	s_andn2_saveexec_b32 s7, s7
	s_cbranch_execz .LBB14_51
; %bb.50:
	v_div_scale_f64 v[49:50], null, v[34:35], v[34:35], v[36:37]
	v_div_scale_f64 v[55:56], vcc_lo, v[36:37], v[34:35], v[36:37]
	v_rcp_f64_e32 v[51:52], v[49:50]
	v_fma_f64 v[53:54], -v[49:50], v[51:52], 1.0
	v_fma_f64 v[51:52], v[51:52], v[53:54], v[51:52]
	v_fma_f64 v[53:54], -v[49:50], v[51:52], 1.0
	v_fma_f64 v[51:52], v[51:52], v[53:54], v[51:52]
	v_mul_f64 v[53:54], v[55:56], v[51:52]
	v_fma_f64 v[49:50], -v[49:50], v[53:54], v[55:56]
	v_div_fmas_f64 v[49:50], v[49:50], v[51:52], v[53:54]
	v_div_fixup_f64 v[49:50], v[49:50], v[34:35], v[36:37]
	v_fma_f64 v[34:35], v[36:37], v[49:50], v[34:35]
	v_div_scale_f64 v[36:37], null, v[34:35], v[34:35], 1.0
	v_rcp_f64_e32 v[51:52], v[36:37]
	v_fma_f64 v[53:54], -v[36:37], v[51:52], 1.0
	v_fma_f64 v[51:52], v[51:52], v[53:54], v[51:52]
	v_fma_f64 v[53:54], -v[36:37], v[51:52], 1.0
	v_fma_f64 v[51:52], v[51:52], v[53:54], v[51:52]
	v_div_scale_f64 v[53:54], vcc_lo, 1.0, v[34:35], 1.0
	v_mul_f64 v[55:56], v[53:54], v[51:52]
	v_fma_f64 v[36:37], -v[36:37], v[55:56], v[53:54]
	v_div_fmas_f64 v[36:37], v[36:37], v[51:52], v[55:56]
	v_div_fixup_f64 v[34:35], v[36:37], v[34:35], 1.0
	v_mul_f64 v[36:37], v[49:50], -v[34:35]
.LBB14_51:
	s_or_b32 exec_lo, exec_lo, s7
.LBB14_52:
	s_or_b32 exec_lo, exec_lo, s0
	s_mov_b32 s0, exec_lo
	v_cmpx_ne_u32_e64 v48, v42
	s_xor_b32 s0, exec_lo, s0
	s_cbranch_execz .LBB14_58
; %bb.53:
	s_mov_b32 s7, exec_lo
	v_cmpx_eq_u32_e32 2, v48
	s_cbranch_execz .LBB14_57
; %bb.54:
	v_cmp_ne_u32_e32 vcc_lo, 2, v42
	s_xor_b32 s8, s16, -1
	s_and_b32 s9, s8, vcc_lo
	s_and_saveexec_b32 s8, s9
	s_cbranch_execz .LBB14_56
; %bb.55:
	v_ashrrev_i32_e32 v43, 31, v42
	v_lshlrev_b64 v[48:49], 2, v[42:43]
	v_add_co_u32 v48, vcc_lo, v40, v48
	v_add_co_ci_u32_e64 v49, null, v41, v49, vcc_lo
	s_clause 0x1
	global_load_dword v0, v[48:49], off
	global_load_dword v43, v[40:41], off offset:8
	s_waitcnt vmcnt(1)
	global_store_dword v[40:41], v0, off offset:8
	s_waitcnt vmcnt(0)
	global_store_dword v[48:49], v43, off
.LBB14_56:
	s_or_b32 exec_lo, exec_lo, s8
	v_mov_b32_e32 v48, v42
	v_mov_b32_e32 v0, v42
.LBB14_57:
	s_or_b32 exec_lo, exec_lo, s7
.LBB14_58:
	s_andn2_saveexec_b32 s0, s0
	s_cbranch_execz .LBB14_60
; %bb.59:
	v_mov_b32_e32 v48, 2
	ds_write2_b64 v1, v[2:3], v[4:5] offset0:6 offset1:7
	ds_write2_b64 v1, v[14:15], v[16:17] offset0:8 offset1:9
	;; [unrolled: 1-line block ×5, first 2 shown]
.LBB14_60:
	s_or_b32 exec_lo, exec_lo, s0
	s_mov_b32 s0, exec_lo
	s_waitcnt lgkmcnt(0)
	s_waitcnt_vscnt null, 0x0
	s_barrier
	buffer_gl0_inv
	v_cmpx_lt_i32_e32 2, v48
	s_cbranch_execz .LBB14_62
; %bb.61:
	v_mul_f64 v[42:43], v[34:35], v[24:25]
	v_mul_f64 v[24:25], v[36:37], v[24:25]
	v_fma_f64 v[42:43], v[36:37], v[22:23], v[42:43]
	v_fma_f64 v[22:23], v[34:35], v[22:23], -v[24:25]
	ds_read2_b64 v[34:37], v1 offset0:6 offset1:7
	s_waitcnt lgkmcnt(0)
	v_mul_f64 v[24:25], v[36:37], v[42:43]
	v_fma_f64 v[24:25], v[34:35], v[22:23], -v[24:25]
	v_mul_f64 v[34:35], v[34:35], v[42:43]
	v_add_f64 v[2:3], v[2:3], -v[24:25]
	v_fma_f64 v[34:35], v[36:37], v[22:23], v[34:35]
	v_add_f64 v[4:5], v[4:5], -v[34:35]
	ds_read2_b64 v[34:37], v1 offset0:8 offset1:9
	s_waitcnt lgkmcnt(0)
	v_mul_f64 v[24:25], v[36:37], v[42:43]
	v_fma_f64 v[24:25], v[34:35], v[22:23], -v[24:25]
	v_mul_f64 v[34:35], v[34:35], v[42:43]
	v_add_f64 v[14:15], v[14:15], -v[24:25]
	v_fma_f64 v[34:35], v[36:37], v[22:23], v[34:35]
	v_add_f64 v[16:17], v[16:17], -v[34:35]
	;; [unrolled: 8-line block ×4, first 2 shown]
	ds_read2_b64 v[34:37], v1 offset0:14 offset1:15
	s_waitcnt lgkmcnt(0)
	v_mul_f64 v[24:25], v[36:37], v[42:43]
	v_fma_f64 v[24:25], v[34:35], v[22:23], -v[24:25]
	v_mul_f64 v[34:35], v[34:35], v[42:43]
	v_add_f64 v[6:7], v[6:7], -v[24:25]
	v_fma_f64 v[34:35], v[36:37], v[22:23], v[34:35]
	v_mov_b32_e32 v24, v42
	v_mov_b32_e32 v25, v43
	v_add_f64 v[8:9], v[8:9], -v[34:35]
.LBB14_62:
	s_or_b32 exec_lo, exec_lo, s0
	v_lshl_add_u32 v34, v48, 4, v1
	s_barrier
	buffer_gl0_inv
	v_mov_b32_e32 v42, 3
	ds_write2_b64 v34, v[2:3], v[4:5] offset1:1
	s_waitcnt lgkmcnt(0)
	s_barrier
	buffer_gl0_inv
	ds_read2_b64 v[34:37], v1 offset0:6 offset1:7
	s_cmp_lt_i32 s1, 5
	s_mov_b32 s7, 4
	s_cbranch_scc1 .LBB14_65
; %bb.63:
	v_add3_u32 v43, v44, 0, 64
	v_mov_b32_e32 v42, 3
	s_inst_prefetch 0x1
	.p2align	6
.LBB14_64:                              ; =>This Inner Loop Header: Depth=1
	s_waitcnt lgkmcnt(0)
	v_cmp_gt_f64_e32 vcc_lo, 0, v[36:37]
	v_cmp_gt_f64_e64 s0, 0, v[34:35]
	ds_read2_b64 v[49:52], v43 offset1:1
	v_xor_b32_e32 v54, 0x80000000, v35
	v_xor_b32_e32 v56, 0x80000000, v37
	v_mov_b32_e32 v53, v34
	v_mov_b32_e32 v55, v36
	v_add_nc_u32_e32 v43, 16, v43
	s_waitcnt lgkmcnt(0)
	v_xor_b32_e32 v58, 0x80000000, v52
	v_cndmask_b32_e64 v54, v35, v54, s0
	v_cndmask_b32_e32 v56, v37, v56, vcc_lo
	v_cmp_gt_f64_e32 vcc_lo, 0, v[51:52]
	v_cmp_gt_f64_e64 s0, 0, v[49:50]
	v_mov_b32_e32 v57, v51
	v_add_f64 v[53:54], v[53:54], v[55:56]
	v_xor_b32_e32 v56, 0x80000000, v50
	v_mov_b32_e32 v55, v49
	v_cndmask_b32_e32 v58, v52, v58, vcc_lo
	v_cndmask_b32_e64 v56, v50, v56, s0
	v_add_f64 v[55:56], v[55:56], v[57:58]
	v_cmp_lt_f64_e32 vcc_lo, v[53:54], v[55:56]
	v_cndmask_b32_e32 v35, v35, v50, vcc_lo
	v_cndmask_b32_e32 v34, v34, v49, vcc_lo
	v_cndmask_b32_e32 v37, v37, v52, vcc_lo
	v_cndmask_b32_e32 v36, v36, v51, vcc_lo
	v_cndmask_b32_e64 v42, v42, s7, vcc_lo
	s_add_i32 s7, s7, 1
	s_cmp_lg_u32 s1, s7
	s_cbranch_scc1 .LBB14_64
.LBB14_65:
	s_inst_prefetch 0x2
	s_waitcnt lgkmcnt(0)
	v_cmp_eq_f64_e32 vcc_lo, 0, v[34:35]
	v_cmp_eq_f64_e64 s0, 0, v[36:37]
	s_and_b32 s0, vcc_lo, s0
	s_and_saveexec_b32 s7, s0
	s_xor_b32 s0, exec_lo, s7
; %bb.66:
	v_cmp_ne_u32_e32 vcc_lo, 0, v47
	v_cndmask_b32_e32 v47, 4, v47, vcc_lo
; %bb.67:
	s_andn2_saveexec_b32 s0, s0
	s_cbranch_execz .LBB14_73
; %bb.68:
	v_cmp_ngt_f64_e64 s7, |v[34:35]|, |v[36:37]|
	s_and_saveexec_b32 s8, s7
	s_xor_b32 s7, exec_lo, s8
	s_cbranch_execz .LBB14_70
; %bb.69:
	v_div_scale_f64 v[49:50], null, v[36:37], v[36:37], v[34:35]
	v_div_scale_f64 v[55:56], vcc_lo, v[34:35], v[36:37], v[34:35]
	v_rcp_f64_e32 v[51:52], v[49:50]
	v_fma_f64 v[53:54], -v[49:50], v[51:52], 1.0
	v_fma_f64 v[51:52], v[51:52], v[53:54], v[51:52]
	v_fma_f64 v[53:54], -v[49:50], v[51:52], 1.0
	v_fma_f64 v[51:52], v[51:52], v[53:54], v[51:52]
	v_mul_f64 v[53:54], v[55:56], v[51:52]
	v_fma_f64 v[49:50], -v[49:50], v[53:54], v[55:56]
	v_div_fmas_f64 v[49:50], v[49:50], v[51:52], v[53:54]
	v_div_fixup_f64 v[49:50], v[49:50], v[36:37], v[34:35]
	v_fma_f64 v[34:35], v[34:35], v[49:50], v[36:37]
	v_div_scale_f64 v[36:37], null, v[34:35], v[34:35], 1.0
	v_rcp_f64_e32 v[51:52], v[36:37]
	v_fma_f64 v[53:54], -v[36:37], v[51:52], 1.0
	v_fma_f64 v[51:52], v[51:52], v[53:54], v[51:52]
	v_fma_f64 v[53:54], -v[36:37], v[51:52], 1.0
	v_fma_f64 v[51:52], v[51:52], v[53:54], v[51:52]
	v_div_scale_f64 v[53:54], vcc_lo, 1.0, v[34:35], 1.0
	v_mul_f64 v[55:56], v[53:54], v[51:52]
	v_fma_f64 v[36:37], -v[36:37], v[55:56], v[53:54]
	v_div_fmas_f64 v[36:37], v[36:37], v[51:52], v[55:56]
	v_div_fixup_f64 v[36:37], v[36:37], v[34:35], 1.0
	v_mul_f64 v[34:35], v[49:50], v[36:37]
	v_xor_b32_e32 v37, 0x80000000, v37
.LBB14_70:
	s_andn2_saveexec_b32 s7, s7
	s_cbranch_execz .LBB14_72
; %bb.71:
	v_div_scale_f64 v[49:50], null, v[34:35], v[34:35], v[36:37]
	v_div_scale_f64 v[55:56], vcc_lo, v[36:37], v[34:35], v[36:37]
	v_rcp_f64_e32 v[51:52], v[49:50]
	v_fma_f64 v[53:54], -v[49:50], v[51:52], 1.0
	v_fma_f64 v[51:52], v[51:52], v[53:54], v[51:52]
	v_fma_f64 v[53:54], -v[49:50], v[51:52], 1.0
	v_fma_f64 v[51:52], v[51:52], v[53:54], v[51:52]
	v_mul_f64 v[53:54], v[55:56], v[51:52]
	v_fma_f64 v[49:50], -v[49:50], v[53:54], v[55:56]
	v_div_fmas_f64 v[49:50], v[49:50], v[51:52], v[53:54]
	v_div_fixup_f64 v[49:50], v[49:50], v[34:35], v[36:37]
	v_fma_f64 v[34:35], v[36:37], v[49:50], v[34:35]
	v_div_scale_f64 v[36:37], null, v[34:35], v[34:35], 1.0
	v_rcp_f64_e32 v[51:52], v[36:37]
	v_fma_f64 v[53:54], -v[36:37], v[51:52], 1.0
	v_fma_f64 v[51:52], v[51:52], v[53:54], v[51:52]
	v_fma_f64 v[53:54], -v[36:37], v[51:52], 1.0
	v_fma_f64 v[51:52], v[51:52], v[53:54], v[51:52]
	v_div_scale_f64 v[53:54], vcc_lo, 1.0, v[34:35], 1.0
	v_mul_f64 v[55:56], v[53:54], v[51:52]
	v_fma_f64 v[36:37], -v[36:37], v[55:56], v[53:54]
	v_div_fmas_f64 v[36:37], v[36:37], v[51:52], v[55:56]
	v_div_fixup_f64 v[34:35], v[36:37], v[34:35], 1.0
	v_mul_f64 v[36:37], v[49:50], -v[34:35]
.LBB14_72:
	s_or_b32 exec_lo, exec_lo, s7
.LBB14_73:
	s_or_b32 exec_lo, exec_lo, s0
	s_mov_b32 s0, exec_lo
	v_cmpx_ne_u32_e64 v48, v42
	s_xor_b32 s0, exec_lo, s0
	s_cbranch_execz .LBB14_79
; %bb.74:
	s_mov_b32 s7, exec_lo
	v_cmpx_eq_u32_e32 3, v48
	s_cbranch_execz .LBB14_78
; %bb.75:
	v_cmp_ne_u32_e32 vcc_lo, 3, v42
	s_xor_b32 s8, s16, -1
	s_and_b32 s9, s8, vcc_lo
	s_and_saveexec_b32 s8, s9
	s_cbranch_execz .LBB14_77
; %bb.76:
	v_ashrrev_i32_e32 v43, 31, v42
	v_lshlrev_b64 v[48:49], 2, v[42:43]
	v_add_co_u32 v48, vcc_lo, v40, v48
	v_add_co_ci_u32_e64 v49, null, v41, v49, vcc_lo
	s_clause 0x1
	global_load_dword v0, v[48:49], off
	global_load_dword v43, v[40:41], off offset:12
	s_waitcnt vmcnt(1)
	global_store_dword v[40:41], v0, off offset:12
	s_waitcnt vmcnt(0)
	global_store_dword v[48:49], v43, off
.LBB14_77:
	s_or_b32 exec_lo, exec_lo, s8
	v_mov_b32_e32 v48, v42
	v_mov_b32_e32 v0, v42
.LBB14_78:
	s_or_b32 exec_lo, exec_lo, s7
.LBB14_79:
	s_andn2_saveexec_b32 s0, s0
	s_cbranch_execz .LBB14_81
; %bb.80:
	v_mov_b32_e32 v48, 3
	ds_write2_b64 v1, v[14:15], v[16:17] offset0:8 offset1:9
	ds_write2_b64 v1, v[10:11], v[12:13] offset0:10 offset1:11
	;; [unrolled: 1-line block ×4, first 2 shown]
.LBB14_81:
	s_or_b32 exec_lo, exec_lo, s0
	s_mov_b32 s0, exec_lo
	s_waitcnt lgkmcnt(0)
	s_waitcnt_vscnt null, 0x0
	s_barrier
	buffer_gl0_inv
	v_cmpx_lt_i32_e32 3, v48
	s_cbranch_execz .LBB14_83
; %bb.82:
	v_mul_f64 v[42:43], v[34:35], v[4:5]
	v_mul_f64 v[4:5], v[36:37], v[4:5]
	v_fma_f64 v[42:43], v[36:37], v[2:3], v[42:43]
	v_fma_f64 v[2:3], v[34:35], v[2:3], -v[4:5]
	ds_read2_b64 v[34:37], v1 offset0:8 offset1:9
	s_waitcnt lgkmcnt(0)
	v_mul_f64 v[4:5], v[36:37], v[42:43]
	v_fma_f64 v[4:5], v[34:35], v[2:3], -v[4:5]
	v_mul_f64 v[34:35], v[34:35], v[42:43]
	v_add_f64 v[14:15], v[14:15], -v[4:5]
	v_fma_f64 v[34:35], v[36:37], v[2:3], v[34:35]
	v_add_f64 v[16:17], v[16:17], -v[34:35]
	ds_read2_b64 v[34:37], v1 offset0:10 offset1:11
	s_waitcnt lgkmcnt(0)
	v_mul_f64 v[4:5], v[36:37], v[42:43]
	v_fma_f64 v[4:5], v[34:35], v[2:3], -v[4:5]
	v_mul_f64 v[34:35], v[34:35], v[42:43]
	v_add_f64 v[10:11], v[10:11], -v[4:5]
	v_fma_f64 v[34:35], v[36:37], v[2:3], v[34:35]
	v_add_f64 v[12:13], v[12:13], -v[34:35]
	;; [unrolled: 8-line block ×3, first 2 shown]
	ds_read2_b64 v[34:37], v1 offset0:14 offset1:15
	s_waitcnt lgkmcnt(0)
	v_mul_f64 v[4:5], v[36:37], v[42:43]
	v_fma_f64 v[4:5], v[34:35], v[2:3], -v[4:5]
	v_mul_f64 v[34:35], v[34:35], v[42:43]
	v_add_f64 v[6:7], v[6:7], -v[4:5]
	v_fma_f64 v[34:35], v[36:37], v[2:3], v[34:35]
	v_mov_b32_e32 v4, v42
	v_mov_b32_e32 v5, v43
	v_add_f64 v[8:9], v[8:9], -v[34:35]
.LBB14_83:
	s_or_b32 exec_lo, exec_lo, s0
	v_lshl_add_u32 v34, v48, 4, v1
	s_barrier
	buffer_gl0_inv
	v_mov_b32_e32 v42, 4
	ds_write2_b64 v34, v[14:15], v[16:17] offset1:1
	s_waitcnt lgkmcnt(0)
	s_barrier
	buffer_gl0_inv
	ds_read2_b64 v[34:37], v1 offset0:8 offset1:9
	s_cmp_lt_i32 s1, 6
	s_cbranch_scc1 .LBB14_86
; %bb.84:
	v_mov_b32_e32 v42, 4
	v_add3_u32 v43, v44, 0, 0x50
	s_mov_b32 s7, 5
	s_inst_prefetch 0x1
	.p2align	6
.LBB14_85:                              ; =>This Inner Loop Header: Depth=1
	s_waitcnt lgkmcnt(0)
	v_cmp_gt_f64_e32 vcc_lo, 0, v[36:37]
	v_cmp_gt_f64_e64 s0, 0, v[34:35]
	ds_read2_b64 v[49:52], v43 offset1:1
	v_xor_b32_e32 v54, 0x80000000, v35
	v_xor_b32_e32 v56, 0x80000000, v37
	v_mov_b32_e32 v53, v34
	v_mov_b32_e32 v55, v36
	v_add_nc_u32_e32 v43, 16, v43
	s_waitcnt lgkmcnt(0)
	v_xor_b32_e32 v58, 0x80000000, v52
	v_cndmask_b32_e64 v54, v35, v54, s0
	v_cndmask_b32_e32 v56, v37, v56, vcc_lo
	v_cmp_gt_f64_e32 vcc_lo, 0, v[51:52]
	v_cmp_gt_f64_e64 s0, 0, v[49:50]
	v_mov_b32_e32 v57, v51
	v_add_f64 v[53:54], v[53:54], v[55:56]
	v_xor_b32_e32 v56, 0x80000000, v50
	v_mov_b32_e32 v55, v49
	v_cndmask_b32_e32 v58, v52, v58, vcc_lo
	v_cndmask_b32_e64 v56, v50, v56, s0
	v_add_f64 v[55:56], v[55:56], v[57:58]
	v_cmp_lt_f64_e32 vcc_lo, v[53:54], v[55:56]
	v_cndmask_b32_e32 v35, v35, v50, vcc_lo
	v_cndmask_b32_e32 v34, v34, v49, vcc_lo
	;; [unrolled: 1-line block ×4, first 2 shown]
	v_cndmask_b32_e64 v42, v42, s7, vcc_lo
	s_add_i32 s7, s7, 1
	s_cmp_lg_u32 s1, s7
	s_cbranch_scc1 .LBB14_85
.LBB14_86:
	s_inst_prefetch 0x2
	s_waitcnt lgkmcnt(0)
	v_cmp_eq_f64_e32 vcc_lo, 0, v[34:35]
	v_cmp_eq_f64_e64 s0, 0, v[36:37]
	s_and_b32 s0, vcc_lo, s0
	s_and_saveexec_b32 s7, s0
	s_xor_b32 s0, exec_lo, s7
; %bb.87:
	v_cmp_ne_u32_e32 vcc_lo, 0, v47
	v_cndmask_b32_e32 v47, 5, v47, vcc_lo
; %bb.88:
	s_andn2_saveexec_b32 s0, s0
	s_cbranch_execz .LBB14_94
; %bb.89:
	v_cmp_ngt_f64_e64 s7, |v[34:35]|, |v[36:37]|
	s_and_saveexec_b32 s8, s7
	s_xor_b32 s7, exec_lo, s8
	s_cbranch_execz .LBB14_91
; %bb.90:
	v_div_scale_f64 v[49:50], null, v[36:37], v[36:37], v[34:35]
	v_div_scale_f64 v[55:56], vcc_lo, v[34:35], v[36:37], v[34:35]
	v_rcp_f64_e32 v[51:52], v[49:50]
	v_fma_f64 v[53:54], -v[49:50], v[51:52], 1.0
	v_fma_f64 v[51:52], v[51:52], v[53:54], v[51:52]
	v_fma_f64 v[53:54], -v[49:50], v[51:52], 1.0
	v_fma_f64 v[51:52], v[51:52], v[53:54], v[51:52]
	v_mul_f64 v[53:54], v[55:56], v[51:52]
	v_fma_f64 v[49:50], -v[49:50], v[53:54], v[55:56]
	v_div_fmas_f64 v[49:50], v[49:50], v[51:52], v[53:54]
	v_div_fixup_f64 v[49:50], v[49:50], v[36:37], v[34:35]
	v_fma_f64 v[34:35], v[34:35], v[49:50], v[36:37]
	v_div_scale_f64 v[36:37], null, v[34:35], v[34:35], 1.0
	v_rcp_f64_e32 v[51:52], v[36:37]
	v_fma_f64 v[53:54], -v[36:37], v[51:52], 1.0
	v_fma_f64 v[51:52], v[51:52], v[53:54], v[51:52]
	v_fma_f64 v[53:54], -v[36:37], v[51:52], 1.0
	v_fma_f64 v[51:52], v[51:52], v[53:54], v[51:52]
	v_div_scale_f64 v[53:54], vcc_lo, 1.0, v[34:35], 1.0
	v_mul_f64 v[55:56], v[53:54], v[51:52]
	v_fma_f64 v[36:37], -v[36:37], v[55:56], v[53:54]
	v_div_fmas_f64 v[36:37], v[36:37], v[51:52], v[55:56]
	v_div_fixup_f64 v[36:37], v[36:37], v[34:35], 1.0
	v_mul_f64 v[34:35], v[49:50], v[36:37]
	v_xor_b32_e32 v37, 0x80000000, v37
.LBB14_91:
	s_andn2_saveexec_b32 s7, s7
	s_cbranch_execz .LBB14_93
; %bb.92:
	v_div_scale_f64 v[49:50], null, v[34:35], v[34:35], v[36:37]
	v_div_scale_f64 v[55:56], vcc_lo, v[36:37], v[34:35], v[36:37]
	v_rcp_f64_e32 v[51:52], v[49:50]
	v_fma_f64 v[53:54], -v[49:50], v[51:52], 1.0
	v_fma_f64 v[51:52], v[51:52], v[53:54], v[51:52]
	v_fma_f64 v[53:54], -v[49:50], v[51:52], 1.0
	v_fma_f64 v[51:52], v[51:52], v[53:54], v[51:52]
	v_mul_f64 v[53:54], v[55:56], v[51:52]
	v_fma_f64 v[49:50], -v[49:50], v[53:54], v[55:56]
	v_div_fmas_f64 v[49:50], v[49:50], v[51:52], v[53:54]
	v_div_fixup_f64 v[49:50], v[49:50], v[34:35], v[36:37]
	v_fma_f64 v[34:35], v[36:37], v[49:50], v[34:35]
	v_div_scale_f64 v[36:37], null, v[34:35], v[34:35], 1.0
	v_rcp_f64_e32 v[51:52], v[36:37]
	v_fma_f64 v[53:54], -v[36:37], v[51:52], 1.0
	v_fma_f64 v[51:52], v[51:52], v[53:54], v[51:52]
	v_fma_f64 v[53:54], -v[36:37], v[51:52], 1.0
	v_fma_f64 v[51:52], v[51:52], v[53:54], v[51:52]
	v_div_scale_f64 v[53:54], vcc_lo, 1.0, v[34:35], 1.0
	v_mul_f64 v[55:56], v[53:54], v[51:52]
	v_fma_f64 v[36:37], -v[36:37], v[55:56], v[53:54]
	v_div_fmas_f64 v[36:37], v[36:37], v[51:52], v[55:56]
	v_div_fixup_f64 v[34:35], v[36:37], v[34:35], 1.0
	v_mul_f64 v[36:37], v[49:50], -v[34:35]
.LBB14_93:
	s_or_b32 exec_lo, exec_lo, s7
.LBB14_94:
	s_or_b32 exec_lo, exec_lo, s0
	s_mov_b32 s0, exec_lo
	v_cmpx_ne_u32_e64 v48, v42
	s_xor_b32 s0, exec_lo, s0
	s_cbranch_execz .LBB14_100
; %bb.95:
	s_mov_b32 s7, exec_lo
	v_cmpx_eq_u32_e32 4, v48
	s_cbranch_execz .LBB14_99
; %bb.96:
	v_cmp_ne_u32_e32 vcc_lo, 4, v42
	s_xor_b32 s8, s16, -1
	s_and_b32 s9, s8, vcc_lo
	s_and_saveexec_b32 s8, s9
	s_cbranch_execz .LBB14_98
; %bb.97:
	v_ashrrev_i32_e32 v43, 31, v42
	v_lshlrev_b64 v[48:49], 2, v[42:43]
	v_add_co_u32 v48, vcc_lo, v40, v48
	v_add_co_ci_u32_e64 v49, null, v41, v49, vcc_lo
	s_clause 0x1
	global_load_dword v0, v[48:49], off
	global_load_dword v43, v[40:41], off offset:16
	s_waitcnt vmcnt(1)
	global_store_dword v[40:41], v0, off offset:16
	s_waitcnt vmcnt(0)
	global_store_dword v[48:49], v43, off
.LBB14_98:
	s_or_b32 exec_lo, exec_lo, s8
	v_mov_b32_e32 v48, v42
	v_mov_b32_e32 v0, v42
.LBB14_99:
	s_or_b32 exec_lo, exec_lo, s7
.LBB14_100:
	s_andn2_saveexec_b32 s0, s0
	s_cbranch_execz .LBB14_102
; %bb.101:
	v_mov_b32_e32 v48, 4
	ds_write2_b64 v1, v[10:11], v[12:13] offset0:10 offset1:11
	ds_write2_b64 v1, v[18:19], v[20:21] offset0:12 offset1:13
	;; [unrolled: 1-line block ×3, first 2 shown]
.LBB14_102:
	s_or_b32 exec_lo, exec_lo, s0
	s_mov_b32 s0, exec_lo
	s_waitcnt lgkmcnt(0)
	s_waitcnt_vscnt null, 0x0
	s_barrier
	buffer_gl0_inv
	v_cmpx_lt_i32_e32 4, v48
	s_cbranch_execz .LBB14_104
; %bb.103:
	v_mul_f64 v[42:43], v[34:35], v[16:17]
	v_mul_f64 v[16:17], v[36:37], v[16:17]
	v_fma_f64 v[42:43], v[36:37], v[14:15], v[42:43]
	v_fma_f64 v[14:15], v[34:35], v[14:15], -v[16:17]
	ds_read2_b64 v[34:37], v1 offset0:10 offset1:11
	s_waitcnt lgkmcnt(0)
	v_mul_f64 v[16:17], v[36:37], v[42:43]
	v_fma_f64 v[16:17], v[34:35], v[14:15], -v[16:17]
	v_mul_f64 v[34:35], v[34:35], v[42:43]
	v_add_f64 v[10:11], v[10:11], -v[16:17]
	v_fma_f64 v[34:35], v[36:37], v[14:15], v[34:35]
	v_add_f64 v[12:13], v[12:13], -v[34:35]
	ds_read2_b64 v[34:37], v1 offset0:12 offset1:13
	s_waitcnt lgkmcnt(0)
	v_mul_f64 v[16:17], v[36:37], v[42:43]
	v_fma_f64 v[16:17], v[34:35], v[14:15], -v[16:17]
	v_mul_f64 v[34:35], v[34:35], v[42:43]
	v_add_f64 v[18:19], v[18:19], -v[16:17]
	v_fma_f64 v[34:35], v[36:37], v[14:15], v[34:35]
	v_add_f64 v[20:21], v[20:21], -v[34:35]
	ds_read2_b64 v[34:37], v1 offset0:14 offset1:15
	s_waitcnt lgkmcnt(0)
	v_mul_f64 v[16:17], v[36:37], v[42:43]
	v_fma_f64 v[16:17], v[34:35], v[14:15], -v[16:17]
	v_mul_f64 v[34:35], v[34:35], v[42:43]
	v_add_f64 v[6:7], v[6:7], -v[16:17]
	v_fma_f64 v[34:35], v[36:37], v[14:15], v[34:35]
	v_mov_b32_e32 v16, v42
	v_mov_b32_e32 v17, v43
	v_add_f64 v[8:9], v[8:9], -v[34:35]
.LBB14_104:
	s_or_b32 exec_lo, exec_lo, s0
	v_lshl_add_u32 v34, v48, 4, v1
	s_barrier
	buffer_gl0_inv
	v_mov_b32_e32 v42, 5
	ds_write2_b64 v34, v[10:11], v[12:13] offset1:1
	s_waitcnt lgkmcnt(0)
	s_barrier
	buffer_gl0_inv
	ds_read2_b64 v[34:37], v1 offset0:10 offset1:11
	s_cmp_lt_i32 s1, 7
	s_cbranch_scc1 .LBB14_107
; %bb.105:
	v_add3_u32 v43, v44, 0, 0x60
	v_mov_b32_e32 v42, 5
	s_mov_b32 s7, 6
	s_inst_prefetch 0x1
	.p2align	6
.LBB14_106:                             ; =>This Inner Loop Header: Depth=1
	s_waitcnt lgkmcnt(0)
	v_cmp_gt_f64_e32 vcc_lo, 0, v[36:37]
	v_cmp_gt_f64_e64 s0, 0, v[34:35]
	ds_read2_b64 v[49:52], v43 offset1:1
	v_xor_b32_e32 v54, 0x80000000, v35
	v_xor_b32_e32 v56, 0x80000000, v37
	v_mov_b32_e32 v53, v34
	v_mov_b32_e32 v55, v36
	v_add_nc_u32_e32 v43, 16, v43
	s_waitcnt lgkmcnt(0)
	v_xor_b32_e32 v58, 0x80000000, v52
	v_cndmask_b32_e64 v54, v35, v54, s0
	v_cndmask_b32_e32 v56, v37, v56, vcc_lo
	v_cmp_gt_f64_e32 vcc_lo, 0, v[51:52]
	v_cmp_gt_f64_e64 s0, 0, v[49:50]
	v_mov_b32_e32 v57, v51
	v_add_f64 v[53:54], v[53:54], v[55:56]
	v_xor_b32_e32 v56, 0x80000000, v50
	v_mov_b32_e32 v55, v49
	v_cndmask_b32_e32 v58, v52, v58, vcc_lo
	v_cndmask_b32_e64 v56, v50, v56, s0
	v_add_f64 v[55:56], v[55:56], v[57:58]
	v_cmp_lt_f64_e32 vcc_lo, v[53:54], v[55:56]
	v_cndmask_b32_e32 v35, v35, v50, vcc_lo
	v_cndmask_b32_e32 v34, v34, v49, vcc_lo
	;; [unrolled: 1-line block ×4, first 2 shown]
	v_cndmask_b32_e64 v42, v42, s7, vcc_lo
	s_add_i32 s7, s7, 1
	s_cmp_lg_u32 s1, s7
	s_cbranch_scc1 .LBB14_106
.LBB14_107:
	s_inst_prefetch 0x2
	s_waitcnt lgkmcnt(0)
	v_cmp_eq_f64_e32 vcc_lo, 0, v[34:35]
	v_cmp_eq_f64_e64 s0, 0, v[36:37]
	s_and_b32 s0, vcc_lo, s0
	s_and_saveexec_b32 s7, s0
	s_xor_b32 s0, exec_lo, s7
; %bb.108:
	v_cmp_ne_u32_e32 vcc_lo, 0, v47
	v_cndmask_b32_e32 v47, 6, v47, vcc_lo
; %bb.109:
	s_andn2_saveexec_b32 s0, s0
	s_cbranch_execz .LBB14_115
; %bb.110:
	v_cmp_ngt_f64_e64 s7, |v[34:35]|, |v[36:37]|
	s_and_saveexec_b32 s8, s7
	s_xor_b32 s7, exec_lo, s8
	s_cbranch_execz .LBB14_112
; %bb.111:
	v_div_scale_f64 v[49:50], null, v[36:37], v[36:37], v[34:35]
	v_div_scale_f64 v[55:56], vcc_lo, v[34:35], v[36:37], v[34:35]
	v_rcp_f64_e32 v[51:52], v[49:50]
	v_fma_f64 v[53:54], -v[49:50], v[51:52], 1.0
	v_fma_f64 v[51:52], v[51:52], v[53:54], v[51:52]
	v_fma_f64 v[53:54], -v[49:50], v[51:52], 1.0
	v_fma_f64 v[51:52], v[51:52], v[53:54], v[51:52]
	v_mul_f64 v[53:54], v[55:56], v[51:52]
	v_fma_f64 v[49:50], -v[49:50], v[53:54], v[55:56]
	v_div_fmas_f64 v[49:50], v[49:50], v[51:52], v[53:54]
	v_div_fixup_f64 v[49:50], v[49:50], v[36:37], v[34:35]
	v_fma_f64 v[34:35], v[34:35], v[49:50], v[36:37]
	v_div_scale_f64 v[36:37], null, v[34:35], v[34:35], 1.0
	v_rcp_f64_e32 v[51:52], v[36:37]
	v_fma_f64 v[53:54], -v[36:37], v[51:52], 1.0
	v_fma_f64 v[51:52], v[51:52], v[53:54], v[51:52]
	v_fma_f64 v[53:54], -v[36:37], v[51:52], 1.0
	v_fma_f64 v[51:52], v[51:52], v[53:54], v[51:52]
	v_div_scale_f64 v[53:54], vcc_lo, 1.0, v[34:35], 1.0
	v_mul_f64 v[55:56], v[53:54], v[51:52]
	v_fma_f64 v[36:37], -v[36:37], v[55:56], v[53:54]
	v_div_fmas_f64 v[36:37], v[36:37], v[51:52], v[55:56]
	v_div_fixup_f64 v[36:37], v[36:37], v[34:35], 1.0
	v_mul_f64 v[34:35], v[49:50], v[36:37]
	v_xor_b32_e32 v37, 0x80000000, v37
.LBB14_112:
	s_andn2_saveexec_b32 s7, s7
	s_cbranch_execz .LBB14_114
; %bb.113:
	v_div_scale_f64 v[49:50], null, v[34:35], v[34:35], v[36:37]
	v_div_scale_f64 v[55:56], vcc_lo, v[36:37], v[34:35], v[36:37]
	v_rcp_f64_e32 v[51:52], v[49:50]
	v_fma_f64 v[53:54], -v[49:50], v[51:52], 1.0
	v_fma_f64 v[51:52], v[51:52], v[53:54], v[51:52]
	v_fma_f64 v[53:54], -v[49:50], v[51:52], 1.0
	v_fma_f64 v[51:52], v[51:52], v[53:54], v[51:52]
	v_mul_f64 v[53:54], v[55:56], v[51:52]
	v_fma_f64 v[49:50], -v[49:50], v[53:54], v[55:56]
	v_div_fmas_f64 v[49:50], v[49:50], v[51:52], v[53:54]
	v_div_fixup_f64 v[49:50], v[49:50], v[34:35], v[36:37]
	v_fma_f64 v[34:35], v[36:37], v[49:50], v[34:35]
	v_div_scale_f64 v[36:37], null, v[34:35], v[34:35], 1.0
	v_rcp_f64_e32 v[51:52], v[36:37]
	v_fma_f64 v[53:54], -v[36:37], v[51:52], 1.0
	v_fma_f64 v[51:52], v[51:52], v[53:54], v[51:52]
	v_fma_f64 v[53:54], -v[36:37], v[51:52], 1.0
	v_fma_f64 v[51:52], v[51:52], v[53:54], v[51:52]
	v_div_scale_f64 v[53:54], vcc_lo, 1.0, v[34:35], 1.0
	v_mul_f64 v[55:56], v[53:54], v[51:52]
	v_fma_f64 v[36:37], -v[36:37], v[55:56], v[53:54]
	v_div_fmas_f64 v[36:37], v[36:37], v[51:52], v[55:56]
	v_div_fixup_f64 v[34:35], v[36:37], v[34:35], 1.0
	v_mul_f64 v[36:37], v[49:50], -v[34:35]
.LBB14_114:
	s_or_b32 exec_lo, exec_lo, s7
.LBB14_115:
	s_or_b32 exec_lo, exec_lo, s0
	s_mov_b32 s0, exec_lo
	v_cmpx_ne_u32_e64 v48, v42
	s_xor_b32 s0, exec_lo, s0
	s_cbranch_execz .LBB14_121
; %bb.116:
	s_mov_b32 s7, exec_lo
	v_cmpx_eq_u32_e32 5, v48
	s_cbranch_execz .LBB14_120
; %bb.117:
	v_cmp_ne_u32_e32 vcc_lo, 5, v42
	s_xor_b32 s8, s16, -1
	s_and_b32 s9, s8, vcc_lo
	s_and_saveexec_b32 s8, s9
	s_cbranch_execz .LBB14_119
; %bb.118:
	v_ashrrev_i32_e32 v43, 31, v42
	v_lshlrev_b64 v[48:49], 2, v[42:43]
	v_add_co_u32 v48, vcc_lo, v40, v48
	v_add_co_ci_u32_e64 v49, null, v41, v49, vcc_lo
	s_clause 0x1
	global_load_dword v0, v[48:49], off
	global_load_dword v43, v[40:41], off offset:20
	s_waitcnt vmcnt(1)
	global_store_dword v[40:41], v0, off offset:20
	s_waitcnt vmcnt(0)
	global_store_dword v[48:49], v43, off
.LBB14_119:
	s_or_b32 exec_lo, exec_lo, s8
	v_mov_b32_e32 v48, v42
	v_mov_b32_e32 v0, v42
.LBB14_120:
	s_or_b32 exec_lo, exec_lo, s7
.LBB14_121:
	s_andn2_saveexec_b32 s0, s0
	s_cbranch_execz .LBB14_123
; %bb.122:
	v_mov_b32_e32 v48, 5
	ds_write2_b64 v1, v[18:19], v[20:21] offset0:12 offset1:13
	ds_write2_b64 v1, v[6:7], v[8:9] offset0:14 offset1:15
.LBB14_123:
	s_or_b32 exec_lo, exec_lo, s0
	s_mov_b32 s0, exec_lo
	s_waitcnt lgkmcnt(0)
	s_waitcnt_vscnt null, 0x0
	s_barrier
	buffer_gl0_inv
	v_cmpx_lt_i32_e32 5, v48
	s_cbranch_execz .LBB14_125
; %bb.124:
	v_mul_f64 v[42:43], v[34:35], v[12:13]
	v_mul_f64 v[12:13], v[36:37], v[12:13]
	ds_read2_b64 v[49:52], v1 offset0:12 offset1:13
	ds_read2_b64 v[53:56], v1 offset0:14 offset1:15
	v_fma_f64 v[36:37], v[36:37], v[10:11], v[42:43]
	v_fma_f64 v[10:11], v[34:35], v[10:11], -v[12:13]
	s_waitcnt lgkmcnt(1)
	v_mul_f64 v[12:13], v[51:52], v[36:37]
	v_mul_f64 v[34:35], v[49:50], v[36:37]
	s_waitcnt lgkmcnt(0)
	v_mul_f64 v[42:43], v[55:56], v[36:37]
	v_mul_f64 v[57:58], v[53:54], v[36:37]
	v_fma_f64 v[12:13], v[49:50], v[10:11], -v[12:13]
	v_fma_f64 v[34:35], v[51:52], v[10:11], v[34:35]
	v_fma_f64 v[42:43], v[53:54], v[10:11], -v[42:43]
	v_fma_f64 v[49:50], v[55:56], v[10:11], v[57:58]
	v_add_f64 v[18:19], v[18:19], -v[12:13]
	v_add_f64 v[20:21], v[20:21], -v[34:35]
	;; [unrolled: 1-line block ×4, first 2 shown]
	v_mov_b32_e32 v12, v36
	v_mov_b32_e32 v13, v37
.LBB14_125:
	s_or_b32 exec_lo, exec_lo, s0
	v_lshl_add_u32 v34, v48, 4, v1
	s_barrier
	buffer_gl0_inv
	v_mov_b32_e32 v42, 6
	ds_write2_b64 v34, v[18:19], v[20:21] offset1:1
	s_waitcnt lgkmcnt(0)
	s_barrier
	buffer_gl0_inv
	ds_read2_b64 v[34:37], v1 offset0:12 offset1:13
	s_cmp_lt_i32 s1, 8
	s_cbranch_scc1 .LBB14_128
; %bb.126:
	v_add3_u32 v43, v44, 0, 0x70
	v_mov_b32_e32 v42, 6
	s_mov_b32 s7, 7
	s_inst_prefetch 0x1
	.p2align	6
.LBB14_127:                             ; =>This Inner Loop Header: Depth=1
	s_waitcnt lgkmcnt(0)
	v_cmp_gt_f64_e32 vcc_lo, 0, v[36:37]
	v_cmp_gt_f64_e64 s0, 0, v[34:35]
	ds_read2_b64 v[49:52], v43 offset1:1
	v_xor_b32_e32 v54, 0x80000000, v35
	v_xor_b32_e32 v56, 0x80000000, v37
	v_mov_b32_e32 v53, v34
	v_mov_b32_e32 v55, v36
	v_add_nc_u32_e32 v43, 16, v43
	s_waitcnt lgkmcnt(0)
	v_xor_b32_e32 v58, 0x80000000, v52
	v_cndmask_b32_e64 v54, v35, v54, s0
	v_cndmask_b32_e32 v56, v37, v56, vcc_lo
	v_cmp_gt_f64_e32 vcc_lo, 0, v[51:52]
	v_cmp_gt_f64_e64 s0, 0, v[49:50]
	v_mov_b32_e32 v57, v51
	v_add_f64 v[53:54], v[53:54], v[55:56]
	v_xor_b32_e32 v56, 0x80000000, v50
	v_mov_b32_e32 v55, v49
	v_cndmask_b32_e32 v58, v52, v58, vcc_lo
	v_cndmask_b32_e64 v56, v50, v56, s0
	v_add_f64 v[55:56], v[55:56], v[57:58]
	v_cmp_lt_f64_e32 vcc_lo, v[53:54], v[55:56]
	v_cndmask_b32_e32 v35, v35, v50, vcc_lo
	v_cndmask_b32_e32 v34, v34, v49, vcc_lo
	;; [unrolled: 1-line block ×4, first 2 shown]
	v_cndmask_b32_e64 v42, v42, s7, vcc_lo
	s_add_i32 s7, s7, 1
	s_cmp_lg_u32 s1, s7
	s_cbranch_scc1 .LBB14_127
.LBB14_128:
	s_inst_prefetch 0x2
	s_waitcnt lgkmcnt(0)
	v_cmp_eq_f64_e32 vcc_lo, 0, v[34:35]
	v_cmp_eq_f64_e64 s0, 0, v[36:37]
	s_and_b32 s0, vcc_lo, s0
	s_and_saveexec_b32 s7, s0
	s_xor_b32 s0, exec_lo, s7
; %bb.129:
	v_cmp_ne_u32_e32 vcc_lo, 0, v47
	v_cndmask_b32_e32 v47, 7, v47, vcc_lo
; %bb.130:
	s_andn2_saveexec_b32 s0, s0
	s_cbranch_execz .LBB14_136
; %bb.131:
	v_cmp_ngt_f64_e64 s7, |v[34:35]|, |v[36:37]|
	s_and_saveexec_b32 s8, s7
	s_xor_b32 s7, exec_lo, s8
	s_cbranch_execz .LBB14_133
; %bb.132:
	v_div_scale_f64 v[49:50], null, v[36:37], v[36:37], v[34:35]
	v_div_scale_f64 v[55:56], vcc_lo, v[34:35], v[36:37], v[34:35]
	v_rcp_f64_e32 v[51:52], v[49:50]
	v_fma_f64 v[53:54], -v[49:50], v[51:52], 1.0
	v_fma_f64 v[51:52], v[51:52], v[53:54], v[51:52]
	v_fma_f64 v[53:54], -v[49:50], v[51:52], 1.0
	v_fma_f64 v[51:52], v[51:52], v[53:54], v[51:52]
	v_mul_f64 v[53:54], v[55:56], v[51:52]
	v_fma_f64 v[49:50], -v[49:50], v[53:54], v[55:56]
	v_div_fmas_f64 v[49:50], v[49:50], v[51:52], v[53:54]
	v_div_fixup_f64 v[49:50], v[49:50], v[36:37], v[34:35]
	v_fma_f64 v[34:35], v[34:35], v[49:50], v[36:37]
	v_div_scale_f64 v[36:37], null, v[34:35], v[34:35], 1.0
	v_rcp_f64_e32 v[51:52], v[36:37]
	v_fma_f64 v[53:54], -v[36:37], v[51:52], 1.0
	v_fma_f64 v[51:52], v[51:52], v[53:54], v[51:52]
	v_fma_f64 v[53:54], -v[36:37], v[51:52], 1.0
	v_fma_f64 v[51:52], v[51:52], v[53:54], v[51:52]
	v_div_scale_f64 v[53:54], vcc_lo, 1.0, v[34:35], 1.0
	v_mul_f64 v[55:56], v[53:54], v[51:52]
	v_fma_f64 v[36:37], -v[36:37], v[55:56], v[53:54]
	v_div_fmas_f64 v[36:37], v[36:37], v[51:52], v[55:56]
	v_div_fixup_f64 v[36:37], v[36:37], v[34:35], 1.0
	v_mul_f64 v[34:35], v[49:50], v[36:37]
	v_xor_b32_e32 v37, 0x80000000, v37
.LBB14_133:
	s_andn2_saveexec_b32 s7, s7
	s_cbranch_execz .LBB14_135
; %bb.134:
	v_div_scale_f64 v[49:50], null, v[34:35], v[34:35], v[36:37]
	v_div_scale_f64 v[55:56], vcc_lo, v[36:37], v[34:35], v[36:37]
	v_rcp_f64_e32 v[51:52], v[49:50]
	v_fma_f64 v[53:54], -v[49:50], v[51:52], 1.0
	v_fma_f64 v[51:52], v[51:52], v[53:54], v[51:52]
	v_fma_f64 v[53:54], -v[49:50], v[51:52], 1.0
	v_fma_f64 v[51:52], v[51:52], v[53:54], v[51:52]
	v_mul_f64 v[53:54], v[55:56], v[51:52]
	v_fma_f64 v[49:50], -v[49:50], v[53:54], v[55:56]
	v_div_fmas_f64 v[49:50], v[49:50], v[51:52], v[53:54]
	v_div_fixup_f64 v[49:50], v[49:50], v[34:35], v[36:37]
	v_fma_f64 v[34:35], v[36:37], v[49:50], v[34:35]
	v_div_scale_f64 v[36:37], null, v[34:35], v[34:35], 1.0
	v_rcp_f64_e32 v[51:52], v[36:37]
	v_fma_f64 v[53:54], -v[36:37], v[51:52], 1.0
	v_fma_f64 v[51:52], v[51:52], v[53:54], v[51:52]
	v_fma_f64 v[53:54], -v[36:37], v[51:52], 1.0
	v_fma_f64 v[51:52], v[51:52], v[53:54], v[51:52]
	v_div_scale_f64 v[53:54], vcc_lo, 1.0, v[34:35], 1.0
	v_mul_f64 v[55:56], v[53:54], v[51:52]
	v_fma_f64 v[36:37], -v[36:37], v[55:56], v[53:54]
	v_div_fmas_f64 v[36:37], v[36:37], v[51:52], v[55:56]
	v_div_fixup_f64 v[34:35], v[36:37], v[34:35], 1.0
	v_mul_f64 v[36:37], v[49:50], -v[34:35]
.LBB14_135:
	s_or_b32 exec_lo, exec_lo, s7
.LBB14_136:
	s_or_b32 exec_lo, exec_lo, s0
	s_mov_b32 s0, exec_lo
	v_cmpx_ne_u32_e64 v48, v42
	s_xor_b32 s0, exec_lo, s0
	s_cbranch_execz .LBB14_142
; %bb.137:
	s_mov_b32 s7, exec_lo
	v_cmpx_eq_u32_e32 6, v48
	s_cbranch_execz .LBB14_141
; %bb.138:
	v_cmp_ne_u32_e32 vcc_lo, 6, v42
	s_xor_b32 s8, s16, -1
	s_and_b32 s9, s8, vcc_lo
	s_and_saveexec_b32 s8, s9
	s_cbranch_execz .LBB14_140
; %bb.139:
	v_ashrrev_i32_e32 v43, 31, v42
	v_lshlrev_b64 v[48:49], 2, v[42:43]
	v_add_co_u32 v48, vcc_lo, v40, v48
	v_add_co_ci_u32_e64 v49, null, v41, v49, vcc_lo
	s_clause 0x1
	global_load_dword v0, v[48:49], off
	global_load_dword v43, v[40:41], off offset:24
	s_waitcnt vmcnt(1)
	global_store_dword v[40:41], v0, off offset:24
	s_waitcnt vmcnt(0)
	global_store_dword v[48:49], v43, off
.LBB14_140:
	s_or_b32 exec_lo, exec_lo, s8
	v_mov_b32_e32 v48, v42
	v_mov_b32_e32 v0, v42
.LBB14_141:
	s_or_b32 exec_lo, exec_lo, s7
.LBB14_142:
	s_andn2_saveexec_b32 s0, s0
; %bb.143:
	v_mov_b32_e32 v48, 6
	ds_write2_b64 v1, v[6:7], v[8:9] offset0:14 offset1:15
; %bb.144:
	s_or_b32 exec_lo, exec_lo, s0
	s_mov_b32 s0, exec_lo
	s_waitcnt lgkmcnt(0)
	s_waitcnt_vscnt null, 0x0
	s_barrier
	buffer_gl0_inv
	v_cmpx_lt_i32_e32 6, v48
	s_cbranch_execz .LBB14_146
; %bb.145:
	v_mul_f64 v[42:43], v[34:35], v[20:21]
	v_mul_f64 v[20:21], v[36:37], v[20:21]
	ds_read2_b64 v[49:52], v1 offset0:14 offset1:15
	v_fma_f64 v[36:37], v[36:37], v[18:19], v[42:43]
	v_fma_f64 v[18:19], v[34:35], v[18:19], -v[20:21]
	s_waitcnt lgkmcnt(0)
	v_mul_f64 v[20:21], v[51:52], v[36:37]
	v_mul_f64 v[34:35], v[49:50], v[36:37]
	v_fma_f64 v[20:21], v[49:50], v[18:19], -v[20:21]
	v_fma_f64 v[34:35], v[51:52], v[18:19], v[34:35]
	v_add_f64 v[6:7], v[6:7], -v[20:21]
	v_add_f64 v[8:9], v[8:9], -v[34:35]
	v_mov_b32_e32 v20, v36
	v_mov_b32_e32 v21, v37
.LBB14_146:
	s_or_b32 exec_lo, exec_lo, s0
	v_lshl_add_u32 v34, v48, 4, v1
	s_barrier
	buffer_gl0_inv
	v_mov_b32_e32 v42, 7
	ds_write2_b64 v34, v[6:7], v[8:9] offset1:1
	s_waitcnt lgkmcnt(0)
	s_barrier
	buffer_gl0_inv
	ds_read2_b64 v[34:37], v1 offset0:14 offset1:15
	s_cmp_lt_i32 s1, 9
	s_cbranch_scc1 .LBB14_149
; %bb.147:
	v_add3_u32 v1, v44, 0, 0x80
	v_mov_b32_e32 v42, 7
	s_mov_b32 s7, 8
	s_inst_prefetch 0x1
	.p2align	6
.LBB14_148:                             ; =>This Inner Loop Header: Depth=1
	s_waitcnt lgkmcnt(0)
	v_cmp_gt_f64_e32 vcc_lo, 0, v[36:37]
	v_cmp_gt_f64_e64 s0, 0, v[34:35]
	ds_read2_b64 v[49:52], v1 offset1:1
	v_xor_b32_e32 v44, 0x80000000, v35
	v_xor_b32_e32 v54, 0x80000000, v37
	v_mov_b32_e32 v43, v34
	v_mov_b32_e32 v53, v36
	v_add_nc_u32_e32 v1, 16, v1
	s_waitcnt lgkmcnt(0)
	v_xor_b32_e32 v56, 0x80000000, v52
	v_cndmask_b32_e64 v44, v35, v44, s0
	v_cndmask_b32_e32 v54, v37, v54, vcc_lo
	v_cmp_gt_f64_e32 vcc_lo, 0, v[51:52]
	v_cmp_gt_f64_e64 s0, 0, v[49:50]
	v_mov_b32_e32 v55, v51
	v_add_f64 v[43:44], v[43:44], v[53:54]
	v_xor_b32_e32 v54, 0x80000000, v50
	v_mov_b32_e32 v53, v49
	v_cndmask_b32_e32 v56, v52, v56, vcc_lo
	v_cndmask_b32_e64 v54, v50, v54, s0
	v_add_f64 v[53:54], v[53:54], v[55:56]
	v_cmp_lt_f64_e32 vcc_lo, v[43:44], v[53:54]
	v_cndmask_b32_e32 v35, v35, v50, vcc_lo
	v_cndmask_b32_e32 v34, v34, v49, vcc_lo
	;; [unrolled: 1-line block ×4, first 2 shown]
	v_cndmask_b32_e64 v42, v42, s7, vcc_lo
	s_add_i32 s7, s7, 1
	s_cmp_lg_u32 s1, s7
	s_cbranch_scc1 .LBB14_148
.LBB14_149:
	s_inst_prefetch 0x2
	s_waitcnt lgkmcnt(0)
	v_cmp_eq_f64_e32 vcc_lo, 0, v[34:35]
	v_cmp_eq_f64_e64 s0, 0, v[36:37]
	s_and_b32 s0, vcc_lo, s0
	s_and_saveexec_b32 s1, s0
	s_xor_b32 s0, exec_lo, s1
; %bb.150:
	v_cmp_ne_u32_e32 vcc_lo, 0, v47
	v_cndmask_b32_e32 v47, 8, v47, vcc_lo
; %bb.151:
	s_andn2_saveexec_b32 s0, s0
	s_cbranch_execz .LBB14_157
; %bb.152:
	v_cmp_ngt_f64_e64 s1, |v[34:35]|, |v[36:37]|
	s_and_saveexec_b32 s7, s1
	s_xor_b32 s1, exec_lo, s7
	s_cbranch_execz .LBB14_154
; %bb.153:
	v_div_scale_f64 v[43:44], null, v[36:37], v[36:37], v[34:35]
	v_div_scale_f64 v[53:54], vcc_lo, v[34:35], v[36:37], v[34:35]
	v_rcp_f64_e32 v[49:50], v[43:44]
	v_fma_f64 v[51:52], -v[43:44], v[49:50], 1.0
	v_fma_f64 v[49:50], v[49:50], v[51:52], v[49:50]
	v_fma_f64 v[51:52], -v[43:44], v[49:50], 1.0
	v_fma_f64 v[49:50], v[49:50], v[51:52], v[49:50]
	v_mul_f64 v[51:52], v[53:54], v[49:50]
	v_fma_f64 v[43:44], -v[43:44], v[51:52], v[53:54]
	v_div_fmas_f64 v[43:44], v[43:44], v[49:50], v[51:52]
	v_div_fixup_f64 v[43:44], v[43:44], v[36:37], v[34:35]
	v_fma_f64 v[34:35], v[34:35], v[43:44], v[36:37]
	v_div_scale_f64 v[36:37], null, v[34:35], v[34:35], 1.0
	v_rcp_f64_e32 v[49:50], v[36:37]
	v_fma_f64 v[51:52], -v[36:37], v[49:50], 1.0
	v_fma_f64 v[49:50], v[49:50], v[51:52], v[49:50]
	v_fma_f64 v[51:52], -v[36:37], v[49:50], 1.0
	v_fma_f64 v[49:50], v[49:50], v[51:52], v[49:50]
	v_div_scale_f64 v[51:52], vcc_lo, 1.0, v[34:35], 1.0
	v_mul_f64 v[53:54], v[51:52], v[49:50]
	v_fma_f64 v[36:37], -v[36:37], v[53:54], v[51:52]
	v_div_fmas_f64 v[36:37], v[36:37], v[49:50], v[53:54]
	v_div_fixup_f64 v[36:37], v[36:37], v[34:35], 1.0
	v_mul_f64 v[34:35], v[43:44], v[36:37]
	v_xor_b32_e32 v37, 0x80000000, v37
.LBB14_154:
	s_andn2_saveexec_b32 s1, s1
	s_cbranch_execz .LBB14_156
; %bb.155:
	v_div_scale_f64 v[43:44], null, v[34:35], v[34:35], v[36:37]
	v_div_scale_f64 v[53:54], vcc_lo, v[36:37], v[34:35], v[36:37]
	v_rcp_f64_e32 v[49:50], v[43:44]
	v_fma_f64 v[51:52], -v[43:44], v[49:50], 1.0
	v_fma_f64 v[49:50], v[49:50], v[51:52], v[49:50]
	v_fma_f64 v[51:52], -v[43:44], v[49:50], 1.0
	v_fma_f64 v[49:50], v[49:50], v[51:52], v[49:50]
	v_mul_f64 v[51:52], v[53:54], v[49:50]
	v_fma_f64 v[43:44], -v[43:44], v[51:52], v[53:54]
	v_div_fmas_f64 v[43:44], v[43:44], v[49:50], v[51:52]
	v_div_fixup_f64 v[43:44], v[43:44], v[34:35], v[36:37]
	v_fma_f64 v[34:35], v[36:37], v[43:44], v[34:35]
	v_div_scale_f64 v[36:37], null, v[34:35], v[34:35], 1.0
	v_rcp_f64_e32 v[49:50], v[36:37]
	v_fma_f64 v[51:52], -v[36:37], v[49:50], 1.0
	v_fma_f64 v[49:50], v[49:50], v[51:52], v[49:50]
	v_fma_f64 v[51:52], -v[36:37], v[49:50], 1.0
	v_fma_f64 v[49:50], v[49:50], v[51:52], v[49:50]
	v_div_scale_f64 v[51:52], vcc_lo, 1.0, v[34:35], 1.0
	v_mul_f64 v[53:54], v[51:52], v[49:50]
	v_fma_f64 v[36:37], -v[36:37], v[53:54], v[51:52]
	v_div_fmas_f64 v[36:37], v[36:37], v[49:50], v[53:54]
	v_div_fixup_f64 v[34:35], v[36:37], v[34:35], 1.0
	v_mul_f64 v[36:37], v[43:44], -v[34:35]
.LBB14_156:
	s_or_b32 exec_lo, exec_lo, s1
.LBB14_157:
	s_or_b32 exec_lo, exec_lo, s0
	v_mov_b32_e32 v43, 7
	s_mov_b32 s0, exec_lo
	v_cmpx_ne_u32_e64 v48, v42
	s_cbranch_execz .LBB14_163
; %bb.158:
	s_mov_b32 s1, exec_lo
	v_cmpx_eq_u32_e32 7, v48
	s_cbranch_execz .LBB14_162
; %bb.159:
	v_cmp_ne_u32_e32 vcc_lo, 7, v42
	s_xor_b32 s7, s16, -1
	s_and_b32 s8, s7, vcc_lo
	s_and_saveexec_b32 s7, s8
	s_cbranch_execz .LBB14_161
; %bb.160:
	v_ashrrev_i32_e32 v43, 31, v42
	v_lshlrev_b64 v[0:1], 2, v[42:43]
	v_add_co_u32 v0, vcc_lo, v40, v0
	v_add_co_ci_u32_e64 v1, null, v41, v1, vcc_lo
	s_clause 0x1
	global_load_dword v43, v[0:1], off
	global_load_dword v44, v[40:41], off offset:28
	s_waitcnt vmcnt(1)
	global_store_dword v[40:41], v43, off offset:28
	s_waitcnt vmcnt(0)
	global_store_dword v[0:1], v44, off
.LBB14_161:
	s_or_b32 exec_lo, exec_lo, s7
	v_mov_b32_e32 v48, v42
	v_mov_b32_e32 v0, v42
.LBB14_162:
	s_or_b32 exec_lo, exec_lo, s1
	v_mov_b32_e32 v43, v48
.LBB14_163:
	s_or_b32 exec_lo, exec_lo, s0
	s_mov_b32 s0, exec_lo
	s_waitcnt_vscnt null, 0x0
	s_barrier
	buffer_gl0_inv
	v_cmpx_lt_i32_e32 7, v43
	s_cbranch_execz .LBB14_165
; %bb.164:
	v_mul_f64 v[40:41], v[36:37], v[8:9]
	v_mul_f64 v[8:9], v[34:35], v[8:9]
	v_fma_f64 v[34:35], v[34:35], v[6:7], -v[40:41]
	v_fma_f64 v[8:9], v[36:37], v[6:7], v[8:9]
	v_mov_b32_e32 v6, v34
	v_mov_b32_e32 v7, v35
.LBB14_165:
	s_or_b32 exec_lo, exec_lo, s0
	v_ashrrev_i32_e32 v44, 31, v43
	s_mov_b32 s0, exec_lo
	s_barrier
	buffer_gl0_inv
	v_cmpx_gt_i32_e32 8, v43
	s_cbranch_execz .LBB14_167
; %bb.166:
	v_mul_lo_u32 v1, s15, v38
	v_mul_lo_u32 v36, s14, v39
	v_mad_u64_u32 v[34:35], null, s14, v38, 0
	s_lshl_b64 s[8:9], s[12:13], 2
	v_add3_u32 v0, v0, s17, 1
	v_add3_u32 v35, v35, v36, v1
	v_lshlrev_b64 v[34:35], 2, v[34:35]
	v_add_co_u32 v1, vcc_lo, s10, v34
	v_add_co_ci_u32_e64 v36, null, s11, v35, vcc_lo
	v_lshlrev_b64 v[34:35], 2, v[43:44]
	v_add_co_u32 v1, vcc_lo, v1, s8
	v_add_co_ci_u32_e64 v36, null, s9, v36, vcc_lo
	v_add_co_u32 v34, vcc_lo, v1, v34
	v_add_co_ci_u32_e64 v35, null, v36, v35, vcc_lo
	global_store_dword v[34:35], v0, off
.LBB14_167:
	s_or_b32 exec_lo, exec_lo, s0
	s_mov_b32 s1, exec_lo
	v_cmpx_eq_u32_e32 0, v43
	s_cbranch_execz .LBB14_170
; %bb.168:
	v_lshlrev_b64 v[0:1], 2, v[38:39]
	v_cmp_ne_u32_e64 s0, 0, v47
	v_add_co_u32 v0, vcc_lo, s4, v0
	v_add_co_ci_u32_e64 v1, null, s5, v1, vcc_lo
	global_load_dword v34, v[0:1], off
	s_waitcnt vmcnt(0)
	v_cmp_eq_u32_e32 vcc_lo, 0, v34
	s_and_b32 s0, vcc_lo, s0
	s_and_b32 exec_lo, exec_lo, s0
	s_cbranch_execz .LBB14_170
; %bb.169:
	v_add_nc_u32_e32 v34, s17, v47
	global_store_dword v[0:1], v34, off
.LBB14_170:
	s_or_b32 exec_lo, exec_lo, s1
	v_add3_u32 v0, s6, s6, v43
	v_lshlrev_b64 v[34:35], 4, v[43:44]
	v_ashrrev_i32_e32 v1, 31, v0
	v_add_nc_u32_e32 v36, s6, v0
	v_add_co_u32 v34, vcc_lo, v45, v34
	v_add_co_ci_u32_e64 v35, null, v46, v35, vcc_lo
	v_lshlrev_b64 v[0:1], 4, v[0:1]
	v_ashrrev_i32_e32 v37, 31, v36
	global_store_dwordx4 v[34:35], v[30:33], off
	v_add_nc_u32_e32 v32, s6, v36
	v_add_co_u32 v30, vcc_lo, v34, s2
	v_add_co_ci_u32_e64 v31, null, s3, v35, vcc_lo
	v_add_co_u32 v0, vcc_lo, v45, v0
	v_add_co_ci_u32_e64 v1, null, v46, v1, vcc_lo
	v_add_nc_u32_e32 v34, s6, v32
	global_store_dwordx4 v[30:31], v[26:29], off
	v_lshlrev_b64 v[26:27], 4, v[36:37]
	global_store_dwordx4 v[0:1], v[22:25], off
	v_ashrrev_i32_e32 v33, 31, v32
	v_add_nc_u32_e32 v22, s6, v34
	v_ashrrev_i32_e32 v35, 31, v34
	v_add_co_u32 v24, vcc_lo, v45, v26
	v_add_nc_u32_e32 v28, s6, v22
	v_ashrrev_i32_e32 v23, 31, v22
	v_lshlrev_b64 v[0:1], 4, v[32:33]
	v_add_co_ci_u32_e64 v25, null, v46, v27, vcc_lo
	v_ashrrev_i32_e32 v29, 31, v28
	v_lshlrev_b64 v[26:27], 4, v[34:35]
	v_lshlrev_b64 v[22:23], 4, v[22:23]
	v_add_co_u32 v0, vcc_lo, v45, v0
	v_lshlrev_b64 v[28:29], 4, v[28:29]
	v_add_co_ci_u32_e64 v1, null, v46, v1, vcc_lo
	v_add_co_u32 v26, vcc_lo, v45, v26
	v_add_co_ci_u32_e64 v27, null, v46, v27, vcc_lo
	v_add_co_u32 v22, vcc_lo, v45, v22
	;; [unrolled: 2-line block ×3, first 2 shown]
	v_add_co_ci_u32_e64 v29, null, v46, v29, vcc_lo
	global_store_dwordx4 v[24:25], v[2:5], off
	global_store_dwordx4 v[0:1], v[14:17], off
	;; [unrolled: 1-line block ×5, first 2 shown]
.LBB14_171:
	s_endpgm
	.section	.rodata,"a",@progbits
	.p2align	6, 0x0
	.amdhsa_kernel _ZN9rocsolver6v33100L18getf2_small_kernelILi8E19rocblas_complex_numIdEiiPS3_EEvT1_T3_lS5_lPS5_llPT2_S5_S5_S7_l
		.amdhsa_group_segment_fixed_size 0
		.amdhsa_private_segment_fixed_size 0
		.amdhsa_kernarg_size 352
		.amdhsa_user_sgpr_count 6
		.amdhsa_user_sgpr_private_segment_buffer 1
		.amdhsa_user_sgpr_dispatch_ptr 0
		.amdhsa_user_sgpr_queue_ptr 0
		.amdhsa_user_sgpr_kernarg_segment_ptr 1
		.amdhsa_user_sgpr_dispatch_id 0
		.amdhsa_user_sgpr_flat_scratch_init 0
		.amdhsa_user_sgpr_private_segment_size 0
		.amdhsa_wavefront_size32 1
		.amdhsa_uses_dynamic_stack 0
		.amdhsa_system_sgpr_private_segment_wavefront_offset 0
		.amdhsa_system_sgpr_workgroup_id_x 1
		.amdhsa_system_sgpr_workgroup_id_y 1
		.amdhsa_system_sgpr_workgroup_id_z 0
		.amdhsa_system_sgpr_workgroup_info 0
		.amdhsa_system_vgpr_workitem_id 1
		.amdhsa_next_free_vgpr 60
		.amdhsa_next_free_sgpr 18
		.amdhsa_reserve_vcc 1
		.amdhsa_reserve_flat_scratch 0
		.amdhsa_float_round_mode_32 0
		.amdhsa_float_round_mode_16_64 0
		.amdhsa_float_denorm_mode_32 3
		.amdhsa_float_denorm_mode_16_64 3
		.amdhsa_dx10_clamp 1
		.amdhsa_ieee_mode 1
		.amdhsa_fp16_overflow 0
		.amdhsa_workgroup_processor_mode 1
		.amdhsa_memory_ordered 1
		.amdhsa_forward_progress 1
		.amdhsa_shared_vgpr_count 0
		.amdhsa_exception_fp_ieee_invalid_op 0
		.amdhsa_exception_fp_denorm_src 0
		.amdhsa_exception_fp_ieee_div_zero 0
		.amdhsa_exception_fp_ieee_overflow 0
		.amdhsa_exception_fp_ieee_underflow 0
		.amdhsa_exception_fp_ieee_inexact 0
		.amdhsa_exception_int_div_zero 0
	.end_amdhsa_kernel
	.section	.text._ZN9rocsolver6v33100L18getf2_small_kernelILi8E19rocblas_complex_numIdEiiPS3_EEvT1_T3_lS5_lPS5_llPT2_S5_S5_S7_l,"axG",@progbits,_ZN9rocsolver6v33100L18getf2_small_kernelILi8E19rocblas_complex_numIdEiiPS3_EEvT1_T3_lS5_lPS5_llPT2_S5_S5_S7_l,comdat
.Lfunc_end14:
	.size	_ZN9rocsolver6v33100L18getf2_small_kernelILi8E19rocblas_complex_numIdEiiPS3_EEvT1_T3_lS5_lPS5_llPT2_S5_S5_S7_l, .Lfunc_end14-_ZN9rocsolver6v33100L18getf2_small_kernelILi8E19rocblas_complex_numIdEiiPS3_EEvT1_T3_lS5_lPS5_llPT2_S5_S5_S7_l
                                        ; -- End function
	.set _ZN9rocsolver6v33100L18getf2_small_kernelILi8E19rocblas_complex_numIdEiiPS3_EEvT1_T3_lS5_lPS5_llPT2_S5_S5_S7_l.num_vgpr, 60
	.set _ZN9rocsolver6v33100L18getf2_small_kernelILi8E19rocblas_complex_numIdEiiPS3_EEvT1_T3_lS5_lPS5_llPT2_S5_S5_S7_l.num_agpr, 0
	.set _ZN9rocsolver6v33100L18getf2_small_kernelILi8E19rocblas_complex_numIdEiiPS3_EEvT1_T3_lS5_lPS5_llPT2_S5_S5_S7_l.numbered_sgpr, 18
	.set _ZN9rocsolver6v33100L18getf2_small_kernelILi8E19rocblas_complex_numIdEiiPS3_EEvT1_T3_lS5_lPS5_llPT2_S5_S5_S7_l.num_named_barrier, 0
	.set _ZN9rocsolver6v33100L18getf2_small_kernelILi8E19rocblas_complex_numIdEiiPS3_EEvT1_T3_lS5_lPS5_llPT2_S5_S5_S7_l.private_seg_size, 0
	.set _ZN9rocsolver6v33100L18getf2_small_kernelILi8E19rocblas_complex_numIdEiiPS3_EEvT1_T3_lS5_lPS5_llPT2_S5_S5_S7_l.uses_vcc, 1
	.set _ZN9rocsolver6v33100L18getf2_small_kernelILi8E19rocblas_complex_numIdEiiPS3_EEvT1_T3_lS5_lPS5_llPT2_S5_S5_S7_l.uses_flat_scratch, 0
	.set _ZN9rocsolver6v33100L18getf2_small_kernelILi8E19rocblas_complex_numIdEiiPS3_EEvT1_T3_lS5_lPS5_llPT2_S5_S5_S7_l.has_dyn_sized_stack, 0
	.set _ZN9rocsolver6v33100L18getf2_small_kernelILi8E19rocblas_complex_numIdEiiPS3_EEvT1_T3_lS5_lPS5_llPT2_S5_S5_S7_l.has_recursion, 0
	.set _ZN9rocsolver6v33100L18getf2_small_kernelILi8E19rocblas_complex_numIdEiiPS3_EEvT1_T3_lS5_lPS5_llPT2_S5_S5_S7_l.has_indirect_call, 0
	.section	.AMDGPU.csdata,"",@progbits
; Kernel info:
; codeLenInByte = 10864
; TotalNumSgprs: 20
; NumVgprs: 60
; ScratchSize: 0
; MemoryBound: 0
; FloatMode: 240
; IeeeMode: 1
; LDSByteSize: 0 bytes/workgroup (compile time only)
; SGPRBlocks: 0
; VGPRBlocks: 7
; NumSGPRsForWavesPerEU: 20
; NumVGPRsForWavesPerEU: 60
; Occupancy: 16
; WaveLimiterHint : 0
; COMPUTE_PGM_RSRC2:SCRATCH_EN: 0
; COMPUTE_PGM_RSRC2:USER_SGPR: 6
; COMPUTE_PGM_RSRC2:TRAP_HANDLER: 0
; COMPUTE_PGM_RSRC2:TGID_X_EN: 1
; COMPUTE_PGM_RSRC2:TGID_Y_EN: 1
; COMPUTE_PGM_RSRC2:TGID_Z_EN: 0
; COMPUTE_PGM_RSRC2:TIDIG_COMP_CNT: 1
	.section	.text._ZN9rocsolver6v33100L23getf2_npvt_small_kernelILi8E19rocblas_complex_numIdEiiPS3_EEvT1_T3_lS5_lPT2_S5_S5_,"axG",@progbits,_ZN9rocsolver6v33100L23getf2_npvt_small_kernelILi8E19rocblas_complex_numIdEiiPS3_EEvT1_T3_lS5_lPT2_S5_S5_,comdat
	.globl	_ZN9rocsolver6v33100L23getf2_npvt_small_kernelILi8E19rocblas_complex_numIdEiiPS3_EEvT1_T3_lS5_lPT2_S5_S5_ ; -- Begin function _ZN9rocsolver6v33100L23getf2_npvt_small_kernelILi8E19rocblas_complex_numIdEiiPS3_EEvT1_T3_lS5_lPT2_S5_S5_
	.p2align	8
	.type	_ZN9rocsolver6v33100L23getf2_npvt_small_kernelILi8E19rocblas_complex_numIdEiiPS3_EEvT1_T3_lS5_lPT2_S5_S5_,@function
_ZN9rocsolver6v33100L23getf2_npvt_small_kernelILi8E19rocblas_complex_numIdEiiPS3_EEvT1_T3_lS5_lPT2_S5_S5_: ; @_ZN9rocsolver6v33100L23getf2_npvt_small_kernelILi8E19rocblas_complex_numIdEiiPS3_EEvT1_T3_lS5_lPT2_S5_S5_
; %bb.0:
	s_clause 0x1
	s_load_dword s0, s[4:5], 0x44
	s_load_dwordx2 s[12:13], s[4:5], 0x30
	s_waitcnt lgkmcnt(0)
	s_lshr_b32 s14, s0, 16
	s_mov_b32 s0, exec_lo
	v_mad_u64_u32 v[66:67], null, s7, s14, v[1:2]
	v_cmpx_gt_i32_e64 s12, v66
	s_cbranch_execz .LBB15_77
; %bb.1:
	s_clause 0x2
	s_load_dwordx4 s[8:11], s[4:5], 0x20
	s_load_dword s6, s[4:5], 0x18
	s_load_dwordx4 s[0:3], s[4:5], 0x8
	v_ashrrev_i32_e32 v67, 31, v66
	v_lshlrev_b32_e32 v13, 4, v0
	v_lshlrev_b32_e32 v34, 4, v1
	v_lshl_add_u32 v84, v1, 7, 0
	s_waitcnt lgkmcnt(0)
	v_mul_lo_u32 v5, s9, v66
	v_mul_lo_u32 v7, s8, v67
	v_mad_u64_u32 v[2:3], null, s8, v66, 0
	v_add3_u32 v4, s6, s6, v0
	s_lshl_b64 s[2:3], s[2:3], 4
	s_ashr_i32 s7, s6, 31
	s_lshl_b64 s[4:5], s[6:7], 4
	v_add_nc_u32_e32 v6, s6, v4
	v_add3_u32 v3, v3, v7, v5
	v_ashrrev_i32_e32 v5, 31, v4
	v_add_nc_u32_e32 v8, s6, v6
	v_lshlrev_b64 v[2:3], 4, v[2:3]
	v_ashrrev_i32_e32 v7, 31, v6
	v_lshlrev_b64 v[4:5], 4, v[4:5]
	v_ashrrev_i32_e32 v9, 31, v8
	v_add_nc_u32_e32 v10, s6, v8
	v_add_co_u32 v12, vcc_lo, s0, v2
	v_add_co_ci_u32_e64 v14, null, s1, v3, vcc_lo
	v_lshlrev_b64 v[2:3], 4, v[8:9]
	v_add_co_u32 v15, vcc_lo, v12, s2
	v_add_nc_u32_e32 v8, s6, v10
	v_add_co_ci_u32_e64 v14, null, s3, v14, vcc_lo
	v_lshlrev_b64 v[6:7], 4, v[6:7]
	v_add_co_u32 v80, vcc_lo, v15, v13
	v_add_nc_u32_e32 v12, s6, v8
	v_add_co_ci_u32_e64 v81, null, 0, v14, vcc_lo
	v_add_co_u32 v78, vcc_lo, v15, v4
	v_ashrrev_i32_e32 v11, 31, v10
	v_add_co_ci_u32_e64 v79, null, v14, v5, vcc_lo
	v_add_co_u32 v72, vcc_lo, v15, v6
	v_ashrrev_i32_e32 v9, 31, v8
	;; [unrolled: 3-line block ×3, first 2 shown]
	v_lshlrev_b64 v[10:11], 4, v[10:11]
	v_add_co_ci_u32_e64 v83, null, s5, v81, vcc_lo
	v_add_co_u32 v70, vcc_lo, v15, v2
	v_add_co_ci_u32_e64 v71, null, v14, v3, vcc_lo
	v_lshlrev_b64 v[2:3], 4, v[8:9]
	v_lshlrev_b64 v[4:5], 4, v[12:13]
	v_add_co_u32 v74, vcc_lo, v15, v10
	v_add_co_ci_u32_e64 v75, null, v14, v11, vcc_lo
	v_add_co_u32 v76, vcc_lo, v15, v2
	v_add_co_ci_u32_e64 v77, null, v14, v3, vcc_lo
	v_add_co_u32 v68, vcc_lo, v15, v4
	s_clause 0x1
	global_load_dwordx4 v[26:29], v[80:81], off
	global_load_dwordx4 v[18:21], v[82:83], off
	v_add_co_ci_u32_e64 v69, null, v14, v5, vcc_lo
	s_clause 0x5
	global_load_dwordx4 v[30:33], v[78:79], off
	global_load_dwordx4 v[22:25], v[72:73], off
	;; [unrolled: 1-line block ×6, first 2 shown]
	s_lshl_b32 s0, s14, 7
	v_cmp_ne_u32_e64 s1, 0, v0
	v_add3_u32 v1, 0, s0, v34
	v_cmp_eq_u32_e64 s0, 0, v0
	s_and_saveexec_b32 s3, s0
	s_cbranch_execz .LBB15_8
; %bb.2:
	s_waitcnt vmcnt(7)
	ds_write2_b64 v1, v[26:27], v[28:29] offset1:1
	s_waitcnt vmcnt(6)
	ds_write2_b64 v84, v[18:19], v[20:21] offset0:2 offset1:3
	s_waitcnt vmcnt(5)
	ds_write2_b64 v84, v[30:31], v[32:33] offset0:4 offset1:5
	;; [unrolled: 2-line block ×7, first 2 shown]
	ds_read2_b64 v[34:37], v1 offset1:1
	s_waitcnt lgkmcnt(0)
	v_cmp_neq_f64_e32 vcc_lo, 0, v[34:35]
	v_cmp_neq_f64_e64 s2, 0, v[36:37]
	s_or_b32 s2, vcc_lo, s2
	s_and_b32 exec_lo, exec_lo, s2
	s_cbranch_execz .LBB15_8
; %bb.3:
	v_cmp_ngt_f64_e64 s2, |v[34:35]|, |v[36:37]|
                                        ; implicit-def: $vgpr38_vgpr39
	s_and_saveexec_b32 s4, s2
	s_xor_b32 s2, exec_lo, s4
                                        ; implicit-def: $vgpr40_vgpr41
	s_cbranch_execz .LBB15_5
; %bb.4:
	v_div_scale_f64 v[38:39], null, v[36:37], v[36:37], v[34:35]
	v_div_scale_f64 v[44:45], vcc_lo, v[34:35], v[36:37], v[34:35]
	v_rcp_f64_e32 v[40:41], v[38:39]
	v_fma_f64 v[42:43], -v[38:39], v[40:41], 1.0
	v_fma_f64 v[40:41], v[40:41], v[42:43], v[40:41]
	v_fma_f64 v[42:43], -v[38:39], v[40:41], 1.0
	v_fma_f64 v[40:41], v[40:41], v[42:43], v[40:41]
	v_mul_f64 v[42:43], v[44:45], v[40:41]
	v_fma_f64 v[38:39], -v[38:39], v[42:43], v[44:45]
	v_div_fmas_f64 v[38:39], v[38:39], v[40:41], v[42:43]
	v_div_fixup_f64 v[38:39], v[38:39], v[36:37], v[34:35]
	v_fma_f64 v[34:35], v[34:35], v[38:39], v[36:37]
	v_div_scale_f64 v[36:37], null, v[34:35], v[34:35], 1.0
	v_rcp_f64_e32 v[40:41], v[36:37]
	v_fma_f64 v[42:43], -v[36:37], v[40:41], 1.0
	v_fma_f64 v[40:41], v[40:41], v[42:43], v[40:41]
	v_fma_f64 v[42:43], -v[36:37], v[40:41], 1.0
	v_fma_f64 v[40:41], v[40:41], v[42:43], v[40:41]
	v_div_scale_f64 v[42:43], vcc_lo, 1.0, v[34:35], 1.0
	v_mul_f64 v[44:45], v[42:43], v[40:41]
	v_fma_f64 v[36:37], -v[36:37], v[44:45], v[42:43]
	v_div_fmas_f64 v[36:37], v[36:37], v[40:41], v[44:45]
	v_div_fixup_f64 v[40:41], v[36:37], v[34:35], 1.0
                                        ; implicit-def: $vgpr34_vgpr35
	v_mul_f64 v[38:39], v[38:39], v[40:41]
	v_xor_b32_e32 v41, 0x80000000, v41
.LBB15_5:
	s_andn2_saveexec_b32 s2, s2
	s_cbranch_execz .LBB15_7
; %bb.6:
	v_div_scale_f64 v[38:39], null, v[34:35], v[34:35], v[36:37]
	v_div_scale_f64 v[44:45], vcc_lo, v[36:37], v[34:35], v[36:37]
	v_rcp_f64_e32 v[40:41], v[38:39]
	v_fma_f64 v[42:43], -v[38:39], v[40:41], 1.0
	v_fma_f64 v[40:41], v[40:41], v[42:43], v[40:41]
	v_fma_f64 v[42:43], -v[38:39], v[40:41], 1.0
	v_fma_f64 v[40:41], v[40:41], v[42:43], v[40:41]
	v_mul_f64 v[42:43], v[44:45], v[40:41]
	v_fma_f64 v[38:39], -v[38:39], v[42:43], v[44:45]
	v_div_fmas_f64 v[38:39], v[38:39], v[40:41], v[42:43]
	v_div_fixup_f64 v[40:41], v[38:39], v[34:35], v[36:37]
	v_fma_f64 v[34:35], v[36:37], v[40:41], v[34:35]
	v_div_scale_f64 v[36:37], null, v[34:35], v[34:35], 1.0
	v_rcp_f64_e32 v[38:39], v[36:37]
	v_fma_f64 v[42:43], -v[36:37], v[38:39], 1.0
	v_fma_f64 v[38:39], v[38:39], v[42:43], v[38:39]
	v_fma_f64 v[42:43], -v[36:37], v[38:39], 1.0
	v_fma_f64 v[38:39], v[38:39], v[42:43], v[38:39]
	v_div_scale_f64 v[42:43], vcc_lo, 1.0, v[34:35], 1.0
	v_mul_f64 v[44:45], v[42:43], v[38:39]
	v_fma_f64 v[36:37], -v[36:37], v[44:45], v[42:43]
	v_div_fmas_f64 v[36:37], v[36:37], v[38:39], v[44:45]
	v_div_fixup_f64 v[38:39], v[36:37], v[34:35], 1.0
	v_mul_f64 v[40:41], v[40:41], -v[38:39]
.LBB15_7:
	s_or_b32 exec_lo, exec_lo, s2
	ds_write2_b64 v1, v[38:39], v[40:41] offset1:1
.LBB15_8:
	s_or_b32 exec_lo, exec_lo, s3
	s_waitcnt vmcnt(0) lgkmcnt(0)
	s_barrier
	buffer_gl0_inv
	ds_read2_b64 v[34:37], v1 offset1:1
	s_and_saveexec_b32 s2, s1
	s_cbranch_execz .LBB15_10
; %bb.9:
	s_waitcnt lgkmcnt(0)
	v_mul_f64 v[38:39], v[34:35], v[28:29]
	v_mul_f64 v[28:29], v[36:37], v[28:29]
	v_fma_f64 v[42:43], v[36:37], v[26:27], v[38:39]
	ds_read2_b64 v[38:41], v84 offset0:2 offset1:3
	v_fma_f64 v[26:27], v[34:35], v[26:27], -v[28:29]
	s_waitcnt lgkmcnt(0)
	v_mul_f64 v[28:29], v[40:41], v[42:43]
	v_fma_f64 v[28:29], v[38:39], v[26:27], -v[28:29]
	v_mul_f64 v[38:39], v[38:39], v[42:43]
	v_add_f64 v[18:19], v[18:19], -v[28:29]
	v_fma_f64 v[38:39], v[40:41], v[26:27], v[38:39]
	v_add_f64 v[20:21], v[20:21], -v[38:39]
	ds_read2_b64 v[38:41], v84 offset0:4 offset1:5
	s_waitcnt lgkmcnt(0)
	v_mul_f64 v[28:29], v[40:41], v[42:43]
	v_fma_f64 v[28:29], v[38:39], v[26:27], -v[28:29]
	v_mul_f64 v[38:39], v[38:39], v[42:43]
	v_add_f64 v[30:31], v[30:31], -v[28:29]
	v_fma_f64 v[38:39], v[40:41], v[26:27], v[38:39]
	v_add_f64 v[32:33], v[32:33], -v[38:39]
	ds_read2_b64 v[38:41], v84 offset0:6 offset1:7
	;; [unrolled: 8-line block ×6, first 2 shown]
	s_waitcnt lgkmcnt(0)
	v_mul_f64 v[28:29], v[40:41], v[42:43]
	v_fma_f64 v[28:29], v[38:39], v[26:27], -v[28:29]
	v_mul_f64 v[38:39], v[38:39], v[42:43]
	v_add_f64 v[2:3], v[2:3], -v[28:29]
	v_fma_f64 v[38:39], v[40:41], v[26:27], v[38:39]
	v_mov_b32_e32 v28, v42
	v_mov_b32_e32 v29, v43
	v_add_f64 v[4:5], v[4:5], -v[38:39]
.LBB15_10:
	s_or_b32 exec_lo, exec_lo, s2
	s_mov_b32 s2, exec_lo
	s_waitcnt lgkmcnt(0)
	s_barrier
	buffer_gl0_inv
	v_cmpx_eq_u32_e32 1, v0
	s_cbranch_execz .LBB15_17
; %bb.11:
	ds_write2_b64 v1, v[18:19], v[20:21] offset1:1
	ds_write2_b64 v84, v[30:31], v[32:33] offset0:4 offset1:5
	ds_write2_b64 v84, v[22:23], v[24:25] offset0:6 offset1:7
	;; [unrolled: 1-line block ×6, first 2 shown]
	ds_read2_b64 v[38:41], v1 offset1:1
	s_waitcnt lgkmcnt(0)
	v_cmp_neq_f64_e32 vcc_lo, 0, v[38:39]
	v_cmp_neq_f64_e64 s1, 0, v[40:41]
	s_or_b32 s1, vcc_lo, s1
	s_and_b32 exec_lo, exec_lo, s1
	s_cbranch_execz .LBB15_17
; %bb.12:
	v_cmp_ngt_f64_e64 s1, |v[38:39]|, |v[40:41]|
                                        ; implicit-def: $vgpr42_vgpr43
	s_and_saveexec_b32 s3, s1
	s_xor_b32 s1, exec_lo, s3
                                        ; implicit-def: $vgpr44_vgpr45
	s_cbranch_execz .LBB15_14
; %bb.13:
	v_div_scale_f64 v[42:43], null, v[40:41], v[40:41], v[38:39]
	v_div_scale_f64 v[48:49], vcc_lo, v[38:39], v[40:41], v[38:39]
	v_rcp_f64_e32 v[44:45], v[42:43]
	v_fma_f64 v[46:47], -v[42:43], v[44:45], 1.0
	v_fma_f64 v[44:45], v[44:45], v[46:47], v[44:45]
	v_fma_f64 v[46:47], -v[42:43], v[44:45], 1.0
	v_fma_f64 v[44:45], v[44:45], v[46:47], v[44:45]
	v_mul_f64 v[46:47], v[48:49], v[44:45]
	v_fma_f64 v[42:43], -v[42:43], v[46:47], v[48:49]
	v_div_fmas_f64 v[42:43], v[42:43], v[44:45], v[46:47]
	v_div_fixup_f64 v[42:43], v[42:43], v[40:41], v[38:39]
	v_fma_f64 v[38:39], v[38:39], v[42:43], v[40:41]
	v_div_scale_f64 v[40:41], null, v[38:39], v[38:39], 1.0
	v_rcp_f64_e32 v[44:45], v[40:41]
	v_fma_f64 v[46:47], -v[40:41], v[44:45], 1.0
	v_fma_f64 v[44:45], v[44:45], v[46:47], v[44:45]
	v_fma_f64 v[46:47], -v[40:41], v[44:45], 1.0
	v_fma_f64 v[44:45], v[44:45], v[46:47], v[44:45]
	v_div_scale_f64 v[46:47], vcc_lo, 1.0, v[38:39], 1.0
	v_mul_f64 v[48:49], v[46:47], v[44:45]
	v_fma_f64 v[40:41], -v[40:41], v[48:49], v[46:47]
	v_div_fmas_f64 v[40:41], v[40:41], v[44:45], v[48:49]
	v_div_fixup_f64 v[44:45], v[40:41], v[38:39], 1.0
                                        ; implicit-def: $vgpr38_vgpr39
	v_mul_f64 v[42:43], v[42:43], v[44:45]
	v_xor_b32_e32 v45, 0x80000000, v45
.LBB15_14:
	s_andn2_saveexec_b32 s1, s1
	s_cbranch_execz .LBB15_16
; %bb.15:
	v_div_scale_f64 v[42:43], null, v[38:39], v[38:39], v[40:41]
	v_div_scale_f64 v[48:49], vcc_lo, v[40:41], v[38:39], v[40:41]
	v_rcp_f64_e32 v[44:45], v[42:43]
	v_fma_f64 v[46:47], -v[42:43], v[44:45], 1.0
	v_fma_f64 v[44:45], v[44:45], v[46:47], v[44:45]
	v_fma_f64 v[46:47], -v[42:43], v[44:45], 1.0
	v_fma_f64 v[44:45], v[44:45], v[46:47], v[44:45]
	v_mul_f64 v[46:47], v[48:49], v[44:45]
	v_fma_f64 v[42:43], -v[42:43], v[46:47], v[48:49]
	v_div_fmas_f64 v[42:43], v[42:43], v[44:45], v[46:47]
	v_div_fixup_f64 v[44:45], v[42:43], v[38:39], v[40:41]
	v_fma_f64 v[38:39], v[40:41], v[44:45], v[38:39]
	v_div_scale_f64 v[40:41], null, v[38:39], v[38:39], 1.0
	v_rcp_f64_e32 v[42:43], v[40:41]
	v_fma_f64 v[46:47], -v[40:41], v[42:43], 1.0
	v_fma_f64 v[42:43], v[42:43], v[46:47], v[42:43]
	v_fma_f64 v[46:47], -v[40:41], v[42:43], 1.0
	v_fma_f64 v[42:43], v[42:43], v[46:47], v[42:43]
	v_div_scale_f64 v[46:47], vcc_lo, 1.0, v[38:39], 1.0
	v_mul_f64 v[48:49], v[46:47], v[42:43]
	v_fma_f64 v[40:41], -v[40:41], v[48:49], v[46:47]
	v_div_fmas_f64 v[40:41], v[40:41], v[42:43], v[48:49]
	v_div_fixup_f64 v[42:43], v[40:41], v[38:39], 1.0
	v_mul_f64 v[44:45], v[44:45], -v[42:43]
.LBB15_16:
	s_or_b32 exec_lo, exec_lo, s1
	ds_write2_b64 v1, v[42:43], v[44:45] offset1:1
.LBB15_17:
	s_or_b32 exec_lo, exec_lo, s2
	s_waitcnt lgkmcnt(0)
	s_barrier
	buffer_gl0_inv
	ds_read2_b64 v[38:41], v1 offset1:1
	s_mov_b32 s1, exec_lo
	v_cmpx_lt_u32_e32 1, v0
	s_cbranch_execz .LBB15_19
; %bb.18:
	s_waitcnt lgkmcnt(0)
	v_mul_f64 v[42:43], v[38:39], v[20:21]
	v_mul_f64 v[20:21], v[40:41], v[20:21]
	v_fma_f64 v[46:47], v[40:41], v[18:19], v[42:43]
	ds_read2_b64 v[42:45], v84 offset0:4 offset1:5
	v_fma_f64 v[18:19], v[38:39], v[18:19], -v[20:21]
	s_waitcnt lgkmcnt(0)
	v_mul_f64 v[20:21], v[44:45], v[46:47]
	v_fma_f64 v[20:21], v[42:43], v[18:19], -v[20:21]
	v_mul_f64 v[42:43], v[42:43], v[46:47]
	v_add_f64 v[30:31], v[30:31], -v[20:21]
	v_fma_f64 v[42:43], v[44:45], v[18:19], v[42:43]
	v_add_f64 v[32:33], v[32:33], -v[42:43]
	ds_read2_b64 v[42:45], v84 offset0:6 offset1:7
	s_waitcnt lgkmcnt(0)
	v_mul_f64 v[20:21], v[44:45], v[46:47]
	v_fma_f64 v[20:21], v[42:43], v[18:19], -v[20:21]
	v_mul_f64 v[42:43], v[42:43], v[46:47]
	v_add_f64 v[22:23], v[22:23], -v[20:21]
	v_fma_f64 v[42:43], v[44:45], v[18:19], v[42:43]
	v_add_f64 v[24:25], v[24:25], -v[42:43]
	ds_read2_b64 v[42:45], v84 offset0:8 offset1:9
	;; [unrolled: 8-line block ×5, first 2 shown]
	s_waitcnt lgkmcnt(0)
	v_mul_f64 v[20:21], v[44:45], v[46:47]
	v_fma_f64 v[20:21], v[42:43], v[18:19], -v[20:21]
	v_mul_f64 v[42:43], v[42:43], v[46:47]
	v_add_f64 v[2:3], v[2:3], -v[20:21]
	v_fma_f64 v[42:43], v[44:45], v[18:19], v[42:43]
	v_mov_b32_e32 v20, v46
	v_mov_b32_e32 v21, v47
	v_add_f64 v[4:5], v[4:5], -v[42:43]
.LBB15_19:
	s_or_b32 exec_lo, exec_lo, s1
	s_mov_b32 s2, exec_lo
	s_waitcnt lgkmcnt(0)
	s_barrier
	buffer_gl0_inv
	v_cmpx_eq_u32_e32 2, v0
	s_cbranch_execz .LBB15_26
; %bb.20:
	ds_write2_b64 v1, v[30:31], v[32:33] offset1:1
	ds_write2_b64 v84, v[22:23], v[24:25] offset0:6 offset1:7
	ds_write2_b64 v84, v[14:15], v[16:17] offset0:8 offset1:9
	;; [unrolled: 1-line block ×5, first 2 shown]
	ds_read2_b64 v[42:45], v1 offset1:1
	s_waitcnt lgkmcnt(0)
	v_cmp_neq_f64_e32 vcc_lo, 0, v[42:43]
	v_cmp_neq_f64_e64 s1, 0, v[44:45]
	s_or_b32 s1, vcc_lo, s1
	s_and_b32 exec_lo, exec_lo, s1
	s_cbranch_execz .LBB15_26
; %bb.21:
	v_cmp_ngt_f64_e64 s1, |v[42:43]|, |v[44:45]|
                                        ; implicit-def: $vgpr46_vgpr47
	s_and_saveexec_b32 s3, s1
	s_xor_b32 s1, exec_lo, s3
                                        ; implicit-def: $vgpr48_vgpr49
	s_cbranch_execz .LBB15_23
; %bb.22:
	v_div_scale_f64 v[46:47], null, v[44:45], v[44:45], v[42:43]
	v_div_scale_f64 v[52:53], vcc_lo, v[42:43], v[44:45], v[42:43]
	v_rcp_f64_e32 v[48:49], v[46:47]
	v_fma_f64 v[50:51], -v[46:47], v[48:49], 1.0
	v_fma_f64 v[48:49], v[48:49], v[50:51], v[48:49]
	v_fma_f64 v[50:51], -v[46:47], v[48:49], 1.0
	v_fma_f64 v[48:49], v[48:49], v[50:51], v[48:49]
	v_mul_f64 v[50:51], v[52:53], v[48:49]
	v_fma_f64 v[46:47], -v[46:47], v[50:51], v[52:53]
	v_div_fmas_f64 v[46:47], v[46:47], v[48:49], v[50:51]
	v_div_fixup_f64 v[46:47], v[46:47], v[44:45], v[42:43]
	v_fma_f64 v[42:43], v[42:43], v[46:47], v[44:45]
	v_div_scale_f64 v[44:45], null, v[42:43], v[42:43], 1.0
	v_rcp_f64_e32 v[48:49], v[44:45]
	v_fma_f64 v[50:51], -v[44:45], v[48:49], 1.0
	v_fma_f64 v[48:49], v[48:49], v[50:51], v[48:49]
	v_fma_f64 v[50:51], -v[44:45], v[48:49], 1.0
	v_fma_f64 v[48:49], v[48:49], v[50:51], v[48:49]
	v_div_scale_f64 v[50:51], vcc_lo, 1.0, v[42:43], 1.0
	v_mul_f64 v[52:53], v[50:51], v[48:49]
	v_fma_f64 v[44:45], -v[44:45], v[52:53], v[50:51]
	v_div_fmas_f64 v[44:45], v[44:45], v[48:49], v[52:53]
	v_div_fixup_f64 v[48:49], v[44:45], v[42:43], 1.0
                                        ; implicit-def: $vgpr42_vgpr43
	v_mul_f64 v[46:47], v[46:47], v[48:49]
	v_xor_b32_e32 v49, 0x80000000, v49
.LBB15_23:
	s_andn2_saveexec_b32 s1, s1
	s_cbranch_execz .LBB15_25
; %bb.24:
	v_div_scale_f64 v[46:47], null, v[42:43], v[42:43], v[44:45]
	v_div_scale_f64 v[52:53], vcc_lo, v[44:45], v[42:43], v[44:45]
	v_rcp_f64_e32 v[48:49], v[46:47]
	v_fma_f64 v[50:51], -v[46:47], v[48:49], 1.0
	v_fma_f64 v[48:49], v[48:49], v[50:51], v[48:49]
	v_fma_f64 v[50:51], -v[46:47], v[48:49], 1.0
	v_fma_f64 v[48:49], v[48:49], v[50:51], v[48:49]
	v_mul_f64 v[50:51], v[52:53], v[48:49]
	v_fma_f64 v[46:47], -v[46:47], v[50:51], v[52:53]
	v_div_fmas_f64 v[46:47], v[46:47], v[48:49], v[50:51]
	v_div_fixup_f64 v[48:49], v[46:47], v[42:43], v[44:45]
	v_fma_f64 v[42:43], v[44:45], v[48:49], v[42:43]
	v_div_scale_f64 v[44:45], null, v[42:43], v[42:43], 1.0
	v_rcp_f64_e32 v[46:47], v[44:45]
	v_fma_f64 v[50:51], -v[44:45], v[46:47], 1.0
	v_fma_f64 v[46:47], v[46:47], v[50:51], v[46:47]
	v_fma_f64 v[50:51], -v[44:45], v[46:47], 1.0
	v_fma_f64 v[46:47], v[46:47], v[50:51], v[46:47]
	v_div_scale_f64 v[50:51], vcc_lo, 1.0, v[42:43], 1.0
	v_mul_f64 v[52:53], v[50:51], v[46:47]
	v_fma_f64 v[44:45], -v[44:45], v[52:53], v[50:51]
	v_div_fmas_f64 v[44:45], v[44:45], v[46:47], v[52:53]
	v_div_fixup_f64 v[46:47], v[44:45], v[42:43], 1.0
	v_mul_f64 v[48:49], v[48:49], -v[46:47]
.LBB15_25:
	s_or_b32 exec_lo, exec_lo, s1
	ds_write2_b64 v1, v[46:47], v[48:49] offset1:1
.LBB15_26:
	s_or_b32 exec_lo, exec_lo, s2
	s_waitcnt lgkmcnt(0)
	s_barrier
	buffer_gl0_inv
	ds_read2_b64 v[42:45], v1 offset1:1
	s_mov_b32 s1, exec_lo
	v_cmpx_lt_u32_e32 2, v0
	s_cbranch_execz .LBB15_28
; %bb.27:
	s_waitcnt lgkmcnt(0)
	v_mul_f64 v[46:47], v[42:43], v[32:33]
	v_mul_f64 v[32:33], v[44:45], v[32:33]
	v_fma_f64 v[50:51], v[44:45], v[30:31], v[46:47]
	ds_read2_b64 v[46:49], v84 offset0:6 offset1:7
	v_fma_f64 v[30:31], v[42:43], v[30:31], -v[32:33]
	s_waitcnt lgkmcnt(0)
	v_mul_f64 v[32:33], v[48:49], v[50:51]
	v_fma_f64 v[32:33], v[46:47], v[30:31], -v[32:33]
	v_mul_f64 v[46:47], v[46:47], v[50:51]
	v_add_f64 v[22:23], v[22:23], -v[32:33]
	v_fma_f64 v[46:47], v[48:49], v[30:31], v[46:47]
	v_add_f64 v[24:25], v[24:25], -v[46:47]
	ds_read2_b64 v[46:49], v84 offset0:8 offset1:9
	s_waitcnt lgkmcnt(0)
	v_mul_f64 v[32:33], v[48:49], v[50:51]
	v_fma_f64 v[32:33], v[46:47], v[30:31], -v[32:33]
	v_mul_f64 v[46:47], v[46:47], v[50:51]
	v_add_f64 v[14:15], v[14:15], -v[32:33]
	v_fma_f64 v[46:47], v[48:49], v[30:31], v[46:47]
	v_add_f64 v[16:17], v[16:17], -v[46:47]
	ds_read2_b64 v[46:49], v84 offset0:10 offset1:11
	s_waitcnt lgkmcnt(0)
	v_mul_f64 v[32:33], v[48:49], v[50:51]
	v_fma_f64 v[32:33], v[46:47], v[30:31], -v[32:33]
	v_mul_f64 v[46:47], v[46:47], v[50:51]
	v_add_f64 v[10:11], v[10:11], -v[32:33]
	v_fma_f64 v[46:47], v[48:49], v[30:31], v[46:47]
	v_add_f64 v[12:13], v[12:13], -v[46:47]
	ds_read2_b64 v[46:49], v84 offset0:12 offset1:13
	s_waitcnt lgkmcnt(0)
	v_mul_f64 v[32:33], v[48:49], v[50:51]
	v_fma_f64 v[32:33], v[46:47], v[30:31], -v[32:33]
	v_mul_f64 v[46:47], v[46:47], v[50:51]
	v_add_f64 v[6:7], v[6:7], -v[32:33]
	v_fma_f64 v[46:47], v[48:49], v[30:31], v[46:47]
	v_add_f64 v[8:9], v[8:9], -v[46:47]
	ds_read2_b64 v[46:49], v84 offset0:14 offset1:15
	s_waitcnt lgkmcnt(0)
	v_mul_f64 v[32:33], v[48:49], v[50:51]
	v_fma_f64 v[32:33], v[46:47], v[30:31], -v[32:33]
	v_mul_f64 v[46:47], v[46:47], v[50:51]
	v_add_f64 v[2:3], v[2:3], -v[32:33]
	v_fma_f64 v[46:47], v[48:49], v[30:31], v[46:47]
	v_mov_b32_e32 v32, v50
	v_mov_b32_e32 v33, v51
	v_add_f64 v[4:5], v[4:5], -v[46:47]
.LBB15_28:
	s_or_b32 exec_lo, exec_lo, s1
	s_mov_b32 s2, exec_lo
	s_waitcnt lgkmcnt(0)
	s_barrier
	buffer_gl0_inv
	v_cmpx_eq_u32_e32 3, v0
	s_cbranch_execz .LBB15_35
; %bb.29:
	ds_write2_b64 v1, v[22:23], v[24:25] offset1:1
	ds_write2_b64 v84, v[14:15], v[16:17] offset0:8 offset1:9
	ds_write2_b64 v84, v[10:11], v[12:13] offset0:10 offset1:11
	;; [unrolled: 1-line block ×4, first 2 shown]
	ds_read2_b64 v[46:49], v1 offset1:1
	s_waitcnt lgkmcnt(0)
	v_cmp_neq_f64_e32 vcc_lo, 0, v[46:47]
	v_cmp_neq_f64_e64 s1, 0, v[48:49]
	s_or_b32 s1, vcc_lo, s1
	s_and_b32 exec_lo, exec_lo, s1
	s_cbranch_execz .LBB15_35
; %bb.30:
	v_cmp_ngt_f64_e64 s1, |v[46:47]|, |v[48:49]|
                                        ; implicit-def: $vgpr50_vgpr51
	s_and_saveexec_b32 s3, s1
	s_xor_b32 s1, exec_lo, s3
                                        ; implicit-def: $vgpr52_vgpr53
	s_cbranch_execz .LBB15_32
; %bb.31:
	v_div_scale_f64 v[50:51], null, v[48:49], v[48:49], v[46:47]
	v_div_scale_f64 v[56:57], vcc_lo, v[46:47], v[48:49], v[46:47]
	v_rcp_f64_e32 v[52:53], v[50:51]
	v_fma_f64 v[54:55], -v[50:51], v[52:53], 1.0
	v_fma_f64 v[52:53], v[52:53], v[54:55], v[52:53]
	v_fma_f64 v[54:55], -v[50:51], v[52:53], 1.0
	v_fma_f64 v[52:53], v[52:53], v[54:55], v[52:53]
	v_mul_f64 v[54:55], v[56:57], v[52:53]
	v_fma_f64 v[50:51], -v[50:51], v[54:55], v[56:57]
	v_div_fmas_f64 v[50:51], v[50:51], v[52:53], v[54:55]
	v_div_fixup_f64 v[50:51], v[50:51], v[48:49], v[46:47]
	v_fma_f64 v[46:47], v[46:47], v[50:51], v[48:49]
	v_div_scale_f64 v[48:49], null, v[46:47], v[46:47], 1.0
	v_rcp_f64_e32 v[52:53], v[48:49]
	v_fma_f64 v[54:55], -v[48:49], v[52:53], 1.0
	v_fma_f64 v[52:53], v[52:53], v[54:55], v[52:53]
	v_fma_f64 v[54:55], -v[48:49], v[52:53], 1.0
	v_fma_f64 v[52:53], v[52:53], v[54:55], v[52:53]
	v_div_scale_f64 v[54:55], vcc_lo, 1.0, v[46:47], 1.0
	v_mul_f64 v[56:57], v[54:55], v[52:53]
	v_fma_f64 v[48:49], -v[48:49], v[56:57], v[54:55]
	v_div_fmas_f64 v[48:49], v[48:49], v[52:53], v[56:57]
	v_div_fixup_f64 v[52:53], v[48:49], v[46:47], 1.0
                                        ; implicit-def: $vgpr46_vgpr47
	v_mul_f64 v[50:51], v[50:51], v[52:53]
	v_xor_b32_e32 v53, 0x80000000, v53
.LBB15_32:
	s_andn2_saveexec_b32 s1, s1
	s_cbranch_execz .LBB15_34
; %bb.33:
	v_div_scale_f64 v[50:51], null, v[46:47], v[46:47], v[48:49]
	v_div_scale_f64 v[56:57], vcc_lo, v[48:49], v[46:47], v[48:49]
	v_rcp_f64_e32 v[52:53], v[50:51]
	v_fma_f64 v[54:55], -v[50:51], v[52:53], 1.0
	v_fma_f64 v[52:53], v[52:53], v[54:55], v[52:53]
	v_fma_f64 v[54:55], -v[50:51], v[52:53], 1.0
	v_fma_f64 v[52:53], v[52:53], v[54:55], v[52:53]
	v_mul_f64 v[54:55], v[56:57], v[52:53]
	v_fma_f64 v[50:51], -v[50:51], v[54:55], v[56:57]
	v_div_fmas_f64 v[50:51], v[50:51], v[52:53], v[54:55]
	v_div_fixup_f64 v[52:53], v[50:51], v[46:47], v[48:49]
	v_fma_f64 v[46:47], v[48:49], v[52:53], v[46:47]
	v_div_scale_f64 v[48:49], null, v[46:47], v[46:47], 1.0
	v_rcp_f64_e32 v[50:51], v[48:49]
	v_fma_f64 v[54:55], -v[48:49], v[50:51], 1.0
	v_fma_f64 v[50:51], v[50:51], v[54:55], v[50:51]
	v_fma_f64 v[54:55], -v[48:49], v[50:51], 1.0
	v_fma_f64 v[50:51], v[50:51], v[54:55], v[50:51]
	v_div_scale_f64 v[54:55], vcc_lo, 1.0, v[46:47], 1.0
	v_mul_f64 v[56:57], v[54:55], v[50:51]
	v_fma_f64 v[48:49], -v[48:49], v[56:57], v[54:55]
	v_div_fmas_f64 v[48:49], v[48:49], v[50:51], v[56:57]
	v_div_fixup_f64 v[50:51], v[48:49], v[46:47], 1.0
	v_mul_f64 v[52:53], v[52:53], -v[50:51]
.LBB15_34:
	s_or_b32 exec_lo, exec_lo, s1
	ds_write2_b64 v1, v[50:51], v[52:53] offset1:1
.LBB15_35:
	s_or_b32 exec_lo, exec_lo, s2
	s_waitcnt lgkmcnt(0)
	s_barrier
	buffer_gl0_inv
	ds_read2_b64 v[46:49], v1 offset1:1
	s_mov_b32 s1, exec_lo
	v_cmpx_lt_u32_e32 3, v0
	s_cbranch_execz .LBB15_37
; %bb.36:
	s_waitcnt lgkmcnt(0)
	v_mul_f64 v[50:51], v[46:47], v[24:25]
	v_mul_f64 v[24:25], v[48:49], v[24:25]
	v_fma_f64 v[54:55], v[48:49], v[22:23], v[50:51]
	ds_read2_b64 v[50:53], v84 offset0:8 offset1:9
	v_fma_f64 v[22:23], v[46:47], v[22:23], -v[24:25]
	s_waitcnt lgkmcnt(0)
	v_mul_f64 v[24:25], v[52:53], v[54:55]
	v_fma_f64 v[24:25], v[50:51], v[22:23], -v[24:25]
	v_mul_f64 v[50:51], v[50:51], v[54:55]
	v_add_f64 v[14:15], v[14:15], -v[24:25]
	v_fma_f64 v[50:51], v[52:53], v[22:23], v[50:51]
	v_add_f64 v[16:17], v[16:17], -v[50:51]
	ds_read2_b64 v[50:53], v84 offset0:10 offset1:11
	s_waitcnt lgkmcnt(0)
	v_mul_f64 v[24:25], v[52:53], v[54:55]
	v_fma_f64 v[24:25], v[50:51], v[22:23], -v[24:25]
	v_mul_f64 v[50:51], v[50:51], v[54:55]
	v_add_f64 v[10:11], v[10:11], -v[24:25]
	v_fma_f64 v[50:51], v[52:53], v[22:23], v[50:51]
	v_add_f64 v[12:13], v[12:13], -v[50:51]
	ds_read2_b64 v[50:53], v84 offset0:12 offset1:13
	;; [unrolled: 8-line block ×3, first 2 shown]
	s_waitcnt lgkmcnt(0)
	v_mul_f64 v[24:25], v[52:53], v[54:55]
	v_fma_f64 v[24:25], v[50:51], v[22:23], -v[24:25]
	v_mul_f64 v[50:51], v[50:51], v[54:55]
	v_add_f64 v[2:3], v[2:3], -v[24:25]
	v_fma_f64 v[50:51], v[52:53], v[22:23], v[50:51]
	v_mov_b32_e32 v24, v54
	v_mov_b32_e32 v25, v55
	v_add_f64 v[4:5], v[4:5], -v[50:51]
.LBB15_37:
	s_or_b32 exec_lo, exec_lo, s1
	s_mov_b32 s2, exec_lo
	s_waitcnt lgkmcnt(0)
	s_barrier
	buffer_gl0_inv
	v_cmpx_eq_u32_e32 4, v0
	s_cbranch_execz .LBB15_44
; %bb.38:
	ds_write2_b64 v1, v[14:15], v[16:17] offset1:1
	ds_write2_b64 v84, v[10:11], v[12:13] offset0:10 offset1:11
	ds_write2_b64 v84, v[6:7], v[8:9] offset0:12 offset1:13
	;; [unrolled: 1-line block ×3, first 2 shown]
	ds_read2_b64 v[50:53], v1 offset1:1
	s_waitcnt lgkmcnt(0)
	v_cmp_neq_f64_e32 vcc_lo, 0, v[50:51]
	v_cmp_neq_f64_e64 s1, 0, v[52:53]
	s_or_b32 s1, vcc_lo, s1
	s_and_b32 exec_lo, exec_lo, s1
	s_cbranch_execz .LBB15_44
; %bb.39:
	v_cmp_ngt_f64_e64 s1, |v[50:51]|, |v[52:53]|
                                        ; implicit-def: $vgpr54_vgpr55
	s_and_saveexec_b32 s3, s1
	s_xor_b32 s1, exec_lo, s3
                                        ; implicit-def: $vgpr56_vgpr57
	s_cbranch_execz .LBB15_41
; %bb.40:
	v_div_scale_f64 v[54:55], null, v[52:53], v[52:53], v[50:51]
	v_div_scale_f64 v[60:61], vcc_lo, v[50:51], v[52:53], v[50:51]
	v_rcp_f64_e32 v[56:57], v[54:55]
	v_fma_f64 v[58:59], -v[54:55], v[56:57], 1.0
	v_fma_f64 v[56:57], v[56:57], v[58:59], v[56:57]
	v_fma_f64 v[58:59], -v[54:55], v[56:57], 1.0
	v_fma_f64 v[56:57], v[56:57], v[58:59], v[56:57]
	v_mul_f64 v[58:59], v[60:61], v[56:57]
	v_fma_f64 v[54:55], -v[54:55], v[58:59], v[60:61]
	v_div_fmas_f64 v[54:55], v[54:55], v[56:57], v[58:59]
	v_div_fixup_f64 v[54:55], v[54:55], v[52:53], v[50:51]
	v_fma_f64 v[50:51], v[50:51], v[54:55], v[52:53]
	v_div_scale_f64 v[52:53], null, v[50:51], v[50:51], 1.0
	v_rcp_f64_e32 v[56:57], v[52:53]
	v_fma_f64 v[58:59], -v[52:53], v[56:57], 1.0
	v_fma_f64 v[56:57], v[56:57], v[58:59], v[56:57]
	v_fma_f64 v[58:59], -v[52:53], v[56:57], 1.0
	v_fma_f64 v[56:57], v[56:57], v[58:59], v[56:57]
	v_div_scale_f64 v[58:59], vcc_lo, 1.0, v[50:51], 1.0
	v_mul_f64 v[60:61], v[58:59], v[56:57]
	v_fma_f64 v[52:53], -v[52:53], v[60:61], v[58:59]
	v_div_fmas_f64 v[52:53], v[52:53], v[56:57], v[60:61]
	v_div_fixup_f64 v[56:57], v[52:53], v[50:51], 1.0
                                        ; implicit-def: $vgpr50_vgpr51
	v_mul_f64 v[54:55], v[54:55], v[56:57]
	v_xor_b32_e32 v57, 0x80000000, v57
.LBB15_41:
	s_andn2_saveexec_b32 s1, s1
	s_cbranch_execz .LBB15_43
; %bb.42:
	v_div_scale_f64 v[54:55], null, v[50:51], v[50:51], v[52:53]
	v_div_scale_f64 v[60:61], vcc_lo, v[52:53], v[50:51], v[52:53]
	v_rcp_f64_e32 v[56:57], v[54:55]
	v_fma_f64 v[58:59], -v[54:55], v[56:57], 1.0
	v_fma_f64 v[56:57], v[56:57], v[58:59], v[56:57]
	v_fma_f64 v[58:59], -v[54:55], v[56:57], 1.0
	v_fma_f64 v[56:57], v[56:57], v[58:59], v[56:57]
	v_mul_f64 v[58:59], v[60:61], v[56:57]
	v_fma_f64 v[54:55], -v[54:55], v[58:59], v[60:61]
	v_div_fmas_f64 v[54:55], v[54:55], v[56:57], v[58:59]
	v_div_fixup_f64 v[56:57], v[54:55], v[50:51], v[52:53]
	v_fma_f64 v[50:51], v[52:53], v[56:57], v[50:51]
	v_div_scale_f64 v[52:53], null, v[50:51], v[50:51], 1.0
	v_rcp_f64_e32 v[54:55], v[52:53]
	v_fma_f64 v[58:59], -v[52:53], v[54:55], 1.0
	v_fma_f64 v[54:55], v[54:55], v[58:59], v[54:55]
	v_fma_f64 v[58:59], -v[52:53], v[54:55], 1.0
	v_fma_f64 v[54:55], v[54:55], v[58:59], v[54:55]
	v_div_scale_f64 v[58:59], vcc_lo, 1.0, v[50:51], 1.0
	v_mul_f64 v[60:61], v[58:59], v[54:55]
	v_fma_f64 v[52:53], -v[52:53], v[60:61], v[58:59]
	v_div_fmas_f64 v[52:53], v[52:53], v[54:55], v[60:61]
	v_div_fixup_f64 v[54:55], v[52:53], v[50:51], 1.0
	v_mul_f64 v[56:57], v[56:57], -v[54:55]
.LBB15_43:
	s_or_b32 exec_lo, exec_lo, s1
	ds_write2_b64 v1, v[54:55], v[56:57] offset1:1
.LBB15_44:
	s_or_b32 exec_lo, exec_lo, s2
	s_waitcnt lgkmcnt(0)
	s_barrier
	buffer_gl0_inv
	ds_read2_b64 v[50:53], v1 offset1:1
	s_mov_b32 s1, exec_lo
	v_cmpx_lt_u32_e32 4, v0
	s_cbranch_execz .LBB15_46
; %bb.45:
	s_waitcnt lgkmcnt(0)
	v_mul_f64 v[54:55], v[50:51], v[16:17]
	v_mul_f64 v[16:17], v[52:53], v[16:17]
	v_fma_f64 v[58:59], v[52:53], v[14:15], v[54:55]
	ds_read2_b64 v[54:57], v84 offset0:10 offset1:11
	v_fma_f64 v[14:15], v[50:51], v[14:15], -v[16:17]
	s_waitcnt lgkmcnt(0)
	v_mul_f64 v[16:17], v[56:57], v[58:59]
	v_fma_f64 v[16:17], v[54:55], v[14:15], -v[16:17]
	v_mul_f64 v[54:55], v[54:55], v[58:59]
	v_add_f64 v[10:11], v[10:11], -v[16:17]
	v_fma_f64 v[54:55], v[56:57], v[14:15], v[54:55]
	v_add_f64 v[12:13], v[12:13], -v[54:55]
	ds_read2_b64 v[54:57], v84 offset0:12 offset1:13
	s_waitcnt lgkmcnt(0)
	v_mul_f64 v[16:17], v[56:57], v[58:59]
	v_fma_f64 v[16:17], v[54:55], v[14:15], -v[16:17]
	v_mul_f64 v[54:55], v[54:55], v[58:59]
	v_add_f64 v[6:7], v[6:7], -v[16:17]
	v_fma_f64 v[54:55], v[56:57], v[14:15], v[54:55]
	v_add_f64 v[8:9], v[8:9], -v[54:55]
	ds_read2_b64 v[54:57], v84 offset0:14 offset1:15
	s_waitcnt lgkmcnt(0)
	v_mul_f64 v[16:17], v[56:57], v[58:59]
	v_fma_f64 v[16:17], v[54:55], v[14:15], -v[16:17]
	v_mul_f64 v[54:55], v[54:55], v[58:59]
	v_add_f64 v[2:3], v[2:3], -v[16:17]
	v_fma_f64 v[54:55], v[56:57], v[14:15], v[54:55]
	v_mov_b32_e32 v16, v58
	v_mov_b32_e32 v17, v59
	v_add_f64 v[4:5], v[4:5], -v[54:55]
.LBB15_46:
	s_or_b32 exec_lo, exec_lo, s1
	s_mov_b32 s2, exec_lo
	s_waitcnt lgkmcnt(0)
	s_barrier
	buffer_gl0_inv
	v_cmpx_eq_u32_e32 5, v0
	s_cbranch_execz .LBB15_53
; %bb.47:
	ds_write2_b64 v1, v[10:11], v[12:13] offset1:1
	ds_write2_b64 v84, v[6:7], v[8:9] offset0:12 offset1:13
	ds_write2_b64 v84, v[2:3], v[4:5] offset0:14 offset1:15
	ds_read2_b64 v[54:57], v1 offset1:1
	s_waitcnt lgkmcnt(0)
	v_cmp_neq_f64_e32 vcc_lo, 0, v[54:55]
	v_cmp_neq_f64_e64 s1, 0, v[56:57]
	s_or_b32 s1, vcc_lo, s1
	s_and_b32 exec_lo, exec_lo, s1
	s_cbranch_execz .LBB15_53
; %bb.48:
	v_cmp_ngt_f64_e64 s1, |v[54:55]|, |v[56:57]|
                                        ; implicit-def: $vgpr58_vgpr59
	s_and_saveexec_b32 s3, s1
	s_xor_b32 s1, exec_lo, s3
                                        ; implicit-def: $vgpr60_vgpr61
	s_cbranch_execz .LBB15_50
; %bb.49:
	v_div_scale_f64 v[58:59], null, v[56:57], v[56:57], v[54:55]
	v_div_scale_f64 v[64:65], vcc_lo, v[54:55], v[56:57], v[54:55]
	v_rcp_f64_e32 v[60:61], v[58:59]
	v_fma_f64 v[62:63], -v[58:59], v[60:61], 1.0
	v_fma_f64 v[60:61], v[60:61], v[62:63], v[60:61]
	v_fma_f64 v[62:63], -v[58:59], v[60:61], 1.0
	v_fma_f64 v[60:61], v[60:61], v[62:63], v[60:61]
	v_mul_f64 v[62:63], v[64:65], v[60:61]
	v_fma_f64 v[58:59], -v[58:59], v[62:63], v[64:65]
	v_div_fmas_f64 v[58:59], v[58:59], v[60:61], v[62:63]
	v_div_fixup_f64 v[58:59], v[58:59], v[56:57], v[54:55]
	v_fma_f64 v[54:55], v[54:55], v[58:59], v[56:57]
	v_div_scale_f64 v[56:57], null, v[54:55], v[54:55], 1.0
	v_rcp_f64_e32 v[60:61], v[56:57]
	v_fma_f64 v[62:63], -v[56:57], v[60:61], 1.0
	v_fma_f64 v[60:61], v[60:61], v[62:63], v[60:61]
	v_fma_f64 v[62:63], -v[56:57], v[60:61], 1.0
	v_fma_f64 v[60:61], v[60:61], v[62:63], v[60:61]
	v_div_scale_f64 v[62:63], vcc_lo, 1.0, v[54:55], 1.0
	v_mul_f64 v[64:65], v[62:63], v[60:61]
	v_fma_f64 v[56:57], -v[56:57], v[64:65], v[62:63]
	v_div_fmas_f64 v[56:57], v[56:57], v[60:61], v[64:65]
	v_div_fixup_f64 v[60:61], v[56:57], v[54:55], 1.0
                                        ; implicit-def: $vgpr54_vgpr55
	v_mul_f64 v[58:59], v[58:59], v[60:61]
	v_xor_b32_e32 v61, 0x80000000, v61
.LBB15_50:
	s_andn2_saveexec_b32 s1, s1
	s_cbranch_execz .LBB15_52
; %bb.51:
	v_div_scale_f64 v[58:59], null, v[54:55], v[54:55], v[56:57]
	v_div_scale_f64 v[64:65], vcc_lo, v[56:57], v[54:55], v[56:57]
	v_rcp_f64_e32 v[60:61], v[58:59]
	v_fma_f64 v[62:63], -v[58:59], v[60:61], 1.0
	v_fma_f64 v[60:61], v[60:61], v[62:63], v[60:61]
	v_fma_f64 v[62:63], -v[58:59], v[60:61], 1.0
	v_fma_f64 v[60:61], v[60:61], v[62:63], v[60:61]
	v_mul_f64 v[62:63], v[64:65], v[60:61]
	v_fma_f64 v[58:59], -v[58:59], v[62:63], v[64:65]
	v_div_fmas_f64 v[58:59], v[58:59], v[60:61], v[62:63]
	v_div_fixup_f64 v[60:61], v[58:59], v[54:55], v[56:57]
	v_fma_f64 v[54:55], v[56:57], v[60:61], v[54:55]
	v_div_scale_f64 v[56:57], null, v[54:55], v[54:55], 1.0
	v_rcp_f64_e32 v[58:59], v[56:57]
	v_fma_f64 v[62:63], -v[56:57], v[58:59], 1.0
	v_fma_f64 v[58:59], v[58:59], v[62:63], v[58:59]
	v_fma_f64 v[62:63], -v[56:57], v[58:59], 1.0
	v_fma_f64 v[58:59], v[58:59], v[62:63], v[58:59]
	v_div_scale_f64 v[62:63], vcc_lo, 1.0, v[54:55], 1.0
	v_mul_f64 v[64:65], v[62:63], v[58:59]
	v_fma_f64 v[56:57], -v[56:57], v[64:65], v[62:63]
	v_div_fmas_f64 v[56:57], v[56:57], v[58:59], v[64:65]
	v_div_fixup_f64 v[58:59], v[56:57], v[54:55], 1.0
	v_mul_f64 v[60:61], v[60:61], -v[58:59]
.LBB15_52:
	s_or_b32 exec_lo, exec_lo, s1
	ds_write2_b64 v1, v[58:59], v[60:61] offset1:1
.LBB15_53:
	s_or_b32 exec_lo, exec_lo, s2
	s_waitcnt lgkmcnt(0)
	s_barrier
	buffer_gl0_inv
	ds_read2_b64 v[54:57], v1 offset1:1
	s_mov_b32 s1, exec_lo
	v_cmpx_lt_u32_e32 5, v0
	s_cbranch_execz .LBB15_55
; %bb.54:
	s_waitcnt lgkmcnt(0)
	v_mul_f64 v[58:59], v[54:55], v[12:13]
	v_mul_f64 v[12:13], v[56:57], v[12:13]
	v_fma_f64 v[85:86], v[56:57], v[10:11], v[58:59]
	ds_read2_b64 v[58:61], v84 offset0:12 offset1:13
	ds_read2_b64 v[62:65], v84 offset0:14 offset1:15
	v_fma_f64 v[10:11], v[54:55], v[10:11], -v[12:13]
	s_waitcnt lgkmcnt(1)
	v_mul_f64 v[12:13], v[60:61], v[85:86]
	v_mul_f64 v[87:88], v[58:59], v[85:86]
	s_waitcnt lgkmcnt(0)
	v_mul_f64 v[89:90], v[64:65], v[85:86]
	v_mul_f64 v[91:92], v[62:63], v[85:86]
	v_fma_f64 v[12:13], v[58:59], v[10:11], -v[12:13]
	v_fma_f64 v[58:59], v[60:61], v[10:11], v[87:88]
	v_fma_f64 v[60:61], v[62:63], v[10:11], -v[89:90]
	v_fma_f64 v[62:63], v[64:65], v[10:11], v[91:92]
	v_add_f64 v[6:7], v[6:7], -v[12:13]
	v_add_f64 v[8:9], v[8:9], -v[58:59]
	;; [unrolled: 1-line block ×4, first 2 shown]
	v_mov_b32_e32 v12, v85
	v_mov_b32_e32 v13, v86
.LBB15_55:
	s_or_b32 exec_lo, exec_lo, s1
	s_mov_b32 s2, exec_lo
	s_waitcnt lgkmcnt(0)
	s_barrier
	buffer_gl0_inv
	v_cmpx_eq_u32_e32 6, v0
	s_cbranch_execz .LBB15_62
; %bb.56:
	ds_write2_b64 v1, v[6:7], v[8:9] offset1:1
	ds_write2_b64 v84, v[2:3], v[4:5] offset0:14 offset1:15
	ds_read2_b64 v[58:61], v1 offset1:1
	s_waitcnt lgkmcnt(0)
	v_cmp_neq_f64_e32 vcc_lo, 0, v[58:59]
	v_cmp_neq_f64_e64 s1, 0, v[60:61]
	s_or_b32 s1, vcc_lo, s1
	s_and_b32 exec_lo, exec_lo, s1
	s_cbranch_execz .LBB15_62
; %bb.57:
	v_cmp_ngt_f64_e64 s1, |v[58:59]|, |v[60:61]|
                                        ; implicit-def: $vgpr62_vgpr63
	s_and_saveexec_b32 s3, s1
	s_xor_b32 s1, exec_lo, s3
                                        ; implicit-def: $vgpr64_vgpr65
	s_cbranch_execz .LBB15_59
; %bb.58:
	v_div_scale_f64 v[62:63], null, v[60:61], v[60:61], v[58:59]
	v_div_scale_f64 v[87:88], vcc_lo, v[58:59], v[60:61], v[58:59]
	v_rcp_f64_e32 v[64:65], v[62:63]
	v_fma_f64 v[85:86], -v[62:63], v[64:65], 1.0
	v_fma_f64 v[64:65], v[64:65], v[85:86], v[64:65]
	v_fma_f64 v[85:86], -v[62:63], v[64:65], 1.0
	v_fma_f64 v[64:65], v[64:65], v[85:86], v[64:65]
	v_mul_f64 v[85:86], v[87:88], v[64:65]
	v_fma_f64 v[62:63], -v[62:63], v[85:86], v[87:88]
	v_div_fmas_f64 v[62:63], v[62:63], v[64:65], v[85:86]
	v_div_fixup_f64 v[62:63], v[62:63], v[60:61], v[58:59]
	v_fma_f64 v[58:59], v[58:59], v[62:63], v[60:61]
	v_div_scale_f64 v[60:61], null, v[58:59], v[58:59], 1.0
	v_rcp_f64_e32 v[64:65], v[60:61]
	v_fma_f64 v[85:86], -v[60:61], v[64:65], 1.0
	v_fma_f64 v[64:65], v[64:65], v[85:86], v[64:65]
	v_fma_f64 v[85:86], -v[60:61], v[64:65], 1.0
	v_fma_f64 v[64:65], v[64:65], v[85:86], v[64:65]
	v_div_scale_f64 v[85:86], vcc_lo, 1.0, v[58:59], 1.0
	v_mul_f64 v[87:88], v[85:86], v[64:65]
	v_fma_f64 v[60:61], -v[60:61], v[87:88], v[85:86]
	v_div_fmas_f64 v[60:61], v[60:61], v[64:65], v[87:88]
	v_div_fixup_f64 v[64:65], v[60:61], v[58:59], 1.0
                                        ; implicit-def: $vgpr58_vgpr59
	v_mul_f64 v[62:63], v[62:63], v[64:65]
	v_xor_b32_e32 v65, 0x80000000, v65
.LBB15_59:
	s_andn2_saveexec_b32 s1, s1
	s_cbranch_execz .LBB15_61
; %bb.60:
	v_div_scale_f64 v[62:63], null, v[58:59], v[58:59], v[60:61]
	v_div_scale_f64 v[87:88], vcc_lo, v[60:61], v[58:59], v[60:61]
	v_rcp_f64_e32 v[64:65], v[62:63]
	v_fma_f64 v[85:86], -v[62:63], v[64:65], 1.0
	v_fma_f64 v[64:65], v[64:65], v[85:86], v[64:65]
	v_fma_f64 v[85:86], -v[62:63], v[64:65], 1.0
	v_fma_f64 v[64:65], v[64:65], v[85:86], v[64:65]
	v_mul_f64 v[85:86], v[87:88], v[64:65]
	v_fma_f64 v[62:63], -v[62:63], v[85:86], v[87:88]
	v_div_fmas_f64 v[62:63], v[62:63], v[64:65], v[85:86]
	v_div_fixup_f64 v[64:65], v[62:63], v[58:59], v[60:61]
	v_fma_f64 v[58:59], v[60:61], v[64:65], v[58:59]
	v_div_scale_f64 v[60:61], null, v[58:59], v[58:59], 1.0
	v_rcp_f64_e32 v[62:63], v[60:61]
	v_fma_f64 v[85:86], -v[60:61], v[62:63], 1.0
	v_fma_f64 v[62:63], v[62:63], v[85:86], v[62:63]
	v_fma_f64 v[85:86], -v[60:61], v[62:63], 1.0
	v_fma_f64 v[62:63], v[62:63], v[85:86], v[62:63]
	v_div_scale_f64 v[85:86], vcc_lo, 1.0, v[58:59], 1.0
	v_mul_f64 v[87:88], v[85:86], v[62:63]
	v_fma_f64 v[60:61], -v[60:61], v[87:88], v[85:86]
	v_div_fmas_f64 v[60:61], v[60:61], v[62:63], v[87:88]
	v_div_fixup_f64 v[62:63], v[60:61], v[58:59], 1.0
	v_mul_f64 v[64:65], v[64:65], -v[62:63]
.LBB15_61:
	s_or_b32 exec_lo, exec_lo, s1
	ds_write2_b64 v1, v[62:63], v[64:65] offset1:1
.LBB15_62:
	s_or_b32 exec_lo, exec_lo, s2
	s_waitcnt lgkmcnt(0)
	s_barrier
	buffer_gl0_inv
	ds_read2_b64 v[58:61], v1 offset1:1
	s_mov_b32 s1, exec_lo
	v_cmpx_lt_u32_e32 6, v0
	s_cbranch_execz .LBB15_64
; %bb.63:
	s_waitcnt lgkmcnt(0)
	v_mul_f64 v[62:63], v[58:59], v[8:9]
	v_mul_f64 v[8:9], v[60:61], v[8:9]
	v_fma_f64 v[85:86], v[60:61], v[6:7], v[62:63]
	ds_read2_b64 v[62:65], v84 offset0:14 offset1:15
	v_fma_f64 v[6:7], v[58:59], v[6:7], -v[8:9]
	s_waitcnt lgkmcnt(0)
	v_mul_f64 v[8:9], v[64:65], v[85:86]
	v_mul_f64 v[87:88], v[62:63], v[85:86]
	v_fma_f64 v[8:9], v[62:63], v[6:7], -v[8:9]
	v_fma_f64 v[62:63], v[64:65], v[6:7], v[87:88]
	v_add_f64 v[2:3], v[2:3], -v[8:9]
	v_add_f64 v[4:5], v[4:5], -v[62:63]
	v_mov_b32_e32 v8, v85
	v_mov_b32_e32 v9, v86
.LBB15_64:
	s_or_b32 exec_lo, exec_lo, s1
	s_mov_b32 s2, exec_lo
	s_waitcnt lgkmcnt(0)
	s_barrier
	buffer_gl0_inv
	v_cmpx_eq_u32_e32 7, v0
	s_cbranch_execz .LBB15_71
; %bb.65:
	v_cmp_neq_f64_e32 vcc_lo, 0, v[2:3]
	v_cmp_neq_f64_e64 s1, 0, v[4:5]
	ds_write2_b64 v1, v[2:3], v[4:5] offset1:1
	s_or_b32 s1, vcc_lo, s1
	s_and_b32 exec_lo, exec_lo, s1
	s_cbranch_execz .LBB15_71
; %bb.66:
	v_cmp_ngt_f64_e64 s1, |v[2:3]|, |v[4:5]|
                                        ; implicit-def: $vgpr62_vgpr63
	s_and_saveexec_b32 s3, s1
	s_xor_b32 s1, exec_lo, s3
                                        ; implicit-def: $vgpr64_vgpr65
	s_cbranch_execz .LBB15_68
; %bb.67:
	v_div_scale_f64 v[62:63], null, v[4:5], v[4:5], v[2:3]
	v_div_scale_f64 v[86:87], vcc_lo, v[2:3], v[4:5], v[2:3]
	v_rcp_f64_e32 v[64:65], v[62:63]
	v_fma_f64 v[84:85], -v[62:63], v[64:65], 1.0
	v_fma_f64 v[64:65], v[64:65], v[84:85], v[64:65]
	v_fma_f64 v[84:85], -v[62:63], v[64:65], 1.0
	v_fma_f64 v[64:65], v[64:65], v[84:85], v[64:65]
	v_mul_f64 v[84:85], v[86:87], v[64:65]
	v_fma_f64 v[62:63], -v[62:63], v[84:85], v[86:87]
	v_div_fmas_f64 v[62:63], v[62:63], v[64:65], v[84:85]
	v_div_fixup_f64 v[62:63], v[62:63], v[4:5], v[2:3]
	v_fma_f64 v[64:65], v[2:3], v[62:63], v[4:5]
	v_div_scale_f64 v[84:85], null, v[64:65], v[64:65], 1.0
	v_rcp_f64_e32 v[86:87], v[84:85]
	v_fma_f64 v[88:89], -v[84:85], v[86:87], 1.0
	v_fma_f64 v[86:87], v[86:87], v[88:89], v[86:87]
	v_fma_f64 v[88:89], -v[84:85], v[86:87], 1.0
	v_fma_f64 v[86:87], v[86:87], v[88:89], v[86:87]
	v_div_scale_f64 v[88:89], vcc_lo, 1.0, v[64:65], 1.0
	v_mul_f64 v[90:91], v[88:89], v[86:87]
	v_fma_f64 v[84:85], -v[84:85], v[90:91], v[88:89]
	v_div_fmas_f64 v[84:85], v[84:85], v[86:87], v[90:91]
	v_div_fixup_f64 v[64:65], v[84:85], v[64:65], 1.0
	v_mul_f64 v[62:63], v[62:63], v[64:65]
	v_xor_b32_e32 v65, 0x80000000, v65
.LBB15_68:
	s_andn2_saveexec_b32 s1, s1
	s_cbranch_execz .LBB15_70
; %bb.69:
	v_div_scale_f64 v[62:63], null, v[2:3], v[2:3], v[4:5]
	v_div_scale_f64 v[86:87], vcc_lo, v[4:5], v[2:3], v[4:5]
	v_rcp_f64_e32 v[64:65], v[62:63]
	v_fma_f64 v[84:85], -v[62:63], v[64:65], 1.0
	v_fma_f64 v[64:65], v[64:65], v[84:85], v[64:65]
	v_fma_f64 v[84:85], -v[62:63], v[64:65], 1.0
	v_fma_f64 v[64:65], v[64:65], v[84:85], v[64:65]
	v_mul_f64 v[84:85], v[86:87], v[64:65]
	v_fma_f64 v[62:63], -v[62:63], v[84:85], v[86:87]
	v_div_fmas_f64 v[62:63], v[62:63], v[64:65], v[84:85]
	v_div_fixup_f64 v[64:65], v[62:63], v[2:3], v[4:5]
	v_fma_f64 v[62:63], v[4:5], v[64:65], v[2:3]
	v_div_scale_f64 v[84:85], null, v[62:63], v[62:63], 1.0
	v_rcp_f64_e32 v[86:87], v[84:85]
	v_fma_f64 v[88:89], -v[84:85], v[86:87], 1.0
	v_fma_f64 v[86:87], v[86:87], v[88:89], v[86:87]
	v_fma_f64 v[88:89], -v[84:85], v[86:87], 1.0
	v_fma_f64 v[86:87], v[86:87], v[88:89], v[86:87]
	v_div_scale_f64 v[88:89], vcc_lo, 1.0, v[62:63], 1.0
	v_mul_f64 v[90:91], v[88:89], v[86:87]
	v_fma_f64 v[84:85], -v[84:85], v[90:91], v[88:89]
	v_div_fmas_f64 v[84:85], v[84:85], v[86:87], v[90:91]
	v_div_fixup_f64 v[62:63], v[84:85], v[62:63], 1.0
	v_mul_f64 v[64:65], v[64:65], -v[62:63]
.LBB15_70:
	s_or_b32 exec_lo, exec_lo, s1
	ds_write2_b64 v1, v[62:63], v[64:65] offset1:1
.LBB15_71:
	s_or_b32 exec_lo, exec_lo, s2
	s_waitcnt lgkmcnt(0)
	s_barrier
	buffer_gl0_inv
	ds_read2_b64 v[62:65], v1 offset1:1
	s_mov_b32 s1, exec_lo
	v_cmpx_lt_u32_e32 7, v0
	s_cbranch_execz .LBB15_73
; %bb.72:
	s_waitcnt lgkmcnt(0)
	v_mul_f64 v[0:1], v[64:65], v[4:5]
	v_mul_f64 v[4:5], v[62:63], v[4:5]
	v_fma_f64 v[0:1], v[62:63], v[2:3], -v[0:1]
	v_fma_f64 v[4:5], v[64:65], v[2:3], v[4:5]
	v_mov_b32_e32 v3, v1
	v_mov_b32_e32 v2, v0
.LBB15_73:
	s_or_b32 exec_lo, exec_lo, s1
	s_waitcnt lgkmcnt(0)
	s_barrier
	buffer_gl0_inv
	s_and_saveexec_b32 s6, s0
	s_cbranch_execz .LBB15_76
; %bb.74:
	v_lshlrev_b64 v[0:1], 2, v[66:67]
	v_cmp_eq_f64_e64 s0, 0, v[36:37]
	v_cmp_neq_f64_e64 s1, 0, v[38:39]
	v_cmp_neq_f64_e64 s2, 0, v[40:41]
	v_cmp_eq_f64_e64 s3, 0, v[42:43]
	v_cmp_eq_f64_e64 s4, 0, v[44:45]
	v_add_co_u32 v0, vcc_lo, s10, v0
	v_add_co_ci_u32_e64 v1, null, s11, v1, vcc_lo
	v_cmp_eq_f64_e32 vcc_lo, 0, v[34:35]
	v_cmp_eq_f64_e64 s5, 0, v[46:47]
	global_load_dword v66, v[0:1], off
	s_or_b32 s1, s1, s2
	v_cmp_eq_f64_e64 s2, 0, v[52:53]
	s_and_b32 s3, s3, s4
	v_cmp_eq_f64_e64 s4, 0, v[56:57]
	s_and_b32 s0, vcc_lo, s0
	v_cmp_eq_f64_e32 vcc_lo, 0, v[48:49]
	v_cndmask_b32_e64 v34, 0, 1, s0
	s_or_b32 s0, s1, s0
	v_cmp_eq_f64_e64 s1, 0, v[50:51]
	v_cndmask_b32_e64 v34, 2, v34, s0
	v_cmp_eq_u32_e64 s0, 0, v34
	s_and_b32 s0, s3, s0
	v_cmp_eq_f64_e64 s3, 0, v[54:55]
	v_cndmask_b32_e64 v34, v34, 3, s0
	s_and_b32 s5, s5, vcc_lo
	v_cmp_eq_u32_e64 s0, 0, v34
	s_and_b32 s1, s1, s2
	v_cmp_eq_f64_e64 s2, 0, v[64:65]
	s_and_b32 s0, s5, s0
	v_cmp_eq_f64_e64 s5, 0, v[60:61]
	v_cndmask_b32_e64 v34, v34, 4, s0
	v_cmp_eq_f64_e64 s0, 0, v[58:59]
	v_cmp_eq_u32_e32 vcc_lo, 0, v34
	s_and_b32 s3, s3, s4
	s_and_b32 s1, s1, vcc_lo
	v_cndmask_b32_e64 v34, v34, 5, s1
	v_cmp_eq_f64_e64 s1, 0, v[62:63]
	v_cmp_eq_u32_e32 vcc_lo, 0, v34
	s_and_b32 s3, s3, vcc_lo
	s_and_b32 s0, s0, s5
	v_cndmask_b32_e64 v34, v34, 6, s3
	v_cmp_eq_u32_e32 vcc_lo, 0, v34
	s_and_b32 s0, s0, vcc_lo
	v_cndmask_b32_e64 v34, v34, 7, s0
	s_and_b32 s0, s1, s2
	v_cmp_eq_u32_e32 vcc_lo, 0, v34
	s_and_b32 s0, s0, vcc_lo
	v_cndmask_b32_e64 v34, v34, 8, s0
	v_cmp_ne_u32_e64 s0, 0, v34
	s_waitcnt vmcnt(0)
	v_cmp_eq_u32_e32 vcc_lo, 0, v66
	s_and_b32 s0, vcc_lo, s0
	s_and_b32 exec_lo, exec_lo, s0
	s_cbranch_execz .LBB15_76
; %bb.75:
	v_add_nc_u32_e32 v34, s13, v34
	global_store_dword v[0:1], v34, off
.LBB15_76:
	s_or_b32 exec_lo, exec_lo, s6
	global_store_dwordx4 v[80:81], v[26:29], off
	global_store_dwordx4 v[82:83], v[18:21], off
	;; [unrolled: 1-line block ×8, first 2 shown]
.LBB15_77:
	s_endpgm
	.section	.rodata,"a",@progbits
	.p2align	6, 0x0
	.amdhsa_kernel _ZN9rocsolver6v33100L23getf2_npvt_small_kernelILi8E19rocblas_complex_numIdEiiPS3_EEvT1_T3_lS5_lPT2_S5_S5_
		.amdhsa_group_segment_fixed_size 0
		.amdhsa_private_segment_fixed_size 0
		.amdhsa_kernarg_size 312
		.amdhsa_user_sgpr_count 6
		.amdhsa_user_sgpr_private_segment_buffer 1
		.amdhsa_user_sgpr_dispatch_ptr 0
		.amdhsa_user_sgpr_queue_ptr 0
		.amdhsa_user_sgpr_kernarg_segment_ptr 1
		.amdhsa_user_sgpr_dispatch_id 0
		.amdhsa_user_sgpr_flat_scratch_init 0
		.amdhsa_user_sgpr_private_segment_size 0
		.amdhsa_wavefront_size32 1
		.amdhsa_uses_dynamic_stack 0
		.amdhsa_system_sgpr_private_segment_wavefront_offset 0
		.amdhsa_system_sgpr_workgroup_id_x 1
		.amdhsa_system_sgpr_workgroup_id_y 1
		.amdhsa_system_sgpr_workgroup_id_z 0
		.amdhsa_system_sgpr_workgroup_info 0
		.amdhsa_system_vgpr_workitem_id 1
		.amdhsa_next_free_vgpr 93
		.amdhsa_next_free_sgpr 15
		.amdhsa_reserve_vcc 1
		.amdhsa_reserve_flat_scratch 0
		.amdhsa_float_round_mode_32 0
		.amdhsa_float_round_mode_16_64 0
		.amdhsa_float_denorm_mode_32 3
		.amdhsa_float_denorm_mode_16_64 3
		.amdhsa_dx10_clamp 1
		.amdhsa_ieee_mode 1
		.amdhsa_fp16_overflow 0
		.amdhsa_workgroup_processor_mode 1
		.amdhsa_memory_ordered 1
		.amdhsa_forward_progress 1
		.amdhsa_shared_vgpr_count 0
		.amdhsa_exception_fp_ieee_invalid_op 0
		.amdhsa_exception_fp_denorm_src 0
		.amdhsa_exception_fp_ieee_div_zero 0
		.amdhsa_exception_fp_ieee_overflow 0
		.amdhsa_exception_fp_ieee_underflow 0
		.amdhsa_exception_fp_ieee_inexact 0
		.amdhsa_exception_int_div_zero 0
	.end_amdhsa_kernel
	.section	.text._ZN9rocsolver6v33100L23getf2_npvt_small_kernelILi8E19rocblas_complex_numIdEiiPS3_EEvT1_T3_lS5_lPT2_S5_S5_,"axG",@progbits,_ZN9rocsolver6v33100L23getf2_npvt_small_kernelILi8E19rocblas_complex_numIdEiiPS3_EEvT1_T3_lS5_lPT2_S5_S5_,comdat
.Lfunc_end15:
	.size	_ZN9rocsolver6v33100L23getf2_npvt_small_kernelILi8E19rocblas_complex_numIdEiiPS3_EEvT1_T3_lS5_lPT2_S5_S5_, .Lfunc_end15-_ZN9rocsolver6v33100L23getf2_npvt_small_kernelILi8E19rocblas_complex_numIdEiiPS3_EEvT1_T3_lS5_lPT2_S5_S5_
                                        ; -- End function
	.set _ZN9rocsolver6v33100L23getf2_npvt_small_kernelILi8E19rocblas_complex_numIdEiiPS3_EEvT1_T3_lS5_lPT2_S5_S5_.num_vgpr, 93
	.set _ZN9rocsolver6v33100L23getf2_npvt_small_kernelILi8E19rocblas_complex_numIdEiiPS3_EEvT1_T3_lS5_lPT2_S5_S5_.num_agpr, 0
	.set _ZN9rocsolver6v33100L23getf2_npvt_small_kernelILi8E19rocblas_complex_numIdEiiPS3_EEvT1_T3_lS5_lPT2_S5_S5_.numbered_sgpr, 15
	.set _ZN9rocsolver6v33100L23getf2_npvt_small_kernelILi8E19rocblas_complex_numIdEiiPS3_EEvT1_T3_lS5_lPT2_S5_S5_.num_named_barrier, 0
	.set _ZN9rocsolver6v33100L23getf2_npvt_small_kernelILi8E19rocblas_complex_numIdEiiPS3_EEvT1_T3_lS5_lPT2_S5_S5_.private_seg_size, 0
	.set _ZN9rocsolver6v33100L23getf2_npvt_small_kernelILi8E19rocblas_complex_numIdEiiPS3_EEvT1_T3_lS5_lPT2_S5_S5_.uses_vcc, 1
	.set _ZN9rocsolver6v33100L23getf2_npvt_small_kernelILi8E19rocblas_complex_numIdEiiPS3_EEvT1_T3_lS5_lPT2_S5_S5_.uses_flat_scratch, 0
	.set _ZN9rocsolver6v33100L23getf2_npvt_small_kernelILi8E19rocblas_complex_numIdEiiPS3_EEvT1_T3_lS5_lPT2_S5_S5_.has_dyn_sized_stack, 0
	.set _ZN9rocsolver6v33100L23getf2_npvt_small_kernelILi8E19rocblas_complex_numIdEiiPS3_EEvT1_T3_lS5_lPT2_S5_S5_.has_recursion, 0
	.set _ZN9rocsolver6v33100L23getf2_npvt_small_kernelILi8E19rocblas_complex_numIdEiiPS3_EEvT1_T3_lS5_lPT2_S5_S5_.has_indirect_call, 0
	.section	.AMDGPU.csdata,"",@progbits
; Kernel info:
; codeLenInByte = 7468
; TotalNumSgprs: 17
; NumVgprs: 93
; ScratchSize: 0
; MemoryBound: 0
; FloatMode: 240
; IeeeMode: 1
; LDSByteSize: 0 bytes/workgroup (compile time only)
; SGPRBlocks: 0
; VGPRBlocks: 11
; NumSGPRsForWavesPerEU: 17
; NumVGPRsForWavesPerEU: 93
; Occupancy: 10
; WaveLimiterHint : 0
; COMPUTE_PGM_RSRC2:SCRATCH_EN: 0
; COMPUTE_PGM_RSRC2:USER_SGPR: 6
; COMPUTE_PGM_RSRC2:TRAP_HANDLER: 0
; COMPUTE_PGM_RSRC2:TGID_X_EN: 1
; COMPUTE_PGM_RSRC2:TGID_Y_EN: 1
; COMPUTE_PGM_RSRC2:TGID_Z_EN: 0
; COMPUTE_PGM_RSRC2:TIDIG_COMP_CNT: 1
	.section	.text._ZN9rocsolver6v33100L18getf2_small_kernelILi9E19rocblas_complex_numIdEiiPS3_EEvT1_T3_lS5_lPS5_llPT2_S5_S5_S7_l,"axG",@progbits,_ZN9rocsolver6v33100L18getf2_small_kernelILi9E19rocblas_complex_numIdEiiPS3_EEvT1_T3_lS5_lPS5_llPT2_S5_S5_S7_l,comdat
	.globl	_ZN9rocsolver6v33100L18getf2_small_kernelILi9E19rocblas_complex_numIdEiiPS3_EEvT1_T3_lS5_lPS5_llPT2_S5_S5_S7_l ; -- Begin function _ZN9rocsolver6v33100L18getf2_small_kernelILi9E19rocblas_complex_numIdEiiPS3_EEvT1_T3_lS5_lPS5_llPT2_S5_S5_S7_l
	.p2align	8
	.type	_ZN9rocsolver6v33100L18getf2_small_kernelILi9E19rocblas_complex_numIdEiiPS3_EEvT1_T3_lS5_lPS5_llPT2_S5_S5_S7_l,@function
_ZN9rocsolver6v33100L18getf2_small_kernelILi9E19rocblas_complex_numIdEiiPS3_EEvT1_T3_lS5_lPS5_llPT2_S5_S5_S7_l: ; @_ZN9rocsolver6v33100L18getf2_small_kernelILi9E19rocblas_complex_numIdEiiPS3_EEvT1_T3_lS5_lPS5_llPT2_S5_S5_S7_l
; %bb.0:
	s_clause 0x1
	s_load_dword s0, s[4:5], 0x6c
	s_load_dwordx2 s[16:17], s[4:5], 0x48
	s_waitcnt lgkmcnt(0)
	s_lshr_b32 s0, s0, 16
	v_mad_u64_u32 v[42:43], null, s7, s0, v[1:2]
	s_mov_b32 s0, exec_lo
	v_cmpx_gt_i32_e64 s16, v42
	s_cbranch_execz .LBB16_192
; %bb.1:
	s_load_dwordx4 s[0:3], s[4:5], 0x50
	v_mov_b32_e32 v44, 0
	v_ashrrev_i32_e32 v43, 31, v42
	v_mov_b32_e32 v45, 0
	s_waitcnt lgkmcnt(0)
	s_cmp_eq_u64 s[0:1], 0
	s_cselect_b32 s16, -1, 0
	s_and_b32 vcc_lo, exec_lo, s16
	s_cbranch_vccnz .LBB16_3
; %bb.2:
	v_mul_lo_u32 v4, s3, v42
	v_mul_lo_u32 v5, s2, v43
	v_mad_u64_u32 v[2:3], null, s2, v42, 0
	v_add3_u32 v3, v3, v5, v4
	v_lshlrev_b64 v[2:3], 2, v[2:3]
	v_add_co_u32 v44, vcc_lo, s0, v2
	v_add_co_ci_u32_e64 v45, null, s1, v3, vcc_lo
.LBB16_3:
	s_clause 0x2
	s_load_dwordx8 s[8:15], s[4:5], 0x20
	s_load_dword s6, s[4:5], 0x18
	s_load_dwordx4 s[0:3], s[4:5], 0x8
	v_lshlrev_b32_e32 v46, 4, v0
	s_waitcnt lgkmcnt(0)
	v_mul_lo_u32 v5, s9, v42
	v_mul_lo_u32 v7, s8, v43
	v_mad_u64_u32 v[2:3], null, s8, v42, 0
	v_add3_u32 v4, s6, s6, v0
	s_lshl_b64 s[2:3], s[2:3], 4
	s_ashr_i32 s7, s6, 31
	s_lshl_b64 s[8:9], s[6:7], 4
	v_add_nc_u32_e32 v6, s6, v4
	v_add3_u32 v3, v3, v7, v5
	v_ashrrev_i32_e32 v5, 31, v4
	v_add_nc_u32_e32 v8, s6, v6
	v_lshlrev_b64 v[2:3], 4, v[2:3]
	v_ashrrev_i32_e32 v7, 31, v6
	v_lshlrev_b64 v[4:5], 4, v[4:5]
	v_ashrrev_i32_e32 v9, 31, v8
	v_add_nc_u32_e32 v10, s6, v8
	v_add_co_u32 v12, vcc_lo, s0, v2
	v_add_co_ci_u32_e64 v13, null, s1, v3, vcc_lo
	v_lshlrev_b64 v[6:7], 4, v[6:7]
	v_add_co_u32 v49, vcc_lo, v12, s2
	v_add_co_ci_u32_e64 v50, null, s3, v13, vcc_lo
	v_lshlrev_b64 v[2:3], 4, v[8:9]
	v_add_nc_u32_e32 v8, s6, v10
	v_add_co_u32 v13, vcc_lo, v49, v46
	v_add_co_ci_u32_e64 v14, null, 0, v50, vcc_lo
	v_add_co_u32 v4, vcc_lo, v49, v4
	v_add_co_ci_u32_e64 v5, null, v50, v5, vcc_lo
	v_add_co_u32 v6, vcc_lo, v49, v6
	v_ashrrev_i32_e32 v11, 31, v10
	v_add_nc_u32_e32 v12, s6, v8
	v_add_co_ci_u32_e64 v7, null, v50, v7, vcc_lo
	v_add_co_u32 v15, vcc_lo, v13, s8
	v_add_co_ci_u32_e64 v16, null, s9, v14, vcc_lo
	v_lshlrev_b64 v[10:11], 4, v[10:11]
	s_clause 0x3
	global_load_dwordx4 v[26:29], v[4:5], off
	global_load_dwordx4 v[22:25], v[6:7], off
	;; [unrolled: 1-line block ×4, first 2 shown]
	v_add_nc_u32_e32 v6, s6, v12
	v_ashrrev_i32_e32 v9, 31, v8
	v_ashrrev_i32_e32 v13, 31, v12
	v_add_co_u32 v2, vcc_lo, v49, v2
	v_ashrrev_i32_e32 v7, 31, v6
	v_add_co_ci_u32_e64 v3, null, v50, v3, vcc_lo
	v_lshlrev_b64 v[4:5], 4, v[8:9]
	v_add_co_u32 v8, vcc_lo, v49, v10
	v_add_co_ci_u32_e64 v9, null, v50, v11, vcc_lo
	v_lshlrev_b64 v[10:11], 4, v[12:13]
	v_lshlrev_b64 v[6:7], 4, v[6:7]
	v_add_co_u32 v4, vcc_lo, v49, v4
	v_add_co_ci_u32_e64 v5, null, v50, v5, vcc_lo
	v_add_co_u32 v38, vcc_lo, v49, v10
	v_add_co_ci_u32_e64 v39, null, v50, v11, vcc_lo
	;; [unrolled: 2-line block ×3, first 2 shown]
	s_clause 0x4
	global_load_dwordx4 v[18:21], v[2:3], off
	global_load_dwordx4 v[14:17], v[8:9], off
	;; [unrolled: 1-line block ×5, first 2 shown]
	s_clause 0x1
	s_load_dword s3, s[4:5], 0x0
	s_load_dwordx2 s[4:5], s[4:5], 0x40
	s_waitcnt lgkmcnt(0)
	s_max_i32 s0, s3, 9
	s_cmp_lt_i32 s3, 2
	v_mul_lo_u32 v47, s0, v1
	v_lshl_add_u32 v1, v47, 4, 0
	v_lshlrev_b32_e32 v48, 4, v47
	v_add_nc_u32_e32 v38, v1, v46
	v_mov_b32_e32 v46, 0
	s_waitcnt vmcnt(6)
	ds_write2_b64 v38, v[34:35], v[36:37] offset1:1
	s_waitcnt vmcnt(0) lgkmcnt(0)
	s_barrier
	buffer_gl0_inv
	ds_read2_b64 v[38:41], v1 offset1:1
	s_cbranch_scc1 .LBB16_6
; %bb.4:
	v_add3_u32 v47, v48, 0, 16
	v_mov_b32_e32 v46, 0
	s_mov_b32 s1, 1
	s_inst_prefetch 0x1
	.p2align	6
.LBB16_5:                               ; =>This Inner Loop Header: Depth=1
	s_waitcnt lgkmcnt(0)
	v_cmp_gt_f64_e32 vcc_lo, 0, v[40:41]
	v_cmp_gt_f64_e64 s0, 0, v[38:39]
	ds_read2_b64 v[51:54], v47 offset1:1
	v_xor_b32_e32 v56, 0x80000000, v39
	v_xor_b32_e32 v58, 0x80000000, v41
	v_mov_b32_e32 v55, v38
	v_mov_b32_e32 v57, v40
	v_add_nc_u32_e32 v47, 16, v47
	s_waitcnt lgkmcnt(0)
	v_xor_b32_e32 v60, 0x80000000, v54
	v_cndmask_b32_e64 v56, v39, v56, s0
	v_cndmask_b32_e32 v58, v41, v58, vcc_lo
	v_cmp_gt_f64_e32 vcc_lo, 0, v[53:54]
	v_cmp_gt_f64_e64 s0, 0, v[51:52]
	v_mov_b32_e32 v59, v53
	v_add_f64 v[55:56], v[55:56], v[57:58]
	v_xor_b32_e32 v58, 0x80000000, v52
	v_mov_b32_e32 v57, v51
	v_cndmask_b32_e32 v60, v54, v60, vcc_lo
	v_cndmask_b32_e64 v58, v52, v58, s0
	v_add_f64 v[57:58], v[57:58], v[59:60]
	v_cmp_lt_f64_e32 vcc_lo, v[55:56], v[57:58]
	v_cndmask_b32_e32 v39, v39, v52, vcc_lo
	v_cndmask_b32_e32 v38, v38, v51, vcc_lo
	;; [unrolled: 1-line block ×4, first 2 shown]
	v_cndmask_b32_e64 v46, v46, s1, vcc_lo
	s_add_i32 s1, s1, 1
	s_cmp_eq_u32 s3, s1
	s_cbranch_scc0 .LBB16_5
.LBB16_6:
	s_inst_prefetch 0x2
	s_waitcnt lgkmcnt(0)
	v_cmp_neq_f64_e32 vcc_lo, 0, v[38:39]
	v_cmp_neq_f64_e64 s0, 0, v[40:41]
	v_mov_b32_e32 v51, 1
	v_mov_b32_e32 v53, 1
	s_or_b32 s1, vcc_lo, s0
	s_and_saveexec_b32 s0, s1
	s_cbranch_execz .LBB16_12
; %bb.7:
	v_cmp_ngt_f64_e64 s1, |v[38:39]|, |v[40:41]|
	s_and_saveexec_b32 s2, s1
	s_xor_b32 s1, exec_lo, s2
	s_cbranch_execz .LBB16_9
; %bb.8:
	v_div_scale_f64 v[51:52], null, v[40:41], v[40:41], v[38:39]
	v_div_scale_f64 v[57:58], vcc_lo, v[38:39], v[40:41], v[38:39]
	v_rcp_f64_e32 v[53:54], v[51:52]
	v_fma_f64 v[55:56], -v[51:52], v[53:54], 1.0
	v_fma_f64 v[53:54], v[53:54], v[55:56], v[53:54]
	v_fma_f64 v[55:56], -v[51:52], v[53:54], 1.0
	v_fma_f64 v[53:54], v[53:54], v[55:56], v[53:54]
	v_mul_f64 v[55:56], v[57:58], v[53:54]
	v_fma_f64 v[51:52], -v[51:52], v[55:56], v[57:58]
	v_div_fmas_f64 v[51:52], v[51:52], v[53:54], v[55:56]
	v_div_fixup_f64 v[51:52], v[51:52], v[40:41], v[38:39]
	v_fma_f64 v[38:39], v[38:39], v[51:52], v[40:41]
	v_div_scale_f64 v[40:41], null, v[38:39], v[38:39], 1.0
	v_rcp_f64_e32 v[53:54], v[40:41]
	v_fma_f64 v[55:56], -v[40:41], v[53:54], 1.0
	v_fma_f64 v[53:54], v[53:54], v[55:56], v[53:54]
	v_fma_f64 v[55:56], -v[40:41], v[53:54], 1.0
	v_fma_f64 v[53:54], v[53:54], v[55:56], v[53:54]
	v_div_scale_f64 v[55:56], vcc_lo, 1.0, v[38:39], 1.0
	v_mul_f64 v[57:58], v[55:56], v[53:54]
	v_fma_f64 v[40:41], -v[40:41], v[57:58], v[55:56]
	v_div_fmas_f64 v[40:41], v[40:41], v[53:54], v[57:58]
	v_div_fixup_f64 v[40:41], v[40:41], v[38:39], 1.0
	v_mul_f64 v[38:39], v[51:52], v[40:41]
	v_xor_b32_e32 v41, 0x80000000, v41
.LBB16_9:
	s_andn2_saveexec_b32 s1, s1
	s_cbranch_execz .LBB16_11
; %bb.10:
	v_div_scale_f64 v[51:52], null, v[38:39], v[38:39], v[40:41]
	v_div_scale_f64 v[57:58], vcc_lo, v[40:41], v[38:39], v[40:41]
	v_rcp_f64_e32 v[53:54], v[51:52]
	v_fma_f64 v[55:56], -v[51:52], v[53:54], 1.0
	v_fma_f64 v[53:54], v[53:54], v[55:56], v[53:54]
	v_fma_f64 v[55:56], -v[51:52], v[53:54], 1.0
	v_fma_f64 v[53:54], v[53:54], v[55:56], v[53:54]
	v_mul_f64 v[55:56], v[57:58], v[53:54]
	v_fma_f64 v[51:52], -v[51:52], v[55:56], v[57:58]
	v_div_fmas_f64 v[51:52], v[51:52], v[53:54], v[55:56]
	v_div_fixup_f64 v[51:52], v[51:52], v[38:39], v[40:41]
	v_fma_f64 v[38:39], v[40:41], v[51:52], v[38:39]
	v_div_scale_f64 v[40:41], null, v[38:39], v[38:39], 1.0
	v_rcp_f64_e32 v[53:54], v[40:41]
	v_fma_f64 v[55:56], -v[40:41], v[53:54], 1.0
	v_fma_f64 v[53:54], v[53:54], v[55:56], v[53:54]
	v_fma_f64 v[55:56], -v[40:41], v[53:54], 1.0
	v_fma_f64 v[53:54], v[53:54], v[55:56], v[53:54]
	v_div_scale_f64 v[55:56], vcc_lo, 1.0, v[38:39], 1.0
	v_mul_f64 v[57:58], v[55:56], v[53:54]
	v_fma_f64 v[40:41], -v[40:41], v[57:58], v[55:56]
	v_div_fmas_f64 v[40:41], v[40:41], v[53:54], v[57:58]
	v_div_fixup_f64 v[38:39], v[40:41], v[38:39], 1.0
	v_mul_f64 v[40:41], v[51:52], -v[38:39]
.LBB16_11:
	s_or_b32 exec_lo, exec_lo, s1
	v_mov_b32_e32 v53, 0
	v_mov_b32_e32 v51, 2
.LBB16_12:
	s_or_b32 exec_lo, exec_lo, s0
	s_mov_b32 s0, exec_lo
	v_cmpx_ne_u32_e64 v0, v46
	s_xor_b32 s0, exec_lo, s0
	s_cbranch_execz .LBB16_18
; %bb.13:
	s_mov_b32 s1, exec_lo
	v_cmpx_eq_u32_e32 0, v0
	s_cbranch_execz .LBB16_17
; %bb.14:
	v_cmp_ne_u32_e32 vcc_lo, 0, v46
	s_xor_b32 s2, s16, -1
	s_and_b32 s7, s2, vcc_lo
	s_and_saveexec_b32 s2, s7
	s_cbranch_execz .LBB16_16
; %bb.15:
	v_ashrrev_i32_e32 v47, 31, v46
	v_lshlrev_b64 v[54:55], 2, v[46:47]
	v_add_co_u32 v54, vcc_lo, v44, v54
	v_add_co_ci_u32_e64 v55, null, v45, v55, vcc_lo
	s_clause 0x1
	global_load_dword v0, v[54:55], off
	global_load_dword v47, v[44:45], off
	s_waitcnt vmcnt(1)
	global_store_dword v[44:45], v0, off
	s_waitcnt vmcnt(0)
	global_store_dword v[54:55], v47, off
.LBB16_16:
	s_or_b32 exec_lo, exec_lo, s2
	v_mov_b32_e32 v0, v46
.LBB16_17:
	s_or_b32 exec_lo, exec_lo, s1
.LBB16_18:
	s_or_saveexec_b32 s0, s0
	v_mov_b32_e32 v52, v0
	s_xor_b32 exec_lo, exec_lo, s0
	s_cbranch_execz .LBB16_20
; %bb.19:
	v_mov_b32_e32 v52, 0
	ds_write2_b64 v1, v[30:31], v[32:33] offset0:2 offset1:3
	ds_write2_b64 v1, v[26:27], v[28:29] offset0:4 offset1:5
	;; [unrolled: 1-line block ×8, first 2 shown]
.LBB16_20:
	s_or_b32 exec_lo, exec_lo, s0
	s_mov_b32 s0, exec_lo
	s_waitcnt lgkmcnt(0)
	s_waitcnt_vscnt null, 0x0
	s_barrier
	buffer_gl0_inv
	v_cmpx_lt_i32_e32 0, v52
	s_cbranch_execz .LBB16_22
; %bb.21:
	v_mul_f64 v[46:47], v[38:39], v[36:37]
	v_mul_f64 v[36:37], v[40:41], v[36:37]
	v_fma_f64 v[46:47], v[40:41], v[34:35], v[46:47]
	v_fma_f64 v[34:35], v[38:39], v[34:35], -v[36:37]
	ds_read2_b64 v[36:39], v1 offset0:2 offset1:3
	s_waitcnt lgkmcnt(0)
	v_mul_f64 v[40:41], v[38:39], v[46:47]
	v_fma_f64 v[40:41], v[36:37], v[34:35], -v[40:41]
	v_mul_f64 v[36:37], v[36:37], v[46:47]
	v_add_f64 v[30:31], v[30:31], -v[40:41]
	v_fma_f64 v[36:37], v[38:39], v[34:35], v[36:37]
	v_add_f64 v[32:33], v[32:33], -v[36:37]
	ds_read2_b64 v[36:39], v1 offset0:4 offset1:5
	s_waitcnt lgkmcnt(0)
	v_mul_f64 v[40:41], v[38:39], v[46:47]
	v_fma_f64 v[40:41], v[36:37], v[34:35], -v[40:41]
	v_mul_f64 v[36:37], v[36:37], v[46:47]
	v_add_f64 v[26:27], v[26:27], -v[40:41]
	v_fma_f64 v[36:37], v[38:39], v[34:35], v[36:37]
	v_add_f64 v[28:29], v[28:29], -v[36:37]
	;; [unrolled: 8-line block ×8, first 2 shown]
	v_mov_b32_e32 v36, v46
	v_mov_b32_e32 v37, v47
.LBB16_22:
	s_or_b32 exec_lo, exec_lo, s0
	v_lshl_add_u32 v38, v52, 4, v1
	s_barrier
	buffer_gl0_inv
	v_mov_b32_e32 v46, 1
	ds_write2_b64 v38, v[30:31], v[32:33] offset1:1
	s_waitcnt lgkmcnt(0)
	s_barrier
	buffer_gl0_inv
	ds_read2_b64 v[38:41], v1 offset0:2 offset1:3
	s_cmp_lt_i32 s3, 3
	s_cbranch_scc1 .LBB16_25
; %bb.23:
	v_add3_u32 v47, v48, 0, 32
	v_mov_b32_e32 v46, 1
	s_mov_b32 s7, 2
	s_inst_prefetch 0x1
	.p2align	6
.LBB16_24:                              ; =>This Inner Loop Header: Depth=1
	ds_read2_b64 v[54:57], v47 offset1:1
	s_waitcnt lgkmcnt(1)
	v_cmp_gt_f64_e32 vcc_lo, 0, v[38:39]
	v_cmp_gt_f64_e64 s0, 0, v[40:41]
	v_xor_b32_e32 v59, 0x80000000, v39
	v_xor_b32_e32 v61, 0x80000000, v41
	v_mov_b32_e32 v58, v38
	v_mov_b32_e32 v60, v40
	v_add_nc_u32_e32 v47, 16, v47
	s_waitcnt lgkmcnt(0)
	v_cmp_gt_f64_e64 s1, 0, v[54:55]
	v_cmp_gt_f64_e64 s2, 0, v[56:57]
	v_xor_b32_e32 v63, 0x80000000, v55
	v_xor_b32_e32 v65, 0x80000000, v57
	v_mov_b32_e32 v62, v54
	v_mov_b32_e32 v64, v56
	v_cndmask_b32_e32 v59, v39, v59, vcc_lo
	v_cndmask_b32_e64 v61, v41, v61, s0
	v_add_f64 v[58:59], v[58:59], v[60:61]
	v_cndmask_b32_e64 v63, v55, v63, s1
	v_cndmask_b32_e64 v65, v57, v65, s2
	v_add_f64 v[60:61], v[62:63], v[64:65]
	v_cmp_lt_f64_e32 vcc_lo, v[58:59], v[60:61]
	v_cndmask_b32_e32 v39, v39, v55, vcc_lo
	v_cndmask_b32_e32 v38, v38, v54, vcc_lo
	;; [unrolled: 1-line block ×4, first 2 shown]
	v_cndmask_b32_e64 v46, v46, s7, vcc_lo
	s_add_i32 s7, s7, 1
	s_cmp_lg_u32 s3, s7
	s_cbranch_scc1 .LBB16_24
.LBB16_25:
	s_inst_prefetch 0x2
	s_waitcnt lgkmcnt(0)
	v_cmp_neq_f64_e32 vcc_lo, 0, v[38:39]
	v_cmp_neq_f64_e64 s0, 0, v[40:41]
	s_or_b32 s1, vcc_lo, s0
	s_and_saveexec_b32 s0, s1
	s_cbranch_execz .LBB16_31
; %bb.26:
	v_cmp_ngt_f64_e64 s1, |v[38:39]|, |v[40:41]|
	s_and_saveexec_b32 s2, s1
	s_xor_b32 s1, exec_lo, s2
	s_cbranch_execz .LBB16_28
; %bb.27:
	v_div_scale_f64 v[54:55], null, v[40:41], v[40:41], v[38:39]
	v_div_scale_f64 v[60:61], vcc_lo, v[38:39], v[40:41], v[38:39]
	v_rcp_f64_e32 v[56:57], v[54:55]
	v_fma_f64 v[58:59], -v[54:55], v[56:57], 1.0
	v_fma_f64 v[56:57], v[56:57], v[58:59], v[56:57]
	v_fma_f64 v[58:59], -v[54:55], v[56:57], 1.0
	v_fma_f64 v[56:57], v[56:57], v[58:59], v[56:57]
	v_mul_f64 v[58:59], v[60:61], v[56:57]
	v_fma_f64 v[54:55], -v[54:55], v[58:59], v[60:61]
	v_div_fmas_f64 v[54:55], v[54:55], v[56:57], v[58:59]
	v_div_fixup_f64 v[54:55], v[54:55], v[40:41], v[38:39]
	v_fma_f64 v[38:39], v[38:39], v[54:55], v[40:41]
	v_div_scale_f64 v[40:41], null, v[38:39], v[38:39], 1.0
	v_rcp_f64_e32 v[56:57], v[40:41]
	v_fma_f64 v[58:59], -v[40:41], v[56:57], 1.0
	v_fma_f64 v[56:57], v[56:57], v[58:59], v[56:57]
	v_fma_f64 v[58:59], -v[40:41], v[56:57], 1.0
	v_fma_f64 v[56:57], v[56:57], v[58:59], v[56:57]
	v_div_scale_f64 v[58:59], vcc_lo, 1.0, v[38:39], 1.0
	v_mul_f64 v[60:61], v[58:59], v[56:57]
	v_fma_f64 v[40:41], -v[40:41], v[60:61], v[58:59]
	v_div_fmas_f64 v[40:41], v[40:41], v[56:57], v[60:61]
	v_div_fixup_f64 v[40:41], v[40:41], v[38:39], 1.0
	v_mul_f64 v[38:39], v[54:55], v[40:41]
	v_xor_b32_e32 v41, 0x80000000, v41
.LBB16_28:
	s_andn2_saveexec_b32 s1, s1
	s_cbranch_execz .LBB16_30
; %bb.29:
	v_div_scale_f64 v[54:55], null, v[38:39], v[38:39], v[40:41]
	v_div_scale_f64 v[60:61], vcc_lo, v[40:41], v[38:39], v[40:41]
	v_rcp_f64_e32 v[56:57], v[54:55]
	v_fma_f64 v[58:59], -v[54:55], v[56:57], 1.0
	v_fma_f64 v[56:57], v[56:57], v[58:59], v[56:57]
	v_fma_f64 v[58:59], -v[54:55], v[56:57], 1.0
	v_fma_f64 v[56:57], v[56:57], v[58:59], v[56:57]
	v_mul_f64 v[58:59], v[60:61], v[56:57]
	v_fma_f64 v[54:55], -v[54:55], v[58:59], v[60:61]
	v_div_fmas_f64 v[54:55], v[54:55], v[56:57], v[58:59]
	v_div_fixup_f64 v[54:55], v[54:55], v[38:39], v[40:41]
	v_fma_f64 v[38:39], v[40:41], v[54:55], v[38:39]
	v_div_scale_f64 v[40:41], null, v[38:39], v[38:39], 1.0
	v_rcp_f64_e32 v[56:57], v[40:41]
	v_fma_f64 v[58:59], -v[40:41], v[56:57], 1.0
	v_fma_f64 v[56:57], v[56:57], v[58:59], v[56:57]
	v_fma_f64 v[58:59], -v[40:41], v[56:57], 1.0
	v_fma_f64 v[56:57], v[56:57], v[58:59], v[56:57]
	v_div_scale_f64 v[58:59], vcc_lo, 1.0, v[38:39], 1.0
	v_mul_f64 v[60:61], v[58:59], v[56:57]
	v_fma_f64 v[40:41], -v[40:41], v[60:61], v[58:59]
	v_div_fmas_f64 v[40:41], v[40:41], v[56:57], v[60:61]
	v_div_fixup_f64 v[38:39], v[40:41], v[38:39], 1.0
	v_mul_f64 v[40:41], v[54:55], -v[38:39]
.LBB16_30:
	s_or_b32 exec_lo, exec_lo, s1
	v_mov_b32_e32 v51, v53
.LBB16_31:
	s_or_b32 exec_lo, exec_lo, s0
	s_mov_b32 s0, exec_lo
	v_cmpx_ne_u32_e64 v52, v46
	s_xor_b32 s0, exec_lo, s0
	s_cbranch_execz .LBB16_37
; %bb.32:
	s_mov_b32 s1, exec_lo
	v_cmpx_eq_u32_e32 1, v52
	s_cbranch_execz .LBB16_36
; %bb.33:
	v_cmp_ne_u32_e32 vcc_lo, 1, v46
	s_xor_b32 s2, s16, -1
	s_and_b32 s7, s2, vcc_lo
	s_and_saveexec_b32 s2, s7
	s_cbranch_execz .LBB16_35
; %bb.34:
	v_ashrrev_i32_e32 v47, 31, v46
	v_lshlrev_b64 v[52:53], 2, v[46:47]
	v_add_co_u32 v52, vcc_lo, v44, v52
	v_add_co_ci_u32_e64 v53, null, v45, v53, vcc_lo
	s_clause 0x1
	global_load_dword v0, v[52:53], off
	global_load_dword v47, v[44:45], off offset:4
	s_waitcnt vmcnt(1)
	global_store_dword v[44:45], v0, off offset:4
	s_waitcnt vmcnt(0)
	global_store_dword v[52:53], v47, off
.LBB16_35:
	s_or_b32 exec_lo, exec_lo, s2
	v_mov_b32_e32 v52, v46
	v_mov_b32_e32 v0, v46
.LBB16_36:
	s_or_b32 exec_lo, exec_lo, s1
.LBB16_37:
	s_andn2_saveexec_b32 s0, s0
	s_cbranch_execz .LBB16_39
; %bb.38:
	v_mov_b32_e32 v52, 1
	ds_write2_b64 v1, v[26:27], v[28:29] offset0:4 offset1:5
	ds_write2_b64 v1, v[22:23], v[24:25] offset0:6 offset1:7
	;; [unrolled: 1-line block ×7, first 2 shown]
.LBB16_39:
	s_or_b32 exec_lo, exec_lo, s0
	s_mov_b32 s0, exec_lo
	s_waitcnt lgkmcnt(0)
	s_waitcnt_vscnt null, 0x0
	s_barrier
	buffer_gl0_inv
	v_cmpx_lt_i32_e32 1, v52
	s_cbranch_execz .LBB16_41
; %bb.40:
	v_mul_f64 v[46:47], v[38:39], v[32:33]
	v_mul_f64 v[32:33], v[40:41], v[32:33]
	v_fma_f64 v[46:47], v[40:41], v[30:31], v[46:47]
	v_fma_f64 v[30:31], v[38:39], v[30:31], -v[32:33]
	ds_read2_b64 v[38:41], v1 offset0:4 offset1:5
	s_waitcnt lgkmcnt(0)
	v_mul_f64 v[32:33], v[40:41], v[46:47]
	v_fma_f64 v[32:33], v[38:39], v[30:31], -v[32:33]
	v_mul_f64 v[38:39], v[38:39], v[46:47]
	v_add_f64 v[26:27], v[26:27], -v[32:33]
	v_fma_f64 v[38:39], v[40:41], v[30:31], v[38:39]
	v_add_f64 v[28:29], v[28:29], -v[38:39]
	ds_read2_b64 v[38:41], v1 offset0:6 offset1:7
	s_waitcnt lgkmcnt(0)
	v_mul_f64 v[32:33], v[40:41], v[46:47]
	v_fma_f64 v[32:33], v[38:39], v[30:31], -v[32:33]
	v_mul_f64 v[38:39], v[38:39], v[46:47]
	v_add_f64 v[22:23], v[22:23], -v[32:33]
	v_fma_f64 v[38:39], v[40:41], v[30:31], v[38:39]
	v_add_f64 v[24:25], v[24:25], -v[38:39]
	;; [unrolled: 8-line block ×6, first 2 shown]
	ds_read2_b64 v[38:41], v1 offset0:16 offset1:17
	s_waitcnt lgkmcnt(0)
	v_mul_f64 v[32:33], v[40:41], v[46:47]
	v_fma_f64 v[32:33], v[38:39], v[30:31], -v[32:33]
	v_mul_f64 v[38:39], v[38:39], v[46:47]
	v_add_f64 v[2:3], v[2:3], -v[32:33]
	v_fma_f64 v[38:39], v[40:41], v[30:31], v[38:39]
	v_mov_b32_e32 v32, v46
	v_mov_b32_e32 v33, v47
	v_add_f64 v[4:5], v[4:5], -v[38:39]
.LBB16_41:
	s_or_b32 exec_lo, exec_lo, s0
	v_lshl_add_u32 v38, v52, 4, v1
	s_barrier
	buffer_gl0_inv
	v_mov_b32_e32 v46, 2
	ds_write2_b64 v38, v[26:27], v[28:29] offset1:1
	s_waitcnt lgkmcnt(0)
	s_barrier
	buffer_gl0_inv
	ds_read2_b64 v[38:41], v1 offset0:4 offset1:5
	s_cmp_lt_i32 s3, 4
	s_cbranch_scc1 .LBB16_44
; %bb.42:
	v_add3_u32 v47, v48, 0, 48
	v_mov_b32_e32 v46, 2
	s_mov_b32 s1, 3
	s_inst_prefetch 0x1
	.p2align	6
.LBB16_43:                              ; =>This Inner Loop Header: Depth=1
	s_waitcnt lgkmcnt(0)
	v_cmp_gt_f64_e32 vcc_lo, 0, v[40:41]
	v_cmp_gt_f64_e64 s0, 0, v[38:39]
	ds_read2_b64 v[53:56], v47 offset1:1
	v_xor_b32_e32 v58, 0x80000000, v39
	v_xor_b32_e32 v60, 0x80000000, v41
	v_mov_b32_e32 v57, v38
	v_mov_b32_e32 v59, v40
	v_add_nc_u32_e32 v47, 16, v47
	s_waitcnt lgkmcnt(0)
	v_xor_b32_e32 v62, 0x80000000, v56
	v_cndmask_b32_e64 v58, v39, v58, s0
	v_cndmask_b32_e32 v60, v41, v60, vcc_lo
	v_cmp_gt_f64_e32 vcc_lo, 0, v[55:56]
	v_cmp_gt_f64_e64 s0, 0, v[53:54]
	v_mov_b32_e32 v61, v55
	v_add_f64 v[57:58], v[57:58], v[59:60]
	v_xor_b32_e32 v60, 0x80000000, v54
	v_mov_b32_e32 v59, v53
	v_cndmask_b32_e32 v62, v56, v62, vcc_lo
	v_cndmask_b32_e64 v60, v54, v60, s0
	v_add_f64 v[59:60], v[59:60], v[61:62]
	v_cmp_lt_f64_e32 vcc_lo, v[57:58], v[59:60]
	v_cndmask_b32_e32 v39, v39, v54, vcc_lo
	v_cndmask_b32_e32 v38, v38, v53, vcc_lo
	;; [unrolled: 1-line block ×4, first 2 shown]
	v_cndmask_b32_e64 v46, v46, s1, vcc_lo
	s_add_i32 s1, s1, 1
	s_cmp_lg_u32 s3, s1
	s_cbranch_scc1 .LBB16_43
.LBB16_44:
	s_inst_prefetch 0x2
	s_waitcnt lgkmcnt(0)
	v_cmp_eq_f64_e32 vcc_lo, 0, v[38:39]
	v_cmp_eq_f64_e64 s0, 0, v[40:41]
	s_and_b32 s0, vcc_lo, s0
	s_and_saveexec_b32 s1, s0
	s_xor_b32 s0, exec_lo, s1
; %bb.45:
	v_cmp_ne_u32_e32 vcc_lo, 0, v51
	v_cndmask_b32_e32 v51, 3, v51, vcc_lo
; %bb.46:
	s_andn2_saveexec_b32 s0, s0
	s_cbranch_execz .LBB16_52
; %bb.47:
	v_cmp_ngt_f64_e64 s1, |v[38:39]|, |v[40:41]|
	s_and_saveexec_b32 s2, s1
	s_xor_b32 s1, exec_lo, s2
	s_cbranch_execz .LBB16_49
; %bb.48:
	v_div_scale_f64 v[53:54], null, v[40:41], v[40:41], v[38:39]
	v_div_scale_f64 v[59:60], vcc_lo, v[38:39], v[40:41], v[38:39]
	v_rcp_f64_e32 v[55:56], v[53:54]
	v_fma_f64 v[57:58], -v[53:54], v[55:56], 1.0
	v_fma_f64 v[55:56], v[55:56], v[57:58], v[55:56]
	v_fma_f64 v[57:58], -v[53:54], v[55:56], 1.0
	v_fma_f64 v[55:56], v[55:56], v[57:58], v[55:56]
	v_mul_f64 v[57:58], v[59:60], v[55:56]
	v_fma_f64 v[53:54], -v[53:54], v[57:58], v[59:60]
	v_div_fmas_f64 v[53:54], v[53:54], v[55:56], v[57:58]
	v_div_fixup_f64 v[53:54], v[53:54], v[40:41], v[38:39]
	v_fma_f64 v[38:39], v[38:39], v[53:54], v[40:41]
	v_div_scale_f64 v[40:41], null, v[38:39], v[38:39], 1.0
	v_rcp_f64_e32 v[55:56], v[40:41]
	v_fma_f64 v[57:58], -v[40:41], v[55:56], 1.0
	v_fma_f64 v[55:56], v[55:56], v[57:58], v[55:56]
	v_fma_f64 v[57:58], -v[40:41], v[55:56], 1.0
	v_fma_f64 v[55:56], v[55:56], v[57:58], v[55:56]
	v_div_scale_f64 v[57:58], vcc_lo, 1.0, v[38:39], 1.0
	v_mul_f64 v[59:60], v[57:58], v[55:56]
	v_fma_f64 v[40:41], -v[40:41], v[59:60], v[57:58]
	v_div_fmas_f64 v[40:41], v[40:41], v[55:56], v[59:60]
	v_div_fixup_f64 v[40:41], v[40:41], v[38:39], 1.0
	v_mul_f64 v[38:39], v[53:54], v[40:41]
	v_xor_b32_e32 v41, 0x80000000, v41
.LBB16_49:
	s_andn2_saveexec_b32 s1, s1
	s_cbranch_execz .LBB16_51
; %bb.50:
	v_div_scale_f64 v[53:54], null, v[38:39], v[38:39], v[40:41]
	v_div_scale_f64 v[59:60], vcc_lo, v[40:41], v[38:39], v[40:41]
	v_rcp_f64_e32 v[55:56], v[53:54]
	v_fma_f64 v[57:58], -v[53:54], v[55:56], 1.0
	v_fma_f64 v[55:56], v[55:56], v[57:58], v[55:56]
	v_fma_f64 v[57:58], -v[53:54], v[55:56], 1.0
	v_fma_f64 v[55:56], v[55:56], v[57:58], v[55:56]
	v_mul_f64 v[57:58], v[59:60], v[55:56]
	v_fma_f64 v[53:54], -v[53:54], v[57:58], v[59:60]
	v_div_fmas_f64 v[53:54], v[53:54], v[55:56], v[57:58]
	v_div_fixup_f64 v[53:54], v[53:54], v[38:39], v[40:41]
	v_fma_f64 v[38:39], v[40:41], v[53:54], v[38:39]
	v_div_scale_f64 v[40:41], null, v[38:39], v[38:39], 1.0
	v_rcp_f64_e32 v[55:56], v[40:41]
	v_fma_f64 v[57:58], -v[40:41], v[55:56], 1.0
	v_fma_f64 v[55:56], v[55:56], v[57:58], v[55:56]
	v_fma_f64 v[57:58], -v[40:41], v[55:56], 1.0
	v_fma_f64 v[55:56], v[55:56], v[57:58], v[55:56]
	v_div_scale_f64 v[57:58], vcc_lo, 1.0, v[38:39], 1.0
	v_mul_f64 v[59:60], v[57:58], v[55:56]
	v_fma_f64 v[40:41], -v[40:41], v[59:60], v[57:58]
	v_div_fmas_f64 v[40:41], v[40:41], v[55:56], v[59:60]
	v_div_fixup_f64 v[38:39], v[40:41], v[38:39], 1.0
	v_mul_f64 v[40:41], v[53:54], -v[38:39]
.LBB16_51:
	s_or_b32 exec_lo, exec_lo, s1
.LBB16_52:
	s_or_b32 exec_lo, exec_lo, s0
	s_mov_b32 s0, exec_lo
	v_cmpx_ne_u32_e64 v52, v46
	s_xor_b32 s0, exec_lo, s0
	s_cbranch_execz .LBB16_58
; %bb.53:
	s_mov_b32 s1, exec_lo
	v_cmpx_eq_u32_e32 2, v52
	s_cbranch_execz .LBB16_57
; %bb.54:
	v_cmp_ne_u32_e32 vcc_lo, 2, v46
	s_xor_b32 s2, s16, -1
	s_and_b32 s7, s2, vcc_lo
	s_and_saveexec_b32 s2, s7
	s_cbranch_execz .LBB16_56
; %bb.55:
	v_ashrrev_i32_e32 v47, 31, v46
	v_lshlrev_b64 v[52:53], 2, v[46:47]
	v_add_co_u32 v52, vcc_lo, v44, v52
	v_add_co_ci_u32_e64 v53, null, v45, v53, vcc_lo
	s_clause 0x1
	global_load_dword v0, v[52:53], off
	global_load_dword v47, v[44:45], off offset:8
	s_waitcnt vmcnt(1)
	global_store_dword v[44:45], v0, off offset:8
	s_waitcnt vmcnt(0)
	global_store_dword v[52:53], v47, off
.LBB16_56:
	s_or_b32 exec_lo, exec_lo, s2
	v_mov_b32_e32 v52, v46
	v_mov_b32_e32 v0, v46
.LBB16_57:
	s_or_b32 exec_lo, exec_lo, s1
.LBB16_58:
	s_andn2_saveexec_b32 s0, s0
	s_cbranch_execz .LBB16_60
; %bb.59:
	v_mov_b32_e32 v52, 2
	ds_write2_b64 v1, v[22:23], v[24:25] offset0:6 offset1:7
	ds_write2_b64 v1, v[18:19], v[20:21] offset0:8 offset1:9
	;; [unrolled: 1-line block ×6, first 2 shown]
.LBB16_60:
	s_or_b32 exec_lo, exec_lo, s0
	s_mov_b32 s0, exec_lo
	s_waitcnt lgkmcnt(0)
	s_waitcnt_vscnt null, 0x0
	s_barrier
	buffer_gl0_inv
	v_cmpx_lt_i32_e32 2, v52
	s_cbranch_execz .LBB16_62
; %bb.61:
	v_mul_f64 v[46:47], v[38:39], v[28:29]
	v_mul_f64 v[28:29], v[40:41], v[28:29]
	v_fma_f64 v[46:47], v[40:41], v[26:27], v[46:47]
	v_fma_f64 v[26:27], v[38:39], v[26:27], -v[28:29]
	ds_read2_b64 v[38:41], v1 offset0:6 offset1:7
	s_waitcnt lgkmcnt(0)
	v_mul_f64 v[28:29], v[40:41], v[46:47]
	v_fma_f64 v[28:29], v[38:39], v[26:27], -v[28:29]
	v_mul_f64 v[38:39], v[38:39], v[46:47]
	v_add_f64 v[22:23], v[22:23], -v[28:29]
	v_fma_f64 v[38:39], v[40:41], v[26:27], v[38:39]
	v_add_f64 v[24:25], v[24:25], -v[38:39]
	ds_read2_b64 v[38:41], v1 offset0:8 offset1:9
	s_waitcnt lgkmcnt(0)
	v_mul_f64 v[28:29], v[40:41], v[46:47]
	v_fma_f64 v[28:29], v[38:39], v[26:27], -v[28:29]
	v_mul_f64 v[38:39], v[38:39], v[46:47]
	v_add_f64 v[18:19], v[18:19], -v[28:29]
	v_fma_f64 v[38:39], v[40:41], v[26:27], v[38:39]
	v_add_f64 v[20:21], v[20:21], -v[38:39]
	;; [unrolled: 8-line block ×5, first 2 shown]
	ds_read2_b64 v[38:41], v1 offset0:16 offset1:17
	s_waitcnt lgkmcnt(0)
	v_mul_f64 v[28:29], v[40:41], v[46:47]
	v_fma_f64 v[28:29], v[38:39], v[26:27], -v[28:29]
	v_mul_f64 v[38:39], v[38:39], v[46:47]
	v_add_f64 v[2:3], v[2:3], -v[28:29]
	v_fma_f64 v[38:39], v[40:41], v[26:27], v[38:39]
	v_mov_b32_e32 v28, v46
	v_mov_b32_e32 v29, v47
	v_add_f64 v[4:5], v[4:5], -v[38:39]
.LBB16_62:
	s_or_b32 exec_lo, exec_lo, s0
	v_lshl_add_u32 v38, v52, 4, v1
	s_barrier
	buffer_gl0_inv
	v_mov_b32_e32 v46, 3
	ds_write2_b64 v38, v[22:23], v[24:25] offset1:1
	s_waitcnt lgkmcnt(0)
	s_barrier
	buffer_gl0_inv
	ds_read2_b64 v[38:41], v1 offset0:6 offset1:7
	s_cmp_lt_i32 s3, 5
	s_mov_b32 s1, 4
	s_cbranch_scc1 .LBB16_65
; %bb.63:
	v_add3_u32 v47, v48, 0, 64
	v_mov_b32_e32 v46, 3
	s_inst_prefetch 0x1
	.p2align	6
.LBB16_64:                              ; =>This Inner Loop Header: Depth=1
	s_waitcnt lgkmcnt(0)
	v_cmp_gt_f64_e32 vcc_lo, 0, v[40:41]
	v_cmp_gt_f64_e64 s0, 0, v[38:39]
	ds_read2_b64 v[53:56], v47 offset1:1
	v_xor_b32_e32 v58, 0x80000000, v39
	v_xor_b32_e32 v60, 0x80000000, v41
	v_mov_b32_e32 v57, v38
	v_mov_b32_e32 v59, v40
	v_add_nc_u32_e32 v47, 16, v47
	s_waitcnt lgkmcnt(0)
	v_xor_b32_e32 v62, 0x80000000, v56
	v_cndmask_b32_e64 v58, v39, v58, s0
	v_cndmask_b32_e32 v60, v41, v60, vcc_lo
	v_cmp_gt_f64_e32 vcc_lo, 0, v[55:56]
	v_cmp_gt_f64_e64 s0, 0, v[53:54]
	v_mov_b32_e32 v61, v55
	v_add_f64 v[57:58], v[57:58], v[59:60]
	v_xor_b32_e32 v60, 0x80000000, v54
	v_mov_b32_e32 v59, v53
	v_cndmask_b32_e32 v62, v56, v62, vcc_lo
	v_cndmask_b32_e64 v60, v54, v60, s0
	v_add_f64 v[59:60], v[59:60], v[61:62]
	v_cmp_lt_f64_e32 vcc_lo, v[57:58], v[59:60]
	v_cndmask_b32_e32 v39, v39, v54, vcc_lo
	v_cndmask_b32_e32 v38, v38, v53, vcc_lo
	;; [unrolled: 1-line block ×4, first 2 shown]
	v_cndmask_b32_e64 v46, v46, s1, vcc_lo
	s_add_i32 s1, s1, 1
	s_cmp_lg_u32 s3, s1
	s_cbranch_scc1 .LBB16_64
.LBB16_65:
	s_inst_prefetch 0x2
	s_waitcnt lgkmcnt(0)
	v_cmp_eq_f64_e32 vcc_lo, 0, v[38:39]
	v_cmp_eq_f64_e64 s0, 0, v[40:41]
	s_and_b32 s0, vcc_lo, s0
	s_and_saveexec_b32 s1, s0
	s_xor_b32 s0, exec_lo, s1
; %bb.66:
	v_cmp_ne_u32_e32 vcc_lo, 0, v51
	v_cndmask_b32_e32 v51, 4, v51, vcc_lo
; %bb.67:
	s_andn2_saveexec_b32 s0, s0
	s_cbranch_execz .LBB16_73
; %bb.68:
	v_cmp_ngt_f64_e64 s1, |v[38:39]|, |v[40:41]|
	s_and_saveexec_b32 s2, s1
	s_xor_b32 s1, exec_lo, s2
	s_cbranch_execz .LBB16_70
; %bb.69:
	v_div_scale_f64 v[53:54], null, v[40:41], v[40:41], v[38:39]
	v_div_scale_f64 v[59:60], vcc_lo, v[38:39], v[40:41], v[38:39]
	v_rcp_f64_e32 v[55:56], v[53:54]
	v_fma_f64 v[57:58], -v[53:54], v[55:56], 1.0
	v_fma_f64 v[55:56], v[55:56], v[57:58], v[55:56]
	v_fma_f64 v[57:58], -v[53:54], v[55:56], 1.0
	v_fma_f64 v[55:56], v[55:56], v[57:58], v[55:56]
	v_mul_f64 v[57:58], v[59:60], v[55:56]
	v_fma_f64 v[53:54], -v[53:54], v[57:58], v[59:60]
	v_div_fmas_f64 v[53:54], v[53:54], v[55:56], v[57:58]
	v_div_fixup_f64 v[53:54], v[53:54], v[40:41], v[38:39]
	v_fma_f64 v[38:39], v[38:39], v[53:54], v[40:41]
	v_div_scale_f64 v[40:41], null, v[38:39], v[38:39], 1.0
	v_rcp_f64_e32 v[55:56], v[40:41]
	v_fma_f64 v[57:58], -v[40:41], v[55:56], 1.0
	v_fma_f64 v[55:56], v[55:56], v[57:58], v[55:56]
	v_fma_f64 v[57:58], -v[40:41], v[55:56], 1.0
	v_fma_f64 v[55:56], v[55:56], v[57:58], v[55:56]
	v_div_scale_f64 v[57:58], vcc_lo, 1.0, v[38:39], 1.0
	v_mul_f64 v[59:60], v[57:58], v[55:56]
	v_fma_f64 v[40:41], -v[40:41], v[59:60], v[57:58]
	v_div_fmas_f64 v[40:41], v[40:41], v[55:56], v[59:60]
	v_div_fixup_f64 v[40:41], v[40:41], v[38:39], 1.0
	v_mul_f64 v[38:39], v[53:54], v[40:41]
	v_xor_b32_e32 v41, 0x80000000, v41
.LBB16_70:
	s_andn2_saveexec_b32 s1, s1
	s_cbranch_execz .LBB16_72
; %bb.71:
	v_div_scale_f64 v[53:54], null, v[38:39], v[38:39], v[40:41]
	v_div_scale_f64 v[59:60], vcc_lo, v[40:41], v[38:39], v[40:41]
	v_rcp_f64_e32 v[55:56], v[53:54]
	v_fma_f64 v[57:58], -v[53:54], v[55:56], 1.0
	v_fma_f64 v[55:56], v[55:56], v[57:58], v[55:56]
	v_fma_f64 v[57:58], -v[53:54], v[55:56], 1.0
	v_fma_f64 v[55:56], v[55:56], v[57:58], v[55:56]
	v_mul_f64 v[57:58], v[59:60], v[55:56]
	v_fma_f64 v[53:54], -v[53:54], v[57:58], v[59:60]
	v_div_fmas_f64 v[53:54], v[53:54], v[55:56], v[57:58]
	v_div_fixup_f64 v[53:54], v[53:54], v[38:39], v[40:41]
	v_fma_f64 v[38:39], v[40:41], v[53:54], v[38:39]
	v_div_scale_f64 v[40:41], null, v[38:39], v[38:39], 1.0
	v_rcp_f64_e32 v[55:56], v[40:41]
	v_fma_f64 v[57:58], -v[40:41], v[55:56], 1.0
	v_fma_f64 v[55:56], v[55:56], v[57:58], v[55:56]
	v_fma_f64 v[57:58], -v[40:41], v[55:56], 1.0
	v_fma_f64 v[55:56], v[55:56], v[57:58], v[55:56]
	v_div_scale_f64 v[57:58], vcc_lo, 1.0, v[38:39], 1.0
	v_mul_f64 v[59:60], v[57:58], v[55:56]
	v_fma_f64 v[40:41], -v[40:41], v[59:60], v[57:58]
	v_div_fmas_f64 v[40:41], v[40:41], v[55:56], v[59:60]
	v_div_fixup_f64 v[38:39], v[40:41], v[38:39], 1.0
	v_mul_f64 v[40:41], v[53:54], -v[38:39]
.LBB16_72:
	s_or_b32 exec_lo, exec_lo, s1
.LBB16_73:
	s_or_b32 exec_lo, exec_lo, s0
	s_mov_b32 s0, exec_lo
	v_cmpx_ne_u32_e64 v52, v46
	s_xor_b32 s0, exec_lo, s0
	s_cbranch_execz .LBB16_79
; %bb.74:
	s_mov_b32 s1, exec_lo
	v_cmpx_eq_u32_e32 3, v52
	s_cbranch_execz .LBB16_78
; %bb.75:
	v_cmp_ne_u32_e32 vcc_lo, 3, v46
	s_xor_b32 s2, s16, -1
	s_and_b32 s7, s2, vcc_lo
	s_and_saveexec_b32 s2, s7
	s_cbranch_execz .LBB16_77
; %bb.76:
	v_ashrrev_i32_e32 v47, 31, v46
	v_lshlrev_b64 v[52:53], 2, v[46:47]
	v_add_co_u32 v52, vcc_lo, v44, v52
	v_add_co_ci_u32_e64 v53, null, v45, v53, vcc_lo
	s_clause 0x1
	global_load_dword v0, v[52:53], off
	global_load_dword v47, v[44:45], off offset:12
	s_waitcnt vmcnt(1)
	global_store_dword v[44:45], v0, off offset:12
	s_waitcnt vmcnt(0)
	global_store_dword v[52:53], v47, off
.LBB16_77:
	s_or_b32 exec_lo, exec_lo, s2
	v_mov_b32_e32 v52, v46
	v_mov_b32_e32 v0, v46
.LBB16_78:
	s_or_b32 exec_lo, exec_lo, s1
.LBB16_79:
	s_andn2_saveexec_b32 s0, s0
	s_cbranch_execz .LBB16_81
; %bb.80:
	v_mov_b32_e32 v52, 3
	ds_write2_b64 v1, v[18:19], v[20:21] offset0:8 offset1:9
	ds_write2_b64 v1, v[14:15], v[16:17] offset0:10 offset1:11
	;; [unrolled: 1-line block ×5, first 2 shown]
.LBB16_81:
	s_or_b32 exec_lo, exec_lo, s0
	s_mov_b32 s0, exec_lo
	s_waitcnt lgkmcnt(0)
	s_waitcnt_vscnt null, 0x0
	s_barrier
	buffer_gl0_inv
	v_cmpx_lt_i32_e32 3, v52
	s_cbranch_execz .LBB16_83
; %bb.82:
	v_mul_f64 v[46:47], v[38:39], v[24:25]
	v_mul_f64 v[24:25], v[40:41], v[24:25]
	v_fma_f64 v[46:47], v[40:41], v[22:23], v[46:47]
	v_fma_f64 v[22:23], v[38:39], v[22:23], -v[24:25]
	ds_read2_b64 v[38:41], v1 offset0:8 offset1:9
	s_waitcnt lgkmcnt(0)
	v_mul_f64 v[24:25], v[40:41], v[46:47]
	v_fma_f64 v[24:25], v[38:39], v[22:23], -v[24:25]
	v_mul_f64 v[38:39], v[38:39], v[46:47]
	v_add_f64 v[18:19], v[18:19], -v[24:25]
	v_fma_f64 v[38:39], v[40:41], v[22:23], v[38:39]
	v_add_f64 v[20:21], v[20:21], -v[38:39]
	ds_read2_b64 v[38:41], v1 offset0:10 offset1:11
	s_waitcnt lgkmcnt(0)
	v_mul_f64 v[24:25], v[40:41], v[46:47]
	v_fma_f64 v[24:25], v[38:39], v[22:23], -v[24:25]
	v_mul_f64 v[38:39], v[38:39], v[46:47]
	v_add_f64 v[14:15], v[14:15], -v[24:25]
	v_fma_f64 v[38:39], v[40:41], v[22:23], v[38:39]
	v_add_f64 v[16:17], v[16:17], -v[38:39]
	ds_read2_b64 v[38:41], v1 offset0:12 offset1:13
	s_waitcnt lgkmcnt(0)
	v_mul_f64 v[24:25], v[40:41], v[46:47]
	v_fma_f64 v[24:25], v[38:39], v[22:23], -v[24:25]
	v_mul_f64 v[38:39], v[38:39], v[46:47]
	v_add_f64 v[10:11], v[10:11], -v[24:25]
	v_fma_f64 v[38:39], v[40:41], v[22:23], v[38:39]
	v_add_f64 v[12:13], v[12:13], -v[38:39]
	ds_read2_b64 v[38:41], v1 offset0:14 offset1:15
	s_waitcnt lgkmcnt(0)
	v_mul_f64 v[24:25], v[40:41], v[46:47]
	v_fma_f64 v[24:25], v[38:39], v[22:23], -v[24:25]
	v_mul_f64 v[38:39], v[38:39], v[46:47]
	v_add_f64 v[6:7], v[6:7], -v[24:25]
	v_fma_f64 v[38:39], v[40:41], v[22:23], v[38:39]
	v_add_f64 v[8:9], v[8:9], -v[38:39]
	ds_read2_b64 v[38:41], v1 offset0:16 offset1:17
	s_waitcnt lgkmcnt(0)
	v_mul_f64 v[24:25], v[40:41], v[46:47]
	v_fma_f64 v[24:25], v[38:39], v[22:23], -v[24:25]
	v_mul_f64 v[38:39], v[38:39], v[46:47]
	v_add_f64 v[2:3], v[2:3], -v[24:25]
	v_fma_f64 v[38:39], v[40:41], v[22:23], v[38:39]
	v_mov_b32_e32 v24, v46
	v_mov_b32_e32 v25, v47
	v_add_f64 v[4:5], v[4:5], -v[38:39]
.LBB16_83:
	s_or_b32 exec_lo, exec_lo, s0
	v_lshl_add_u32 v38, v52, 4, v1
	s_barrier
	buffer_gl0_inv
	v_mov_b32_e32 v46, 4
	ds_write2_b64 v38, v[18:19], v[20:21] offset1:1
	s_waitcnt lgkmcnt(0)
	s_barrier
	buffer_gl0_inv
	ds_read2_b64 v[38:41], v1 offset0:8 offset1:9
	s_cmp_lt_i32 s3, 6
	s_cbranch_scc1 .LBB16_86
; %bb.84:
	v_mov_b32_e32 v46, 4
	v_add3_u32 v47, v48, 0, 0x50
	s_mov_b32 s1, 5
	s_inst_prefetch 0x1
	.p2align	6
.LBB16_85:                              ; =>This Inner Loop Header: Depth=1
	s_waitcnt lgkmcnt(0)
	v_cmp_gt_f64_e32 vcc_lo, 0, v[40:41]
	v_cmp_gt_f64_e64 s0, 0, v[38:39]
	ds_read2_b64 v[53:56], v47 offset1:1
	v_xor_b32_e32 v58, 0x80000000, v39
	v_xor_b32_e32 v60, 0x80000000, v41
	v_mov_b32_e32 v57, v38
	v_mov_b32_e32 v59, v40
	v_add_nc_u32_e32 v47, 16, v47
	s_waitcnt lgkmcnt(0)
	v_xor_b32_e32 v62, 0x80000000, v56
	v_cndmask_b32_e64 v58, v39, v58, s0
	v_cndmask_b32_e32 v60, v41, v60, vcc_lo
	v_cmp_gt_f64_e32 vcc_lo, 0, v[55:56]
	v_cmp_gt_f64_e64 s0, 0, v[53:54]
	v_mov_b32_e32 v61, v55
	v_add_f64 v[57:58], v[57:58], v[59:60]
	v_xor_b32_e32 v60, 0x80000000, v54
	v_mov_b32_e32 v59, v53
	v_cndmask_b32_e32 v62, v56, v62, vcc_lo
	v_cndmask_b32_e64 v60, v54, v60, s0
	v_add_f64 v[59:60], v[59:60], v[61:62]
	v_cmp_lt_f64_e32 vcc_lo, v[57:58], v[59:60]
	v_cndmask_b32_e32 v39, v39, v54, vcc_lo
	v_cndmask_b32_e32 v38, v38, v53, vcc_lo
	;; [unrolled: 1-line block ×4, first 2 shown]
	v_cndmask_b32_e64 v46, v46, s1, vcc_lo
	s_add_i32 s1, s1, 1
	s_cmp_lg_u32 s3, s1
	s_cbranch_scc1 .LBB16_85
.LBB16_86:
	s_inst_prefetch 0x2
	s_waitcnt lgkmcnt(0)
	v_cmp_eq_f64_e32 vcc_lo, 0, v[38:39]
	v_cmp_eq_f64_e64 s0, 0, v[40:41]
	s_and_b32 s0, vcc_lo, s0
	s_and_saveexec_b32 s1, s0
	s_xor_b32 s0, exec_lo, s1
; %bb.87:
	v_cmp_ne_u32_e32 vcc_lo, 0, v51
	v_cndmask_b32_e32 v51, 5, v51, vcc_lo
; %bb.88:
	s_andn2_saveexec_b32 s0, s0
	s_cbranch_execz .LBB16_94
; %bb.89:
	v_cmp_ngt_f64_e64 s1, |v[38:39]|, |v[40:41]|
	s_and_saveexec_b32 s2, s1
	s_xor_b32 s1, exec_lo, s2
	s_cbranch_execz .LBB16_91
; %bb.90:
	v_div_scale_f64 v[53:54], null, v[40:41], v[40:41], v[38:39]
	v_div_scale_f64 v[59:60], vcc_lo, v[38:39], v[40:41], v[38:39]
	v_rcp_f64_e32 v[55:56], v[53:54]
	v_fma_f64 v[57:58], -v[53:54], v[55:56], 1.0
	v_fma_f64 v[55:56], v[55:56], v[57:58], v[55:56]
	v_fma_f64 v[57:58], -v[53:54], v[55:56], 1.0
	v_fma_f64 v[55:56], v[55:56], v[57:58], v[55:56]
	v_mul_f64 v[57:58], v[59:60], v[55:56]
	v_fma_f64 v[53:54], -v[53:54], v[57:58], v[59:60]
	v_div_fmas_f64 v[53:54], v[53:54], v[55:56], v[57:58]
	v_div_fixup_f64 v[53:54], v[53:54], v[40:41], v[38:39]
	v_fma_f64 v[38:39], v[38:39], v[53:54], v[40:41]
	v_div_scale_f64 v[40:41], null, v[38:39], v[38:39], 1.0
	v_rcp_f64_e32 v[55:56], v[40:41]
	v_fma_f64 v[57:58], -v[40:41], v[55:56], 1.0
	v_fma_f64 v[55:56], v[55:56], v[57:58], v[55:56]
	v_fma_f64 v[57:58], -v[40:41], v[55:56], 1.0
	v_fma_f64 v[55:56], v[55:56], v[57:58], v[55:56]
	v_div_scale_f64 v[57:58], vcc_lo, 1.0, v[38:39], 1.0
	v_mul_f64 v[59:60], v[57:58], v[55:56]
	v_fma_f64 v[40:41], -v[40:41], v[59:60], v[57:58]
	v_div_fmas_f64 v[40:41], v[40:41], v[55:56], v[59:60]
	v_div_fixup_f64 v[40:41], v[40:41], v[38:39], 1.0
	v_mul_f64 v[38:39], v[53:54], v[40:41]
	v_xor_b32_e32 v41, 0x80000000, v41
.LBB16_91:
	s_andn2_saveexec_b32 s1, s1
	s_cbranch_execz .LBB16_93
; %bb.92:
	v_div_scale_f64 v[53:54], null, v[38:39], v[38:39], v[40:41]
	v_div_scale_f64 v[59:60], vcc_lo, v[40:41], v[38:39], v[40:41]
	v_rcp_f64_e32 v[55:56], v[53:54]
	v_fma_f64 v[57:58], -v[53:54], v[55:56], 1.0
	v_fma_f64 v[55:56], v[55:56], v[57:58], v[55:56]
	v_fma_f64 v[57:58], -v[53:54], v[55:56], 1.0
	v_fma_f64 v[55:56], v[55:56], v[57:58], v[55:56]
	v_mul_f64 v[57:58], v[59:60], v[55:56]
	v_fma_f64 v[53:54], -v[53:54], v[57:58], v[59:60]
	v_div_fmas_f64 v[53:54], v[53:54], v[55:56], v[57:58]
	v_div_fixup_f64 v[53:54], v[53:54], v[38:39], v[40:41]
	v_fma_f64 v[38:39], v[40:41], v[53:54], v[38:39]
	v_div_scale_f64 v[40:41], null, v[38:39], v[38:39], 1.0
	v_rcp_f64_e32 v[55:56], v[40:41]
	v_fma_f64 v[57:58], -v[40:41], v[55:56], 1.0
	v_fma_f64 v[55:56], v[55:56], v[57:58], v[55:56]
	v_fma_f64 v[57:58], -v[40:41], v[55:56], 1.0
	v_fma_f64 v[55:56], v[55:56], v[57:58], v[55:56]
	v_div_scale_f64 v[57:58], vcc_lo, 1.0, v[38:39], 1.0
	v_mul_f64 v[59:60], v[57:58], v[55:56]
	v_fma_f64 v[40:41], -v[40:41], v[59:60], v[57:58]
	v_div_fmas_f64 v[40:41], v[40:41], v[55:56], v[59:60]
	v_div_fixup_f64 v[38:39], v[40:41], v[38:39], 1.0
	v_mul_f64 v[40:41], v[53:54], -v[38:39]
.LBB16_93:
	s_or_b32 exec_lo, exec_lo, s1
.LBB16_94:
	s_or_b32 exec_lo, exec_lo, s0
	s_mov_b32 s0, exec_lo
	v_cmpx_ne_u32_e64 v52, v46
	s_xor_b32 s0, exec_lo, s0
	s_cbranch_execz .LBB16_100
; %bb.95:
	s_mov_b32 s1, exec_lo
	v_cmpx_eq_u32_e32 4, v52
	s_cbranch_execz .LBB16_99
; %bb.96:
	v_cmp_ne_u32_e32 vcc_lo, 4, v46
	s_xor_b32 s2, s16, -1
	s_and_b32 s7, s2, vcc_lo
	s_and_saveexec_b32 s2, s7
	s_cbranch_execz .LBB16_98
; %bb.97:
	v_ashrrev_i32_e32 v47, 31, v46
	v_lshlrev_b64 v[52:53], 2, v[46:47]
	v_add_co_u32 v52, vcc_lo, v44, v52
	v_add_co_ci_u32_e64 v53, null, v45, v53, vcc_lo
	s_clause 0x1
	global_load_dword v0, v[52:53], off
	global_load_dword v47, v[44:45], off offset:16
	s_waitcnt vmcnt(1)
	global_store_dword v[44:45], v0, off offset:16
	s_waitcnt vmcnt(0)
	global_store_dword v[52:53], v47, off
.LBB16_98:
	s_or_b32 exec_lo, exec_lo, s2
	v_mov_b32_e32 v52, v46
	v_mov_b32_e32 v0, v46
.LBB16_99:
	s_or_b32 exec_lo, exec_lo, s1
.LBB16_100:
	s_andn2_saveexec_b32 s0, s0
	s_cbranch_execz .LBB16_102
; %bb.101:
	v_mov_b32_e32 v52, 4
	ds_write2_b64 v1, v[14:15], v[16:17] offset0:10 offset1:11
	ds_write2_b64 v1, v[10:11], v[12:13] offset0:12 offset1:13
	;; [unrolled: 1-line block ×4, first 2 shown]
.LBB16_102:
	s_or_b32 exec_lo, exec_lo, s0
	s_mov_b32 s0, exec_lo
	s_waitcnt lgkmcnt(0)
	s_waitcnt_vscnt null, 0x0
	s_barrier
	buffer_gl0_inv
	v_cmpx_lt_i32_e32 4, v52
	s_cbranch_execz .LBB16_104
; %bb.103:
	v_mul_f64 v[46:47], v[38:39], v[20:21]
	v_mul_f64 v[20:21], v[40:41], v[20:21]
	v_fma_f64 v[46:47], v[40:41], v[18:19], v[46:47]
	v_fma_f64 v[18:19], v[38:39], v[18:19], -v[20:21]
	ds_read2_b64 v[38:41], v1 offset0:10 offset1:11
	s_waitcnt lgkmcnt(0)
	v_mul_f64 v[20:21], v[40:41], v[46:47]
	v_fma_f64 v[20:21], v[38:39], v[18:19], -v[20:21]
	v_mul_f64 v[38:39], v[38:39], v[46:47]
	v_add_f64 v[14:15], v[14:15], -v[20:21]
	v_fma_f64 v[38:39], v[40:41], v[18:19], v[38:39]
	v_add_f64 v[16:17], v[16:17], -v[38:39]
	ds_read2_b64 v[38:41], v1 offset0:12 offset1:13
	s_waitcnt lgkmcnt(0)
	v_mul_f64 v[20:21], v[40:41], v[46:47]
	v_fma_f64 v[20:21], v[38:39], v[18:19], -v[20:21]
	v_mul_f64 v[38:39], v[38:39], v[46:47]
	v_add_f64 v[10:11], v[10:11], -v[20:21]
	v_fma_f64 v[38:39], v[40:41], v[18:19], v[38:39]
	v_add_f64 v[12:13], v[12:13], -v[38:39]
	;; [unrolled: 8-line block ×3, first 2 shown]
	ds_read2_b64 v[38:41], v1 offset0:16 offset1:17
	s_waitcnt lgkmcnt(0)
	v_mul_f64 v[20:21], v[40:41], v[46:47]
	v_fma_f64 v[20:21], v[38:39], v[18:19], -v[20:21]
	v_mul_f64 v[38:39], v[38:39], v[46:47]
	v_add_f64 v[2:3], v[2:3], -v[20:21]
	v_fma_f64 v[38:39], v[40:41], v[18:19], v[38:39]
	v_mov_b32_e32 v20, v46
	v_mov_b32_e32 v21, v47
	v_add_f64 v[4:5], v[4:5], -v[38:39]
.LBB16_104:
	s_or_b32 exec_lo, exec_lo, s0
	v_lshl_add_u32 v38, v52, 4, v1
	s_barrier
	buffer_gl0_inv
	v_mov_b32_e32 v46, 5
	ds_write2_b64 v38, v[14:15], v[16:17] offset1:1
	s_waitcnt lgkmcnt(0)
	s_barrier
	buffer_gl0_inv
	ds_read2_b64 v[38:41], v1 offset0:10 offset1:11
	s_cmp_lt_i32 s3, 7
	s_cbranch_scc1 .LBB16_107
; %bb.105:
	v_add3_u32 v47, v48, 0, 0x60
	v_mov_b32_e32 v46, 5
	s_mov_b32 s1, 6
	s_inst_prefetch 0x1
	.p2align	6
.LBB16_106:                             ; =>This Inner Loop Header: Depth=1
	s_waitcnt lgkmcnt(0)
	v_cmp_gt_f64_e32 vcc_lo, 0, v[40:41]
	v_cmp_gt_f64_e64 s0, 0, v[38:39]
	ds_read2_b64 v[53:56], v47 offset1:1
	v_xor_b32_e32 v58, 0x80000000, v39
	v_xor_b32_e32 v60, 0x80000000, v41
	v_mov_b32_e32 v57, v38
	v_mov_b32_e32 v59, v40
	v_add_nc_u32_e32 v47, 16, v47
	s_waitcnt lgkmcnt(0)
	v_xor_b32_e32 v62, 0x80000000, v56
	v_cndmask_b32_e64 v58, v39, v58, s0
	v_cndmask_b32_e32 v60, v41, v60, vcc_lo
	v_cmp_gt_f64_e32 vcc_lo, 0, v[55:56]
	v_cmp_gt_f64_e64 s0, 0, v[53:54]
	v_mov_b32_e32 v61, v55
	v_add_f64 v[57:58], v[57:58], v[59:60]
	v_xor_b32_e32 v60, 0x80000000, v54
	v_mov_b32_e32 v59, v53
	v_cndmask_b32_e32 v62, v56, v62, vcc_lo
	v_cndmask_b32_e64 v60, v54, v60, s0
	v_add_f64 v[59:60], v[59:60], v[61:62]
	v_cmp_lt_f64_e32 vcc_lo, v[57:58], v[59:60]
	v_cndmask_b32_e32 v39, v39, v54, vcc_lo
	v_cndmask_b32_e32 v38, v38, v53, vcc_lo
	;; [unrolled: 1-line block ×4, first 2 shown]
	v_cndmask_b32_e64 v46, v46, s1, vcc_lo
	s_add_i32 s1, s1, 1
	s_cmp_lg_u32 s3, s1
	s_cbranch_scc1 .LBB16_106
.LBB16_107:
	s_inst_prefetch 0x2
	s_waitcnt lgkmcnt(0)
	v_cmp_eq_f64_e32 vcc_lo, 0, v[38:39]
	v_cmp_eq_f64_e64 s0, 0, v[40:41]
	s_and_b32 s0, vcc_lo, s0
	s_and_saveexec_b32 s1, s0
	s_xor_b32 s0, exec_lo, s1
; %bb.108:
	v_cmp_ne_u32_e32 vcc_lo, 0, v51
	v_cndmask_b32_e32 v51, 6, v51, vcc_lo
; %bb.109:
	s_andn2_saveexec_b32 s0, s0
	s_cbranch_execz .LBB16_115
; %bb.110:
	v_cmp_ngt_f64_e64 s1, |v[38:39]|, |v[40:41]|
	s_and_saveexec_b32 s2, s1
	s_xor_b32 s1, exec_lo, s2
	s_cbranch_execz .LBB16_112
; %bb.111:
	v_div_scale_f64 v[53:54], null, v[40:41], v[40:41], v[38:39]
	v_div_scale_f64 v[59:60], vcc_lo, v[38:39], v[40:41], v[38:39]
	v_rcp_f64_e32 v[55:56], v[53:54]
	v_fma_f64 v[57:58], -v[53:54], v[55:56], 1.0
	v_fma_f64 v[55:56], v[55:56], v[57:58], v[55:56]
	v_fma_f64 v[57:58], -v[53:54], v[55:56], 1.0
	v_fma_f64 v[55:56], v[55:56], v[57:58], v[55:56]
	v_mul_f64 v[57:58], v[59:60], v[55:56]
	v_fma_f64 v[53:54], -v[53:54], v[57:58], v[59:60]
	v_div_fmas_f64 v[53:54], v[53:54], v[55:56], v[57:58]
	v_div_fixup_f64 v[53:54], v[53:54], v[40:41], v[38:39]
	v_fma_f64 v[38:39], v[38:39], v[53:54], v[40:41]
	v_div_scale_f64 v[40:41], null, v[38:39], v[38:39], 1.0
	v_rcp_f64_e32 v[55:56], v[40:41]
	v_fma_f64 v[57:58], -v[40:41], v[55:56], 1.0
	v_fma_f64 v[55:56], v[55:56], v[57:58], v[55:56]
	v_fma_f64 v[57:58], -v[40:41], v[55:56], 1.0
	v_fma_f64 v[55:56], v[55:56], v[57:58], v[55:56]
	v_div_scale_f64 v[57:58], vcc_lo, 1.0, v[38:39], 1.0
	v_mul_f64 v[59:60], v[57:58], v[55:56]
	v_fma_f64 v[40:41], -v[40:41], v[59:60], v[57:58]
	v_div_fmas_f64 v[40:41], v[40:41], v[55:56], v[59:60]
	v_div_fixup_f64 v[40:41], v[40:41], v[38:39], 1.0
	v_mul_f64 v[38:39], v[53:54], v[40:41]
	v_xor_b32_e32 v41, 0x80000000, v41
.LBB16_112:
	s_andn2_saveexec_b32 s1, s1
	s_cbranch_execz .LBB16_114
; %bb.113:
	v_div_scale_f64 v[53:54], null, v[38:39], v[38:39], v[40:41]
	v_div_scale_f64 v[59:60], vcc_lo, v[40:41], v[38:39], v[40:41]
	v_rcp_f64_e32 v[55:56], v[53:54]
	v_fma_f64 v[57:58], -v[53:54], v[55:56], 1.0
	v_fma_f64 v[55:56], v[55:56], v[57:58], v[55:56]
	v_fma_f64 v[57:58], -v[53:54], v[55:56], 1.0
	v_fma_f64 v[55:56], v[55:56], v[57:58], v[55:56]
	v_mul_f64 v[57:58], v[59:60], v[55:56]
	v_fma_f64 v[53:54], -v[53:54], v[57:58], v[59:60]
	v_div_fmas_f64 v[53:54], v[53:54], v[55:56], v[57:58]
	v_div_fixup_f64 v[53:54], v[53:54], v[38:39], v[40:41]
	v_fma_f64 v[38:39], v[40:41], v[53:54], v[38:39]
	v_div_scale_f64 v[40:41], null, v[38:39], v[38:39], 1.0
	v_rcp_f64_e32 v[55:56], v[40:41]
	v_fma_f64 v[57:58], -v[40:41], v[55:56], 1.0
	v_fma_f64 v[55:56], v[55:56], v[57:58], v[55:56]
	v_fma_f64 v[57:58], -v[40:41], v[55:56], 1.0
	v_fma_f64 v[55:56], v[55:56], v[57:58], v[55:56]
	v_div_scale_f64 v[57:58], vcc_lo, 1.0, v[38:39], 1.0
	v_mul_f64 v[59:60], v[57:58], v[55:56]
	v_fma_f64 v[40:41], -v[40:41], v[59:60], v[57:58]
	v_div_fmas_f64 v[40:41], v[40:41], v[55:56], v[59:60]
	v_div_fixup_f64 v[38:39], v[40:41], v[38:39], 1.0
	v_mul_f64 v[40:41], v[53:54], -v[38:39]
.LBB16_114:
	s_or_b32 exec_lo, exec_lo, s1
.LBB16_115:
	s_or_b32 exec_lo, exec_lo, s0
	s_mov_b32 s0, exec_lo
	v_cmpx_ne_u32_e64 v52, v46
	s_xor_b32 s0, exec_lo, s0
	s_cbranch_execz .LBB16_121
; %bb.116:
	s_mov_b32 s1, exec_lo
	v_cmpx_eq_u32_e32 5, v52
	s_cbranch_execz .LBB16_120
; %bb.117:
	v_cmp_ne_u32_e32 vcc_lo, 5, v46
	s_xor_b32 s2, s16, -1
	s_and_b32 s7, s2, vcc_lo
	s_and_saveexec_b32 s2, s7
	s_cbranch_execz .LBB16_119
; %bb.118:
	v_ashrrev_i32_e32 v47, 31, v46
	v_lshlrev_b64 v[52:53], 2, v[46:47]
	v_add_co_u32 v52, vcc_lo, v44, v52
	v_add_co_ci_u32_e64 v53, null, v45, v53, vcc_lo
	s_clause 0x1
	global_load_dword v0, v[52:53], off
	global_load_dword v47, v[44:45], off offset:20
	s_waitcnt vmcnt(1)
	global_store_dword v[44:45], v0, off offset:20
	s_waitcnt vmcnt(0)
	global_store_dword v[52:53], v47, off
.LBB16_119:
	s_or_b32 exec_lo, exec_lo, s2
	v_mov_b32_e32 v52, v46
	v_mov_b32_e32 v0, v46
.LBB16_120:
	s_or_b32 exec_lo, exec_lo, s1
.LBB16_121:
	s_andn2_saveexec_b32 s0, s0
	s_cbranch_execz .LBB16_123
; %bb.122:
	v_mov_b32_e32 v52, 5
	ds_write2_b64 v1, v[10:11], v[12:13] offset0:12 offset1:13
	ds_write2_b64 v1, v[6:7], v[8:9] offset0:14 offset1:15
	;; [unrolled: 1-line block ×3, first 2 shown]
.LBB16_123:
	s_or_b32 exec_lo, exec_lo, s0
	s_mov_b32 s0, exec_lo
	s_waitcnt lgkmcnt(0)
	s_waitcnt_vscnt null, 0x0
	s_barrier
	buffer_gl0_inv
	v_cmpx_lt_i32_e32 5, v52
	s_cbranch_execz .LBB16_125
; %bb.124:
	v_mul_f64 v[46:47], v[38:39], v[16:17]
	v_mul_f64 v[16:17], v[40:41], v[16:17]
	ds_read2_b64 v[53:56], v1 offset0:12 offset1:13
	ds_read2_b64 v[57:60], v1 offset0:14 offset1:15
	;; [unrolled: 1-line block ×3, first 2 shown]
	v_fma_f64 v[40:41], v[40:41], v[14:15], v[46:47]
	v_fma_f64 v[14:15], v[38:39], v[14:15], -v[16:17]
	s_waitcnt lgkmcnt(2)
	v_mul_f64 v[16:17], v[55:56], v[40:41]
	v_mul_f64 v[38:39], v[53:54], v[40:41]
	s_waitcnt lgkmcnt(1)
	v_mul_f64 v[46:47], v[59:60], v[40:41]
	v_mul_f64 v[65:66], v[57:58], v[40:41]
	;; [unrolled: 3-line block ×3, first 2 shown]
	v_fma_f64 v[16:17], v[53:54], v[14:15], -v[16:17]
	v_fma_f64 v[38:39], v[55:56], v[14:15], v[38:39]
	v_fma_f64 v[46:47], v[57:58], v[14:15], -v[46:47]
	v_fma_f64 v[53:54], v[59:60], v[14:15], v[65:66]
	;; [unrolled: 2-line block ×3, first 2 shown]
	v_add_f64 v[10:11], v[10:11], -v[16:17]
	v_add_f64 v[12:13], v[12:13], -v[38:39]
	;; [unrolled: 1-line block ×6, first 2 shown]
	v_mov_b32_e32 v16, v40
	v_mov_b32_e32 v17, v41
.LBB16_125:
	s_or_b32 exec_lo, exec_lo, s0
	v_lshl_add_u32 v38, v52, 4, v1
	s_barrier
	buffer_gl0_inv
	v_mov_b32_e32 v46, 6
	ds_write2_b64 v38, v[10:11], v[12:13] offset1:1
	s_waitcnt lgkmcnt(0)
	s_barrier
	buffer_gl0_inv
	ds_read2_b64 v[38:41], v1 offset0:12 offset1:13
	s_cmp_lt_i32 s3, 8
	s_cbranch_scc1 .LBB16_128
; %bb.126:
	v_add3_u32 v47, v48, 0, 0x70
	v_mov_b32_e32 v46, 6
	s_mov_b32 s1, 7
	s_inst_prefetch 0x1
	.p2align	6
.LBB16_127:                             ; =>This Inner Loop Header: Depth=1
	s_waitcnt lgkmcnt(0)
	v_cmp_gt_f64_e32 vcc_lo, 0, v[40:41]
	v_cmp_gt_f64_e64 s0, 0, v[38:39]
	ds_read2_b64 v[53:56], v47 offset1:1
	v_xor_b32_e32 v58, 0x80000000, v39
	v_xor_b32_e32 v60, 0x80000000, v41
	v_mov_b32_e32 v57, v38
	v_mov_b32_e32 v59, v40
	v_add_nc_u32_e32 v47, 16, v47
	s_waitcnt lgkmcnt(0)
	v_xor_b32_e32 v62, 0x80000000, v56
	v_cndmask_b32_e64 v58, v39, v58, s0
	v_cndmask_b32_e32 v60, v41, v60, vcc_lo
	v_cmp_gt_f64_e32 vcc_lo, 0, v[55:56]
	v_cmp_gt_f64_e64 s0, 0, v[53:54]
	v_mov_b32_e32 v61, v55
	v_add_f64 v[57:58], v[57:58], v[59:60]
	v_xor_b32_e32 v60, 0x80000000, v54
	v_mov_b32_e32 v59, v53
	v_cndmask_b32_e32 v62, v56, v62, vcc_lo
	v_cndmask_b32_e64 v60, v54, v60, s0
	v_add_f64 v[59:60], v[59:60], v[61:62]
	v_cmp_lt_f64_e32 vcc_lo, v[57:58], v[59:60]
	v_cndmask_b32_e32 v39, v39, v54, vcc_lo
	v_cndmask_b32_e32 v38, v38, v53, vcc_lo
	;; [unrolled: 1-line block ×4, first 2 shown]
	v_cndmask_b32_e64 v46, v46, s1, vcc_lo
	s_add_i32 s1, s1, 1
	s_cmp_lg_u32 s3, s1
	s_cbranch_scc1 .LBB16_127
.LBB16_128:
	s_inst_prefetch 0x2
	s_waitcnt lgkmcnt(0)
	v_cmp_eq_f64_e32 vcc_lo, 0, v[38:39]
	v_cmp_eq_f64_e64 s0, 0, v[40:41]
	s_and_b32 s0, vcc_lo, s0
	s_and_saveexec_b32 s1, s0
	s_xor_b32 s0, exec_lo, s1
; %bb.129:
	v_cmp_ne_u32_e32 vcc_lo, 0, v51
	v_cndmask_b32_e32 v51, 7, v51, vcc_lo
; %bb.130:
	s_andn2_saveexec_b32 s0, s0
	s_cbranch_execz .LBB16_136
; %bb.131:
	v_cmp_ngt_f64_e64 s1, |v[38:39]|, |v[40:41]|
	s_and_saveexec_b32 s2, s1
	s_xor_b32 s1, exec_lo, s2
	s_cbranch_execz .LBB16_133
; %bb.132:
	v_div_scale_f64 v[53:54], null, v[40:41], v[40:41], v[38:39]
	v_div_scale_f64 v[59:60], vcc_lo, v[38:39], v[40:41], v[38:39]
	v_rcp_f64_e32 v[55:56], v[53:54]
	v_fma_f64 v[57:58], -v[53:54], v[55:56], 1.0
	v_fma_f64 v[55:56], v[55:56], v[57:58], v[55:56]
	v_fma_f64 v[57:58], -v[53:54], v[55:56], 1.0
	v_fma_f64 v[55:56], v[55:56], v[57:58], v[55:56]
	v_mul_f64 v[57:58], v[59:60], v[55:56]
	v_fma_f64 v[53:54], -v[53:54], v[57:58], v[59:60]
	v_div_fmas_f64 v[53:54], v[53:54], v[55:56], v[57:58]
	v_div_fixup_f64 v[53:54], v[53:54], v[40:41], v[38:39]
	v_fma_f64 v[38:39], v[38:39], v[53:54], v[40:41]
	v_div_scale_f64 v[40:41], null, v[38:39], v[38:39], 1.0
	v_rcp_f64_e32 v[55:56], v[40:41]
	v_fma_f64 v[57:58], -v[40:41], v[55:56], 1.0
	v_fma_f64 v[55:56], v[55:56], v[57:58], v[55:56]
	v_fma_f64 v[57:58], -v[40:41], v[55:56], 1.0
	v_fma_f64 v[55:56], v[55:56], v[57:58], v[55:56]
	v_div_scale_f64 v[57:58], vcc_lo, 1.0, v[38:39], 1.0
	v_mul_f64 v[59:60], v[57:58], v[55:56]
	v_fma_f64 v[40:41], -v[40:41], v[59:60], v[57:58]
	v_div_fmas_f64 v[40:41], v[40:41], v[55:56], v[59:60]
	v_div_fixup_f64 v[40:41], v[40:41], v[38:39], 1.0
	v_mul_f64 v[38:39], v[53:54], v[40:41]
	v_xor_b32_e32 v41, 0x80000000, v41
.LBB16_133:
	s_andn2_saveexec_b32 s1, s1
	s_cbranch_execz .LBB16_135
; %bb.134:
	v_div_scale_f64 v[53:54], null, v[38:39], v[38:39], v[40:41]
	v_div_scale_f64 v[59:60], vcc_lo, v[40:41], v[38:39], v[40:41]
	v_rcp_f64_e32 v[55:56], v[53:54]
	v_fma_f64 v[57:58], -v[53:54], v[55:56], 1.0
	v_fma_f64 v[55:56], v[55:56], v[57:58], v[55:56]
	v_fma_f64 v[57:58], -v[53:54], v[55:56], 1.0
	v_fma_f64 v[55:56], v[55:56], v[57:58], v[55:56]
	v_mul_f64 v[57:58], v[59:60], v[55:56]
	v_fma_f64 v[53:54], -v[53:54], v[57:58], v[59:60]
	v_div_fmas_f64 v[53:54], v[53:54], v[55:56], v[57:58]
	v_div_fixup_f64 v[53:54], v[53:54], v[38:39], v[40:41]
	v_fma_f64 v[38:39], v[40:41], v[53:54], v[38:39]
	v_div_scale_f64 v[40:41], null, v[38:39], v[38:39], 1.0
	v_rcp_f64_e32 v[55:56], v[40:41]
	v_fma_f64 v[57:58], -v[40:41], v[55:56], 1.0
	v_fma_f64 v[55:56], v[55:56], v[57:58], v[55:56]
	v_fma_f64 v[57:58], -v[40:41], v[55:56], 1.0
	v_fma_f64 v[55:56], v[55:56], v[57:58], v[55:56]
	v_div_scale_f64 v[57:58], vcc_lo, 1.0, v[38:39], 1.0
	v_mul_f64 v[59:60], v[57:58], v[55:56]
	v_fma_f64 v[40:41], -v[40:41], v[59:60], v[57:58]
	v_div_fmas_f64 v[40:41], v[40:41], v[55:56], v[59:60]
	v_div_fixup_f64 v[38:39], v[40:41], v[38:39], 1.0
	v_mul_f64 v[40:41], v[53:54], -v[38:39]
.LBB16_135:
	s_or_b32 exec_lo, exec_lo, s1
.LBB16_136:
	s_or_b32 exec_lo, exec_lo, s0
	s_mov_b32 s0, exec_lo
	v_cmpx_ne_u32_e64 v52, v46
	s_xor_b32 s0, exec_lo, s0
	s_cbranch_execz .LBB16_142
; %bb.137:
	s_mov_b32 s1, exec_lo
	v_cmpx_eq_u32_e32 6, v52
	s_cbranch_execz .LBB16_141
; %bb.138:
	v_cmp_ne_u32_e32 vcc_lo, 6, v46
	s_xor_b32 s2, s16, -1
	s_and_b32 s7, s2, vcc_lo
	s_and_saveexec_b32 s2, s7
	s_cbranch_execz .LBB16_140
; %bb.139:
	v_ashrrev_i32_e32 v47, 31, v46
	v_lshlrev_b64 v[52:53], 2, v[46:47]
	v_add_co_u32 v52, vcc_lo, v44, v52
	v_add_co_ci_u32_e64 v53, null, v45, v53, vcc_lo
	s_clause 0x1
	global_load_dword v0, v[52:53], off
	global_load_dword v47, v[44:45], off offset:24
	s_waitcnt vmcnt(1)
	global_store_dword v[44:45], v0, off offset:24
	s_waitcnt vmcnt(0)
	global_store_dword v[52:53], v47, off
.LBB16_140:
	s_or_b32 exec_lo, exec_lo, s2
	v_mov_b32_e32 v52, v46
	v_mov_b32_e32 v0, v46
.LBB16_141:
	s_or_b32 exec_lo, exec_lo, s1
.LBB16_142:
	s_andn2_saveexec_b32 s0, s0
	s_cbranch_execz .LBB16_144
; %bb.143:
	v_mov_b32_e32 v52, 6
	ds_write2_b64 v1, v[6:7], v[8:9] offset0:14 offset1:15
	ds_write2_b64 v1, v[2:3], v[4:5] offset0:16 offset1:17
.LBB16_144:
	s_or_b32 exec_lo, exec_lo, s0
	s_mov_b32 s0, exec_lo
	s_waitcnt lgkmcnt(0)
	s_waitcnt_vscnt null, 0x0
	s_barrier
	buffer_gl0_inv
	v_cmpx_lt_i32_e32 6, v52
	s_cbranch_execz .LBB16_146
; %bb.145:
	v_mul_f64 v[46:47], v[38:39], v[12:13]
	v_mul_f64 v[12:13], v[40:41], v[12:13]
	ds_read2_b64 v[53:56], v1 offset0:14 offset1:15
	ds_read2_b64 v[57:60], v1 offset0:16 offset1:17
	v_fma_f64 v[40:41], v[40:41], v[10:11], v[46:47]
	v_fma_f64 v[10:11], v[38:39], v[10:11], -v[12:13]
	s_waitcnt lgkmcnt(1)
	v_mul_f64 v[12:13], v[55:56], v[40:41]
	v_mul_f64 v[38:39], v[53:54], v[40:41]
	s_waitcnt lgkmcnt(0)
	v_mul_f64 v[46:47], v[59:60], v[40:41]
	v_mul_f64 v[61:62], v[57:58], v[40:41]
	v_fma_f64 v[12:13], v[53:54], v[10:11], -v[12:13]
	v_fma_f64 v[38:39], v[55:56], v[10:11], v[38:39]
	v_fma_f64 v[46:47], v[57:58], v[10:11], -v[46:47]
	v_fma_f64 v[53:54], v[59:60], v[10:11], v[61:62]
	v_add_f64 v[6:7], v[6:7], -v[12:13]
	v_add_f64 v[8:9], v[8:9], -v[38:39]
	;; [unrolled: 1-line block ×4, first 2 shown]
	v_mov_b32_e32 v12, v40
	v_mov_b32_e32 v13, v41
.LBB16_146:
	s_or_b32 exec_lo, exec_lo, s0
	v_lshl_add_u32 v38, v52, 4, v1
	s_barrier
	buffer_gl0_inv
	v_mov_b32_e32 v46, 7
	ds_write2_b64 v38, v[6:7], v[8:9] offset1:1
	s_waitcnt lgkmcnt(0)
	s_barrier
	buffer_gl0_inv
	ds_read2_b64 v[38:41], v1 offset0:14 offset1:15
	s_cmp_lt_i32 s3, 9
	s_cbranch_scc1 .LBB16_149
; %bb.147:
	v_add3_u32 v47, v48, 0, 0x80
	v_mov_b32_e32 v46, 7
	s_mov_b32 s1, 8
	s_inst_prefetch 0x1
	.p2align	6
.LBB16_148:                             ; =>This Inner Loop Header: Depth=1
	s_waitcnt lgkmcnt(0)
	v_cmp_gt_f64_e32 vcc_lo, 0, v[40:41]
	v_cmp_gt_f64_e64 s0, 0, v[38:39]
	ds_read2_b64 v[53:56], v47 offset1:1
	v_xor_b32_e32 v58, 0x80000000, v39
	v_xor_b32_e32 v60, 0x80000000, v41
	v_mov_b32_e32 v57, v38
	v_mov_b32_e32 v59, v40
	v_add_nc_u32_e32 v47, 16, v47
	s_waitcnt lgkmcnt(0)
	v_xor_b32_e32 v62, 0x80000000, v56
	v_cndmask_b32_e64 v58, v39, v58, s0
	v_cndmask_b32_e32 v60, v41, v60, vcc_lo
	v_cmp_gt_f64_e32 vcc_lo, 0, v[55:56]
	v_cmp_gt_f64_e64 s0, 0, v[53:54]
	v_mov_b32_e32 v61, v55
	v_add_f64 v[57:58], v[57:58], v[59:60]
	v_xor_b32_e32 v60, 0x80000000, v54
	v_mov_b32_e32 v59, v53
	v_cndmask_b32_e32 v62, v56, v62, vcc_lo
	v_cndmask_b32_e64 v60, v54, v60, s0
	v_add_f64 v[59:60], v[59:60], v[61:62]
	v_cmp_lt_f64_e32 vcc_lo, v[57:58], v[59:60]
	v_cndmask_b32_e32 v39, v39, v54, vcc_lo
	v_cndmask_b32_e32 v38, v38, v53, vcc_lo
	;; [unrolled: 1-line block ×4, first 2 shown]
	v_cndmask_b32_e64 v46, v46, s1, vcc_lo
	s_add_i32 s1, s1, 1
	s_cmp_lg_u32 s3, s1
	s_cbranch_scc1 .LBB16_148
.LBB16_149:
	s_inst_prefetch 0x2
	s_waitcnt lgkmcnt(0)
	v_cmp_eq_f64_e32 vcc_lo, 0, v[38:39]
	v_cmp_eq_f64_e64 s0, 0, v[40:41]
	s_and_b32 s0, vcc_lo, s0
	s_and_saveexec_b32 s1, s0
	s_xor_b32 s0, exec_lo, s1
; %bb.150:
	v_cmp_ne_u32_e32 vcc_lo, 0, v51
	v_cndmask_b32_e32 v51, 8, v51, vcc_lo
; %bb.151:
	s_andn2_saveexec_b32 s0, s0
	s_cbranch_execz .LBB16_157
; %bb.152:
	v_cmp_ngt_f64_e64 s1, |v[38:39]|, |v[40:41]|
	s_and_saveexec_b32 s2, s1
	s_xor_b32 s1, exec_lo, s2
	s_cbranch_execz .LBB16_154
; %bb.153:
	v_div_scale_f64 v[53:54], null, v[40:41], v[40:41], v[38:39]
	v_div_scale_f64 v[59:60], vcc_lo, v[38:39], v[40:41], v[38:39]
	v_rcp_f64_e32 v[55:56], v[53:54]
	v_fma_f64 v[57:58], -v[53:54], v[55:56], 1.0
	v_fma_f64 v[55:56], v[55:56], v[57:58], v[55:56]
	v_fma_f64 v[57:58], -v[53:54], v[55:56], 1.0
	v_fma_f64 v[55:56], v[55:56], v[57:58], v[55:56]
	v_mul_f64 v[57:58], v[59:60], v[55:56]
	v_fma_f64 v[53:54], -v[53:54], v[57:58], v[59:60]
	v_div_fmas_f64 v[53:54], v[53:54], v[55:56], v[57:58]
	v_div_fixup_f64 v[53:54], v[53:54], v[40:41], v[38:39]
	v_fma_f64 v[38:39], v[38:39], v[53:54], v[40:41]
	v_div_scale_f64 v[40:41], null, v[38:39], v[38:39], 1.0
	v_rcp_f64_e32 v[55:56], v[40:41]
	v_fma_f64 v[57:58], -v[40:41], v[55:56], 1.0
	v_fma_f64 v[55:56], v[55:56], v[57:58], v[55:56]
	v_fma_f64 v[57:58], -v[40:41], v[55:56], 1.0
	v_fma_f64 v[55:56], v[55:56], v[57:58], v[55:56]
	v_div_scale_f64 v[57:58], vcc_lo, 1.0, v[38:39], 1.0
	v_mul_f64 v[59:60], v[57:58], v[55:56]
	v_fma_f64 v[40:41], -v[40:41], v[59:60], v[57:58]
	v_div_fmas_f64 v[40:41], v[40:41], v[55:56], v[59:60]
	v_div_fixup_f64 v[40:41], v[40:41], v[38:39], 1.0
	v_mul_f64 v[38:39], v[53:54], v[40:41]
	v_xor_b32_e32 v41, 0x80000000, v41
.LBB16_154:
	s_andn2_saveexec_b32 s1, s1
	s_cbranch_execz .LBB16_156
; %bb.155:
	v_div_scale_f64 v[53:54], null, v[38:39], v[38:39], v[40:41]
	v_div_scale_f64 v[59:60], vcc_lo, v[40:41], v[38:39], v[40:41]
	v_rcp_f64_e32 v[55:56], v[53:54]
	v_fma_f64 v[57:58], -v[53:54], v[55:56], 1.0
	v_fma_f64 v[55:56], v[55:56], v[57:58], v[55:56]
	v_fma_f64 v[57:58], -v[53:54], v[55:56], 1.0
	v_fma_f64 v[55:56], v[55:56], v[57:58], v[55:56]
	v_mul_f64 v[57:58], v[59:60], v[55:56]
	v_fma_f64 v[53:54], -v[53:54], v[57:58], v[59:60]
	v_div_fmas_f64 v[53:54], v[53:54], v[55:56], v[57:58]
	v_div_fixup_f64 v[53:54], v[53:54], v[38:39], v[40:41]
	v_fma_f64 v[38:39], v[40:41], v[53:54], v[38:39]
	v_div_scale_f64 v[40:41], null, v[38:39], v[38:39], 1.0
	v_rcp_f64_e32 v[55:56], v[40:41]
	v_fma_f64 v[57:58], -v[40:41], v[55:56], 1.0
	v_fma_f64 v[55:56], v[55:56], v[57:58], v[55:56]
	v_fma_f64 v[57:58], -v[40:41], v[55:56], 1.0
	v_fma_f64 v[55:56], v[55:56], v[57:58], v[55:56]
	v_div_scale_f64 v[57:58], vcc_lo, 1.0, v[38:39], 1.0
	v_mul_f64 v[59:60], v[57:58], v[55:56]
	v_fma_f64 v[40:41], -v[40:41], v[59:60], v[57:58]
	v_div_fmas_f64 v[40:41], v[40:41], v[55:56], v[59:60]
	v_div_fixup_f64 v[38:39], v[40:41], v[38:39], 1.0
	v_mul_f64 v[40:41], v[53:54], -v[38:39]
.LBB16_156:
	s_or_b32 exec_lo, exec_lo, s1
.LBB16_157:
	s_or_b32 exec_lo, exec_lo, s0
	s_mov_b32 s0, exec_lo
	v_cmpx_ne_u32_e64 v52, v46
	s_xor_b32 s0, exec_lo, s0
	s_cbranch_execz .LBB16_163
; %bb.158:
	s_mov_b32 s1, exec_lo
	v_cmpx_eq_u32_e32 7, v52
	s_cbranch_execz .LBB16_162
; %bb.159:
	v_cmp_ne_u32_e32 vcc_lo, 7, v46
	s_xor_b32 s2, s16, -1
	s_and_b32 s7, s2, vcc_lo
	s_and_saveexec_b32 s2, s7
	s_cbranch_execz .LBB16_161
; %bb.160:
	v_ashrrev_i32_e32 v47, 31, v46
	v_lshlrev_b64 v[52:53], 2, v[46:47]
	v_add_co_u32 v52, vcc_lo, v44, v52
	v_add_co_ci_u32_e64 v53, null, v45, v53, vcc_lo
	s_clause 0x1
	global_load_dword v0, v[52:53], off
	global_load_dword v47, v[44:45], off offset:28
	s_waitcnt vmcnt(1)
	global_store_dword v[44:45], v0, off offset:28
	s_waitcnt vmcnt(0)
	global_store_dword v[52:53], v47, off
.LBB16_161:
	s_or_b32 exec_lo, exec_lo, s2
	v_mov_b32_e32 v52, v46
	v_mov_b32_e32 v0, v46
.LBB16_162:
	s_or_b32 exec_lo, exec_lo, s1
.LBB16_163:
	s_andn2_saveexec_b32 s0, s0
; %bb.164:
	v_mov_b32_e32 v52, 7
	ds_write2_b64 v1, v[2:3], v[4:5] offset0:16 offset1:17
; %bb.165:
	s_or_b32 exec_lo, exec_lo, s0
	s_mov_b32 s0, exec_lo
	s_waitcnt lgkmcnt(0)
	s_waitcnt_vscnt null, 0x0
	s_barrier
	buffer_gl0_inv
	v_cmpx_lt_i32_e32 7, v52
	s_cbranch_execz .LBB16_167
; %bb.166:
	v_mul_f64 v[46:47], v[38:39], v[8:9]
	v_mul_f64 v[8:9], v[40:41], v[8:9]
	ds_read2_b64 v[53:56], v1 offset0:16 offset1:17
	v_fma_f64 v[40:41], v[40:41], v[6:7], v[46:47]
	v_fma_f64 v[6:7], v[38:39], v[6:7], -v[8:9]
	s_waitcnt lgkmcnt(0)
	v_mul_f64 v[8:9], v[55:56], v[40:41]
	v_mul_f64 v[38:39], v[53:54], v[40:41]
	v_fma_f64 v[8:9], v[53:54], v[6:7], -v[8:9]
	v_fma_f64 v[38:39], v[55:56], v[6:7], v[38:39]
	v_add_f64 v[2:3], v[2:3], -v[8:9]
	v_add_f64 v[4:5], v[4:5], -v[38:39]
	v_mov_b32_e32 v8, v40
	v_mov_b32_e32 v9, v41
.LBB16_167:
	s_or_b32 exec_lo, exec_lo, s0
	v_lshl_add_u32 v38, v52, 4, v1
	s_barrier
	buffer_gl0_inv
	v_mov_b32_e32 v46, 8
	ds_write2_b64 v38, v[2:3], v[4:5] offset1:1
	s_waitcnt lgkmcnt(0)
	s_barrier
	buffer_gl0_inv
	ds_read2_b64 v[38:41], v1 offset0:16 offset1:17
	s_cmp_lt_i32 s3, 10
	s_cbranch_scc1 .LBB16_170
; %bb.168:
	v_add3_u32 v1, v48, 0, 0x90
	v_mov_b32_e32 v46, 8
	s_mov_b32 s1, 9
	s_inst_prefetch 0x1
	.p2align	6
.LBB16_169:                             ; =>This Inner Loop Header: Depth=1
	s_waitcnt lgkmcnt(0)
	v_cmp_gt_f64_e32 vcc_lo, 0, v[40:41]
	v_cmp_gt_f64_e64 s0, 0, v[38:39]
	ds_read2_b64 v[53:56], v1 offset1:1
	v_xor_b32_e32 v48, 0x80000000, v39
	v_xor_b32_e32 v58, 0x80000000, v41
	v_mov_b32_e32 v47, v38
	v_mov_b32_e32 v57, v40
	v_add_nc_u32_e32 v1, 16, v1
	s_waitcnt lgkmcnt(0)
	v_xor_b32_e32 v60, 0x80000000, v56
	v_cndmask_b32_e64 v48, v39, v48, s0
	v_cndmask_b32_e32 v58, v41, v58, vcc_lo
	v_cmp_gt_f64_e32 vcc_lo, 0, v[55:56]
	v_cmp_gt_f64_e64 s0, 0, v[53:54]
	v_mov_b32_e32 v59, v55
	v_add_f64 v[47:48], v[47:48], v[57:58]
	v_xor_b32_e32 v58, 0x80000000, v54
	v_mov_b32_e32 v57, v53
	v_cndmask_b32_e32 v60, v56, v60, vcc_lo
	v_cndmask_b32_e64 v58, v54, v58, s0
	v_add_f64 v[57:58], v[57:58], v[59:60]
	v_cmp_lt_f64_e32 vcc_lo, v[47:48], v[57:58]
	v_cndmask_b32_e32 v39, v39, v54, vcc_lo
	v_cndmask_b32_e32 v38, v38, v53, vcc_lo
	;; [unrolled: 1-line block ×4, first 2 shown]
	v_cndmask_b32_e64 v46, v46, s1, vcc_lo
	s_add_i32 s1, s1, 1
	s_cmp_lg_u32 s3, s1
	s_cbranch_scc1 .LBB16_169
.LBB16_170:
	s_inst_prefetch 0x2
	s_waitcnt lgkmcnt(0)
	v_cmp_eq_f64_e32 vcc_lo, 0, v[38:39]
	v_cmp_eq_f64_e64 s0, 0, v[40:41]
	s_and_b32 s0, vcc_lo, s0
	s_and_saveexec_b32 s1, s0
	s_xor_b32 s0, exec_lo, s1
; %bb.171:
	v_cmp_ne_u32_e32 vcc_lo, 0, v51
	v_cndmask_b32_e32 v51, 9, v51, vcc_lo
; %bb.172:
	s_andn2_saveexec_b32 s0, s0
	s_cbranch_execz .LBB16_178
; %bb.173:
	v_cmp_ngt_f64_e64 s1, |v[38:39]|, |v[40:41]|
	s_and_saveexec_b32 s2, s1
	s_xor_b32 s1, exec_lo, s2
	s_cbranch_execz .LBB16_175
; %bb.174:
	v_div_scale_f64 v[47:48], null, v[40:41], v[40:41], v[38:39]
	v_div_scale_f64 v[57:58], vcc_lo, v[38:39], v[40:41], v[38:39]
	v_rcp_f64_e32 v[53:54], v[47:48]
	v_fma_f64 v[55:56], -v[47:48], v[53:54], 1.0
	v_fma_f64 v[53:54], v[53:54], v[55:56], v[53:54]
	v_fma_f64 v[55:56], -v[47:48], v[53:54], 1.0
	v_fma_f64 v[53:54], v[53:54], v[55:56], v[53:54]
	v_mul_f64 v[55:56], v[57:58], v[53:54]
	v_fma_f64 v[47:48], -v[47:48], v[55:56], v[57:58]
	v_div_fmas_f64 v[47:48], v[47:48], v[53:54], v[55:56]
	v_div_fixup_f64 v[47:48], v[47:48], v[40:41], v[38:39]
	v_fma_f64 v[38:39], v[38:39], v[47:48], v[40:41]
	v_div_scale_f64 v[40:41], null, v[38:39], v[38:39], 1.0
	v_rcp_f64_e32 v[53:54], v[40:41]
	v_fma_f64 v[55:56], -v[40:41], v[53:54], 1.0
	v_fma_f64 v[53:54], v[53:54], v[55:56], v[53:54]
	v_fma_f64 v[55:56], -v[40:41], v[53:54], 1.0
	v_fma_f64 v[53:54], v[53:54], v[55:56], v[53:54]
	v_div_scale_f64 v[55:56], vcc_lo, 1.0, v[38:39], 1.0
	v_mul_f64 v[57:58], v[55:56], v[53:54]
	v_fma_f64 v[40:41], -v[40:41], v[57:58], v[55:56]
	v_div_fmas_f64 v[40:41], v[40:41], v[53:54], v[57:58]
	v_div_fixup_f64 v[40:41], v[40:41], v[38:39], 1.0
	v_mul_f64 v[38:39], v[47:48], v[40:41]
	v_xor_b32_e32 v41, 0x80000000, v41
.LBB16_175:
	s_andn2_saveexec_b32 s1, s1
	s_cbranch_execz .LBB16_177
; %bb.176:
	v_div_scale_f64 v[47:48], null, v[38:39], v[38:39], v[40:41]
	v_div_scale_f64 v[57:58], vcc_lo, v[40:41], v[38:39], v[40:41]
	v_rcp_f64_e32 v[53:54], v[47:48]
	v_fma_f64 v[55:56], -v[47:48], v[53:54], 1.0
	v_fma_f64 v[53:54], v[53:54], v[55:56], v[53:54]
	v_fma_f64 v[55:56], -v[47:48], v[53:54], 1.0
	v_fma_f64 v[53:54], v[53:54], v[55:56], v[53:54]
	v_mul_f64 v[55:56], v[57:58], v[53:54]
	v_fma_f64 v[47:48], -v[47:48], v[55:56], v[57:58]
	v_div_fmas_f64 v[47:48], v[47:48], v[53:54], v[55:56]
	v_div_fixup_f64 v[47:48], v[47:48], v[38:39], v[40:41]
	v_fma_f64 v[38:39], v[40:41], v[47:48], v[38:39]
	v_div_scale_f64 v[40:41], null, v[38:39], v[38:39], 1.0
	v_rcp_f64_e32 v[53:54], v[40:41]
	v_fma_f64 v[55:56], -v[40:41], v[53:54], 1.0
	v_fma_f64 v[53:54], v[53:54], v[55:56], v[53:54]
	v_fma_f64 v[55:56], -v[40:41], v[53:54], 1.0
	v_fma_f64 v[53:54], v[53:54], v[55:56], v[53:54]
	v_div_scale_f64 v[55:56], vcc_lo, 1.0, v[38:39], 1.0
	v_mul_f64 v[57:58], v[55:56], v[53:54]
	v_fma_f64 v[40:41], -v[40:41], v[57:58], v[55:56]
	v_div_fmas_f64 v[40:41], v[40:41], v[53:54], v[57:58]
	v_div_fixup_f64 v[38:39], v[40:41], v[38:39], 1.0
	v_mul_f64 v[40:41], v[47:48], -v[38:39]
.LBB16_177:
	s_or_b32 exec_lo, exec_lo, s1
.LBB16_178:
	s_or_b32 exec_lo, exec_lo, s0
	v_mov_b32_e32 v47, 8
	s_mov_b32 s0, exec_lo
	v_cmpx_ne_u32_e64 v52, v46
	s_cbranch_execz .LBB16_184
; %bb.179:
	s_mov_b32 s1, exec_lo
	v_cmpx_eq_u32_e32 8, v52
	s_cbranch_execz .LBB16_183
; %bb.180:
	v_cmp_ne_u32_e32 vcc_lo, 8, v46
	s_xor_b32 s2, s16, -1
	s_and_b32 s3, s2, vcc_lo
	s_and_saveexec_b32 s2, s3
	s_cbranch_execz .LBB16_182
; %bb.181:
	v_ashrrev_i32_e32 v47, 31, v46
	v_lshlrev_b64 v[0:1], 2, v[46:47]
	v_add_co_u32 v0, vcc_lo, v44, v0
	v_add_co_ci_u32_e64 v1, null, v45, v1, vcc_lo
	s_clause 0x1
	global_load_dword v47, v[0:1], off
	global_load_dword v48, v[44:45], off offset:32
	s_waitcnt vmcnt(1)
	global_store_dword v[44:45], v47, off offset:32
	s_waitcnt vmcnt(0)
	global_store_dword v[0:1], v48, off
.LBB16_182:
	s_or_b32 exec_lo, exec_lo, s2
	v_mov_b32_e32 v52, v46
	v_mov_b32_e32 v0, v46
.LBB16_183:
	s_or_b32 exec_lo, exec_lo, s1
	v_mov_b32_e32 v47, v52
.LBB16_184:
	s_or_b32 exec_lo, exec_lo, s0
	s_mov_b32 s0, exec_lo
	s_waitcnt_vscnt null, 0x0
	s_barrier
	buffer_gl0_inv
	v_cmpx_lt_i32_e32 8, v47
	s_cbranch_execz .LBB16_186
; %bb.185:
	v_mul_f64 v[44:45], v[40:41], v[4:5]
	v_mul_f64 v[4:5], v[38:39], v[4:5]
	v_fma_f64 v[38:39], v[38:39], v[2:3], -v[44:45]
	v_fma_f64 v[4:5], v[40:41], v[2:3], v[4:5]
	v_mov_b32_e32 v2, v38
	v_mov_b32_e32 v3, v39
.LBB16_186:
	s_or_b32 exec_lo, exec_lo, s0
	v_ashrrev_i32_e32 v48, 31, v47
	s_mov_b32 s0, exec_lo
	s_barrier
	buffer_gl0_inv
	v_cmpx_gt_i32_e32 9, v47
	s_cbranch_execz .LBB16_188
; %bb.187:
	v_mul_lo_u32 v1, s15, v42
	v_mul_lo_u32 v40, s14, v43
	v_mad_u64_u32 v[38:39], null, s14, v42, 0
	s_lshl_b64 s[2:3], s[12:13], 2
	v_add3_u32 v0, v0, s17, 1
	v_add3_u32 v39, v39, v40, v1
	v_lshlrev_b64 v[38:39], 2, v[38:39]
	v_add_co_u32 v1, vcc_lo, s10, v38
	v_add_co_ci_u32_e64 v40, null, s11, v39, vcc_lo
	v_lshlrev_b64 v[38:39], 2, v[47:48]
	v_add_co_u32 v1, vcc_lo, v1, s2
	v_add_co_ci_u32_e64 v40, null, s3, v40, vcc_lo
	v_add_co_u32 v38, vcc_lo, v1, v38
	v_add_co_ci_u32_e64 v39, null, v40, v39, vcc_lo
	global_store_dword v[38:39], v0, off
.LBB16_188:
	s_or_b32 exec_lo, exec_lo, s0
	s_mov_b32 s1, exec_lo
	v_cmpx_eq_u32_e32 0, v47
	s_cbranch_execz .LBB16_191
; %bb.189:
	v_lshlrev_b64 v[0:1], 2, v[42:43]
	v_cmp_ne_u32_e64 s0, 0, v51
	v_add_co_u32 v0, vcc_lo, s4, v0
	v_add_co_ci_u32_e64 v1, null, s5, v1, vcc_lo
	global_load_dword v38, v[0:1], off
	s_waitcnt vmcnt(0)
	v_cmp_eq_u32_e32 vcc_lo, 0, v38
	s_and_b32 s0, vcc_lo, s0
	s_and_b32 exec_lo, exec_lo, s0
	s_cbranch_execz .LBB16_191
; %bb.190:
	v_add_nc_u32_e32 v38, s17, v51
	global_store_dword v[0:1], v38, off
.LBB16_191:
	s_or_b32 exec_lo, exec_lo, s1
	v_lshlrev_b64 v[38:39], 4, v[47:48]
	v_add3_u32 v0, s6, s6, v47
	v_add_nc_u32_e32 v40, s6, v0
	v_add_co_u32 v38, vcc_lo, v49, v38
	v_add_co_ci_u32_e64 v39, null, v50, v39, vcc_lo
	v_ashrrev_i32_e32 v1, 31, v0
	v_add_co_u32 v42, vcc_lo, v38, s8
	v_add_co_ci_u32_e64 v43, null, s9, v39, vcc_lo
	v_ashrrev_i32_e32 v41, 31, v40
	v_lshlrev_b64 v[0:1], 4, v[0:1]
	global_store_dwordx4 v[38:39], v[34:37], off
	global_store_dwordx4 v[42:43], v[30:33], off
	v_add_nc_u32_e32 v30, s6, v40
	v_lshlrev_b64 v[34:35], 4, v[40:41]
	v_add_co_u32 v0, vcc_lo, v49, v0
	v_add_nc_u32_e32 v32, s6, v30
	v_add_co_ci_u32_e64 v1, null, v50, v1, vcc_lo
	v_add_co_u32 v34, vcc_lo, v49, v34
	v_add_co_ci_u32_e64 v35, null, v50, v35, vcc_lo
	v_add_nc_u32_e32 v36, s6, v32
	global_store_dwordx4 v[0:1], v[26:29], off
	v_ashrrev_i32_e32 v31, 31, v30
	global_store_dwordx4 v[34:35], v[22:25], off
	v_ashrrev_i32_e32 v33, 31, v32
	v_add_nc_u32_e32 v24, s6, v36
	v_ashrrev_i32_e32 v37, 31, v36
	v_lshlrev_b64 v[0:1], 4, v[30:31]
	v_lshlrev_b64 v[22:23], 4, v[32:33]
	v_add_nc_u32_e32 v28, s6, v24
	v_ashrrev_i32_e32 v25, 31, v24
	v_lshlrev_b64 v[26:27], 4, v[36:37]
	v_add_co_u32 v0, vcc_lo, v49, v0
	v_ashrrev_i32_e32 v29, 31, v28
	v_lshlrev_b64 v[24:25], 4, v[24:25]
	v_add_co_ci_u32_e64 v1, null, v50, v1, vcc_lo
	v_add_co_u32 v22, vcc_lo, v49, v22
	v_lshlrev_b64 v[28:29], 4, v[28:29]
	v_add_co_ci_u32_e64 v23, null, v50, v23, vcc_lo
	v_add_co_u32 v26, vcc_lo, v49, v26
	v_add_co_ci_u32_e64 v27, null, v50, v27, vcc_lo
	v_add_co_u32 v24, vcc_lo, v49, v24
	;; [unrolled: 2-line block ×3, first 2 shown]
	v_add_co_ci_u32_e64 v29, null, v50, v29, vcc_lo
	global_store_dwordx4 v[0:1], v[18:21], off
	global_store_dwordx4 v[22:23], v[14:17], off
	;; [unrolled: 1-line block ×5, first 2 shown]
.LBB16_192:
	s_endpgm
	.section	.rodata,"a",@progbits
	.p2align	6, 0x0
	.amdhsa_kernel _ZN9rocsolver6v33100L18getf2_small_kernelILi9E19rocblas_complex_numIdEiiPS3_EEvT1_T3_lS5_lPS5_llPT2_S5_S5_S7_l
		.amdhsa_group_segment_fixed_size 0
		.amdhsa_private_segment_fixed_size 0
		.amdhsa_kernarg_size 352
		.amdhsa_user_sgpr_count 6
		.amdhsa_user_sgpr_private_segment_buffer 1
		.amdhsa_user_sgpr_dispatch_ptr 0
		.amdhsa_user_sgpr_queue_ptr 0
		.amdhsa_user_sgpr_kernarg_segment_ptr 1
		.amdhsa_user_sgpr_dispatch_id 0
		.amdhsa_user_sgpr_flat_scratch_init 0
		.amdhsa_user_sgpr_private_segment_size 0
		.amdhsa_wavefront_size32 1
		.amdhsa_uses_dynamic_stack 0
		.amdhsa_system_sgpr_private_segment_wavefront_offset 0
		.amdhsa_system_sgpr_workgroup_id_x 1
		.amdhsa_system_sgpr_workgroup_id_y 1
		.amdhsa_system_sgpr_workgroup_id_z 0
		.amdhsa_system_sgpr_workgroup_info 0
		.amdhsa_system_vgpr_workitem_id 1
		.amdhsa_next_free_vgpr 71
		.amdhsa_next_free_sgpr 18
		.amdhsa_reserve_vcc 1
		.amdhsa_reserve_flat_scratch 0
		.amdhsa_float_round_mode_32 0
		.amdhsa_float_round_mode_16_64 0
		.amdhsa_float_denorm_mode_32 3
		.amdhsa_float_denorm_mode_16_64 3
		.amdhsa_dx10_clamp 1
		.amdhsa_ieee_mode 1
		.amdhsa_fp16_overflow 0
		.amdhsa_workgroup_processor_mode 1
		.amdhsa_memory_ordered 1
		.amdhsa_forward_progress 1
		.amdhsa_shared_vgpr_count 0
		.amdhsa_exception_fp_ieee_invalid_op 0
		.amdhsa_exception_fp_denorm_src 0
		.amdhsa_exception_fp_ieee_div_zero 0
		.amdhsa_exception_fp_ieee_overflow 0
		.amdhsa_exception_fp_ieee_underflow 0
		.amdhsa_exception_fp_ieee_inexact 0
		.amdhsa_exception_int_div_zero 0
	.end_amdhsa_kernel
	.section	.text._ZN9rocsolver6v33100L18getf2_small_kernelILi9E19rocblas_complex_numIdEiiPS3_EEvT1_T3_lS5_lPS5_llPT2_S5_S5_S7_l,"axG",@progbits,_ZN9rocsolver6v33100L18getf2_small_kernelILi9E19rocblas_complex_numIdEiiPS3_EEvT1_T3_lS5_lPS5_llPT2_S5_S5_S7_l,comdat
.Lfunc_end16:
	.size	_ZN9rocsolver6v33100L18getf2_small_kernelILi9E19rocblas_complex_numIdEiiPS3_EEvT1_T3_lS5_lPS5_llPT2_S5_S5_S7_l, .Lfunc_end16-_ZN9rocsolver6v33100L18getf2_small_kernelILi9E19rocblas_complex_numIdEiiPS3_EEvT1_T3_lS5_lPS5_llPT2_S5_S5_S7_l
                                        ; -- End function
	.set _ZN9rocsolver6v33100L18getf2_small_kernelILi9E19rocblas_complex_numIdEiiPS3_EEvT1_T3_lS5_lPS5_llPT2_S5_S5_S7_l.num_vgpr, 71
	.set _ZN9rocsolver6v33100L18getf2_small_kernelILi9E19rocblas_complex_numIdEiiPS3_EEvT1_T3_lS5_lPS5_llPT2_S5_S5_S7_l.num_agpr, 0
	.set _ZN9rocsolver6v33100L18getf2_small_kernelILi9E19rocblas_complex_numIdEiiPS3_EEvT1_T3_lS5_lPS5_llPT2_S5_S5_S7_l.numbered_sgpr, 18
	.set _ZN9rocsolver6v33100L18getf2_small_kernelILi9E19rocblas_complex_numIdEiiPS3_EEvT1_T3_lS5_lPS5_llPT2_S5_S5_S7_l.num_named_barrier, 0
	.set _ZN9rocsolver6v33100L18getf2_small_kernelILi9E19rocblas_complex_numIdEiiPS3_EEvT1_T3_lS5_lPS5_llPT2_S5_S5_S7_l.private_seg_size, 0
	.set _ZN9rocsolver6v33100L18getf2_small_kernelILi9E19rocblas_complex_numIdEiiPS3_EEvT1_T3_lS5_lPS5_llPT2_S5_S5_S7_l.uses_vcc, 1
	.set _ZN9rocsolver6v33100L18getf2_small_kernelILi9E19rocblas_complex_numIdEiiPS3_EEvT1_T3_lS5_lPS5_llPT2_S5_S5_S7_l.uses_flat_scratch, 0
	.set _ZN9rocsolver6v33100L18getf2_small_kernelILi9E19rocblas_complex_numIdEiiPS3_EEvT1_T3_lS5_lPS5_llPT2_S5_S5_S7_l.has_dyn_sized_stack, 0
	.set _ZN9rocsolver6v33100L18getf2_small_kernelILi9E19rocblas_complex_numIdEiiPS3_EEvT1_T3_lS5_lPS5_llPT2_S5_S5_S7_l.has_recursion, 0
	.set _ZN9rocsolver6v33100L18getf2_small_kernelILi9E19rocblas_complex_numIdEiiPS3_EEvT1_T3_lS5_lPS5_llPT2_S5_S5_S7_l.has_indirect_call, 0
	.section	.AMDGPU.csdata,"",@progbits
; Kernel info:
; codeLenInByte = 12568
; TotalNumSgprs: 20
; NumVgprs: 71
; ScratchSize: 0
; MemoryBound: 0
; FloatMode: 240
; IeeeMode: 1
; LDSByteSize: 0 bytes/workgroup (compile time only)
; SGPRBlocks: 0
; VGPRBlocks: 8
; NumSGPRsForWavesPerEU: 20
; NumVGPRsForWavesPerEU: 71
; Occupancy: 12
; WaveLimiterHint : 0
; COMPUTE_PGM_RSRC2:SCRATCH_EN: 0
; COMPUTE_PGM_RSRC2:USER_SGPR: 6
; COMPUTE_PGM_RSRC2:TRAP_HANDLER: 0
; COMPUTE_PGM_RSRC2:TGID_X_EN: 1
; COMPUTE_PGM_RSRC2:TGID_Y_EN: 1
; COMPUTE_PGM_RSRC2:TGID_Z_EN: 0
; COMPUTE_PGM_RSRC2:TIDIG_COMP_CNT: 1
	.section	.text._ZN9rocsolver6v33100L23getf2_npvt_small_kernelILi9E19rocblas_complex_numIdEiiPS3_EEvT1_T3_lS5_lPT2_S5_S5_,"axG",@progbits,_ZN9rocsolver6v33100L23getf2_npvt_small_kernelILi9E19rocblas_complex_numIdEiiPS3_EEvT1_T3_lS5_lPT2_S5_S5_,comdat
	.globl	_ZN9rocsolver6v33100L23getf2_npvt_small_kernelILi9E19rocblas_complex_numIdEiiPS3_EEvT1_T3_lS5_lPT2_S5_S5_ ; -- Begin function _ZN9rocsolver6v33100L23getf2_npvt_small_kernelILi9E19rocblas_complex_numIdEiiPS3_EEvT1_T3_lS5_lPT2_S5_S5_
	.p2align	8
	.type	_ZN9rocsolver6v33100L23getf2_npvt_small_kernelILi9E19rocblas_complex_numIdEiiPS3_EEvT1_T3_lS5_lPT2_S5_S5_,@function
_ZN9rocsolver6v33100L23getf2_npvt_small_kernelILi9E19rocblas_complex_numIdEiiPS3_EEvT1_T3_lS5_lPT2_S5_S5_: ; @_ZN9rocsolver6v33100L23getf2_npvt_small_kernelILi9E19rocblas_complex_numIdEiiPS3_EEvT1_T3_lS5_lPT2_S5_S5_
; %bb.0:
	s_clause 0x1
	s_load_dword s0, s[4:5], 0x44
	s_load_dwordx2 s[12:13], s[4:5], 0x30
	s_waitcnt lgkmcnt(0)
	s_lshr_b32 s14, s0, 16
	s_mov_b32 s0, exec_lo
	v_mad_u64_u32 v[74:75], null, s7, s14, v[1:2]
	v_cmpx_gt_i32_e64 s12, v74
	s_cbranch_execz .LBB17_86
; %bb.1:
	s_clause 0x2
	s_load_dwordx4 s[8:11], s[4:5], 0x20
	s_load_dword s6, s[4:5], 0x18
	s_load_dwordx4 s[0:3], s[4:5], 0x8
	v_ashrrev_i32_e32 v75, 31, v74
	v_lshlrev_b32_e32 v12, 4, v0
	v_lshlrev_b32_e32 v38, 4, v1
	s_mulk_i32 s14, 0x90
	v_mad_u32_u24 v94, 0x90, v1, 0
	v_add3_u32 v1, 0, s14, v38
	s_waitcnt lgkmcnt(0)
	v_mul_lo_u32 v5, s9, v74
	v_mul_lo_u32 v7, s8, v75
	v_mad_u64_u32 v[2:3], null, s8, v74, 0
	v_add3_u32 v4, s6, s6, v0
	s_lshl_b64 s[2:3], s[2:3], 4
	s_ashr_i32 s7, s6, 31
	s_lshl_b64 s[4:5], s[6:7], 4
	v_add_nc_u32_e32 v6, s6, v4
	v_add3_u32 v3, v3, v7, v5
	v_ashrrev_i32_e32 v5, 31, v4
	v_add_nc_u32_e32 v8, s6, v6
	v_lshlrev_b64 v[2:3], 4, v[2:3]
	v_ashrrev_i32_e32 v7, 31, v6
	v_lshlrev_b64 v[4:5], 4, v[4:5]
	v_add_nc_u32_e32 v10, s6, v8
	v_ashrrev_i32_e32 v9, 31, v8
	v_add_co_u32 v2, vcc_lo, s0, v2
	v_add_co_ci_u32_e64 v3, null, s1, v3, vcc_lo
	v_lshlrev_b64 v[6:7], 4, v[6:7]
	v_add_co_u32 v26, vcc_lo, v2, s2
	v_add_co_ci_u32_e64 v27, null, s3, v3, vcc_lo
	v_add_nc_u32_e32 v16, s6, v10
	v_add_co_u32 v80, vcc_lo, v26, v12
	v_lshlrev_b64 v[14:15], 4, v[8:9]
	v_add_co_ci_u32_e64 v81, null, 0, v27, vcc_lo
	v_add_co_u32 v78, vcc_lo, v26, v4
	v_add_co_ci_u32_e64 v79, null, v27, v5, vcc_lo
	v_add_co_u32 v76, vcc_lo, v26, v6
	v_ashrrev_i32_e32 v11, 31, v10
	v_ashrrev_i32_e32 v17, 31, v16
	v_add_nc_u32_e32 v24, s6, v16
	v_add_co_ci_u32_e64 v77, null, v27, v7, vcc_lo
	v_add_co_u32 v82, vcc_lo, v80, s4
	v_add_co_ci_u32_e64 v83, null, s5, v81, vcc_lo
	v_add_co_u32 v84, vcc_lo, v26, v14
	v_lshlrev_b64 v[22:23], 4, v[10:11]
	v_add_co_ci_u32_e64 v85, null, v27, v15, vcc_lo
	v_lshlrev_b64 v[14:15], 4, v[16:17]
	v_add_nc_u32_e32 v16, s6, v24
	v_ashrrev_i32_e32 v25, 31, v24
	v_add_co_u32 v92, vcc_lo, v26, v22
	v_add_co_ci_u32_e64 v93, null, v27, v23, vcc_lo
	v_ashrrev_i32_e32 v17, 31, v16
	v_lshlrev_b64 v[22:23], 4, v[24:25]
	v_add_co_u32 v88, vcc_lo, v26, v14
	v_add_co_ci_u32_e64 v89, null, v27, v15, vcc_lo
	v_lshlrev_b64 v[14:15], 4, v[16:17]
	v_add_co_u32 v90, vcc_lo, v26, v22
	v_add_co_ci_u32_e64 v91, null, v27, v23, vcc_lo
	s_clause 0x3
	global_load_dwordx4 v[6:9], v[78:79], off
	global_load_dwordx4 v[2:5], v[76:77], off
	global_load_dwordx4 v[18:21], v[80:81], off
	global_load_dwordx4 v[10:13], v[82:83], off
	v_add_co_u32 v86, vcc_lo, v26, v14
	v_add_co_ci_u32_e64 v87, null, v27, v15, vcc_lo
	s_clause 0x4
	global_load_dwordx4 v[34:37], v[84:85], off
	global_load_dwordx4 v[30:33], v[92:93], off
	;; [unrolled: 1-line block ×5, first 2 shown]
	v_cmp_ne_u32_e64 s1, 0, v0
	v_cmp_eq_u32_e64 s0, 0, v0
	s_and_saveexec_b32 s3, s0
	s_cbranch_execz .LBB17_8
; %bb.2:
	s_waitcnt vmcnt(6)
	ds_write2_b64 v1, v[18:19], v[20:21] offset1:1
	s_waitcnt vmcnt(5)
	ds_write2_b64 v94, v[10:11], v[12:13] offset0:2 offset1:3
	ds_write2_b64 v94, v[6:7], v[8:9] offset0:4 offset1:5
	;; [unrolled: 1-line block ×3, first 2 shown]
	s_waitcnt vmcnt(4)
	ds_write2_b64 v94, v[34:35], v[36:37] offset0:8 offset1:9
	s_waitcnt vmcnt(3)
	ds_write2_b64 v94, v[30:31], v[32:33] offset0:10 offset1:11
	;; [unrolled: 2-line block ×5, first 2 shown]
	ds_read2_b64 v[38:41], v1 offset1:1
	s_waitcnt lgkmcnt(0)
	v_cmp_neq_f64_e32 vcc_lo, 0, v[38:39]
	v_cmp_neq_f64_e64 s2, 0, v[40:41]
	s_or_b32 s2, vcc_lo, s2
	s_and_b32 exec_lo, exec_lo, s2
	s_cbranch_execz .LBB17_8
; %bb.3:
	v_cmp_ngt_f64_e64 s2, |v[38:39]|, |v[40:41]|
                                        ; implicit-def: $vgpr42_vgpr43
	s_and_saveexec_b32 s4, s2
	s_xor_b32 s2, exec_lo, s4
                                        ; implicit-def: $vgpr44_vgpr45
	s_cbranch_execz .LBB17_5
; %bb.4:
	v_div_scale_f64 v[42:43], null, v[40:41], v[40:41], v[38:39]
	v_div_scale_f64 v[48:49], vcc_lo, v[38:39], v[40:41], v[38:39]
	v_rcp_f64_e32 v[44:45], v[42:43]
	v_fma_f64 v[46:47], -v[42:43], v[44:45], 1.0
	v_fma_f64 v[44:45], v[44:45], v[46:47], v[44:45]
	v_fma_f64 v[46:47], -v[42:43], v[44:45], 1.0
	v_fma_f64 v[44:45], v[44:45], v[46:47], v[44:45]
	v_mul_f64 v[46:47], v[48:49], v[44:45]
	v_fma_f64 v[42:43], -v[42:43], v[46:47], v[48:49]
	v_div_fmas_f64 v[42:43], v[42:43], v[44:45], v[46:47]
	v_div_fixup_f64 v[42:43], v[42:43], v[40:41], v[38:39]
	v_fma_f64 v[38:39], v[38:39], v[42:43], v[40:41]
	v_div_scale_f64 v[40:41], null, v[38:39], v[38:39], 1.0
	v_rcp_f64_e32 v[44:45], v[40:41]
	v_fma_f64 v[46:47], -v[40:41], v[44:45], 1.0
	v_fma_f64 v[44:45], v[44:45], v[46:47], v[44:45]
	v_fma_f64 v[46:47], -v[40:41], v[44:45], 1.0
	v_fma_f64 v[44:45], v[44:45], v[46:47], v[44:45]
	v_div_scale_f64 v[46:47], vcc_lo, 1.0, v[38:39], 1.0
	v_mul_f64 v[48:49], v[46:47], v[44:45]
	v_fma_f64 v[40:41], -v[40:41], v[48:49], v[46:47]
	v_div_fmas_f64 v[40:41], v[40:41], v[44:45], v[48:49]
	v_div_fixup_f64 v[44:45], v[40:41], v[38:39], 1.0
                                        ; implicit-def: $vgpr38_vgpr39
	v_mul_f64 v[42:43], v[42:43], v[44:45]
	v_xor_b32_e32 v45, 0x80000000, v45
.LBB17_5:
	s_andn2_saveexec_b32 s2, s2
	s_cbranch_execz .LBB17_7
; %bb.6:
	v_div_scale_f64 v[42:43], null, v[38:39], v[38:39], v[40:41]
	v_div_scale_f64 v[48:49], vcc_lo, v[40:41], v[38:39], v[40:41]
	v_rcp_f64_e32 v[44:45], v[42:43]
	v_fma_f64 v[46:47], -v[42:43], v[44:45], 1.0
	v_fma_f64 v[44:45], v[44:45], v[46:47], v[44:45]
	v_fma_f64 v[46:47], -v[42:43], v[44:45], 1.0
	v_fma_f64 v[44:45], v[44:45], v[46:47], v[44:45]
	v_mul_f64 v[46:47], v[48:49], v[44:45]
	v_fma_f64 v[42:43], -v[42:43], v[46:47], v[48:49]
	v_div_fmas_f64 v[42:43], v[42:43], v[44:45], v[46:47]
	v_div_fixup_f64 v[44:45], v[42:43], v[38:39], v[40:41]
	v_fma_f64 v[38:39], v[40:41], v[44:45], v[38:39]
	v_div_scale_f64 v[40:41], null, v[38:39], v[38:39], 1.0
	v_rcp_f64_e32 v[42:43], v[40:41]
	v_fma_f64 v[46:47], -v[40:41], v[42:43], 1.0
	v_fma_f64 v[42:43], v[42:43], v[46:47], v[42:43]
	v_fma_f64 v[46:47], -v[40:41], v[42:43], 1.0
	v_fma_f64 v[42:43], v[42:43], v[46:47], v[42:43]
	v_div_scale_f64 v[46:47], vcc_lo, 1.0, v[38:39], 1.0
	v_mul_f64 v[48:49], v[46:47], v[42:43]
	v_fma_f64 v[40:41], -v[40:41], v[48:49], v[46:47]
	v_div_fmas_f64 v[40:41], v[40:41], v[42:43], v[48:49]
	v_div_fixup_f64 v[42:43], v[40:41], v[38:39], 1.0
	v_mul_f64 v[44:45], v[44:45], -v[42:43]
.LBB17_7:
	s_or_b32 exec_lo, exec_lo, s2
	ds_write2_b64 v1, v[42:43], v[44:45] offset1:1
.LBB17_8:
	s_or_b32 exec_lo, exec_lo, s3
	s_waitcnt vmcnt(0) lgkmcnt(0)
	s_barrier
	buffer_gl0_inv
	ds_read2_b64 v[38:41], v1 offset1:1
	s_and_saveexec_b32 s2, s1
	s_cbranch_execz .LBB17_10
; %bb.9:
	s_waitcnt lgkmcnt(0)
	v_mul_f64 v[42:43], v[38:39], v[20:21]
	v_mul_f64 v[20:21], v[40:41], v[20:21]
	v_fma_f64 v[46:47], v[40:41], v[18:19], v[42:43]
	ds_read2_b64 v[42:45], v94 offset0:2 offset1:3
	v_fma_f64 v[18:19], v[38:39], v[18:19], -v[20:21]
	s_waitcnt lgkmcnt(0)
	v_mul_f64 v[20:21], v[44:45], v[46:47]
	v_fma_f64 v[20:21], v[42:43], v[18:19], -v[20:21]
	v_mul_f64 v[42:43], v[42:43], v[46:47]
	v_add_f64 v[10:11], v[10:11], -v[20:21]
	v_fma_f64 v[42:43], v[44:45], v[18:19], v[42:43]
	v_add_f64 v[12:13], v[12:13], -v[42:43]
	ds_read2_b64 v[42:45], v94 offset0:4 offset1:5
	s_waitcnt lgkmcnt(0)
	v_mul_f64 v[20:21], v[44:45], v[46:47]
	v_fma_f64 v[20:21], v[42:43], v[18:19], -v[20:21]
	v_mul_f64 v[42:43], v[42:43], v[46:47]
	v_add_f64 v[6:7], v[6:7], -v[20:21]
	v_fma_f64 v[42:43], v[44:45], v[18:19], v[42:43]
	v_add_f64 v[8:9], v[8:9], -v[42:43]
	ds_read2_b64 v[42:45], v94 offset0:6 offset1:7
	;; [unrolled: 8-line block ×7, first 2 shown]
	s_waitcnt lgkmcnt(0)
	v_mul_f64 v[20:21], v[44:45], v[46:47]
	v_fma_f64 v[20:21], v[42:43], v[18:19], -v[20:21]
	v_mul_f64 v[42:43], v[42:43], v[46:47]
	v_add_f64 v[14:15], v[14:15], -v[20:21]
	v_fma_f64 v[42:43], v[44:45], v[18:19], v[42:43]
	v_mov_b32_e32 v20, v46
	v_mov_b32_e32 v21, v47
	v_add_f64 v[16:17], v[16:17], -v[42:43]
.LBB17_10:
	s_or_b32 exec_lo, exec_lo, s2
	s_mov_b32 s2, exec_lo
	s_waitcnt lgkmcnt(0)
	s_barrier
	buffer_gl0_inv
	v_cmpx_eq_u32_e32 1, v0
	s_cbranch_execz .LBB17_17
; %bb.11:
	ds_write2_b64 v1, v[10:11], v[12:13] offset1:1
	ds_write2_b64 v94, v[6:7], v[8:9] offset0:4 offset1:5
	ds_write2_b64 v94, v[2:3], v[4:5] offset0:6 offset1:7
	;; [unrolled: 1-line block ×7, first 2 shown]
	ds_read2_b64 v[42:45], v1 offset1:1
	s_waitcnt lgkmcnt(0)
	v_cmp_neq_f64_e32 vcc_lo, 0, v[42:43]
	v_cmp_neq_f64_e64 s1, 0, v[44:45]
	s_or_b32 s1, vcc_lo, s1
	s_and_b32 exec_lo, exec_lo, s1
	s_cbranch_execz .LBB17_17
; %bb.12:
	v_cmp_ngt_f64_e64 s1, |v[42:43]|, |v[44:45]|
                                        ; implicit-def: $vgpr46_vgpr47
	s_and_saveexec_b32 s3, s1
	s_xor_b32 s1, exec_lo, s3
                                        ; implicit-def: $vgpr48_vgpr49
	s_cbranch_execz .LBB17_14
; %bb.13:
	v_div_scale_f64 v[46:47], null, v[44:45], v[44:45], v[42:43]
	v_div_scale_f64 v[52:53], vcc_lo, v[42:43], v[44:45], v[42:43]
	v_rcp_f64_e32 v[48:49], v[46:47]
	v_fma_f64 v[50:51], -v[46:47], v[48:49], 1.0
	v_fma_f64 v[48:49], v[48:49], v[50:51], v[48:49]
	v_fma_f64 v[50:51], -v[46:47], v[48:49], 1.0
	v_fma_f64 v[48:49], v[48:49], v[50:51], v[48:49]
	v_mul_f64 v[50:51], v[52:53], v[48:49]
	v_fma_f64 v[46:47], -v[46:47], v[50:51], v[52:53]
	v_div_fmas_f64 v[46:47], v[46:47], v[48:49], v[50:51]
	v_div_fixup_f64 v[46:47], v[46:47], v[44:45], v[42:43]
	v_fma_f64 v[42:43], v[42:43], v[46:47], v[44:45]
	v_div_scale_f64 v[44:45], null, v[42:43], v[42:43], 1.0
	v_rcp_f64_e32 v[48:49], v[44:45]
	v_fma_f64 v[50:51], -v[44:45], v[48:49], 1.0
	v_fma_f64 v[48:49], v[48:49], v[50:51], v[48:49]
	v_fma_f64 v[50:51], -v[44:45], v[48:49], 1.0
	v_fma_f64 v[48:49], v[48:49], v[50:51], v[48:49]
	v_div_scale_f64 v[50:51], vcc_lo, 1.0, v[42:43], 1.0
	v_mul_f64 v[52:53], v[50:51], v[48:49]
	v_fma_f64 v[44:45], -v[44:45], v[52:53], v[50:51]
	v_div_fmas_f64 v[44:45], v[44:45], v[48:49], v[52:53]
	v_div_fixup_f64 v[48:49], v[44:45], v[42:43], 1.0
                                        ; implicit-def: $vgpr42_vgpr43
	v_mul_f64 v[46:47], v[46:47], v[48:49]
	v_xor_b32_e32 v49, 0x80000000, v49
.LBB17_14:
	s_andn2_saveexec_b32 s1, s1
	s_cbranch_execz .LBB17_16
; %bb.15:
	v_div_scale_f64 v[46:47], null, v[42:43], v[42:43], v[44:45]
	v_div_scale_f64 v[52:53], vcc_lo, v[44:45], v[42:43], v[44:45]
	v_rcp_f64_e32 v[48:49], v[46:47]
	v_fma_f64 v[50:51], -v[46:47], v[48:49], 1.0
	v_fma_f64 v[48:49], v[48:49], v[50:51], v[48:49]
	v_fma_f64 v[50:51], -v[46:47], v[48:49], 1.0
	v_fma_f64 v[48:49], v[48:49], v[50:51], v[48:49]
	v_mul_f64 v[50:51], v[52:53], v[48:49]
	v_fma_f64 v[46:47], -v[46:47], v[50:51], v[52:53]
	v_div_fmas_f64 v[46:47], v[46:47], v[48:49], v[50:51]
	v_div_fixup_f64 v[48:49], v[46:47], v[42:43], v[44:45]
	v_fma_f64 v[42:43], v[44:45], v[48:49], v[42:43]
	v_div_scale_f64 v[44:45], null, v[42:43], v[42:43], 1.0
	v_rcp_f64_e32 v[46:47], v[44:45]
	v_fma_f64 v[50:51], -v[44:45], v[46:47], 1.0
	v_fma_f64 v[46:47], v[46:47], v[50:51], v[46:47]
	v_fma_f64 v[50:51], -v[44:45], v[46:47], 1.0
	v_fma_f64 v[46:47], v[46:47], v[50:51], v[46:47]
	v_div_scale_f64 v[50:51], vcc_lo, 1.0, v[42:43], 1.0
	v_mul_f64 v[52:53], v[50:51], v[46:47]
	v_fma_f64 v[44:45], -v[44:45], v[52:53], v[50:51]
	v_div_fmas_f64 v[44:45], v[44:45], v[46:47], v[52:53]
	v_div_fixup_f64 v[46:47], v[44:45], v[42:43], 1.0
	v_mul_f64 v[48:49], v[48:49], -v[46:47]
.LBB17_16:
	s_or_b32 exec_lo, exec_lo, s1
	ds_write2_b64 v1, v[46:47], v[48:49] offset1:1
.LBB17_17:
	s_or_b32 exec_lo, exec_lo, s2
	s_waitcnt lgkmcnt(0)
	s_barrier
	buffer_gl0_inv
	ds_read2_b64 v[42:45], v1 offset1:1
	s_mov_b32 s1, exec_lo
	v_cmpx_lt_u32_e32 1, v0
	s_cbranch_execz .LBB17_19
; %bb.18:
	s_waitcnt lgkmcnt(0)
	v_mul_f64 v[46:47], v[42:43], v[12:13]
	v_mul_f64 v[12:13], v[44:45], v[12:13]
	v_fma_f64 v[50:51], v[44:45], v[10:11], v[46:47]
	ds_read2_b64 v[46:49], v94 offset0:4 offset1:5
	v_fma_f64 v[10:11], v[42:43], v[10:11], -v[12:13]
	s_waitcnt lgkmcnt(0)
	v_mul_f64 v[12:13], v[48:49], v[50:51]
	v_fma_f64 v[12:13], v[46:47], v[10:11], -v[12:13]
	v_mul_f64 v[46:47], v[46:47], v[50:51]
	v_add_f64 v[6:7], v[6:7], -v[12:13]
	v_fma_f64 v[46:47], v[48:49], v[10:11], v[46:47]
	v_add_f64 v[8:9], v[8:9], -v[46:47]
	ds_read2_b64 v[46:49], v94 offset0:6 offset1:7
	s_waitcnt lgkmcnt(0)
	v_mul_f64 v[12:13], v[48:49], v[50:51]
	v_fma_f64 v[12:13], v[46:47], v[10:11], -v[12:13]
	v_mul_f64 v[46:47], v[46:47], v[50:51]
	v_add_f64 v[2:3], v[2:3], -v[12:13]
	v_fma_f64 v[46:47], v[48:49], v[10:11], v[46:47]
	v_add_f64 v[4:5], v[4:5], -v[46:47]
	ds_read2_b64 v[46:49], v94 offset0:8 offset1:9
	;; [unrolled: 8-line block ×6, first 2 shown]
	s_waitcnt lgkmcnt(0)
	v_mul_f64 v[12:13], v[48:49], v[50:51]
	v_fma_f64 v[12:13], v[46:47], v[10:11], -v[12:13]
	v_mul_f64 v[46:47], v[46:47], v[50:51]
	v_add_f64 v[14:15], v[14:15], -v[12:13]
	v_fma_f64 v[46:47], v[48:49], v[10:11], v[46:47]
	v_mov_b32_e32 v12, v50
	v_mov_b32_e32 v13, v51
	v_add_f64 v[16:17], v[16:17], -v[46:47]
.LBB17_19:
	s_or_b32 exec_lo, exec_lo, s1
	s_mov_b32 s2, exec_lo
	s_waitcnt lgkmcnt(0)
	s_barrier
	buffer_gl0_inv
	v_cmpx_eq_u32_e32 2, v0
	s_cbranch_execz .LBB17_26
; %bb.20:
	ds_write2_b64 v1, v[6:7], v[8:9] offset1:1
	ds_write2_b64 v94, v[2:3], v[4:5] offset0:6 offset1:7
	ds_write2_b64 v94, v[34:35], v[36:37] offset0:8 offset1:9
	;; [unrolled: 1-line block ×6, first 2 shown]
	ds_read2_b64 v[46:49], v1 offset1:1
	s_waitcnt lgkmcnt(0)
	v_cmp_neq_f64_e32 vcc_lo, 0, v[46:47]
	v_cmp_neq_f64_e64 s1, 0, v[48:49]
	s_or_b32 s1, vcc_lo, s1
	s_and_b32 exec_lo, exec_lo, s1
	s_cbranch_execz .LBB17_26
; %bb.21:
	v_cmp_ngt_f64_e64 s1, |v[46:47]|, |v[48:49]|
                                        ; implicit-def: $vgpr50_vgpr51
	s_and_saveexec_b32 s3, s1
	s_xor_b32 s1, exec_lo, s3
                                        ; implicit-def: $vgpr52_vgpr53
	s_cbranch_execz .LBB17_23
; %bb.22:
	v_div_scale_f64 v[50:51], null, v[48:49], v[48:49], v[46:47]
	v_div_scale_f64 v[56:57], vcc_lo, v[46:47], v[48:49], v[46:47]
	v_rcp_f64_e32 v[52:53], v[50:51]
	v_fma_f64 v[54:55], -v[50:51], v[52:53], 1.0
	v_fma_f64 v[52:53], v[52:53], v[54:55], v[52:53]
	v_fma_f64 v[54:55], -v[50:51], v[52:53], 1.0
	v_fma_f64 v[52:53], v[52:53], v[54:55], v[52:53]
	v_mul_f64 v[54:55], v[56:57], v[52:53]
	v_fma_f64 v[50:51], -v[50:51], v[54:55], v[56:57]
	v_div_fmas_f64 v[50:51], v[50:51], v[52:53], v[54:55]
	v_div_fixup_f64 v[50:51], v[50:51], v[48:49], v[46:47]
	v_fma_f64 v[46:47], v[46:47], v[50:51], v[48:49]
	v_div_scale_f64 v[48:49], null, v[46:47], v[46:47], 1.0
	v_rcp_f64_e32 v[52:53], v[48:49]
	v_fma_f64 v[54:55], -v[48:49], v[52:53], 1.0
	v_fma_f64 v[52:53], v[52:53], v[54:55], v[52:53]
	v_fma_f64 v[54:55], -v[48:49], v[52:53], 1.0
	v_fma_f64 v[52:53], v[52:53], v[54:55], v[52:53]
	v_div_scale_f64 v[54:55], vcc_lo, 1.0, v[46:47], 1.0
	v_mul_f64 v[56:57], v[54:55], v[52:53]
	v_fma_f64 v[48:49], -v[48:49], v[56:57], v[54:55]
	v_div_fmas_f64 v[48:49], v[48:49], v[52:53], v[56:57]
	v_div_fixup_f64 v[52:53], v[48:49], v[46:47], 1.0
                                        ; implicit-def: $vgpr46_vgpr47
	v_mul_f64 v[50:51], v[50:51], v[52:53]
	v_xor_b32_e32 v53, 0x80000000, v53
.LBB17_23:
	s_andn2_saveexec_b32 s1, s1
	s_cbranch_execz .LBB17_25
; %bb.24:
	v_div_scale_f64 v[50:51], null, v[46:47], v[46:47], v[48:49]
	v_div_scale_f64 v[56:57], vcc_lo, v[48:49], v[46:47], v[48:49]
	v_rcp_f64_e32 v[52:53], v[50:51]
	v_fma_f64 v[54:55], -v[50:51], v[52:53], 1.0
	v_fma_f64 v[52:53], v[52:53], v[54:55], v[52:53]
	v_fma_f64 v[54:55], -v[50:51], v[52:53], 1.0
	v_fma_f64 v[52:53], v[52:53], v[54:55], v[52:53]
	v_mul_f64 v[54:55], v[56:57], v[52:53]
	v_fma_f64 v[50:51], -v[50:51], v[54:55], v[56:57]
	v_div_fmas_f64 v[50:51], v[50:51], v[52:53], v[54:55]
	v_div_fixup_f64 v[52:53], v[50:51], v[46:47], v[48:49]
	v_fma_f64 v[46:47], v[48:49], v[52:53], v[46:47]
	v_div_scale_f64 v[48:49], null, v[46:47], v[46:47], 1.0
	v_rcp_f64_e32 v[50:51], v[48:49]
	v_fma_f64 v[54:55], -v[48:49], v[50:51], 1.0
	v_fma_f64 v[50:51], v[50:51], v[54:55], v[50:51]
	v_fma_f64 v[54:55], -v[48:49], v[50:51], 1.0
	v_fma_f64 v[50:51], v[50:51], v[54:55], v[50:51]
	v_div_scale_f64 v[54:55], vcc_lo, 1.0, v[46:47], 1.0
	v_mul_f64 v[56:57], v[54:55], v[50:51]
	v_fma_f64 v[48:49], -v[48:49], v[56:57], v[54:55]
	v_div_fmas_f64 v[48:49], v[48:49], v[50:51], v[56:57]
	v_div_fixup_f64 v[50:51], v[48:49], v[46:47], 1.0
	v_mul_f64 v[52:53], v[52:53], -v[50:51]
.LBB17_25:
	s_or_b32 exec_lo, exec_lo, s1
	ds_write2_b64 v1, v[50:51], v[52:53] offset1:1
.LBB17_26:
	s_or_b32 exec_lo, exec_lo, s2
	s_waitcnt lgkmcnt(0)
	s_barrier
	buffer_gl0_inv
	ds_read2_b64 v[46:49], v1 offset1:1
	s_mov_b32 s1, exec_lo
	v_cmpx_lt_u32_e32 2, v0
	s_cbranch_execz .LBB17_28
; %bb.27:
	s_waitcnt lgkmcnt(0)
	v_mul_f64 v[50:51], v[46:47], v[8:9]
	v_mul_f64 v[8:9], v[48:49], v[8:9]
	v_fma_f64 v[54:55], v[48:49], v[6:7], v[50:51]
	ds_read2_b64 v[50:53], v94 offset0:6 offset1:7
	v_fma_f64 v[6:7], v[46:47], v[6:7], -v[8:9]
	s_waitcnt lgkmcnt(0)
	v_mul_f64 v[8:9], v[52:53], v[54:55]
	v_fma_f64 v[8:9], v[50:51], v[6:7], -v[8:9]
	v_mul_f64 v[50:51], v[50:51], v[54:55]
	v_add_f64 v[2:3], v[2:3], -v[8:9]
	v_fma_f64 v[50:51], v[52:53], v[6:7], v[50:51]
	v_add_f64 v[4:5], v[4:5], -v[50:51]
	ds_read2_b64 v[50:53], v94 offset0:8 offset1:9
	s_waitcnt lgkmcnt(0)
	v_mul_f64 v[8:9], v[52:53], v[54:55]
	v_fma_f64 v[8:9], v[50:51], v[6:7], -v[8:9]
	v_mul_f64 v[50:51], v[50:51], v[54:55]
	v_add_f64 v[34:35], v[34:35], -v[8:9]
	v_fma_f64 v[50:51], v[52:53], v[6:7], v[50:51]
	v_add_f64 v[36:37], v[36:37], -v[50:51]
	ds_read2_b64 v[50:53], v94 offset0:10 offset1:11
	;; [unrolled: 8-line block ×5, first 2 shown]
	s_waitcnt lgkmcnt(0)
	v_mul_f64 v[8:9], v[52:53], v[54:55]
	v_fma_f64 v[8:9], v[50:51], v[6:7], -v[8:9]
	v_mul_f64 v[50:51], v[50:51], v[54:55]
	v_add_f64 v[14:15], v[14:15], -v[8:9]
	v_fma_f64 v[50:51], v[52:53], v[6:7], v[50:51]
	v_mov_b32_e32 v8, v54
	v_mov_b32_e32 v9, v55
	v_add_f64 v[16:17], v[16:17], -v[50:51]
.LBB17_28:
	s_or_b32 exec_lo, exec_lo, s1
	s_mov_b32 s2, exec_lo
	s_waitcnt lgkmcnt(0)
	s_barrier
	buffer_gl0_inv
	v_cmpx_eq_u32_e32 3, v0
	s_cbranch_execz .LBB17_35
; %bb.29:
	ds_write2_b64 v1, v[2:3], v[4:5] offset1:1
	ds_write2_b64 v94, v[34:35], v[36:37] offset0:8 offset1:9
	ds_write2_b64 v94, v[30:31], v[32:33] offset0:10 offset1:11
	;; [unrolled: 1-line block ×5, first 2 shown]
	ds_read2_b64 v[50:53], v1 offset1:1
	s_waitcnt lgkmcnt(0)
	v_cmp_neq_f64_e32 vcc_lo, 0, v[50:51]
	v_cmp_neq_f64_e64 s1, 0, v[52:53]
	s_or_b32 s1, vcc_lo, s1
	s_and_b32 exec_lo, exec_lo, s1
	s_cbranch_execz .LBB17_35
; %bb.30:
	v_cmp_ngt_f64_e64 s1, |v[50:51]|, |v[52:53]|
                                        ; implicit-def: $vgpr54_vgpr55
	s_and_saveexec_b32 s3, s1
	s_xor_b32 s1, exec_lo, s3
                                        ; implicit-def: $vgpr56_vgpr57
	s_cbranch_execz .LBB17_32
; %bb.31:
	v_div_scale_f64 v[54:55], null, v[52:53], v[52:53], v[50:51]
	v_div_scale_f64 v[60:61], vcc_lo, v[50:51], v[52:53], v[50:51]
	v_rcp_f64_e32 v[56:57], v[54:55]
	v_fma_f64 v[58:59], -v[54:55], v[56:57], 1.0
	v_fma_f64 v[56:57], v[56:57], v[58:59], v[56:57]
	v_fma_f64 v[58:59], -v[54:55], v[56:57], 1.0
	v_fma_f64 v[56:57], v[56:57], v[58:59], v[56:57]
	v_mul_f64 v[58:59], v[60:61], v[56:57]
	v_fma_f64 v[54:55], -v[54:55], v[58:59], v[60:61]
	v_div_fmas_f64 v[54:55], v[54:55], v[56:57], v[58:59]
	v_div_fixup_f64 v[54:55], v[54:55], v[52:53], v[50:51]
	v_fma_f64 v[50:51], v[50:51], v[54:55], v[52:53]
	v_div_scale_f64 v[52:53], null, v[50:51], v[50:51], 1.0
	v_rcp_f64_e32 v[56:57], v[52:53]
	v_fma_f64 v[58:59], -v[52:53], v[56:57], 1.0
	v_fma_f64 v[56:57], v[56:57], v[58:59], v[56:57]
	v_fma_f64 v[58:59], -v[52:53], v[56:57], 1.0
	v_fma_f64 v[56:57], v[56:57], v[58:59], v[56:57]
	v_div_scale_f64 v[58:59], vcc_lo, 1.0, v[50:51], 1.0
	v_mul_f64 v[60:61], v[58:59], v[56:57]
	v_fma_f64 v[52:53], -v[52:53], v[60:61], v[58:59]
	v_div_fmas_f64 v[52:53], v[52:53], v[56:57], v[60:61]
	v_div_fixup_f64 v[56:57], v[52:53], v[50:51], 1.0
                                        ; implicit-def: $vgpr50_vgpr51
	v_mul_f64 v[54:55], v[54:55], v[56:57]
	v_xor_b32_e32 v57, 0x80000000, v57
.LBB17_32:
	s_andn2_saveexec_b32 s1, s1
	s_cbranch_execz .LBB17_34
; %bb.33:
	v_div_scale_f64 v[54:55], null, v[50:51], v[50:51], v[52:53]
	v_div_scale_f64 v[60:61], vcc_lo, v[52:53], v[50:51], v[52:53]
	v_rcp_f64_e32 v[56:57], v[54:55]
	v_fma_f64 v[58:59], -v[54:55], v[56:57], 1.0
	v_fma_f64 v[56:57], v[56:57], v[58:59], v[56:57]
	v_fma_f64 v[58:59], -v[54:55], v[56:57], 1.0
	v_fma_f64 v[56:57], v[56:57], v[58:59], v[56:57]
	v_mul_f64 v[58:59], v[60:61], v[56:57]
	v_fma_f64 v[54:55], -v[54:55], v[58:59], v[60:61]
	v_div_fmas_f64 v[54:55], v[54:55], v[56:57], v[58:59]
	v_div_fixup_f64 v[56:57], v[54:55], v[50:51], v[52:53]
	v_fma_f64 v[50:51], v[52:53], v[56:57], v[50:51]
	v_div_scale_f64 v[52:53], null, v[50:51], v[50:51], 1.0
	v_rcp_f64_e32 v[54:55], v[52:53]
	v_fma_f64 v[58:59], -v[52:53], v[54:55], 1.0
	v_fma_f64 v[54:55], v[54:55], v[58:59], v[54:55]
	v_fma_f64 v[58:59], -v[52:53], v[54:55], 1.0
	v_fma_f64 v[54:55], v[54:55], v[58:59], v[54:55]
	v_div_scale_f64 v[58:59], vcc_lo, 1.0, v[50:51], 1.0
	v_mul_f64 v[60:61], v[58:59], v[54:55]
	v_fma_f64 v[52:53], -v[52:53], v[60:61], v[58:59]
	v_div_fmas_f64 v[52:53], v[52:53], v[54:55], v[60:61]
	v_div_fixup_f64 v[54:55], v[52:53], v[50:51], 1.0
	v_mul_f64 v[56:57], v[56:57], -v[54:55]
.LBB17_34:
	s_or_b32 exec_lo, exec_lo, s1
	ds_write2_b64 v1, v[54:55], v[56:57] offset1:1
.LBB17_35:
	s_or_b32 exec_lo, exec_lo, s2
	s_waitcnt lgkmcnt(0)
	s_barrier
	buffer_gl0_inv
	ds_read2_b64 v[50:53], v1 offset1:1
	s_mov_b32 s1, exec_lo
	v_cmpx_lt_u32_e32 3, v0
	s_cbranch_execz .LBB17_37
; %bb.36:
	s_waitcnt lgkmcnt(0)
	v_mul_f64 v[54:55], v[50:51], v[4:5]
	v_mul_f64 v[4:5], v[52:53], v[4:5]
	v_fma_f64 v[58:59], v[52:53], v[2:3], v[54:55]
	ds_read2_b64 v[54:57], v94 offset0:8 offset1:9
	v_fma_f64 v[2:3], v[50:51], v[2:3], -v[4:5]
	s_waitcnt lgkmcnt(0)
	v_mul_f64 v[4:5], v[56:57], v[58:59]
	v_fma_f64 v[4:5], v[54:55], v[2:3], -v[4:5]
	v_mul_f64 v[54:55], v[54:55], v[58:59]
	v_add_f64 v[34:35], v[34:35], -v[4:5]
	v_fma_f64 v[54:55], v[56:57], v[2:3], v[54:55]
	v_add_f64 v[36:37], v[36:37], -v[54:55]
	ds_read2_b64 v[54:57], v94 offset0:10 offset1:11
	s_waitcnt lgkmcnt(0)
	v_mul_f64 v[4:5], v[56:57], v[58:59]
	v_fma_f64 v[4:5], v[54:55], v[2:3], -v[4:5]
	v_mul_f64 v[54:55], v[54:55], v[58:59]
	v_add_f64 v[30:31], v[30:31], -v[4:5]
	v_fma_f64 v[54:55], v[56:57], v[2:3], v[54:55]
	v_add_f64 v[32:33], v[32:33], -v[54:55]
	ds_read2_b64 v[54:57], v94 offset0:12 offset1:13
	s_waitcnt lgkmcnt(0)
	v_mul_f64 v[4:5], v[56:57], v[58:59]
	v_fma_f64 v[4:5], v[54:55], v[2:3], -v[4:5]
	v_mul_f64 v[54:55], v[54:55], v[58:59]
	v_add_f64 v[26:27], v[26:27], -v[4:5]
	v_fma_f64 v[54:55], v[56:57], v[2:3], v[54:55]
	v_add_f64 v[28:29], v[28:29], -v[54:55]
	ds_read2_b64 v[54:57], v94 offset0:14 offset1:15
	s_waitcnt lgkmcnt(0)
	v_mul_f64 v[4:5], v[56:57], v[58:59]
	v_fma_f64 v[4:5], v[54:55], v[2:3], -v[4:5]
	v_mul_f64 v[54:55], v[54:55], v[58:59]
	v_add_f64 v[22:23], v[22:23], -v[4:5]
	v_fma_f64 v[54:55], v[56:57], v[2:3], v[54:55]
	v_add_f64 v[24:25], v[24:25], -v[54:55]
	ds_read2_b64 v[54:57], v94 offset0:16 offset1:17
	s_waitcnt lgkmcnt(0)
	v_mul_f64 v[4:5], v[56:57], v[58:59]
	v_fma_f64 v[4:5], v[54:55], v[2:3], -v[4:5]
	v_mul_f64 v[54:55], v[54:55], v[58:59]
	v_add_f64 v[14:15], v[14:15], -v[4:5]
	v_fma_f64 v[54:55], v[56:57], v[2:3], v[54:55]
	v_mov_b32_e32 v4, v58
	v_mov_b32_e32 v5, v59
	v_add_f64 v[16:17], v[16:17], -v[54:55]
.LBB17_37:
	s_or_b32 exec_lo, exec_lo, s1
	s_mov_b32 s2, exec_lo
	s_waitcnt lgkmcnt(0)
	s_barrier
	buffer_gl0_inv
	v_cmpx_eq_u32_e32 4, v0
	s_cbranch_execz .LBB17_44
; %bb.38:
	ds_write2_b64 v1, v[34:35], v[36:37] offset1:1
	ds_write2_b64 v94, v[30:31], v[32:33] offset0:10 offset1:11
	ds_write2_b64 v94, v[26:27], v[28:29] offset0:12 offset1:13
	;; [unrolled: 1-line block ×4, first 2 shown]
	ds_read2_b64 v[54:57], v1 offset1:1
	s_waitcnt lgkmcnt(0)
	v_cmp_neq_f64_e32 vcc_lo, 0, v[54:55]
	v_cmp_neq_f64_e64 s1, 0, v[56:57]
	s_or_b32 s1, vcc_lo, s1
	s_and_b32 exec_lo, exec_lo, s1
	s_cbranch_execz .LBB17_44
; %bb.39:
	v_cmp_ngt_f64_e64 s1, |v[54:55]|, |v[56:57]|
                                        ; implicit-def: $vgpr58_vgpr59
	s_and_saveexec_b32 s3, s1
	s_xor_b32 s1, exec_lo, s3
                                        ; implicit-def: $vgpr60_vgpr61
	s_cbranch_execz .LBB17_41
; %bb.40:
	v_div_scale_f64 v[58:59], null, v[56:57], v[56:57], v[54:55]
	v_div_scale_f64 v[64:65], vcc_lo, v[54:55], v[56:57], v[54:55]
	v_rcp_f64_e32 v[60:61], v[58:59]
	v_fma_f64 v[62:63], -v[58:59], v[60:61], 1.0
	v_fma_f64 v[60:61], v[60:61], v[62:63], v[60:61]
	v_fma_f64 v[62:63], -v[58:59], v[60:61], 1.0
	v_fma_f64 v[60:61], v[60:61], v[62:63], v[60:61]
	v_mul_f64 v[62:63], v[64:65], v[60:61]
	v_fma_f64 v[58:59], -v[58:59], v[62:63], v[64:65]
	v_div_fmas_f64 v[58:59], v[58:59], v[60:61], v[62:63]
	v_div_fixup_f64 v[58:59], v[58:59], v[56:57], v[54:55]
	v_fma_f64 v[54:55], v[54:55], v[58:59], v[56:57]
	v_div_scale_f64 v[56:57], null, v[54:55], v[54:55], 1.0
	v_rcp_f64_e32 v[60:61], v[56:57]
	v_fma_f64 v[62:63], -v[56:57], v[60:61], 1.0
	v_fma_f64 v[60:61], v[60:61], v[62:63], v[60:61]
	v_fma_f64 v[62:63], -v[56:57], v[60:61], 1.0
	v_fma_f64 v[60:61], v[60:61], v[62:63], v[60:61]
	v_div_scale_f64 v[62:63], vcc_lo, 1.0, v[54:55], 1.0
	v_mul_f64 v[64:65], v[62:63], v[60:61]
	v_fma_f64 v[56:57], -v[56:57], v[64:65], v[62:63]
	v_div_fmas_f64 v[56:57], v[56:57], v[60:61], v[64:65]
	v_div_fixup_f64 v[60:61], v[56:57], v[54:55], 1.0
                                        ; implicit-def: $vgpr54_vgpr55
	v_mul_f64 v[58:59], v[58:59], v[60:61]
	v_xor_b32_e32 v61, 0x80000000, v61
.LBB17_41:
	s_andn2_saveexec_b32 s1, s1
	s_cbranch_execz .LBB17_43
; %bb.42:
	v_div_scale_f64 v[58:59], null, v[54:55], v[54:55], v[56:57]
	v_div_scale_f64 v[64:65], vcc_lo, v[56:57], v[54:55], v[56:57]
	v_rcp_f64_e32 v[60:61], v[58:59]
	v_fma_f64 v[62:63], -v[58:59], v[60:61], 1.0
	v_fma_f64 v[60:61], v[60:61], v[62:63], v[60:61]
	v_fma_f64 v[62:63], -v[58:59], v[60:61], 1.0
	v_fma_f64 v[60:61], v[60:61], v[62:63], v[60:61]
	v_mul_f64 v[62:63], v[64:65], v[60:61]
	v_fma_f64 v[58:59], -v[58:59], v[62:63], v[64:65]
	v_div_fmas_f64 v[58:59], v[58:59], v[60:61], v[62:63]
	v_div_fixup_f64 v[60:61], v[58:59], v[54:55], v[56:57]
	v_fma_f64 v[54:55], v[56:57], v[60:61], v[54:55]
	v_div_scale_f64 v[56:57], null, v[54:55], v[54:55], 1.0
	v_rcp_f64_e32 v[58:59], v[56:57]
	v_fma_f64 v[62:63], -v[56:57], v[58:59], 1.0
	v_fma_f64 v[58:59], v[58:59], v[62:63], v[58:59]
	v_fma_f64 v[62:63], -v[56:57], v[58:59], 1.0
	v_fma_f64 v[58:59], v[58:59], v[62:63], v[58:59]
	v_div_scale_f64 v[62:63], vcc_lo, 1.0, v[54:55], 1.0
	v_mul_f64 v[64:65], v[62:63], v[58:59]
	v_fma_f64 v[56:57], -v[56:57], v[64:65], v[62:63]
	v_div_fmas_f64 v[56:57], v[56:57], v[58:59], v[64:65]
	v_div_fixup_f64 v[58:59], v[56:57], v[54:55], 1.0
	v_mul_f64 v[60:61], v[60:61], -v[58:59]
.LBB17_43:
	s_or_b32 exec_lo, exec_lo, s1
	ds_write2_b64 v1, v[58:59], v[60:61] offset1:1
.LBB17_44:
	s_or_b32 exec_lo, exec_lo, s2
	s_waitcnt lgkmcnt(0)
	s_barrier
	buffer_gl0_inv
	ds_read2_b64 v[54:57], v1 offset1:1
	s_mov_b32 s1, exec_lo
	v_cmpx_lt_u32_e32 4, v0
	s_cbranch_execz .LBB17_46
; %bb.45:
	s_waitcnt lgkmcnt(0)
	v_mul_f64 v[58:59], v[54:55], v[36:37]
	v_mul_f64 v[36:37], v[56:57], v[36:37]
	v_fma_f64 v[62:63], v[56:57], v[34:35], v[58:59]
	ds_read2_b64 v[58:61], v94 offset0:10 offset1:11
	v_fma_f64 v[34:35], v[54:55], v[34:35], -v[36:37]
	s_waitcnt lgkmcnt(0)
	v_mul_f64 v[36:37], v[60:61], v[62:63]
	v_fma_f64 v[36:37], v[58:59], v[34:35], -v[36:37]
	v_mul_f64 v[58:59], v[58:59], v[62:63]
	v_add_f64 v[30:31], v[30:31], -v[36:37]
	v_fma_f64 v[58:59], v[60:61], v[34:35], v[58:59]
	v_add_f64 v[32:33], v[32:33], -v[58:59]
	ds_read2_b64 v[58:61], v94 offset0:12 offset1:13
	s_waitcnt lgkmcnt(0)
	v_mul_f64 v[36:37], v[60:61], v[62:63]
	v_fma_f64 v[36:37], v[58:59], v[34:35], -v[36:37]
	v_mul_f64 v[58:59], v[58:59], v[62:63]
	v_add_f64 v[26:27], v[26:27], -v[36:37]
	v_fma_f64 v[58:59], v[60:61], v[34:35], v[58:59]
	v_add_f64 v[28:29], v[28:29], -v[58:59]
	ds_read2_b64 v[58:61], v94 offset0:14 offset1:15
	;; [unrolled: 8-line block ×3, first 2 shown]
	s_waitcnt lgkmcnt(0)
	v_mul_f64 v[36:37], v[60:61], v[62:63]
	v_fma_f64 v[36:37], v[58:59], v[34:35], -v[36:37]
	v_mul_f64 v[58:59], v[58:59], v[62:63]
	v_add_f64 v[14:15], v[14:15], -v[36:37]
	v_fma_f64 v[58:59], v[60:61], v[34:35], v[58:59]
	v_mov_b32_e32 v36, v62
	v_mov_b32_e32 v37, v63
	v_add_f64 v[16:17], v[16:17], -v[58:59]
.LBB17_46:
	s_or_b32 exec_lo, exec_lo, s1
	s_mov_b32 s2, exec_lo
	s_waitcnt lgkmcnt(0)
	s_barrier
	buffer_gl0_inv
	v_cmpx_eq_u32_e32 5, v0
	s_cbranch_execz .LBB17_53
; %bb.47:
	ds_write2_b64 v1, v[30:31], v[32:33] offset1:1
	ds_write2_b64 v94, v[26:27], v[28:29] offset0:12 offset1:13
	ds_write2_b64 v94, v[22:23], v[24:25] offset0:14 offset1:15
	;; [unrolled: 1-line block ×3, first 2 shown]
	ds_read2_b64 v[58:61], v1 offset1:1
	s_waitcnt lgkmcnt(0)
	v_cmp_neq_f64_e32 vcc_lo, 0, v[58:59]
	v_cmp_neq_f64_e64 s1, 0, v[60:61]
	s_or_b32 s1, vcc_lo, s1
	s_and_b32 exec_lo, exec_lo, s1
	s_cbranch_execz .LBB17_53
; %bb.48:
	v_cmp_ngt_f64_e64 s1, |v[58:59]|, |v[60:61]|
                                        ; implicit-def: $vgpr62_vgpr63
	s_and_saveexec_b32 s3, s1
	s_xor_b32 s1, exec_lo, s3
                                        ; implicit-def: $vgpr64_vgpr65
	s_cbranch_execz .LBB17_50
; %bb.49:
	v_div_scale_f64 v[62:63], null, v[60:61], v[60:61], v[58:59]
	v_div_scale_f64 v[68:69], vcc_lo, v[58:59], v[60:61], v[58:59]
	v_rcp_f64_e32 v[64:65], v[62:63]
	v_fma_f64 v[66:67], -v[62:63], v[64:65], 1.0
	v_fma_f64 v[64:65], v[64:65], v[66:67], v[64:65]
	v_fma_f64 v[66:67], -v[62:63], v[64:65], 1.0
	v_fma_f64 v[64:65], v[64:65], v[66:67], v[64:65]
	v_mul_f64 v[66:67], v[68:69], v[64:65]
	v_fma_f64 v[62:63], -v[62:63], v[66:67], v[68:69]
	v_div_fmas_f64 v[62:63], v[62:63], v[64:65], v[66:67]
	v_div_fixup_f64 v[62:63], v[62:63], v[60:61], v[58:59]
	v_fma_f64 v[58:59], v[58:59], v[62:63], v[60:61]
	v_div_scale_f64 v[60:61], null, v[58:59], v[58:59], 1.0
	v_rcp_f64_e32 v[64:65], v[60:61]
	v_fma_f64 v[66:67], -v[60:61], v[64:65], 1.0
	v_fma_f64 v[64:65], v[64:65], v[66:67], v[64:65]
	v_fma_f64 v[66:67], -v[60:61], v[64:65], 1.0
	v_fma_f64 v[64:65], v[64:65], v[66:67], v[64:65]
	v_div_scale_f64 v[66:67], vcc_lo, 1.0, v[58:59], 1.0
	v_mul_f64 v[68:69], v[66:67], v[64:65]
	v_fma_f64 v[60:61], -v[60:61], v[68:69], v[66:67]
	v_div_fmas_f64 v[60:61], v[60:61], v[64:65], v[68:69]
	v_div_fixup_f64 v[64:65], v[60:61], v[58:59], 1.0
                                        ; implicit-def: $vgpr58_vgpr59
	v_mul_f64 v[62:63], v[62:63], v[64:65]
	v_xor_b32_e32 v65, 0x80000000, v65
.LBB17_50:
	s_andn2_saveexec_b32 s1, s1
	s_cbranch_execz .LBB17_52
; %bb.51:
	v_div_scale_f64 v[62:63], null, v[58:59], v[58:59], v[60:61]
	v_div_scale_f64 v[68:69], vcc_lo, v[60:61], v[58:59], v[60:61]
	v_rcp_f64_e32 v[64:65], v[62:63]
	v_fma_f64 v[66:67], -v[62:63], v[64:65], 1.0
	v_fma_f64 v[64:65], v[64:65], v[66:67], v[64:65]
	v_fma_f64 v[66:67], -v[62:63], v[64:65], 1.0
	v_fma_f64 v[64:65], v[64:65], v[66:67], v[64:65]
	v_mul_f64 v[66:67], v[68:69], v[64:65]
	v_fma_f64 v[62:63], -v[62:63], v[66:67], v[68:69]
	v_div_fmas_f64 v[62:63], v[62:63], v[64:65], v[66:67]
	v_div_fixup_f64 v[64:65], v[62:63], v[58:59], v[60:61]
	v_fma_f64 v[58:59], v[60:61], v[64:65], v[58:59]
	v_div_scale_f64 v[60:61], null, v[58:59], v[58:59], 1.0
	v_rcp_f64_e32 v[62:63], v[60:61]
	v_fma_f64 v[66:67], -v[60:61], v[62:63], 1.0
	v_fma_f64 v[62:63], v[62:63], v[66:67], v[62:63]
	v_fma_f64 v[66:67], -v[60:61], v[62:63], 1.0
	v_fma_f64 v[62:63], v[62:63], v[66:67], v[62:63]
	v_div_scale_f64 v[66:67], vcc_lo, 1.0, v[58:59], 1.0
	v_mul_f64 v[68:69], v[66:67], v[62:63]
	v_fma_f64 v[60:61], -v[60:61], v[68:69], v[66:67]
	v_div_fmas_f64 v[60:61], v[60:61], v[62:63], v[68:69]
	v_div_fixup_f64 v[62:63], v[60:61], v[58:59], 1.0
	v_mul_f64 v[64:65], v[64:65], -v[62:63]
.LBB17_52:
	s_or_b32 exec_lo, exec_lo, s1
	ds_write2_b64 v1, v[62:63], v[64:65] offset1:1
.LBB17_53:
	s_or_b32 exec_lo, exec_lo, s2
	s_waitcnt lgkmcnt(0)
	s_barrier
	buffer_gl0_inv
	ds_read2_b64 v[58:61], v1 offset1:1
	s_mov_b32 s1, exec_lo
	v_cmpx_lt_u32_e32 5, v0
	s_cbranch_execz .LBB17_55
; %bb.54:
	s_waitcnt lgkmcnt(0)
	v_mul_f64 v[62:63], v[58:59], v[32:33]
	v_mul_f64 v[32:33], v[60:61], v[32:33]
	v_fma_f64 v[66:67], v[60:61], v[30:31], v[62:63]
	ds_read2_b64 v[62:65], v94 offset0:12 offset1:13
	v_fma_f64 v[30:31], v[58:59], v[30:31], -v[32:33]
	s_waitcnt lgkmcnt(0)
	v_mul_f64 v[32:33], v[64:65], v[66:67]
	v_fma_f64 v[32:33], v[62:63], v[30:31], -v[32:33]
	v_mul_f64 v[62:63], v[62:63], v[66:67]
	v_add_f64 v[26:27], v[26:27], -v[32:33]
	v_fma_f64 v[62:63], v[64:65], v[30:31], v[62:63]
	v_add_f64 v[28:29], v[28:29], -v[62:63]
	ds_read2_b64 v[62:65], v94 offset0:14 offset1:15
	s_waitcnt lgkmcnt(0)
	v_mul_f64 v[32:33], v[64:65], v[66:67]
	v_fma_f64 v[32:33], v[62:63], v[30:31], -v[32:33]
	v_mul_f64 v[62:63], v[62:63], v[66:67]
	v_add_f64 v[22:23], v[22:23], -v[32:33]
	v_fma_f64 v[62:63], v[64:65], v[30:31], v[62:63]
	v_add_f64 v[24:25], v[24:25], -v[62:63]
	ds_read2_b64 v[62:65], v94 offset0:16 offset1:17
	s_waitcnt lgkmcnt(0)
	v_mul_f64 v[32:33], v[64:65], v[66:67]
	v_fma_f64 v[32:33], v[62:63], v[30:31], -v[32:33]
	v_mul_f64 v[62:63], v[62:63], v[66:67]
	v_add_f64 v[14:15], v[14:15], -v[32:33]
	v_fma_f64 v[62:63], v[64:65], v[30:31], v[62:63]
	v_mov_b32_e32 v32, v66
	v_mov_b32_e32 v33, v67
	v_add_f64 v[16:17], v[16:17], -v[62:63]
.LBB17_55:
	s_or_b32 exec_lo, exec_lo, s1
	s_mov_b32 s2, exec_lo
	s_waitcnt lgkmcnt(0)
	s_barrier
	buffer_gl0_inv
	v_cmpx_eq_u32_e32 6, v0
	s_cbranch_execz .LBB17_62
; %bb.56:
	ds_write2_b64 v1, v[26:27], v[28:29] offset1:1
	ds_write2_b64 v94, v[22:23], v[24:25] offset0:14 offset1:15
	ds_write2_b64 v94, v[14:15], v[16:17] offset0:16 offset1:17
	ds_read2_b64 v[62:65], v1 offset1:1
	s_waitcnt lgkmcnt(0)
	v_cmp_neq_f64_e32 vcc_lo, 0, v[62:63]
	v_cmp_neq_f64_e64 s1, 0, v[64:65]
	s_or_b32 s1, vcc_lo, s1
	s_and_b32 exec_lo, exec_lo, s1
	s_cbranch_execz .LBB17_62
; %bb.57:
	v_cmp_ngt_f64_e64 s1, |v[62:63]|, |v[64:65]|
                                        ; implicit-def: $vgpr66_vgpr67
	s_and_saveexec_b32 s3, s1
	s_xor_b32 s1, exec_lo, s3
                                        ; implicit-def: $vgpr68_vgpr69
	s_cbranch_execz .LBB17_59
; %bb.58:
	v_div_scale_f64 v[66:67], null, v[64:65], v[64:65], v[62:63]
	v_div_scale_f64 v[72:73], vcc_lo, v[62:63], v[64:65], v[62:63]
	v_rcp_f64_e32 v[68:69], v[66:67]
	v_fma_f64 v[70:71], -v[66:67], v[68:69], 1.0
	v_fma_f64 v[68:69], v[68:69], v[70:71], v[68:69]
	v_fma_f64 v[70:71], -v[66:67], v[68:69], 1.0
	v_fma_f64 v[68:69], v[68:69], v[70:71], v[68:69]
	v_mul_f64 v[70:71], v[72:73], v[68:69]
	v_fma_f64 v[66:67], -v[66:67], v[70:71], v[72:73]
	v_div_fmas_f64 v[66:67], v[66:67], v[68:69], v[70:71]
	v_div_fixup_f64 v[66:67], v[66:67], v[64:65], v[62:63]
	v_fma_f64 v[62:63], v[62:63], v[66:67], v[64:65]
	v_div_scale_f64 v[64:65], null, v[62:63], v[62:63], 1.0
	v_rcp_f64_e32 v[68:69], v[64:65]
	v_fma_f64 v[70:71], -v[64:65], v[68:69], 1.0
	v_fma_f64 v[68:69], v[68:69], v[70:71], v[68:69]
	v_fma_f64 v[70:71], -v[64:65], v[68:69], 1.0
	v_fma_f64 v[68:69], v[68:69], v[70:71], v[68:69]
	v_div_scale_f64 v[70:71], vcc_lo, 1.0, v[62:63], 1.0
	v_mul_f64 v[72:73], v[70:71], v[68:69]
	v_fma_f64 v[64:65], -v[64:65], v[72:73], v[70:71]
	v_div_fmas_f64 v[64:65], v[64:65], v[68:69], v[72:73]
	v_div_fixup_f64 v[68:69], v[64:65], v[62:63], 1.0
                                        ; implicit-def: $vgpr62_vgpr63
	v_mul_f64 v[66:67], v[66:67], v[68:69]
	v_xor_b32_e32 v69, 0x80000000, v69
.LBB17_59:
	s_andn2_saveexec_b32 s1, s1
	s_cbranch_execz .LBB17_61
; %bb.60:
	v_div_scale_f64 v[66:67], null, v[62:63], v[62:63], v[64:65]
	v_div_scale_f64 v[72:73], vcc_lo, v[64:65], v[62:63], v[64:65]
	v_rcp_f64_e32 v[68:69], v[66:67]
	v_fma_f64 v[70:71], -v[66:67], v[68:69], 1.0
	v_fma_f64 v[68:69], v[68:69], v[70:71], v[68:69]
	v_fma_f64 v[70:71], -v[66:67], v[68:69], 1.0
	v_fma_f64 v[68:69], v[68:69], v[70:71], v[68:69]
	v_mul_f64 v[70:71], v[72:73], v[68:69]
	v_fma_f64 v[66:67], -v[66:67], v[70:71], v[72:73]
	v_div_fmas_f64 v[66:67], v[66:67], v[68:69], v[70:71]
	v_div_fixup_f64 v[68:69], v[66:67], v[62:63], v[64:65]
	v_fma_f64 v[62:63], v[64:65], v[68:69], v[62:63]
	v_div_scale_f64 v[64:65], null, v[62:63], v[62:63], 1.0
	v_rcp_f64_e32 v[66:67], v[64:65]
	v_fma_f64 v[70:71], -v[64:65], v[66:67], 1.0
	v_fma_f64 v[66:67], v[66:67], v[70:71], v[66:67]
	v_fma_f64 v[70:71], -v[64:65], v[66:67], 1.0
	v_fma_f64 v[66:67], v[66:67], v[70:71], v[66:67]
	v_div_scale_f64 v[70:71], vcc_lo, 1.0, v[62:63], 1.0
	v_mul_f64 v[72:73], v[70:71], v[66:67]
	v_fma_f64 v[64:65], -v[64:65], v[72:73], v[70:71]
	v_div_fmas_f64 v[64:65], v[64:65], v[66:67], v[72:73]
	v_div_fixup_f64 v[66:67], v[64:65], v[62:63], 1.0
	v_mul_f64 v[68:69], v[68:69], -v[66:67]
.LBB17_61:
	s_or_b32 exec_lo, exec_lo, s1
	ds_write2_b64 v1, v[66:67], v[68:69] offset1:1
.LBB17_62:
	s_or_b32 exec_lo, exec_lo, s2
	s_waitcnt lgkmcnt(0)
	s_barrier
	buffer_gl0_inv
	ds_read2_b64 v[62:65], v1 offset1:1
	s_mov_b32 s1, exec_lo
	v_cmpx_lt_u32_e32 6, v0
	s_cbranch_execz .LBB17_64
; %bb.63:
	s_waitcnt lgkmcnt(0)
	v_mul_f64 v[66:67], v[62:63], v[28:29]
	v_mul_f64 v[28:29], v[64:65], v[28:29]
	v_fma_f64 v[95:96], v[64:65], v[26:27], v[66:67]
	ds_read2_b64 v[66:69], v94 offset0:14 offset1:15
	ds_read2_b64 v[70:73], v94 offset0:16 offset1:17
	v_fma_f64 v[26:27], v[62:63], v[26:27], -v[28:29]
	s_waitcnt lgkmcnt(1)
	v_mul_f64 v[28:29], v[68:69], v[95:96]
	v_mul_f64 v[97:98], v[66:67], v[95:96]
	s_waitcnt lgkmcnt(0)
	v_mul_f64 v[99:100], v[72:73], v[95:96]
	v_mul_f64 v[101:102], v[70:71], v[95:96]
	v_fma_f64 v[28:29], v[66:67], v[26:27], -v[28:29]
	v_fma_f64 v[66:67], v[68:69], v[26:27], v[97:98]
	v_fma_f64 v[68:69], v[70:71], v[26:27], -v[99:100]
	v_fma_f64 v[70:71], v[72:73], v[26:27], v[101:102]
	v_add_f64 v[22:23], v[22:23], -v[28:29]
	v_add_f64 v[24:25], v[24:25], -v[66:67]
	;; [unrolled: 1-line block ×4, first 2 shown]
	v_mov_b32_e32 v28, v95
	v_mov_b32_e32 v29, v96
.LBB17_64:
	s_or_b32 exec_lo, exec_lo, s1
	s_mov_b32 s2, exec_lo
	s_waitcnt lgkmcnt(0)
	s_barrier
	buffer_gl0_inv
	v_cmpx_eq_u32_e32 7, v0
	s_cbranch_execz .LBB17_71
; %bb.65:
	ds_write2_b64 v1, v[22:23], v[24:25] offset1:1
	ds_write2_b64 v94, v[14:15], v[16:17] offset0:16 offset1:17
	ds_read2_b64 v[66:69], v1 offset1:1
	s_waitcnt lgkmcnt(0)
	v_cmp_neq_f64_e32 vcc_lo, 0, v[66:67]
	v_cmp_neq_f64_e64 s1, 0, v[68:69]
	s_or_b32 s1, vcc_lo, s1
	s_and_b32 exec_lo, exec_lo, s1
	s_cbranch_execz .LBB17_71
; %bb.66:
	v_cmp_ngt_f64_e64 s1, |v[66:67]|, |v[68:69]|
                                        ; implicit-def: $vgpr70_vgpr71
	s_and_saveexec_b32 s3, s1
	s_xor_b32 s1, exec_lo, s3
                                        ; implicit-def: $vgpr72_vgpr73
	s_cbranch_execz .LBB17_68
; %bb.67:
	v_div_scale_f64 v[70:71], null, v[68:69], v[68:69], v[66:67]
	v_div_scale_f64 v[97:98], vcc_lo, v[66:67], v[68:69], v[66:67]
	v_rcp_f64_e32 v[72:73], v[70:71]
	v_fma_f64 v[95:96], -v[70:71], v[72:73], 1.0
	v_fma_f64 v[72:73], v[72:73], v[95:96], v[72:73]
	v_fma_f64 v[95:96], -v[70:71], v[72:73], 1.0
	v_fma_f64 v[72:73], v[72:73], v[95:96], v[72:73]
	v_mul_f64 v[95:96], v[97:98], v[72:73]
	v_fma_f64 v[70:71], -v[70:71], v[95:96], v[97:98]
	v_div_fmas_f64 v[70:71], v[70:71], v[72:73], v[95:96]
	v_div_fixup_f64 v[70:71], v[70:71], v[68:69], v[66:67]
	v_fma_f64 v[66:67], v[66:67], v[70:71], v[68:69]
	v_div_scale_f64 v[68:69], null, v[66:67], v[66:67], 1.0
	v_rcp_f64_e32 v[72:73], v[68:69]
	v_fma_f64 v[95:96], -v[68:69], v[72:73], 1.0
	v_fma_f64 v[72:73], v[72:73], v[95:96], v[72:73]
	v_fma_f64 v[95:96], -v[68:69], v[72:73], 1.0
	v_fma_f64 v[72:73], v[72:73], v[95:96], v[72:73]
	v_div_scale_f64 v[95:96], vcc_lo, 1.0, v[66:67], 1.0
	v_mul_f64 v[97:98], v[95:96], v[72:73]
	v_fma_f64 v[68:69], -v[68:69], v[97:98], v[95:96]
	v_div_fmas_f64 v[68:69], v[68:69], v[72:73], v[97:98]
	v_div_fixup_f64 v[72:73], v[68:69], v[66:67], 1.0
                                        ; implicit-def: $vgpr66_vgpr67
	v_mul_f64 v[70:71], v[70:71], v[72:73]
	v_xor_b32_e32 v73, 0x80000000, v73
.LBB17_68:
	s_andn2_saveexec_b32 s1, s1
	s_cbranch_execz .LBB17_70
; %bb.69:
	v_div_scale_f64 v[70:71], null, v[66:67], v[66:67], v[68:69]
	v_div_scale_f64 v[97:98], vcc_lo, v[68:69], v[66:67], v[68:69]
	v_rcp_f64_e32 v[72:73], v[70:71]
	v_fma_f64 v[95:96], -v[70:71], v[72:73], 1.0
	v_fma_f64 v[72:73], v[72:73], v[95:96], v[72:73]
	v_fma_f64 v[95:96], -v[70:71], v[72:73], 1.0
	v_fma_f64 v[72:73], v[72:73], v[95:96], v[72:73]
	v_mul_f64 v[95:96], v[97:98], v[72:73]
	v_fma_f64 v[70:71], -v[70:71], v[95:96], v[97:98]
	v_div_fmas_f64 v[70:71], v[70:71], v[72:73], v[95:96]
	v_div_fixup_f64 v[72:73], v[70:71], v[66:67], v[68:69]
	v_fma_f64 v[66:67], v[68:69], v[72:73], v[66:67]
	v_div_scale_f64 v[68:69], null, v[66:67], v[66:67], 1.0
	v_rcp_f64_e32 v[70:71], v[68:69]
	v_fma_f64 v[95:96], -v[68:69], v[70:71], 1.0
	v_fma_f64 v[70:71], v[70:71], v[95:96], v[70:71]
	v_fma_f64 v[95:96], -v[68:69], v[70:71], 1.0
	v_fma_f64 v[70:71], v[70:71], v[95:96], v[70:71]
	v_div_scale_f64 v[95:96], vcc_lo, 1.0, v[66:67], 1.0
	v_mul_f64 v[97:98], v[95:96], v[70:71]
	v_fma_f64 v[68:69], -v[68:69], v[97:98], v[95:96]
	v_div_fmas_f64 v[68:69], v[68:69], v[70:71], v[97:98]
	v_div_fixup_f64 v[70:71], v[68:69], v[66:67], 1.0
	v_mul_f64 v[72:73], v[72:73], -v[70:71]
.LBB17_70:
	s_or_b32 exec_lo, exec_lo, s1
	ds_write2_b64 v1, v[70:71], v[72:73] offset1:1
.LBB17_71:
	s_or_b32 exec_lo, exec_lo, s2
	s_waitcnt lgkmcnt(0)
	s_barrier
	buffer_gl0_inv
	ds_read2_b64 v[66:69], v1 offset1:1
	s_mov_b32 s1, exec_lo
	v_cmpx_lt_u32_e32 7, v0
	s_cbranch_execz .LBB17_73
; %bb.72:
	s_waitcnt lgkmcnt(0)
	v_mul_f64 v[70:71], v[66:67], v[24:25]
	v_mul_f64 v[24:25], v[68:69], v[24:25]
	v_fma_f64 v[95:96], v[68:69], v[22:23], v[70:71]
	ds_read2_b64 v[70:73], v94 offset0:16 offset1:17
	v_fma_f64 v[22:23], v[66:67], v[22:23], -v[24:25]
	s_waitcnt lgkmcnt(0)
	v_mul_f64 v[24:25], v[72:73], v[95:96]
	v_mul_f64 v[97:98], v[70:71], v[95:96]
	v_fma_f64 v[24:25], v[70:71], v[22:23], -v[24:25]
	v_fma_f64 v[70:71], v[72:73], v[22:23], v[97:98]
	v_add_f64 v[14:15], v[14:15], -v[24:25]
	v_add_f64 v[16:17], v[16:17], -v[70:71]
	v_mov_b32_e32 v24, v95
	v_mov_b32_e32 v25, v96
.LBB17_73:
	s_or_b32 exec_lo, exec_lo, s1
	s_mov_b32 s2, exec_lo
	s_waitcnt lgkmcnt(0)
	s_barrier
	buffer_gl0_inv
	v_cmpx_eq_u32_e32 8, v0
	s_cbranch_execz .LBB17_80
; %bb.74:
	v_cmp_neq_f64_e32 vcc_lo, 0, v[14:15]
	v_cmp_neq_f64_e64 s1, 0, v[16:17]
	ds_write2_b64 v1, v[14:15], v[16:17] offset1:1
	s_or_b32 s1, vcc_lo, s1
	s_and_b32 exec_lo, exec_lo, s1
	s_cbranch_execz .LBB17_80
; %bb.75:
	v_cmp_ngt_f64_e64 s1, |v[14:15]|, |v[16:17]|
                                        ; implicit-def: $vgpr70_vgpr71
	s_and_saveexec_b32 s3, s1
	s_xor_b32 s1, exec_lo, s3
                                        ; implicit-def: $vgpr72_vgpr73
	s_cbranch_execz .LBB17_77
; %bb.76:
	v_div_scale_f64 v[70:71], null, v[16:17], v[16:17], v[14:15]
	v_div_scale_f64 v[96:97], vcc_lo, v[14:15], v[16:17], v[14:15]
	v_rcp_f64_e32 v[72:73], v[70:71]
	v_fma_f64 v[94:95], -v[70:71], v[72:73], 1.0
	v_fma_f64 v[72:73], v[72:73], v[94:95], v[72:73]
	v_fma_f64 v[94:95], -v[70:71], v[72:73], 1.0
	v_fma_f64 v[72:73], v[72:73], v[94:95], v[72:73]
	v_mul_f64 v[94:95], v[96:97], v[72:73]
	v_fma_f64 v[70:71], -v[70:71], v[94:95], v[96:97]
	v_div_fmas_f64 v[70:71], v[70:71], v[72:73], v[94:95]
	v_div_fixup_f64 v[70:71], v[70:71], v[16:17], v[14:15]
	v_fma_f64 v[72:73], v[14:15], v[70:71], v[16:17]
	v_div_scale_f64 v[94:95], null, v[72:73], v[72:73], 1.0
	v_rcp_f64_e32 v[96:97], v[94:95]
	v_fma_f64 v[98:99], -v[94:95], v[96:97], 1.0
	v_fma_f64 v[96:97], v[96:97], v[98:99], v[96:97]
	v_fma_f64 v[98:99], -v[94:95], v[96:97], 1.0
	v_fma_f64 v[96:97], v[96:97], v[98:99], v[96:97]
	v_div_scale_f64 v[98:99], vcc_lo, 1.0, v[72:73], 1.0
	v_mul_f64 v[100:101], v[98:99], v[96:97]
	v_fma_f64 v[94:95], -v[94:95], v[100:101], v[98:99]
	v_div_fmas_f64 v[94:95], v[94:95], v[96:97], v[100:101]
	v_div_fixup_f64 v[72:73], v[94:95], v[72:73], 1.0
	v_mul_f64 v[70:71], v[70:71], v[72:73]
	v_xor_b32_e32 v73, 0x80000000, v73
.LBB17_77:
	s_andn2_saveexec_b32 s1, s1
	s_cbranch_execz .LBB17_79
; %bb.78:
	v_div_scale_f64 v[70:71], null, v[14:15], v[14:15], v[16:17]
	v_div_scale_f64 v[96:97], vcc_lo, v[16:17], v[14:15], v[16:17]
	v_rcp_f64_e32 v[72:73], v[70:71]
	v_fma_f64 v[94:95], -v[70:71], v[72:73], 1.0
	v_fma_f64 v[72:73], v[72:73], v[94:95], v[72:73]
	v_fma_f64 v[94:95], -v[70:71], v[72:73], 1.0
	v_fma_f64 v[72:73], v[72:73], v[94:95], v[72:73]
	v_mul_f64 v[94:95], v[96:97], v[72:73]
	v_fma_f64 v[70:71], -v[70:71], v[94:95], v[96:97]
	v_div_fmas_f64 v[70:71], v[70:71], v[72:73], v[94:95]
	v_div_fixup_f64 v[72:73], v[70:71], v[14:15], v[16:17]
	v_fma_f64 v[70:71], v[16:17], v[72:73], v[14:15]
	v_div_scale_f64 v[94:95], null, v[70:71], v[70:71], 1.0
	v_rcp_f64_e32 v[96:97], v[94:95]
	v_fma_f64 v[98:99], -v[94:95], v[96:97], 1.0
	v_fma_f64 v[96:97], v[96:97], v[98:99], v[96:97]
	v_fma_f64 v[98:99], -v[94:95], v[96:97], 1.0
	v_fma_f64 v[96:97], v[96:97], v[98:99], v[96:97]
	v_div_scale_f64 v[98:99], vcc_lo, 1.0, v[70:71], 1.0
	v_mul_f64 v[100:101], v[98:99], v[96:97]
	v_fma_f64 v[94:95], -v[94:95], v[100:101], v[98:99]
	v_div_fmas_f64 v[94:95], v[94:95], v[96:97], v[100:101]
	v_div_fixup_f64 v[70:71], v[94:95], v[70:71], 1.0
	v_mul_f64 v[72:73], v[72:73], -v[70:71]
.LBB17_79:
	s_or_b32 exec_lo, exec_lo, s1
	ds_write2_b64 v1, v[70:71], v[72:73] offset1:1
.LBB17_80:
	s_or_b32 exec_lo, exec_lo, s2
	s_waitcnt lgkmcnt(0)
	s_barrier
	buffer_gl0_inv
	ds_read2_b64 v[70:73], v1 offset1:1
	s_mov_b32 s1, exec_lo
	v_cmpx_lt_u32_e32 8, v0
	s_cbranch_execz .LBB17_82
; %bb.81:
	s_waitcnt lgkmcnt(0)
	v_mul_f64 v[0:1], v[72:73], v[16:17]
	v_mul_f64 v[16:17], v[70:71], v[16:17]
	v_fma_f64 v[0:1], v[70:71], v[14:15], -v[0:1]
	v_fma_f64 v[16:17], v[72:73], v[14:15], v[16:17]
	v_mov_b32_e32 v15, v1
	v_mov_b32_e32 v14, v0
.LBB17_82:
	s_or_b32 exec_lo, exec_lo, s1
	s_waitcnt lgkmcnt(0)
	s_barrier
	buffer_gl0_inv
	s_and_saveexec_b32 s6, s0
	s_cbranch_execz .LBB17_85
; %bb.83:
	v_lshlrev_b64 v[0:1], 2, v[74:75]
	v_cmp_eq_f64_e64 s0, 0, v[40:41]
	v_cmp_neq_f64_e64 s1, 0, v[42:43]
	v_cmp_neq_f64_e64 s2, 0, v[44:45]
	v_cmp_eq_f64_e64 s3, 0, v[46:47]
	v_cmp_eq_f64_e64 s4, 0, v[48:49]
	v_add_co_u32 v0, vcc_lo, s10, v0
	v_add_co_ci_u32_e64 v1, null, s11, v1, vcc_lo
	v_cmp_eq_f64_e32 vcc_lo, 0, v[38:39]
	v_cmp_eq_f64_e64 s5, 0, v[50:51]
	global_load_dword v74, v[0:1], off
	s_or_b32 s1, s1, s2
	v_cmp_eq_f64_e64 s2, 0, v[56:57]
	s_and_b32 s3, s3, s4
	v_cmp_eq_f64_e64 s4, 0, v[60:61]
	s_and_b32 s0, vcc_lo, s0
	v_cmp_eq_f64_e32 vcc_lo, 0, v[52:53]
	v_cndmask_b32_e64 v38, 0, 1, s0
	s_or_b32 s0, s1, s0
	v_cmp_eq_f64_e64 s1, 0, v[54:55]
	v_cndmask_b32_e64 v38, 2, v38, s0
	v_cmp_eq_u32_e64 s0, 0, v38
	s_and_b32 s0, s3, s0
	v_cmp_eq_f64_e64 s3, 0, v[58:59]
	v_cndmask_b32_e64 v38, v38, 3, s0
	s_and_b32 s5, s5, vcc_lo
	v_cmp_eq_u32_e64 s0, 0, v38
	s_and_b32 s1, s1, s2
	v_cmp_eq_f64_e64 s2, 0, v[68:69]
	s_and_b32 s0, s5, s0
	v_cmp_eq_f64_e64 s5, 0, v[64:65]
	v_cndmask_b32_e64 v38, v38, 4, s0
	v_cmp_eq_f64_e64 s0, 0, v[62:63]
	v_cmp_eq_u32_e32 vcc_lo, 0, v38
	s_and_b32 s3, s3, s4
	s_and_b32 s1, s1, vcc_lo
	v_cmp_eq_f64_e64 s4, 0, v[72:73]
	v_cndmask_b32_e64 v38, v38, 5, s1
	v_cmp_eq_f64_e64 s1, 0, v[66:67]
	v_cmp_eq_u32_e32 vcc_lo, 0, v38
	s_and_b32 s3, s3, vcc_lo
	s_and_b32 s0, s0, s5
	v_cndmask_b32_e64 v38, v38, 6, s3
	v_cmp_eq_f64_e64 s3, 0, v[70:71]
	v_cmp_eq_u32_e32 vcc_lo, 0, v38
	s_and_b32 s0, s0, vcc_lo
	v_cndmask_b32_e64 v38, v38, 7, s0
	s_and_b32 s0, s1, s2
	v_cmp_eq_u32_e32 vcc_lo, 0, v38
	s_and_b32 s0, s0, vcc_lo
	v_cndmask_b32_e64 v38, v38, 8, s0
	s_and_b32 s0, s3, s4
	v_cmp_eq_u32_e32 vcc_lo, 0, v38
	s_and_b32 s0, s0, vcc_lo
	v_cndmask_b32_e64 v38, v38, 9, s0
	v_cmp_ne_u32_e64 s0, 0, v38
	s_waitcnt vmcnt(0)
	v_cmp_eq_u32_e32 vcc_lo, 0, v74
	s_and_b32 s0, vcc_lo, s0
	s_and_b32 exec_lo, exec_lo, s0
	s_cbranch_execz .LBB17_85
; %bb.84:
	v_add_nc_u32_e32 v38, s13, v38
	global_store_dword v[0:1], v38, off
.LBB17_85:
	s_or_b32 exec_lo, exec_lo, s6
	global_store_dwordx4 v[80:81], v[18:21], off
	global_store_dwordx4 v[82:83], v[10:13], off
	;; [unrolled: 1-line block ×9, first 2 shown]
.LBB17_86:
	s_endpgm
	.section	.rodata,"a",@progbits
	.p2align	6, 0x0
	.amdhsa_kernel _ZN9rocsolver6v33100L23getf2_npvt_small_kernelILi9E19rocblas_complex_numIdEiiPS3_EEvT1_T3_lS5_lPT2_S5_S5_
		.amdhsa_group_segment_fixed_size 0
		.amdhsa_private_segment_fixed_size 0
		.amdhsa_kernarg_size 312
		.amdhsa_user_sgpr_count 6
		.amdhsa_user_sgpr_private_segment_buffer 1
		.amdhsa_user_sgpr_dispatch_ptr 0
		.amdhsa_user_sgpr_queue_ptr 0
		.amdhsa_user_sgpr_kernarg_segment_ptr 1
		.amdhsa_user_sgpr_dispatch_id 0
		.amdhsa_user_sgpr_flat_scratch_init 0
		.amdhsa_user_sgpr_private_segment_size 0
		.amdhsa_wavefront_size32 1
		.amdhsa_uses_dynamic_stack 0
		.amdhsa_system_sgpr_private_segment_wavefront_offset 0
		.amdhsa_system_sgpr_workgroup_id_x 1
		.amdhsa_system_sgpr_workgroup_id_y 1
		.amdhsa_system_sgpr_workgroup_id_z 0
		.amdhsa_system_sgpr_workgroup_info 0
		.amdhsa_system_vgpr_workitem_id 1
		.amdhsa_next_free_vgpr 103
		.amdhsa_next_free_sgpr 15
		.amdhsa_reserve_vcc 1
		.amdhsa_reserve_flat_scratch 0
		.amdhsa_float_round_mode_32 0
		.amdhsa_float_round_mode_16_64 0
		.amdhsa_float_denorm_mode_32 3
		.amdhsa_float_denorm_mode_16_64 3
		.amdhsa_dx10_clamp 1
		.amdhsa_ieee_mode 1
		.amdhsa_fp16_overflow 0
		.amdhsa_workgroup_processor_mode 1
		.amdhsa_memory_ordered 1
		.amdhsa_forward_progress 1
		.amdhsa_shared_vgpr_count 0
		.amdhsa_exception_fp_ieee_invalid_op 0
		.amdhsa_exception_fp_denorm_src 0
		.amdhsa_exception_fp_ieee_div_zero 0
		.amdhsa_exception_fp_ieee_overflow 0
		.amdhsa_exception_fp_ieee_underflow 0
		.amdhsa_exception_fp_ieee_inexact 0
		.amdhsa_exception_int_div_zero 0
	.end_amdhsa_kernel
	.section	.text._ZN9rocsolver6v33100L23getf2_npvt_small_kernelILi9E19rocblas_complex_numIdEiiPS3_EEvT1_T3_lS5_lPT2_S5_S5_,"axG",@progbits,_ZN9rocsolver6v33100L23getf2_npvt_small_kernelILi9E19rocblas_complex_numIdEiiPS3_EEvT1_T3_lS5_lPT2_S5_S5_,comdat
.Lfunc_end17:
	.size	_ZN9rocsolver6v33100L23getf2_npvt_small_kernelILi9E19rocblas_complex_numIdEiiPS3_EEvT1_T3_lS5_lPT2_S5_S5_, .Lfunc_end17-_ZN9rocsolver6v33100L23getf2_npvt_small_kernelILi9E19rocblas_complex_numIdEiiPS3_EEvT1_T3_lS5_lPT2_S5_S5_
                                        ; -- End function
	.set _ZN9rocsolver6v33100L23getf2_npvt_small_kernelILi9E19rocblas_complex_numIdEiiPS3_EEvT1_T3_lS5_lPT2_S5_S5_.num_vgpr, 103
	.set _ZN9rocsolver6v33100L23getf2_npvt_small_kernelILi9E19rocblas_complex_numIdEiiPS3_EEvT1_T3_lS5_lPT2_S5_S5_.num_agpr, 0
	.set _ZN9rocsolver6v33100L23getf2_npvt_small_kernelILi9E19rocblas_complex_numIdEiiPS3_EEvT1_T3_lS5_lPT2_S5_S5_.numbered_sgpr, 15
	.set _ZN9rocsolver6v33100L23getf2_npvt_small_kernelILi9E19rocblas_complex_numIdEiiPS3_EEvT1_T3_lS5_lPT2_S5_S5_.num_named_barrier, 0
	.set _ZN9rocsolver6v33100L23getf2_npvt_small_kernelILi9E19rocblas_complex_numIdEiiPS3_EEvT1_T3_lS5_lPT2_S5_S5_.private_seg_size, 0
	.set _ZN9rocsolver6v33100L23getf2_npvt_small_kernelILi9E19rocblas_complex_numIdEiiPS3_EEvT1_T3_lS5_lPT2_S5_S5_.uses_vcc, 1
	.set _ZN9rocsolver6v33100L23getf2_npvt_small_kernelILi9E19rocblas_complex_numIdEiiPS3_EEvT1_T3_lS5_lPT2_S5_S5_.uses_flat_scratch, 0
	.set _ZN9rocsolver6v33100L23getf2_npvt_small_kernelILi9E19rocblas_complex_numIdEiiPS3_EEvT1_T3_lS5_lPT2_S5_S5_.has_dyn_sized_stack, 0
	.set _ZN9rocsolver6v33100L23getf2_npvt_small_kernelILi9E19rocblas_complex_numIdEiiPS3_EEvT1_T3_lS5_lPT2_S5_S5_.has_recursion, 0
	.set _ZN9rocsolver6v33100L23getf2_npvt_small_kernelILi9E19rocblas_complex_numIdEiiPS3_EEvT1_T3_lS5_lPT2_S5_S5_.has_indirect_call, 0
	.section	.AMDGPU.csdata,"",@progbits
; Kernel info:
; codeLenInByte = 8672
; TotalNumSgprs: 17
; NumVgprs: 103
; ScratchSize: 0
; MemoryBound: 0
; FloatMode: 240
; IeeeMode: 1
; LDSByteSize: 0 bytes/workgroup (compile time only)
; SGPRBlocks: 0
; VGPRBlocks: 12
; NumSGPRsForWavesPerEU: 17
; NumVGPRsForWavesPerEU: 103
; Occupancy: 9
; WaveLimiterHint : 0
; COMPUTE_PGM_RSRC2:SCRATCH_EN: 0
; COMPUTE_PGM_RSRC2:USER_SGPR: 6
; COMPUTE_PGM_RSRC2:TRAP_HANDLER: 0
; COMPUTE_PGM_RSRC2:TGID_X_EN: 1
; COMPUTE_PGM_RSRC2:TGID_Y_EN: 1
; COMPUTE_PGM_RSRC2:TGID_Z_EN: 0
; COMPUTE_PGM_RSRC2:TIDIG_COMP_CNT: 1
	.section	.text._ZN9rocsolver6v33100L18getf2_small_kernelILi10E19rocblas_complex_numIdEiiPS3_EEvT1_T3_lS5_lPS5_llPT2_S5_S5_S7_l,"axG",@progbits,_ZN9rocsolver6v33100L18getf2_small_kernelILi10E19rocblas_complex_numIdEiiPS3_EEvT1_T3_lS5_lPS5_llPT2_S5_S5_S7_l,comdat
	.globl	_ZN9rocsolver6v33100L18getf2_small_kernelILi10E19rocblas_complex_numIdEiiPS3_EEvT1_T3_lS5_lPS5_llPT2_S5_S5_S7_l ; -- Begin function _ZN9rocsolver6v33100L18getf2_small_kernelILi10E19rocblas_complex_numIdEiiPS3_EEvT1_T3_lS5_lPS5_llPT2_S5_S5_S7_l
	.p2align	8
	.type	_ZN9rocsolver6v33100L18getf2_small_kernelILi10E19rocblas_complex_numIdEiiPS3_EEvT1_T3_lS5_lPS5_llPT2_S5_S5_S7_l,@function
_ZN9rocsolver6v33100L18getf2_small_kernelILi10E19rocblas_complex_numIdEiiPS3_EEvT1_T3_lS5_lPS5_llPT2_S5_S5_S7_l: ; @_ZN9rocsolver6v33100L18getf2_small_kernelILi10E19rocblas_complex_numIdEiiPS3_EEvT1_T3_lS5_lPS5_llPT2_S5_S5_S7_l
; %bb.0:
	s_clause 0x1
	s_load_dword s0, s[4:5], 0x6c
	s_load_dwordx2 s[16:17], s[4:5], 0x48
	s_waitcnt lgkmcnt(0)
	s_lshr_b32 s0, s0, 16
	v_mad_u64_u32 v[46:47], null, s7, s0, v[1:2]
	s_mov_b32 s0, exec_lo
	v_cmpx_gt_i32_e64 s16, v46
	s_cbranch_execz .LBB18_213
; %bb.1:
	s_load_dwordx4 s[0:3], s[4:5], 0x50
	v_mov_b32_e32 v48, 0
	v_ashrrev_i32_e32 v47, 31, v46
	v_mov_b32_e32 v49, 0
	s_waitcnt lgkmcnt(0)
	s_cmp_eq_u64 s[0:1], 0
	s_cselect_b32 s16, -1, 0
	s_and_b32 vcc_lo, exec_lo, s16
	s_cbranch_vccnz .LBB18_3
; %bb.2:
	v_mul_lo_u32 v4, s3, v46
	v_mul_lo_u32 v5, s2, v47
	v_mad_u64_u32 v[2:3], null, s2, v46, 0
	v_add3_u32 v3, v3, v5, v4
	v_lshlrev_b64 v[2:3], 2, v[2:3]
	v_add_co_u32 v48, vcc_lo, s0, v2
	v_add_co_ci_u32_e64 v49, null, s1, v3, vcc_lo
.LBB18_3:
	s_clause 0x2
	s_load_dwordx8 s[8:15], s[4:5], 0x20
	s_load_dword s6, s[4:5], 0x18
	s_load_dwordx4 s[0:3], s[4:5], 0x8
	v_lshlrev_b32_e32 v44, 4, v0
	v_mov_b32_e32 v50, 0
	s_waitcnt lgkmcnt(0)
	v_mul_lo_u32 v5, s9, v46
	v_mul_lo_u32 v7, s8, v47
	v_mad_u64_u32 v[2:3], null, s8, v46, 0
	v_add3_u32 v4, s6, s6, v0
	s_lshl_b64 s[2:3], s[2:3], 4
	s_ashr_i32 s7, s6, 31
	s_lshl_b64 s[8:9], s[6:7], 4
	v_add_nc_u32_e32 v6, s6, v4
	v_add3_u32 v3, v3, v7, v5
	v_ashrrev_i32_e32 v5, 31, v4
	v_add_nc_u32_e32 v8, s6, v6
	v_lshlrev_b64 v[2:3], 4, v[2:3]
	v_ashrrev_i32_e32 v7, 31, v6
	v_lshlrev_b64 v[4:5], 4, v[4:5]
	v_ashrrev_i32_e32 v9, 31, v8
	v_add_nc_u32_e32 v10, s6, v8
	v_add_co_u32 v12, vcc_lo, s0, v2
	v_add_co_ci_u32_e64 v13, null, s1, v3, vcc_lo
	v_lshlrev_b64 v[6:7], 4, v[6:7]
	v_add_co_u32 v53, vcc_lo, v12, s2
	v_add_co_ci_u32_e64 v54, null, s3, v13, vcc_lo
	v_lshlrev_b64 v[2:3], 4, v[8:9]
	v_add_nc_u32_e32 v8, s6, v10
	v_add_co_u32 v13, vcc_lo, v53, v44
	v_ashrrev_i32_e32 v11, 31, v10
	v_add_co_ci_u32_e64 v14, null, 0, v54, vcc_lo
	v_add_co_u32 v4, vcc_lo, v53, v4
	v_add_co_ci_u32_e64 v5, null, v54, v5, vcc_lo
	v_add_co_u32 v6, vcc_lo, v53, v6
	v_add_nc_u32_e32 v12, s6, v8
	v_add_co_ci_u32_e64 v7, null, v54, v7, vcc_lo
	v_add_co_u32 v15, vcc_lo, v13, s8
	v_lshlrev_b64 v[10:11], 4, v[10:11]
	v_ashrrev_i32_e32 v9, 31, v8
	v_add_co_ci_u32_e64 v16, null, s9, v14, vcc_lo
	s_clause 0x3
	global_load_dwordx4 v[30:33], v[4:5], off
	global_load_dwordx4 v[22:25], v[6:7], off
	;; [unrolled: 1-line block ×4, first 2 shown]
	v_ashrrev_i32_e32 v13, 31, v12
	v_add_nc_u32_e32 v6, s6, v12
	v_add_co_u32 v2, vcc_lo, v53, v2
	v_add_co_ci_u32_e64 v3, null, v54, v3, vcc_lo
	v_lshlrev_b64 v[4:5], 4, v[8:9]
	v_add_co_u32 v8, vcc_lo, v53, v10
	v_add_co_ci_u32_e64 v9, null, v54, v11, vcc_lo
	v_lshlrev_b64 v[10:11], 4, v[12:13]
	v_add_nc_u32_e32 v12, s6, v6
	v_ashrrev_i32_e32 v7, 31, v6
	v_add_co_u32 v4, vcc_lo, v53, v4
	v_add_co_ci_u32_e64 v5, null, v54, v5, vcc_lo
	v_ashrrev_i32_e32 v13, 31, v12
	v_lshlrev_b64 v[6:7], 4, v[6:7]
	v_add_co_u32 v10, vcc_lo, v53, v10
	v_add_co_ci_u32_e64 v11, null, v54, v11, vcc_lo
	v_lshlrev_b64 v[12:13], 4, v[12:13]
	v_add_co_u32 v6, vcc_lo, v53, v6
	v_add_co_ci_u32_e64 v7, null, v54, v7, vcc_lo
	s_load_dword s3, s[4:5], 0x0
	v_add_co_u32 v42, vcc_lo, v53, v12
	v_add_co_ci_u32_e64 v43, null, v54, v13, vcc_lo
	s_clause 0x5
	global_load_dwordx4 v[26:29], v[2:3], off
	global_load_dwordx4 v[18:21], v[8:9], off
	global_load_dwordx4 v[14:17], v[4:5], off
	global_load_dwordx4 v[10:13], v[10:11], off
	global_load_dwordx4 v[6:9], v[6:7], off
	global_load_dwordx4 v[2:5], v[42:43], off
	s_load_dwordx2 s[4:5], s[4:5], 0x40
	s_waitcnt lgkmcnt(0)
	s_max_i32 s0, s3, 10
	s_cmp_lt_i32 s3, 2
	v_mul_lo_u32 v51, s0, v1
	v_lshl_add_u32 v1, v51, 4, 0
	v_lshlrev_b32_e32 v52, 4, v51
	v_add_nc_u32_e32 v42, v1, v44
	s_waitcnt vmcnt(7)
	ds_write2_b64 v42, v[38:39], v[40:41] offset1:1
	s_waitcnt vmcnt(0) lgkmcnt(0)
	s_barrier
	buffer_gl0_inv
	ds_read2_b64 v[42:45], v1 offset1:1
	s_cbranch_scc1 .LBB18_6
; %bb.4:
	v_add3_u32 v51, v52, 0, 16
	v_mov_b32_e32 v50, 0
	s_mov_b32 s7, 1
	s_inst_prefetch 0x1
	.p2align	6
.LBB18_5:                               ; =>This Inner Loop Header: Depth=1
	ds_read2_b64 v[55:58], v51 offset1:1
	s_waitcnt lgkmcnt(1)
	v_cmp_gt_f64_e32 vcc_lo, 0, v[42:43]
	v_cmp_gt_f64_e64 s0, 0, v[44:45]
	v_xor_b32_e32 v60, 0x80000000, v43
	v_xor_b32_e32 v62, 0x80000000, v45
	v_mov_b32_e32 v59, v42
	v_mov_b32_e32 v61, v44
	v_add_nc_u32_e32 v51, 16, v51
	s_waitcnt lgkmcnt(0)
	v_cmp_gt_f64_e64 s1, 0, v[55:56]
	v_cmp_gt_f64_e64 s2, 0, v[57:58]
	v_xor_b32_e32 v64, 0x80000000, v56
	v_xor_b32_e32 v66, 0x80000000, v58
	v_mov_b32_e32 v63, v55
	v_mov_b32_e32 v65, v57
	v_cndmask_b32_e32 v60, v43, v60, vcc_lo
	v_cndmask_b32_e64 v62, v45, v62, s0
	v_add_f64 v[59:60], v[59:60], v[61:62]
	v_cndmask_b32_e64 v64, v56, v64, s1
	v_cndmask_b32_e64 v66, v58, v66, s2
	v_add_f64 v[61:62], v[63:64], v[65:66]
	v_cmp_lt_f64_e32 vcc_lo, v[59:60], v[61:62]
	v_cndmask_b32_e32 v43, v43, v56, vcc_lo
	v_cndmask_b32_e32 v42, v42, v55, vcc_lo
	;; [unrolled: 1-line block ×4, first 2 shown]
	v_cndmask_b32_e64 v50, v50, s7, vcc_lo
	s_add_i32 s7, s7, 1
	s_cmp_eq_u32 s3, s7
	s_cbranch_scc0 .LBB18_5
.LBB18_6:
	s_inst_prefetch 0x2
	s_waitcnt lgkmcnt(0)
	v_cmp_neq_f64_e32 vcc_lo, 0, v[42:43]
	v_cmp_neq_f64_e64 s0, 0, v[44:45]
	v_mov_b32_e32 v55, 1
	v_mov_b32_e32 v57, 1
	s_or_b32 s1, vcc_lo, s0
	s_and_saveexec_b32 s0, s1
	s_cbranch_execz .LBB18_12
; %bb.7:
	v_cmp_ngt_f64_e64 s1, |v[42:43]|, |v[44:45]|
	s_and_saveexec_b32 s2, s1
	s_xor_b32 s1, exec_lo, s2
	s_cbranch_execz .LBB18_9
; %bb.8:
	v_div_scale_f64 v[55:56], null, v[44:45], v[44:45], v[42:43]
	v_div_scale_f64 v[61:62], vcc_lo, v[42:43], v[44:45], v[42:43]
	v_rcp_f64_e32 v[57:58], v[55:56]
	v_fma_f64 v[59:60], -v[55:56], v[57:58], 1.0
	v_fma_f64 v[57:58], v[57:58], v[59:60], v[57:58]
	v_fma_f64 v[59:60], -v[55:56], v[57:58], 1.0
	v_fma_f64 v[57:58], v[57:58], v[59:60], v[57:58]
	v_mul_f64 v[59:60], v[61:62], v[57:58]
	v_fma_f64 v[55:56], -v[55:56], v[59:60], v[61:62]
	v_div_fmas_f64 v[55:56], v[55:56], v[57:58], v[59:60]
	v_div_fixup_f64 v[55:56], v[55:56], v[44:45], v[42:43]
	v_fma_f64 v[42:43], v[42:43], v[55:56], v[44:45]
	v_div_scale_f64 v[44:45], null, v[42:43], v[42:43], 1.0
	v_rcp_f64_e32 v[57:58], v[44:45]
	v_fma_f64 v[59:60], -v[44:45], v[57:58], 1.0
	v_fma_f64 v[57:58], v[57:58], v[59:60], v[57:58]
	v_fma_f64 v[59:60], -v[44:45], v[57:58], 1.0
	v_fma_f64 v[57:58], v[57:58], v[59:60], v[57:58]
	v_div_scale_f64 v[59:60], vcc_lo, 1.0, v[42:43], 1.0
	v_mul_f64 v[61:62], v[59:60], v[57:58]
	v_fma_f64 v[44:45], -v[44:45], v[61:62], v[59:60]
	v_div_fmas_f64 v[44:45], v[44:45], v[57:58], v[61:62]
	v_div_fixup_f64 v[44:45], v[44:45], v[42:43], 1.0
	v_mul_f64 v[42:43], v[55:56], v[44:45]
	v_xor_b32_e32 v45, 0x80000000, v45
.LBB18_9:
	s_andn2_saveexec_b32 s1, s1
	s_cbranch_execz .LBB18_11
; %bb.10:
	v_div_scale_f64 v[55:56], null, v[42:43], v[42:43], v[44:45]
	v_div_scale_f64 v[61:62], vcc_lo, v[44:45], v[42:43], v[44:45]
	v_rcp_f64_e32 v[57:58], v[55:56]
	v_fma_f64 v[59:60], -v[55:56], v[57:58], 1.0
	v_fma_f64 v[57:58], v[57:58], v[59:60], v[57:58]
	v_fma_f64 v[59:60], -v[55:56], v[57:58], 1.0
	v_fma_f64 v[57:58], v[57:58], v[59:60], v[57:58]
	v_mul_f64 v[59:60], v[61:62], v[57:58]
	v_fma_f64 v[55:56], -v[55:56], v[59:60], v[61:62]
	v_div_fmas_f64 v[55:56], v[55:56], v[57:58], v[59:60]
	v_div_fixup_f64 v[55:56], v[55:56], v[42:43], v[44:45]
	v_fma_f64 v[42:43], v[44:45], v[55:56], v[42:43]
	v_div_scale_f64 v[44:45], null, v[42:43], v[42:43], 1.0
	v_rcp_f64_e32 v[57:58], v[44:45]
	v_fma_f64 v[59:60], -v[44:45], v[57:58], 1.0
	v_fma_f64 v[57:58], v[57:58], v[59:60], v[57:58]
	v_fma_f64 v[59:60], -v[44:45], v[57:58], 1.0
	v_fma_f64 v[57:58], v[57:58], v[59:60], v[57:58]
	v_div_scale_f64 v[59:60], vcc_lo, 1.0, v[42:43], 1.0
	v_mul_f64 v[61:62], v[59:60], v[57:58]
	v_fma_f64 v[44:45], -v[44:45], v[61:62], v[59:60]
	v_div_fmas_f64 v[44:45], v[44:45], v[57:58], v[61:62]
	v_div_fixup_f64 v[42:43], v[44:45], v[42:43], 1.0
	v_mul_f64 v[44:45], v[55:56], -v[42:43]
.LBB18_11:
	s_or_b32 exec_lo, exec_lo, s1
	v_mov_b32_e32 v57, 0
	v_mov_b32_e32 v55, 2
.LBB18_12:
	s_or_b32 exec_lo, exec_lo, s0
	s_mov_b32 s0, exec_lo
	v_cmpx_ne_u32_e64 v0, v50
	s_xor_b32 s0, exec_lo, s0
	s_cbranch_execz .LBB18_18
; %bb.13:
	s_mov_b32 s1, exec_lo
	v_cmpx_eq_u32_e32 0, v0
	s_cbranch_execz .LBB18_17
; %bb.14:
	v_cmp_ne_u32_e32 vcc_lo, 0, v50
	s_xor_b32 s2, s16, -1
	s_and_b32 s7, s2, vcc_lo
	s_and_saveexec_b32 s2, s7
	s_cbranch_execz .LBB18_16
; %bb.15:
	v_ashrrev_i32_e32 v51, 31, v50
	v_lshlrev_b64 v[58:59], 2, v[50:51]
	v_add_co_u32 v58, vcc_lo, v48, v58
	v_add_co_ci_u32_e64 v59, null, v49, v59, vcc_lo
	s_clause 0x1
	global_load_dword v0, v[58:59], off
	global_load_dword v51, v[48:49], off
	s_waitcnt vmcnt(1)
	global_store_dword v[48:49], v0, off
	s_waitcnt vmcnt(0)
	global_store_dword v[58:59], v51, off
.LBB18_16:
	s_or_b32 exec_lo, exec_lo, s2
	v_mov_b32_e32 v0, v50
.LBB18_17:
	s_or_b32 exec_lo, exec_lo, s1
.LBB18_18:
	s_or_saveexec_b32 s0, s0
	v_mov_b32_e32 v56, v0
	s_xor_b32 exec_lo, exec_lo, s0
	s_cbranch_execz .LBB18_20
; %bb.19:
	v_mov_b32_e32 v56, 0
	ds_write2_b64 v1, v[34:35], v[36:37] offset0:2 offset1:3
	ds_write2_b64 v1, v[30:31], v[32:33] offset0:4 offset1:5
	;; [unrolled: 1-line block ×9, first 2 shown]
.LBB18_20:
	s_or_b32 exec_lo, exec_lo, s0
	s_mov_b32 s0, exec_lo
	s_waitcnt lgkmcnt(0)
	s_waitcnt_vscnt null, 0x0
	s_barrier
	buffer_gl0_inv
	v_cmpx_lt_i32_e32 0, v56
	s_cbranch_execz .LBB18_22
; %bb.21:
	v_mul_f64 v[50:51], v[42:43], v[40:41]
	v_mul_f64 v[40:41], v[44:45], v[40:41]
	v_fma_f64 v[50:51], v[44:45], v[38:39], v[50:51]
	v_fma_f64 v[38:39], v[42:43], v[38:39], -v[40:41]
	ds_read2_b64 v[40:43], v1 offset0:2 offset1:3
	s_waitcnt lgkmcnt(0)
	v_mul_f64 v[44:45], v[42:43], v[50:51]
	v_fma_f64 v[44:45], v[40:41], v[38:39], -v[44:45]
	v_mul_f64 v[40:41], v[40:41], v[50:51]
	v_add_f64 v[34:35], v[34:35], -v[44:45]
	v_fma_f64 v[40:41], v[42:43], v[38:39], v[40:41]
	v_add_f64 v[36:37], v[36:37], -v[40:41]
	ds_read2_b64 v[40:43], v1 offset0:4 offset1:5
	s_waitcnt lgkmcnt(0)
	v_mul_f64 v[44:45], v[42:43], v[50:51]
	v_fma_f64 v[44:45], v[40:41], v[38:39], -v[44:45]
	v_mul_f64 v[40:41], v[40:41], v[50:51]
	v_add_f64 v[30:31], v[30:31], -v[44:45]
	v_fma_f64 v[40:41], v[42:43], v[38:39], v[40:41]
	v_add_f64 v[32:33], v[32:33], -v[40:41]
	ds_read2_b64 v[40:43], v1 offset0:6 offset1:7
	s_waitcnt lgkmcnt(0)
	v_mul_f64 v[44:45], v[42:43], v[50:51]
	v_fma_f64 v[44:45], v[40:41], v[38:39], -v[44:45]
	v_mul_f64 v[40:41], v[40:41], v[50:51]
	v_add_f64 v[22:23], v[22:23], -v[44:45]
	v_fma_f64 v[40:41], v[42:43], v[38:39], v[40:41]
	v_add_f64 v[24:25], v[24:25], -v[40:41]
	ds_read2_b64 v[40:43], v1 offset0:8 offset1:9
	s_waitcnt lgkmcnt(0)
	v_mul_f64 v[44:45], v[42:43], v[50:51]
	v_fma_f64 v[44:45], v[40:41], v[38:39], -v[44:45]
	v_mul_f64 v[40:41], v[40:41], v[50:51]
	v_add_f64 v[26:27], v[26:27], -v[44:45]
	v_fma_f64 v[40:41], v[42:43], v[38:39], v[40:41]
	v_add_f64 v[28:29], v[28:29], -v[40:41]
	ds_read2_b64 v[40:43], v1 offset0:10 offset1:11
	s_waitcnt lgkmcnt(0)
	v_mul_f64 v[44:45], v[42:43], v[50:51]
	v_fma_f64 v[44:45], v[40:41], v[38:39], -v[44:45]
	v_mul_f64 v[40:41], v[40:41], v[50:51]
	v_add_f64 v[18:19], v[18:19], -v[44:45]
	v_fma_f64 v[40:41], v[42:43], v[38:39], v[40:41]
	v_add_f64 v[20:21], v[20:21], -v[40:41]
	ds_read2_b64 v[40:43], v1 offset0:12 offset1:13
	s_waitcnt lgkmcnt(0)
	v_mul_f64 v[44:45], v[42:43], v[50:51]
	v_fma_f64 v[44:45], v[40:41], v[38:39], -v[44:45]
	v_mul_f64 v[40:41], v[40:41], v[50:51]
	v_add_f64 v[14:15], v[14:15], -v[44:45]
	v_fma_f64 v[40:41], v[42:43], v[38:39], v[40:41]
	v_add_f64 v[16:17], v[16:17], -v[40:41]
	ds_read2_b64 v[40:43], v1 offset0:14 offset1:15
	s_waitcnt lgkmcnt(0)
	v_mul_f64 v[44:45], v[42:43], v[50:51]
	v_fma_f64 v[44:45], v[40:41], v[38:39], -v[44:45]
	v_mul_f64 v[40:41], v[40:41], v[50:51]
	v_add_f64 v[10:11], v[10:11], -v[44:45]
	v_fma_f64 v[40:41], v[42:43], v[38:39], v[40:41]
	v_add_f64 v[12:13], v[12:13], -v[40:41]
	ds_read2_b64 v[40:43], v1 offset0:16 offset1:17
	s_waitcnt lgkmcnt(0)
	v_mul_f64 v[44:45], v[42:43], v[50:51]
	v_fma_f64 v[44:45], v[40:41], v[38:39], -v[44:45]
	v_mul_f64 v[40:41], v[40:41], v[50:51]
	v_add_f64 v[6:7], v[6:7], -v[44:45]
	v_fma_f64 v[40:41], v[42:43], v[38:39], v[40:41]
	v_add_f64 v[8:9], v[8:9], -v[40:41]
	ds_read2_b64 v[40:43], v1 offset0:18 offset1:19
	s_waitcnt lgkmcnt(0)
	v_mul_f64 v[44:45], v[42:43], v[50:51]
	v_fma_f64 v[44:45], v[40:41], v[38:39], -v[44:45]
	v_mul_f64 v[40:41], v[40:41], v[50:51]
	v_add_f64 v[2:3], v[2:3], -v[44:45]
	v_fma_f64 v[40:41], v[42:43], v[38:39], v[40:41]
	v_add_f64 v[4:5], v[4:5], -v[40:41]
	v_mov_b32_e32 v40, v50
	v_mov_b32_e32 v41, v51
.LBB18_22:
	s_or_b32 exec_lo, exec_lo, s0
	v_lshl_add_u32 v42, v56, 4, v1
	s_barrier
	buffer_gl0_inv
	v_mov_b32_e32 v50, 1
	ds_write2_b64 v42, v[34:35], v[36:37] offset1:1
	s_waitcnt lgkmcnt(0)
	s_barrier
	buffer_gl0_inv
	ds_read2_b64 v[42:45], v1 offset0:2 offset1:3
	s_cmp_lt_i32 s3, 3
	s_cbranch_scc1 .LBB18_25
; %bb.23:
	v_add3_u32 v51, v52, 0, 32
	v_mov_b32_e32 v50, 1
	s_mov_b32 s1, 2
	s_inst_prefetch 0x1
	.p2align	6
.LBB18_24:                              ; =>This Inner Loop Header: Depth=1
	s_waitcnt lgkmcnt(0)
	v_cmp_gt_f64_e32 vcc_lo, 0, v[44:45]
	v_cmp_gt_f64_e64 s0, 0, v[42:43]
	ds_read2_b64 v[58:61], v51 offset1:1
	v_xor_b32_e32 v63, 0x80000000, v43
	v_xor_b32_e32 v65, 0x80000000, v45
	v_mov_b32_e32 v62, v42
	v_mov_b32_e32 v64, v44
	v_add_nc_u32_e32 v51, 16, v51
	s_waitcnt lgkmcnt(0)
	v_xor_b32_e32 v67, 0x80000000, v61
	v_cndmask_b32_e64 v63, v43, v63, s0
	v_cndmask_b32_e32 v65, v45, v65, vcc_lo
	v_cmp_gt_f64_e32 vcc_lo, 0, v[60:61]
	v_cmp_gt_f64_e64 s0, 0, v[58:59]
	v_mov_b32_e32 v66, v60
	v_add_f64 v[62:63], v[62:63], v[64:65]
	v_xor_b32_e32 v65, 0x80000000, v59
	v_mov_b32_e32 v64, v58
	v_cndmask_b32_e32 v67, v61, v67, vcc_lo
	v_cndmask_b32_e64 v65, v59, v65, s0
	v_add_f64 v[64:65], v[64:65], v[66:67]
	v_cmp_lt_f64_e32 vcc_lo, v[62:63], v[64:65]
	v_cndmask_b32_e32 v43, v43, v59, vcc_lo
	v_cndmask_b32_e32 v42, v42, v58, vcc_lo
	;; [unrolled: 1-line block ×4, first 2 shown]
	v_cndmask_b32_e64 v50, v50, s1, vcc_lo
	s_add_i32 s1, s1, 1
	s_cmp_lg_u32 s3, s1
	s_cbranch_scc1 .LBB18_24
.LBB18_25:
	s_inst_prefetch 0x2
	s_waitcnt lgkmcnt(0)
	v_cmp_neq_f64_e32 vcc_lo, 0, v[42:43]
	v_cmp_neq_f64_e64 s0, 0, v[44:45]
	s_or_b32 s1, vcc_lo, s0
	s_and_saveexec_b32 s0, s1
	s_cbranch_execz .LBB18_31
; %bb.26:
	v_cmp_ngt_f64_e64 s1, |v[42:43]|, |v[44:45]|
	s_and_saveexec_b32 s2, s1
	s_xor_b32 s1, exec_lo, s2
	s_cbranch_execz .LBB18_28
; %bb.27:
	v_div_scale_f64 v[58:59], null, v[44:45], v[44:45], v[42:43]
	v_div_scale_f64 v[64:65], vcc_lo, v[42:43], v[44:45], v[42:43]
	v_rcp_f64_e32 v[60:61], v[58:59]
	v_fma_f64 v[62:63], -v[58:59], v[60:61], 1.0
	v_fma_f64 v[60:61], v[60:61], v[62:63], v[60:61]
	v_fma_f64 v[62:63], -v[58:59], v[60:61], 1.0
	v_fma_f64 v[60:61], v[60:61], v[62:63], v[60:61]
	v_mul_f64 v[62:63], v[64:65], v[60:61]
	v_fma_f64 v[58:59], -v[58:59], v[62:63], v[64:65]
	v_div_fmas_f64 v[58:59], v[58:59], v[60:61], v[62:63]
	v_div_fixup_f64 v[58:59], v[58:59], v[44:45], v[42:43]
	v_fma_f64 v[42:43], v[42:43], v[58:59], v[44:45]
	v_div_scale_f64 v[44:45], null, v[42:43], v[42:43], 1.0
	v_rcp_f64_e32 v[60:61], v[44:45]
	v_fma_f64 v[62:63], -v[44:45], v[60:61], 1.0
	v_fma_f64 v[60:61], v[60:61], v[62:63], v[60:61]
	v_fma_f64 v[62:63], -v[44:45], v[60:61], 1.0
	v_fma_f64 v[60:61], v[60:61], v[62:63], v[60:61]
	v_div_scale_f64 v[62:63], vcc_lo, 1.0, v[42:43], 1.0
	v_mul_f64 v[64:65], v[62:63], v[60:61]
	v_fma_f64 v[44:45], -v[44:45], v[64:65], v[62:63]
	v_div_fmas_f64 v[44:45], v[44:45], v[60:61], v[64:65]
	v_div_fixup_f64 v[44:45], v[44:45], v[42:43], 1.0
	v_mul_f64 v[42:43], v[58:59], v[44:45]
	v_xor_b32_e32 v45, 0x80000000, v45
.LBB18_28:
	s_andn2_saveexec_b32 s1, s1
	s_cbranch_execz .LBB18_30
; %bb.29:
	v_div_scale_f64 v[58:59], null, v[42:43], v[42:43], v[44:45]
	v_div_scale_f64 v[64:65], vcc_lo, v[44:45], v[42:43], v[44:45]
	v_rcp_f64_e32 v[60:61], v[58:59]
	v_fma_f64 v[62:63], -v[58:59], v[60:61], 1.0
	v_fma_f64 v[60:61], v[60:61], v[62:63], v[60:61]
	v_fma_f64 v[62:63], -v[58:59], v[60:61], 1.0
	v_fma_f64 v[60:61], v[60:61], v[62:63], v[60:61]
	v_mul_f64 v[62:63], v[64:65], v[60:61]
	v_fma_f64 v[58:59], -v[58:59], v[62:63], v[64:65]
	v_div_fmas_f64 v[58:59], v[58:59], v[60:61], v[62:63]
	v_div_fixup_f64 v[58:59], v[58:59], v[42:43], v[44:45]
	v_fma_f64 v[42:43], v[44:45], v[58:59], v[42:43]
	v_div_scale_f64 v[44:45], null, v[42:43], v[42:43], 1.0
	v_rcp_f64_e32 v[60:61], v[44:45]
	v_fma_f64 v[62:63], -v[44:45], v[60:61], 1.0
	v_fma_f64 v[60:61], v[60:61], v[62:63], v[60:61]
	v_fma_f64 v[62:63], -v[44:45], v[60:61], 1.0
	v_fma_f64 v[60:61], v[60:61], v[62:63], v[60:61]
	v_div_scale_f64 v[62:63], vcc_lo, 1.0, v[42:43], 1.0
	v_mul_f64 v[64:65], v[62:63], v[60:61]
	v_fma_f64 v[44:45], -v[44:45], v[64:65], v[62:63]
	v_div_fmas_f64 v[44:45], v[44:45], v[60:61], v[64:65]
	v_div_fixup_f64 v[42:43], v[44:45], v[42:43], 1.0
	v_mul_f64 v[44:45], v[58:59], -v[42:43]
.LBB18_30:
	s_or_b32 exec_lo, exec_lo, s1
	v_mov_b32_e32 v55, v57
.LBB18_31:
	s_or_b32 exec_lo, exec_lo, s0
	s_mov_b32 s0, exec_lo
	v_cmpx_ne_u32_e64 v56, v50
	s_xor_b32 s0, exec_lo, s0
	s_cbranch_execz .LBB18_37
; %bb.32:
	s_mov_b32 s1, exec_lo
	v_cmpx_eq_u32_e32 1, v56
	s_cbranch_execz .LBB18_36
; %bb.33:
	v_cmp_ne_u32_e32 vcc_lo, 1, v50
	s_xor_b32 s2, s16, -1
	s_and_b32 s7, s2, vcc_lo
	s_and_saveexec_b32 s2, s7
	s_cbranch_execz .LBB18_35
; %bb.34:
	v_ashrrev_i32_e32 v51, 31, v50
	v_lshlrev_b64 v[56:57], 2, v[50:51]
	v_add_co_u32 v56, vcc_lo, v48, v56
	v_add_co_ci_u32_e64 v57, null, v49, v57, vcc_lo
	s_clause 0x1
	global_load_dword v0, v[56:57], off
	global_load_dword v51, v[48:49], off offset:4
	s_waitcnt vmcnt(1)
	global_store_dword v[48:49], v0, off offset:4
	s_waitcnt vmcnt(0)
	global_store_dword v[56:57], v51, off
.LBB18_35:
	s_or_b32 exec_lo, exec_lo, s2
	v_mov_b32_e32 v56, v50
	v_mov_b32_e32 v0, v50
.LBB18_36:
	s_or_b32 exec_lo, exec_lo, s1
.LBB18_37:
	s_andn2_saveexec_b32 s0, s0
	s_cbranch_execz .LBB18_39
; %bb.38:
	v_mov_b32_e32 v56, 1
	ds_write2_b64 v1, v[30:31], v[32:33] offset0:4 offset1:5
	ds_write2_b64 v1, v[22:23], v[24:25] offset0:6 offset1:7
	;; [unrolled: 1-line block ×8, first 2 shown]
.LBB18_39:
	s_or_b32 exec_lo, exec_lo, s0
	s_mov_b32 s0, exec_lo
	s_waitcnt lgkmcnt(0)
	s_waitcnt_vscnt null, 0x0
	s_barrier
	buffer_gl0_inv
	v_cmpx_lt_i32_e32 1, v56
	s_cbranch_execz .LBB18_41
; %bb.40:
	v_mul_f64 v[50:51], v[42:43], v[36:37]
	v_mul_f64 v[36:37], v[44:45], v[36:37]
	v_fma_f64 v[50:51], v[44:45], v[34:35], v[50:51]
	v_fma_f64 v[34:35], v[42:43], v[34:35], -v[36:37]
	ds_read2_b64 v[42:45], v1 offset0:4 offset1:5
	s_waitcnt lgkmcnt(0)
	v_mul_f64 v[36:37], v[44:45], v[50:51]
	v_fma_f64 v[36:37], v[42:43], v[34:35], -v[36:37]
	v_mul_f64 v[42:43], v[42:43], v[50:51]
	v_add_f64 v[30:31], v[30:31], -v[36:37]
	v_fma_f64 v[42:43], v[44:45], v[34:35], v[42:43]
	v_add_f64 v[32:33], v[32:33], -v[42:43]
	ds_read2_b64 v[42:45], v1 offset0:6 offset1:7
	s_waitcnt lgkmcnt(0)
	v_mul_f64 v[36:37], v[44:45], v[50:51]
	v_fma_f64 v[36:37], v[42:43], v[34:35], -v[36:37]
	v_mul_f64 v[42:43], v[42:43], v[50:51]
	v_add_f64 v[22:23], v[22:23], -v[36:37]
	v_fma_f64 v[42:43], v[44:45], v[34:35], v[42:43]
	v_add_f64 v[24:25], v[24:25], -v[42:43]
	;; [unrolled: 8-line block ×7, first 2 shown]
	ds_read2_b64 v[42:45], v1 offset0:18 offset1:19
	s_waitcnt lgkmcnt(0)
	v_mul_f64 v[36:37], v[44:45], v[50:51]
	v_fma_f64 v[36:37], v[42:43], v[34:35], -v[36:37]
	v_mul_f64 v[42:43], v[42:43], v[50:51]
	v_add_f64 v[2:3], v[2:3], -v[36:37]
	v_fma_f64 v[42:43], v[44:45], v[34:35], v[42:43]
	v_mov_b32_e32 v36, v50
	v_mov_b32_e32 v37, v51
	v_add_f64 v[4:5], v[4:5], -v[42:43]
.LBB18_41:
	s_or_b32 exec_lo, exec_lo, s0
	v_lshl_add_u32 v42, v56, 4, v1
	s_barrier
	buffer_gl0_inv
	v_mov_b32_e32 v50, 2
	ds_write2_b64 v42, v[30:31], v[32:33] offset1:1
	s_waitcnt lgkmcnt(0)
	s_barrier
	buffer_gl0_inv
	ds_read2_b64 v[42:45], v1 offset0:4 offset1:5
	s_cmp_lt_i32 s3, 4
	s_cbranch_scc1 .LBB18_44
; %bb.42:
	v_add3_u32 v51, v52, 0, 48
	v_mov_b32_e32 v50, 2
	s_mov_b32 s1, 3
	s_inst_prefetch 0x1
	.p2align	6
.LBB18_43:                              ; =>This Inner Loop Header: Depth=1
	s_waitcnt lgkmcnt(0)
	v_cmp_gt_f64_e32 vcc_lo, 0, v[44:45]
	v_cmp_gt_f64_e64 s0, 0, v[42:43]
	ds_read2_b64 v[57:60], v51 offset1:1
	v_xor_b32_e32 v62, 0x80000000, v43
	v_xor_b32_e32 v64, 0x80000000, v45
	v_mov_b32_e32 v61, v42
	v_mov_b32_e32 v63, v44
	v_add_nc_u32_e32 v51, 16, v51
	s_waitcnt lgkmcnt(0)
	v_xor_b32_e32 v66, 0x80000000, v60
	v_cndmask_b32_e64 v62, v43, v62, s0
	v_cndmask_b32_e32 v64, v45, v64, vcc_lo
	v_cmp_gt_f64_e32 vcc_lo, 0, v[59:60]
	v_cmp_gt_f64_e64 s0, 0, v[57:58]
	v_mov_b32_e32 v65, v59
	v_add_f64 v[61:62], v[61:62], v[63:64]
	v_xor_b32_e32 v64, 0x80000000, v58
	v_mov_b32_e32 v63, v57
	v_cndmask_b32_e32 v66, v60, v66, vcc_lo
	v_cndmask_b32_e64 v64, v58, v64, s0
	v_add_f64 v[63:64], v[63:64], v[65:66]
	v_cmp_lt_f64_e32 vcc_lo, v[61:62], v[63:64]
	v_cndmask_b32_e32 v43, v43, v58, vcc_lo
	v_cndmask_b32_e32 v42, v42, v57, vcc_lo
	;; [unrolled: 1-line block ×4, first 2 shown]
	v_cndmask_b32_e64 v50, v50, s1, vcc_lo
	s_add_i32 s1, s1, 1
	s_cmp_lg_u32 s3, s1
	s_cbranch_scc1 .LBB18_43
.LBB18_44:
	s_inst_prefetch 0x2
	s_waitcnt lgkmcnt(0)
	v_cmp_eq_f64_e32 vcc_lo, 0, v[42:43]
	v_cmp_eq_f64_e64 s0, 0, v[44:45]
	s_and_b32 s0, vcc_lo, s0
	s_and_saveexec_b32 s1, s0
	s_xor_b32 s0, exec_lo, s1
; %bb.45:
	v_cmp_ne_u32_e32 vcc_lo, 0, v55
	v_cndmask_b32_e32 v55, 3, v55, vcc_lo
; %bb.46:
	s_andn2_saveexec_b32 s0, s0
	s_cbranch_execz .LBB18_52
; %bb.47:
	v_cmp_ngt_f64_e64 s1, |v[42:43]|, |v[44:45]|
	s_and_saveexec_b32 s2, s1
	s_xor_b32 s1, exec_lo, s2
	s_cbranch_execz .LBB18_49
; %bb.48:
	v_div_scale_f64 v[57:58], null, v[44:45], v[44:45], v[42:43]
	v_div_scale_f64 v[63:64], vcc_lo, v[42:43], v[44:45], v[42:43]
	v_rcp_f64_e32 v[59:60], v[57:58]
	v_fma_f64 v[61:62], -v[57:58], v[59:60], 1.0
	v_fma_f64 v[59:60], v[59:60], v[61:62], v[59:60]
	v_fma_f64 v[61:62], -v[57:58], v[59:60], 1.0
	v_fma_f64 v[59:60], v[59:60], v[61:62], v[59:60]
	v_mul_f64 v[61:62], v[63:64], v[59:60]
	v_fma_f64 v[57:58], -v[57:58], v[61:62], v[63:64]
	v_div_fmas_f64 v[57:58], v[57:58], v[59:60], v[61:62]
	v_div_fixup_f64 v[57:58], v[57:58], v[44:45], v[42:43]
	v_fma_f64 v[42:43], v[42:43], v[57:58], v[44:45]
	v_div_scale_f64 v[44:45], null, v[42:43], v[42:43], 1.0
	v_rcp_f64_e32 v[59:60], v[44:45]
	v_fma_f64 v[61:62], -v[44:45], v[59:60], 1.0
	v_fma_f64 v[59:60], v[59:60], v[61:62], v[59:60]
	v_fma_f64 v[61:62], -v[44:45], v[59:60], 1.0
	v_fma_f64 v[59:60], v[59:60], v[61:62], v[59:60]
	v_div_scale_f64 v[61:62], vcc_lo, 1.0, v[42:43], 1.0
	v_mul_f64 v[63:64], v[61:62], v[59:60]
	v_fma_f64 v[44:45], -v[44:45], v[63:64], v[61:62]
	v_div_fmas_f64 v[44:45], v[44:45], v[59:60], v[63:64]
	v_div_fixup_f64 v[44:45], v[44:45], v[42:43], 1.0
	v_mul_f64 v[42:43], v[57:58], v[44:45]
	v_xor_b32_e32 v45, 0x80000000, v45
.LBB18_49:
	s_andn2_saveexec_b32 s1, s1
	s_cbranch_execz .LBB18_51
; %bb.50:
	v_div_scale_f64 v[57:58], null, v[42:43], v[42:43], v[44:45]
	v_div_scale_f64 v[63:64], vcc_lo, v[44:45], v[42:43], v[44:45]
	v_rcp_f64_e32 v[59:60], v[57:58]
	v_fma_f64 v[61:62], -v[57:58], v[59:60], 1.0
	v_fma_f64 v[59:60], v[59:60], v[61:62], v[59:60]
	v_fma_f64 v[61:62], -v[57:58], v[59:60], 1.0
	v_fma_f64 v[59:60], v[59:60], v[61:62], v[59:60]
	v_mul_f64 v[61:62], v[63:64], v[59:60]
	v_fma_f64 v[57:58], -v[57:58], v[61:62], v[63:64]
	v_div_fmas_f64 v[57:58], v[57:58], v[59:60], v[61:62]
	v_div_fixup_f64 v[57:58], v[57:58], v[42:43], v[44:45]
	v_fma_f64 v[42:43], v[44:45], v[57:58], v[42:43]
	v_div_scale_f64 v[44:45], null, v[42:43], v[42:43], 1.0
	v_rcp_f64_e32 v[59:60], v[44:45]
	v_fma_f64 v[61:62], -v[44:45], v[59:60], 1.0
	v_fma_f64 v[59:60], v[59:60], v[61:62], v[59:60]
	v_fma_f64 v[61:62], -v[44:45], v[59:60], 1.0
	v_fma_f64 v[59:60], v[59:60], v[61:62], v[59:60]
	v_div_scale_f64 v[61:62], vcc_lo, 1.0, v[42:43], 1.0
	v_mul_f64 v[63:64], v[61:62], v[59:60]
	v_fma_f64 v[44:45], -v[44:45], v[63:64], v[61:62]
	v_div_fmas_f64 v[44:45], v[44:45], v[59:60], v[63:64]
	v_div_fixup_f64 v[42:43], v[44:45], v[42:43], 1.0
	v_mul_f64 v[44:45], v[57:58], -v[42:43]
.LBB18_51:
	s_or_b32 exec_lo, exec_lo, s1
.LBB18_52:
	s_or_b32 exec_lo, exec_lo, s0
	s_mov_b32 s0, exec_lo
	v_cmpx_ne_u32_e64 v56, v50
	s_xor_b32 s0, exec_lo, s0
	s_cbranch_execz .LBB18_58
; %bb.53:
	s_mov_b32 s1, exec_lo
	v_cmpx_eq_u32_e32 2, v56
	s_cbranch_execz .LBB18_57
; %bb.54:
	v_cmp_ne_u32_e32 vcc_lo, 2, v50
	s_xor_b32 s2, s16, -1
	s_and_b32 s7, s2, vcc_lo
	s_and_saveexec_b32 s2, s7
	s_cbranch_execz .LBB18_56
; %bb.55:
	v_ashrrev_i32_e32 v51, 31, v50
	v_lshlrev_b64 v[56:57], 2, v[50:51]
	v_add_co_u32 v56, vcc_lo, v48, v56
	v_add_co_ci_u32_e64 v57, null, v49, v57, vcc_lo
	s_clause 0x1
	global_load_dword v0, v[56:57], off
	global_load_dword v51, v[48:49], off offset:8
	s_waitcnt vmcnt(1)
	global_store_dword v[48:49], v0, off offset:8
	s_waitcnt vmcnt(0)
	global_store_dword v[56:57], v51, off
.LBB18_56:
	s_or_b32 exec_lo, exec_lo, s2
	v_mov_b32_e32 v56, v50
	v_mov_b32_e32 v0, v50
.LBB18_57:
	s_or_b32 exec_lo, exec_lo, s1
.LBB18_58:
	s_andn2_saveexec_b32 s0, s0
	s_cbranch_execz .LBB18_60
; %bb.59:
	v_mov_b32_e32 v56, 2
	ds_write2_b64 v1, v[22:23], v[24:25] offset0:6 offset1:7
	ds_write2_b64 v1, v[26:27], v[28:29] offset0:8 offset1:9
	ds_write2_b64 v1, v[18:19], v[20:21] offset0:10 offset1:11
	ds_write2_b64 v1, v[14:15], v[16:17] offset0:12 offset1:13
	ds_write2_b64 v1, v[10:11], v[12:13] offset0:14 offset1:15
	ds_write2_b64 v1, v[6:7], v[8:9] offset0:16 offset1:17
	ds_write2_b64 v1, v[2:3], v[4:5] offset0:18 offset1:19
.LBB18_60:
	s_or_b32 exec_lo, exec_lo, s0
	s_mov_b32 s0, exec_lo
	s_waitcnt lgkmcnt(0)
	s_waitcnt_vscnt null, 0x0
	s_barrier
	buffer_gl0_inv
	v_cmpx_lt_i32_e32 2, v56
	s_cbranch_execz .LBB18_62
; %bb.61:
	v_mul_f64 v[50:51], v[42:43], v[32:33]
	v_mul_f64 v[32:33], v[44:45], v[32:33]
	v_fma_f64 v[50:51], v[44:45], v[30:31], v[50:51]
	v_fma_f64 v[30:31], v[42:43], v[30:31], -v[32:33]
	ds_read2_b64 v[42:45], v1 offset0:6 offset1:7
	s_waitcnt lgkmcnt(0)
	v_mul_f64 v[32:33], v[44:45], v[50:51]
	v_fma_f64 v[32:33], v[42:43], v[30:31], -v[32:33]
	v_mul_f64 v[42:43], v[42:43], v[50:51]
	v_add_f64 v[22:23], v[22:23], -v[32:33]
	v_fma_f64 v[42:43], v[44:45], v[30:31], v[42:43]
	v_add_f64 v[24:25], v[24:25], -v[42:43]
	ds_read2_b64 v[42:45], v1 offset0:8 offset1:9
	s_waitcnt lgkmcnt(0)
	v_mul_f64 v[32:33], v[44:45], v[50:51]
	v_fma_f64 v[32:33], v[42:43], v[30:31], -v[32:33]
	v_mul_f64 v[42:43], v[42:43], v[50:51]
	v_add_f64 v[26:27], v[26:27], -v[32:33]
	v_fma_f64 v[42:43], v[44:45], v[30:31], v[42:43]
	v_add_f64 v[28:29], v[28:29], -v[42:43]
	;; [unrolled: 8-line block ×6, first 2 shown]
	ds_read2_b64 v[42:45], v1 offset0:18 offset1:19
	s_waitcnt lgkmcnt(0)
	v_mul_f64 v[32:33], v[44:45], v[50:51]
	v_fma_f64 v[32:33], v[42:43], v[30:31], -v[32:33]
	v_mul_f64 v[42:43], v[42:43], v[50:51]
	v_add_f64 v[2:3], v[2:3], -v[32:33]
	v_fma_f64 v[42:43], v[44:45], v[30:31], v[42:43]
	v_mov_b32_e32 v32, v50
	v_mov_b32_e32 v33, v51
	v_add_f64 v[4:5], v[4:5], -v[42:43]
.LBB18_62:
	s_or_b32 exec_lo, exec_lo, s0
	v_lshl_add_u32 v42, v56, 4, v1
	s_barrier
	buffer_gl0_inv
	v_mov_b32_e32 v50, 3
	ds_write2_b64 v42, v[22:23], v[24:25] offset1:1
	s_waitcnt lgkmcnt(0)
	s_barrier
	buffer_gl0_inv
	ds_read2_b64 v[42:45], v1 offset0:6 offset1:7
	s_cmp_lt_i32 s3, 5
	s_mov_b32 s1, 4
	s_cbranch_scc1 .LBB18_65
; %bb.63:
	v_add3_u32 v51, v52, 0, 64
	v_mov_b32_e32 v50, 3
	s_inst_prefetch 0x1
	.p2align	6
.LBB18_64:                              ; =>This Inner Loop Header: Depth=1
	s_waitcnt lgkmcnt(0)
	v_cmp_gt_f64_e32 vcc_lo, 0, v[44:45]
	v_cmp_gt_f64_e64 s0, 0, v[42:43]
	ds_read2_b64 v[57:60], v51 offset1:1
	v_xor_b32_e32 v62, 0x80000000, v43
	v_xor_b32_e32 v64, 0x80000000, v45
	v_mov_b32_e32 v61, v42
	v_mov_b32_e32 v63, v44
	v_add_nc_u32_e32 v51, 16, v51
	s_waitcnt lgkmcnt(0)
	v_xor_b32_e32 v66, 0x80000000, v60
	v_cndmask_b32_e64 v62, v43, v62, s0
	v_cndmask_b32_e32 v64, v45, v64, vcc_lo
	v_cmp_gt_f64_e32 vcc_lo, 0, v[59:60]
	v_cmp_gt_f64_e64 s0, 0, v[57:58]
	v_mov_b32_e32 v65, v59
	v_add_f64 v[61:62], v[61:62], v[63:64]
	v_xor_b32_e32 v64, 0x80000000, v58
	v_mov_b32_e32 v63, v57
	v_cndmask_b32_e32 v66, v60, v66, vcc_lo
	v_cndmask_b32_e64 v64, v58, v64, s0
	v_add_f64 v[63:64], v[63:64], v[65:66]
	v_cmp_lt_f64_e32 vcc_lo, v[61:62], v[63:64]
	v_cndmask_b32_e32 v43, v43, v58, vcc_lo
	v_cndmask_b32_e32 v42, v42, v57, vcc_lo
	;; [unrolled: 1-line block ×4, first 2 shown]
	v_cndmask_b32_e64 v50, v50, s1, vcc_lo
	s_add_i32 s1, s1, 1
	s_cmp_lg_u32 s3, s1
	s_cbranch_scc1 .LBB18_64
.LBB18_65:
	s_inst_prefetch 0x2
	s_waitcnt lgkmcnt(0)
	v_cmp_eq_f64_e32 vcc_lo, 0, v[42:43]
	v_cmp_eq_f64_e64 s0, 0, v[44:45]
	s_and_b32 s0, vcc_lo, s0
	s_and_saveexec_b32 s1, s0
	s_xor_b32 s0, exec_lo, s1
; %bb.66:
	v_cmp_ne_u32_e32 vcc_lo, 0, v55
	v_cndmask_b32_e32 v55, 4, v55, vcc_lo
; %bb.67:
	s_andn2_saveexec_b32 s0, s0
	s_cbranch_execz .LBB18_73
; %bb.68:
	v_cmp_ngt_f64_e64 s1, |v[42:43]|, |v[44:45]|
	s_and_saveexec_b32 s2, s1
	s_xor_b32 s1, exec_lo, s2
	s_cbranch_execz .LBB18_70
; %bb.69:
	v_div_scale_f64 v[57:58], null, v[44:45], v[44:45], v[42:43]
	v_div_scale_f64 v[63:64], vcc_lo, v[42:43], v[44:45], v[42:43]
	v_rcp_f64_e32 v[59:60], v[57:58]
	v_fma_f64 v[61:62], -v[57:58], v[59:60], 1.0
	v_fma_f64 v[59:60], v[59:60], v[61:62], v[59:60]
	v_fma_f64 v[61:62], -v[57:58], v[59:60], 1.0
	v_fma_f64 v[59:60], v[59:60], v[61:62], v[59:60]
	v_mul_f64 v[61:62], v[63:64], v[59:60]
	v_fma_f64 v[57:58], -v[57:58], v[61:62], v[63:64]
	v_div_fmas_f64 v[57:58], v[57:58], v[59:60], v[61:62]
	v_div_fixup_f64 v[57:58], v[57:58], v[44:45], v[42:43]
	v_fma_f64 v[42:43], v[42:43], v[57:58], v[44:45]
	v_div_scale_f64 v[44:45], null, v[42:43], v[42:43], 1.0
	v_rcp_f64_e32 v[59:60], v[44:45]
	v_fma_f64 v[61:62], -v[44:45], v[59:60], 1.0
	v_fma_f64 v[59:60], v[59:60], v[61:62], v[59:60]
	v_fma_f64 v[61:62], -v[44:45], v[59:60], 1.0
	v_fma_f64 v[59:60], v[59:60], v[61:62], v[59:60]
	v_div_scale_f64 v[61:62], vcc_lo, 1.0, v[42:43], 1.0
	v_mul_f64 v[63:64], v[61:62], v[59:60]
	v_fma_f64 v[44:45], -v[44:45], v[63:64], v[61:62]
	v_div_fmas_f64 v[44:45], v[44:45], v[59:60], v[63:64]
	v_div_fixup_f64 v[44:45], v[44:45], v[42:43], 1.0
	v_mul_f64 v[42:43], v[57:58], v[44:45]
	v_xor_b32_e32 v45, 0x80000000, v45
.LBB18_70:
	s_andn2_saveexec_b32 s1, s1
	s_cbranch_execz .LBB18_72
; %bb.71:
	v_div_scale_f64 v[57:58], null, v[42:43], v[42:43], v[44:45]
	v_div_scale_f64 v[63:64], vcc_lo, v[44:45], v[42:43], v[44:45]
	v_rcp_f64_e32 v[59:60], v[57:58]
	v_fma_f64 v[61:62], -v[57:58], v[59:60], 1.0
	v_fma_f64 v[59:60], v[59:60], v[61:62], v[59:60]
	v_fma_f64 v[61:62], -v[57:58], v[59:60], 1.0
	v_fma_f64 v[59:60], v[59:60], v[61:62], v[59:60]
	v_mul_f64 v[61:62], v[63:64], v[59:60]
	v_fma_f64 v[57:58], -v[57:58], v[61:62], v[63:64]
	v_div_fmas_f64 v[57:58], v[57:58], v[59:60], v[61:62]
	v_div_fixup_f64 v[57:58], v[57:58], v[42:43], v[44:45]
	v_fma_f64 v[42:43], v[44:45], v[57:58], v[42:43]
	v_div_scale_f64 v[44:45], null, v[42:43], v[42:43], 1.0
	v_rcp_f64_e32 v[59:60], v[44:45]
	v_fma_f64 v[61:62], -v[44:45], v[59:60], 1.0
	v_fma_f64 v[59:60], v[59:60], v[61:62], v[59:60]
	v_fma_f64 v[61:62], -v[44:45], v[59:60], 1.0
	v_fma_f64 v[59:60], v[59:60], v[61:62], v[59:60]
	v_div_scale_f64 v[61:62], vcc_lo, 1.0, v[42:43], 1.0
	v_mul_f64 v[63:64], v[61:62], v[59:60]
	v_fma_f64 v[44:45], -v[44:45], v[63:64], v[61:62]
	v_div_fmas_f64 v[44:45], v[44:45], v[59:60], v[63:64]
	v_div_fixup_f64 v[42:43], v[44:45], v[42:43], 1.0
	v_mul_f64 v[44:45], v[57:58], -v[42:43]
.LBB18_72:
	s_or_b32 exec_lo, exec_lo, s1
.LBB18_73:
	s_or_b32 exec_lo, exec_lo, s0
	s_mov_b32 s0, exec_lo
	v_cmpx_ne_u32_e64 v56, v50
	s_xor_b32 s0, exec_lo, s0
	s_cbranch_execz .LBB18_79
; %bb.74:
	s_mov_b32 s1, exec_lo
	v_cmpx_eq_u32_e32 3, v56
	s_cbranch_execz .LBB18_78
; %bb.75:
	v_cmp_ne_u32_e32 vcc_lo, 3, v50
	s_xor_b32 s2, s16, -1
	s_and_b32 s7, s2, vcc_lo
	s_and_saveexec_b32 s2, s7
	s_cbranch_execz .LBB18_77
; %bb.76:
	v_ashrrev_i32_e32 v51, 31, v50
	v_lshlrev_b64 v[56:57], 2, v[50:51]
	v_add_co_u32 v56, vcc_lo, v48, v56
	v_add_co_ci_u32_e64 v57, null, v49, v57, vcc_lo
	s_clause 0x1
	global_load_dword v0, v[56:57], off
	global_load_dword v51, v[48:49], off offset:12
	s_waitcnt vmcnt(1)
	global_store_dword v[48:49], v0, off offset:12
	s_waitcnt vmcnt(0)
	global_store_dword v[56:57], v51, off
.LBB18_77:
	s_or_b32 exec_lo, exec_lo, s2
	v_mov_b32_e32 v56, v50
	v_mov_b32_e32 v0, v50
.LBB18_78:
	s_or_b32 exec_lo, exec_lo, s1
.LBB18_79:
	s_andn2_saveexec_b32 s0, s0
	s_cbranch_execz .LBB18_81
; %bb.80:
	v_mov_b32_e32 v56, 3
	ds_write2_b64 v1, v[26:27], v[28:29] offset0:8 offset1:9
	ds_write2_b64 v1, v[18:19], v[20:21] offset0:10 offset1:11
	ds_write2_b64 v1, v[14:15], v[16:17] offset0:12 offset1:13
	ds_write2_b64 v1, v[10:11], v[12:13] offset0:14 offset1:15
	ds_write2_b64 v1, v[6:7], v[8:9] offset0:16 offset1:17
	ds_write2_b64 v1, v[2:3], v[4:5] offset0:18 offset1:19
.LBB18_81:
	s_or_b32 exec_lo, exec_lo, s0
	s_mov_b32 s0, exec_lo
	s_waitcnt lgkmcnt(0)
	s_waitcnt_vscnt null, 0x0
	s_barrier
	buffer_gl0_inv
	v_cmpx_lt_i32_e32 3, v56
	s_cbranch_execz .LBB18_83
; %bb.82:
	v_mul_f64 v[50:51], v[42:43], v[24:25]
	v_mul_f64 v[24:25], v[44:45], v[24:25]
	v_fma_f64 v[50:51], v[44:45], v[22:23], v[50:51]
	v_fma_f64 v[22:23], v[42:43], v[22:23], -v[24:25]
	ds_read2_b64 v[42:45], v1 offset0:8 offset1:9
	s_waitcnt lgkmcnt(0)
	v_mul_f64 v[24:25], v[44:45], v[50:51]
	v_fma_f64 v[24:25], v[42:43], v[22:23], -v[24:25]
	v_mul_f64 v[42:43], v[42:43], v[50:51]
	v_add_f64 v[26:27], v[26:27], -v[24:25]
	v_fma_f64 v[42:43], v[44:45], v[22:23], v[42:43]
	v_add_f64 v[28:29], v[28:29], -v[42:43]
	ds_read2_b64 v[42:45], v1 offset0:10 offset1:11
	s_waitcnt lgkmcnt(0)
	v_mul_f64 v[24:25], v[44:45], v[50:51]
	v_fma_f64 v[24:25], v[42:43], v[22:23], -v[24:25]
	v_mul_f64 v[42:43], v[42:43], v[50:51]
	v_add_f64 v[18:19], v[18:19], -v[24:25]
	v_fma_f64 v[42:43], v[44:45], v[22:23], v[42:43]
	v_add_f64 v[20:21], v[20:21], -v[42:43]
	;; [unrolled: 8-line block ×5, first 2 shown]
	ds_read2_b64 v[42:45], v1 offset0:18 offset1:19
	s_waitcnt lgkmcnt(0)
	v_mul_f64 v[24:25], v[44:45], v[50:51]
	v_fma_f64 v[24:25], v[42:43], v[22:23], -v[24:25]
	v_mul_f64 v[42:43], v[42:43], v[50:51]
	v_add_f64 v[2:3], v[2:3], -v[24:25]
	v_fma_f64 v[42:43], v[44:45], v[22:23], v[42:43]
	v_mov_b32_e32 v24, v50
	v_mov_b32_e32 v25, v51
	v_add_f64 v[4:5], v[4:5], -v[42:43]
.LBB18_83:
	s_or_b32 exec_lo, exec_lo, s0
	v_lshl_add_u32 v42, v56, 4, v1
	s_barrier
	buffer_gl0_inv
	v_mov_b32_e32 v50, 4
	ds_write2_b64 v42, v[26:27], v[28:29] offset1:1
	s_waitcnt lgkmcnt(0)
	s_barrier
	buffer_gl0_inv
	ds_read2_b64 v[42:45], v1 offset0:8 offset1:9
	s_cmp_lt_i32 s3, 6
	s_cbranch_scc1 .LBB18_86
; %bb.84:
	v_mov_b32_e32 v50, 4
	v_add3_u32 v51, v52, 0, 0x50
	s_mov_b32 s1, 5
	s_inst_prefetch 0x1
	.p2align	6
.LBB18_85:                              ; =>This Inner Loop Header: Depth=1
	s_waitcnt lgkmcnt(0)
	v_cmp_gt_f64_e32 vcc_lo, 0, v[44:45]
	v_cmp_gt_f64_e64 s0, 0, v[42:43]
	ds_read2_b64 v[57:60], v51 offset1:1
	v_xor_b32_e32 v62, 0x80000000, v43
	v_xor_b32_e32 v64, 0x80000000, v45
	v_mov_b32_e32 v61, v42
	v_mov_b32_e32 v63, v44
	v_add_nc_u32_e32 v51, 16, v51
	s_waitcnt lgkmcnt(0)
	v_xor_b32_e32 v66, 0x80000000, v60
	v_cndmask_b32_e64 v62, v43, v62, s0
	v_cndmask_b32_e32 v64, v45, v64, vcc_lo
	v_cmp_gt_f64_e32 vcc_lo, 0, v[59:60]
	v_cmp_gt_f64_e64 s0, 0, v[57:58]
	v_mov_b32_e32 v65, v59
	v_add_f64 v[61:62], v[61:62], v[63:64]
	v_xor_b32_e32 v64, 0x80000000, v58
	v_mov_b32_e32 v63, v57
	v_cndmask_b32_e32 v66, v60, v66, vcc_lo
	v_cndmask_b32_e64 v64, v58, v64, s0
	v_add_f64 v[63:64], v[63:64], v[65:66]
	v_cmp_lt_f64_e32 vcc_lo, v[61:62], v[63:64]
	v_cndmask_b32_e32 v43, v43, v58, vcc_lo
	v_cndmask_b32_e32 v42, v42, v57, vcc_lo
	;; [unrolled: 1-line block ×4, first 2 shown]
	v_cndmask_b32_e64 v50, v50, s1, vcc_lo
	s_add_i32 s1, s1, 1
	s_cmp_lg_u32 s3, s1
	s_cbranch_scc1 .LBB18_85
.LBB18_86:
	s_inst_prefetch 0x2
	s_waitcnt lgkmcnt(0)
	v_cmp_eq_f64_e32 vcc_lo, 0, v[42:43]
	v_cmp_eq_f64_e64 s0, 0, v[44:45]
	s_and_b32 s0, vcc_lo, s0
	s_and_saveexec_b32 s1, s0
	s_xor_b32 s0, exec_lo, s1
; %bb.87:
	v_cmp_ne_u32_e32 vcc_lo, 0, v55
	v_cndmask_b32_e32 v55, 5, v55, vcc_lo
; %bb.88:
	s_andn2_saveexec_b32 s0, s0
	s_cbranch_execz .LBB18_94
; %bb.89:
	v_cmp_ngt_f64_e64 s1, |v[42:43]|, |v[44:45]|
	s_and_saveexec_b32 s2, s1
	s_xor_b32 s1, exec_lo, s2
	s_cbranch_execz .LBB18_91
; %bb.90:
	v_div_scale_f64 v[57:58], null, v[44:45], v[44:45], v[42:43]
	v_div_scale_f64 v[63:64], vcc_lo, v[42:43], v[44:45], v[42:43]
	v_rcp_f64_e32 v[59:60], v[57:58]
	v_fma_f64 v[61:62], -v[57:58], v[59:60], 1.0
	v_fma_f64 v[59:60], v[59:60], v[61:62], v[59:60]
	v_fma_f64 v[61:62], -v[57:58], v[59:60], 1.0
	v_fma_f64 v[59:60], v[59:60], v[61:62], v[59:60]
	v_mul_f64 v[61:62], v[63:64], v[59:60]
	v_fma_f64 v[57:58], -v[57:58], v[61:62], v[63:64]
	v_div_fmas_f64 v[57:58], v[57:58], v[59:60], v[61:62]
	v_div_fixup_f64 v[57:58], v[57:58], v[44:45], v[42:43]
	v_fma_f64 v[42:43], v[42:43], v[57:58], v[44:45]
	v_div_scale_f64 v[44:45], null, v[42:43], v[42:43], 1.0
	v_rcp_f64_e32 v[59:60], v[44:45]
	v_fma_f64 v[61:62], -v[44:45], v[59:60], 1.0
	v_fma_f64 v[59:60], v[59:60], v[61:62], v[59:60]
	v_fma_f64 v[61:62], -v[44:45], v[59:60], 1.0
	v_fma_f64 v[59:60], v[59:60], v[61:62], v[59:60]
	v_div_scale_f64 v[61:62], vcc_lo, 1.0, v[42:43], 1.0
	v_mul_f64 v[63:64], v[61:62], v[59:60]
	v_fma_f64 v[44:45], -v[44:45], v[63:64], v[61:62]
	v_div_fmas_f64 v[44:45], v[44:45], v[59:60], v[63:64]
	v_div_fixup_f64 v[44:45], v[44:45], v[42:43], 1.0
	v_mul_f64 v[42:43], v[57:58], v[44:45]
	v_xor_b32_e32 v45, 0x80000000, v45
.LBB18_91:
	s_andn2_saveexec_b32 s1, s1
	s_cbranch_execz .LBB18_93
; %bb.92:
	v_div_scale_f64 v[57:58], null, v[42:43], v[42:43], v[44:45]
	v_div_scale_f64 v[63:64], vcc_lo, v[44:45], v[42:43], v[44:45]
	v_rcp_f64_e32 v[59:60], v[57:58]
	v_fma_f64 v[61:62], -v[57:58], v[59:60], 1.0
	v_fma_f64 v[59:60], v[59:60], v[61:62], v[59:60]
	v_fma_f64 v[61:62], -v[57:58], v[59:60], 1.0
	v_fma_f64 v[59:60], v[59:60], v[61:62], v[59:60]
	v_mul_f64 v[61:62], v[63:64], v[59:60]
	v_fma_f64 v[57:58], -v[57:58], v[61:62], v[63:64]
	v_div_fmas_f64 v[57:58], v[57:58], v[59:60], v[61:62]
	v_div_fixup_f64 v[57:58], v[57:58], v[42:43], v[44:45]
	v_fma_f64 v[42:43], v[44:45], v[57:58], v[42:43]
	v_div_scale_f64 v[44:45], null, v[42:43], v[42:43], 1.0
	v_rcp_f64_e32 v[59:60], v[44:45]
	v_fma_f64 v[61:62], -v[44:45], v[59:60], 1.0
	v_fma_f64 v[59:60], v[59:60], v[61:62], v[59:60]
	v_fma_f64 v[61:62], -v[44:45], v[59:60], 1.0
	v_fma_f64 v[59:60], v[59:60], v[61:62], v[59:60]
	v_div_scale_f64 v[61:62], vcc_lo, 1.0, v[42:43], 1.0
	v_mul_f64 v[63:64], v[61:62], v[59:60]
	v_fma_f64 v[44:45], -v[44:45], v[63:64], v[61:62]
	v_div_fmas_f64 v[44:45], v[44:45], v[59:60], v[63:64]
	v_div_fixup_f64 v[42:43], v[44:45], v[42:43], 1.0
	v_mul_f64 v[44:45], v[57:58], -v[42:43]
.LBB18_93:
	s_or_b32 exec_lo, exec_lo, s1
.LBB18_94:
	s_or_b32 exec_lo, exec_lo, s0
	s_mov_b32 s0, exec_lo
	v_cmpx_ne_u32_e64 v56, v50
	s_xor_b32 s0, exec_lo, s0
	s_cbranch_execz .LBB18_100
; %bb.95:
	s_mov_b32 s1, exec_lo
	v_cmpx_eq_u32_e32 4, v56
	s_cbranch_execz .LBB18_99
; %bb.96:
	v_cmp_ne_u32_e32 vcc_lo, 4, v50
	s_xor_b32 s2, s16, -1
	s_and_b32 s7, s2, vcc_lo
	s_and_saveexec_b32 s2, s7
	s_cbranch_execz .LBB18_98
; %bb.97:
	v_ashrrev_i32_e32 v51, 31, v50
	v_lshlrev_b64 v[56:57], 2, v[50:51]
	v_add_co_u32 v56, vcc_lo, v48, v56
	v_add_co_ci_u32_e64 v57, null, v49, v57, vcc_lo
	s_clause 0x1
	global_load_dword v0, v[56:57], off
	global_load_dword v51, v[48:49], off offset:16
	s_waitcnt vmcnt(1)
	global_store_dword v[48:49], v0, off offset:16
	s_waitcnt vmcnt(0)
	global_store_dword v[56:57], v51, off
.LBB18_98:
	s_or_b32 exec_lo, exec_lo, s2
	v_mov_b32_e32 v56, v50
	v_mov_b32_e32 v0, v50
.LBB18_99:
	s_or_b32 exec_lo, exec_lo, s1
.LBB18_100:
	s_andn2_saveexec_b32 s0, s0
	s_cbranch_execz .LBB18_102
; %bb.101:
	v_mov_b32_e32 v56, 4
	ds_write2_b64 v1, v[18:19], v[20:21] offset0:10 offset1:11
	ds_write2_b64 v1, v[14:15], v[16:17] offset0:12 offset1:13
	;; [unrolled: 1-line block ×5, first 2 shown]
.LBB18_102:
	s_or_b32 exec_lo, exec_lo, s0
	s_mov_b32 s0, exec_lo
	s_waitcnt lgkmcnt(0)
	s_waitcnt_vscnt null, 0x0
	s_barrier
	buffer_gl0_inv
	v_cmpx_lt_i32_e32 4, v56
	s_cbranch_execz .LBB18_104
; %bb.103:
	v_mul_f64 v[50:51], v[42:43], v[28:29]
	v_mul_f64 v[28:29], v[44:45], v[28:29]
	v_fma_f64 v[50:51], v[44:45], v[26:27], v[50:51]
	v_fma_f64 v[26:27], v[42:43], v[26:27], -v[28:29]
	ds_read2_b64 v[42:45], v1 offset0:10 offset1:11
	s_waitcnt lgkmcnt(0)
	v_mul_f64 v[28:29], v[44:45], v[50:51]
	v_fma_f64 v[28:29], v[42:43], v[26:27], -v[28:29]
	v_mul_f64 v[42:43], v[42:43], v[50:51]
	v_add_f64 v[18:19], v[18:19], -v[28:29]
	v_fma_f64 v[42:43], v[44:45], v[26:27], v[42:43]
	v_add_f64 v[20:21], v[20:21], -v[42:43]
	ds_read2_b64 v[42:45], v1 offset0:12 offset1:13
	s_waitcnt lgkmcnt(0)
	v_mul_f64 v[28:29], v[44:45], v[50:51]
	v_fma_f64 v[28:29], v[42:43], v[26:27], -v[28:29]
	v_mul_f64 v[42:43], v[42:43], v[50:51]
	v_add_f64 v[14:15], v[14:15], -v[28:29]
	v_fma_f64 v[42:43], v[44:45], v[26:27], v[42:43]
	v_add_f64 v[16:17], v[16:17], -v[42:43]
	;; [unrolled: 8-line block ×4, first 2 shown]
	ds_read2_b64 v[42:45], v1 offset0:18 offset1:19
	s_waitcnt lgkmcnt(0)
	v_mul_f64 v[28:29], v[44:45], v[50:51]
	v_fma_f64 v[28:29], v[42:43], v[26:27], -v[28:29]
	v_mul_f64 v[42:43], v[42:43], v[50:51]
	v_add_f64 v[2:3], v[2:3], -v[28:29]
	v_fma_f64 v[42:43], v[44:45], v[26:27], v[42:43]
	v_mov_b32_e32 v28, v50
	v_mov_b32_e32 v29, v51
	v_add_f64 v[4:5], v[4:5], -v[42:43]
.LBB18_104:
	s_or_b32 exec_lo, exec_lo, s0
	v_lshl_add_u32 v42, v56, 4, v1
	s_barrier
	buffer_gl0_inv
	v_mov_b32_e32 v50, 5
	ds_write2_b64 v42, v[18:19], v[20:21] offset1:1
	s_waitcnt lgkmcnt(0)
	s_barrier
	buffer_gl0_inv
	ds_read2_b64 v[42:45], v1 offset0:10 offset1:11
	s_cmp_lt_i32 s3, 7
	s_cbranch_scc1 .LBB18_107
; %bb.105:
	v_add3_u32 v51, v52, 0, 0x60
	v_mov_b32_e32 v50, 5
	s_mov_b32 s1, 6
	s_inst_prefetch 0x1
	.p2align	6
.LBB18_106:                             ; =>This Inner Loop Header: Depth=1
	s_waitcnt lgkmcnt(0)
	v_cmp_gt_f64_e32 vcc_lo, 0, v[44:45]
	v_cmp_gt_f64_e64 s0, 0, v[42:43]
	ds_read2_b64 v[57:60], v51 offset1:1
	v_xor_b32_e32 v62, 0x80000000, v43
	v_xor_b32_e32 v64, 0x80000000, v45
	v_mov_b32_e32 v61, v42
	v_mov_b32_e32 v63, v44
	v_add_nc_u32_e32 v51, 16, v51
	s_waitcnt lgkmcnt(0)
	v_xor_b32_e32 v66, 0x80000000, v60
	v_cndmask_b32_e64 v62, v43, v62, s0
	v_cndmask_b32_e32 v64, v45, v64, vcc_lo
	v_cmp_gt_f64_e32 vcc_lo, 0, v[59:60]
	v_cmp_gt_f64_e64 s0, 0, v[57:58]
	v_mov_b32_e32 v65, v59
	v_add_f64 v[61:62], v[61:62], v[63:64]
	v_xor_b32_e32 v64, 0x80000000, v58
	v_mov_b32_e32 v63, v57
	v_cndmask_b32_e32 v66, v60, v66, vcc_lo
	v_cndmask_b32_e64 v64, v58, v64, s0
	v_add_f64 v[63:64], v[63:64], v[65:66]
	v_cmp_lt_f64_e32 vcc_lo, v[61:62], v[63:64]
	v_cndmask_b32_e32 v43, v43, v58, vcc_lo
	v_cndmask_b32_e32 v42, v42, v57, vcc_lo
	;; [unrolled: 1-line block ×4, first 2 shown]
	v_cndmask_b32_e64 v50, v50, s1, vcc_lo
	s_add_i32 s1, s1, 1
	s_cmp_lg_u32 s3, s1
	s_cbranch_scc1 .LBB18_106
.LBB18_107:
	s_inst_prefetch 0x2
	s_waitcnt lgkmcnt(0)
	v_cmp_eq_f64_e32 vcc_lo, 0, v[42:43]
	v_cmp_eq_f64_e64 s0, 0, v[44:45]
	s_and_b32 s0, vcc_lo, s0
	s_and_saveexec_b32 s1, s0
	s_xor_b32 s0, exec_lo, s1
; %bb.108:
	v_cmp_ne_u32_e32 vcc_lo, 0, v55
	v_cndmask_b32_e32 v55, 6, v55, vcc_lo
; %bb.109:
	s_andn2_saveexec_b32 s0, s0
	s_cbranch_execz .LBB18_115
; %bb.110:
	v_cmp_ngt_f64_e64 s1, |v[42:43]|, |v[44:45]|
	s_and_saveexec_b32 s2, s1
	s_xor_b32 s1, exec_lo, s2
	s_cbranch_execz .LBB18_112
; %bb.111:
	v_div_scale_f64 v[57:58], null, v[44:45], v[44:45], v[42:43]
	v_div_scale_f64 v[63:64], vcc_lo, v[42:43], v[44:45], v[42:43]
	v_rcp_f64_e32 v[59:60], v[57:58]
	v_fma_f64 v[61:62], -v[57:58], v[59:60], 1.0
	v_fma_f64 v[59:60], v[59:60], v[61:62], v[59:60]
	v_fma_f64 v[61:62], -v[57:58], v[59:60], 1.0
	v_fma_f64 v[59:60], v[59:60], v[61:62], v[59:60]
	v_mul_f64 v[61:62], v[63:64], v[59:60]
	v_fma_f64 v[57:58], -v[57:58], v[61:62], v[63:64]
	v_div_fmas_f64 v[57:58], v[57:58], v[59:60], v[61:62]
	v_div_fixup_f64 v[57:58], v[57:58], v[44:45], v[42:43]
	v_fma_f64 v[42:43], v[42:43], v[57:58], v[44:45]
	v_div_scale_f64 v[44:45], null, v[42:43], v[42:43], 1.0
	v_rcp_f64_e32 v[59:60], v[44:45]
	v_fma_f64 v[61:62], -v[44:45], v[59:60], 1.0
	v_fma_f64 v[59:60], v[59:60], v[61:62], v[59:60]
	v_fma_f64 v[61:62], -v[44:45], v[59:60], 1.0
	v_fma_f64 v[59:60], v[59:60], v[61:62], v[59:60]
	v_div_scale_f64 v[61:62], vcc_lo, 1.0, v[42:43], 1.0
	v_mul_f64 v[63:64], v[61:62], v[59:60]
	v_fma_f64 v[44:45], -v[44:45], v[63:64], v[61:62]
	v_div_fmas_f64 v[44:45], v[44:45], v[59:60], v[63:64]
	v_div_fixup_f64 v[44:45], v[44:45], v[42:43], 1.0
	v_mul_f64 v[42:43], v[57:58], v[44:45]
	v_xor_b32_e32 v45, 0x80000000, v45
.LBB18_112:
	s_andn2_saveexec_b32 s1, s1
	s_cbranch_execz .LBB18_114
; %bb.113:
	v_div_scale_f64 v[57:58], null, v[42:43], v[42:43], v[44:45]
	v_div_scale_f64 v[63:64], vcc_lo, v[44:45], v[42:43], v[44:45]
	v_rcp_f64_e32 v[59:60], v[57:58]
	v_fma_f64 v[61:62], -v[57:58], v[59:60], 1.0
	v_fma_f64 v[59:60], v[59:60], v[61:62], v[59:60]
	v_fma_f64 v[61:62], -v[57:58], v[59:60], 1.0
	v_fma_f64 v[59:60], v[59:60], v[61:62], v[59:60]
	v_mul_f64 v[61:62], v[63:64], v[59:60]
	v_fma_f64 v[57:58], -v[57:58], v[61:62], v[63:64]
	v_div_fmas_f64 v[57:58], v[57:58], v[59:60], v[61:62]
	v_div_fixup_f64 v[57:58], v[57:58], v[42:43], v[44:45]
	v_fma_f64 v[42:43], v[44:45], v[57:58], v[42:43]
	v_div_scale_f64 v[44:45], null, v[42:43], v[42:43], 1.0
	v_rcp_f64_e32 v[59:60], v[44:45]
	v_fma_f64 v[61:62], -v[44:45], v[59:60], 1.0
	v_fma_f64 v[59:60], v[59:60], v[61:62], v[59:60]
	v_fma_f64 v[61:62], -v[44:45], v[59:60], 1.0
	v_fma_f64 v[59:60], v[59:60], v[61:62], v[59:60]
	v_div_scale_f64 v[61:62], vcc_lo, 1.0, v[42:43], 1.0
	v_mul_f64 v[63:64], v[61:62], v[59:60]
	v_fma_f64 v[44:45], -v[44:45], v[63:64], v[61:62]
	v_div_fmas_f64 v[44:45], v[44:45], v[59:60], v[63:64]
	v_div_fixup_f64 v[42:43], v[44:45], v[42:43], 1.0
	v_mul_f64 v[44:45], v[57:58], -v[42:43]
.LBB18_114:
	s_or_b32 exec_lo, exec_lo, s1
.LBB18_115:
	s_or_b32 exec_lo, exec_lo, s0
	s_mov_b32 s0, exec_lo
	v_cmpx_ne_u32_e64 v56, v50
	s_xor_b32 s0, exec_lo, s0
	s_cbranch_execz .LBB18_121
; %bb.116:
	s_mov_b32 s1, exec_lo
	v_cmpx_eq_u32_e32 5, v56
	s_cbranch_execz .LBB18_120
; %bb.117:
	v_cmp_ne_u32_e32 vcc_lo, 5, v50
	s_xor_b32 s2, s16, -1
	s_and_b32 s7, s2, vcc_lo
	s_and_saveexec_b32 s2, s7
	s_cbranch_execz .LBB18_119
; %bb.118:
	v_ashrrev_i32_e32 v51, 31, v50
	v_lshlrev_b64 v[56:57], 2, v[50:51]
	v_add_co_u32 v56, vcc_lo, v48, v56
	v_add_co_ci_u32_e64 v57, null, v49, v57, vcc_lo
	s_clause 0x1
	global_load_dword v0, v[56:57], off
	global_load_dword v51, v[48:49], off offset:20
	s_waitcnt vmcnt(1)
	global_store_dword v[48:49], v0, off offset:20
	s_waitcnt vmcnt(0)
	global_store_dword v[56:57], v51, off
.LBB18_119:
	s_or_b32 exec_lo, exec_lo, s2
	v_mov_b32_e32 v56, v50
	v_mov_b32_e32 v0, v50
.LBB18_120:
	s_or_b32 exec_lo, exec_lo, s1
.LBB18_121:
	s_andn2_saveexec_b32 s0, s0
	s_cbranch_execz .LBB18_123
; %bb.122:
	v_mov_b32_e32 v56, 5
	ds_write2_b64 v1, v[14:15], v[16:17] offset0:12 offset1:13
	ds_write2_b64 v1, v[10:11], v[12:13] offset0:14 offset1:15
	;; [unrolled: 1-line block ×4, first 2 shown]
.LBB18_123:
	s_or_b32 exec_lo, exec_lo, s0
	s_mov_b32 s0, exec_lo
	s_waitcnt lgkmcnt(0)
	s_waitcnt_vscnt null, 0x0
	s_barrier
	buffer_gl0_inv
	v_cmpx_lt_i32_e32 5, v56
	s_cbranch_execz .LBB18_125
; %bb.124:
	v_mul_f64 v[50:51], v[42:43], v[20:21]
	v_mul_f64 v[20:21], v[44:45], v[20:21]
	v_fma_f64 v[50:51], v[44:45], v[18:19], v[50:51]
	v_fma_f64 v[18:19], v[42:43], v[18:19], -v[20:21]
	ds_read2_b64 v[42:45], v1 offset0:12 offset1:13
	s_waitcnt lgkmcnt(0)
	v_mul_f64 v[20:21], v[44:45], v[50:51]
	v_fma_f64 v[20:21], v[42:43], v[18:19], -v[20:21]
	v_mul_f64 v[42:43], v[42:43], v[50:51]
	v_add_f64 v[14:15], v[14:15], -v[20:21]
	v_fma_f64 v[42:43], v[44:45], v[18:19], v[42:43]
	v_add_f64 v[16:17], v[16:17], -v[42:43]
	ds_read2_b64 v[42:45], v1 offset0:14 offset1:15
	s_waitcnt lgkmcnt(0)
	v_mul_f64 v[20:21], v[44:45], v[50:51]
	v_fma_f64 v[20:21], v[42:43], v[18:19], -v[20:21]
	v_mul_f64 v[42:43], v[42:43], v[50:51]
	v_add_f64 v[10:11], v[10:11], -v[20:21]
	v_fma_f64 v[42:43], v[44:45], v[18:19], v[42:43]
	v_add_f64 v[12:13], v[12:13], -v[42:43]
	;; [unrolled: 8-line block ×3, first 2 shown]
	ds_read2_b64 v[42:45], v1 offset0:18 offset1:19
	s_waitcnt lgkmcnt(0)
	v_mul_f64 v[20:21], v[44:45], v[50:51]
	v_fma_f64 v[20:21], v[42:43], v[18:19], -v[20:21]
	v_mul_f64 v[42:43], v[42:43], v[50:51]
	v_add_f64 v[2:3], v[2:3], -v[20:21]
	v_fma_f64 v[42:43], v[44:45], v[18:19], v[42:43]
	v_mov_b32_e32 v20, v50
	v_mov_b32_e32 v21, v51
	v_add_f64 v[4:5], v[4:5], -v[42:43]
.LBB18_125:
	s_or_b32 exec_lo, exec_lo, s0
	v_lshl_add_u32 v42, v56, 4, v1
	s_barrier
	buffer_gl0_inv
	v_mov_b32_e32 v50, 6
	ds_write2_b64 v42, v[14:15], v[16:17] offset1:1
	s_waitcnt lgkmcnt(0)
	s_barrier
	buffer_gl0_inv
	ds_read2_b64 v[42:45], v1 offset0:12 offset1:13
	s_cmp_lt_i32 s3, 8
	s_cbranch_scc1 .LBB18_128
; %bb.126:
	v_add3_u32 v51, v52, 0, 0x70
	v_mov_b32_e32 v50, 6
	s_mov_b32 s1, 7
	s_inst_prefetch 0x1
	.p2align	6
.LBB18_127:                             ; =>This Inner Loop Header: Depth=1
	s_waitcnt lgkmcnt(0)
	v_cmp_gt_f64_e32 vcc_lo, 0, v[44:45]
	v_cmp_gt_f64_e64 s0, 0, v[42:43]
	ds_read2_b64 v[57:60], v51 offset1:1
	v_xor_b32_e32 v62, 0x80000000, v43
	v_xor_b32_e32 v64, 0x80000000, v45
	v_mov_b32_e32 v61, v42
	v_mov_b32_e32 v63, v44
	v_add_nc_u32_e32 v51, 16, v51
	s_waitcnt lgkmcnt(0)
	v_xor_b32_e32 v66, 0x80000000, v60
	v_cndmask_b32_e64 v62, v43, v62, s0
	v_cndmask_b32_e32 v64, v45, v64, vcc_lo
	v_cmp_gt_f64_e32 vcc_lo, 0, v[59:60]
	v_cmp_gt_f64_e64 s0, 0, v[57:58]
	v_mov_b32_e32 v65, v59
	v_add_f64 v[61:62], v[61:62], v[63:64]
	v_xor_b32_e32 v64, 0x80000000, v58
	v_mov_b32_e32 v63, v57
	v_cndmask_b32_e32 v66, v60, v66, vcc_lo
	v_cndmask_b32_e64 v64, v58, v64, s0
	v_add_f64 v[63:64], v[63:64], v[65:66]
	v_cmp_lt_f64_e32 vcc_lo, v[61:62], v[63:64]
	v_cndmask_b32_e32 v43, v43, v58, vcc_lo
	v_cndmask_b32_e32 v42, v42, v57, vcc_lo
	;; [unrolled: 1-line block ×4, first 2 shown]
	v_cndmask_b32_e64 v50, v50, s1, vcc_lo
	s_add_i32 s1, s1, 1
	s_cmp_lg_u32 s3, s1
	s_cbranch_scc1 .LBB18_127
.LBB18_128:
	s_inst_prefetch 0x2
	s_waitcnt lgkmcnt(0)
	v_cmp_eq_f64_e32 vcc_lo, 0, v[42:43]
	v_cmp_eq_f64_e64 s0, 0, v[44:45]
	s_and_b32 s0, vcc_lo, s0
	s_and_saveexec_b32 s1, s0
	s_xor_b32 s0, exec_lo, s1
; %bb.129:
	v_cmp_ne_u32_e32 vcc_lo, 0, v55
	v_cndmask_b32_e32 v55, 7, v55, vcc_lo
; %bb.130:
	s_andn2_saveexec_b32 s0, s0
	s_cbranch_execz .LBB18_136
; %bb.131:
	v_cmp_ngt_f64_e64 s1, |v[42:43]|, |v[44:45]|
	s_and_saveexec_b32 s2, s1
	s_xor_b32 s1, exec_lo, s2
	s_cbranch_execz .LBB18_133
; %bb.132:
	v_div_scale_f64 v[57:58], null, v[44:45], v[44:45], v[42:43]
	v_div_scale_f64 v[63:64], vcc_lo, v[42:43], v[44:45], v[42:43]
	v_rcp_f64_e32 v[59:60], v[57:58]
	v_fma_f64 v[61:62], -v[57:58], v[59:60], 1.0
	v_fma_f64 v[59:60], v[59:60], v[61:62], v[59:60]
	v_fma_f64 v[61:62], -v[57:58], v[59:60], 1.0
	v_fma_f64 v[59:60], v[59:60], v[61:62], v[59:60]
	v_mul_f64 v[61:62], v[63:64], v[59:60]
	v_fma_f64 v[57:58], -v[57:58], v[61:62], v[63:64]
	v_div_fmas_f64 v[57:58], v[57:58], v[59:60], v[61:62]
	v_div_fixup_f64 v[57:58], v[57:58], v[44:45], v[42:43]
	v_fma_f64 v[42:43], v[42:43], v[57:58], v[44:45]
	v_div_scale_f64 v[44:45], null, v[42:43], v[42:43], 1.0
	v_rcp_f64_e32 v[59:60], v[44:45]
	v_fma_f64 v[61:62], -v[44:45], v[59:60], 1.0
	v_fma_f64 v[59:60], v[59:60], v[61:62], v[59:60]
	v_fma_f64 v[61:62], -v[44:45], v[59:60], 1.0
	v_fma_f64 v[59:60], v[59:60], v[61:62], v[59:60]
	v_div_scale_f64 v[61:62], vcc_lo, 1.0, v[42:43], 1.0
	v_mul_f64 v[63:64], v[61:62], v[59:60]
	v_fma_f64 v[44:45], -v[44:45], v[63:64], v[61:62]
	v_div_fmas_f64 v[44:45], v[44:45], v[59:60], v[63:64]
	v_div_fixup_f64 v[44:45], v[44:45], v[42:43], 1.0
	v_mul_f64 v[42:43], v[57:58], v[44:45]
	v_xor_b32_e32 v45, 0x80000000, v45
.LBB18_133:
	s_andn2_saveexec_b32 s1, s1
	s_cbranch_execz .LBB18_135
; %bb.134:
	v_div_scale_f64 v[57:58], null, v[42:43], v[42:43], v[44:45]
	v_div_scale_f64 v[63:64], vcc_lo, v[44:45], v[42:43], v[44:45]
	v_rcp_f64_e32 v[59:60], v[57:58]
	v_fma_f64 v[61:62], -v[57:58], v[59:60], 1.0
	v_fma_f64 v[59:60], v[59:60], v[61:62], v[59:60]
	v_fma_f64 v[61:62], -v[57:58], v[59:60], 1.0
	v_fma_f64 v[59:60], v[59:60], v[61:62], v[59:60]
	v_mul_f64 v[61:62], v[63:64], v[59:60]
	v_fma_f64 v[57:58], -v[57:58], v[61:62], v[63:64]
	v_div_fmas_f64 v[57:58], v[57:58], v[59:60], v[61:62]
	v_div_fixup_f64 v[57:58], v[57:58], v[42:43], v[44:45]
	v_fma_f64 v[42:43], v[44:45], v[57:58], v[42:43]
	v_div_scale_f64 v[44:45], null, v[42:43], v[42:43], 1.0
	v_rcp_f64_e32 v[59:60], v[44:45]
	v_fma_f64 v[61:62], -v[44:45], v[59:60], 1.0
	v_fma_f64 v[59:60], v[59:60], v[61:62], v[59:60]
	v_fma_f64 v[61:62], -v[44:45], v[59:60], 1.0
	v_fma_f64 v[59:60], v[59:60], v[61:62], v[59:60]
	v_div_scale_f64 v[61:62], vcc_lo, 1.0, v[42:43], 1.0
	v_mul_f64 v[63:64], v[61:62], v[59:60]
	v_fma_f64 v[44:45], -v[44:45], v[63:64], v[61:62]
	v_div_fmas_f64 v[44:45], v[44:45], v[59:60], v[63:64]
	v_div_fixup_f64 v[42:43], v[44:45], v[42:43], 1.0
	v_mul_f64 v[44:45], v[57:58], -v[42:43]
.LBB18_135:
	s_or_b32 exec_lo, exec_lo, s1
.LBB18_136:
	s_or_b32 exec_lo, exec_lo, s0
	s_mov_b32 s0, exec_lo
	v_cmpx_ne_u32_e64 v56, v50
	s_xor_b32 s0, exec_lo, s0
	s_cbranch_execz .LBB18_142
; %bb.137:
	s_mov_b32 s1, exec_lo
	v_cmpx_eq_u32_e32 6, v56
	s_cbranch_execz .LBB18_141
; %bb.138:
	v_cmp_ne_u32_e32 vcc_lo, 6, v50
	s_xor_b32 s2, s16, -1
	s_and_b32 s7, s2, vcc_lo
	s_and_saveexec_b32 s2, s7
	s_cbranch_execz .LBB18_140
; %bb.139:
	v_ashrrev_i32_e32 v51, 31, v50
	v_lshlrev_b64 v[56:57], 2, v[50:51]
	v_add_co_u32 v56, vcc_lo, v48, v56
	v_add_co_ci_u32_e64 v57, null, v49, v57, vcc_lo
	s_clause 0x1
	global_load_dword v0, v[56:57], off
	global_load_dword v51, v[48:49], off offset:24
	s_waitcnt vmcnt(1)
	global_store_dword v[48:49], v0, off offset:24
	s_waitcnt vmcnt(0)
	global_store_dword v[56:57], v51, off
.LBB18_140:
	s_or_b32 exec_lo, exec_lo, s2
	v_mov_b32_e32 v56, v50
	v_mov_b32_e32 v0, v50
.LBB18_141:
	s_or_b32 exec_lo, exec_lo, s1
.LBB18_142:
	s_andn2_saveexec_b32 s0, s0
	s_cbranch_execz .LBB18_144
; %bb.143:
	v_mov_b32_e32 v56, 6
	ds_write2_b64 v1, v[10:11], v[12:13] offset0:14 offset1:15
	ds_write2_b64 v1, v[6:7], v[8:9] offset0:16 offset1:17
	;; [unrolled: 1-line block ×3, first 2 shown]
.LBB18_144:
	s_or_b32 exec_lo, exec_lo, s0
	s_mov_b32 s0, exec_lo
	s_waitcnt lgkmcnt(0)
	s_waitcnt_vscnt null, 0x0
	s_barrier
	buffer_gl0_inv
	v_cmpx_lt_i32_e32 6, v56
	s_cbranch_execz .LBB18_146
; %bb.145:
	v_mul_f64 v[50:51], v[42:43], v[16:17]
	v_mul_f64 v[16:17], v[44:45], v[16:17]
	ds_read2_b64 v[57:60], v1 offset0:14 offset1:15
	ds_read2_b64 v[61:64], v1 offset0:16 offset1:17
	ds_read2_b64 v[65:68], v1 offset0:18 offset1:19
	v_fma_f64 v[44:45], v[44:45], v[14:15], v[50:51]
	v_fma_f64 v[14:15], v[42:43], v[14:15], -v[16:17]
	s_waitcnt lgkmcnt(2)
	v_mul_f64 v[16:17], v[59:60], v[44:45]
	v_mul_f64 v[42:43], v[57:58], v[44:45]
	s_waitcnt lgkmcnt(1)
	v_mul_f64 v[50:51], v[63:64], v[44:45]
	v_mul_f64 v[69:70], v[61:62], v[44:45]
	;; [unrolled: 3-line block ×3, first 2 shown]
	v_fma_f64 v[16:17], v[57:58], v[14:15], -v[16:17]
	v_fma_f64 v[42:43], v[59:60], v[14:15], v[42:43]
	v_fma_f64 v[50:51], v[61:62], v[14:15], -v[50:51]
	v_fma_f64 v[57:58], v[63:64], v[14:15], v[69:70]
	;; [unrolled: 2-line block ×3, first 2 shown]
	v_add_f64 v[10:11], v[10:11], -v[16:17]
	v_add_f64 v[12:13], v[12:13], -v[42:43]
	;; [unrolled: 1-line block ×6, first 2 shown]
	v_mov_b32_e32 v16, v44
	v_mov_b32_e32 v17, v45
.LBB18_146:
	s_or_b32 exec_lo, exec_lo, s0
	v_lshl_add_u32 v42, v56, 4, v1
	s_barrier
	buffer_gl0_inv
	v_mov_b32_e32 v50, 7
	ds_write2_b64 v42, v[10:11], v[12:13] offset1:1
	s_waitcnt lgkmcnt(0)
	s_barrier
	buffer_gl0_inv
	ds_read2_b64 v[42:45], v1 offset0:14 offset1:15
	s_cmp_lt_i32 s3, 9
	s_cbranch_scc1 .LBB18_149
; %bb.147:
	v_add3_u32 v51, v52, 0, 0x80
	v_mov_b32_e32 v50, 7
	s_mov_b32 s1, 8
	s_inst_prefetch 0x1
	.p2align	6
.LBB18_148:                             ; =>This Inner Loop Header: Depth=1
	s_waitcnt lgkmcnt(0)
	v_cmp_gt_f64_e32 vcc_lo, 0, v[44:45]
	v_cmp_gt_f64_e64 s0, 0, v[42:43]
	ds_read2_b64 v[57:60], v51 offset1:1
	v_xor_b32_e32 v62, 0x80000000, v43
	v_xor_b32_e32 v64, 0x80000000, v45
	v_mov_b32_e32 v61, v42
	v_mov_b32_e32 v63, v44
	v_add_nc_u32_e32 v51, 16, v51
	s_waitcnt lgkmcnt(0)
	v_xor_b32_e32 v66, 0x80000000, v60
	v_cndmask_b32_e64 v62, v43, v62, s0
	v_cndmask_b32_e32 v64, v45, v64, vcc_lo
	v_cmp_gt_f64_e32 vcc_lo, 0, v[59:60]
	v_cmp_gt_f64_e64 s0, 0, v[57:58]
	v_mov_b32_e32 v65, v59
	v_add_f64 v[61:62], v[61:62], v[63:64]
	v_xor_b32_e32 v64, 0x80000000, v58
	v_mov_b32_e32 v63, v57
	v_cndmask_b32_e32 v66, v60, v66, vcc_lo
	v_cndmask_b32_e64 v64, v58, v64, s0
	v_add_f64 v[63:64], v[63:64], v[65:66]
	v_cmp_lt_f64_e32 vcc_lo, v[61:62], v[63:64]
	v_cndmask_b32_e32 v43, v43, v58, vcc_lo
	v_cndmask_b32_e32 v42, v42, v57, vcc_lo
	v_cndmask_b32_e32 v45, v45, v60, vcc_lo
	v_cndmask_b32_e32 v44, v44, v59, vcc_lo
	v_cndmask_b32_e64 v50, v50, s1, vcc_lo
	s_add_i32 s1, s1, 1
	s_cmp_lg_u32 s3, s1
	s_cbranch_scc1 .LBB18_148
.LBB18_149:
	s_inst_prefetch 0x2
	s_waitcnt lgkmcnt(0)
	v_cmp_eq_f64_e32 vcc_lo, 0, v[42:43]
	v_cmp_eq_f64_e64 s0, 0, v[44:45]
	s_and_b32 s0, vcc_lo, s0
	s_and_saveexec_b32 s1, s0
	s_xor_b32 s0, exec_lo, s1
; %bb.150:
	v_cmp_ne_u32_e32 vcc_lo, 0, v55
	v_cndmask_b32_e32 v55, 8, v55, vcc_lo
; %bb.151:
	s_andn2_saveexec_b32 s0, s0
	s_cbranch_execz .LBB18_157
; %bb.152:
	v_cmp_ngt_f64_e64 s1, |v[42:43]|, |v[44:45]|
	s_and_saveexec_b32 s2, s1
	s_xor_b32 s1, exec_lo, s2
	s_cbranch_execz .LBB18_154
; %bb.153:
	v_div_scale_f64 v[57:58], null, v[44:45], v[44:45], v[42:43]
	v_div_scale_f64 v[63:64], vcc_lo, v[42:43], v[44:45], v[42:43]
	v_rcp_f64_e32 v[59:60], v[57:58]
	v_fma_f64 v[61:62], -v[57:58], v[59:60], 1.0
	v_fma_f64 v[59:60], v[59:60], v[61:62], v[59:60]
	v_fma_f64 v[61:62], -v[57:58], v[59:60], 1.0
	v_fma_f64 v[59:60], v[59:60], v[61:62], v[59:60]
	v_mul_f64 v[61:62], v[63:64], v[59:60]
	v_fma_f64 v[57:58], -v[57:58], v[61:62], v[63:64]
	v_div_fmas_f64 v[57:58], v[57:58], v[59:60], v[61:62]
	v_div_fixup_f64 v[57:58], v[57:58], v[44:45], v[42:43]
	v_fma_f64 v[42:43], v[42:43], v[57:58], v[44:45]
	v_div_scale_f64 v[44:45], null, v[42:43], v[42:43], 1.0
	v_rcp_f64_e32 v[59:60], v[44:45]
	v_fma_f64 v[61:62], -v[44:45], v[59:60], 1.0
	v_fma_f64 v[59:60], v[59:60], v[61:62], v[59:60]
	v_fma_f64 v[61:62], -v[44:45], v[59:60], 1.0
	v_fma_f64 v[59:60], v[59:60], v[61:62], v[59:60]
	v_div_scale_f64 v[61:62], vcc_lo, 1.0, v[42:43], 1.0
	v_mul_f64 v[63:64], v[61:62], v[59:60]
	v_fma_f64 v[44:45], -v[44:45], v[63:64], v[61:62]
	v_div_fmas_f64 v[44:45], v[44:45], v[59:60], v[63:64]
	v_div_fixup_f64 v[44:45], v[44:45], v[42:43], 1.0
	v_mul_f64 v[42:43], v[57:58], v[44:45]
	v_xor_b32_e32 v45, 0x80000000, v45
.LBB18_154:
	s_andn2_saveexec_b32 s1, s1
	s_cbranch_execz .LBB18_156
; %bb.155:
	v_div_scale_f64 v[57:58], null, v[42:43], v[42:43], v[44:45]
	v_div_scale_f64 v[63:64], vcc_lo, v[44:45], v[42:43], v[44:45]
	v_rcp_f64_e32 v[59:60], v[57:58]
	v_fma_f64 v[61:62], -v[57:58], v[59:60], 1.0
	v_fma_f64 v[59:60], v[59:60], v[61:62], v[59:60]
	v_fma_f64 v[61:62], -v[57:58], v[59:60], 1.0
	v_fma_f64 v[59:60], v[59:60], v[61:62], v[59:60]
	v_mul_f64 v[61:62], v[63:64], v[59:60]
	v_fma_f64 v[57:58], -v[57:58], v[61:62], v[63:64]
	v_div_fmas_f64 v[57:58], v[57:58], v[59:60], v[61:62]
	v_div_fixup_f64 v[57:58], v[57:58], v[42:43], v[44:45]
	v_fma_f64 v[42:43], v[44:45], v[57:58], v[42:43]
	v_div_scale_f64 v[44:45], null, v[42:43], v[42:43], 1.0
	v_rcp_f64_e32 v[59:60], v[44:45]
	v_fma_f64 v[61:62], -v[44:45], v[59:60], 1.0
	v_fma_f64 v[59:60], v[59:60], v[61:62], v[59:60]
	v_fma_f64 v[61:62], -v[44:45], v[59:60], 1.0
	v_fma_f64 v[59:60], v[59:60], v[61:62], v[59:60]
	v_div_scale_f64 v[61:62], vcc_lo, 1.0, v[42:43], 1.0
	v_mul_f64 v[63:64], v[61:62], v[59:60]
	v_fma_f64 v[44:45], -v[44:45], v[63:64], v[61:62]
	v_div_fmas_f64 v[44:45], v[44:45], v[59:60], v[63:64]
	v_div_fixup_f64 v[42:43], v[44:45], v[42:43], 1.0
	v_mul_f64 v[44:45], v[57:58], -v[42:43]
.LBB18_156:
	s_or_b32 exec_lo, exec_lo, s1
.LBB18_157:
	s_or_b32 exec_lo, exec_lo, s0
	s_mov_b32 s0, exec_lo
	v_cmpx_ne_u32_e64 v56, v50
	s_xor_b32 s0, exec_lo, s0
	s_cbranch_execz .LBB18_163
; %bb.158:
	s_mov_b32 s1, exec_lo
	v_cmpx_eq_u32_e32 7, v56
	s_cbranch_execz .LBB18_162
; %bb.159:
	v_cmp_ne_u32_e32 vcc_lo, 7, v50
	s_xor_b32 s2, s16, -1
	s_and_b32 s7, s2, vcc_lo
	s_and_saveexec_b32 s2, s7
	s_cbranch_execz .LBB18_161
; %bb.160:
	v_ashrrev_i32_e32 v51, 31, v50
	v_lshlrev_b64 v[56:57], 2, v[50:51]
	v_add_co_u32 v56, vcc_lo, v48, v56
	v_add_co_ci_u32_e64 v57, null, v49, v57, vcc_lo
	s_clause 0x1
	global_load_dword v0, v[56:57], off
	global_load_dword v51, v[48:49], off offset:28
	s_waitcnt vmcnt(1)
	global_store_dword v[48:49], v0, off offset:28
	s_waitcnt vmcnt(0)
	global_store_dword v[56:57], v51, off
.LBB18_161:
	s_or_b32 exec_lo, exec_lo, s2
	v_mov_b32_e32 v56, v50
	v_mov_b32_e32 v0, v50
.LBB18_162:
	s_or_b32 exec_lo, exec_lo, s1
.LBB18_163:
	s_andn2_saveexec_b32 s0, s0
	s_cbranch_execz .LBB18_165
; %bb.164:
	v_mov_b32_e32 v56, 7
	ds_write2_b64 v1, v[6:7], v[8:9] offset0:16 offset1:17
	ds_write2_b64 v1, v[2:3], v[4:5] offset0:18 offset1:19
.LBB18_165:
	s_or_b32 exec_lo, exec_lo, s0
	s_mov_b32 s0, exec_lo
	s_waitcnt lgkmcnt(0)
	s_waitcnt_vscnt null, 0x0
	s_barrier
	buffer_gl0_inv
	v_cmpx_lt_i32_e32 7, v56
	s_cbranch_execz .LBB18_167
; %bb.166:
	v_mul_f64 v[50:51], v[42:43], v[12:13]
	v_mul_f64 v[12:13], v[44:45], v[12:13]
	ds_read2_b64 v[57:60], v1 offset0:16 offset1:17
	ds_read2_b64 v[61:64], v1 offset0:18 offset1:19
	v_fma_f64 v[44:45], v[44:45], v[10:11], v[50:51]
	v_fma_f64 v[10:11], v[42:43], v[10:11], -v[12:13]
	s_waitcnt lgkmcnt(1)
	v_mul_f64 v[12:13], v[59:60], v[44:45]
	v_mul_f64 v[42:43], v[57:58], v[44:45]
	s_waitcnt lgkmcnt(0)
	v_mul_f64 v[50:51], v[63:64], v[44:45]
	v_mul_f64 v[65:66], v[61:62], v[44:45]
	v_fma_f64 v[12:13], v[57:58], v[10:11], -v[12:13]
	v_fma_f64 v[42:43], v[59:60], v[10:11], v[42:43]
	v_fma_f64 v[50:51], v[61:62], v[10:11], -v[50:51]
	v_fma_f64 v[57:58], v[63:64], v[10:11], v[65:66]
	v_add_f64 v[6:7], v[6:7], -v[12:13]
	v_add_f64 v[8:9], v[8:9], -v[42:43]
	;; [unrolled: 1-line block ×4, first 2 shown]
	v_mov_b32_e32 v12, v44
	v_mov_b32_e32 v13, v45
.LBB18_167:
	s_or_b32 exec_lo, exec_lo, s0
	v_lshl_add_u32 v42, v56, 4, v1
	s_barrier
	buffer_gl0_inv
	v_mov_b32_e32 v50, 8
	ds_write2_b64 v42, v[6:7], v[8:9] offset1:1
	s_waitcnt lgkmcnt(0)
	s_barrier
	buffer_gl0_inv
	ds_read2_b64 v[42:45], v1 offset0:16 offset1:17
	s_cmp_lt_i32 s3, 10
	s_cbranch_scc1 .LBB18_170
; %bb.168:
	v_add3_u32 v51, v52, 0, 0x90
	v_mov_b32_e32 v50, 8
	s_mov_b32 s1, 9
	s_inst_prefetch 0x1
	.p2align	6
.LBB18_169:                             ; =>This Inner Loop Header: Depth=1
	s_waitcnt lgkmcnt(0)
	v_cmp_gt_f64_e32 vcc_lo, 0, v[44:45]
	v_cmp_gt_f64_e64 s0, 0, v[42:43]
	ds_read2_b64 v[57:60], v51 offset1:1
	v_xor_b32_e32 v62, 0x80000000, v43
	v_xor_b32_e32 v64, 0x80000000, v45
	v_mov_b32_e32 v61, v42
	v_mov_b32_e32 v63, v44
	v_add_nc_u32_e32 v51, 16, v51
	s_waitcnt lgkmcnt(0)
	v_xor_b32_e32 v66, 0x80000000, v60
	v_cndmask_b32_e64 v62, v43, v62, s0
	v_cndmask_b32_e32 v64, v45, v64, vcc_lo
	v_cmp_gt_f64_e32 vcc_lo, 0, v[59:60]
	v_cmp_gt_f64_e64 s0, 0, v[57:58]
	v_mov_b32_e32 v65, v59
	v_add_f64 v[61:62], v[61:62], v[63:64]
	v_xor_b32_e32 v64, 0x80000000, v58
	v_mov_b32_e32 v63, v57
	v_cndmask_b32_e32 v66, v60, v66, vcc_lo
	v_cndmask_b32_e64 v64, v58, v64, s0
	v_add_f64 v[63:64], v[63:64], v[65:66]
	v_cmp_lt_f64_e32 vcc_lo, v[61:62], v[63:64]
	v_cndmask_b32_e32 v43, v43, v58, vcc_lo
	v_cndmask_b32_e32 v42, v42, v57, vcc_lo
	;; [unrolled: 1-line block ×4, first 2 shown]
	v_cndmask_b32_e64 v50, v50, s1, vcc_lo
	s_add_i32 s1, s1, 1
	s_cmp_lg_u32 s3, s1
	s_cbranch_scc1 .LBB18_169
.LBB18_170:
	s_inst_prefetch 0x2
	s_waitcnt lgkmcnt(0)
	v_cmp_eq_f64_e32 vcc_lo, 0, v[42:43]
	v_cmp_eq_f64_e64 s0, 0, v[44:45]
	s_and_b32 s0, vcc_lo, s0
	s_and_saveexec_b32 s1, s0
	s_xor_b32 s0, exec_lo, s1
; %bb.171:
	v_cmp_ne_u32_e32 vcc_lo, 0, v55
	v_cndmask_b32_e32 v55, 9, v55, vcc_lo
; %bb.172:
	s_andn2_saveexec_b32 s0, s0
	s_cbranch_execz .LBB18_178
; %bb.173:
	v_cmp_ngt_f64_e64 s1, |v[42:43]|, |v[44:45]|
	s_and_saveexec_b32 s2, s1
	s_xor_b32 s1, exec_lo, s2
	s_cbranch_execz .LBB18_175
; %bb.174:
	v_div_scale_f64 v[57:58], null, v[44:45], v[44:45], v[42:43]
	v_div_scale_f64 v[63:64], vcc_lo, v[42:43], v[44:45], v[42:43]
	v_rcp_f64_e32 v[59:60], v[57:58]
	v_fma_f64 v[61:62], -v[57:58], v[59:60], 1.0
	v_fma_f64 v[59:60], v[59:60], v[61:62], v[59:60]
	v_fma_f64 v[61:62], -v[57:58], v[59:60], 1.0
	v_fma_f64 v[59:60], v[59:60], v[61:62], v[59:60]
	v_mul_f64 v[61:62], v[63:64], v[59:60]
	v_fma_f64 v[57:58], -v[57:58], v[61:62], v[63:64]
	v_div_fmas_f64 v[57:58], v[57:58], v[59:60], v[61:62]
	v_div_fixup_f64 v[57:58], v[57:58], v[44:45], v[42:43]
	v_fma_f64 v[42:43], v[42:43], v[57:58], v[44:45]
	v_div_scale_f64 v[44:45], null, v[42:43], v[42:43], 1.0
	v_rcp_f64_e32 v[59:60], v[44:45]
	v_fma_f64 v[61:62], -v[44:45], v[59:60], 1.0
	v_fma_f64 v[59:60], v[59:60], v[61:62], v[59:60]
	v_fma_f64 v[61:62], -v[44:45], v[59:60], 1.0
	v_fma_f64 v[59:60], v[59:60], v[61:62], v[59:60]
	v_div_scale_f64 v[61:62], vcc_lo, 1.0, v[42:43], 1.0
	v_mul_f64 v[63:64], v[61:62], v[59:60]
	v_fma_f64 v[44:45], -v[44:45], v[63:64], v[61:62]
	v_div_fmas_f64 v[44:45], v[44:45], v[59:60], v[63:64]
	v_div_fixup_f64 v[44:45], v[44:45], v[42:43], 1.0
	v_mul_f64 v[42:43], v[57:58], v[44:45]
	v_xor_b32_e32 v45, 0x80000000, v45
.LBB18_175:
	s_andn2_saveexec_b32 s1, s1
	s_cbranch_execz .LBB18_177
; %bb.176:
	v_div_scale_f64 v[57:58], null, v[42:43], v[42:43], v[44:45]
	v_div_scale_f64 v[63:64], vcc_lo, v[44:45], v[42:43], v[44:45]
	v_rcp_f64_e32 v[59:60], v[57:58]
	v_fma_f64 v[61:62], -v[57:58], v[59:60], 1.0
	v_fma_f64 v[59:60], v[59:60], v[61:62], v[59:60]
	v_fma_f64 v[61:62], -v[57:58], v[59:60], 1.0
	v_fma_f64 v[59:60], v[59:60], v[61:62], v[59:60]
	v_mul_f64 v[61:62], v[63:64], v[59:60]
	v_fma_f64 v[57:58], -v[57:58], v[61:62], v[63:64]
	v_div_fmas_f64 v[57:58], v[57:58], v[59:60], v[61:62]
	v_div_fixup_f64 v[57:58], v[57:58], v[42:43], v[44:45]
	v_fma_f64 v[42:43], v[44:45], v[57:58], v[42:43]
	v_div_scale_f64 v[44:45], null, v[42:43], v[42:43], 1.0
	v_rcp_f64_e32 v[59:60], v[44:45]
	v_fma_f64 v[61:62], -v[44:45], v[59:60], 1.0
	v_fma_f64 v[59:60], v[59:60], v[61:62], v[59:60]
	v_fma_f64 v[61:62], -v[44:45], v[59:60], 1.0
	v_fma_f64 v[59:60], v[59:60], v[61:62], v[59:60]
	v_div_scale_f64 v[61:62], vcc_lo, 1.0, v[42:43], 1.0
	v_mul_f64 v[63:64], v[61:62], v[59:60]
	v_fma_f64 v[44:45], -v[44:45], v[63:64], v[61:62]
	v_div_fmas_f64 v[44:45], v[44:45], v[59:60], v[63:64]
	v_div_fixup_f64 v[42:43], v[44:45], v[42:43], 1.0
	v_mul_f64 v[44:45], v[57:58], -v[42:43]
.LBB18_177:
	s_or_b32 exec_lo, exec_lo, s1
.LBB18_178:
	s_or_b32 exec_lo, exec_lo, s0
	s_mov_b32 s0, exec_lo
	v_cmpx_ne_u32_e64 v56, v50
	s_xor_b32 s0, exec_lo, s0
	s_cbranch_execz .LBB18_184
; %bb.179:
	s_mov_b32 s1, exec_lo
	v_cmpx_eq_u32_e32 8, v56
	s_cbranch_execz .LBB18_183
; %bb.180:
	v_cmp_ne_u32_e32 vcc_lo, 8, v50
	s_xor_b32 s2, s16, -1
	s_and_b32 s7, s2, vcc_lo
	s_and_saveexec_b32 s2, s7
	s_cbranch_execz .LBB18_182
; %bb.181:
	v_ashrrev_i32_e32 v51, 31, v50
	v_lshlrev_b64 v[56:57], 2, v[50:51]
	v_add_co_u32 v56, vcc_lo, v48, v56
	v_add_co_ci_u32_e64 v57, null, v49, v57, vcc_lo
	s_clause 0x1
	global_load_dword v0, v[56:57], off
	global_load_dword v51, v[48:49], off offset:32
	s_waitcnt vmcnt(1)
	global_store_dword v[48:49], v0, off offset:32
	s_waitcnt vmcnt(0)
	global_store_dword v[56:57], v51, off
.LBB18_182:
	s_or_b32 exec_lo, exec_lo, s2
	v_mov_b32_e32 v56, v50
	v_mov_b32_e32 v0, v50
.LBB18_183:
	s_or_b32 exec_lo, exec_lo, s1
.LBB18_184:
	s_andn2_saveexec_b32 s0, s0
; %bb.185:
	v_mov_b32_e32 v56, 8
	ds_write2_b64 v1, v[2:3], v[4:5] offset0:18 offset1:19
; %bb.186:
	s_or_b32 exec_lo, exec_lo, s0
	s_mov_b32 s0, exec_lo
	s_waitcnt lgkmcnt(0)
	s_waitcnt_vscnt null, 0x0
	s_barrier
	buffer_gl0_inv
	v_cmpx_lt_i32_e32 8, v56
	s_cbranch_execz .LBB18_188
; %bb.187:
	v_mul_f64 v[50:51], v[42:43], v[8:9]
	v_mul_f64 v[8:9], v[44:45], v[8:9]
	ds_read2_b64 v[57:60], v1 offset0:18 offset1:19
	v_fma_f64 v[44:45], v[44:45], v[6:7], v[50:51]
	v_fma_f64 v[6:7], v[42:43], v[6:7], -v[8:9]
	s_waitcnt lgkmcnt(0)
	v_mul_f64 v[8:9], v[59:60], v[44:45]
	v_mul_f64 v[42:43], v[57:58], v[44:45]
	v_fma_f64 v[8:9], v[57:58], v[6:7], -v[8:9]
	v_fma_f64 v[42:43], v[59:60], v[6:7], v[42:43]
	v_add_f64 v[2:3], v[2:3], -v[8:9]
	v_add_f64 v[4:5], v[4:5], -v[42:43]
	v_mov_b32_e32 v8, v44
	v_mov_b32_e32 v9, v45
.LBB18_188:
	s_or_b32 exec_lo, exec_lo, s0
	v_lshl_add_u32 v42, v56, 4, v1
	s_barrier
	buffer_gl0_inv
	v_mov_b32_e32 v50, 9
	ds_write2_b64 v42, v[2:3], v[4:5] offset1:1
	s_waitcnt lgkmcnt(0)
	s_barrier
	buffer_gl0_inv
	ds_read2_b64 v[42:45], v1 offset0:18 offset1:19
	s_cmp_lt_i32 s3, 11
	s_cbranch_scc1 .LBB18_191
; %bb.189:
	v_add3_u32 v1, v52, 0, 0xa0
	v_mov_b32_e32 v50, 9
	s_mov_b32 s1, 10
	s_inst_prefetch 0x1
	.p2align	6
.LBB18_190:                             ; =>This Inner Loop Header: Depth=1
	s_waitcnt lgkmcnt(0)
	v_cmp_gt_f64_e32 vcc_lo, 0, v[44:45]
	v_cmp_gt_f64_e64 s0, 0, v[42:43]
	ds_read2_b64 v[57:60], v1 offset1:1
	v_xor_b32_e32 v52, 0x80000000, v43
	v_xor_b32_e32 v62, 0x80000000, v45
	v_mov_b32_e32 v51, v42
	v_mov_b32_e32 v61, v44
	v_add_nc_u32_e32 v1, 16, v1
	s_waitcnt lgkmcnt(0)
	v_xor_b32_e32 v64, 0x80000000, v60
	v_cndmask_b32_e64 v52, v43, v52, s0
	v_cndmask_b32_e32 v62, v45, v62, vcc_lo
	v_cmp_gt_f64_e32 vcc_lo, 0, v[59:60]
	v_cmp_gt_f64_e64 s0, 0, v[57:58]
	v_mov_b32_e32 v63, v59
	v_add_f64 v[51:52], v[51:52], v[61:62]
	v_xor_b32_e32 v62, 0x80000000, v58
	v_mov_b32_e32 v61, v57
	v_cndmask_b32_e32 v64, v60, v64, vcc_lo
	v_cndmask_b32_e64 v62, v58, v62, s0
	v_add_f64 v[61:62], v[61:62], v[63:64]
	v_cmp_lt_f64_e32 vcc_lo, v[51:52], v[61:62]
	v_cndmask_b32_e32 v43, v43, v58, vcc_lo
	v_cndmask_b32_e32 v42, v42, v57, vcc_lo
	v_cndmask_b32_e32 v45, v45, v60, vcc_lo
	v_cndmask_b32_e32 v44, v44, v59, vcc_lo
	v_cndmask_b32_e64 v50, v50, s1, vcc_lo
	s_add_i32 s1, s1, 1
	s_cmp_lg_u32 s3, s1
	s_cbranch_scc1 .LBB18_190
.LBB18_191:
	s_inst_prefetch 0x2
	s_waitcnt lgkmcnt(0)
	v_cmp_eq_f64_e32 vcc_lo, 0, v[42:43]
	v_cmp_eq_f64_e64 s0, 0, v[44:45]
	s_and_b32 s0, vcc_lo, s0
	s_and_saveexec_b32 s1, s0
	s_xor_b32 s0, exec_lo, s1
; %bb.192:
	v_cmp_ne_u32_e32 vcc_lo, 0, v55
	v_cndmask_b32_e32 v55, 10, v55, vcc_lo
; %bb.193:
	s_andn2_saveexec_b32 s0, s0
	s_cbranch_execz .LBB18_199
; %bb.194:
	v_cmp_ngt_f64_e64 s1, |v[42:43]|, |v[44:45]|
	s_and_saveexec_b32 s2, s1
	s_xor_b32 s1, exec_lo, s2
	s_cbranch_execz .LBB18_196
; %bb.195:
	v_div_scale_f64 v[51:52], null, v[44:45], v[44:45], v[42:43]
	v_div_scale_f64 v[61:62], vcc_lo, v[42:43], v[44:45], v[42:43]
	v_rcp_f64_e32 v[57:58], v[51:52]
	v_fma_f64 v[59:60], -v[51:52], v[57:58], 1.0
	v_fma_f64 v[57:58], v[57:58], v[59:60], v[57:58]
	v_fma_f64 v[59:60], -v[51:52], v[57:58], 1.0
	v_fma_f64 v[57:58], v[57:58], v[59:60], v[57:58]
	v_mul_f64 v[59:60], v[61:62], v[57:58]
	v_fma_f64 v[51:52], -v[51:52], v[59:60], v[61:62]
	v_div_fmas_f64 v[51:52], v[51:52], v[57:58], v[59:60]
	v_div_fixup_f64 v[51:52], v[51:52], v[44:45], v[42:43]
	v_fma_f64 v[42:43], v[42:43], v[51:52], v[44:45]
	v_div_scale_f64 v[44:45], null, v[42:43], v[42:43], 1.0
	v_rcp_f64_e32 v[57:58], v[44:45]
	v_fma_f64 v[59:60], -v[44:45], v[57:58], 1.0
	v_fma_f64 v[57:58], v[57:58], v[59:60], v[57:58]
	v_fma_f64 v[59:60], -v[44:45], v[57:58], 1.0
	v_fma_f64 v[57:58], v[57:58], v[59:60], v[57:58]
	v_div_scale_f64 v[59:60], vcc_lo, 1.0, v[42:43], 1.0
	v_mul_f64 v[61:62], v[59:60], v[57:58]
	v_fma_f64 v[44:45], -v[44:45], v[61:62], v[59:60]
	v_div_fmas_f64 v[44:45], v[44:45], v[57:58], v[61:62]
	v_div_fixup_f64 v[44:45], v[44:45], v[42:43], 1.0
	v_mul_f64 v[42:43], v[51:52], v[44:45]
	v_xor_b32_e32 v45, 0x80000000, v45
.LBB18_196:
	s_andn2_saveexec_b32 s1, s1
	s_cbranch_execz .LBB18_198
; %bb.197:
	v_div_scale_f64 v[51:52], null, v[42:43], v[42:43], v[44:45]
	v_div_scale_f64 v[61:62], vcc_lo, v[44:45], v[42:43], v[44:45]
	v_rcp_f64_e32 v[57:58], v[51:52]
	v_fma_f64 v[59:60], -v[51:52], v[57:58], 1.0
	v_fma_f64 v[57:58], v[57:58], v[59:60], v[57:58]
	v_fma_f64 v[59:60], -v[51:52], v[57:58], 1.0
	v_fma_f64 v[57:58], v[57:58], v[59:60], v[57:58]
	v_mul_f64 v[59:60], v[61:62], v[57:58]
	v_fma_f64 v[51:52], -v[51:52], v[59:60], v[61:62]
	v_div_fmas_f64 v[51:52], v[51:52], v[57:58], v[59:60]
	v_div_fixup_f64 v[51:52], v[51:52], v[42:43], v[44:45]
	v_fma_f64 v[42:43], v[44:45], v[51:52], v[42:43]
	v_div_scale_f64 v[44:45], null, v[42:43], v[42:43], 1.0
	v_rcp_f64_e32 v[57:58], v[44:45]
	v_fma_f64 v[59:60], -v[44:45], v[57:58], 1.0
	v_fma_f64 v[57:58], v[57:58], v[59:60], v[57:58]
	v_fma_f64 v[59:60], -v[44:45], v[57:58], 1.0
	v_fma_f64 v[57:58], v[57:58], v[59:60], v[57:58]
	v_div_scale_f64 v[59:60], vcc_lo, 1.0, v[42:43], 1.0
	v_mul_f64 v[61:62], v[59:60], v[57:58]
	v_fma_f64 v[44:45], -v[44:45], v[61:62], v[59:60]
	v_div_fmas_f64 v[44:45], v[44:45], v[57:58], v[61:62]
	v_div_fixup_f64 v[42:43], v[44:45], v[42:43], 1.0
	v_mul_f64 v[44:45], v[51:52], -v[42:43]
.LBB18_198:
	s_or_b32 exec_lo, exec_lo, s1
.LBB18_199:
	s_or_b32 exec_lo, exec_lo, s0
	v_mov_b32_e32 v51, 9
	s_mov_b32 s0, exec_lo
	v_cmpx_ne_u32_e64 v56, v50
	s_cbranch_execz .LBB18_205
; %bb.200:
	s_mov_b32 s1, exec_lo
	v_cmpx_eq_u32_e32 9, v56
	s_cbranch_execz .LBB18_204
; %bb.201:
	v_cmp_ne_u32_e32 vcc_lo, 9, v50
	s_xor_b32 s2, s16, -1
	s_and_b32 s3, s2, vcc_lo
	s_and_saveexec_b32 s2, s3
	s_cbranch_execz .LBB18_203
; %bb.202:
	v_ashrrev_i32_e32 v51, 31, v50
	v_lshlrev_b64 v[0:1], 2, v[50:51]
	v_add_co_u32 v0, vcc_lo, v48, v0
	v_add_co_ci_u32_e64 v1, null, v49, v1, vcc_lo
	s_clause 0x1
	global_load_dword v51, v[0:1], off
	global_load_dword v52, v[48:49], off offset:36
	s_waitcnt vmcnt(1)
	global_store_dword v[48:49], v51, off offset:36
	s_waitcnt vmcnt(0)
	global_store_dword v[0:1], v52, off
.LBB18_203:
	s_or_b32 exec_lo, exec_lo, s2
	v_mov_b32_e32 v56, v50
	v_mov_b32_e32 v0, v50
.LBB18_204:
	s_or_b32 exec_lo, exec_lo, s1
	v_mov_b32_e32 v51, v56
.LBB18_205:
	s_or_b32 exec_lo, exec_lo, s0
	s_mov_b32 s0, exec_lo
	s_waitcnt_vscnt null, 0x0
	s_barrier
	buffer_gl0_inv
	v_cmpx_lt_i32_e32 9, v51
	s_cbranch_execz .LBB18_207
; %bb.206:
	v_mul_f64 v[48:49], v[44:45], v[4:5]
	v_mul_f64 v[4:5], v[42:43], v[4:5]
	v_fma_f64 v[42:43], v[42:43], v[2:3], -v[48:49]
	v_fma_f64 v[4:5], v[44:45], v[2:3], v[4:5]
	v_mov_b32_e32 v2, v42
	v_mov_b32_e32 v3, v43
.LBB18_207:
	s_or_b32 exec_lo, exec_lo, s0
	v_ashrrev_i32_e32 v52, 31, v51
	s_mov_b32 s0, exec_lo
	s_barrier
	buffer_gl0_inv
	v_cmpx_gt_i32_e32 10, v51
	s_cbranch_execz .LBB18_209
; %bb.208:
	v_mul_lo_u32 v1, s15, v46
	v_mul_lo_u32 v44, s14, v47
	v_mad_u64_u32 v[42:43], null, s14, v46, 0
	s_lshl_b64 s[2:3], s[12:13], 2
	v_add3_u32 v0, v0, s17, 1
	v_add3_u32 v43, v43, v44, v1
	v_lshlrev_b64 v[42:43], 2, v[42:43]
	v_add_co_u32 v1, vcc_lo, s10, v42
	v_add_co_ci_u32_e64 v44, null, s11, v43, vcc_lo
	v_lshlrev_b64 v[42:43], 2, v[51:52]
	v_add_co_u32 v1, vcc_lo, v1, s2
	v_add_co_ci_u32_e64 v44, null, s3, v44, vcc_lo
	v_add_co_u32 v42, vcc_lo, v1, v42
	v_add_co_ci_u32_e64 v43, null, v44, v43, vcc_lo
	global_store_dword v[42:43], v0, off
.LBB18_209:
	s_or_b32 exec_lo, exec_lo, s0
	s_mov_b32 s1, exec_lo
	v_cmpx_eq_u32_e32 0, v51
	s_cbranch_execz .LBB18_212
; %bb.210:
	v_lshlrev_b64 v[0:1], 2, v[46:47]
	v_cmp_ne_u32_e64 s0, 0, v55
	v_add_co_u32 v0, vcc_lo, s4, v0
	v_add_co_ci_u32_e64 v1, null, s5, v1, vcc_lo
	global_load_dword v42, v[0:1], off
	s_waitcnt vmcnt(0)
	v_cmp_eq_u32_e32 vcc_lo, 0, v42
	s_and_b32 s0, vcc_lo, s0
	s_and_b32 exec_lo, exec_lo, s0
	s_cbranch_execz .LBB18_212
; %bb.211:
	v_add_nc_u32_e32 v42, s17, v55
	global_store_dword v[0:1], v42, off
.LBB18_212:
	s_or_b32 exec_lo, exec_lo, s1
	v_add3_u32 v0, s6, s6, v51
	v_lshlrev_b64 v[42:43], 4, v[51:52]
	v_ashrrev_i32_e32 v1, 31, v0
	v_add_nc_u32_e32 v44, s6, v0
	v_add_co_u32 v42, vcc_lo, v53, v42
	v_add_co_ci_u32_e64 v43, null, v54, v43, vcc_lo
	v_lshlrev_b64 v[0:1], 4, v[0:1]
	v_add_co_u32 v48, vcc_lo, v42, s8
	v_add_co_ci_u32_e64 v49, null, s9, v43, vcc_lo
	v_add_nc_u32_e32 v46, s6, v44
	v_add_co_u32 v0, vcc_lo, v53, v0
	v_add_co_ci_u32_e64 v1, null, v54, v1, vcc_lo
	v_ashrrev_i32_e32 v45, 31, v44
	global_store_dwordx4 v[42:43], v[38:41], off
	global_store_dwordx4 v[48:49], v[34:37], off
	;; [unrolled: 1-line block ×3, first 2 shown]
	v_add_nc_u32_e32 v30, s6, v46
	v_ashrrev_i32_e32 v47, 31, v46
	v_lshlrev_b64 v[38:39], 4, v[44:45]
	v_add_nc_u32_e32 v34, s6, v30
	v_lshlrev_b64 v[0:1], 4, v[46:47]
	v_ashrrev_i32_e32 v31, 31, v30
	v_add_co_u32 v32, vcc_lo, v53, v38
	v_add_co_ci_u32_e64 v33, null, v54, v39, vcc_lo
	v_add_nc_u32_e32 v36, s6, v34
	v_add_co_u32 v0, vcc_lo, v53, v0
	v_add_co_ci_u32_e64 v1, null, v54, v1, vcc_lo
	global_store_dwordx4 v[32:33], v[22:25], off
	v_add_nc_u32_e32 v24, s6, v36
	v_ashrrev_i32_e32 v35, 31, v34
	global_store_dwordx4 v[0:1], v[26:29], off
	v_ashrrev_i32_e32 v37, 31, v36
	v_lshlrev_b64 v[22:23], 4, v[30:31]
	v_add_nc_u32_e32 v28, s6, v24
	v_ashrrev_i32_e32 v25, 31, v24
	v_lshlrev_b64 v[0:1], 4, v[34:35]
	v_lshlrev_b64 v[26:27], 4, v[36:37]
	v_ashrrev_i32_e32 v29, 31, v28
	v_add_co_u32 v22, vcc_lo, v53, v22
	v_lshlrev_b64 v[24:25], 4, v[24:25]
	v_add_co_ci_u32_e64 v23, null, v54, v23, vcc_lo
	v_add_co_u32 v0, vcc_lo, v53, v0
	v_lshlrev_b64 v[28:29], 4, v[28:29]
	v_add_co_ci_u32_e64 v1, null, v54, v1, vcc_lo
	v_add_co_u32 v26, vcc_lo, v53, v26
	v_add_co_ci_u32_e64 v27, null, v54, v27, vcc_lo
	v_add_co_u32 v24, vcc_lo, v53, v24
	;; [unrolled: 2-line block ×3, first 2 shown]
	v_add_co_ci_u32_e64 v29, null, v54, v29, vcc_lo
	global_store_dwordx4 v[22:23], v[18:21], off
	global_store_dwordx4 v[0:1], v[14:17], off
	;; [unrolled: 1-line block ×5, first 2 shown]
.LBB18_213:
	s_endpgm
	.section	.rodata,"a",@progbits
	.p2align	6, 0x0
	.amdhsa_kernel _ZN9rocsolver6v33100L18getf2_small_kernelILi10E19rocblas_complex_numIdEiiPS3_EEvT1_T3_lS5_lPS5_llPT2_S5_S5_S7_l
		.amdhsa_group_segment_fixed_size 0
		.amdhsa_private_segment_fixed_size 0
		.amdhsa_kernarg_size 352
		.amdhsa_user_sgpr_count 6
		.amdhsa_user_sgpr_private_segment_buffer 1
		.amdhsa_user_sgpr_dispatch_ptr 0
		.amdhsa_user_sgpr_queue_ptr 0
		.amdhsa_user_sgpr_kernarg_segment_ptr 1
		.amdhsa_user_sgpr_dispatch_id 0
		.amdhsa_user_sgpr_flat_scratch_init 0
		.amdhsa_user_sgpr_private_segment_size 0
		.amdhsa_wavefront_size32 1
		.amdhsa_uses_dynamic_stack 0
		.amdhsa_system_sgpr_private_segment_wavefront_offset 0
		.amdhsa_system_sgpr_workgroup_id_x 1
		.amdhsa_system_sgpr_workgroup_id_y 1
		.amdhsa_system_sgpr_workgroup_id_z 0
		.amdhsa_system_sgpr_workgroup_info 0
		.amdhsa_system_vgpr_workitem_id 1
		.amdhsa_next_free_vgpr 75
		.amdhsa_next_free_sgpr 18
		.amdhsa_reserve_vcc 1
		.amdhsa_reserve_flat_scratch 0
		.amdhsa_float_round_mode_32 0
		.amdhsa_float_round_mode_16_64 0
		.amdhsa_float_denorm_mode_32 3
		.amdhsa_float_denorm_mode_16_64 3
		.amdhsa_dx10_clamp 1
		.amdhsa_ieee_mode 1
		.amdhsa_fp16_overflow 0
		.amdhsa_workgroup_processor_mode 1
		.amdhsa_memory_ordered 1
		.amdhsa_forward_progress 1
		.amdhsa_shared_vgpr_count 0
		.amdhsa_exception_fp_ieee_invalid_op 0
		.amdhsa_exception_fp_denorm_src 0
		.amdhsa_exception_fp_ieee_div_zero 0
		.amdhsa_exception_fp_ieee_overflow 0
		.amdhsa_exception_fp_ieee_underflow 0
		.amdhsa_exception_fp_ieee_inexact 0
		.amdhsa_exception_int_div_zero 0
	.end_amdhsa_kernel
	.section	.text._ZN9rocsolver6v33100L18getf2_small_kernelILi10E19rocblas_complex_numIdEiiPS3_EEvT1_T3_lS5_lPS5_llPT2_S5_S5_S7_l,"axG",@progbits,_ZN9rocsolver6v33100L18getf2_small_kernelILi10E19rocblas_complex_numIdEiiPS3_EEvT1_T3_lS5_lPS5_llPT2_S5_S5_S7_l,comdat
.Lfunc_end18:
	.size	_ZN9rocsolver6v33100L18getf2_small_kernelILi10E19rocblas_complex_numIdEiiPS3_EEvT1_T3_lS5_lPS5_llPT2_S5_S5_S7_l, .Lfunc_end18-_ZN9rocsolver6v33100L18getf2_small_kernelILi10E19rocblas_complex_numIdEiiPS3_EEvT1_T3_lS5_lPS5_llPT2_S5_S5_S7_l
                                        ; -- End function
	.set _ZN9rocsolver6v33100L18getf2_small_kernelILi10E19rocblas_complex_numIdEiiPS3_EEvT1_T3_lS5_lPS5_llPT2_S5_S5_S7_l.num_vgpr, 75
	.set _ZN9rocsolver6v33100L18getf2_small_kernelILi10E19rocblas_complex_numIdEiiPS3_EEvT1_T3_lS5_lPS5_llPT2_S5_S5_S7_l.num_agpr, 0
	.set _ZN9rocsolver6v33100L18getf2_small_kernelILi10E19rocblas_complex_numIdEiiPS3_EEvT1_T3_lS5_lPS5_llPT2_S5_S5_S7_l.numbered_sgpr, 18
	.set _ZN9rocsolver6v33100L18getf2_small_kernelILi10E19rocblas_complex_numIdEiiPS3_EEvT1_T3_lS5_lPS5_llPT2_S5_S5_S7_l.num_named_barrier, 0
	.set _ZN9rocsolver6v33100L18getf2_small_kernelILi10E19rocblas_complex_numIdEiiPS3_EEvT1_T3_lS5_lPS5_llPT2_S5_S5_S7_l.private_seg_size, 0
	.set _ZN9rocsolver6v33100L18getf2_small_kernelILi10E19rocblas_complex_numIdEiiPS3_EEvT1_T3_lS5_lPS5_llPT2_S5_S5_S7_l.uses_vcc, 1
	.set _ZN9rocsolver6v33100L18getf2_small_kernelILi10E19rocblas_complex_numIdEiiPS3_EEvT1_T3_lS5_lPS5_llPT2_S5_S5_S7_l.uses_flat_scratch, 0
	.set _ZN9rocsolver6v33100L18getf2_small_kernelILi10E19rocblas_complex_numIdEiiPS3_EEvT1_T3_lS5_lPS5_llPT2_S5_S5_S7_l.has_dyn_sized_stack, 0
	.set _ZN9rocsolver6v33100L18getf2_small_kernelILi10E19rocblas_complex_numIdEiiPS3_EEvT1_T3_lS5_lPS5_llPT2_S5_S5_S7_l.has_recursion, 0
	.set _ZN9rocsolver6v33100L18getf2_small_kernelILi10E19rocblas_complex_numIdEiiPS3_EEvT1_T3_lS5_lPS5_llPT2_S5_S5_S7_l.has_indirect_call, 0
	.section	.AMDGPU.csdata,"",@progbits
; Kernel info:
; codeLenInByte = 14208
; TotalNumSgprs: 20
; NumVgprs: 75
; ScratchSize: 0
; MemoryBound: 0
; FloatMode: 240
; IeeeMode: 1
; LDSByteSize: 0 bytes/workgroup (compile time only)
; SGPRBlocks: 0
; VGPRBlocks: 9
; NumSGPRsForWavesPerEU: 20
; NumVGPRsForWavesPerEU: 75
; Occupancy: 12
; WaveLimiterHint : 0
; COMPUTE_PGM_RSRC2:SCRATCH_EN: 0
; COMPUTE_PGM_RSRC2:USER_SGPR: 6
; COMPUTE_PGM_RSRC2:TRAP_HANDLER: 0
; COMPUTE_PGM_RSRC2:TGID_X_EN: 1
; COMPUTE_PGM_RSRC2:TGID_Y_EN: 1
; COMPUTE_PGM_RSRC2:TGID_Z_EN: 0
; COMPUTE_PGM_RSRC2:TIDIG_COMP_CNT: 1
	.section	.text._ZN9rocsolver6v33100L23getf2_npvt_small_kernelILi10E19rocblas_complex_numIdEiiPS3_EEvT1_T3_lS5_lPT2_S5_S5_,"axG",@progbits,_ZN9rocsolver6v33100L23getf2_npvt_small_kernelILi10E19rocblas_complex_numIdEiiPS3_EEvT1_T3_lS5_lPT2_S5_S5_,comdat
	.globl	_ZN9rocsolver6v33100L23getf2_npvt_small_kernelILi10E19rocblas_complex_numIdEiiPS3_EEvT1_T3_lS5_lPT2_S5_S5_ ; -- Begin function _ZN9rocsolver6v33100L23getf2_npvt_small_kernelILi10E19rocblas_complex_numIdEiiPS3_EEvT1_T3_lS5_lPT2_S5_S5_
	.p2align	8
	.type	_ZN9rocsolver6v33100L23getf2_npvt_small_kernelILi10E19rocblas_complex_numIdEiiPS3_EEvT1_T3_lS5_lPT2_S5_S5_,@function
_ZN9rocsolver6v33100L23getf2_npvt_small_kernelILi10E19rocblas_complex_numIdEiiPS3_EEvT1_T3_lS5_lPT2_S5_S5_: ; @_ZN9rocsolver6v33100L23getf2_npvt_small_kernelILi10E19rocblas_complex_numIdEiiPS3_EEvT1_T3_lS5_lPT2_S5_S5_
; %bb.0:
	s_clause 0x1
	s_load_dword s0, s[4:5], 0x44
	s_load_dwordx2 s[12:13], s[4:5], 0x30
	s_waitcnt lgkmcnt(0)
	s_lshr_b32 s14, s0, 16
	s_mov_b32 s0, exec_lo
	v_mad_u64_u32 v[88:89], null, s7, s14, v[1:2]
	v_cmpx_gt_i32_e64 s12, v88
	s_cbranch_execz .LBB19_95
; %bb.1:
	s_clause 0x2
	s_load_dwordx4 s[8:11], s[4:5], 0x20
	s_load_dword s6, s[4:5], 0x18
	s_load_dwordx4 s[0:3], s[4:5], 0x8
	v_ashrrev_i32_e32 v89, 31, v88
	v_lshlrev_b32_e32 v12, 4, v0
	v_lshlrev_b32_e32 v42, 4, v1
	s_mulk_i32 s14, 0xa0
	v_mad_u32_u24 v104, 0xa0, v1, 0
	v_add3_u32 v1, 0, s14, v42
	s_waitcnt lgkmcnt(0)
	v_mul_lo_u32 v5, s9, v88
	v_mul_lo_u32 v7, s8, v89
	v_mad_u64_u32 v[2:3], null, s8, v88, 0
	v_add3_u32 v4, s6, s6, v0
	s_lshl_b64 s[2:3], s[2:3], 4
	s_ashr_i32 s7, s6, 31
	s_lshl_b64 s[4:5], s[6:7], 4
	v_add_nc_u32_e32 v6, s6, v4
	v_add3_u32 v3, v3, v7, v5
	v_ashrrev_i32_e32 v5, 31, v4
	v_add_nc_u32_e32 v8, s6, v6
	v_lshlrev_b64 v[2:3], 4, v[2:3]
	v_ashrrev_i32_e32 v7, 31, v6
	v_lshlrev_b64 v[4:5], 4, v[4:5]
	v_add_nc_u32_e32 v10, s6, v8
	v_ashrrev_i32_e32 v9, 31, v8
	v_add_co_u32 v13, vcc_lo, s0, v2
	v_add_co_ci_u32_e64 v14, null, s1, v3, vcc_lo
	v_add_nc_u32_e32 v18, s6, v10
	v_add_co_u32 v26, vcc_lo, v13, s2
	v_add_co_ci_u32_e64 v27, null, s3, v14, vcc_lo
	v_lshlrev_b64 v[6:7], 4, v[6:7]
	v_ashrrev_i32_e32 v11, 31, v10
	v_lshlrev_b64 v[2:3], 4, v[8:9]
	v_add_co_u32 v90, vcc_lo, v26, v12
	v_add_co_ci_u32_e64 v91, null, 0, v27, vcc_lo
	v_add_co_u32 v86, vcc_lo, v26, v4
	v_add_nc_u32_e32 v22, s6, v18
	v_lshlrev_b64 v[20:21], 4, v[10:11]
	v_add_co_ci_u32_e64 v87, null, v27, v5, vcc_lo
	v_add_co_u32 v84, vcc_lo, v26, v6
	v_add_co_ci_u32_e64 v85, null, v27, v7, vcc_lo
	v_add_co_u32 v82, vcc_lo, v26, v2
	v_ashrrev_i32_e32 v19, 31, v18
	v_ashrrev_i32_e32 v23, 31, v22
	v_add_nc_u32_e32 v24, s6, v22
	v_add_co_ci_u32_e64 v83, null, v27, v3, vcc_lo
	v_add_co_u32 v92, vcc_lo, v90, s4
	v_add_co_ci_u32_e64 v93, null, s5, v91, vcc_lo
	v_add_co_u32 v94, vcc_lo, v26, v20
	v_lshlrev_b64 v[18:19], 4, v[18:19]
	v_add_co_ci_u32_e64 v95, null, v27, v21, vcc_lo
	v_lshlrev_b64 v[20:21], 4, v[22:23]
	v_add_nc_u32_e32 v22, s6, v24
	v_ashrrev_i32_e32 v25, 31, v24
	v_add_co_u32 v100, vcc_lo, v26, v18
	v_add_co_ci_u32_e64 v101, null, v27, v19, vcc_lo
	v_ashrrev_i32_e32 v23, 31, v22
	v_lshlrev_b64 v[18:19], 4, v[24:25]
	v_add_co_u32 v96, vcc_lo, v26, v20
	v_add_co_ci_u32_e64 v97, null, v27, v21, vcc_lo
	v_lshlrev_b64 v[20:21], 4, v[22:23]
	v_add_co_u32 v98, vcc_lo, v26, v18
	v_add_co_ci_u32_e64 v99, null, v27, v19, vcc_lo
	s_clause 0x1
	global_load_dwordx4 v[6:9], v[86:87], off
	global_load_dwordx4 v[2:5], v[84:85], off
	v_add_co_u32 v102, vcc_lo, v26, v20
	s_clause 0x1
	global_load_dwordx4 v[14:17], v[90:91], off
	global_load_dwordx4 v[10:13], v[92:93], off
	v_add_co_ci_u32_e64 v103, null, v27, v21, vcc_lo
	s_clause 0x5
	global_load_dwordx4 v[38:41], v[82:83], off
	global_load_dwordx4 v[34:37], v[94:95], off
	;; [unrolled: 1-line block ×6, first 2 shown]
	v_cmp_ne_u32_e64 s1, 0, v0
	v_cmp_eq_u32_e64 s0, 0, v0
	s_and_saveexec_b32 s3, s0
	s_cbranch_execz .LBB19_8
; %bb.2:
	s_waitcnt vmcnt(7)
	ds_write2_b64 v1, v[14:15], v[16:17] offset1:1
	s_waitcnt vmcnt(6)
	ds_write2_b64 v104, v[10:11], v[12:13] offset0:2 offset1:3
	ds_write2_b64 v104, v[6:7], v[8:9] offset0:4 offset1:5
	;; [unrolled: 1-line block ×3, first 2 shown]
	s_waitcnt vmcnt(5)
	ds_write2_b64 v104, v[38:39], v[40:41] offset0:8 offset1:9
	s_waitcnt vmcnt(4)
	ds_write2_b64 v104, v[34:35], v[36:37] offset0:10 offset1:11
	;; [unrolled: 2-line block ×6, first 2 shown]
	ds_read2_b64 v[42:45], v1 offset1:1
	s_waitcnt lgkmcnt(0)
	v_cmp_neq_f64_e32 vcc_lo, 0, v[42:43]
	v_cmp_neq_f64_e64 s2, 0, v[44:45]
	s_or_b32 s2, vcc_lo, s2
	s_and_b32 exec_lo, exec_lo, s2
	s_cbranch_execz .LBB19_8
; %bb.3:
	v_cmp_ngt_f64_e64 s2, |v[42:43]|, |v[44:45]|
                                        ; implicit-def: $vgpr46_vgpr47
	s_and_saveexec_b32 s4, s2
	s_xor_b32 s2, exec_lo, s4
                                        ; implicit-def: $vgpr48_vgpr49
	s_cbranch_execz .LBB19_5
; %bb.4:
	v_div_scale_f64 v[46:47], null, v[44:45], v[44:45], v[42:43]
	v_div_scale_f64 v[52:53], vcc_lo, v[42:43], v[44:45], v[42:43]
	v_rcp_f64_e32 v[48:49], v[46:47]
	v_fma_f64 v[50:51], -v[46:47], v[48:49], 1.0
	v_fma_f64 v[48:49], v[48:49], v[50:51], v[48:49]
	v_fma_f64 v[50:51], -v[46:47], v[48:49], 1.0
	v_fma_f64 v[48:49], v[48:49], v[50:51], v[48:49]
	v_mul_f64 v[50:51], v[52:53], v[48:49]
	v_fma_f64 v[46:47], -v[46:47], v[50:51], v[52:53]
	v_div_fmas_f64 v[46:47], v[46:47], v[48:49], v[50:51]
	v_div_fixup_f64 v[46:47], v[46:47], v[44:45], v[42:43]
	v_fma_f64 v[42:43], v[42:43], v[46:47], v[44:45]
	v_div_scale_f64 v[44:45], null, v[42:43], v[42:43], 1.0
	v_rcp_f64_e32 v[48:49], v[44:45]
	v_fma_f64 v[50:51], -v[44:45], v[48:49], 1.0
	v_fma_f64 v[48:49], v[48:49], v[50:51], v[48:49]
	v_fma_f64 v[50:51], -v[44:45], v[48:49], 1.0
	v_fma_f64 v[48:49], v[48:49], v[50:51], v[48:49]
	v_div_scale_f64 v[50:51], vcc_lo, 1.0, v[42:43], 1.0
	v_mul_f64 v[52:53], v[50:51], v[48:49]
	v_fma_f64 v[44:45], -v[44:45], v[52:53], v[50:51]
	v_div_fmas_f64 v[44:45], v[44:45], v[48:49], v[52:53]
	v_div_fixup_f64 v[48:49], v[44:45], v[42:43], 1.0
                                        ; implicit-def: $vgpr42_vgpr43
	v_mul_f64 v[46:47], v[46:47], v[48:49]
	v_xor_b32_e32 v49, 0x80000000, v49
.LBB19_5:
	s_andn2_saveexec_b32 s2, s2
	s_cbranch_execz .LBB19_7
; %bb.6:
	v_div_scale_f64 v[46:47], null, v[42:43], v[42:43], v[44:45]
	v_div_scale_f64 v[52:53], vcc_lo, v[44:45], v[42:43], v[44:45]
	v_rcp_f64_e32 v[48:49], v[46:47]
	v_fma_f64 v[50:51], -v[46:47], v[48:49], 1.0
	v_fma_f64 v[48:49], v[48:49], v[50:51], v[48:49]
	v_fma_f64 v[50:51], -v[46:47], v[48:49], 1.0
	v_fma_f64 v[48:49], v[48:49], v[50:51], v[48:49]
	v_mul_f64 v[50:51], v[52:53], v[48:49]
	v_fma_f64 v[46:47], -v[46:47], v[50:51], v[52:53]
	v_div_fmas_f64 v[46:47], v[46:47], v[48:49], v[50:51]
	v_div_fixup_f64 v[48:49], v[46:47], v[42:43], v[44:45]
	v_fma_f64 v[42:43], v[44:45], v[48:49], v[42:43]
	v_div_scale_f64 v[44:45], null, v[42:43], v[42:43], 1.0
	v_rcp_f64_e32 v[46:47], v[44:45]
	v_fma_f64 v[50:51], -v[44:45], v[46:47], 1.0
	v_fma_f64 v[46:47], v[46:47], v[50:51], v[46:47]
	v_fma_f64 v[50:51], -v[44:45], v[46:47], 1.0
	v_fma_f64 v[46:47], v[46:47], v[50:51], v[46:47]
	v_div_scale_f64 v[50:51], vcc_lo, 1.0, v[42:43], 1.0
	v_mul_f64 v[52:53], v[50:51], v[46:47]
	v_fma_f64 v[44:45], -v[44:45], v[52:53], v[50:51]
	v_div_fmas_f64 v[44:45], v[44:45], v[46:47], v[52:53]
	v_div_fixup_f64 v[46:47], v[44:45], v[42:43], 1.0
	v_mul_f64 v[48:49], v[48:49], -v[46:47]
.LBB19_7:
	s_or_b32 exec_lo, exec_lo, s2
	ds_write2_b64 v1, v[46:47], v[48:49] offset1:1
.LBB19_8:
	s_or_b32 exec_lo, exec_lo, s3
	s_waitcnt vmcnt(0) lgkmcnt(0)
	s_barrier
	buffer_gl0_inv
	ds_read2_b64 v[42:45], v1 offset1:1
	s_and_saveexec_b32 s2, s1
	s_cbranch_execz .LBB19_10
; %bb.9:
	s_waitcnt lgkmcnt(0)
	v_mul_f64 v[46:47], v[42:43], v[16:17]
	v_mul_f64 v[16:17], v[44:45], v[16:17]
	v_fma_f64 v[50:51], v[44:45], v[14:15], v[46:47]
	ds_read2_b64 v[46:49], v104 offset0:2 offset1:3
	v_fma_f64 v[14:15], v[42:43], v[14:15], -v[16:17]
	s_waitcnt lgkmcnt(0)
	v_mul_f64 v[16:17], v[48:49], v[50:51]
	v_fma_f64 v[16:17], v[46:47], v[14:15], -v[16:17]
	v_mul_f64 v[46:47], v[46:47], v[50:51]
	v_add_f64 v[10:11], v[10:11], -v[16:17]
	v_fma_f64 v[46:47], v[48:49], v[14:15], v[46:47]
	v_add_f64 v[12:13], v[12:13], -v[46:47]
	ds_read2_b64 v[46:49], v104 offset0:4 offset1:5
	s_waitcnt lgkmcnt(0)
	v_mul_f64 v[16:17], v[48:49], v[50:51]
	v_fma_f64 v[16:17], v[46:47], v[14:15], -v[16:17]
	v_mul_f64 v[46:47], v[46:47], v[50:51]
	v_add_f64 v[6:7], v[6:7], -v[16:17]
	v_fma_f64 v[46:47], v[48:49], v[14:15], v[46:47]
	v_add_f64 v[8:9], v[8:9], -v[46:47]
	ds_read2_b64 v[46:49], v104 offset0:6 offset1:7
	;; [unrolled: 8-line block ×8, first 2 shown]
	s_waitcnt lgkmcnt(0)
	v_mul_f64 v[16:17], v[48:49], v[50:51]
	v_fma_f64 v[16:17], v[46:47], v[14:15], -v[16:17]
	v_mul_f64 v[46:47], v[46:47], v[50:51]
	v_add_f64 v[18:19], v[18:19], -v[16:17]
	v_fma_f64 v[46:47], v[48:49], v[14:15], v[46:47]
	v_mov_b32_e32 v16, v50
	v_mov_b32_e32 v17, v51
	v_add_f64 v[20:21], v[20:21], -v[46:47]
.LBB19_10:
	s_or_b32 exec_lo, exec_lo, s2
	s_mov_b32 s2, exec_lo
	s_waitcnt lgkmcnt(0)
	s_barrier
	buffer_gl0_inv
	v_cmpx_eq_u32_e32 1, v0
	s_cbranch_execz .LBB19_17
; %bb.11:
	ds_write2_b64 v1, v[10:11], v[12:13] offset1:1
	ds_write2_b64 v104, v[6:7], v[8:9] offset0:4 offset1:5
	ds_write2_b64 v104, v[2:3], v[4:5] offset0:6 offset1:7
	ds_write2_b64 v104, v[38:39], v[40:41] offset0:8 offset1:9
	ds_write2_b64 v104, v[34:35], v[36:37] offset0:10 offset1:11
	ds_write2_b64 v104, v[30:31], v[32:33] offset0:12 offset1:13
	ds_write2_b64 v104, v[26:27], v[28:29] offset0:14 offset1:15
	ds_write2_b64 v104, v[22:23], v[24:25] offset0:16 offset1:17
	ds_write2_b64 v104, v[18:19], v[20:21] offset0:18 offset1:19
	ds_read2_b64 v[46:49], v1 offset1:1
	s_waitcnt lgkmcnt(0)
	v_cmp_neq_f64_e32 vcc_lo, 0, v[46:47]
	v_cmp_neq_f64_e64 s1, 0, v[48:49]
	s_or_b32 s1, vcc_lo, s1
	s_and_b32 exec_lo, exec_lo, s1
	s_cbranch_execz .LBB19_17
; %bb.12:
	v_cmp_ngt_f64_e64 s1, |v[46:47]|, |v[48:49]|
                                        ; implicit-def: $vgpr50_vgpr51
	s_and_saveexec_b32 s3, s1
	s_xor_b32 s1, exec_lo, s3
                                        ; implicit-def: $vgpr52_vgpr53
	s_cbranch_execz .LBB19_14
; %bb.13:
	v_div_scale_f64 v[50:51], null, v[48:49], v[48:49], v[46:47]
	v_div_scale_f64 v[56:57], vcc_lo, v[46:47], v[48:49], v[46:47]
	v_rcp_f64_e32 v[52:53], v[50:51]
	v_fma_f64 v[54:55], -v[50:51], v[52:53], 1.0
	v_fma_f64 v[52:53], v[52:53], v[54:55], v[52:53]
	v_fma_f64 v[54:55], -v[50:51], v[52:53], 1.0
	v_fma_f64 v[52:53], v[52:53], v[54:55], v[52:53]
	v_mul_f64 v[54:55], v[56:57], v[52:53]
	v_fma_f64 v[50:51], -v[50:51], v[54:55], v[56:57]
	v_div_fmas_f64 v[50:51], v[50:51], v[52:53], v[54:55]
	v_div_fixup_f64 v[50:51], v[50:51], v[48:49], v[46:47]
	v_fma_f64 v[46:47], v[46:47], v[50:51], v[48:49]
	v_div_scale_f64 v[48:49], null, v[46:47], v[46:47], 1.0
	v_rcp_f64_e32 v[52:53], v[48:49]
	v_fma_f64 v[54:55], -v[48:49], v[52:53], 1.0
	v_fma_f64 v[52:53], v[52:53], v[54:55], v[52:53]
	v_fma_f64 v[54:55], -v[48:49], v[52:53], 1.0
	v_fma_f64 v[52:53], v[52:53], v[54:55], v[52:53]
	v_div_scale_f64 v[54:55], vcc_lo, 1.0, v[46:47], 1.0
	v_mul_f64 v[56:57], v[54:55], v[52:53]
	v_fma_f64 v[48:49], -v[48:49], v[56:57], v[54:55]
	v_div_fmas_f64 v[48:49], v[48:49], v[52:53], v[56:57]
	v_div_fixup_f64 v[52:53], v[48:49], v[46:47], 1.0
                                        ; implicit-def: $vgpr46_vgpr47
	v_mul_f64 v[50:51], v[50:51], v[52:53]
	v_xor_b32_e32 v53, 0x80000000, v53
.LBB19_14:
	s_andn2_saveexec_b32 s1, s1
	s_cbranch_execz .LBB19_16
; %bb.15:
	v_div_scale_f64 v[50:51], null, v[46:47], v[46:47], v[48:49]
	v_div_scale_f64 v[56:57], vcc_lo, v[48:49], v[46:47], v[48:49]
	v_rcp_f64_e32 v[52:53], v[50:51]
	v_fma_f64 v[54:55], -v[50:51], v[52:53], 1.0
	v_fma_f64 v[52:53], v[52:53], v[54:55], v[52:53]
	v_fma_f64 v[54:55], -v[50:51], v[52:53], 1.0
	v_fma_f64 v[52:53], v[52:53], v[54:55], v[52:53]
	v_mul_f64 v[54:55], v[56:57], v[52:53]
	v_fma_f64 v[50:51], -v[50:51], v[54:55], v[56:57]
	v_div_fmas_f64 v[50:51], v[50:51], v[52:53], v[54:55]
	v_div_fixup_f64 v[52:53], v[50:51], v[46:47], v[48:49]
	v_fma_f64 v[46:47], v[48:49], v[52:53], v[46:47]
	v_div_scale_f64 v[48:49], null, v[46:47], v[46:47], 1.0
	v_rcp_f64_e32 v[50:51], v[48:49]
	v_fma_f64 v[54:55], -v[48:49], v[50:51], 1.0
	v_fma_f64 v[50:51], v[50:51], v[54:55], v[50:51]
	v_fma_f64 v[54:55], -v[48:49], v[50:51], 1.0
	v_fma_f64 v[50:51], v[50:51], v[54:55], v[50:51]
	v_div_scale_f64 v[54:55], vcc_lo, 1.0, v[46:47], 1.0
	v_mul_f64 v[56:57], v[54:55], v[50:51]
	v_fma_f64 v[48:49], -v[48:49], v[56:57], v[54:55]
	v_div_fmas_f64 v[48:49], v[48:49], v[50:51], v[56:57]
	v_div_fixup_f64 v[50:51], v[48:49], v[46:47], 1.0
	v_mul_f64 v[52:53], v[52:53], -v[50:51]
.LBB19_16:
	s_or_b32 exec_lo, exec_lo, s1
	ds_write2_b64 v1, v[50:51], v[52:53] offset1:1
.LBB19_17:
	s_or_b32 exec_lo, exec_lo, s2
	s_waitcnt lgkmcnt(0)
	s_barrier
	buffer_gl0_inv
	ds_read2_b64 v[46:49], v1 offset1:1
	s_mov_b32 s1, exec_lo
	v_cmpx_lt_u32_e32 1, v0
	s_cbranch_execz .LBB19_19
; %bb.18:
	s_waitcnt lgkmcnt(0)
	v_mul_f64 v[50:51], v[46:47], v[12:13]
	v_mul_f64 v[12:13], v[48:49], v[12:13]
	v_fma_f64 v[54:55], v[48:49], v[10:11], v[50:51]
	ds_read2_b64 v[50:53], v104 offset0:4 offset1:5
	v_fma_f64 v[10:11], v[46:47], v[10:11], -v[12:13]
	s_waitcnt lgkmcnt(0)
	v_mul_f64 v[12:13], v[52:53], v[54:55]
	v_fma_f64 v[12:13], v[50:51], v[10:11], -v[12:13]
	v_mul_f64 v[50:51], v[50:51], v[54:55]
	v_add_f64 v[6:7], v[6:7], -v[12:13]
	v_fma_f64 v[50:51], v[52:53], v[10:11], v[50:51]
	v_add_f64 v[8:9], v[8:9], -v[50:51]
	ds_read2_b64 v[50:53], v104 offset0:6 offset1:7
	s_waitcnt lgkmcnt(0)
	v_mul_f64 v[12:13], v[52:53], v[54:55]
	v_fma_f64 v[12:13], v[50:51], v[10:11], -v[12:13]
	v_mul_f64 v[50:51], v[50:51], v[54:55]
	v_add_f64 v[2:3], v[2:3], -v[12:13]
	v_fma_f64 v[50:51], v[52:53], v[10:11], v[50:51]
	v_add_f64 v[4:5], v[4:5], -v[50:51]
	ds_read2_b64 v[50:53], v104 offset0:8 offset1:9
	;; [unrolled: 8-line block ×7, first 2 shown]
	s_waitcnt lgkmcnt(0)
	v_mul_f64 v[12:13], v[52:53], v[54:55]
	v_fma_f64 v[12:13], v[50:51], v[10:11], -v[12:13]
	v_mul_f64 v[50:51], v[50:51], v[54:55]
	v_add_f64 v[18:19], v[18:19], -v[12:13]
	v_fma_f64 v[50:51], v[52:53], v[10:11], v[50:51]
	v_mov_b32_e32 v12, v54
	v_mov_b32_e32 v13, v55
	v_add_f64 v[20:21], v[20:21], -v[50:51]
.LBB19_19:
	s_or_b32 exec_lo, exec_lo, s1
	s_mov_b32 s2, exec_lo
	s_waitcnt lgkmcnt(0)
	s_barrier
	buffer_gl0_inv
	v_cmpx_eq_u32_e32 2, v0
	s_cbranch_execz .LBB19_26
; %bb.20:
	ds_write2_b64 v1, v[6:7], v[8:9] offset1:1
	ds_write2_b64 v104, v[2:3], v[4:5] offset0:6 offset1:7
	ds_write2_b64 v104, v[38:39], v[40:41] offset0:8 offset1:9
	;; [unrolled: 1-line block ×7, first 2 shown]
	ds_read2_b64 v[50:53], v1 offset1:1
	s_waitcnt lgkmcnt(0)
	v_cmp_neq_f64_e32 vcc_lo, 0, v[50:51]
	v_cmp_neq_f64_e64 s1, 0, v[52:53]
	s_or_b32 s1, vcc_lo, s1
	s_and_b32 exec_lo, exec_lo, s1
	s_cbranch_execz .LBB19_26
; %bb.21:
	v_cmp_ngt_f64_e64 s1, |v[50:51]|, |v[52:53]|
                                        ; implicit-def: $vgpr54_vgpr55
	s_and_saveexec_b32 s3, s1
	s_xor_b32 s1, exec_lo, s3
                                        ; implicit-def: $vgpr56_vgpr57
	s_cbranch_execz .LBB19_23
; %bb.22:
	v_div_scale_f64 v[54:55], null, v[52:53], v[52:53], v[50:51]
	v_div_scale_f64 v[60:61], vcc_lo, v[50:51], v[52:53], v[50:51]
	v_rcp_f64_e32 v[56:57], v[54:55]
	v_fma_f64 v[58:59], -v[54:55], v[56:57], 1.0
	v_fma_f64 v[56:57], v[56:57], v[58:59], v[56:57]
	v_fma_f64 v[58:59], -v[54:55], v[56:57], 1.0
	v_fma_f64 v[56:57], v[56:57], v[58:59], v[56:57]
	v_mul_f64 v[58:59], v[60:61], v[56:57]
	v_fma_f64 v[54:55], -v[54:55], v[58:59], v[60:61]
	v_div_fmas_f64 v[54:55], v[54:55], v[56:57], v[58:59]
	v_div_fixup_f64 v[54:55], v[54:55], v[52:53], v[50:51]
	v_fma_f64 v[50:51], v[50:51], v[54:55], v[52:53]
	v_div_scale_f64 v[52:53], null, v[50:51], v[50:51], 1.0
	v_rcp_f64_e32 v[56:57], v[52:53]
	v_fma_f64 v[58:59], -v[52:53], v[56:57], 1.0
	v_fma_f64 v[56:57], v[56:57], v[58:59], v[56:57]
	v_fma_f64 v[58:59], -v[52:53], v[56:57], 1.0
	v_fma_f64 v[56:57], v[56:57], v[58:59], v[56:57]
	v_div_scale_f64 v[58:59], vcc_lo, 1.0, v[50:51], 1.0
	v_mul_f64 v[60:61], v[58:59], v[56:57]
	v_fma_f64 v[52:53], -v[52:53], v[60:61], v[58:59]
	v_div_fmas_f64 v[52:53], v[52:53], v[56:57], v[60:61]
	v_div_fixup_f64 v[56:57], v[52:53], v[50:51], 1.0
                                        ; implicit-def: $vgpr50_vgpr51
	v_mul_f64 v[54:55], v[54:55], v[56:57]
	v_xor_b32_e32 v57, 0x80000000, v57
.LBB19_23:
	s_andn2_saveexec_b32 s1, s1
	s_cbranch_execz .LBB19_25
; %bb.24:
	v_div_scale_f64 v[54:55], null, v[50:51], v[50:51], v[52:53]
	v_div_scale_f64 v[60:61], vcc_lo, v[52:53], v[50:51], v[52:53]
	v_rcp_f64_e32 v[56:57], v[54:55]
	v_fma_f64 v[58:59], -v[54:55], v[56:57], 1.0
	v_fma_f64 v[56:57], v[56:57], v[58:59], v[56:57]
	v_fma_f64 v[58:59], -v[54:55], v[56:57], 1.0
	v_fma_f64 v[56:57], v[56:57], v[58:59], v[56:57]
	v_mul_f64 v[58:59], v[60:61], v[56:57]
	v_fma_f64 v[54:55], -v[54:55], v[58:59], v[60:61]
	v_div_fmas_f64 v[54:55], v[54:55], v[56:57], v[58:59]
	v_div_fixup_f64 v[56:57], v[54:55], v[50:51], v[52:53]
	v_fma_f64 v[50:51], v[52:53], v[56:57], v[50:51]
	v_div_scale_f64 v[52:53], null, v[50:51], v[50:51], 1.0
	v_rcp_f64_e32 v[54:55], v[52:53]
	v_fma_f64 v[58:59], -v[52:53], v[54:55], 1.0
	v_fma_f64 v[54:55], v[54:55], v[58:59], v[54:55]
	v_fma_f64 v[58:59], -v[52:53], v[54:55], 1.0
	v_fma_f64 v[54:55], v[54:55], v[58:59], v[54:55]
	v_div_scale_f64 v[58:59], vcc_lo, 1.0, v[50:51], 1.0
	v_mul_f64 v[60:61], v[58:59], v[54:55]
	v_fma_f64 v[52:53], -v[52:53], v[60:61], v[58:59]
	v_div_fmas_f64 v[52:53], v[52:53], v[54:55], v[60:61]
	v_div_fixup_f64 v[54:55], v[52:53], v[50:51], 1.0
	v_mul_f64 v[56:57], v[56:57], -v[54:55]
.LBB19_25:
	s_or_b32 exec_lo, exec_lo, s1
	ds_write2_b64 v1, v[54:55], v[56:57] offset1:1
.LBB19_26:
	s_or_b32 exec_lo, exec_lo, s2
	s_waitcnt lgkmcnt(0)
	s_barrier
	buffer_gl0_inv
	ds_read2_b64 v[50:53], v1 offset1:1
	s_mov_b32 s1, exec_lo
	v_cmpx_lt_u32_e32 2, v0
	s_cbranch_execz .LBB19_28
; %bb.27:
	s_waitcnt lgkmcnt(0)
	v_mul_f64 v[54:55], v[50:51], v[8:9]
	v_mul_f64 v[8:9], v[52:53], v[8:9]
	v_fma_f64 v[58:59], v[52:53], v[6:7], v[54:55]
	ds_read2_b64 v[54:57], v104 offset0:6 offset1:7
	v_fma_f64 v[6:7], v[50:51], v[6:7], -v[8:9]
	s_waitcnt lgkmcnt(0)
	v_mul_f64 v[8:9], v[56:57], v[58:59]
	v_fma_f64 v[8:9], v[54:55], v[6:7], -v[8:9]
	v_mul_f64 v[54:55], v[54:55], v[58:59]
	v_add_f64 v[2:3], v[2:3], -v[8:9]
	v_fma_f64 v[54:55], v[56:57], v[6:7], v[54:55]
	v_add_f64 v[4:5], v[4:5], -v[54:55]
	ds_read2_b64 v[54:57], v104 offset0:8 offset1:9
	s_waitcnt lgkmcnt(0)
	v_mul_f64 v[8:9], v[56:57], v[58:59]
	v_fma_f64 v[8:9], v[54:55], v[6:7], -v[8:9]
	v_mul_f64 v[54:55], v[54:55], v[58:59]
	v_add_f64 v[38:39], v[38:39], -v[8:9]
	v_fma_f64 v[54:55], v[56:57], v[6:7], v[54:55]
	v_add_f64 v[40:41], v[40:41], -v[54:55]
	ds_read2_b64 v[54:57], v104 offset0:10 offset1:11
	;; [unrolled: 8-line block ×6, first 2 shown]
	s_waitcnt lgkmcnt(0)
	v_mul_f64 v[8:9], v[56:57], v[58:59]
	v_fma_f64 v[8:9], v[54:55], v[6:7], -v[8:9]
	v_mul_f64 v[54:55], v[54:55], v[58:59]
	v_add_f64 v[18:19], v[18:19], -v[8:9]
	v_fma_f64 v[54:55], v[56:57], v[6:7], v[54:55]
	v_mov_b32_e32 v8, v58
	v_mov_b32_e32 v9, v59
	v_add_f64 v[20:21], v[20:21], -v[54:55]
.LBB19_28:
	s_or_b32 exec_lo, exec_lo, s1
	s_mov_b32 s2, exec_lo
	s_waitcnt lgkmcnt(0)
	s_barrier
	buffer_gl0_inv
	v_cmpx_eq_u32_e32 3, v0
	s_cbranch_execz .LBB19_35
; %bb.29:
	ds_write2_b64 v1, v[2:3], v[4:5] offset1:1
	ds_write2_b64 v104, v[38:39], v[40:41] offset0:8 offset1:9
	ds_write2_b64 v104, v[34:35], v[36:37] offset0:10 offset1:11
	ds_write2_b64 v104, v[30:31], v[32:33] offset0:12 offset1:13
	ds_write2_b64 v104, v[26:27], v[28:29] offset0:14 offset1:15
	ds_write2_b64 v104, v[22:23], v[24:25] offset0:16 offset1:17
	ds_write2_b64 v104, v[18:19], v[20:21] offset0:18 offset1:19
	ds_read2_b64 v[54:57], v1 offset1:1
	s_waitcnt lgkmcnt(0)
	v_cmp_neq_f64_e32 vcc_lo, 0, v[54:55]
	v_cmp_neq_f64_e64 s1, 0, v[56:57]
	s_or_b32 s1, vcc_lo, s1
	s_and_b32 exec_lo, exec_lo, s1
	s_cbranch_execz .LBB19_35
; %bb.30:
	v_cmp_ngt_f64_e64 s1, |v[54:55]|, |v[56:57]|
                                        ; implicit-def: $vgpr58_vgpr59
	s_and_saveexec_b32 s3, s1
	s_xor_b32 s1, exec_lo, s3
                                        ; implicit-def: $vgpr60_vgpr61
	s_cbranch_execz .LBB19_32
; %bb.31:
	v_div_scale_f64 v[58:59], null, v[56:57], v[56:57], v[54:55]
	v_div_scale_f64 v[64:65], vcc_lo, v[54:55], v[56:57], v[54:55]
	v_rcp_f64_e32 v[60:61], v[58:59]
	v_fma_f64 v[62:63], -v[58:59], v[60:61], 1.0
	v_fma_f64 v[60:61], v[60:61], v[62:63], v[60:61]
	v_fma_f64 v[62:63], -v[58:59], v[60:61], 1.0
	v_fma_f64 v[60:61], v[60:61], v[62:63], v[60:61]
	v_mul_f64 v[62:63], v[64:65], v[60:61]
	v_fma_f64 v[58:59], -v[58:59], v[62:63], v[64:65]
	v_div_fmas_f64 v[58:59], v[58:59], v[60:61], v[62:63]
	v_div_fixup_f64 v[58:59], v[58:59], v[56:57], v[54:55]
	v_fma_f64 v[54:55], v[54:55], v[58:59], v[56:57]
	v_div_scale_f64 v[56:57], null, v[54:55], v[54:55], 1.0
	v_rcp_f64_e32 v[60:61], v[56:57]
	v_fma_f64 v[62:63], -v[56:57], v[60:61], 1.0
	v_fma_f64 v[60:61], v[60:61], v[62:63], v[60:61]
	v_fma_f64 v[62:63], -v[56:57], v[60:61], 1.0
	v_fma_f64 v[60:61], v[60:61], v[62:63], v[60:61]
	v_div_scale_f64 v[62:63], vcc_lo, 1.0, v[54:55], 1.0
	v_mul_f64 v[64:65], v[62:63], v[60:61]
	v_fma_f64 v[56:57], -v[56:57], v[64:65], v[62:63]
	v_div_fmas_f64 v[56:57], v[56:57], v[60:61], v[64:65]
	v_div_fixup_f64 v[60:61], v[56:57], v[54:55], 1.0
                                        ; implicit-def: $vgpr54_vgpr55
	v_mul_f64 v[58:59], v[58:59], v[60:61]
	v_xor_b32_e32 v61, 0x80000000, v61
.LBB19_32:
	s_andn2_saveexec_b32 s1, s1
	s_cbranch_execz .LBB19_34
; %bb.33:
	v_div_scale_f64 v[58:59], null, v[54:55], v[54:55], v[56:57]
	v_div_scale_f64 v[64:65], vcc_lo, v[56:57], v[54:55], v[56:57]
	v_rcp_f64_e32 v[60:61], v[58:59]
	v_fma_f64 v[62:63], -v[58:59], v[60:61], 1.0
	v_fma_f64 v[60:61], v[60:61], v[62:63], v[60:61]
	v_fma_f64 v[62:63], -v[58:59], v[60:61], 1.0
	v_fma_f64 v[60:61], v[60:61], v[62:63], v[60:61]
	v_mul_f64 v[62:63], v[64:65], v[60:61]
	v_fma_f64 v[58:59], -v[58:59], v[62:63], v[64:65]
	v_div_fmas_f64 v[58:59], v[58:59], v[60:61], v[62:63]
	v_div_fixup_f64 v[60:61], v[58:59], v[54:55], v[56:57]
	v_fma_f64 v[54:55], v[56:57], v[60:61], v[54:55]
	v_div_scale_f64 v[56:57], null, v[54:55], v[54:55], 1.0
	v_rcp_f64_e32 v[58:59], v[56:57]
	v_fma_f64 v[62:63], -v[56:57], v[58:59], 1.0
	v_fma_f64 v[58:59], v[58:59], v[62:63], v[58:59]
	v_fma_f64 v[62:63], -v[56:57], v[58:59], 1.0
	v_fma_f64 v[58:59], v[58:59], v[62:63], v[58:59]
	v_div_scale_f64 v[62:63], vcc_lo, 1.0, v[54:55], 1.0
	v_mul_f64 v[64:65], v[62:63], v[58:59]
	v_fma_f64 v[56:57], -v[56:57], v[64:65], v[62:63]
	v_div_fmas_f64 v[56:57], v[56:57], v[58:59], v[64:65]
	v_div_fixup_f64 v[58:59], v[56:57], v[54:55], 1.0
	v_mul_f64 v[60:61], v[60:61], -v[58:59]
.LBB19_34:
	s_or_b32 exec_lo, exec_lo, s1
	ds_write2_b64 v1, v[58:59], v[60:61] offset1:1
.LBB19_35:
	s_or_b32 exec_lo, exec_lo, s2
	s_waitcnt lgkmcnt(0)
	s_barrier
	buffer_gl0_inv
	ds_read2_b64 v[54:57], v1 offset1:1
	s_mov_b32 s1, exec_lo
	v_cmpx_lt_u32_e32 3, v0
	s_cbranch_execz .LBB19_37
; %bb.36:
	s_waitcnt lgkmcnt(0)
	v_mul_f64 v[58:59], v[54:55], v[4:5]
	v_mul_f64 v[4:5], v[56:57], v[4:5]
	v_fma_f64 v[62:63], v[56:57], v[2:3], v[58:59]
	ds_read2_b64 v[58:61], v104 offset0:8 offset1:9
	v_fma_f64 v[2:3], v[54:55], v[2:3], -v[4:5]
	s_waitcnt lgkmcnt(0)
	v_mul_f64 v[4:5], v[60:61], v[62:63]
	v_fma_f64 v[4:5], v[58:59], v[2:3], -v[4:5]
	v_mul_f64 v[58:59], v[58:59], v[62:63]
	v_add_f64 v[38:39], v[38:39], -v[4:5]
	v_fma_f64 v[58:59], v[60:61], v[2:3], v[58:59]
	v_add_f64 v[40:41], v[40:41], -v[58:59]
	ds_read2_b64 v[58:61], v104 offset0:10 offset1:11
	s_waitcnt lgkmcnt(0)
	v_mul_f64 v[4:5], v[60:61], v[62:63]
	v_fma_f64 v[4:5], v[58:59], v[2:3], -v[4:5]
	v_mul_f64 v[58:59], v[58:59], v[62:63]
	v_add_f64 v[34:35], v[34:35], -v[4:5]
	v_fma_f64 v[58:59], v[60:61], v[2:3], v[58:59]
	v_add_f64 v[36:37], v[36:37], -v[58:59]
	ds_read2_b64 v[58:61], v104 offset0:12 offset1:13
	;; [unrolled: 8-line block ×5, first 2 shown]
	s_waitcnt lgkmcnt(0)
	v_mul_f64 v[4:5], v[60:61], v[62:63]
	v_fma_f64 v[4:5], v[58:59], v[2:3], -v[4:5]
	v_mul_f64 v[58:59], v[58:59], v[62:63]
	v_add_f64 v[18:19], v[18:19], -v[4:5]
	v_fma_f64 v[58:59], v[60:61], v[2:3], v[58:59]
	v_mov_b32_e32 v4, v62
	v_mov_b32_e32 v5, v63
	v_add_f64 v[20:21], v[20:21], -v[58:59]
.LBB19_37:
	s_or_b32 exec_lo, exec_lo, s1
	s_mov_b32 s2, exec_lo
	s_waitcnt lgkmcnt(0)
	s_barrier
	buffer_gl0_inv
	v_cmpx_eq_u32_e32 4, v0
	s_cbranch_execz .LBB19_44
; %bb.38:
	ds_write2_b64 v1, v[38:39], v[40:41] offset1:1
	ds_write2_b64 v104, v[34:35], v[36:37] offset0:10 offset1:11
	ds_write2_b64 v104, v[30:31], v[32:33] offset0:12 offset1:13
	;; [unrolled: 1-line block ×5, first 2 shown]
	ds_read2_b64 v[58:61], v1 offset1:1
	s_waitcnt lgkmcnt(0)
	v_cmp_neq_f64_e32 vcc_lo, 0, v[58:59]
	v_cmp_neq_f64_e64 s1, 0, v[60:61]
	s_or_b32 s1, vcc_lo, s1
	s_and_b32 exec_lo, exec_lo, s1
	s_cbranch_execz .LBB19_44
; %bb.39:
	v_cmp_ngt_f64_e64 s1, |v[58:59]|, |v[60:61]|
                                        ; implicit-def: $vgpr62_vgpr63
	s_and_saveexec_b32 s3, s1
	s_xor_b32 s1, exec_lo, s3
                                        ; implicit-def: $vgpr64_vgpr65
	s_cbranch_execz .LBB19_41
; %bb.40:
	v_div_scale_f64 v[62:63], null, v[60:61], v[60:61], v[58:59]
	v_div_scale_f64 v[68:69], vcc_lo, v[58:59], v[60:61], v[58:59]
	v_rcp_f64_e32 v[64:65], v[62:63]
	v_fma_f64 v[66:67], -v[62:63], v[64:65], 1.0
	v_fma_f64 v[64:65], v[64:65], v[66:67], v[64:65]
	v_fma_f64 v[66:67], -v[62:63], v[64:65], 1.0
	v_fma_f64 v[64:65], v[64:65], v[66:67], v[64:65]
	v_mul_f64 v[66:67], v[68:69], v[64:65]
	v_fma_f64 v[62:63], -v[62:63], v[66:67], v[68:69]
	v_div_fmas_f64 v[62:63], v[62:63], v[64:65], v[66:67]
	v_div_fixup_f64 v[62:63], v[62:63], v[60:61], v[58:59]
	v_fma_f64 v[58:59], v[58:59], v[62:63], v[60:61]
	v_div_scale_f64 v[60:61], null, v[58:59], v[58:59], 1.0
	v_rcp_f64_e32 v[64:65], v[60:61]
	v_fma_f64 v[66:67], -v[60:61], v[64:65], 1.0
	v_fma_f64 v[64:65], v[64:65], v[66:67], v[64:65]
	v_fma_f64 v[66:67], -v[60:61], v[64:65], 1.0
	v_fma_f64 v[64:65], v[64:65], v[66:67], v[64:65]
	v_div_scale_f64 v[66:67], vcc_lo, 1.0, v[58:59], 1.0
	v_mul_f64 v[68:69], v[66:67], v[64:65]
	v_fma_f64 v[60:61], -v[60:61], v[68:69], v[66:67]
	v_div_fmas_f64 v[60:61], v[60:61], v[64:65], v[68:69]
	v_div_fixup_f64 v[64:65], v[60:61], v[58:59], 1.0
                                        ; implicit-def: $vgpr58_vgpr59
	v_mul_f64 v[62:63], v[62:63], v[64:65]
	v_xor_b32_e32 v65, 0x80000000, v65
.LBB19_41:
	s_andn2_saveexec_b32 s1, s1
	s_cbranch_execz .LBB19_43
; %bb.42:
	v_div_scale_f64 v[62:63], null, v[58:59], v[58:59], v[60:61]
	v_div_scale_f64 v[68:69], vcc_lo, v[60:61], v[58:59], v[60:61]
	v_rcp_f64_e32 v[64:65], v[62:63]
	v_fma_f64 v[66:67], -v[62:63], v[64:65], 1.0
	v_fma_f64 v[64:65], v[64:65], v[66:67], v[64:65]
	v_fma_f64 v[66:67], -v[62:63], v[64:65], 1.0
	v_fma_f64 v[64:65], v[64:65], v[66:67], v[64:65]
	v_mul_f64 v[66:67], v[68:69], v[64:65]
	v_fma_f64 v[62:63], -v[62:63], v[66:67], v[68:69]
	v_div_fmas_f64 v[62:63], v[62:63], v[64:65], v[66:67]
	v_div_fixup_f64 v[64:65], v[62:63], v[58:59], v[60:61]
	v_fma_f64 v[58:59], v[60:61], v[64:65], v[58:59]
	v_div_scale_f64 v[60:61], null, v[58:59], v[58:59], 1.0
	v_rcp_f64_e32 v[62:63], v[60:61]
	v_fma_f64 v[66:67], -v[60:61], v[62:63], 1.0
	v_fma_f64 v[62:63], v[62:63], v[66:67], v[62:63]
	v_fma_f64 v[66:67], -v[60:61], v[62:63], 1.0
	v_fma_f64 v[62:63], v[62:63], v[66:67], v[62:63]
	v_div_scale_f64 v[66:67], vcc_lo, 1.0, v[58:59], 1.0
	v_mul_f64 v[68:69], v[66:67], v[62:63]
	v_fma_f64 v[60:61], -v[60:61], v[68:69], v[66:67]
	v_div_fmas_f64 v[60:61], v[60:61], v[62:63], v[68:69]
	v_div_fixup_f64 v[62:63], v[60:61], v[58:59], 1.0
	v_mul_f64 v[64:65], v[64:65], -v[62:63]
.LBB19_43:
	s_or_b32 exec_lo, exec_lo, s1
	ds_write2_b64 v1, v[62:63], v[64:65] offset1:1
.LBB19_44:
	s_or_b32 exec_lo, exec_lo, s2
	s_waitcnt lgkmcnt(0)
	s_barrier
	buffer_gl0_inv
	ds_read2_b64 v[58:61], v1 offset1:1
	s_mov_b32 s1, exec_lo
	v_cmpx_lt_u32_e32 4, v0
	s_cbranch_execz .LBB19_46
; %bb.45:
	s_waitcnt lgkmcnt(0)
	v_mul_f64 v[62:63], v[58:59], v[40:41]
	v_mul_f64 v[40:41], v[60:61], v[40:41]
	v_fma_f64 v[66:67], v[60:61], v[38:39], v[62:63]
	ds_read2_b64 v[62:65], v104 offset0:10 offset1:11
	v_fma_f64 v[38:39], v[58:59], v[38:39], -v[40:41]
	s_waitcnt lgkmcnt(0)
	v_mul_f64 v[40:41], v[64:65], v[66:67]
	v_fma_f64 v[40:41], v[62:63], v[38:39], -v[40:41]
	v_mul_f64 v[62:63], v[62:63], v[66:67]
	v_add_f64 v[34:35], v[34:35], -v[40:41]
	v_fma_f64 v[62:63], v[64:65], v[38:39], v[62:63]
	v_add_f64 v[36:37], v[36:37], -v[62:63]
	ds_read2_b64 v[62:65], v104 offset0:12 offset1:13
	s_waitcnt lgkmcnt(0)
	v_mul_f64 v[40:41], v[64:65], v[66:67]
	v_fma_f64 v[40:41], v[62:63], v[38:39], -v[40:41]
	v_mul_f64 v[62:63], v[62:63], v[66:67]
	v_add_f64 v[30:31], v[30:31], -v[40:41]
	v_fma_f64 v[62:63], v[64:65], v[38:39], v[62:63]
	v_add_f64 v[32:33], v[32:33], -v[62:63]
	ds_read2_b64 v[62:65], v104 offset0:14 offset1:15
	;; [unrolled: 8-line block ×4, first 2 shown]
	s_waitcnt lgkmcnt(0)
	v_mul_f64 v[40:41], v[64:65], v[66:67]
	v_fma_f64 v[40:41], v[62:63], v[38:39], -v[40:41]
	v_mul_f64 v[62:63], v[62:63], v[66:67]
	v_add_f64 v[18:19], v[18:19], -v[40:41]
	v_fma_f64 v[62:63], v[64:65], v[38:39], v[62:63]
	v_mov_b32_e32 v40, v66
	v_mov_b32_e32 v41, v67
	v_add_f64 v[20:21], v[20:21], -v[62:63]
.LBB19_46:
	s_or_b32 exec_lo, exec_lo, s1
	s_mov_b32 s2, exec_lo
	s_waitcnt lgkmcnt(0)
	s_barrier
	buffer_gl0_inv
	v_cmpx_eq_u32_e32 5, v0
	s_cbranch_execz .LBB19_53
; %bb.47:
	ds_write2_b64 v1, v[34:35], v[36:37] offset1:1
	ds_write2_b64 v104, v[30:31], v[32:33] offset0:12 offset1:13
	ds_write2_b64 v104, v[26:27], v[28:29] offset0:14 offset1:15
	;; [unrolled: 1-line block ×4, first 2 shown]
	ds_read2_b64 v[62:65], v1 offset1:1
	s_waitcnt lgkmcnt(0)
	v_cmp_neq_f64_e32 vcc_lo, 0, v[62:63]
	v_cmp_neq_f64_e64 s1, 0, v[64:65]
	s_or_b32 s1, vcc_lo, s1
	s_and_b32 exec_lo, exec_lo, s1
	s_cbranch_execz .LBB19_53
; %bb.48:
	v_cmp_ngt_f64_e64 s1, |v[62:63]|, |v[64:65]|
                                        ; implicit-def: $vgpr66_vgpr67
	s_and_saveexec_b32 s3, s1
	s_xor_b32 s1, exec_lo, s3
                                        ; implicit-def: $vgpr68_vgpr69
	s_cbranch_execz .LBB19_50
; %bb.49:
	v_div_scale_f64 v[66:67], null, v[64:65], v[64:65], v[62:63]
	v_div_scale_f64 v[72:73], vcc_lo, v[62:63], v[64:65], v[62:63]
	v_rcp_f64_e32 v[68:69], v[66:67]
	v_fma_f64 v[70:71], -v[66:67], v[68:69], 1.0
	v_fma_f64 v[68:69], v[68:69], v[70:71], v[68:69]
	v_fma_f64 v[70:71], -v[66:67], v[68:69], 1.0
	v_fma_f64 v[68:69], v[68:69], v[70:71], v[68:69]
	v_mul_f64 v[70:71], v[72:73], v[68:69]
	v_fma_f64 v[66:67], -v[66:67], v[70:71], v[72:73]
	v_div_fmas_f64 v[66:67], v[66:67], v[68:69], v[70:71]
	v_div_fixup_f64 v[66:67], v[66:67], v[64:65], v[62:63]
	v_fma_f64 v[62:63], v[62:63], v[66:67], v[64:65]
	v_div_scale_f64 v[64:65], null, v[62:63], v[62:63], 1.0
	v_rcp_f64_e32 v[68:69], v[64:65]
	v_fma_f64 v[70:71], -v[64:65], v[68:69], 1.0
	v_fma_f64 v[68:69], v[68:69], v[70:71], v[68:69]
	v_fma_f64 v[70:71], -v[64:65], v[68:69], 1.0
	v_fma_f64 v[68:69], v[68:69], v[70:71], v[68:69]
	v_div_scale_f64 v[70:71], vcc_lo, 1.0, v[62:63], 1.0
	v_mul_f64 v[72:73], v[70:71], v[68:69]
	v_fma_f64 v[64:65], -v[64:65], v[72:73], v[70:71]
	v_div_fmas_f64 v[64:65], v[64:65], v[68:69], v[72:73]
	v_div_fixup_f64 v[68:69], v[64:65], v[62:63], 1.0
                                        ; implicit-def: $vgpr62_vgpr63
	v_mul_f64 v[66:67], v[66:67], v[68:69]
	v_xor_b32_e32 v69, 0x80000000, v69
.LBB19_50:
	s_andn2_saveexec_b32 s1, s1
	s_cbranch_execz .LBB19_52
; %bb.51:
	v_div_scale_f64 v[66:67], null, v[62:63], v[62:63], v[64:65]
	v_div_scale_f64 v[72:73], vcc_lo, v[64:65], v[62:63], v[64:65]
	v_rcp_f64_e32 v[68:69], v[66:67]
	v_fma_f64 v[70:71], -v[66:67], v[68:69], 1.0
	v_fma_f64 v[68:69], v[68:69], v[70:71], v[68:69]
	v_fma_f64 v[70:71], -v[66:67], v[68:69], 1.0
	v_fma_f64 v[68:69], v[68:69], v[70:71], v[68:69]
	v_mul_f64 v[70:71], v[72:73], v[68:69]
	v_fma_f64 v[66:67], -v[66:67], v[70:71], v[72:73]
	v_div_fmas_f64 v[66:67], v[66:67], v[68:69], v[70:71]
	v_div_fixup_f64 v[68:69], v[66:67], v[62:63], v[64:65]
	v_fma_f64 v[62:63], v[64:65], v[68:69], v[62:63]
	v_div_scale_f64 v[64:65], null, v[62:63], v[62:63], 1.0
	v_rcp_f64_e32 v[66:67], v[64:65]
	v_fma_f64 v[70:71], -v[64:65], v[66:67], 1.0
	v_fma_f64 v[66:67], v[66:67], v[70:71], v[66:67]
	v_fma_f64 v[70:71], -v[64:65], v[66:67], 1.0
	v_fma_f64 v[66:67], v[66:67], v[70:71], v[66:67]
	v_div_scale_f64 v[70:71], vcc_lo, 1.0, v[62:63], 1.0
	v_mul_f64 v[72:73], v[70:71], v[66:67]
	v_fma_f64 v[64:65], -v[64:65], v[72:73], v[70:71]
	v_div_fmas_f64 v[64:65], v[64:65], v[66:67], v[72:73]
	v_div_fixup_f64 v[66:67], v[64:65], v[62:63], 1.0
	v_mul_f64 v[68:69], v[68:69], -v[66:67]
.LBB19_52:
	s_or_b32 exec_lo, exec_lo, s1
	ds_write2_b64 v1, v[66:67], v[68:69] offset1:1
.LBB19_53:
	s_or_b32 exec_lo, exec_lo, s2
	s_waitcnt lgkmcnt(0)
	s_barrier
	buffer_gl0_inv
	ds_read2_b64 v[62:65], v1 offset1:1
	s_mov_b32 s1, exec_lo
	v_cmpx_lt_u32_e32 5, v0
	s_cbranch_execz .LBB19_55
; %bb.54:
	s_waitcnt lgkmcnt(0)
	v_mul_f64 v[66:67], v[62:63], v[36:37]
	v_mul_f64 v[36:37], v[64:65], v[36:37]
	v_fma_f64 v[70:71], v[64:65], v[34:35], v[66:67]
	ds_read2_b64 v[66:69], v104 offset0:12 offset1:13
	v_fma_f64 v[34:35], v[62:63], v[34:35], -v[36:37]
	s_waitcnt lgkmcnt(0)
	v_mul_f64 v[36:37], v[68:69], v[70:71]
	v_fma_f64 v[36:37], v[66:67], v[34:35], -v[36:37]
	v_mul_f64 v[66:67], v[66:67], v[70:71]
	v_add_f64 v[30:31], v[30:31], -v[36:37]
	v_fma_f64 v[66:67], v[68:69], v[34:35], v[66:67]
	v_add_f64 v[32:33], v[32:33], -v[66:67]
	ds_read2_b64 v[66:69], v104 offset0:14 offset1:15
	s_waitcnt lgkmcnt(0)
	v_mul_f64 v[36:37], v[68:69], v[70:71]
	v_fma_f64 v[36:37], v[66:67], v[34:35], -v[36:37]
	v_mul_f64 v[66:67], v[66:67], v[70:71]
	v_add_f64 v[26:27], v[26:27], -v[36:37]
	v_fma_f64 v[66:67], v[68:69], v[34:35], v[66:67]
	v_add_f64 v[28:29], v[28:29], -v[66:67]
	ds_read2_b64 v[66:69], v104 offset0:16 offset1:17
	;; [unrolled: 8-line block ×3, first 2 shown]
	s_waitcnt lgkmcnt(0)
	v_mul_f64 v[36:37], v[68:69], v[70:71]
	v_fma_f64 v[36:37], v[66:67], v[34:35], -v[36:37]
	v_mul_f64 v[66:67], v[66:67], v[70:71]
	v_add_f64 v[18:19], v[18:19], -v[36:37]
	v_fma_f64 v[66:67], v[68:69], v[34:35], v[66:67]
	v_mov_b32_e32 v36, v70
	v_mov_b32_e32 v37, v71
	v_add_f64 v[20:21], v[20:21], -v[66:67]
.LBB19_55:
	s_or_b32 exec_lo, exec_lo, s1
	s_mov_b32 s2, exec_lo
	s_waitcnt lgkmcnt(0)
	s_barrier
	buffer_gl0_inv
	v_cmpx_eq_u32_e32 6, v0
	s_cbranch_execz .LBB19_62
; %bb.56:
	ds_write2_b64 v1, v[30:31], v[32:33] offset1:1
	ds_write2_b64 v104, v[26:27], v[28:29] offset0:14 offset1:15
	ds_write2_b64 v104, v[22:23], v[24:25] offset0:16 offset1:17
	;; [unrolled: 1-line block ×3, first 2 shown]
	ds_read2_b64 v[66:69], v1 offset1:1
	s_waitcnt lgkmcnt(0)
	v_cmp_neq_f64_e32 vcc_lo, 0, v[66:67]
	v_cmp_neq_f64_e64 s1, 0, v[68:69]
	s_or_b32 s1, vcc_lo, s1
	s_and_b32 exec_lo, exec_lo, s1
	s_cbranch_execz .LBB19_62
; %bb.57:
	v_cmp_ngt_f64_e64 s1, |v[66:67]|, |v[68:69]|
                                        ; implicit-def: $vgpr70_vgpr71
	s_and_saveexec_b32 s3, s1
	s_xor_b32 s1, exec_lo, s3
                                        ; implicit-def: $vgpr72_vgpr73
	s_cbranch_execz .LBB19_59
; %bb.58:
	v_div_scale_f64 v[70:71], null, v[68:69], v[68:69], v[66:67]
	v_div_scale_f64 v[76:77], vcc_lo, v[66:67], v[68:69], v[66:67]
	v_rcp_f64_e32 v[72:73], v[70:71]
	v_fma_f64 v[74:75], -v[70:71], v[72:73], 1.0
	v_fma_f64 v[72:73], v[72:73], v[74:75], v[72:73]
	v_fma_f64 v[74:75], -v[70:71], v[72:73], 1.0
	v_fma_f64 v[72:73], v[72:73], v[74:75], v[72:73]
	v_mul_f64 v[74:75], v[76:77], v[72:73]
	v_fma_f64 v[70:71], -v[70:71], v[74:75], v[76:77]
	v_div_fmas_f64 v[70:71], v[70:71], v[72:73], v[74:75]
	v_div_fixup_f64 v[70:71], v[70:71], v[68:69], v[66:67]
	v_fma_f64 v[66:67], v[66:67], v[70:71], v[68:69]
	v_div_scale_f64 v[68:69], null, v[66:67], v[66:67], 1.0
	v_rcp_f64_e32 v[72:73], v[68:69]
	v_fma_f64 v[74:75], -v[68:69], v[72:73], 1.0
	v_fma_f64 v[72:73], v[72:73], v[74:75], v[72:73]
	v_fma_f64 v[74:75], -v[68:69], v[72:73], 1.0
	v_fma_f64 v[72:73], v[72:73], v[74:75], v[72:73]
	v_div_scale_f64 v[74:75], vcc_lo, 1.0, v[66:67], 1.0
	v_mul_f64 v[76:77], v[74:75], v[72:73]
	v_fma_f64 v[68:69], -v[68:69], v[76:77], v[74:75]
	v_div_fmas_f64 v[68:69], v[68:69], v[72:73], v[76:77]
	v_div_fixup_f64 v[72:73], v[68:69], v[66:67], 1.0
                                        ; implicit-def: $vgpr66_vgpr67
	v_mul_f64 v[70:71], v[70:71], v[72:73]
	v_xor_b32_e32 v73, 0x80000000, v73
.LBB19_59:
	s_andn2_saveexec_b32 s1, s1
	s_cbranch_execz .LBB19_61
; %bb.60:
	v_div_scale_f64 v[70:71], null, v[66:67], v[66:67], v[68:69]
	v_div_scale_f64 v[76:77], vcc_lo, v[68:69], v[66:67], v[68:69]
	v_rcp_f64_e32 v[72:73], v[70:71]
	v_fma_f64 v[74:75], -v[70:71], v[72:73], 1.0
	v_fma_f64 v[72:73], v[72:73], v[74:75], v[72:73]
	v_fma_f64 v[74:75], -v[70:71], v[72:73], 1.0
	v_fma_f64 v[72:73], v[72:73], v[74:75], v[72:73]
	v_mul_f64 v[74:75], v[76:77], v[72:73]
	v_fma_f64 v[70:71], -v[70:71], v[74:75], v[76:77]
	v_div_fmas_f64 v[70:71], v[70:71], v[72:73], v[74:75]
	v_div_fixup_f64 v[72:73], v[70:71], v[66:67], v[68:69]
	v_fma_f64 v[66:67], v[68:69], v[72:73], v[66:67]
	v_div_scale_f64 v[68:69], null, v[66:67], v[66:67], 1.0
	v_rcp_f64_e32 v[70:71], v[68:69]
	v_fma_f64 v[74:75], -v[68:69], v[70:71], 1.0
	v_fma_f64 v[70:71], v[70:71], v[74:75], v[70:71]
	v_fma_f64 v[74:75], -v[68:69], v[70:71], 1.0
	v_fma_f64 v[70:71], v[70:71], v[74:75], v[70:71]
	v_div_scale_f64 v[74:75], vcc_lo, 1.0, v[66:67], 1.0
	v_mul_f64 v[76:77], v[74:75], v[70:71]
	v_fma_f64 v[68:69], -v[68:69], v[76:77], v[74:75]
	v_div_fmas_f64 v[68:69], v[68:69], v[70:71], v[76:77]
	v_div_fixup_f64 v[70:71], v[68:69], v[66:67], 1.0
	v_mul_f64 v[72:73], v[72:73], -v[70:71]
.LBB19_61:
	s_or_b32 exec_lo, exec_lo, s1
	ds_write2_b64 v1, v[70:71], v[72:73] offset1:1
.LBB19_62:
	s_or_b32 exec_lo, exec_lo, s2
	s_waitcnt lgkmcnt(0)
	s_barrier
	buffer_gl0_inv
	ds_read2_b64 v[66:69], v1 offset1:1
	s_mov_b32 s1, exec_lo
	v_cmpx_lt_u32_e32 6, v0
	s_cbranch_execz .LBB19_64
; %bb.63:
	s_waitcnt lgkmcnt(0)
	v_mul_f64 v[70:71], v[66:67], v[32:33]
	v_mul_f64 v[32:33], v[68:69], v[32:33]
	v_fma_f64 v[74:75], v[68:69], v[30:31], v[70:71]
	ds_read2_b64 v[70:73], v104 offset0:14 offset1:15
	v_fma_f64 v[30:31], v[66:67], v[30:31], -v[32:33]
	s_waitcnt lgkmcnt(0)
	v_mul_f64 v[32:33], v[72:73], v[74:75]
	v_fma_f64 v[32:33], v[70:71], v[30:31], -v[32:33]
	v_mul_f64 v[70:71], v[70:71], v[74:75]
	v_add_f64 v[26:27], v[26:27], -v[32:33]
	v_fma_f64 v[70:71], v[72:73], v[30:31], v[70:71]
	v_add_f64 v[28:29], v[28:29], -v[70:71]
	ds_read2_b64 v[70:73], v104 offset0:16 offset1:17
	s_waitcnt lgkmcnt(0)
	v_mul_f64 v[32:33], v[72:73], v[74:75]
	v_fma_f64 v[32:33], v[70:71], v[30:31], -v[32:33]
	v_mul_f64 v[70:71], v[70:71], v[74:75]
	v_add_f64 v[22:23], v[22:23], -v[32:33]
	v_fma_f64 v[70:71], v[72:73], v[30:31], v[70:71]
	v_add_f64 v[24:25], v[24:25], -v[70:71]
	ds_read2_b64 v[70:73], v104 offset0:18 offset1:19
	s_waitcnt lgkmcnt(0)
	v_mul_f64 v[32:33], v[72:73], v[74:75]
	v_fma_f64 v[32:33], v[70:71], v[30:31], -v[32:33]
	v_mul_f64 v[70:71], v[70:71], v[74:75]
	v_add_f64 v[18:19], v[18:19], -v[32:33]
	v_fma_f64 v[70:71], v[72:73], v[30:31], v[70:71]
	v_mov_b32_e32 v32, v74
	v_mov_b32_e32 v33, v75
	v_add_f64 v[20:21], v[20:21], -v[70:71]
.LBB19_64:
	s_or_b32 exec_lo, exec_lo, s1
	s_mov_b32 s2, exec_lo
	s_waitcnt lgkmcnt(0)
	s_barrier
	buffer_gl0_inv
	v_cmpx_eq_u32_e32 7, v0
	s_cbranch_execz .LBB19_71
; %bb.65:
	ds_write2_b64 v1, v[26:27], v[28:29] offset1:1
	ds_write2_b64 v104, v[22:23], v[24:25] offset0:16 offset1:17
	ds_write2_b64 v104, v[18:19], v[20:21] offset0:18 offset1:19
	ds_read2_b64 v[70:73], v1 offset1:1
	s_waitcnt lgkmcnt(0)
	v_cmp_neq_f64_e32 vcc_lo, 0, v[70:71]
	v_cmp_neq_f64_e64 s1, 0, v[72:73]
	s_or_b32 s1, vcc_lo, s1
	s_and_b32 exec_lo, exec_lo, s1
	s_cbranch_execz .LBB19_71
; %bb.66:
	v_cmp_ngt_f64_e64 s1, |v[70:71]|, |v[72:73]|
                                        ; implicit-def: $vgpr74_vgpr75
	s_and_saveexec_b32 s3, s1
	s_xor_b32 s1, exec_lo, s3
                                        ; implicit-def: $vgpr76_vgpr77
	s_cbranch_execz .LBB19_68
; %bb.67:
	v_div_scale_f64 v[74:75], null, v[72:73], v[72:73], v[70:71]
	v_div_scale_f64 v[80:81], vcc_lo, v[70:71], v[72:73], v[70:71]
	v_rcp_f64_e32 v[76:77], v[74:75]
	v_fma_f64 v[78:79], -v[74:75], v[76:77], 1.0
	v_fma_f64 v[76:77], v[76:77], v[78:79], v[76:77]
	v_fma_f64 v[78:79], -v[74:75], v[76:77], 1.0
	v_fma_f64 v[76:77], v[76:77], v[78:79], v[76:77]
	v_mul_f64 v[78:79], v[80:81], v[76:77]
	v_fma_f64 v[74:75], -v[74:75], v[78:79], v[80:81]
	v_div_fmas_f64 v[74:75], v[74:75], v[76:77], v[78:79]
	v_div_fixup_f64 v[74:75], v[74:75], v[72:73], v[70:71]
	v_fma_f64 v[70:71], v[70:71], v[74:75], v[72:73]
	v_div_scale_f64 v[72:73], null, v[70:71], v[70:71], 1.0
	v_rcp_f64_e32 v[76:77], v[72:73]
	v_fma_f64 v[78:79], -v[72:73], v[76:77], 1.0
	v_fma_f64 v[76:77], v[76:77], v[78:79], v[76:77]
	v_fma_f64 v[78:79], -v[72:73], v[76:77], 1.0
	v_fma_f64 v[76:77], v[76:77], v[78:79], v[76:77]
	v_div_scale_f64 v[78:79], vcc_lo, 1.0, v[70:71], 1.0
	v_mul_f64 v[80:81], v[78:79], v[76:77]
	v_fma_f64 v[72:73], -v[72:73], v[80:81], v[78:79]
	v_div_fmas_f64 v[72:73], v[72:73], v[76:77], v[80:81]
	v_div_fixup_f64 v[76:77], v[72:73], v[70:71], 1.0
                                        ; implicit-def: $vgpr70_vgpr71
	v_mul_f64 v[74:75], v[74:75], v[76:77]
	v_xor_b32_e32 v77, 0x80000000, v77
.LBB19_68:
	s_andn2_saveexec_b32 s1, s1
	s_cbranch_execz .LBB19_70
; %bb.69:
	v_div_scale_f64 v[74:75], null, v[70:71], v[70:71], v[72:73]
	v_div_scale_f64 v[80:81], vcc_lo, v[72:73], v[70:71], v[72:73]
	v_rcp_f64_e32 v[76:77], v[74:75]
	v_fma_f64 v[78:79], -v[74:75], v[76:77], 1.0
	v_fma_f64 v[76:77], v[76:77], v[78:79], v[76:77]
	v_fma_f64 v[78:79], -v[74:75], v[76:77], 1.0
	v_fma_f64 v[76:77], v[76:77], v[78:79], v[76:77]
	v_mul_f64 v[78:79], v[80:81], v[76:77]
	v_fma_f64 v[74:75], -v[74:75], v[78:79], v[80:81]
	v_div_fmas_f64 v[74:75], v[74:75], v[76:77], v[78:79]
	v_div_fixup_f64 v[76:77], v[74:75], v[70:71], v[72:73]
	v_fma_f64 v[70:71], v[72:73], v[76:77], v[70:71]
	v_div_scale_f64 v[72:73], null, v[70:71], v[70:71], 1.0
	v_rcp_f64_e32 v[74:75], v[72:73]
	v_fma_f64 v[78:79], -v[72:73], v[74:75], 1.0
	v_fma_f64 v[74:75], v[74:75], v[78:79], v[74:75]
	v_fma_f64 v[78:79], -v[72:73], v[74:75], 1.0
	v_fma_f64 v[74:75], v[74:75], v[78:79], v[74:75]
	v_div_scale_f64 v[78:79], vcc_lo, 1.0, v[70:71], 1.0
	v_mul_f64 v[80:81], v[78:79], v[74:75]
	v_fma_f64 v[72:73], -v[72:73], v[80:81], v[78:79]
	v_div_fmas_f64 v[72:73], v[72:73], v[74:75], v[80:81]
	v_div_fixup_f64 v[74:75], v[72:73], v[70:71], 1.0
	v_mul_f64 v[76:77], v[76:77], -v[74:75]
.LBB19_70:
	s_or_b32 exec_lo, exec_lo, s1
	ds_write2_b64 v1, v[74:75], v[76:77] offset1:1
.LBB19_71:
	s_or_b32 exec_lo, exec_lo, s2
	s_waitcnt lgkmcnt(0)
	s_barrier
	buffer_gl0_inv
	ds_read2_b64 v[70:73], v1 offset1:1
	s_mov_b32 s1, exec_lo
	v_cmpx_lt_u32_e32 7, v0
	s_cbranch_execz .LBB19_73
; %bb.72:
	s_waitcnt lgkmcnt(0)
	v_mul_f64 v[74:75], v[70:71], v[28:29]
	v_mul_f64 v[28:29], v[72:73], v[28:29]
	v_fma_f64 v[78:79], v[72:73], v[26:27], v[74:75]
	ds_read2_b64 v[74:77], v104 offset0:16 offset1:17
	v_fma_f64 v[26:27], v[70:71], v[26:27], -v[28:29]
	s_waitcnt lgkmcnt(0)
	v_mul_f64 v[28:29], v[76:77], v[78:79]
	v_fma_f64 v[28:29], v[74:75], v[26:27], -v[28:29]
	v_mul_f64 v[74:75], v[74:75], v[78:79]
	v_add_f64 v[22:23], v[22:23], -v[28:29]
	v_fma_f64 v[74:75], v[76:77], v[26:27], v[74:75]
	v_add_f64 v[24:25], v[24:25], -v[74:75]
	ds_read2_b64 v[74:77], v104 offset0:18 offset1:19
	s_waitcnt lgkmcnt(0)
	v_mul_f64 v[28:29], v[76:77], v[78:79]
	v_fma_f64 v[28:29], v[74:75], v[26:27], -v[28:29]
	v_mul_f64 v[74:75], v[74:75], v[78:79]
	v_add_f64 v[18:19], v[18:19], -v[28:29]
	v_fma_f64 v[74:75], v[76:77], v[26:27], v[74:75]
	v_mov_b32_e32 v28, v78
	v_mov_b32_e32 v29, v79
	v_add_f64 v[20:21], v[20:21], -v[74:75]
.LBB19_73:
	s_or_b32 exec_lo, exec_lo, s1
	s_mov_b32 s2, exec_lo
	s_waitcnt lgkmcnt(0)
	s_barrier
	buffer_gl0_inv
	v_cmpx_eq_u32_e32 8, v0
	s_cbranch_execz .LBB19_80
; %bb.74:
	ds_write2_b64 v1, v[22:23], v[24:25] offset1:1
	ds_write2_b64 v104, v[18:19], v[20:21] offset0:18 offset1:19
	ds_read2_b64 v[74:77], v1 offset1:1
	s_waitcnt lgkmcnt(0)
	v_cmp_neq_f64_e32 vcc_lo, 0, v[74:75]
	v_cmp_neq_f64_e64 s1, 0, v[76:77]
	s_or_b32 s1, vcc_lo, s1
	s_and_b32 exec_lo, exec_lo, s1
	s_cbranch_execz .LBB19_80
; %bb.75:
	v_cmp_ngt_f64_e64 s1, |v[74:75]|, |v[76:77]|
                                        ; implicit-def: $vgpr78_vgpr79
	s_and_saveexec_b32 s3, s1
	s_xor_b32 s1, exec_lo, s3
                                        ; implicit-def: $vgpr80_vgpr81
	s_cbranch_execz .LBB19_77
; %bb.76:
	v_div_scale_f64 v[78:79], null, v[76:77], v[76:77], v[74:75]
	v_div_scale_f64 v[107:108], vcc_lo, v[74:75], v[76:77], v[74:75]
	v_rcp_f64_e32 v[80:81], v[78:79]
	v_fma_f64 v[105:106], -v[78:79], v[80:81], 1.0
	v_fma_f64 v[80:81], v[80:81], v[105:106], v[80:81]
	v_fma_f64 v[105:106], -v[78:79], v[80:81], 1.0
	v_fma_f64 v[80:81], v[80:81], v[105:106], v[80:81]
	v_mul_f64 v[105:106], v[107:108], v[80:81]
	v_fma_f64 v[78:79], -v[78:79], v[105:106], v[107:108]
	v_div_fmas_f64 v[78:79], v[78:79], v[80:81], v[105:106]
	v_div_fixup_f64 v[78:79], v[78:79], v[76:77], v[74:75]
	v_fma_f64 v[74:75], v[74:75], v[78:79], v[76:77]
	v_div_scale_f64 v[76:77], null, v[74:75], v[74:75], 1.0
	v_rcp_f64_e32 v[80:81], v[76:77]
	v_fma_f64 v[105:106], -v[76:77], v[80:81], 1.0
	v_fma_f64 v[80:81], v[80:81], v[105:106], v[80:81]
	v_fma_f64 v[105:106], -v[76:77], v[80:81], 1.0
	v_fma_f64 v[80:81], v[80:81], v[105:106], v[80:81]
	v_div_scale_f64 v[105:106], vcc_lo, 1.0, v[74:75], 1.0
	v_mul_f64 v[107:108], v[105:106], v[80:81]
	v_fma_f64 v[76:77], -v[76:77], v[107:108], v[105:106]
	v_div_fmas_f64 v[76:77], v[76:77], v[80:81], v[107:108]
	v_div_fixup_f64 v[80:81], v[76:77], v[74:75], 1.0
                                        ; implicit-def: $vgpr74_vgpr75
	v_mul_f64 v[78:79], v[78:79], v[80:81]
	v_xor_b32_e32 v81, 0x80000000, v81
.LBB19_77:
	s_andn2_saveexec_b32 s1, s1
	s_cbranch_execz .LBB19_79
; %bb.78:
	v_div_scale_f64 v[78:79], null, v[74:75], v[74:75], v[76:77]
	v_div_scale_f64 v[107:108], vcc_lo, v[76:77], v[74:75], v[76:77]
	v_rcp_f64_e32 v[80:81], v[78:79]
	v_fma_f64 v[105:106], -v[78:79], v[80:81], 1.0
	v_fma_f64 v[80:81], v[80:81], v[105:106], v[80:81]
	v_fma_f64 v[105:106], -v[78:79], v[80:81], 1.0
	v_fma_f64 v[80:81], v[80:81], v[105:106], v[80:81]
	v_mul_f64 v[105:106], v[107:108], v[80:81]
	v_fma_f64 v[78:79], -v[78:79], v[105:106], v[107:108]
	v_div_fmas_f64 v[78:79], v[78:79], v[80:81], v[105:106]
	v_div_fixup_f64 v[80:81], v[78:79], v[74:75], v[76:77]
	v_fma_f64 v[74:75], v[76:77], v[80:81], v[74:75]
	v_div_scale_f64 v[76:77], null, v[74:75], v[74:75], 1.0
	v_rcp_f64_e32 v[78:79], v[76:77]
	v_fma_f64 v[105:106], -v[76:77], v[78:79], 1.0
	v_fma_f64 v[78:79], v[78:79], v[105:106], v[78:79]
	v_fma_f64 v[105:106], -v[76:77], v[78:79], 1.0
	v_fma_f64 v[78:79], v[78:79], v[105:106], v[78:79]
	v_div_scale_f64 v[105:106], vcc_lo, 1.0, v[74:75], 1.0
	v_mul_f64 v[107:108], v[105:106], v[78:79]
	v_fma_f64 v[76:77], -v[76:77], v[107:108], v[105:106]
	v_div_fmas_f64 v[76:77], v[76:77], v[78:79], v[107:108]
	v_div_fixup_f64 v[78:79], v[76:77], v[74:75], 1.0
	v_mul_f64 v[80:81], v[80:81], -v[78:79]
.LBB19_79:
	s_or_b32 exec_lo, exec_lo, s1
	ds_write2_b64 v1, v[78:79], v[80:81] offset1:1
.LBB19_80:
	s_or_b32 exec_lo, exec_lo, s2
	s_waitcnt lgkmcnt(0)
	s_barrier
	buffer_gl0_inv
	ds_read2_b64 v[74:77], v1 offset1:1
	s_mov_b32 s1, exec_lo
	v_cmpx_lt_u32_e32 8, v0
	s_cbranch_execz .LBB19_82
; %bb.81:
	s_waitcnt lgkmcnt(0)
	v_mul_f64 v[78:79], v[74:75], v[24:25]
	v_mul_f64 v[24:25], v[76:77], v[24:25]
	v_fma_f64 v[105:106], v[76:77], v[22:23], v[78:79]
	ds_read2_b64 v[78:81], v104 offset0:18 offset1:19
	v_fma_f64 v[22:23], v[74:75], v[22:23], -v[24:25]
	s_waitcnt lgkmcnt(0)
	v_mul_f64 v[24:25], v[80:81], v[105:106]
	v_mul_f64 v[107:108], v[78:79], v[105:106]
	v_fma_f64 v[24:25], v[78:79], v[22:23], -v[24:25]
	v_fma_f64 v[78:79], v[80:81], v[22:23], v[107:108]
	v_add_f64 v[18:19], v[18:19], -v[24:25]
	v_add_f64 v[20:21], v[20:21], -v[78:79]
	v_mov_b32_e32 v24, v105
	v_mov_b32_e32 v25, v106
.LBB19_82:
	s_or_b32 exec_lo, exec_lo, s1
	s_mov_b32 s2, exec_lo
	s_waitcnt lgkmcnt(0)
	s_barrier
	buffer_gl0_inv
	v_cmpx_eq_u32_e32 9, v0
	s_cbranch_execz .LBB19_89
; %bb.83:
	v_cmp_neq_f64_e32 vcc_lo, 0, v[18:19]
	v_cmp_neq_f64_e64 s1, 0, v[20:21]
	ds_write2_b64 v1, v[18:19], v[20:21] offset1:1
	s_or_b32 s1, vcc_lo, s1
	s_and_b32 exec_lo, exec_lo, s1
	s_cbranch_execz .LBB19_89
; %bb.84:
	v_cmp_ngt_f64_e64 s1, |v[18:19]|, |v[20:21]|
                                        ; implicit-def: $vgpr78_vgpr79
	s_and_saveexec_b32 s3, s1
	s_xor_b32 s1, exec_lo, s3
                                        ; implicit-def: $vgpr80_vgpr81
	s_cbranch_execz .LBB19_86
; %bb.85:
	v_div_scale_f64 v[78:79], null, v[20:21], v[20:21], v[18:19]
	v_div_scale_f64 v[106:107], vcc_lo, v[18:19], v[20:21], v[18:19]
	v_rcp_f64_e32 v[80:81], v[78:79]
	v_fma_f64 v[104:105], -v[78:79], v[80:81], 1.0
	v_fma_f64 v[80:81], v[80:81], v[104:105], v[80:81]
	v_fma_f64 v[104:105], -v[78:79], v[80:81], 1.0
	v_fma_f64 v[80:81], v[80:81], v[104:105], v[80:81]
	v_mul_f64 v[104:105], v[106:107], v[80:81]
	v_fma_f64 v[78:79], -v[78:79], v[104:105], v[106:107]
	v_div_fmas_f64 v[78:79], v[78:79], v[80:81], v[104:105]
	v_div_fixup_f64 v[78:79], v[78:79], v[20:21], v[18:19]
	v_fma_f64 v[80:81], v[18:19], v[78:79], v[20:21]
	v_div_scale_f64 v[104:105], null, v[80:81], v[80:81], 1.0
	v_rcp_f64_e32 v[106:107], v[104:105]
	v_fma_f64 v[108:109], -v[104:105], v[106:107], 1.0
	v_fma_f64 v[106:107], v[106:107], v[108:109], v[106:107]
	v_fma_f64 v[108:109], -v[104:105], v[106:107], 1.0
	v_fma_f64 v[106:107], v[106:107], v[108:109], v[106:107]
	v_div_scale_f64 v[108:109], vcc_lo, 1.0, v[80:81], 1.0
	v_mul_f64 v[110:111], v[108:109], v[106:107]
	v_fma_f64 v[104:105], -v[104:105], v[110:111], v[108:109]
	v_div_fmas_f64 v[104:105], v[104:105], v[106:107], v[110:111]
	v_div_fixup_f64 v[80:81], v[104:105], v[80:81], 1.0
	v_mul_f64 v[78:79], v[78:79], v[80:81]
	v_xor_b32_e32 v81, 0x80000000, v81
.LBB19_86:
	s_andn2_saveexec_b32 s1, s1
	s_cbranch_execz .LBB19_88
; %bb.87:
	v_div_scale_f64 v[78:79], null, v[18:19], v[18:19], v[20:21]
	v_div_scale_f64 v[106:107], vcc_lo, v[20:21], v[18:19], v[20:21]
	v_rcp_f64_e32 v[80:81], v[78:79]
	v_fma_f64 v[104:105], -v[78:79], v[80:81], 1.0
	v_fma_f64 v[80:81], v[80:81], v[104:105], v[80:81]
	v_fma_f64 v[104:105], -v[78:79], v[80:81], 1.0
	v_fma_f64 v[80:81], v[80:81], v[104:105], v[80:81]
	v_mul_f64 v[104:105], v[106:107], v[80:81]
	v_fma_f64 v[78:79], -v[78:79], v[104:105], v[106:107]
	v_div_fmas_f64 v[78:79], v[78:79], v[80:81], v[104:105]
	v_div_fixup_f64 v[80:81], v[78:79], v[18:19], v[20:21]
	v_fma_f64 v[78:79], v[20:21], v[80:81], v[18:19]
	v_div_scale_f64 v[104:105], null, v[78:79], v[78:79], 1.0
	v_rcp_f64_e32 v[106:107], v[104:105]
	v_fma_f64 v[108:109], -v[104:105], v[106:107], 1.0
	v_fma_f64 v[106:107], v[106:107], v[108:109], v[106:107]
	v_fma_f64 v[108:109], -v[104:105], v[106:107], 1.0
	v_fma_f64 v[106:107], v[106:107], v[108:109], v[106:107]
	v_div_scale_f64 v[108:109], vcc_lo, 1.0, v[78:79], 1.0
	v_mul_f64 v[110:111], v[108:109], v[106:107]
	v_fma_f64 v[104:105], -v[104:105], v[110:111], v[108:109]
	v_div_fmas_f64 v[104:105], v[104:105], v[106:107], v[110:111]
	v_div_fixup_f64 v[78:79], v[104:105], v[78:79], 1.0
	v_mul_f64 v[80:81], v[80:81], -v[78:79]
.LBB19_88:
	s_or_b32 exec_lo, exec_lo, s1
	ds_write2_b64 v1, v[78:79], v[80:81] offset1:1
.LBB19_89:
	s_or_b32 exec_lo, exec_lo, s2
	s_waitcnt lgkmcnt(0)
	s_barrier
	buffer_gl0_inv
	ds_read2_b64 v[78:81], v1 offset1:1
	s_mov_b32 s1, exec_lo
	v_cmpx_lt_u32_e32 9, v0
	s_cbranch_execz .LBB19_91
; %bb.90:
	s_waitcnt lgkmcnt(0)
	v_mul_f64 v[0:1], v[80:81], v[20:21]
	v_mul_f64 v[20:21], v[78:79], v[20:21]
	v_fma_f64 v[0:1], v[78:79], v[18:19], -v[0:1]
	v_fma_f64 v[20:21], v[80:81], v[18:19], v[20:21]
	v_mov_b32_e32 v19, v1
	v_mov_b32_e32 v18, v0
.LBB19_91:
	s_or_b32 exec_lo, exec_lo, s1
	s_waitcnt lgkmcnt(0)
	s_barrier
	buffer_gl0_inv
	s_and_saveexec_b32 s6, s0
	s_cbranch_execz .LBB19_94
; %bb.92:
	v_lshlrev_b64 v[0:1], 2, v[88:89]
	v_cmp_eq_f64_e64 s0, 0, v[44:45]
	v_cmp_neq_f64_e64 s1, 0, v[46:47]
	v_cmp_neq_f64_e64 s2, 0, v[48:49]
	v_cmp_eq_f64_e64 s3, 0, v[50:51]
	v_cmp_eq_f64_e64 s4, 0, v[52:53]
	v_add_co_u32 v0, vcc_lo, s10, v0
	v_add_co_ci_u32_e64 v1, null, s11, v1, vcc_lo
	v_cmp_eq_f64_e32 vcc_lo, 0, v[42:43]
	v_cmp_eq_f64_e64 s5, 0, v[54:55]
	global_load_dword v88, v[0:1], off
	s_or_b32 s1, s1, s2
	v_cmp_eq_f64_e64 s2, 0, v[60:61]
	s_and_b32 s3, s3, s4
	v_cmp_eq_f64_e64 s4, 0, v[64:65]
	s_and_b32 s0, vcc_lo, s0
	v_cmp_eq_f64_e32 vcc_lo, 0, v[56:57]
	v_cndmask_b32_e64 v42, 0, 1, s0
	s_or_b32 s0, s1, s0
	v_cmp_eq_f64_e64 s1, 0, v[58:59]
	v_cndmask_b32_e64 v42, 2, v42, s0
	v_cmp_eq_u32_e64 s0, 0, v42
	s_and_b32 s0, s3, s0
	v_cmp_eq_f64_e64 s3, 0, v[62:63]
	v_cndmask_b32_e64 v42, v42, 3, s0
	s_and_b32 s5, s5, vcc_lo
	v_cmp_eq_u32_e64 s0, 0, v42
	s_and_b32 s1, s1, s2
	v_cmp_eq_f64_e64 s2, 0, v[72:73]
	s_and_b32 s0, s5, s0
	v_cmp_eq_f64_e64 s5, 0, v[68:69]
	v_cndmask_b32_e64 v42, v42, 4, s0
	v_cmp_eq_f64_e64 s0, 0, v[66:67]
	v_cmp_eq_u32_e32 vcc_lo, 0, v42
	s_and_b32 s3, s3, s4
	s_and_b32 s1, s1, vcc_lo
	v_cmp_eq_f64_e64 s4, 0, v[76:77]
	v_cndmask_b32_e64 v42, v42, 5, s1
	v_cmp_eq_f64_e64 s1, 0, v[70:71]
	v_cmp_eq_u32_e32 vcc_lo, 0, v42
	s_and_b32 s3, s3, vcc_lo
	s_and_b32 s0, s0, s5
	v_cndmask_b32_e64 v42, v42, 6, s3
	v_cmp_eq_f64_e64 s3, 0, v[74:75]
	v_cmp_eq_f64_e64 s5, 0, v[80:81]
	v_cmp_eq_u32_e32 vcc_lo, 0, v42
	s_and_b32 s0, s0, vcc_lo
	s_and_b32 s1, s1, s2
	v_cndmask_b32_e64 v42, v42, 7, s0
	v_cmp_eq_f64_e64 s0, 0, v[78:79]
	v_cmp_eq_u32_e32 vcc_lo, 0, v42
	s_and_b32 s1, s1, vcc_lo
	v_cndmask_b32_e64 v42, v42, 8, s1
	s_and_b32 s1, s3, s4
	v_cmp_eq_u32_e32 vcc_lo, 0, v42
	s_and_b32 s1, s1, vcc_lo
	s_and_b32 s0, s0, s5
	v_cndmask_b32_e64 v42, v42, 9, s1
	v_cmp_eq_u32_e32 vcc_lo, 0, v42
	s_and_b32 s0, s0, vcc_lo
	v_cndmask_b32_e64 v42, v42, 10, s0
	v_cmp_ne_u32_e64 s0, 0, v42
	s_waitcnt vmcnt(0)
	v_cmp_eq_u32_e32 vcc_lo, 0, v88
	s_and_b32 s0, vcc_lo, s0
	s_and_b32 exec_lo, exec_lo, s0
	s_cbranch_execz .LBB19_94
; %bb.93:
	v_add_nc_u32_e32 v42, s13, v42
	global_store_dword v[0:1], v42, off
.LBB19_94:
	s_or_b32 exec_lo, exec_lo, s6
	global_store_dwordx4 v[90:91], v[14:17], off
	global_store_dwordx4 v[92:93], v[10:13], off
	;; [unrolled: 1-line block ×10, first 2 shown]
.LBB19_95:
	s_endpgm
	.section	.rodata,"a",@progbits
	.p2align	6, 0x0
	.amdhsa_kernel _ZN9rocsolver6v33100L23getf2_npvt_small_kernelILi10E19rocblas_complex_numIdEiiPS3_EEvT1_T3_lS5_lPT2_S5_S5_
		.amdhsa_group_segment_fixed_size 0
		.amdhsa_private_segment_fixed_size 0
		.amdhsa_kernarg_size 312
		.amdhsa_user_sgpr_count 6
		.amdhsa_user_sgpr_private_segment_buffer 1
		.amdhsa_user_sgpr_dispatch_ptr 0
		.amdhsa_user_sgpr_queue_ptr 0
		.amdhsa_user_sgpr_kernarg_segment_ptr 1
		.amdhsa_user_sgpr_dispatch_id 0
		.amdhsa_user_sgpr_flat_scratch_init 0
		.amdhsa_user_sgpr_private_segment_size 0
		.amdhsa_wavefront_size32 1
		.amdhsa_uses_dynamic_stack 0
		.amdhsa_system_sgpr_private_segment_wavefront_offset 0
		.amdhsa_system_sgpr_workgroup_id_x 1
		.amdhsa_system_sgpr_workgroup_id_y 1
		.amdhsa_system_sgpr_workgroup_id_z 0
		.amdhsa_system_sgpr_workgroup_info 0
		.amdhsa_system_vgpr_workitem_id 1
		.amdhsa_next_free_vgpr 112
		.amdhsa_next_free_sgpr 15
		.amdhsa_reserve_vcc 1
		.amdhsa_reserve_flat_scratch 0
		.amdhsa_float_round_mode_32 0
		.amdhsa_float_round_mode_16_64 0
		.amdhsa_float_denorm_mode_32 3
		.amdhsa_float_denorm_mode_16_64 3
		.amdhsa_dx10_clamp 1
		.amdhsa_ieee_mode 1
		.amdhsa_fp16_overflow 0
		.amdhsa_workgroup_processor_mode 1
		.amdhsa_memory_ordered 1
		.amdhsa_forward_progress 1
		.amdhsa_shared_vgpr_count 0
		.amdhsa_exception_fp_ieee_invalid_op 0
		.amdhsa_exception_fp_denorm_src 0
		.amdhsa_exception_fp_ieee_div_zero 0
		.amdhsa_exception_fp_ieee_overflow 0
		.amdhsa_exception_fp_ieee_underflow 0
		.amdhsa_exception_fp_ieee_inexact 0
		.amdhsa_exception_int_div_zero 0
	.end_amdhsa_kernel
	.section	.text._ZN9rocsolver6v33100L23getf2_npvt_small_kernelILi10E19rocblas_complex_numIdEiiPS3_EEvT1_T3_lS5_lPT2_S5_S5_,"axG",@progbits,_ZN9rocsolver6v33100L23getf2_npvt_small_kernelILi10E19rocblas_complex_numIdEiiPS3_EEvT1_T3_lS5_lPT2_S5_S5_,comdat
.Lfunc_end19:
	.size	_ZN9rocsolver6v33100L23getf2_npvt_small_kernelILi10E19rocblas_complex_numIdEiiPS3_EEvT1_T3_lS5_lPT2_S5_S5_, .Lfunc_end19-_ZN9rocsolver6v33100L23getf2_npvt_small_kernelILi10E19rocblas_complex_numIdEiiPS3_EEvT1_T3_lS5_lPT2_S5_S5_
                                        ; -- End function
	.set _ZN9rocsolver6v33100L23getf2_npvt_small_kernelILi10E19rocblas_complex_numIdEiiPS3_EEvT1_T3_lS5_lPT2_S5_S5_.num_vgpr, 112
	.set _ZN9rocsolver6v33100L23getf2_npvt_small_kernelILi10E19rocblas_complex_numIdEiiPS3_EEvT1_T3_lS5_lPT2_S5_S5_.num_agpr, 0
	.set _ZN9rocsolver6v33100L23getf2_npvt_small_kernelILi10E19rocblas_complex_numIdEiiPS3_EEvT1_T3_lS5_lPT2_S5_S5_.numbered_sgpr, 15
	.set _ZN9rocsolver6v33100L23getf2_npvt_small_kernelILi10E19rocblas_complex_numIdEiiPS3_EEvT1_T3_lS5_lPT2_S5_S5_.num_named_barrier, 0
	.set _ZN9rocsolver6v33100L23getf2_npvt_small_kernelILi10E19rocblas_complex_numIdEiiPS3_EEvT1_T3_lS5_lPT2_S5_S5_.private_seg_size, 0
	.set _ZN9rocsolver6v33100L23getf2_npvt_small_kernelILi10E19rocblas_complex_numIdEiiPS3_EEvT1_T3_lS5_lPT2_S5_S5_.uses_vcc, 1
	.set _ZN9rocsolver6v33100L23getf2_npvt_small_kernelILi10E19rocblas_complex_numIdEiiPS3_EEvT1_T3_lS5_lPT2_S5_S5_.uses_flat_scratch, 0
	.set _ZN9rocsolver6v33100L23getf2_npvt_small_kernelILi10E19rocblas_complex_numIdEiiPS3_EEvT1_T3_lS5_lPT2_S5_S5_.has_dyn_sized_stack, 0
	.set _ZN9rocsolver6v33100L23getf2_npvt_small_kernelILi10E19rocblas_complex_numIdEiiPS3_EEvT1_T3_lS5_lPT2_S5_S5_.has_recursion, 0
	.set _ZN9rocsolver6v33100L23getf2_npvt_small_kernelILi10E19rocblas_complex_numIdEiiPS3_EEvT1_T3_lS5_lPT2_S5_S5_.has_indirect_call, 0
	.section	.AMDGPU.csdata,"",@progbits
; Kernel info:
; codeLenInByte = 9952
; TotalNumSgprs: 17
; NumVgprs: 112
; ScratchSize: 0
; MemoryBound: 0
; FloatMode: 240
; IeeeMode: 1
; LDSByteSize: 0 bytes/workgroup (compile time only)
; SGPRBlocks: 0
; VGPRBlocks: 13
; NumSGPRsForWavesPerEU: 17
; NumVGPRsForWavesPerEU: 112
; Occupancy: 9
; WaveLimiterHint : 0
; COMPUTE_PGM_RSRC2:SCRATCH_EN: 0
; COMPUTE_PGM_RSRC2:USER_SGPR: 6
; COMPUTE_PGM_RSRC2:TRAP_HANDLER: 0
; COMPUTE_PGM_RSRC2:TGID_X_EN: 1
; COMPUTE_PGM_RSRC2:TGID_Y_EN: 1
; COMPUTE_PGM_RSRC2:TGID_Z_EN: 0
; COMPUTE_PGM_RSRC2:TIDIG_COMP_CNT: 1
	.section	.text._ZN9rocsolver6v33100L18getf2_small_kernelILi11E19rocblas_complex_numIdEiiPS3_EEvT1_T3_lS5_lPS5_llPT2_S5_S5_S7_l,"axG",@progbits,_ZN9rocsolver6v33100L18getf2_small_kernelILi11E19rocblas_complex_numIdEiiPS3_EEvT1_T3_lS5_lPS5_llPT2_S5_S5_S7_l,comdat
	.globl	_ZN9rocsolver6v33100L18getf2_small_kernelILi11E19rocblas_complex_numIdEiiPS3_EEvT1_T3_lS5_lPS5_llPT2_S5_S5_S7_l ; -- Begin function _ZN9rocsolver6v33100L18getf2_small_kernelILi11E19rocblas_complex_numIdEiiPS3_EEvT1_T3_lS5_lPS5_llPT2_S5_S5_S7_l
	.p2align	8
	.type	_ZN9rocsolver6v33100L18getf2_small_kernelILi11E19rocblas_complex_numIdEiiPS3_EEvT1_T3_lS5_lPS5_llPT2_S5_S5_S7_l,@function
_ZN9rocsolver6v33100L18getf2_small_kernelILi11E19rocblas_complex_numIdEiiPS3_EEvT1_T3_lS5_lPS5_llPT2_S5_S5_S7_l: ; @_ZN9rocsolver6v33100L18getf2_small_kernelILi11E19rocblas_complex_numIdEiiPS3_EEvT1_T3_lS5_lPS5_llPT2_S5_S5_S7_l
; %bb.0:
	s_clause 0x1
	s_load_dword s0, s[4:5], 0x6c
	s_load_dwordx2 s[16:17], s[4:5], 0x48
	s_waitcnt lgkmcnt(0)
	s_lshr_b32 s0, s0, 16
	v_mad_u64_u32 v[50:51], null, s7, s0, v[1:2]
	s_mov_b32 s0, exec_lo
	v_cmpx_gt_i32_e64 s16, v50
	s_cbranch_execz .LBB20_234
; %bb.1:
	s_load_dwordx4 s[0:3], s[4:5], 0x50
	v_mov_b32_e32 v52, 0
	v_ashrrev_i32_e32 v51, 31, v50
	v_mov_b32_e32 v53, 0
	s_waitcnt lgkmcnt(0)
	s_cmp_eq_u64 s[0:1], 0
	s_cselect_b32 s16, -1, 0
	s_and_b32 vcc_lo, exec_lo, s16
	s_cbranch_vccnz .LBB20_3
; %bb.2:
	v_mul_lo_u32 v4, s3, v50
	v_mul_lo_u32 v5, s2, v51
	v_mad_u64_u32 v[2:3], null, s2, v50, 0
	v_add3_u32 v3, v3, v5, v4
	v_lshlrev_b64 v[2:3], 2, v[2:3]
	v_add_co_u32 v52, vcc_lo, s0, v2
	v_add_co_ci_u32_e64 v53, null, s1, v3, vcc_lo
.LBB20_3:
	s_clause 0x2
	s_load_dwordx8 s[8:15], s[4:5], 0x20
	s_load_dword s6, s[4:5], 0x18
	s_load_dwordx4 s[0:3], s[4:5], 0x8
	v_lshlrev_b32_e32 v48, 4, v0
	v_mov_b32_e32 v54, 0
	s_waitcnt lgkmcnt(0)
	v_mul_lo_u32 v5, s9, v50
	v_mul_lo_u32 v7, s8, v51
	v_mad_u64_u32 v[2:3], null, s8, v50, 0
	v_add3_u32 v4, s6, s6, v0
	s_lshl_b64 s[2:3], s[2:3], 4
	s_ashr_i32 s7, s6, 31
	s_lshl_b64 s[8:9], s[6:7], 4
	v_add_nc_u32_e32 v6, s6, v4
	v_add3_u32 v3, v3, v7, v5
	v_ashrrev_i32_e32 v5, 31, v4
	v_add_nc_u32_e32 v8, s6, v6
	v_lshlrev_b64 v[2:3], 4, v[2:3]
	v_ashrrev_i32_e32 v7, 31, v6
	v_lshlrev_b64 v[4:5], 4, v[4:5]
	v_add_nc_u32_e32 v10, s6, v8
	v_ashrrev_i32_e32 v9, 31, v8
	v_add_co_u32 v12, vcc_lo, s0, v2
	v_add_co_ci_u32_e64 v13, null, s1, v3, vcc_lo
	v_lshlrev_b64 v[6:7], 4, v[6:7]
	v_add_co_u32 v57, vcc_lo, v12, s2
	v_add_co_ci_u32_e64 v58, null, s3, v13, vcc_lo
	v_ashrrev_i32_e32 v11, 31, v10
	v_add_co_u32 v13, vcc_lo, v57, v48
	v_lshlrev_b64 v[2:3], 4, v[8:9]
	v_add_nc_u32_e32 v8, s6, v10
	v_add_co_ci_u32_e64 v14, null, 0, v58, vcc_lo
	v_add_co_u32 v4, vcc_lo, v57, v4
	v_lshlrev_b64 v[10:11], 4, v[10:11]
	v_add_co_ci_u32_e64 v5, null, v58, v5, vcc_lo
	v_add_co_u32 v6, vcc_lo, v57, v6
	v_add_nc_u32_e32 v12, s6, v8
	v_add_co_ci_u32_e64 v7, null, v58, v7, vcc_lo
	v_add_co_u32 v15, vcc_lo, v13, s8
	v_add_co_ci_u32_e64 v16, null, s9, v14, vcc_lo
	v_add_co_u32 v2, vcc_lo, v57, v2
	v_add_co_ci_u32_e64 v3, null, v58, v3, vcc_lo
	s_clause 0x3
	global_load_dwordx4 v[34:37], v[4:5], off
	global_load_dwordx4 v[30:33], v[6:7], off
	;; [unrolled: 1-line block ×4, first 2 shown]
	v_add_co_u32 v4, vcc_lo, v57, v10
	v_add_nc_u32_e32 v6, s6, v12
	v_add_co_ci_u32_e64 v5, null, v58, v11, vcc_lo
	s_clause 0x1
	global_load_dwordx4 v[26:29], v[2:3], off
	global_load_dwordx4 v[22:25], v[4:5], off
	v_add_nc_u32_e32 v4, s6, v6
	v_ashrrev_i32_e32 v9, 31, v8
	v_ashrrev_i32_e32 v13, 31, v12
	;; [unrolled: 1-line block ×3, first 2 shown]
	s_load_dword s3, s[4:5], 0x0
	v_add_nc_u32_e32 v10, s6, v4
	v_lshlrev_b64 v[8:9], 4, v[8:9]
	v_ashrrev_i32_e32 v5, 31, v4
	v_lshlrev_b64 v[2:3], 4, v[12:13]
	v_lshlrev_b64 v[6:7], 4, v[6:7]
	v_ashrrev_i32_e32 v11, 31, v10
	s_load_dwordx2 s[4:5], s[4:5], 0x40
	v_add_co_u32 v8, vcc_lo, v57, v8
	v_lshlrev_b64 v[4:5], 4, v[4:5]
	v_add_co_ci_u32_e64 v9, null, v58, v9, vcc_lo
	v_add_co_u32 v2, vcc_lo, v57, v2
	v_lshlrev_b64 v[10:11], 4, v[10:11]
	v_add_co_ci_u32_e64 v3, null, v58, v3, vcc_lo
	v_add_co_u32 v6, vcc_lo, v57, v6
	v_add_co_ci_u32_e64 v7, null, v58, v7, vcc_lo
	v_add_co_u32 v4, vcc_lo, v57, v4
	;; [unrolled: 2-line block ×3, first 2 shown]
	v_add_co_ci_u32_e64 v47, null, v58, v11, vcc_lo
	s_clause 0x4
	global_load_dwordx4 v[18:21], v[8:9], off
	global_load_dwordx4 v[14:17], v[2:3], off
	;; [unrolled: 1-line block ×5, first 2 shown]
	s_waitcnt lgkmcnt(0)
	s_max_i32 s0, s3, 11
	s_cmp_lt_i32 s3, 2
	v_mul_lo_u32 v55, s0, v1
	v_lshl_add_u32 v1, v55, 4, 0
	v_lshlrev_b32_e32 v56, 4, v55
	v_add_nc_u32_e32 v46, v1, v48
	s_waitcnt vmcnt(8)
	ds_write2_b64 v46, v[42:43], v[44:45] offset1:1
	s_waitcnt vmcnt(0) lgkmcnt(0)
	s_barrier
	buffer_gl0_inv
	ds_read2_b64 v[46:49], v1 offset1:1
	s_cbranch_scc1 .LBB20_6
; %bb.4:
	v_add3_u32 v55, v56, 0, 16
	v_mov_b32_e32 v54, 0
	s_mov_b32 s7, 1
	s_inst_prefetch 0x1
	.p2align	6
.LBB20_5:                               ; =>This Inner Loop Header: Depth=1
	ds_read2_b64 v[59:62], v55 offset1:1
	s_waitcnt lgkmcnt(1)
	v_cmp_gt_f64_e32 vcc_lo, 0, v[46:47]
	v_cmp_gt_f64_e64 s0, 0, v[48:49]
	v_xor_b32_e32 v64, 0x80000000, v47
	v_xor_b32_e32 v66, 0x80000000, v49
	v_mov_b32_e32 v63, v46
	v_mov_b32_e32 v65, v48
	v_add_nc_u32_e32 v55, 16, v55
	s_waitcnt lgkmcnt(0)
	v_cmp_gt_f64_e64 s1, 0, v[59:60]
	v_cmp_gt_f64_e64 s2, 0, v[61:62]
	v_xor_b32_e32 v68, 0x80000000, v60
	v_xor_b32_e32 v70, 0x80000000, v62
	v_mov_b32_e32 v67, v59
	v_mov_b32_e32 v69, v61
	v_cndmask_b32_e32 v64, v47, v64, vcc_lo
	v_cndmask_b32_e64 v66, v49, v66, s0
	v_add_f64 v[63:64], v[63:64], v[65:66]
	v_cndmask_b32_e64 v68, v60, v68, s1
	v_cndmask_b32_e64 v70, v62, v70, s2
	v_add_f64 v[65:66], v[67:68], v[69:70]
	v_cmp_lt_f64_e32 vcc_lo, v[63:64], v[65:66]
	v_cndmask_b32_e32 v47, v47, v60, vcc_lo
	v_cndmask_b32_e32 v46, v46, v59, vcc_lo
	;; [unrolled: 1-line block ×4, first 2 shown]
	v_cndmask_b32_e64 v54, v54, s7, vcc_lo
	s_add_i32 s7, s7, 1
	s_cmp_eq_u32 s3, s7
	s_cbranch_scc0 .LBB20_5
.LBB20_6:
	s_inst_prefetch 0x2
	s_waitcnt lgkmcnt(0)
	v_cmp_neq_f64_e32 vcc_lo, 0, v[46:47]
	v_cmp_neq_f64_e64 s0, 0, v[48:49]
	v_mov_b32_e32 v59, 1
	v_mov_b32_e32 v61, 1
	s_or_b32 s1, vcc_lo, s0
	s_and_saveexec_b32 s0, s1
	s_cbranch_execz .LBB20_12
; %bb.7:
	v_cmp_ngt_f64_e64 s1, |v[46:47]|, |v[48:49]|
	s_and_saveexec_b32 s2, s1
	s_xor_b32 s1, exec_lo, s2
	s_cbranch_execz .LBB20_9
; %bb.8:
	v_div_scale_f64 v[59:60], null, v[48:49], v[48:49], v[46:47]
	v_div_scale_f64 v[65:66], vcc_lo, v[46:47], v[48:49], v[46:47]
	v_rcp_f64_e32 v[61:62], v[59:60]
	v_fma_f64 v[63:64], -v[59:60], v[61:62], 1.0
	v_fma_f64 v[61:62], v[61:62], v[63:64], v[61:62]
	v_fma_f64 v[63:64], -v[59:60], v[61:62], 1.0
	v_fma_f64 v[61:62], v[61:62], v[63:64], v[61:62]
	v_mul_f64 v[63:64], v[65:66], v[61:62]
	v_fma_f64 v[59:60], -v[59:60], v[63:64], v[65:66]
	v_div_fmas_f64 v[59:60], v[59:60], v[61:62], v[63:64]
	v_div_fixup_f64 v[59:60], v[59:60], v[48:49], v[46:47]
	v_fma_f64 v[46:47], v[46:47], v[59:60], v[48:49]
	v_div_scale_f64 v[48:49], null, v[46:47], v[46:47], 1.0
	v_rcp_f64_e32 v[61:62], v[48:49]
	v_fma_f64 v[63:64], -v[48:49], v[61:62], 1.0
	v_fma_f64 v[61:62], v[61:62], v[63:64], v[61:62]
	v_fma_f64 v[63:64], -v[48:49], v[61:62], 1.0
	v_fma_f64 v[61:62], v[61:62], v[63:64], v[61:62]
	v_div_scale_f64 v[63:64], vcc_lo, 1.0, v[46:47], 1.0
	v_mul_f64 v[65:66], v[63:64], v[61:62]
	v_fma_f64 v[48:49], -v[48:49], v[65:66], v[63:64]
	v_div_fmas_f64 v[48:49], v[48:49], v[61:62], v[65:66]
	v_div_fixup_f64 v[48:49], v[48:49], v[46:47], 1.0
	v_mul_f64 v[46:47], v[59:60], v[48:49]
	v_xor_b32_e32 v49, 0x80000000, v49
.LBB20_9:
	s_andn2_saveexec_b32 s1, s1
	s_cbranch_execz .LBB20_11
; %bb.10:
	v_div_scale_f64 v[59:60], null, v[46:47], v[46:47], v[48:49]
	v_div_scale_f64 v[65:66], vcc_lo, v[48:49], v[46:47], v[48:49]
	v_rcp_f64_e32 v[61:62], v[59:60]
	v_fma_f64 v[63:64], -v[59:60], v[61:62], 1.0
	v_fma_f64 v[61:62], v[61:62], v[63:64], v[61:62]
	v_fma_f64 v[63:64], -v[59:60], v[61:62], 1.0
	v_fma_f64 v[61:62], v[61:62], v[63:64], v[61:62]
	v_mul_f64 v[63:64], v[65:66], v[61:62]
	v_fma_f64 v[59:60], -v[59:60], v[63:64], v[65:66]
	v_div_fmas_f64 v[59:60], v[59:60], v[61:62], v[63:64]
	v_div_fixup_f64 v[59:60], v[59:60], v[46:47], v[48:49]
	v_fma_f64 v[46:47], v[48:49], v[59:60], v[46:47]
	v_div_scale_f64 v[48:49], null, v[46:47], v[46:47], 1.0
	v_rcp_f64_e32 v[61:62], v[48:49]
	v_fma_f64 v[63:64], -v[48:49], v[61:62], 1.0
	v_fma_f64 v[61:62], v[61:62], v[63:64], v[61:62]
	v_fma_f64 v[63:64], -v[48:49], v[61:62], 1.0
	v_fma_f64 v[61:62], v[61:62], v[63:64], v[61:62]
	v_div_scale_f64 v[63:64], vcc_lo, 1.0, v[46:47], 1.0
	v_mul_f64 v[65:66], v[63:64], v[61:62]
	v_fma_f64 v[48:49], -v[48:49], v[65:66], v[63:64]
	v_div_fmas_f64 v[48:49], v[48:49], v[61:62], v[65:66]
	v_div_fixup_f64 v[46:47], v[48:49], v[46:47], 1.0
	v_mul_f64 v[48:49], v[59:60], -v[46:47]
.LBB20_11:
	s_or_b32 exec_lo, exec_lo, s1
	v_mov_b32_e32 v61, 0
	v_mov_b32_e32 v59, 2
.LBB20_12:
	s_or_b32 exec_lo, exec_lo, s0
	s_mov_b32 s0, exec_lo
	v_cmpx_ne_u32_e64 v0, v54
	s_xor_b32 s0, exec_lo, s0
	s_cbranch_execz .LBB20_18
; %bb.13:
	s_mov_b32 s1, exec_lo
	v_cmpx_eq_u32_e32 0, v0
	s_cbranch_execz .LBB20_17
; %bb.14:
	v_cmp_ne_u32_e32 vcc_lo, 0, v54
	s_xor_b32 s2, s16, -1
	s_and_b32 s7, s2, vcc_lo
	s_and_saveexec_b32 s2, s7
	s_cbranch_execz .LBB20_16
; %bb.15:
	v_ashrrev_i32_e32 v55, 31, v54
	v_lshlrev_b64 v[62:63], 2, v[54:55]
	v_add_co_u32 v62, vcc_lo, v52, v62
	v_add_co_ci_u32_e64 v63, null, v53, v63, vcc_lo
	s_clause 0x1
	global_load_dword v0, v[62:63], off
	global_load_dword v55, v[52:53], off
	s_waitcnt vmcnt(1)
	global_store_dword v[52:53], v0, off
	s_waitcnt vmcnt(0)
	global_store_dword v[62:63], v55, off
.LBB20_16:
	s_or_b32 exec_lo, exec_lo, s2
	v_mov_b32_e32 v0, v54
.LBB20_17:
	s_or_b32 exec_lo, exec_lo, s1
.LBB20_18:
	s_or_saveexec_b32 s0, s0
	v_mov_b32_e32 v60, v0
	s_xor_b32 exec_lo, exec_lo, s0
	s_cbranch_execz .LBB20_20
; %bb.19:
	v_mov_b32_e32 v60, 0
	ds_write2_b64 v1, v[38:39], v[40:41] offset0:2 offset1:3
	ds_write2_b64 v1, v[34:35], v[36:37] offset0:4 offset1:5
	;; [unrolled: 1-line block ×10, first 2 shown]
.LBB20_20:
	s_or_b32 exec_lo, exec_lo, s0
	s_mov_b32 s0, exec_lo
	s_waitcnt lgkmcnt(0)
	s_waitcnt_vscnt null, 0x0
	s_barrier
	buffer_gl0_inv
	v_cmpx_lt_i32_e32 0, v60
	s_cbranch_execz .LBB20_22
; %bb.21:
	v_mul_f64 v[54:55], v[46:47], v[44:45]
	v_mul_f64 v[44:45], v[48:49], v[44:45]
	v_fma_f64 v[54:55], v[48:49], v[42:43], v[54:55]
	v_fma_f64 v[42:43], v[46:47], v[42:43], -v[44:45]
	ds_read2_b64 v[44:47], v1 offset0:2 offset1:3
	s_waitcnt lgkmcnt(0)
	v_mul_f64 v[48:49], v[46:47], v[54:55]
	v_fma_f64 v[48:49], v[44:45], v[42:43], -v[48:49]
	v_mul_f64 v[44:45], v[44:45], v[54:55]
	v_add_f64 v[38:39], v[38:39], -v[48:49]
	v_fma_f64 v[44:45], v[46:47], v[42:43], v[44:45]
	v_add_f64 v[40:41], v[40:41], -v[44:45]
	ds_read2_b64 v[44:47], v1 offset0:4 offset1:5
	s_waitcnt lgkmcnt(0)
	v_mul_f64 v[48:49], v[46:47], v[54:55]
	v_fma_f64 v[48:49], v[44:45], v[42:43], -v[48:49]
	v_mul_f64 v[44:45], v[44:45], v[54:55]
	v_add_f64 v[34:35], v[34:35], -v[48:49]
	v_fma_f64 v[44:45], v[46:47], v[42:43], v[44:45]
	v_add_f64 v[36:37], v[36:37], -v[44:45]
	;; [unrolled: 8-line block ×10, first 2 shown]
	v_mov_b32_e32 v44, v54
	v_mov_b32_e32 v45, v55
.LBB20_22:
	s_or_b32 exec_lo, exec_lo, s0
	v_lshl_add_u32 v46, v60, 4, v1
	s_barrier
	buffer_gl0_inv
	v_mov_b32_e32 v54, 1
	ds_write2_b64 v46, v[38:39], v[40:41] offset1:1
	s_waitcnt lgkmcnt(0)
	s_barrier
	buffer_gl0_inv
	ds_read2_b64 v[46:49], v1 offset0:2 offset1:3
	s_cmp_lt_i32 s3, 3
	s_cbranch_scc1 .LBB20_25
; %bb.23:
	v_add3_u32 v55, v56, 0, 32
	v_mov_b32_e32 v54, 1
	s_mov_b32 s1, 2
	s_inst_prefetch 0x1
	.p2align	6
.LBB20_24:                              ; =>This Inner Loop Header: Depth=1
	s_waitcnt lgkmcnt(0)
	v_cmp_gt_f64_e32 vcc_lo, 0, v[48:49]
	v_cmp_gt_f64_e64 s0, 0, v[46:47]
	ds_read2_b64 v[62:65], v55 offset1:1
	v_xor_b32_e32 v67, 0x80000000, v47
	v_xor_b32_e32 v69, 0x80000000, v49
	v_mov_b32_e32 v66, v46
	v_mov_b32_e32 v68, v48
	v_add_nc_u32_e32 v55, 16, v55
	s_waitcnt lgkmcnt(0)
	v_xor_b32_e32 v71, 0x80000000, v65
	v_cndmask_b32_e64 v67, v47, v67, s0
	v_cndmask_b32_e32 v69, v49, v69, vcc_lo
	v_cmp_gt_f64_e32 vcc_lo, 0, v[64:65]
	v_cmp_gt_f64_e64 s0, 0, v[62:63]
	v_mov_b32_e32 v70, v64
	v_add_f64 v[66:67], v[66:67], v[68:69]
	v_xor_b32_e32 v69, 0x80000000, v63
	v_mov_b32_e32 v68, v62
	v_cndmask_b32_e32 v71, v65, v71, vcc_lo
	v_cndmask_b32_e64 v69, v63, v69, s0
	v_add_f64 v[68:69], v[68:69], v[70:71]
	v_cmp_lt_f64_e32 vcc_lo, v[66:67], v[68:69]
	v_cndmask_b32_e32 v47, v47, v63, vcc_lo
	v_cndmask_b32_e32 v46, v46, v62, vcc_lo
	;; [unrolled: 1-line block ×4, first 2 shown]
	v_cndmask_b32_e64 v54, v54, s1, vcc_lo
	s_add_i32 s1, s1, 1
	s_cmp_lg_u32 s3, s1
	s_cbranch_scc1 .LBB20_24
.LBB20_25:
	s_inst_prefetch 0x2
	s_waitcnt lgkmcnt(0)
	v_cmp_neq_f64_e32 vcc_lo, 0, v[46:47]
	v_cmp_neq_f64_e64 s0, 0, v[48:49]
	s_or_b32 s1, vcc_lo, s0
	s_and_saveexec_b32 s0, s1
	s_cbranch_execz .LBB20_31
; %bb.26:
	v_cmp_ngt_f64_e64 s1, |v[46:47]|, |v[48:49]|
	s_and_saveexec_b32 s2, s1
	s_xor_b32 s1, exec_lo, s2
	s_cbranch_execz .LBB20_28
; %bb.27:
	v_div_scale_f64 v[62:63], null, v[48:49], v[48:49], v[46:47]
	v_div_scale_f64 v[68:69], vcc_lo, v[46:47], v[48:49], v[46:47]
	v_rcp_f64_e32 v[64:65], v[62:63]
	v_fma_f64 v[66:67], -v[62:63], v[64:65], 1.0
	v_fma_f64 v[64:65], v[64:65], v[66:67], v[64:65]
	v_fma_f64 v[66:67], -v[62:63], v[64:65], 1.0
	v_fma_f64 v[64:65], v[64:65], v[66:67], v[64:65]
	v_mul_f64 v[66:67], v[68:69], v[64:65]
	v_fma_f64 v[62:63], -v[62:63], v[66:67], v[68:69]
	v_div_fmas_f64 v[62:63], v[62:63], v[64:65], v[66:67]
	v_div_fixup_f64 v[62:63], v[62:63], v[48:49], v[46:47]
	v_fma_f64 v[46:47], v[46:47], v[62:63], v[48:49]
	v_div_scale_f64 v[48:49], null, v[46:47], v[46:47], 1.0
	v_rcp_f64_e32 v[64:65], v[48:49]
	v_fma_f64 v[66:67], -v[48:49], v[64:65], 1.0
	v_fma_f64 v[64:65], v[64:65], v[66:67], v[64:65]
	v_fma_f64 v[66:67], -v[48:49], v[64:65], 1.0
	v_fma_f64 v[64:65], v[64:65], v[66:67], v[64:65]
	v_div_scale_f64 v[66:67], vcc_lo, 1.0, v[46:47], 1.0
	v_mul_f64 v[68:69], v[66:67], v[64:65]
	v_fma_f64 v[48:49], -v[48:49], v[68:69], v[66:67]
	v_div_fmas_f64 v[48:49], v[48:49], v[64:65], v[68:69]
	v_div_fixup_f64 v[48:49], v[48:49], v[46:47], 1.0
	v_mul_f64 v[46:47], v[62:63], v[48:49]
	v_xor_b32_e32 v49, 0x80000000, v49
.LBB20_28:
	s_andn2_saveexec_b32 s1, s1
	s_cbranch_execz .LBB20_30
; %bb.29:
	v_div_scale_f64 v[62:63], null, v[46:47], v[46:47], v[48:49]
	v_div_scale_f64 v[68:69], vcc_lo, v[48:49], v[46:47], v[48:49]
	v_rcp_f64_e32 v[64:65], v[62:63]
	v_fma_f64 v[66:67], -v[62:63], v[64:65], 1.0
	v_fma_f64 v[64:65], v[64:65], v[66:67], v[64:65]
	v_fma_f64 v[66:67], -v[62:63], v[64:65], 1.0
	v_fma_f64 v[64:65], v[64:65], v[66:67], v[64:65]
	v_mul_f64 v[66:67], v[68:69], v[64:65]
	v_fma_f64 v[62:63], -v[62:63], v[66:67], v[68:69]
	v_div_fmas_f64 v[62:63], v[62:63], v[64:65], v[66:67]
	v_div_fixup_f64 v[62:63], v[62:63], v[46:47], v[48:49]
	v_fma_f64 v[46:47], v[48:49], v[62:63], v[46:47]
	v_div_scale_f64 v[48:49], null, v[46:47], v[46:47], 1.0
	v_rcp_f64_e32 v[64:65], v[48:49]
	v_fma_f64 v[66:67], -v[48:49], v[64:65], 1.0
	v_fma_f64 v[64:65], v[64:65], v[66:67], v[64:65]
	v_fma_f64 v[66:67], -v[48:49], v[64:65], 1.0
	v_fma_f64 v[64:65], v[64:65], v[66:67], v[64:65]
	v_div_scale_f64 v[66:67], vcc_lo, 1.0, v[46:47], 1.0
	v_mul_f64 v[68:69], v[66:67], v[64:65]
	v_fma_f64 v[48:49], -v[48:49], v[68:69], v[66:67]
	v_div_fmas_f64 v[48:49], v[48:49], v[64:65], v[68:69]
	v_div_fixup_f64 v[46:47], v[48:49], v[46:47], 1.0
	v_mul_f64 v[48:49], v[62:63], -v[46:47]
.LBB20_30:
	s_or_b32 exec_lo, exec_lo, s1
	v_mov_b32_e32 v59, v61
.LBB20_31:
	s_or_b32 exec_lo, exec_lo, s0
	s_mov_b32 s0, exec_lo
	v_cmpx_ne_u32_e64 v60, v54
	s_xor_b32 s0, exec_lo, s0
	s_cbranch_execz .LBB20_37
; %bb.32:
	s_mov_b32 s1, exec_lo
	v_cmpx_eq_u32_e32 1, v60
	s_cbranch_execz .LBB20_36
; %bb.33:
	v_cmp_ne_u32_e32 vcc_lo, 1, v54
	s_xor_b32 s2, s16, -1
	s_and_b32 s7, s2, vcc_lo
	s_and_saveexec_b32 s2, s7
	s_cbranch_execz .LBB20_35
; %bb.34:
	v_ashrrev_i32_e32 v55, 31, v54
	v_lshlrev_b64 v[60:61], 2, v[54:55]
	v_add_co_u32 v60, vcc_lo, v52, v60
	v_add_co_ci_u32_e64 v61, null, v53, v61, vcc_lo
	s_clause 0x1
	global_load_dword v0, v[60:61], off
	global_load_dword v55, v[52:53], off offset:4
	s_waitcnt vmcnt(1)
	global_store_dword v[52:53], v0, off offset:4
	s_waitcnt vmcnt(0)
	global_store_dword v[60:61], v55, off
.LBB20_35:
	s_or_b32 exec_lo, exec_lo, s2
	v_mov_b32_e32 v60, v54
	v_mov_b32_e32 v0, v54
.LBB20_36:
	s_or_b32 exec_lo, exec_lo, s1
.LBB20_37:
	s_andn2_saveexec_b32 s0, s0
	s_cbranch_execz .LBB20_39
; %bb.38:
	v_mov_b32_e32 v60, 1
	ds_write2_b64 v1, v[34:35], v[36:37] offset0:4 offset1:5
	ds_write2_b64 v1, v[30:31], v[32:33] offset0:6 offset1:7
	;; [unrolled: 1-line block ×9, first 2 shown]
.LBB20_39:
	s_or_b32 exec_lo, exec_lo, s0
	s_mov_b32 s0, exec_lo
	s_waitcnt lgkmcnt(0)
	s_waitcnt_vscnt null, 0x0
	s_barrier
	buffer_gl0_inv
	v_cmpx_lt_i32_e32 1, v60
	s_cbranch_execz .LBB20_41
; %bb.40:
	v_mul_f64 v[54:55], v[46:47], v[40:41]
	v_mul_f64 v[40:41], v[48:49], v[40:41]
	v_fma_f64 v[54:55], v[48:49], v[38:39], v[54:55]
	v_fma_f64 v[38:39], v[46:47], v[38:39], -v[40:41]
	ds_read2_b64 v[46:49], v1 offset0:4 offset1:5
	s_waitcnt lgkmcnt(0)
	v_mul_f64 v[40:41], v[48:49], v[54:55]
	v_fma_f64 v[40:41], v[46:47], v[38:39], -v[40:41]
	v_mul_f64 v[46:47], v[46:47], v[54:55]
	v_add_f64 v[34:35], v[34:35], -v[40:41]
	v_fma_f64 v[46:47], v[48:49], v[38:39], v[46:47]
	v_add_f64 v[36:37], v[36:37], -v[46:47]
	ds_read2_b64 v[46:49], v1 offset0:6 offset1:7
	s_waitcnt lgkmcnt(0)
	v_mul_f64 v[40:41], v[48:49], v[54:55]
	v_fma_f64 v[40:41], v[46:47], v[38:39], -v[40:41]
	v_mul_f64 v[46:47], v[46:47], v[54:55]
	v_add_f64 v[30:31], v[30:31], -v[40:41]
	v_fma_f64 v[46:47], v[48:49], v[38:39], v[46:47]
	v_add_f64 v[32:33], v[32:33], -v[46:47]
	ds_read2_b64 v[46:49], v1 offset0:8 offset1:9
	s_waitcnt lgkmcnt(0)
	v_mul_f64 v[40:41], v[48:49], v[54:55]
	v_fma_f64 v[40:41], v[46:47], v[38:39], -v[40:41]
	v_mul_f64 v[46:47], v[46:47], v[54:55]
	v_add_f64 v[26:27], v[26:27], -v[40:41]
	v_fma_f64 v[46:47], v[48:49], v[38:39], v[46:47]
	v_add_f64 v[28:29], v[28:29], -v[46:47]
	ds_read2_b64 v[46:49], v1 offset0:10 offset1:11
	s_waitcnt lgkmcnt(0)
	v_mul_f64 v[40:41], v[48:49], v[54:55]
	v_fma_f64 v[40:41], v[46:47], v[38:39], -v[40:41]
	v_mul_f64 v[46:47], v[46:47], v[54:55]
	v_add_f64 v[22:23], v[22:23], -v[40:41]
	v_fma_f64 v[46:47], v[48:49], v[38:39], v[46:47]
	v_add_f64 v[24:25], v[24:25], -v[46:47]
	ds_read2_b64 v[46:49], v1 offset0:12 offset1:13
	s_waitcnt lgkmcnt(0)
	v_mul_f64 v[40:41], v[48:49], v[54:55]
	v_fma_f64 v[40:41], v[46:47], v[38:39], -v[40:41]
	v_mul_f64 v[46:47], v[46:47], v[54:55]
	v_add_f64 v[18:19], v[18:19], -v[40:41]
	v_fma_f64 v[46:47], v[48:49], v[38:39], v[46:47]
	v_add_f64 v[20:21], v[20:21], -v[46:47]
	ds_read2_b64 v[46:49], v1 offset0:14 offset1:15
	s_waitcnt lgkmcnt(0)
	v_mul_f64 v[40:41], v[48:49], v[54:55]
	v_fma_f64 v[40:41], v[46:47], v[38:39], -v[40:41]
	v_mul_f64 v[46:47], v[46:47], v[54:55]
	v_add_f64 v[14:15], v[14:15], -v[40:41]
	v_fma_f64 v[46:47], v[48:49], v[38:39], v[46:47]
	v_add_f64 v[16:17], v[16:17], -v[46:47]
	ds_read2_b64 v[46:49], v1 offset0:16 offset1:17
	s_waitcnt lgkmcnt(0)
	v_mul_f64 v[40:41], v[48:49], v[54:55]
	v_fma_f64 v[40:41], v[46:47], v[38:39], -v[40:41]
	v_mul_f64 v[46:47], v[46:47], v[54:55]
	v_add_f64 v[10:11], v[10:11], -v[40:41]
	v_fma_f64 v[46:47], v[48:49], v[38:39], v[46:47]
	v_add_f64 v[12:13], v[12:13], -v[46:47]
	ds_read2_b64 v[46:49], v1 offset0:18 offset1:19
	s_waitcnt lgkmcnt(0)
	v_mul_f64 v[40:41], v[48:49], v[54:55]
	v_fma_f64 v[40:41], v[46:47], v[38:39], -v[40:41]
	v_mul_f64 v[46:47], v[46:47], v[54:55]
	v_add_f64 v[6:7], v[6:7], -v[40:41]
	v_fma_f64 v[46:47], v[48:49], v[38:39], v[46:47]
	v_add_f64 v[8:9], v[8:9], -v[46:47]
	ds_read2_b64 v[46:49], v1 offset0:20 offset1:21
	s_waitcnt lgkmcnt(0)
	v_mul_f64 v[40:41], v[48:49], v[54:55]
	v_fma_f64 v[40:41], v[46:47], v[38:39], -v[40:41]
	v_mul_f64 v[46:47], v[46:47], v[54:55]
	v_add_f64 v[2:3], v[2:3], -v[40:41]
	v_fma_f64 v[46:47], v[48:49], v[38:39], v[46:47]
	v_mov_b32_e32 v40, v54
	v_mov_b32_e32 v41, v55
	v_add_f64 v[4:5], v[4:5], -v[46:47]
.LBB20_41:
	s_or_b32 exec_lo, exec_lo, s0
	v_lshl_add_u32 v46, v60, 4, v1
	s_barrier
	buffer_gl0_inv
	v_mov_b32_e32 v54, 2
	ds_write2_b64 v46, v[34:35], v[36:37] offset1:1
	s_waitcnt lgkmcnt(0)
	s_barrier
	buffer_gl0_inv
	ds_read2_b64 v[46:49], v1 offset0:4 offset1:5
	s_cmp_lt_i32 s3, 4
	s_cbranch_scc1 .LBB20_44
; %bb.42:
	v_add3_u32 v55, v56, 0, 48
	v_mov_b32_e32 v54, 2
	s_mov_b32 s1, 3
	s_inst_prefetch 0x1
	.p2align	6
.LBB20_43:                              ; =>This Inner Loop Header: Depth=1
	s_waitcnt lgkmcnt(0)
	v_cmp_gt_f64_e32 vcc_lo, 0, v[48:49]
	v_cmp_gt_f64_e64 s0, 0, v[46:47]
	ds_read2_b64 v[61:64], v55 offset1:1
	v_xor_b32_e32 v66, 0x80000000, v47
	v_xor_b32_e32 v68, 0x80000000, v49
	v_mov_b32_e32 v65, v46
	v_mov_b32_e32 v67, v48
	v_add_nc_u32_e32 v55, 16, v55
	s_waitcnt lgkmcnt(0)
	v_xor_b32_e32 v70, 0x80000000, v64
	v_cndmask_b32_e64 v66, v47, v66, s0
	v_cndmask_b32_e32 v68, v49, v68, vcc_lo
	v_cmp_gt_f64_e32 vcc_lo, 0, v[63:64]
	v_cmp_gt_f64_e64 s0, 0, v[61:62]
	v_mov_b32_e32 v69, v63
	v_add_f64 v[65:66], v[65:66], v[67:68]
	v_xor_b32_e32 v68, 0x80000000, v62
	v_mov_b32_e32 v67, v61
	v_cndmask_b32_e32 v70, v64, v70, vcc_lo
	v_cndmask_b32_e64 v68, v62, v68, s0
	v_add_f64 v[67:68], v[67:68], v[69:70]
	v_cmp_lt_f64_e32 vcc_lo, v[65:66], v[67:68]
	v_cndmask_b32_e32 v47, v47, v62, vcc_lo
	v_cndmask_b32_e32 v46, v46, v61, vcc_lo
	;; [unrolled: 1-line block ×4, first 2 shown]
	v_cndmask_b32_e64 v54, v54, s1, vcc_lo
	s_add_i32 s1, s1, 1
	s_cmp_lg_u32 s3, s1
	s_cbranch_scc1 .LBB20_43
.LBB20_44:
	s_inst_prefetch 0x2
	s_waitcnt lgkmcnt(0)
	v_cmp_eq_f64_e32 vcc_lo, 0, v[46:47]
	v_cmp_eq_f64_e64 s0, 0, v[48:49]
	s_and_b32 s0, vcc_lo, s0
	s_and_saveexec_b32 s1, s0
	s_xor_b32 s0, exec_lo, s1
; %bb.45:
	v_cmp_ne_u32_e32 vcc_lo, 0, v59
	v_cndmask_b32_e32 v59, 3, v59, vcc_lo
; %bb.46:
	s_andn2_saveexec_b32 s0, s0
	s_cbranch_execz .LBB20_52
; %bb.47:
	v_cmp_ngt_f64_e64 s1, |v[46:47]|, |v[48:49]|
	s_and_saveexec_b32 s2, s1
	s_xor_b32 s1, exec_lo, s2
	s_cbranch_execz .LBB20_49
; %bb.48:
	v_div_scale_f64 v[61:62], null, v[48:49], v[48:49], v[46:47]
	v_div_scale_f64 v[67:68], vcc_lo, v[46:47], v[48:49], v[46:47]
	v_rcp_f64_e32 v[63:64], v[61:62]
	v_fma_f64 v[65:66], -v[61:62], v[63:64], 1.0
	v_fma_f64 v[63:64], v[63:64], v[65:66], v[63:64]
	v_fma_f64 v[65:66], -v[61:62], v[63:64], 1.0
	v_fma_f64 v[63:64], v[63:64], v[65:66], v[63:64]
	v_mul_f64 v[65:66], v[67:68], v[63:64]
	v_fma_f64 v[61:62], -v[61:62], v[65:66], v[67:68]
	v_div_fmas_f64 v[61:62], v[61:62], v[63:64], v[65:66]
	v_div_fixup_f64 v[61:62], v[61:62], v[48:49], v[46:47]
	v_fma_f64 v[46:47], v[46:47], v[61:62], v[48:49]
	v_div_scale_f64 v[48:49], null, v[46:47], v[46:47], 1.0
	v_rcp_f64_e32 v[63:64], v[48:49]
	v_fma_f64 v[65:66], -v[48:49], v[63:64], 1.0
	v_fma_f64 v[63:64], v[63:64], v[65:66], v[63:64]
	v_fma_f64 v[65:66], -v[48:49], v[63:64], 1.0
	v_fma_f64 v[63:64], v[63:64], v[65:66], v[63:64]
	v_div_scale_f64 v[65:66], vcc_lo, 1.0, v[46:47], 1.0
	v_mul_f64 v[67:68], v[65:66], v[63:64]
	v_fma_f64 v[48:49], -v[48:49], v[67:68], v[65:66]
	v_div_fmas_f64 v[48:49], v[48:49], v[63:64], v[67:68]
	v_div_fixup_f64 v[48:49], v[48:49], v[46:47], 1.0
	v_mul_f64 v[46:47], v[61:62], v[48:49]
	v_xor_b32_e32 v49, 0x80000000, v49
.LBB20_49:
	s_andn2_saveexec_b32 s1, s1
	s_cbranch_execz .LBB20_51
; %bb.50:
	v_div_scale_f64 v[61:62], null, v[46:47], v[46:47], v[48:49]
	v_div_scale_f64 v[67:68], vcc_lo, v[48:49], v[46:47], v[48:49]
	v_rcp_f64_e32 v[63:64], v[61:62]
	v_fma_f64 v[65:66], -v[61:62], v[63:64], 1.0
	v_fma_f64 v[63:64], v[63:64], v[65:66], v[63:64]
	v_fma_f64 v[65:66], -v[61:62], v[63:64], 1.0
	v_fma_f64 v[63:64], v[63:64], v[65:66], v[63:64]
	v_mul_f64 v[65:66], v[67:68], v[63:64]
	v_fma_f64 v[61:62], -v[61:62], v[65:66], v[67:68]
	v_div_fmas_f64 v[61:62], v[61:62], v[63:64], v[65:66]
	v_div_fixup_f64 v[61:62], v[61:62], v[46:47], v[48:49]
	v_fma_f64 v[46:47], v[48:49], v[61:62], v[46:47]
	v_div_scale_f64 v[48:49], null, v[46:47], v[46:47], 1.0
	v_rcp_f64_e32 v[63:64], v[48:49]
	v_fma_f64 v[65:66], -v[48:49], v[63:64], 1.0
	v_fma_f64 v[63:64], v[63:64], v[65:66], v[63:64]
	v_fma_f64 v[65:66], -v[48:49], v[63:64], 1.0
	v_fma_f64 v[63:64], v[63:64], v[65:66], v[63:64]
	v_div_scale_f64 v[65:66], vcc_lo, 1.0, v[46:47], 1.0
	v_mul_f64 v[67:68], v[65:66], v[63:64]
	v_fma_f64 v[48:49], -v[48:49], v[67:68], v[65:66]
	v_div_fmas_f64 v[48:49], v[48:49], v[63:64], v[67:68]
	v_div_fixup_f64 v[46:47], v[48:49], v[46:47], 1.0
	v_mul_f64 v[48:49], v[61:62], -v[46:47]
.LBB20_51:
	s_or_b32 exec_lo, exec_lo, s1
.LBB20_52:
	s_or_b32 exec_lo, exec_lo, s0
	s_mov_b32 s0, exec_lo
	v_cmpx_ne_u32_e64 v60, v54
	s_xor_b32 s0, exec_lo, s0
	s_cbranch_execz .LBB20_58
; %bb.53:
	s_mov_b32 s1, exec_lo
	v_cmpx_eq_u32_e32 2, v60
	s_cbranch_execz .LBB20_57
; %bb.54:
	v_cmp_ne_u32_e32 vcc_lo, 2, v54
	s_xor_b32 s2, s16, -1
	s_and_b32 s7, s2, vcc_lo
	s_and_saveexec_b32 s2, s7
	s_cbranch_execz .LBB20_56
; %bb.55:
	v_ashrrev_i32_e32 v55, 31, v54
	v_lshlrev_b64 v[60:61], 2, v[54:55]
	v_add_co_u32 v60, vcc_lo, v52, v60
	v_add_co_ci_u32_e64 v61, null, v53, v61, vcc_lo
	s_clause 0x1
	global_load_dword v0, v[60:61], off
	global_load_dword v55, v[52:53], off offset:8
	s_waitcnt vmcnt(1)
	global_store_dword v[52:53], v0, off offset:8
	s_waitcnt vmcnt(0)
	global_store_dword v[60:61], v55, off
.LBB20_56:
	s_or_b32 exec_lo, exec_lo, s2
	v_mov_b32_e32 v60, v54
	v_mov_b32_e32 v0, v54
.LBB20_57:
	s_or_b32 exec_lo, exec_lo, s1
.LBB20_58:
	s_andn2_saveexec_b32 s0, s0
	s_cbranch_execz .LBB20_60
; %bb.59:
	v_mov_b32_e32 v60, 2
	ds_write2_b64 v1, v[30:31], v[32:33] offset0:6 offset1:7
	ds_write2_b64 v1, v[26:27], v[28:29] offset0:8 offset1:9
	;; [unrolled: 1-line block ×8, first 2 shown]
.LBB20_60:
	s_or_b32 exec_lo, exec_lo, s0
	s_mov_b32 s0, exec_lo
	s_waitcnt lgkmcnt(0)
	s_waitcnt_vscnt null, 0x0
	s_barrier
	buffer_gl0_inv
	v_cmpx_lt_i32_e32 2, v60
	s_cbranch_execz .LBB20_62
; %bb.61:
	v_mul_f64 v[54:55], v[46:47], v[36:37]
	v_mul_f64 v[36:37], v[48:49], v[36:37]
	v_fma_f64 v[54:55], v[48:49], v[34:35], v[54:55]
	v_fma_f64 v[34:35], v[46:47], v[34:35], -v[36:37]
	ds_read2_b64 v[46:49], v1 offset0:6 offset1:7
	s_waitcnt lgkmcnt(0)
	v_mul_f64 v[36:37], v[48:49], v[54:55]
	v_fma_f64 v[36:37], v[46:47], v[34:35], -v[36:37]
	v_mul_f64 v[46:47], v[46:47], v[54:55]
	v_add_f64 v[30:31], v[30:31], -v[36:37]
	v_fma_f64 v[46:47], v[48:49], v[34:35], v[46:47]
	v_add_f64 v[32:33], v[32:33], -v[46:47]
	ds_read2_b64 v[46:49], v1 offset0:8 offset1:9
	s_waitcnt lgkmcnt(0)
	v_mul_f64 v[36:37], v[48:49], v[54:55]
	v_fma_f64 v[36:37], v[46:47], v[34:35], -v[36:37]
	v_mul_f64 v[46:47], v[46:47], v[54:55]
	v_add_f64 v[26:27], v[26:27], -v[36:37]
	v_fma_f64 v[46:47], v[48:49], v[34:35], v[46:47]
	v_add_f64 v[28:29], v[28:29], -v[46:47]
	;; [unrolled: 8-line block ×7, first 2 shown]
	ds_read2_b64 v[46:49], v1 offset0:20 offset1:21
	s_waitcnt lgkmcnt(0)
	v_mul_f64 v[36:37], v[48:49], v[54:55]
	v_fma_f64 v[36:37], v[46:47], v[34:35], -v[36:37]
	v_mul_f64 v[46:47], v[46:47], v[54:55]
	v_add_f64 v[2:3], v[2:3], -v[36:37]
	v_fma_f64 v[46:47], v[48:49], v[34:35], v[46:47]
	v_mov_b32_e32 v36, v54
	v_mov_b32_e32 v37, v55
	v_add_f64 v[4:5], v[4:5], -v[46:47]
.LBB20_62:
	s_or_b32 exec_lo, exec_lo, s0
	v_lshl_add_u32 v46, v60, 4, v1
	s_barrier
	buffer_gl0_inv
	v_mov_b32_e32 v54, 3
	ds_write2_b64 v46, v[30:31], v[32:33] offset1:1
	s_waitcnt lgkmcnt(0)
	s_barrier
	buffer_gl0_inv
	ds_read2_b64 v[46:49], v1 offset0:6 offset1:7
	s_cmp_lt_i32 s3, 5
	s_mov_b32 s1, 4
	s_cbranch_scc1 .LBB20_65
; %bb.63:
	v_add3_u32 v55, v56, 0, 64
	v_mov_b32_e32 v54, 3
	s_inst_prefetch 0x1
	.p2align	6
.LBB20_64:                              ; =>This Inner Loop Header: Depth=1
	s_waitcnt lgkmcnt(0)
	v_cmp_gt_f64_e32 vcc_lo, 0, v[48:49]
	v_cmp_gt_f64_e64 s0, 0, v[46:47]
	ds_read2_b64 v[61:64], v55 offset1:1
	v_xor_b32_e32 v66, 0x80000000, v47
	v_xor_b32_e32 v68, 0x80000000, v49
	v_mov_b32_e32 v65, v46
	v_mov_b32_e32 v67, v48
	v_add_nc_u32_e32 v55, 16, v55
	s_waitcnt lgkmcnt(0)
	v_xor_b32_e32 v70, 0x80000000, v64
	v_cndmask_b32_e64 v66, v47, v66, s0
	v_cndmask_b32_e32 v68, v49, v68, vcc_lo
	v_cmp_gt_f64_e32 vcc_lo, 0, v[63:64]
	v_cmp_gt_f64_e64 s0, 0, v[61:62]
	v_mov_b32_e32 v69, v63
	v_add_f64 v[65:66], v[65:66], v[67:68]
	v_xor_b32_e32 v68, 0x80000000, v62
	v_mov_b32_e32 v67, v61
	v_cndmask_b32_e32 v70, v64, v70, vcc_lo
	v_cndmask_b32_e64 v68, v62, v68, s0
	v_add_f64 v[67:68], v[67:68], v[69:70]
	v_cmp_lt_f64_e32 vcc_lo, v[65:66], v[67:68]
	v_cndmask_b32_e32 v47, v47, v62, vcc_lo
	v_cndmask_b32_e32 v46, v46, v61, vcc_lo
	v_cndmask_b32_e32 v49, v49, v64, vcc_lo
	v_cndmask_b32_e32 v48, v48, v63, vcc_lo
	v_cndmask_b32_e64 v54, v54, s1, vcc_lo
	s_add_i32 s1, s1, 1
	s_cmp_lg_u32 s3, s1
	s_cbranch_scc1 .LBB20_64
.LBB20_65:
	s_inst_prefetch 0x2
	s_waitcnt lgkmcnt(0)
	v_cmp_eq_f64_e32 vcc_lo, 0, v[46:47]
	v_cmp_eq_f64_e64 s0, 0, v[48:49]
	s_and_b32 s0, vcc_lo, s0
	s_and_saveexec_b32 s1, s0
	s_xor_b32 s0, exec_lo, s1
; %bb.66:
	v_cmp_ne_u32_e32 vcc_lo, 0, v59
	v_cndmask_b32_e32 v59, 4, v59, vcc_lo
; %bb.67:
	s_andn2_saveexec_b32 s0, s0
	s_cbranch_execz .LBB20_73
; %bb.68:
	v_cmp_ngt_f64_e64 s1, |v[46:47]|, |v[48:49]|
	s_and_saveexec_b32 s2, s1
	s_xor_b32 s1, exec_lo, s2
	s_cbranch_execz .LBB20_70
; %bb.69:
	v_div_scale_f64 v[61:62], null, v[48:49], v[48:49], v[46:47]
	v_div_scale_f64 v[67:68], vcc_lo, v[46:47], v[48:49], v[46:47]
	v_rcp_f64_e32 v[63:64], v[61:62]
	v_fma_f64 v[65:66], -v[61:62], v[63:64], 1.0
	v_fma_f64 v[63:64], v[63:64], v[65:66], v[63:64]
	v_fma_f64 v[65:66], -v[61:62], v[63:64], 1.0
	v_fma_f64 v[63:64], v[63:64], v[65:66], v[63:64]
	v_mul_f64 v[65:66], v[67:68], v[63:64]
	v_fma_f64 v[61:62], -v[61:62], v[65:66], v[67:68]
	v_div_fmas_f64 v[61:62], v[61:62], v[63:64], v[65:66]
	v_div_fixup_f64 v[61:62], v[61:62], v[48:49], v[46:47]
	v_fma_f64 v[46:47], v[46:47], v[61:62], v[48:49]
	v_div_scale_f64 v[48:49], null, v[46:47], v[46:47], 1.0
	v_rcp_f64_e32 v[63:64], v[48:49]
	v_fma_f64 v[65:66], -v[48:49], v[63:64], 1.0
	v_fma_f64 v[63:64], v[63:64], v[65:66], v[63:64]
	v_fma_f64 v[65:66], -v[48:49], v[63:64], 1.0
	v_fma_f64 v[63:64], v[63:64], v[65:66], v[63:64]
	v_div_scale_f64 v[65:66], vcc_lo, 1.0, v[46:47], 1.0
	v_mul_f64 v[67:68], v[65:66], v[63:64]
	v_fma_f64 v[48:49], -v[48:49], v[67:68], v[65:66]
	v_div_fmas_f64 v[48:49], v[48:49], v[63:64], v[67:68]
	v_div_fixup_f64 v[48:49], v[48:49], v[46:47], 1.0
	v_mul_f64 v[46:47], v[61:62], v[48:49]
	v_xor_b32_e32 v49, 0x80000000, v49
.LBB20_70:
	s_andn2_saveexec_b32 s1, s1
	s_cbranch_execz .LBB20_72
; %bb.71:
	v_div_scale_f64 v[61:62], null, v[46:47], v[46:47], v[48:49]
	v_div_scale_f64 v[67:68], vcc_lo, v[48:49], v[46:47], v[48:49]
	v_rcp_f64_e32 v[63:64], v[61:62]
	v_fma_f64 v[65:66], -v[61:62], v[63:64], 1.0
	v_fma_f64 v[63:64], v[63:64], v[65:66], v[63:64]
	v_fma_f64 v[65:66], -v[61:62], v[63:64], 1.0
	v_fma_f64 v[63:64], v[63:64], v[65:66], v[63:64]
	v_mul_f64 v[65:66], v[67:68], v[63:64]
	v_fma_f64 v[61:62], -v[61:62], v[65:66], v[67:68]
	v_div_fmas_f64 v[61:62], v[61:62], v[63:64], v[65:66]
	v_div_fixup_f64 v[61:62], v[61:62], v[46:47], v[48:49]
	v_fma_f64 v[46:47], v[48:49], v[61:62], v[46:47]
	v_div_scale_f64 v[48:49], null, v[46:47], v[46:47], 1.0
	v_rcp_f64_e32 v[63:64], v[48:49]
	v_fma_f64 v[65:66], -v[48:49], v[63:64], 1.0
	v_fma_f64 v[63:64], v[63:64], v[65:66], v[63:64]
	v_fma_f64 v[65:66], -v[48:49], v[63:64], 1.0
	v_fma_f64 v[63:64], v[63:64], v[65:66], v[63:64]
	v_div_scale_f64 v[65:66], vcc_lo, 1.0, v[46:47], 1.0
	v_mul_f64 v[67:68], v[65:66], v[63:64]
	v_fma_f64 v[48:49], -v[48:49], v[67:68], v[65:66]
	v_div_fmas_f64 v[48:49], v[48:49], v[63:64], v[67:68]
	v_div_fixup_f64 v[46:47], v[48:49], v[46:47], 1.0
	v_mul_f64 v[48:49], v[61:62], -v[46:47]
.LBB20_72:
	s_or_b32 exec_lo, exec_lo, s1
.LBB20_73:
	s_or_b32 exec_lo, exec_lo, s0
	s_mov_b32 s0, exec_lo
	v_cmpx_ne_u32_e64 v60, v54
	s_xor_b32 s0, exec_lo, s0
	s_cbranch_execz .LBB20_79
; %bb.74:
	s_mov_b32 s1, exec_lo
	v_cmpx_eq_u32_e32 3, v60
	s_cbranch_execz .LBB20_78
; %bb.75:
	v_cmp_ne_u32_e32 vcc_lo, 3, v54
	s_xor_b32 s2, s16, -1
	s_and_b32 s7, s2, vcc_lo
	s_and_saveexec_b32 s2, s7
	s_cbranch_execz .LBB20_77
; %bb.76:
	v_ashrrev_i32_e32 v55, 31, v54
	v_lshlrev_b64 v[60:61], 2, v[54:55]
	v_add_co_u32 v60, vcc_lo, v52, v60
	v_add_co_ci_u32_e64 v61, null, v53, v61, vcc_lo
	s_clause 0x1
	global_load_dword v0, v[60:61], off
	global_load_dword v55, v[52:53], off offset:12
	s_waitcnt vmcnt(1)
	global_store_dword v[52:53], v0, off offset:12
	s_waitcnt vmcnt(0)
	global_store_dword v[60:61], v55, off
.LBB20_77:
	s_or_b32 exec_lo, exec_lo, s2
	v_mov_b32_e32 v60, v54
	v_mov_b32_e32 v0, v54
.LBB20_78:
	s_or_b32 exec_lo, exec_lo, s1
.LBB20_79:
	s_andn2_saveexec_b32 s0, s0
	s_cbranch_execz .LBB20_81
; %bb.80:
	v_mov_b32_e32 v60, 3
	ds_write2_b64 v1, v[26:27], v[28:29] offset0:8 offset1:9
	ds_write2_b64 v1, v[22:23], v[24:25] offset0:10 offset1:11
	;; [unrolled: 1-line block ×7, first 2 shown]
.LBB20_81:
	s_or_b32 exec_lo, exec_lo, s0
	s_mov_b32 s0, exec_lo
	s_waitcnt lgkmcnt(0)
	s_waitcnt_vscnt null, 0x0
	s_barrier
	buffer_gl0_inv
	v_cmpx_lt_i32_e32 3, v60
	s_cbranch_execz .LBB20_83
; %bb.82:
	v_mul_f64 v[54:55], v[46:47], v[32:33]
	v_mul_f64 v[32:33], v[48:49], v[32:33]
	v_fma_f64 v[54:55], v[48:49], v[30:31], v[54:55]
	v_fma_f64 v[30:31], v[46:47], v[30:31], -v[32:33]
	ds_read2_b64 v[46:49], v1 offset0:8 offset1:9
	s_waitcnt lgkmcnt(0)
	v_mul_f64 v[32:33], v[48:49], v[54:55]
	v_fma_f64 v[32:33], v[46:47], v[30:31], -v[32:33]
	v_mul_f64 v[46:47], v[46:47], v[54:55]
	v_add_f64 v[26:27], v[26:27], -v[32:33]
	v_fma_f64 v[46:47], v[48:49], v[30:31], v[46:47]
	v_add_f64 v[28:29], v[28:29], -v[46:47]
	ds_read2_b64 v[46:49], v1 offset0:10 offset1:11
	s_waitcnt lgkmcnt(0)
	v_mul_f64 v[32:33], v[48:49], v[54:55]
	v_fma_f64 v[32:33], v[46:47], v[30:31], -v[32:33]
	v_mul_f64 v[46:47], v[46:47], v[54:55]
	v_add_f64 v[22:23], v[22:23], -v[32:33]
	v_fma_f64 v[46:47], v[48:49], v[30:31], v[46:47]
	v_add_f64 v[24:25], v[24:25], -v[46:47]
	;; [unrolled: 8-line block ×6, first 2 shown]
	ds_read2_b64 v[46:49], v1 offset0:20 offset1:21
	s_waitcnt lgkmcnt(0)
	v_mul_f64 v[32:33], v[48:49], v[54:55]
	v_fma_f64 v[32:33], v[46:47], v[30:31], -v[32:33]
	v_mul_f64 v[46:47], v[46:47], v[54:55]
	v_add_f64 v[2:3], v[2:3], -v[32:33]
	v_fma_f64 v[46:47], v[48:49], v[30:31], v[46:47]
	v_mov_b32_e32 v32, v54
	v_mov_b32_e32 v33, v55
	v_add_f64 v[4:5], v[4:5], -v[46:47]
.LBB20_83:
	s_or_b32 exec_lo, exec_lo, s0
	v_lshl_add_u32 v46, v60, 4, v1
	s_barrier
	buffer_gl0_inv
	v_mov_b32_e32 v54, 4
	ds_write2_b64 v46, v[26:27], v[28:29] offset1:1
	s_waitcnt lgkmcnt(0)
	s_barrier
	buffer_gl0_inv
	ds_read2_b64 v[46:49], v1 offset0:8 offset1:9
	s_cmp_lt_i32 s3, 6
	s_cbranch_scc1 .LBB20_86
; %bb.84:
	v_mov_b32_e32 v54, 4
	v_add3_u32 v55, v56, 0, 0x50
	s_mov_b32 s1, 5
	s_inst_prefetch 0x1
	.p2align	6
.LBB20_85:                              ; =>This Inner Loop Header: Depth=1
	s_waitcnt lgkmcnt(0)
	v_cmp_gt_f64_e32 vcc_lo, 0, v[48:49]
	v_cmp_gt_f64_e64 s0, 0, v[46:47]
	ds_read2_b64 v[61:64], v55 offset1:1
	v_xor_b32_e32 v66, 0x80000000, v47
	v_xor_b32_e32 v68, 0x80000000, v49
	v_mov_b32_e32 v65, v46
	v_mov_b32_e32 v67, v48
	v_add_nc_u32_e32 v55, 16, v55
	s_waitcnt lgkmcnt(0)
	v_xor_b32_e32 v70, 0x80000000, v64
	v_cndmask_b32_e64 v66, v47, v66, s0
	v_cndmask_b32_e32 v68, v49, v68, vcc_lo
	v_cmp_gt_f64_e32 vcc_lo, 0, v[63:64]
	v_cmp_gt_f64_e64 s0, 0, v[61:62]
	v_mov_b32_e32 v69, v63
	v_add_f64 v[65:66], v[65:66], v[67:68]
	v_xor_b32_e32 v68, 0x80000000, v62
	v_mov_b32_e32 v67, v61
	v_cndmask_b32_e32 v70, v64, v70, vcc_lo
	v_cndmask_b32_e64 v68, v62, v68, s0
	v_add_f64 v[67:68], v[67:68], v[69:70]
	v_cmp_lt_f64_e32 vcc_lo, v[65:66], v[67:68]
	v_cndmask_b32_e32 v47, v47, v62, vcc_lo
	v_cndmask_b32_e32 v46, v46, v61, vcc_lo
	;; [unrolled: 1-line block ×4, first 2 shown]
	v_cndmask_b32_e64 v54, v54, s1, vcc_lo
	s_add_i32 s1, s1, 1
	s_cmp_lg_u32 s3, s1
	s_cbranch_scc1 .LBB20_85
.LBB20_86:
	s_inst_prefetch 0x2
	s_waitcnt lgkmcnt(0)
	v_cmp_eq_f64_e32 vcc_lo, 0, v[46:47]
	v_cmp_eq_f64_e64 s0, 0, v[48:49]
	s_and_b32 s0, vcc_lo, s0
	s_and_saveexec_b32 s1, s0
	s_xor_b32 s0, exec_lo, s1
; %bb.87:
	v_cmp_ne_u32_e32 vcc_lo, 0, v59
	v_cndmask_b32_e32 v59, 5, v59, vcc_lo
; %bb.88:
	s_andn2_saveexec_b32 s0, s0
	s_cbranch_execz .LBB20_94
; %bb.89:
	v_cmp_ngt_f64_e64 s1, |v[46:47]|, |v[48:49]|
	s_and_saveexec_b32 s2, s1
	s_xor_b32 s1, exec_lo, s2
	s_cbranch_execz .LBB20_91
; %bb.90:
	v_div_scale_f64 v[61:62], null, v[48:49], v[48:49], v[46:47]
	v_div_scale_f64 v[67:68], vcc_lo, v[46:47], v[48:49], v[46:47]
	v_rcp_f64_e32 v[63:64], v[61:62]
	v_fma_f64 v[65:66], -v[61:62], v[63:64], 1.0
	v_fma_f64 v[63:64], v[63:64], v[65:66], v[63:64]
	v_fma_f64 v[65:66], -v[61:62], v[63:64], 1.0
	v_fma_f64 v[63:64], v[63:64], v[65:66], v[63:64]
	v_mul_f64 v[65:66], v[67:68], v[63:64]
	v_fma_f64 v[61:62], -v[61:62], v[65:66], v[67:68]
	v_div_fmas_f64 v[61:62], v[61:62], v[63:64], v[65:66]
	v_div_fixup_f64 v[61:62], v[61:62], v[48:49], v[46:47]
	v_fma_f64 v[46:47], v[46:47], v[61:62], v[48:49]
	v_div_scale_f64 v[48:49], null, v[46:47], v[46:47], 1.0
	v_rcp_f64_e32 v[63:64], v[48:49]
	v_fma_f64 v[65:66], -v[48:49], v[63:64], 1.0
	v_fma_f64 v[63:64], v[63:64], v[65:66], v[63:64]
	v_fma_f64 v[65:66], -v[48:49], v[63:64], 1.0
	v_fma_f64 v[63:64], v[63:64], v[65:66], v[63:64]
	v_div_scale_f64 v[65:66], vcc_lo, 1.0, v[46:47], 1.0
	v_mul_f64 v[67:68], v[65:66], v[63:64]
	v_fma_f64 v[48:49], -v[48:49], v[67:68], v[65:66]
	v_div_fmas_f64 v[48:49], v[48:49], v[63:64], v[67:68]
	v_div_fixup_f64 v[48:49], v[48:49], v[46:47], 1.0
	v_mul_f64 v[46:47], v[61:62], v[48:49]
	v_xor_b32_e32 v49, 0x80000000, v49
.LBB20_91:
	s_andn2_saveexec_b32 s1, s1
	s_cbranch_execz .LBB20_93
; %bb.92:
	v_div_scale_f64 v[61:62], null, v[46:47], v[46:47], v[48:49]
	v_div_scale_f64 v[67:68], vcc_lo, v[48:49], v[46:47], v[48:49]
	v_rcp_f64_e32 v[63:64], v[61:62]
	v_fma_f64 v[65:66], -v[61:62], v[63:64], 1.0
	v_fma_f64 v[63:64], v[63:64], v[65:66], v[63:64]
	v_fma_f64 v[65:66], -v[61:62], v[63:64], 1.0
	v_fma_f64 v[63:64], v[63:64], v[65:66], v[63:64]
	v_mul_f64 v[65:66], v[67:68], v[63:64]
	v_fma_f64 v[61:62], -v[61:62], v[65:66], v[67:68]
	v_div_fmas_f64 v[61:62], v[61:62], v[63:64], v[65:66]
	v_div_fixup_f64 v[61:62], v[61:62], v[46:47], v[48:49]
	v_fma_f64 v[46:47], v[48:49], v[61:62], v[46:47]
	v_div_scale_f64 v[48:49], null, v[46:47], v[46:47], 1.0
	v_rcp_f64_e32 v[63:64], v[48:49]
	v_fma_f64 v[65:66], -v[48:49], v[63:64], 1.0
	v_fma_f64 v[63:64], v[63:64], v[65:66], v[63:64]
	v_fma_f64 v[65:66], -v[48:49], v[63:64], 1.0
	v_fma_f64 v[63:64], v[63:64], v[65:66], v[63:64]
	v_div_scale_f64 v[65:66], vcc_lo, 1.0, v[46:47], 1.0
	v_mul_f64 v[67:68], v[65:66], v[63:64]
	v_fma_f64 v[48:49], -v[48:49], v[67:68], v[65:66]
	v_div_fmas_f64 v[48:49], v[48:49], v[63:64], v[67:68]
	v_div_fixup_f64 v[46:47], v[48:49], v[46:47], 1.0
	v_mul_f64 v[48:49], v[61:62], -v[46:47]
.LBB20_93:
	s_or_b32 exec_lo, exec_lo, s1
.LBB20_94:
	s_or_b32 exec_lo, exec_lo, s0
	s_mov_b32 s0, exec_lo
	v_cmpx_ne_u32_e64 v60, v54
	s_xor_b32 s0, exec_lo, s0
	s_cbranch_execz .LBB20_100
; %bb.95:
	s_mov_b32 s1, exec_lo
	v_cmpx_eq_u32_e32 4, v60
	s_cbranch_execz .LBB20_99
; %bb.96:
	v_cmp_ne_u32_e32 vcc_lo, 4, v54
	s_xor_b32 s2, s16, -1
	s_and_b32 s7, s2, vcc_lo
	s_and_saveexec_b32 s2, s7
	s_cbranch_execz .LBB20_98
; %bb.97:
	v_ashrrev_i32_e32 v55, 31, v54
	v_lshlrev_b64 v[60:61], 2, v[54:55]
	v_add_co_u32 v60, vcc_lo, v52, v60
	v_add_co_ci_u32_e64 v61, null, v53, v61, vcc_lo
	s_clause 0x1
	global_load_dword v0, v[60:61], off
	global_load_dword v55, v[52:53], off offset:16
	s_waitcnt vmcnt(1)
	global_store_dword v[52:53], v0, off offset:16
	s_waitcnt vmcnt(0)
	global_store_dword v[60:61], v55, off
.LBB20_98:
	s_or_b32 exec_lo, exec_lo, s2
	v_mov_b32_e32 v60, v54
	v_mov_b32_e32 v0, v54
.LBB20_99:
	s_or_b32 exec_lo, exec_lo, s1
.LBB20_100:
	s_andn2_saveexec_b32 s0, s0
	s_cbranch_execz .LBB20_102
; %bb.101:
	v_mov_b32_e32 v60, 4
	ds_write2_b64 v1, v[22:23], v[24:25] offset0:10 offset1:11
	ds_write2_b64 v1, v[18:19], v[20:21] offset0:12 offset1:13
	ds_write2_b64 v1, v[14:15], v[16:17] offset0:14 offset1:15
	ds_write2_b64 v1, v[10:11], v[12:13] offset0:16 offset1:17
	ds_write2_b64 v1, v[6:7], v[8:9] offset0:18 offset1:19
	ds_write2_b64 v1, v[2:3], v[4:5] offset0:20 offset1:21
.LBB20_102:
	s_or_b32 exec_lo, exec_lo, s0
	s_mov_b32 s0, exec_lo
	s_waitcnt lgkmcnt(0)
	s_waitcnt_vscnt null, 0x0
	s_barrier
	buffer_gl0_inv
	v_cmpx_lt_i32_e32 4, v60
	s_cbranch_execz .LBB20_104
; %bb.103:
	v_mul_f64 v[54:55], v[46:47], v[28:29]
	v_mul_f64 v[28:29], v[48:49], v[28:29]
	v_fma_f64 v[54:55], v[48:49], v[26:27], v[54:55]
	v_fma_f64 v[26:27], v[46:47], v[26:27], -v[28:29]
	ds_read2_b64 v[46:49], v1 offset0:10 offset1:11
	s_waitcnt lgkmcnt(0)
	v_mul_f64 v[28:29], v[48:49], v[54:55]
	v_fma_f64 v[28:29], v[46:47], v[26:27], -v[28:29]
	v_mul_f64 v[46:47], v[46:47], v[54:55]
	v_add_f64 v[22:23], v[22:23], -v[28:29]
	v_fma_f64 v[46:47], v[48:49], v[26:27], v[46:47]
	v_add_f64 v[24:25], v[24:25], -v[46:47]
	ds_read2_b64 v[46:49], v1 offset0:12 offset1:13
	s_waitcnt lgkmcnt(0)
	v_mul_f64 v[28:29], v[48:49], v[54:55]
	v_fma_f64 v[28:29], v[46:47], v[26:27], -v[28:29]
	v_mul_f64 v[46:47], v[46:47], v[54:55]
	v_add_f64 v[18:19], v[18:19], -v[28:29]
	v_fma_f64 v[46:47], v[48:49], v[26:27], v[46:47]
	v_add_f64 v[20:21], v[20:21], -v[46:47]
	;; [unrolled: 8-line block ×5, first 2 shown]
	ds_read2_b64 v[46:49], v1 offset0:20 offset1:21
	s_waitcnt lgkmcnt(0)
	v_mul_f64 v[28:29], v[48:49], v[54:55]
	v_fma_f64 v[28:29], v[46:47], v[26:27], -v[28:29]
	v_mul_f64 v[46:47], v[46:47], v[54:55]
	v_add_f64 v[2:3], v[2:3], -v[28:29]
	v_fma_f64 v[46:47], v[48:49], v[26:27], v[46:47]
	v_mov_b32_e32 v28, v54
	v_mov_b32_e32 v29, v55
	v_add_f64 v[4:5], v[4:5], -v[46:47]
.LBB20_104:
	s_or_b32 exec_lo, exec_lo, s0
	v_lshl_add_u32 v46, v60, 4, v1
	s_barrier
	buffer_gl0_inv
	v_mov_b32_e32 v54, 5
	ds_write2_b64 v46, v[22:23], v[24:25] offset1:1
	s_waitcnt lgkmcnt(0)
	s_barrier
	buffer_gl0_inv
	ds_read2_b64 v[46:49], v1 offset0:10 offset1:11
	s_cmp_lt_i32 s3, 7
	s_cbranch_scc1 .LBB20_107
; %bb.105:
	v_add3_u32 v55, v56, 0, 0x60
	v_mov_b32_e32 v54, 5
	s_mov_b32 s1, 6
	s_inst_prefetch 0x1
	.p2align	6
.LBB20_106:                             ; =>This Inner Loop Header: Depth=1
	s_waitcnt lgkmcnt(0)
	v_cmp_gt_f64_e32 vcc_lo, 0, v[48:49]
	v_cmp_gt_f64_e64 s0, 0, v[46:47]
	ds_read2_b64 v[61:64], v55 offset1:1
	v_xor_b32_e32 v66, 0x80000000, v47
	v_xor_b32_e32 v68, 0x80000000, v49
	v_mov_b32_e32 v65, v46
	v_mov_b32_e32 v67, v48
	v_add_nc_u32_e32 v55, 16, v55
	s_waitcnt lgkmcnt(0)
	v_xor_b32_e32 v70, 0x80000000, v64
	v_cndmask_b32_e64 v66, v47, v66, s0
	v_cndmask_b32_e32 v68, v49, v68, vcc_lo
	v_cmp_gt_f64_e32 vcc_lo, 0, v[63:64]
	v_cmp_gt_f64_e64 s0, 0, v[61:62]
	v_mov_b32_e32 v69, v63
	v_add_f64 v[65:66], v[65:66], v[67:68]
	v_xor_b32_e32 v68, 0x80000000, v62
	v_mov_b32_e32 v67, v61
	v_cndmask_b32_e32 v70, v64, v70, vcc_lo
	v_cndmask_b32_e64 v68, v62, v68, s0
	v_add_f64 v[67:68], v[67:68], v[69:70]
	v_cmp_lt_f64_e32 vcc_lo, v[65:66], v[67:68]
	v_cndmask_b32_e32 v47, v47, v62, vcc_lo
	v_cndmask_b32_e32 v46, v46, v61, vcc_lo
	;; [unrolled: 1-line block ×4, first 2 shown]
	v_cndmask_b32_e64 v54, v54, s1, vcc_lo
	s_add_i32 s1, s1, 1
	s_cmp_lg_u32 s3, s1
	s_cbranch_scc1 .LBB20_106
.LBB20_107:
	s_inst_prefetch 0x2
	s_waitcnt lgkmcnt(0)
	v_cmp_eq_f64_e32 vcc_lo, 0, v[46:47]
	v_cmp_eq_f64_e64 s0, 0, v[48:49]
	s_and_b32 s0, vcc_lo, s0
	s_and_saveexec_b32 s1, s0
	s_xor_b32 s0, exec_lo, s1
; %bb.108:
	v_cmp_ne_u32_e32 vcc_lo, 0, v59
	v_cndmask_b32_e32 v59, 6, v59, vcc_lo
; %bb.109:
	s_andn2_saveexec_b32 s0, s0
	s_cbranch_execz .LBB20_115
; %bb.110:
	v_cmp_ngt_f64_e64 s1, |v[46:47]|, |v[48:49]|
	s_and_saveexec_b32 s2, s1
	s_xor_b32 s1, exec_lo, s2
	s_cbranch_execz .LBB20_112
; %bb.111:
	v_div_scale_f64 v[61:62], null, v[48:49], v[48:49], v[46:47]
	v_div_scale_f64 v[67:68], vcc_lo, v[46:47], v[48:49], v[46:47]
	v_rcp_f64_e32 v[63:64], v[61:62]
	v_fma_f64 v[65:66], -v[61:62], v[63:64], 1.0
	v_fma_f64 v[63:64], v[63:64], v[65:66], v[63:64]
	v_fma_f64 v[65:66], -v[61:62], v[63:64], 1.0
	v_fma_f64 v[63:64], v[63:64], v[65:66], v[63:64]
	v_mul_f64 v[65:66], v[67:68], v[63:64]
	v_fma_f64 v[61:62], -v[61:62], v[65:66], v[67:68]
	v_div_fmas_f64 v[61:62], v[61:62], v[63:64], v[65:66]
	v_div_fixup_f64 v[61:62], v[61:62], v[48:49], v[46:47]
	v_fma_f64 v[46:47], v[46:47], v[61:62], v[48:49]
	v_div_scale_f64 v[48:49], null, v[46:47], v[46:47], 1.0
	v_rcp_f64_e32 v[63:64], v[48:49]
	v_fma_f64 v[65:66], -v[48:49], v[63:64], 1.0
	v_fma_f64 v[63:64], v[63:64], v[65:66], v[63:64]
	v_fma_f64 v[65:66], -v[48:49], v[63:64], 1.0
	v_fma_f64 v[63:64], v[63:64], v[65:66], v[63:64]
	v_div_scale_f64 v[65:66], vcc_lo, 1.0, v[46:47], 1.0
	v_mul_f64 v[67:68], v[65:66], v[63:64]
	v_fma_f64 v[48:49], -v[48:49], v[67:68], v[65:66]
	v_div_fmas_f64 v[48:49], v[48:49], v[63:64], v[67:68]
	v_div_fixup_f64 v[48:49], v[48:49], v[46:47], 1.0
	v_mul_f64 v[46:47], v[61:62], v[48:49]
	v_xor_b32_e32 v49, 0x80000000, v49
.LBB20_112:
	s_andn2_saveexec_b32 s1, s1
	s_cbranch_execz .LBB20_114
; %bb.113:
	v_div_scale_f64 v[61:62], null, v[46:47], v[46:47], v[48:49]
	v_div_scale_f64 v[67:68], vcc_lo, v[48:49], v[46:47], v[48:49]
	v_rcp_f64_e32 v[63:64], v[61:62]
	v_fma_f64 v[65:66], -v[61:62], v[63:64], 1.0
	v_fma_f64 v[63:64], v[63:64], v[65:66], v[63:64]
	v_fma_f64 v[65:66], -v[61:62], v[63:64], 1.0
	v_fma_f64 v[63:64], v[63:64], v[65:66], v[63:64]
	v_mul_f64 v[65:66], v[67:68], v[63:64]
	v_fma_f64 v[61:62], -v[61:62], v[65:66], v[67:68]
	v_div_fmas_f64 v[61:62], v[61:62], v[63:64], v[65:66]
	v_div_fixup_f64 v[61:62], v[61:62], v[46:47], v[48:49]
	v_fma_f64 v[46:47], v[48:49], v[61:62], v[46:47]
	v_div_scale_f64 v[48:49], null, v[46:47], v[46:47], 1.0
	v_rcp_f64_e32 v[63:64], v[48:49]
	v_fma_f64 v[65:66], -v[48:49], v[63:64], 1.0
	v_fma_f64 v[63:64], v[63:64], v[65:66], v[63:64]
	v_fma_f64 v[65:66], -v[48:49], v[63:64], 1.0
	v_fma_f64 v[63:64], v[63:64], v[65:66], v[63:64]
	v_div_scale_f64 v[65:66], vcc_lo, 1.0, v[46:47], 1.0
	v_mul_f64 v[67:68], v[65:66], v[63:64]
	v_fma_f64 v[48:49], -v[48:49], v[67:68], v[65:66]
	v_div_fmas_f64 v[48:49], v[48:49], v[63:64], v[67:68]
	v_div_fixup_f64 v[46:47], v[48:49], v[46:47], 1.0
	v_mul_f64 v[48:49], v[61:62], -v[46:47]
.LBB20_114:
	s_or_b32 exec_lo, exec_lo, s1
.LBB20_115:
	s_or_b32 exec_lo, exec_lo, s0
	s_mov_b32 s0, exec_lo
	v_cmpx_ne_u32_e64 v60, v54
	s_xor_b32 s0, exec_lo, s0
	s_cbranch_execz .LBB20_121
; %bb.116:
	s_mov_b32 s1, exec_lo
	v_cmpx_eq_u32_e32 5, v60
	s_cbranch_execz .LBB20_120
; %bb.117:
	v_cmp_ne_u32_e32 vcc_lo, 5, v54
	s_xor_b32 s2, s16, -1
	s_and_b32 s7, s2, vcc_lo
	s_and_saveexec_b32 s2, s7
	s_cbranch_execz .LBB20_119
; %bb.118:
	v_ashrrev_i32_e32 v55, 31, v54
	v_lshlrev_b64 v[60:61], 2, v[54:55]
	v_add_co_u32 v60, vcc_lo, v52, v60
	v_add_co_ci_u32_e64 v61, null, v53, v61, vcc_lo
	s_clause 0x1
	global_load_dword v0, v[60:61], off
	global_load_dword v55, v[52:53], off offset:20
	s_waitcnt vmcnt(1)
	global_store_dword v[52:53], v0, off offset:20
	s_waitcnt vmcnt(0)
	global_store_dword v[60:61], v55, off
.LBB20_119:
	s_or_b32 exec_lo, exec_lo, s2
	v_mov_b32_e32 v60, v54
	v_mov_b32_e32 v0, v54
.LBB20_120:
	s_or_b32 exec_lo, exec_lo, s1
.LBB20_121:
	s_andn2_saveexec_b32 s0, s0
	s_cbranch_execz .LBB20_123
; %bb.122:
	v_mov_b32_e32 v60, 5
	ds_write2_b64 v1, v[18:19], v[20:21] offset0:12 offset1:13
	ds_write2_b64 v1, v[14:15], v[16:17] offset0:14 offset1:15
	ds_write2_b64 v1, v[10:11], v[12:13] offset0:16 offset1:17
	ds_write2_b64 v1, v[6:7], v[8:9] offset0:18 offset1:19
	ds_write2_b64 v1, v[2:3], v[4:5] offset0:20 offset1:21
.LBB20_123:
	s_or_b32 exec_lo, exec_lo, s0
	s_mov_b32 s0, exec_lo
	s_waitcnt lgkmcnt(0)
	s_waitcnt_vscnt null, 0x0
	s_barrier
	buffer_gl0_inv
	v_cmpx_lt_i32_e32 5, v60
	s_cbranch_execz .LBB20_125
; %bb.124:
	v_mul_f64 v[54:55], v[46:47], v[24:25]
	v_mul_f64 v[24:25], v[48:49], v[24:25]
	v_fma_f64 v[54:55], v[48:49], v[22:23], v[54:55]
	v_fma_f64 v[22:23], v[46:47], v[22:23], -v[24:25]
	ds_read2_b64 v[46:49], v1 offset0:12 offset1:13
	s_waitcnt lgkmcnt(0)
	v_mul_f64 v[24:25], v[48:49], v[54:55]
	v_fma_f64 v[24:25], v[46:47], v[22:23], -v[24:25]
	v_mul_f64 v[46:47], v[46:47], v[54:55]
	v_add_f64 v[18:19], v[18:19], -v[24:25]
	v_fma_f64 v[46:47], v[48:49], v[22:23], v[46:47]
	v_add_f64 v[20:21], v[20:21], -v[46:47]
	ds_read2_b64 v[46:49], v1 offset0:14 offset1:15
	s_waitcnt lgkmcnt(0)
	v_mul_f64 v[24:25], v[48:49], v[54:55]
	v_fma_f64 v[24:25], v[46:47], v[22:23], -v[24:25]
	v_mul_f64 v[46:47], v[46:47], v[54:55]
	v_add_f64 v[14:15], v[14:15], -v[24:25]
	v_fma_f64 v[46:47], v[48:49], v[22:23], v[46:47]
	v_add_f64 v[16:17], v[16:17], -v[46:47]
	ds_read2_b64 v[46:49], v1 offset0:16 offset1:17
	s_waitcnt lgkmcnt(0)
	v_mul_f64 v[24:25], v[48:49], v[54:55]
	v_fma_f64 v[24:25], v[46:47], v[22:23], -v[24:25]
	v_mul_f64 v[46:47], v[46:47], v[54:55]
	v_add_f64 v[10:11], v[10:11], -v[24:25]
	v_fma_f64 v[46:47], v[48:49], v[22:23], v[46:47]
	v_add_f64 v[12:13], v[12:13], -v[46:47]
	ds_read2_b64 v[46:49], v1 offset0:18 offset1:19
	s_waitcnt lgkmcnt(0)
	v_mul_f64 v[24:25], v[48:49], v[54:55]
	v_fma_f64 v[24:25], v[46:47], v[22:23], -v[24:25]
	v_mul_f64 v[46:47], v[46:47], v[54:55]
	v_add_f64 v[6:7], v[6:7], -v[24:25]
	v_fma_f64 v[46:47], v[48:49], v[22:23], v[46:47]
	v_add_f64 v[8:9], v[8:9], -v[46:47]
	ds_read2_b64 v[46:49], v1 offset0:20 offset1:21
	s_waitcnt lgkmcnt(0)
	v_mul_f64 v[24:25], v[48:49], v[54:55]
	v_fma_f64 v[24:25], v[46:47], v[22:23], -v[24:25]
	v_mul_f64 v[46:47], v[46:47], v[54:55]
	v_add_f64 v[2:3], v[2:3], -v[24:25]
	v_fma_f64 v[46:47], v[48:49], v[22:23], v[46:47]
	v_mov_b32_e32 v24, v54
	v_mov_b32_e32 v25, v55
	v_add_f64 v[4:5], v[4:5], -v[46:47]
.LBB20_125:
	s_or_b32 exec_lo, exec_lo, s0
	v_lshl_add_u32 v46, v60, 4, v1
	s_barrier
	buffer_gl0_inv
	v_mov_b32_e32 v54, 6
	ds_write2_b64 v46, v[18:19], v[20:21] offset1:1
	s_waitcnt lgkmcnt(0)
	s_barrier
	buffer_gl0_inv
	ds_read2_b64 v[46:49], v1 offset0:12 offset1:13
	s_cmp_lt_i32 s3, 8
	s_cbranch_scc1 .LBB20_128
; %bb.126:
	v_add3_u32 v55, v56, 0, 0x70
	v_mov_b32_e32 v54, 6
	s_mov_b32 s1, 7
	s_inst_prefetch 0x1
	.p2align	6
.LBB20_127:                             ; =>This Inner Loop Header: Depth=1
	s_waitcnt lgkmcnt(0)
	v_cmp_gt_f64_e32 vcc_lo, 0, v[48:49]
	v_cmp_gt_f64_e64 s0, 0, v[46:47]
	ds_read2_b64 v[61:64], v55 offset1:1
	v_xor_b32_e32 v66, 0x80000000, v47
	v_xor_b32_e32 v68, 0x80000000, v49
	v_mov_b32_e32 v65, v46
	v_mov_b32_e32 v67, v48
	v_add_nc_u32_e32 v55, 16, v55
	s_waitcnt lgkmcnt(0)
	v_xor_b32_e32 v70, 0x80000000, v64
	v_cndmask_b32_e64 v66, v47, v66, s0
	v_cndmask_b32_e32 v68, v49, v68, vcc_lo
	v_cmp_gt_f64_e32 vcc_lo, 0, v[63:64]
	v_cmp_gt_f64_e64 s0, 0, v[61:62]
	v_mov_b32_e32 v69, v63
	v_add_f64 v[65:66], v[65:66], v[67:68]
	v_xor_b32_e32 v68, 0x80000000, v62
	v_mov_b32_e32 v67, v61
	v_cndmask_b32_e32 v70, v64, v70, vcc_lo
	v_cndmask_b32_e64 v68, v62, v68, s0
	v_add_f64 v[67:68], v[67:68], v[69:70]
	v_cmp_lt_f64_e32 vcc_lo, v[65:66], v[67:68]
	v_cndmask_b32_e32 v47, v47, v62, vcc_lo
	v_cndmask_b32_e32 v46, v46, v61, vcc_lo
	;; [unrolled: 1-line block ×4, first 2 shown]
	v_cndmask_b32_e64 v54, v54, s1, vcc_lo
	s_add_i32 s1, s1, 1
	s_cmp_lg_u32 s3, s1
	s_cbranch_scc1 .LBB20_127
.LBB20_128:
	s_inst_prefetch 0x2
	s_waitcnt lgkmcnt(0)
	v_cmp_eq_f64_e32 vcc_lo, 0, v[46:47]
	v_cmp_eq_f64_e64 s0, 0, v[48:49]
	s_and_b32 s0, vcc_lo, s0
	s_and_saveexec_b32 s1, s0
	s_xor_b32 s0, exec_lo, s1
; %bb.129:
	v_cmp_ne_u32_e32 vcc_lo, 0, v59
	v_cndmask_b32_e32 v59, 7, v59, vcc_lo
; %bb.130:
	s_andn2_saveexec_b32 s0, s0
	s_cbranch_execz .LBB20_136
; %bb.131:
	v_cmp_ngt_f64_e64 s1, |v[46:47]|, |v[48:49]|
	s_and_saveexec_b32 s2, s1
	s_xor_b32 s1, exec_lo, s2
	s_cbranch_execz .LBB20_133
; %bb.132:
	v_div_scale_f64 v[61:62], null, v[48:49], v[48:49], v[46:47]
	v_div_scale_f64 v[67:68], vcc_lo, v[46:47], v[48:49], v[46:47]
	v_rcp_f64_e32 v[63:64], v[61:62]
	v_fma_f64 v[65:66], -v[61:62], v[63:64], 1.0
	v_fma_f64 v[63:64], v[63:64], v[65:66], v[63:64]
	v_fma_f64 v[65:66], -v[61:62], v[63:64], 1.0
	v_fma_f64 v[63:64], v[63:64], v[65:66], v[63:64]
	v_mul_f64 v[65:66], v[67:68], v[63:64]
	v_fma_f64 v[61:62], -v[61:62], v[65:66], v[67:68]
	v_div_fmas_f64 v[61:62], v[61:62], v[63:64], v[65:66]
	v_div_fixup_f64 v[61:62], v[61:62], v[48:49], v[46:47]
	v_fma_f64 v[46:47], v[46:47], v[61:62], v[48:49]
	v_div_scale_f64 v[48:49], null, v[46:47], v[46:47], 1.0
	v_rcp_f64_e32 v[63:64], v[48:49]
	v_fma_f64 v[65:66], -v[48:49], v[63:64], 1.0
	v_fma_f64 v[63:64], v[63:64], v[65:66], v[63:64]
	v_fma_f64 v[65:66], -v[48:49], v[63:64], 1.0
	v_fma_f64 v[63:64], v[63:64], v[65:66], v[63:64]
	v_div_scale_f64 v[65:66], vcc_lo, 1.0, v[46:47], 1.0
	v_mul_f64 v[67:68], v[65:66], v[63:64]
	v_fma_f64 v[48:49], -v[48:49], v[67:68], v[65:66]
	v_div_fmas_f64 v[48:49], v[48:49], v[63:64], v[67:68]
	v_div_fixup_f64 v[48:49], v[48:49], v[46:47], 1.0
	v_mul_f64 v[46:47], v[61:62], v[48:49]
	v_xor_b32_e32 v49, 0x80000000, v49
.LBB20_133:
	s_andn2_saveexec_b32 s1, s1
	s_cbranch_execz .LBB20_135
; %bb.134:
	v_div_scale_f64 v[61:62], null, v[46:47], v[46:47], v[48:49]
	v_div_scale_f64 v[67:68], vcc_lo, v[48:49], v[46:47], v[48:49]
	v_rcp_f64_e32 v[63:64], v[61:62]
	v_fma_f64 v[65:66], -v[61:62], v[63:64], 1.0
	v_fma_f64 v[63:64], v[63:64], v[65:66], v[63:64]
	v_fma_f64 v[65:66], -v[61:62], v[63:64], 1.0
	v_fma_f64 v[63:64], v[63:64], v[65:66], v[63:64]
	v_mul_f64 v[65:66], v[67:68], v[63:64]
	v_fma_f64 v[61:62], -v[61:62], v[65:66], v[67:68]
	v_div_fmas_f64 v[61:62], v[61:62], v[63:64], v[65:66]
	v_div_fixup_f64 v[61:62], v[61:62], v[46:47], v[48:49]
	v_fma_f64 v[46:47], v[48:49], v[61:62], v[46:47]
	v_div_scale_f64 v[48:49], null, v[46:47], v[46:47], 1.0
	v_rcp_f64_e32 v[63:64], v[48:49]
	v_fma_f64 v[65:66], -v[48:49], v[63:64], 1.0
	v_fma_f64 v[63:64], v[63:64], v[65:66], v[63:64]
	v_fma_f64 v[65:66], -v[48:49], v[63:64], 1.0
	v_fma_f64 v[63:64], v[63:64], v[65:66], v[63:64]
	v_div_scale_f64 v[65:66], vcc_lo, 1.0, v[46:47], 1.0
	v_mul_f64 v[67:68], v[65:66], v[63:64]
	v_fma_f64 v[48:49], -v[48:49], v[67:68], v[65:66]
	v_div_fmas_f64 v[48:49], v[48:49], v[63:64], v[67:68]
	v_div_fixup_f64 v[46:47], v[48:49], v[46:47], 1.0
	v_mul_f64 v[48:49], v[61:62], -v[46:47]
.LBB20_135:
	s_or_b32 exec_lo, exec_lo, s1
.LBB20_136:
	s_or_b32 exec_lo, exec_lo, s0
	s_mov_b32 s0, exec_lo
	v_cmpx_ne_u32_e64 v60, v54
	s_xor_b32 s0, exec_lo, s0
	s_cbranch_execz .LBB20_142
; %bb.137:
	s_mov_b32 s1, exec_lo
	v_cmpx_eq_u32_e32 6, v60
	s_cbranch_execz .LBB20_141
; %bb.138:
	v_cmp_ne_u32_e32 vcc_lo, 6, v54
	s_xor_b32 s2, s16, -1
	s_and_b32 s7, s2, vcc_lo
	s_and_saveexec_b32 s2, s7
	s_cbranch_execz .LBB20_140
; %bb.139:
	v_ashrrev_i32_e32 v55, 31, v54
	v_lshlrev_b64 v[60:61], 2, v[54:55]
	v_add_co_u32 v60, vcc_lo, v52, v60
	v_add_co_ci_u32_e64 v61, null, v53, v61, vcc_lo
	s_clause 0x1
	global_load_dword v0, v[60:61], off
	global_load_dword v55, v[52:53], off offset:24
	s_waitcnt vmcnt(1)
	global_store_dword v[52:53], v0, off offset:24
	s_waitcnt vmcnt(0)
	global_store_dword v[60:61], v55, off
.LBB20_140:
	s_or_b32 exec_lo, exec_lo, s2
	v_mov_b32_e32 v60, v54
	v_mov_b32_e32 v0, v54
.LBB20_141:
	s_or_b32 exec_lo, exec_lo, s1
.LBB20_142:
	s_andn2_saveexec_b32 s0, s0
	s_cbranch_execz .LBB20_144
; %bb.143:
	v_mov_b32_e32 v60, 6
	ds_write2_b64 v1, v[14:15], v[16:17] offset0:14 offset1:15
	ds_write2_b64 v1, v[10:11], v[12:13] offset0:16 offset1:17
	;; [unrolled: 1-line block ×4, first 2 shown]
.LBB20_144:
	s_or_b32 exec_lo, exec_lo, s0
	s_mov_b32 s0, exec_lo
	s_waitcnt lgkmcnt(0)
	s_waitcnt_vscnt null, 0x0
	s_barrier
	buffer_gl0_inv
	v_cmpx_lt_i32_e32 6, v60
	s_cbranch_execz .LBB20_146
; %bb.145:
	v_mul_f64 v[54:55], v[46:47], v[20:21]
	v_mul_f64 v[20:21], v[48:49], v[20:21]
	v_fma_f64 v[54:55], v[48:49], v[18:19], v[54:55]
	v_fma_f64 v[18:19], v[46:47], v[18:19], -v[20:21]
	ds_read2_b64 v[46:49], v1 offset0:14 offset1:15
	s_waitcnt lgkmcnt(0)
	v_mul_f64 v[20:21], v[48:49], v[54:55]
	v_fma_f64 v[20:21], v[46:47], v[18:19], -v[20:21]
	v_mul_f64 v[46:47], v[46:47], v[54:55]
	v_add_f64 v[14:15], v[14:15], -v[20:21]
	v_fma_f64 v[46:47], v[48:49], v[18:19], v[46:47]
	v_add_f64 v[16:17], v[16:17], -v[46:47]
	ds_read2_b64 v[46:49], v1 offset0:16 offset1:17
	s_waitcnt lgkmcnt(0)
	v_mul_f64 v[20:21], v[48:49], v[54:55]
	v_fma_f64 v[20:21], v[46:47], v[18:19], -v[20:21]
	v_mul_f64 v[46:47], v[46:47], v[54:55]
	v_add_f64 v[10:11], v[10:11], -v[20:21]
	v_fma_f64 v[46:47], v[48:49], v[18:19], v[46:47]
	v_add_f64 v[12:13], v[12:13], -v[46:47]
	;; [unrolled: 8-line block ×3, first 2 shown]
	ds_read2_b64 v[46:49], v1 offset0:20 offset1:21
	s_waitcnt lgkmcnt(0)
	v_mul_f64 v[20:21], v[48:49], v[54:55]
	v_fma_f64 v[20:21], v[46:47], v[18:19], -v[20:21]
	v_mul_f64 v[46:47], v[46:47], v[54:55]
	v_add_f64 v[2:3], v[2:3], -v[20:21]
	v_fma_f64 v[46:47], v[48:49], v[18:19], v[46:47]
	v_mov_b32_e32 v20, v54
	v_mov_b32_e32 v21, v55
	v_add_f64 v[4:5], v[4:5], -v[46:47]
.LBB20_146:
	s_or_b32 exec_lo, exec_lo, s0
	v_lshl_add_u32 v46, v60, 4, v1
	s_barrier
	buffer_gl0_inv
	v_mov_b32_e32 v54, 7
	ds_write2_b64 v46, v[14:15], v[16:17] offset1:1
	s_waitcnt lgkmcnt(0)
	s_barrier
	buffer_gl0_inv
	ds_read2_b64 v[46:49], v1 offset0:14 offset1:15
	s_cmp_lt_i32 s3, 9
	s_cbranch_scc1 .LBB20_149
; %bb.147:
	v_add3_u32 v55, v56, 0, 0x80
	v_mov_b32_e32 v54, 7
	s_mov_b32 s1, 8
	s_inst_prefetch 0x1
	.p2align	6
.LBB20_148:                             ; =>This Inner Loop Header: Depth=1
	s_waitcnt lgkmcnt(0)
	v_cmp_gt_f64_e32 vcc_lo, 0, v[48:49]
	v_cmp_gt_f64_e64 s0, 0, v[46:47]
	ds_read2_b64 v[61:64], v55 offset1:1
	v_xor_b32_e32 v66, 0x80000000, v47
	v_xor_b32_e32 v68, 0x80000000, v49
	v_mov_b32_e32 v65, v46
	v_mov_b32_e32 v67, v48
	v_add_nc_u32_e32 v55, 16, v55
	s_waitcnt lgkmcnt(0)
	v_xor_b32_e32 v70, 0x80000000, v64
	v_cndmask_b32_e64 v66, v47, v66, s0
	v_cndmask_b32_e32 v68, v49, v68, vcc_lo
	v_cmp_gt_f64_e32 vcc_lo, 0, v[63:64]
	v_cmp_gt_f64_e64 s0, 0, v[61:62]
	v_mov_b32_e32 v69, v63
	v_add_f64 v[65:66], v[65:66], v[67:68]
	v_xor_b32_e32 v68, 0x80000000, v62
	v_mov_b32_e32 v67, v61
	v_cndmask_b32_e32 v70, v64, v70, vcc_lo
	v_cndmask_b32_e64 v68, v62, v68, s0
	v_add_f64 v[67:68], v[67:68], v[69:70]
	v_cmp_lt_f64_e32 vcc_lo, v[65:66], v[67:68]
	v_cndmask_b32_e32 v47, v47, v62, vcc_lo
	v_cndmask_b32_e32 v46, v46, v61, vcc_lo
	;; [unrolled: 1-line block ×4, first 2 shown]
	v_cndmask_b32_e64 v54, v54, s1, vcc_lo
	s_add_i32 s1, s1, 1
	s_cmp_lg_u32 s3, s1
	s_cbranch_scc1 .LBB20_148
.LBB20_149:
	s_inst_prefetch 0x2
	s_waitcnt lgkmcnt(0)
	v_cmp_eq_f64_e32 vcc_lo, 0, v[46:47]
	v_cmp_eq_f64_e64 s0, 0, v[48:49]
	s_and_b32 s0, vcc_lo, s0
	s_and_saveexec_b32 s1, s0
	s_xor_b32 s0, exec_lo, s1
; %bb.150:
	v_cmp_ne_u32_e32 vcc_lo, 0, v59
	v_cndmask_b32_e32 v59, 8, v59, vcc_lo
; %bb.151:
	s_andn2_saveexec_b32 s0, s0
	s_cbranch_execz .LBB20_157
; %bb.152:
	v_cmp_ngt_f64_e64 s1, |v[46:47]|, |v[48:49]|
	s_and_saveexec_b32 s2, s1
	s_xor_b32 s1, exec_lo, s2
	s_cbranch_execz .LBB20_154
; %bb.153:
	v_div_scale_f64 v[61:62], null, v[48:49], v[48:49], v[46:47]
	v_div_scale_f64 v[67:68], vcc_lo, v[46:47], v[48:49], v[46:47]
	v_rcp_f64_e32 v[63:64], v[61:62]
	v_fma_f64 v[65:66], -v[61:62], v[63:64], 1.0
	v_fma_f64 v[63:64], v[63:64], v[65:66], v[63:64]
	v_fma_f64 v[65:66], -v[61:62], v[63:64], 1.0
	v_fma_f64 v[63:64], v[63:64], v[65:66], v[63:64]
	v_mul_f64 v[65:66], v[67:68], v[63:64]
	v_fma_f64 v[61:62], -v[61:62], v[65:66], v[67:68]
	v_div_fmas_f64 v[61:62], v[61:62], v[63:64], v[65:66]
	v_div_fixup_f64 v[61:62], v[61:62], v[48:49], v[46:47]
	v_fma_f64 v[46:47], v[46:47], v[61:62], v[48:49]
	v_div_scale_f64 v[48:49], null, v[46:47], v[46:47], 1.0
	v_rcp_f64_e32 v[63:64], v[48:49]
	v_fma_f64 v[65:66], -v[48:49], v[63:64], 1.0
	v_fma_f64 v[63:64], v[63:64], v[65:66], v[63:64]
	v_fma_f64 v[65:66], -v[48:49], v[63:64], 1.0
	v_fma_f64 v[63:64], v[63:64], v[65:66], v[63:64]
	v_div_scale_f64 v[65:66], vcc_lo, 1.0, v[46:47], 1.0
	v_mul_f64 v[67:68], v[65:66], v[63:64]
	v_fma_f64 v[48:49], -v[48:49], v[67:68], v[65:66]
	v_div_fmas_f64 v[48:49], v[48:49], v[63:64], v[67:68]
	v_div_fixup_f64 v[48:49], v[48:49], v[46:47], 1.0
	v_mul_f64 v[46:47], v[61:62], v[48:49]
	v_xor_b32_e32 v49, 0x80000000, v49
.LBB20_154:
	s_andn2_saveexec_b32 s1, s1
	s_cbranch_execz .LBB20_156
; %bb.155:
	v_div_scale_f64 v[61:62], null, v[46:47], v[46:47], v[48:49]
	v_div_scale_f64 v[67:68], vcc_lo, v[48:49], v[46:47], v[48:49]
	v_rcp_f64_e32 v[63:64], v[61:62]
	v_fma_f64 v[65:66], -v[61:62], v[63:64], 1.0
	v_fma_f64 v[63:64], v[63:64], v[65:66], v[63:64]
	v_fma_f64 v[65:66], -v[61:62], v[63:64], 1.0
	v_fma_f64 v[63:64], v[63:64], v[65:66], v[63:64]
	v_mul_f64 v[65:66], v[67:68], v[63:64]
	v_fma_f64 v[61:62], -v[61:62], v[65:66], v[67:68]
	v_div_fmas_f64 v[61:62], v[61:62], v[63:64], v[65:66]
	v_div_fixup_f64 v[61:62], v[61:62], v[46:47], v[48:49]
	v_fma_f64 v[46:47], v[48:49], v[61:62], v[46:47]
	v_div_scale_f64 v[48:49], null, v[46:47], v[46:47], 1.0
	v_rcp_f64_e32 v[63:64], v[48:49]
	v_fma_f64 v[65:66], -v[48:49], v[63:64], 1.0
	v_fma_f64 v[63:64], v[63:64], v[65:66], v[63:64]
	v_fma_f64 v[65:66], -v[48:49], v[63:64], 1.0
	v_fma_f64 v[63:64], v[63:64], v[65:66], v[63:64]
	v_div_scale_f64 v[65:66], vcc_lo, 1.0, v[46:47], 1.0
	v_mul_f64 v[67:68], v[65:66], v[63:64]
	v_fma_f64 v[48:49], -v[48:49], v[67:68], v[65:66]
	v_div_fmas_f64 v[48:49], v[48:49], v[63:64], v[67:68]
	v_div_fixup_f64 v[46:47], v[48:49], v[46:47], 1.0
	v_mul_f64 v[48:49], v[61:62], -v[46:47]
.LBB20_156:
	s_or_b32 exec_lo, exec_lo, s1
.LBB20_157:
	s_or_b32 exec_lo, exec_lo, s0
	s_mov_b32 s0, exec_lo
	v_cmpx_ne_u32_e64 v60, v54
	s_xor_b32 s0, exec_lo, s0
	s_cbranch_execz .LBB20_163
; %bb.158:
	s_mov_b32 s1, exec_lo
	v_cmpx_eq_u32_e32 7, v60
	s_cbranch_execz .LBB20_162
; %bb.159:
	v_cmp_ne_u32_e32 vcc_lo, 7, v54
	s_xor_b32 s2, s16, -1
	s_and_b32 s7, s2, vcc_lo
	s_and_saveexec_b32 s2, s7
	s_cbranch_execz .LBB20_161
; %bb.160:
	v_ashrrev_i32_e32 v55, 31, v54
	v_lshlrev_b64 v[60:61], 2, v[54:55]
	v_add_co_u32 v60, vcc_lo, v52, v60
	v_add_co_ci_u32_e64 v61, null, v53, v61, vcc_lo
	s_clause 0x1
	global_load_dword v0, v[60:61], off
	global_load_dword v55, v[52:53], off offset:28
	s_waitcnt vmcnt(1)
	global_store_dword v[52:53], v0, off offset:28
	s_waitcnt vmcnt(0)
	global_store_dword v[60:61], v55, off
.LBB20_161:
	s_or_b32 exec_lo, exec_lo, s2
	v_mov_b32_e32 v60, v54
	v_mov_b32_e32 v0, v54
.LBB20_162:
	s_or_b32 exec_lo, exec_lo, s1
.LBB20_163:
	s_andn2_saveexec_b32 s0, s0
	s_cbranch_execz .LBB20_165
; %bb.164:
	v_mov_b32_e32 v60, 7
	ds_write2_b64 v1, v[10:11], v[12:13] offset0:16 offset1:17
	ds_write2_b64 v1, v[6:7], v[8:9] offset0:18 offset1:19
	;; [unrolled: 1-line block ×3, first 2 shown]
.LBB20_165:
	s_or_b32 exec_lo, exec_lo, s0
	s_mov_b32 s0, exec_lo
	s_waitcnt lgkmcnt(0)
	s_waitcnt_vscnt null, 0x0
	s_barrier
	buffer_gl0_inv
	v_cmpx_lt_i32_e32 7, v60
	s_cbranch_execz .LBB20_167
; %bb.166:
	v_mul_f64 v[54:55], v[46:47], v[16:17]
	v_mul_f64 v[16:17], v[48:49], v[16:17]
	v_fma_f64 v[54:55], v[48:49], v[14:15], v[54:55]
	v_fma_f64 v[14:15], v[46:47], v[14:15], -v[16:17]
	ds_read2_b64 v[46:49], v1 offset0:16 offset1:17
	s_waitcnt lgkmcnt(0)
	v_mul_f64 v[16:17], v[48:49], v[54:55]
	v_fma_f64 v[16:17], v[46:47], v[14:15], -v[16:17]
	v_mul_f64 v[46:47], v[46:47], v[54:55]
	v_add_f64 v[10:11], v[10:11], -v[16:17]
	v_fma_f64 v[46:47], v[48:49], v[14:15], v[46:47]
	v_add_f64 v[12:13], v[12:13], -v[46:47]
	ds_read2_b64 v[46:49], v1 offset0:18 offset1:19
	s_waitcnt lgkmcnt(0)
	v_mul_f64 v[16:17], v[48:49], v[54:55]
	v_fma_f64 v[16:17], v[46:47], v[14:15], -v[16:17]
	v_mul_f64 v[46:47], v[46:47], v[54:55]
	v_add_f64 v[6:7], v[6:7], -v[16:17]
	v_fma_f64 v[46:47], v[48:49], v[14:15], v[46:47]
	v_add_f64 v[8:9], v[8:9], -v[46:47]
	ds_read2_b64 v[46:49], v1 offset0:20 offset1:21
	s_waitcnt lgkmcnt(0)
	v_mul_f64 v[16:17], v[48:49], v[54:55]
	v_fma_f64 v[16:17], v[46:47], v[14:15], -v[16:17]
	v_mul_f64 v[46:47], v[46:47], v[54:55]
	v_add_f64 v[2:3], v[2:3], -v[16:17]
	v_fma_f64 v[46:47], v[48:49], v[14:15], v[46:47]
	v_mov_b32_e32 v16, v54
	v_mov_b32_e32 v17, v55
	v_add_f64 v[4:5], v[4:5], -v[46:47]
.LBB20_167:
	s_or_b32 exec_lo, exec_lo, s0
	v_lshl_add_u32 v46, v60, 4, v1
	s_barrier
	buffer_gl0_inv
	v_mov_b32_e32 v54, 8
	ds_write2_b64 v46, v[10:11], v[12:13] offset1:1
	s_waitcnt lgkmcnt(0)
	s_barrier
	buffer_gl0_inv
	ds_read2_b64 v[46:49], v1 offset0:16 offset1:17
	s_cmp_lt_i32 s3, 10
	s_cbranch_scc1 .LBB20_170
; %bb.168:
	v_add3_u32 v55, v56, 0, 0x90
	v_mov_b32_e32 v54, 8
	s_mov_b32 s1, 9
	s_inst_prefetch 0x1
	.p2align	6
.LBB20_169:                             ; =>This Inner Loop Header: Depth=1
	s_waitcnt lgkmcnt(0)
	v_cmp_gt_f64_e32 vcc_lo, 0, v[48:49]
	v_cmp_gt_f64_e64 s0, 0, v[46:47]
	ds_read2_b64 v[61:64], v55 offset1:1
	v_xor_b32_e32 v66, 0x80000000, v47
	v_xor_b32_e32 v68, 0x80000000, v49
	v_mov_b32_e32 v65, v46
	v_mov_b32_e32 v67, v48
	v_add_nc_u32_e32 v55, 16, v55
	s_waitcnt lgkmcnt(0)
	v_xor_b32_e32 v70, 0x80000000, v64
	v_cndmask_b32_e64 v66, v47, v66, s0
	v_cndmask_b32_e32 v68, v49, v68, vcc_lo
	v_cmp_gt_f64_e32 vcc_lo, 0, v[63:64]
	v_cmp_gt_f64_e64 s0, 0, v[61:62]
	v_mov_b32_e32 v69, v63
	v_add_f64 v[65:66], v[65:66], v[67:68]
	v_xor_b32_e32 v68, 0x80000000, v62
	v_mov_b32_e32 v67, v61
	v_cndmask_b32_e32 v70, v64, v70, vcc_lo
	v_cndmask_b32_e64 v68, v62, v68, s0
	v_add_f64 v[67:68], v[67:68], v[69:70]
	v_cmp_lt_f64_e32 vcc_lo, v[65:66], v[67:68]
	v_cndmask_b32_e32 v47, v47, v62, vcc_lo
	v_cndmask_b32_e32 v46, v46, v61, vcc_lo
	;; [unrolled: 1-line block ×4, first 2 shown]
	v_cndmask_b32_e64 v54, v54, s1, vcc_lo
	s_add_i32 s1, s1, 1
	s_cmp_lg_u32 s3, s1
	s_cbranch_scc1 .LBB20_169
.LBB20_170:
	s_inst_prefetch 0x2
	s_waitcnt lgkmcnt(0)
	v_cmp_eq_f64_e32 vcc_lo, 0, v[46:47]
	v_cmp_eq_f64_e64 s0, 0, v[48:49]
	s_and_b32 s0, vcc_lo, s0
	s_and_saveexec_b32 s1, s0
	s_xor_b32 s0, exec_lo, s1
; %bb.171:
	v_cmp_ne_u32_e32 vcc_lo, 0, v59
	v_cndmask_b32_e32 v59, 9, v59, vcc_lo
; %bb.172:
	s_andn2_saveexec_b32 s0, s0
	s_cbranch_execz .LBB20_178
; %bb.173:
	v_cmp_ngt_f64_e64 s1, |v[46:47]|, |v[48:49]|
	s_and_saveexec_b32 s2, s1
	s_xor_b32 s1, exec_lo, s2
	s_cbranch_execz .LBB20_175
; %bb.174:
	v_div_scale_f64 v[61:62], null, v[48:49], v[48:49], v[46:47]
	v_div_scale_f64 v[67:68], vcc_lo, v[46:47], v[48:49], v[46:47]
	v_rcp_f64_e32 v[63:64], v[61:62]
	v_fma_f64 v[65:66], -v[61:62], v[63:64], 1.0
	v_fma_f64 v[63:64], v[63:64], v[65:66], v[63:64]
	v_fma_f64 v[65:66], -v[61:62], v[63:64], 1.0
	v_fma_f64 v[63:64], v[63:64], v[65:66], v[63:64]
	v_mul_f64 v[65:66], v[67:68], v[63:64]
	v_fma_f64 v[61:62], -v[61:62], v[65:66], v[67:68]
	v_div_fmas_f64 v[61:62], v[61:62], v[63:64], v[65:66]
	v_div_fixup_f64 v[61:62], v[61:62], v[48:49], v[46:47]
	v_fma_f64 v[46:47], v[46:47], v[61:62], v[48:49]
	v_div_scale_f64 v[48:49], null, v[46:47], v[46:47], 1.0
	v_rcp_f64_e32 v[63:64], v[48:49]
	v_fma_f64 v[65:66], -v[48:49], v[63:64], 1.0
	v_fma_f64 v[63:64], v[63:64], v[65:66], v[63:64]
	v_fma_f64 v[65:66], -v[48:49], v[63:64], 1.0
	v_fma_f64 v[63:64], v[63:64], v[65:66], v[63:64]
	v_div_scale_f64 v[65:66], vcc_lo, 1.0, v[46:47], 1.0
	v_mul_f64 v[67:68], v[65:66], v[63:64]
	v_fma_f64 v[48:49], -v[48:49], v[67:68], v[65:66]
	v_div_fmas_f64 v[48:49], v[48:49], v[63:64], v[67:68]
	v_div_fixup_f64 v[48:49], v[48:49], v[46:47], 1.0
	v_mul_f64 v[46:47], v[61:62], v[48:49]
	v_xor_b32_e32 v49, 0x80000000, v49
.LBB20_175:
	s_andn2_saveexec_b32 s1, s1
	s_cbranch_execz .LBB20_177
; %bb.176:
	v_div_scale_f64 v[61:62], null, v[46:47], v[46:47], v[48:49]
	v_div_scale_f64 v[67:68], vcc_lo, v[48:49], v[46:47], v[48:49]
	v_rcp_f64_e32 v[63:64], v[61:62]
	v_fma_f64 v[65:66], -v[61:62], v[63:64], 1.0
	v_fma_f64 v[63:64], v[63:64], v[65:66], v[63:64]
	v_fma_f64 v[65:66], -v[61:62], v[63:64], 1.0
	v_fma_f64 v[63:64], v[63:64], v[65:66], v[63:64]
	v_mul_f64 v[65:66], v[67:68], v[63:64]
	v_fma_f64 v[61:62], -v[61:62], v[65:66], v[67:68]
	v_div_fmas_f64 v[61:62], v[61:62], v[63:64], v[65:66]
	v_div_fixup_f64 v[61:62], v[61:62], v[46:47], v[48:49]
	v_fma_f64 v[46:47], v[48:49], v[61:62], v[46:47]
	v_div_scale_f64 v[48:49], null, v[46:47], v[46:47], 1.0
	v_rcp_f64_e32 v[63:64], v[48:49]
	v_fma_f64 v[65:66], -v[48:49], v[63:64], 1.0
	v_fma_f64 v[63:64], v[63:64], v[65:66], v[63:64]
	v_fma_f64 v[65:66], -v[48:49], v[63:64], 1.0
	v_fma_f64 v[63:64], v[63:64], v[65:66], v[63:64]
	v_div_scale_f64 v[65:66], vcc_lo, 1.0, v[46:47], 1.0
	v_mul_f64 v[67:68], v[65:66], v[63:64]
	v_fma_f64 v[48:49], -v[48:49], v[67:68], v[65:66]
	v_div_fmas_f64 v[48:49], v[48:49], v[63:64], v[67:68]
	v_div_fixup_f64 v[46:47], v[48:49], v[46:47], 1.0
	v_mul_f64 v[48:49], v[61:62], -v[46:47]
.LBB20_177:
	s_or_b32 exec_lo, exec_lo, s1
.LBB20_178:
	s_or_b32 exec_lo, exec_lo, s0
	s_mov_b32 s0, exec_lo
	v_cmpx_ne_u32_e64 v60, v54
	s_xor_b32 s0, exec_lo, s0
	s_cbranch_execz .LBB20_184
; %bb.179:
	s_mov_b32 s1, exec_lo
	v_cmpx_eq_u32_e32 8, v60
	s_cbranch_execz .LBB20_183
; %bb.180:
	v_cmp_ne_u32_e32 vcc_lo, 8, v54
	s_xor_b32 s2, s16, -1
	s_and_b32 s7, s2, vcc_lo
	s_and_saveexec_b32 s2, s7
	s_cbranch_execz .LBB20_182
; %bb.181:
	v_ashrrev_i32_e32 v55, 31, v54
	v_lshlrev_b64 v[60:61], 2, v[54:55]
	v_add_co_u32 v60, vcc_lo, v52, v60
	v_add_co_ci_u32_e64 v61, null, v53, v61, vcc_lo
	s_clause 0x1
	global_load_dword v0, v[60:61], off
	global_load_dword v55, v[52:53], off offset:32
	s_waitcnt vmcnt(1)
	global_store_dword v[52:53], v0, off offset:32
	s_waitcnt vmcnt(0)
	global_store_dword v[60:61], v55, off
.LBB20_182:
	s_or_b32 exec_lo, exec_lo, s2
	v_mov_b32_e32 v60, v54
	v_mov_b32_e32 v0, v54
.LBB20_183:
	s_or_b32 exec_lo, exec_lo, s1
.LBB20_184:
	s_andn2_saveexec_b32 s0, s0
	s_cbranch_execz .LBB20_186
; %bb.185:
	v_mov_b32_e32 v60, 8
	ds_write2_b64 v1, v[6:7], v[8:9] offset0:18 offset1:19
	ds_write2_b64 v1, v[2:3], v[4:5] offset0:20 offset1:21
.LBB20_186:
	s_or_b32 exec_lo, exec_lo, s0
	s_mov_b32 s0, exec_lo
	s_waitcnt lgkmcnt(0)
	s_waitcnt_vscnt null, 0x0
	s_barrier
	buffer_gl0_inv
	v_cmpx_lt_i32_e32 8, v60
	s_cbranch_execz .LBB20_188
; %bb.187:
	v_mul_f64 v[54:55], v[46:47], v[12:13]
	v_mul_f64 v[12:13], v[48:49], v[12:13]
	ds_read2_b64 v[61:64], v1 offset0:18 offset1:19
	ds_read2_b64 v[65:68], v1 offset0:20 offset1:21
	v_fma_f64 v[48:49], v[48:49], v[10:11], v[54:55]
	v_fma_f64 v[10:11], v[46:47], v[10:11], -v[12:13]
	s_waitcnt lgkmcnt(1)
	v_mul_f64 v[12:13], v[63:64], v[48:49]
	v_mul_f64 v[46:47], v[61:62], v[48:49]
	s_waitcnt lgkmcnt(0)
	v_mul_f64 v[54:55], v[67:68], v[48:49]
	v_mul_f64 v[69:70], v[65:66], v[48:49]
	v_fma_f64 v[12:13], v[61:62], v[10:11], -v[12:13]
	v_fma_f64 v[46:47], v[63:64], v[10:11], v[46:47]
	v_fma_f64 v[54:55], v[65:66], v[10:11], -v[54:55]
	v_fma_f64 v[61:62], v[67:68], v[10:11], v[69:70]
	v_add_f64 v[6:7], v[6:7], -v[12:13]
	v_add_f64 v[8:9], v[8:9], -v[46:47]
	;; [unrolled: 1-line block ×4, first 2 shown]
	v_mov_b32_e32 v12, v48
	v_mov_b32_e32 v13, v49
.LBB20_188:
	s_or_b32 exec_lo, exec_lo, s0
	v_lshl_add_u32 v46, v60, 4, v1
	s_barrier
	buffer_gl0_inv
	v_mov_b32_e32 v54, 9
	ds_write2_b64 v46, v[6:7], v[8:9] offset1:1
	s_waitcnt lgkmcnt(0)
	s_barrier
	buffer_gl0_inv
	ds_read2_b64 v[46:49], v1 offset0:18 offset1:19
	s_cmp_lt_i32 s3, 11
	s_cbranch_scc1 .LBB20_191
; %bb.189:
	v_add3_u32 v55, v56, 0, 0xa0
	v_mov_b32_e32 v54, 9
	s_mov_b32 s1, 10
	s_inst_prefetch 0x1
	.p2align	6
.LBB20_190:                             ; =>This Inner Loop Header: Depth=1
	s_waitcnt lgkmcnt(0)
	v_cmp_gt_f64_e32 vcc_lo, 0, v[48:49]
	v_cmp_gt_f64_e64 s0, 0, v[46:47]
	ds_read2_b64 v[61:64], v55 offset1:1
	v_xor_b32_e32 v66, 0x80000000, v47
	v_xor_b32_e32 v68, 0x80000000, v49
	v_mov_b32_e32 v65, v46
	v_mov_b32_e32 v67, v48
	v_add_nc_u32_e32 v55, 16, v55
	s_waitcnt lgkmcnt(0)
	v_xor_b32_e32 v70, 0x80000000, v64
	v_cndmask_b32_e64 v66, v47, v66, s0
	v_cndmask_b32_e32 v68, v49, v68, vcc_lo
	v_cmp_gt_f64_e32 vcc_lo, 0, v[63:64]
	v_cmp_gt_f64_e64 s0, 0, v[61:62]
	v_mov_b32_e32 v69, v63
	v_add_f64 v[65:66], v[65:66], v[67:68]
	v_xor_b32_e32 v68, 0x80000000, v62
	v_mov_b32_e32 v67, v61
	v_cndmask_b32_e32 v70, v64, v70, vcc_lo
	v_cndmask_b32_e64 v68, v62, v68, s0
	v_add_f64 v[67:68], v[67:68], v[69:70]
	v_cmp_lt_f64_e32 vcc_lo, v[65:66], v[67:68]
	v_cndmask_b32_e32 v47, v47, v62, vcc_lo
	v_cndmask_b32_e32 v46, v46, v61, vcc_lo
	;; [unrolled: 1-line block ×4, first 2 shown]
	v_cndmask_b32_e64 v54, v54, s1, vcc_lo
	s_add_i32 s1, s1, 1
	s_cmp_lg_u32 s3, s1
	s_cbranch_scc1 .LBB20_190
.LBB20_191:
	s_inst_prefetch 0x2
	s_waitcnt lgkmcnt(0)
	v_cmp_eq_f64_e32 vcc_lo, 0, v[46:47]
	v_cmp_eq_f64_e64 s0, 0, v[48:49]
	s_and_b32 s0, vcc_lo, s0
	s_and_saveexec_b32 s1, s0
	s_xor_b32 s0, exec_lo, s1
; %bb.192:
	v_cmp_ne_u32_e32 vcc_lo, 0, v59
	v_cndmask_b32_e32 v59, 10, v59, vcc_lo
; %bb.193:
	s_andn2_saveexec_b32 s0, s0
	s_cbranch_execz .LBB20_199
; %bb.194:
	v_cmp_ngt_f64_e64 s1, |v[46:47]|, |v[48:49]|
	s_and_saveexec_b32 s2, s1
	s_xor_b32 s1, exec_lo, s2
	s_cbranch_execz .LBB20_196
; %bb.195:
	v_div_scale_f64 v[61:62], null, v[48:49], v[48:49], v[46:47]
	v_div_scale_f64 v[67:68], vcc_lo, v[46:47], v[48:49], v[46:47]
	v_rcp_f64_e32 v[63:64], v[61:62]
	v_fma_f64 v[65:66], -v[61:62], v[63:64], 1.0
	v_fma_f64 v[63:64], v[63:64], v[65:66], v[63:64]
	v_fma_f64 v[65:66], -v[61:62], v[63:64], 1.0
	v_fma_f64 v[63:64], v[63:64], v[65:66], v[63:64]
	v_mul_f64 v[65:66], v[67:68], v[63:64]
	v_fma_f64 v[61:62], -v[61:62], v[65:66], v[67:68]
	v_div_fmas_f64 v[61:62], v[61:62], v[63:64], v[65:66]
	v_div_fixup_f64 v[61:62], v[61:62], v[48:49], v[46:47]
	v_fma_f64 v[46:47], v[46:47], v[61:62], v[48:49]
	v_div_scale_f64 v[48:49], null, v[46:47], v[46:47], 1.0
	v_rcp_f64_e32 v[63:64], v[48:49]
	v_fma_f64 v[65:66], -v[48:49], v[63:64], 1.0
	v_fma_f64 v[63:64], v[63:64], v[65:66], v[63:64]
	v_fma_f64 v[65:66], -v[48:49], v[63:64], 1.0
	v_fma_f64 v[63:64], v[63:64], v[65:66], v[63:64]
	v_div_scale_f64 v[65:66], vcc_lo, 1.0, v[46:47], 1.0
	v_mul_f64 v[67:68], v[65:66], v[63:64]
	v_fma_f64 v[48:49], -v[48:49], v[67:68], v[65:66]
	v_div_fmas_f64 v[48:49], v[48:49], v[63:64], v[67:68]
	v_div_fixup_f64 v[48:49], v[48:49], v[46:47], 1.0
	v_mul_f64 v[46:47], v[61:62], v[48:49]
	v_xor_b32_e32 v49, 0x80000000, v49
.LBB20_196:
	s_andn2_saveexec_b32 s1, s1
	s_cbranch_execz .LBB20_198
; %bb.197:
	v_div_scale_f64 v[61:62], null, v[46:47], v[46:47], v[48:49]
	v_div_scale_f64 v[67:68], vcc_lo, v[48:49], v[46:47], v[48:49]
	v_rcp_f64_e32 v[63:64], v[61:62]
	v_fma_f64 v[65:66], -v[61:62], v[63:64], 1.0
	v_fma_f64 v[63:64], v[63:64], v[65:66], v[63:64]
	v_fma_f64 v[65:66], -v[61:62], v[63:64], 1.0
	v_fma_f64 v[63:64], v[63:64], v[65:66], v[63:64]
	v_mul_f64 v[65:66], v[67:68], v[63:64]
	v_fma_f64 v[61:62], -v[61:62], v[65:66], v[67:68]
	v_div_fmas_f64 v[61:62], v[61:62], v[63:64], v[65:66]
	v_div_fixup_f64 v[61:62], v[61:62], v[46:47], v[48:49]
	v_fma_f64 v[46:47], v[48:49], v[61:62], v[46:47]
	v_div_scale_f64 v[48:49], null, v[46:47], v[46:47], 1.0
	v_rcp_f64_e32 v[63:64], v[48:49]
	v_fma_f64 v[65:66], -v[48:49], v[63:64], 1.0
	v_fma_f64 v[63:64], v[63:64], v[65:66], v[63:64]
	v_fma_f64 v[65:66], -v[48:49], v[63:64], 1.0
	v_fma_f64 v[63:64], v[63:64], v[65:66], v[63:64]
	v_div_scale_f64 v[65:66], vcc_lo, 1.0, v[46:47], 1.0
	v_mul_f64 v[67:68], v[65:66], v[63:64]
	v_fma_f64 v[48:49], -v[48:49], v[67:68], v[65:66]
	v_div_fmas_f64 v[48:49], v[48:49], v[63:64], v[67:68]
	v_div_fixup_f64 v[46:47], v[48:49], v[46:47], 1.0
	v_mul_f64 v[48:49], v[61:62], -v[46:47]
.LBB20_198:
	s_or_b32 exec_lo, exec_lo, s1
.LBB20_199:
	s_or_b32 exec_lo, exec_lo, s0
	s_mov_b32 s0, exec_lo
	v_cmpx_ne_u32_e64 v60, v54
	s_xor_b32 s0, exec_lo, s0
	s_cbranch_execz .LBB20_205
; %bb.200:
	s_mov_b32 s1, exec_lo
	v_cmpx_eq_u32_e32 9, v60
	s_cbranch_execz .LBB20_204
; %bb.201:
	v_cmp_ne_u32_e32 vcc_lo, 9, v54
	s_xor_b32 s2, s16, -1
	s_and_b32 s7, s2, vcc_lo
	s_and_saveexec_b32 s2, s7
	s_cbranch_execz .LBB20_203
; %bb.202:
	v_ashrrev_i32_e32 v55, 31, v54
	v_lshlrev_b64 v[60:61], 2, v[54:55]
	v_add_co_u32 v60, vcc_lo, v52, v60
	v_add_co_ci_u32_e64 v61, null, v53, v61, vcc_lo
	s_clause 0x1
	global_load_dword v0, v[60:61], off
	global_load_dword v55, v[52:53], off offset:36
	s_waitcnt vmcnt(1)
	global_store_dword v[52:53], v0, off offset:36
	s_waitcnt vmcnt(0)
	global_store_dword v[60:61], v55, off
.LBB20_203:
	s_or_b32 exec_lo, exec_lo, s2
	v_mov_b32_e32 v60, v54
	v_mov_b32_e32 v0, v54
.LBB20_204:
	s_or_b32 exec_lo, exec_lo, s1
.LBB20_205:
	s_andn2_saveexec_b32 s0, s0
; %bb.206:
	v_mov_b32_e32 v60, 9
	ds_write2_b64 v1, v[2:3], v[4:5] offset0:20 offset1:21
; %bb.207:
	s_or_b32 exec_lo, exec_lo, s0
	s_mov_b32 s0, exec_lo
	s_waitcnt lgkmcnt(0)
	s_waitcnt_vscnt null, 0x0
	s_barrier
	buffer_gl0_inv
	v_cmpx_lt_i32_e32 9, v60
	s_cbranch_execz .LBB20_209
; %bb.208:
	v_mul_f64 v[54:55], v[46:47], v[8:9]
	v_mul_f64 v[8:9], v[48:49], v[8:9]
	ds_read2_b64 v[61:64], v1 offset0:20 offset1:21
	v_fma_f64 v[48:49], v[48:49], v[6:7], v[54:55]
	v_fma_f64 v[6:7], v[46:47], v[6:7], -v[8:9]
	s_waitcnt lgkmcnt(0)
	v_mul_f64 v[8:9], v[63:64], v[48:49]
	v_mul_f64 v[46:47], v[61:62], v[48:49]
	v_fma_f64 v[8:9], v[61:62], v[6:7], -v[8:9]
	v_fma_f64 v[46:47], v[63:64], v[6:7], v[46:47]
	v_add_f64 v[2:3], v[2:3], -v[8:9]
	v_add_f64 v[4:5], v[4:5], -v[46:47]
	v_mov_b32_e32 v8, v48
	v_mov_b32_e32 v9, v49
.LBB20_209:
	s_or_b32 exec_lo, exec_lo, s0
	v_lshl_add_u32 v46, v60, 4, v1
	s_barrier
	buffer_gl0_inv
	v_mov_b32_e32 v54, 10
	ds_write2_b64 v46, v[2:3], v[4:5] offset1:1
	s_waitcnt lgkmcnt(0)
	s_barrier
	buffer_gl0_inv
	ds_read2_b64 v[46:49], v1 offset0:20 offset1:21
	s_cmp_lt_i32 s3, 12
	s_cbranch_scc1 .LBB20_212
; %bb.210:
	v_add3_u32 v1, v56, 0, 0xb0
	v_mov_b32_e32 v54, 10
	s_mov_b32 s1, 11
	s_inst_prefetch 0x1
	.p2align	6
.LBB20_211:                             ; =>This Inner Loop Header: Depth=1
	s_waitcnt lgkmcnt(0)
	v_cmp_gt_f64_e32 vcc_lo, 0, v[48:49]
	v_cmp_gt_f64_e64 s0, 0, v[46:47]
	ds_read2_b64 v[61:64], v1 offset1:1
	v_xor_b32_e32 v56, 0x80000000, v47
	v_xor_b32_e32 v66, 0x80000000, v49
	v_mov_b32_e32 v55, v46
	v_mov_b32_e32 v65, v48
	v_add_nc_u32_e32 v1, 16, v1
	s_waitcnt lgkmcnt(0)
	v_xor_b32_e32 v68, 0x80000000, v64
	v_cndmask_b32_e64 v56, v47, v56, s0
	v_cndmask_b32_e32 v66, v49, v66, vcc_lo
	v_cmp_gt_f64_e32 vcc_lo, 0, v[63:64]
	v_cmp_gt_f64_e64 s0, 0, v[61:62]
	v_mov_b32_e32 v67, v63
	v_add_f64 v[55:56], v[55:56], v[65:66]
	v_xor_b32_e32 v66, 0x80000000, v62
	v_mov_b32_e32 v65, v61
	v_cndmask_b32_e32 v68, v64, v68, vcc_lo
	v_cndmask_b32_e64 v66, v62, v66, s0
	v_add_f64 v[65:66], v[65:66], v[67:68]
	v_cmp_lt_f64_e32 vcc_lo, v[55:56], v[65:66]
	v_cndmask_b32_e32 v47, v47, v62, vcc_lo
	v_cndmask_b32_e32 v46, v46, v61, vcc_lo
	;; [unrolled: 1-line block ×4, first 2 shown]
	v_cndmask_b32_e64 v54, v54, s1, vcc_lo
	s_add_i32 s1, s1, 1
	s_cmp_lg_u32 s3, s1
	s_cbranch_scc1 .LBB20_211
.LBB20_212:
	s_inst_prefetch 0x2
	s_waitcnt lgkmcnt(0)
	v_cmp_eq_f64_e32 vcc_lo, 0, v[46:47]
	v_cmp_eq_f64_e64 s0, 0, v[48:49]
	s_and_b32 s0, vcc_lo, s0
	s_and_saveexec_b32 s1, s0
	s_xor_b32 s0, exec_lo, s1
; %bb.213:
	v_cmp_ne_u32_e32 vcc_lo, 0, v59
	v_cndmask_b32_e32 v59, 11, v59, vcc_lo
; %bb.214:
	s_andn2_saveexec_b32 s0, s0
	s_cbranch_execz .LBB20_220
; %bb.215:
	v_cmp_ngt_f64_e64 s1, |v[46:47]|, |v[48:49]|
	s_and_saveexec_b32 s2, s1
	s_xor_b32 s1, exec_lo, s2
	s_cbranch_execz .LBB20_217
; %bb.216:
	v_div_scale_f64 v[55:56], null, v[48:49], v[48:49], v[46:47]
	v_div_scale_f64 v[65:66], vcc_lo, v[46:47], v[48:49], v[46:47]
	v_rcp_f64_e32 v[61:62], v[55:56]
	v_fma_f64 v[63:64], -v[55:56], v[61:62], 1.0
	v_fma_f64 v[61:62], v[61:62], v[63:64], v[61:62]
	v_fma_f64 v[63:64], -v[55:56], v[61:62], 1.0
	v_fma_f64 v[61:62], v[61:62], v[63:64], v[61:62]
	v_mul_f64 v[63:64], v[65:66], v[61:62]
	v_fma_f64 v[55:56], -v[55:56], v[63:64], v[65:66]
	v_div_fmas_f64 v[55:56], v[55:56], v[61:62], v[63:64]
	v_div_fixup_f64 v[55:56], v[55:56], v[48:49], v[46:47]
	v_fma_f64 v[46:47], v[46:47], v[55:56], v[48:49]
	v_div_scale_f64 v[48:49], null, v[46:47], v[46:47], 1.0
	v_rcp_f64_e32 v[61:62], v[48:49]
	v_fma_f64 v[63:64], -v[48:49], v[61:62], 1.0
	v_fma_f64 v[61:62], v[61:62], v[63:64], v[61:62]
	v_fma_f64 v[63:64], -v[48:49], v[61:62], 1.0
	v_fma_f64 v[61:62], v[61:62], v[63:64], v[61:62]
	v_div_scale_f64 v[63:64], vcc_lo, 1.0, v[46:47], 1.0
	v_mul_f64 v[65:66], v[63:64], v[61:62]
	v_fma_f64 v[48:49], -v[48:49], v[65:66], v[63:64]
	v_div_fmas_f64 v[48:49], v[48:49], v[61:62], v[65:66]
	v_div_fixup_f64 v[48:49], v[48:49], v[46:47], 1.0
	v_mul_f64 v[46:47], v[55:56], v[48:49]
	v_xor_b32_e32 v49, 0x80000000, v49
.LBB20_217:
	s_andn2_saveexec_b32 s1, s1
	s_cbranch_execz .LBB20_219
; %bb.218:
	v_div_scale_f64 v[55:56], null, v[46:47], v[46:47], v[48:49]
	v_div_scale_f64 v[65:66], vcc_lo, v[48:49], v[46:47], v[48:49]
	v_rcp_f64_e32 v[61:62], v[55:56]
	v_fma_f64 v[63:64], -v[55:56], v[61:62], 1.0
	v_fma_f64 v[61:62], v[61:62], v[63:64], v[61:62]
	v_fma_f64 v[63:64], -v[55:56], v[61:62], 1.0
	v_fma_f64 v[61:62], v[61:62], v[63:64], v[61:62]
	v_mul_f64 v[63:64], v[65:66], v[61:62]
	v_fma_f64 v[55:56], -v[55:56], v[63:64], v[65:66]
	v_div_fmas_f64 v[55:56], v[55:56], v[61:62], v[63:64]
	v_div_fixup_f64 v[55:56], v[55:56], v[46:47], v[48:49]
	v_fma_f64 v[46:47], v[48:49], v[55:56], v[46:47]
	v_div_scale_f64 v[48:49], null, v[46:47], v[46:47], 1.0
	v_rcp_f64_e32 v[61:62], v[48:49]
	v_fma_f64 v[63:64], -v[48:49], v[61:62], 1.0
	v_fma_f64 v[61:62], v[61:62], v[63:64], v[61:62]
	v_fma_f64 v[63:64], -v[48:49], v[61:62], 1.0
	v_fma_f64 v[61:62], v[61:62], v[63:64], v[61:62]
	v_div_scale_f64 v[63:64], vcc_lo, 1.0, v[46:47], 1.0
	v_mul_f64 v[65:66], v[63:64], v[61:62]
	v_fma_f64 v[48:49], -v[48:49], v[65:66], v[63:64]
	v_div_fmas_f64 v[48:49], v[48:49], v[61:62], v[65:66]
	v_div_fixup_f64 v[46:47], v[48:49], v[46:47], 1.0
	v_mul_f64 v[48:49], v[55:56], -v[46:47]
.LBB20_219:
	s_or_b32 exec_lo, exec_lo, s1
.LBB20_220:
	s_or_b32 exec_lo, exec_lo, s0
	v_mov_b32_e32 v55, 10
	s_mov_b32 s0, exec_lo
	v_cmpx_ne_u32_e64 v60, v54
	s_cbranch_execz .LBB20_226
; %bb.221:
	s_mov_b32 s1, exec_lo
	v_cmpx_eq_u32_e32 10, v60
	s_cbranch_execz .LBB20_225
; %bb.222:
	v_cmp_ne_u32_e32 vcc_lo, 10, v54
	s_xor_b32 s2, s16, -1
	s_and_b32 s3, s2, vcc_lo
	s_and_saveexec_b32 s2, s3
	s_cbranch_execz .LBB20_224
; %bb.223:
	v_ashrrev_i32_e32 v55, 31, v54
	v_lshlrev_b64 v[0:1], 2, v[54:55]
	v_add_co_u32 v0, vcc_lo, v52, v0
	v_add_co_ci_u32_e64 v1, null, v53, v1, vcc_lo
	s_clause 0x1
	global_load_dword v55, v[0:1], off
	global_load_dword v56, v[52:53], off offset:40
	s_waitcnt vmcnt(1)
	global_store_dword v[52:53], v55, off offset:40
	s_waitcnt vmcnt(0)
	global_store_dword v[0:1], v56, off
.LBB20_224:
	s_or_b32 exec_lo, exec_lo, s2
	v_mov_b32_e32 v60, v54
	v_mov_b32_e32 v0, v54
.LBB20_225:
	s_or_b32 exec_lo, exec_lo, s1
	v_mov_b32_e32 v55, v60
.LBB20_226:
	s_or_b32 exec_lo, exec_lo, s0
	s_mov_b32 s0, exec_lo
	s_waitcnt_vscnt null, 0x0
	s_barrier
	buffer_gl0_inv
	v_cmpx_lt_i32_e32 10, v55
	s_cbranch_execz .LBB20_228
; %bb.227:
	v_mul_f64 v[52:53], v[48:49], v[4:5]
	v_mul_f64 v[4:5], v[46:47], v[4:5]
	v_fma_f64 v[46:47], v[46:47], v[2:3], -v[52:53]
	v_fma_f64 v[4:5], v[48:49], v[2:3], v[4:5]
	v_mov_b32_e32 v2, v46
	v_mov_b32_e32 v3, v47
.LBB20_228:
	s_or_b32 exec_lo, exec_lo, s0
	v_ashrrev_i32_e32 v56, 31, v55
	s_mov_b32 s0, exec_lo
	s_barrier
	buffer_gl0_inv
	v_cmpx_gt_i32_e32 11, v55
	s_cbranch_execz .LBB20_230
; %bb.229:
	v_mul_lo_u32 v1, s15, v50
	v_mul_lo_u32 v48, s14, v51
	v_mad_u64_u32 v[46:47], null, s14, v50, 0
	s_lshl_b64 s[2:3], s[12:13], 2
	v_add3_u32 v0, v0, s17, 1
	v_add3_u32 v47, v47, v48, v1
	v_lshlrev_b64 v[46:47], 2, v[46:47]
	v_add_co_u32 v1, vcc_lo, s10, v46
	v_add_co_ci_u32_e64 v48, null, s11, v47, vcc_lo
	v_lshlrev_b64 v[46:47], 2, v[55:56]
	v_add_co_u32 v1, vcc_lo, v1, s2
	v_add_co_ci_u32_e64 v48, null, s3, v48, vcc_lo
	v_add_co_u32 v46, vcc_lo, v1, v46
	v_add_co_ci_u32_e64 v47, null, v48, v47, vcc_lo
	global_store_dword v[46:47], v0, off
.LBB20_230:
	s_or_b32 exec_lo, exec_lo, s0
	s_mov_b32 s1, exec_lo
	v_cmpx_eq_u32_e32 0, v55
	s_cbranch_execz .LBB20_233
; %bb.231:
	v_lshlrev_b64 v[0:1], 2, v[50:51]
	v_cmp_ne_u32_e64 s0, 0, v59
	v_add_co_u32 v0, vcc_lo, s4, v0
	v_add_co_ci_u32_e64 v1, null, s5, v1, vcc_lo
	global_load_dword v46, v[0:1], off
	s_waitcnt vmcnt(0)
	v_cmp_eq_u32_e32 vcc_lo, 0, v46
	s_and_b32 s0, vcc_lo, s0
	s_and_b32 exec_lo, exec_lo, s0
	s_cbranch_execz .LBB20_233
; %bb.232:
	v_add_nc_u32_e32 v46, s17, v59
	global_store_dword v[0:1], v46, off
.LBB20_233:
	s_or_b32 exec_lo, exec_lo, s1
	v_add3_u32 v0, s6, s6, v55
	v_lshlrev_b64 v[46:47], 4, v[55:56]
	v_add_nc_u32_e32 v48, s6, v0
	v_ashrrev_i32_e32 v1, 31, v0
	v_add_co_u32 v46, vcc_lo, v57, v46
	v_add_co_ci_u32_e64 v47, null, v58, v47, vcc_lo
	v_ashrrev_i32_e32 v49, 31, v48
	v_lshlrev_b64 v[0:1], 4, v[0:1]
	global_store_dwordx4 v[46:47], v[42:45], off
	v_add_co_u32 v42, vcc_lo, v46, s8
	v_add_nc_u32_e32 v46, s6, v48
	v_lshlrev_b64 v[44:45], 4, v[48:49]
	v_add_co_ci_u32_e64 v43, null, s9, v47, vcc_lo
	v_add_co_u32 v0, vcc_lo, v57, v0
	v_add_nc_u32_e32 v48, s6, v46
	v_add_co_ci_u32_e64 v1, null, v58, v1, vcc_lo
	v_add_co_u32 v44, vcc_lo, v57, v44
	v_ashrrev_i32_e32 v47, 31, v46
	v_add_co_ci_u32_e64 v45, null, v58, v45, vcc_lo
	v_ashrrev_i32_e32 v49, 31, v48
	global_store_dwordx4 v[42:43], v[38:41], off
	v_lshlrev_b64 v[38:39], 4, v[46:47]
	global_store_dwordx4 v[0:1], v[34:37], off
	global_store_dwordx4 v[44:45], v[30:33], off
	v_add_nc_u32_e32 v30, s6, v48
	v_lshlrev_b64 v[0:1], 4, v[48:49]
	v_add_co_u32 v32, vcc_lo, v57, v38
	v_add_nc_u32_e32 v34, s6, v30
	v_add_co_ci_u32_e64 v33, null, v58, v39, vcc_lo
	v_add_co_u32 v0, vcc_lo, v57, v0
	v_add_co_ci_u32_e64 v1, null, v58, v1, vcc_lo
	v_add_nc_u32_e32 v36, s6, v34
	v_ashrrev_i32_e32 v31, 31, v30
	global_store_dwordx4 v[32:33], v[26:29], off
	global_store_dwordx4 v[0:1], v[22:25], off
	v_ashrrev_i32_e32 v35, 31, v34
	v_add_nc_u32_e32 v22, s6, v36
	v_lshlrev_b64 v[26:27], 4, v[30:31]
	v_ashrrev_i32_e32 v37, 31, v36
	v_lshlrev_b64 v[0:1], 4, v[34:35]
	v_add_nc_u32_e32 v28, s6, v22
	v_ashrrev_i32_e32 v23, 31, v22
	v_add_co_u32 v24, vcc_lo, v57, v26
	v_add_co_ci_u32_e64 v25, null, v58, v27, vcc_lo
	v_ashrrev_i32_e32 v29, 31, v28
	v_lshlrev_b64 v[26:27], 4, v[36:37]
	v_lshlrev_b64 v[22:23], 4, v[22:23]
	v_add_co_u32 v0, vcc_lo, v57, v0
	v_lshlrev_b64 v[28:29], 4, v[28:29]
	v_add_co_ci_u32_e64 v1, null, v58, v1, vcc_lo
	v_add_co_u32 v26, vcc_lo, v57, v26
	v_add_co_ci_u32_e64 v27, null, v58, v27, vcc_lo
	v_add_co_u32 v22, vcc_lo, v57, v22
	;; [unrolled: 2-line block ×3, first 2 shown]
	v_add_co_ci_u32_e64 v29, null, v58, v29, vcc_lo
	global_store_dwordx4 v[24:25], v[18:21], off
	global_store_dwordx4 v[0:1], v[14:17], off
	;; [unrolled: 1-line block ×5, first 2 shown]
.LBB20_234:
	s_endpgm
	.section	.rodata,"a",@progbits
	.p2align	6, 0x0
	.amdhsa_kernel _ZN9rocsolver6v33100L18getf2_small_kernelILi11E19rocblas_complex_numIdEiiPS3_EEvT1_T3_lS5_lPS5_llPT2_S5_S5_S7_l
		.amdhsa_group_segment_fixed_size 0
		.amdhsa_private_segment_fixed_size 0
		.amdhsa_kernarg_size 352
		.amdhsa_user_sgpr_count 6
		.amdhsa_user_sgpr_private_segment_buffer 1
		.amdhsa_user_sgpr_dispatch_ptr 0
		.amdhsa_user_sgpr_queue_ptr 0
		.amdhsa_user_sgpr_kernarg_segment_ptr 1
		.amdhsa_user_sgpr_dispatch_id 0
		.amdhsa_user_sgpr_flat_scratch_init 0
		.amdhsa_user_sgpr_private_segment_size 0
		.amdhsa_wavefront_size32 1
		.amdhsa_uses_dynamic_stack 0
		.amdhsa_system_sgpr_private_segment_wavefront_offset 0
		.amdhsa_system_sgpr_workgroup_id_x 1
		.amdhsa_system_sgpr_workgroup_id_y 1
		.amdhsa_system_sgpr_workgroup_id_z 0
		.amdhsa_system_sgpr_workgroup_info 0
		.amdhsa_system_vgpr_workitem_id 1
		.amdhsa_next_free_vgpr 72
		.amdhsa_next_free_sgpr 18
		.amdhsa_reserve_vcc 1
		.amdhsa_reserve_flat_scratch 0
		.amdhsa_float_round_mode_32 0
		.amdhsa_float_round_mode_16_64 0
		.amdhsa_float_denorm_mode_32 3
		.amdhsa_float_denorm_mode_16_64 3
		.amdhsa_dx10_clamp 1
		.amdhsa_ieee_mode 1
		.amdhsa_fp16_overflow 0
		.amdhsa_workgroup_processor_mode 1
		.amdhsa_memory_ordered 1
		.amdhsa_forward_progress 1
		.amdhsa_shared_vgpr_count 0
		.amdhsa_exception_fp_ieee_invalid_op 0
		.amdhsa_exception_fp_denorm_src 0
		.amdhsa_exception_fp_ieee_div_zero 0
		.amdhsa_exception_fp_ieee_overflow 0
		.amdhsa_exception_fp_ieee_underflow 0
		.amdhsa_exception_fp_ieee_inexact 0
		.amdhsa_exception_int_div_zero 0
	.end_amdhsa_kernel
	.section	.text._ZN9rocsolver6v33100L18getf2_small_kernelILi11E19rocblas_complex_numIdEiiPS3_EEvT1_T3_lS5_lPS5_llPT2_S5_S5_S7_l,"axG",@progbits,_ZN9rocsolver6v33100L18getf2_small_kernelILi11E19rocblas_complex_numIdEiiPS3_EEvT1_T3_lS5_lPS5_llPT2_S5_S5_S7_l,comdat
.Lfunc_end20:
	.size	_ZN9rocsolver6v33100L18getf2_small_kernelILi11E19rocblas_complex_numIdEiiPS3_EEvT1_T3_lS5_lPS5_llPT2_S5_S5_S7_l, .Lfunc_end20-_ZN9rocsolver6v33100L18getf2_small_kernelILi11E19rocblas_complex_numIdEiiPS3_EEvT1_T3_lS5_lPS5_llPT2_S5_S5_S7_l
                                        ; -- End function
	.set _ZN9rocsolver6v33100L18getf2_small_kernelILi11E19rocblas_complex_numIdEiiPS3_EEvT1_T3_lS5_lPS5_llPT2_S5_S5_S7_l.num_vgpr, 72
	.set _ZN9rocsolver6v33100L18getf2_small_kernelILi11E19rocblas_complex_numIdEiiPS3_EEvT1_T3_lS5_lPS5_llPT2_S5_S5_S7_l.num_agpr, 0
	.set _ZN9rocsolver6v33100L18getf2_small_kernelILi11E19rocblas_complex_numIdEiiPS3_EEvT1_T3_lS5_lPS5_llPT2_S5_S5_S7_l.numbered_sgpr, 18
	.set _ZN9rocsolver6v33100L18getf2_small_kernelILi11E19rocblas_complex_numIdEiiPS3_EEvT1_T3_lS5_lPS5_llPT2_S5_S5_S7_l.num_named_barrier, 0
	.set _ZN9rocsolver6v33100L18getf2_small_kernelILi11E19rocblas_complex_numIdEiiPS3_EEvT1_T3_lS5_lPS5_llPT2_S5_S5_S7_l.private_seg_size, 0
	.set _ZN9rocsolver6v33100L18getf2_small_kernelILi11E19rocblas_complex_numIdEiiPS3_EEvT1_T3_lS5_lPS5_llPT2_S5_S5_S7_l.uses_vcc, 1
	.set _ZN9rocsolver6v33100L18getf2_small_kernelILi11E19rocblas_complex_numIdEiiPS3_EEvT1_T3_lS5_lPS5_llPT2_S5_S5_S7_l.uses_flat_scratch, 0
	.set _ZN9rocsolver6v33100L18getf2_small_kernelILi11E19rocblas_complex_numIdEiiPS3_EEvT1_T3_lS5_lPS5_llPT2_S5_S5_S7_l.has_dyn_sized_stack, 0
	.set _ZN9rocsolver6v33100L18getf2_small_kernelILi11E19rocblas_complex_numIdEiiPS3_EEvT1_T3_lS5_lPS5_llPT2_S5_S5_S7_l.has_recursion, 0
	.set _ZN9rocsolver6v33100L18getf2_small_kernelILi11E19rocblas_complex_numIdEiiPS3_EEvT1_T3_lS5_lPS5_llPT2_S5_S5_S7_l.has_indirect_call, 0
	.section	.AMDGPU.csdata,"",@progbits
; Kernel info:
; codeLenInByte = 15976
; TotalNumSgprs: 20
; NumVgprs: 72
; ScratchSize: 0
; MemoryBound: 0
; FloatMode: 240
; IeeeMode: 1
; LDSByteSize: 0 bytes/workgroup (compile time only)
; SGPRBlocks: 0
; VGPRBlocks: 8
; NumSGPRsForWavesPerEU: 20
; NumVGPRsForWavesPerEU: 72
; Occupancy: 12
; WaveLimiterHint : 0
; COMPUTE_PGM_RSRC2:SCRATCH_EN: 0
; COMPUTE_PGM_RSRC2:USER_SGPR: 6
; COMPUTE_PGM_RSRC2:TRAP_HANDLER: 0
; COMPUTE_PGM_RSRC2:TGID_X_EN: 1
; COMPUTE_PGM_RSRC2:TGID_Y_EN: 1
; COMPUTE_PGM_RSRC2:TGID_Z_EN: 0
; COMPUTE_PGM_RSRC2:TIDIG_COMP_CNT: 1
	.section	.text._ZN9rocsolver6v33100L23getf2_npvt_small_kernelILi11E19rocblas_complex_numIdEiiPS3_EEvT1_T3_lS5_lPT2_S5_S5_,"axG",@progbits,_ZN9rocsolver6v33100L23getf2_npvt_small_kernelILi11E19rocblas_complex_numIdEiiPS3_EEvT1_T3_lS5_lPT2_S5_S5_,comdat
	.globl	_ZN9rocsolver6v33100L23getf2_npvt_small_kernelILi11E19rocblas_complex_numIdEiiPS3_EEvT1_T3_lS5_lPT2_S5_S5_ ; -- Begin function _ZN9rocsolver6v33100L23getf2_npvt_small_kernelILi11E19rocblas_complex_numIdEiiPS3_EEvT1_T3_lS5_lPT2_S5_S5_
	.p2align	8
	.type	_ZN9rocsolver6v33100L23getf2_npvt_small_kernelILi11E19rocblas_complex_numIdEiiPS3_EEvT1_T3_lS5_lPT2_S5_S5_,@function
_ZN9rocsolver6v33100L23getf2_npvt_small_kernelILi11E19rocblas_complex_numIdEiiPS3_EEvT1_T3_lS5_lPT2_S5_S5_: ; @_ZN9rocsolver6v33100L23getf2_npvt_small_kernelILi11E19rocblas_complex_numIdEiiPS3_EEvT1_T3_lS5_lPT2_S5_S5_
; %bb.0:
	s_clause 0x1
	s_load_dword s0, s[4:5], 0x44
	s_load_dwordx2 s[12:13], s[4:5], 0x30
	s_waitcnt lgkmcnt(0)
	s_lshr_b32 s14, s0, 16
	s_mov_b32 s0, exec_lo
	v_mad_u64_u32 v[96:97], null, s7, s14, v[1:2]
	v_cmpx_gt_i32_e64 s12, v96
	s_cbranch_execz .LBB21_104
; %bb.1:
	s_clause 0x2
	s_load_dwordx4 s[8:11], s[4:5], 0x20
	s_load_dword s6, s[4:5], 0x18
	s_load_dwordx4 s[0:3], s[4:5], 0x8
	v_ashrrev_i32_e32 v97, 31, v96
	v_lshlrev_b32_e32 v12, 4, v0
	v_lshlrev_b32_e32 v46, 4, v1
	s_mulk_i32 s14, 0xb0
	v_mad_u32_u24 v114, 0xb0, v1, 0
	v_add3_u32 v1, 0, s14, v46
	s_waitcnt lgkmcnt(0)
	v_mul_lo_u32 v5, s9, v96
	v_mul_lo_u32 v7, s8, v97
	v_mad_u64_u32 v[2:3], null, s8, v96, 0
	v_add3_u32 v4, s6, s6, v0
	s_lshl_b64 s[2:3], s[2:3], 4
	s_ashr_i32 s7, s6, 31
	s_lshl_b64 s[4:5], s[6:7], 4
	v_add_nc_u32_e32 v6, s6, v4
	v_add3_u32 v3, v3, v7, v5
	v_ashrrev_i32_e32 v5, 31, v4
	v_add_nc_u32_e32 v8, s6, v6
	v_lshlrev_b64 v[2:3], 4, v[2:3]
	v_ashrrev_i32_e32 v7, 31, v6
	v_lshlrev_b64 v[4:5], 4, v[4:5]
	v_add_nc_u32_e32 v10, s6, v8
	v_ashrrev_i32_e32 v9, 31, v8
	v_add_co_u32 v13, vcc_lo, s0, v2
	v_add_co_ci_u32_e64 v14, null, s1, v3, vcc_lo
	v_add_nc_u32_e32 v18, s6, v10
	v_add_co_u32 v34, vcc_lo, v13, s2
	v_add_co_ci_u32_e64 v35, null, s3, v14, vcc_lo
	v_add_nc_u32_e32 v26, s6, v18
	v_lshlrev_b64 v[6:7], 4, v[6:7]
	v_ashrrev_i32_e32 v11, 31, v10
	v_add_co_u32 v98, vcc_lo, v34, v12
	v_ashrrev_i32_e32 v19, 31, v18
	v_lshlrev_b64 v[2:3], 4, v[8:9]
	v_add_co_ci_u32_e64 v99, null, 0, v35, vcc_lo
	v_add_co_u32 v94, vcc_lo, v34, v4
	v_add_nc_u32_e32 v28, s6, v26
	v_lshlrev_b64 v[20:21], 4, v[10:11]
	v_add_co_ci_u32_e64 v95, null, v35, v5, vcc_lo
	v_add_co_u32 v92, vcc_lo, v34, v6
	v_add_co_ci_u32_e64 v93, null, v35, v7, vcc_lo
	v_add_co_u32 v100, vcc_lo, v98, s4
	v_lshlrev_b64 v[30:31], 4, v[18:19]
	v_ashrrev_i32_e32 v27, 31, v26
	v_add_nc_u32_e32 v32, s6, v28
	v_add_co_ci_u32_e64 v101, null, s5, v99, vcc_lo
	v_add_co_u32 v90, vcc_lo, v34, v2
	v_ashrrev_i32_e32 v29, 31, v28
	v_add_co_ci_u32_e64 v91, null, v35, v3, vcc_lo
	v_add_co_u32 v102, vcc_lo, v34, v20
	v_add_co_ci_u32_e64 v103, null, v35, v21, vcc_lo
	v_lshlrev_b64 v[26:27], 4, v[26:27]
	v_add_co_u32 v104, vcc_lo, v34, v30
	v_add_nc_u32_e32 v30, s6, v32
	v_lshlrev_b64 v[28:29], 4, v[28:29]
	v_ashrrev_i32_e32 v33, 31, v32
	v_add_co_ci_u32_e64 v105, null, v35, v31, vcc_lo
	v_ashrrev_i32_e32 v31, 31, v30
	v_add_co_u32 v110, vcc_lo, v34, v26
	v_add_co_ci_u32_e64 v111, null, v35, v27, vcc_lo
	v_lshlrev_b64 v[26:27], 4, v[32:33]
	v_add_co_u32 v106, vcc_lo, v34, v28
	v_add_co_ci_u32_e64 v107, null, v35, v29, vcc_lo
	v_lshlrev_b64 v[28:29], 4, v[30:31]
	v_add_co_u32 v108, vcc_lo, v34, v26
	v_add_co_ci_u32_e64 v109, null, v35, v27, vcc_lo
	s_clause 0x3
	global_load_dwordx4 v[6:9], v[94:95], off
	global_load_dwordx4 v[2:5], v[92:93], off
	global_load_dwordx4 v[14:17], v[98:99], off
	global_load_dwordx4 v[10:13], v[100:101], off
	v_add_co_u32 v112, vcc_lo, v34, v28
	v_add_co_ci_u32_e64 v113, null, v35, v29, vcc_lo
	s_clause 0x6
	global_load_dwordx4 v[22:25], v[90:91], off
	global_load_dwordx4 v[18:21], v[102:103], off
	;; [unrolled: 1-line block ×7, first 2 shown]
	v_cmp_ne_u32_e64 s1, 0, v0
	v_cmp_eq_u32_e64 s0, 0, v0
	s_and_saveexec_b32 s3, s0
	s_cbranch_execz .LBB21_8
; %bb.2:
	s_waitcnt vmcnt(8)
	ds_write2_b64 v1, v[14:15], v[16:17] offset1:1
	s_waitcnt vmcnt(7)
	ds_write2_b64 v114, v[10:11], v[12:13] offset0:2 offset1:3
	ds_write2_b64 v114, v[6:7], v[8:9] offset0:4 offset1:5
	;; [unrolled: 1-line block ×3, first 2 shown]
	s_waitcnt vmcnt(6)
	ds_write2_b64 v114, v[22:23], v[24:25] offset0:8 offset1:9
	s_waitcnt vmcnt(5)
	ds_write2_b64 v114, v[18:19], v[20:21] offset0:10 offset1:11
	;; [unrolled: 2-line block ×7, first 2 shown]
	ds_read2_b64 v[46:49], v1 offset1:1
	s_waitcnt lgkmcnt(0)
	v_cmp_neq_f64_e32 vcc_lo, 0, v[46:47]
	v_cmp_neq_f64_e64 s2, 0, v[48:49]
	s_or_b32 s2, vcc_lo, s2
	s_and_b32 exec_lo, exec_lo, s2
	s_cbranch_execz .LBB21_8
; %bb.3:
	v_cmp_ngt_f64_e64 s2, |v[46:47]|, |v[48:49]|
                                        ; implicit-def: $vgpr50_vgpr51
	s_and_saveexec_b32 s4, s2
	s_xor_b32 s2, exec_lo, s4
                                        ; implicit-def: $vgpr52_vgpr53
	s_cbranch_execz .LBB21_5
; %bb.4:
	v_div_scale_f64 v[50:51], null, v[48:49], v[48:49], v[46:47]
	v_div_scale_f64 v[56:57], vcc_lo, v[46:47], v[48:49], v[46:47]
	v_rcp_f64_e32 v[52:53], v[50:51]
	v_fma_f64 v[54:55], -v[50:51], v[52:53], 1.0
	v_fma_f64 v[52:53], v[52:53], v[54:55], v[52:53]
	v_fma_f64 v[54:55], -v[50:51], v[52:53], 1.0
	v_fma_f64 v[52:53], v[52:53], v[54:55], v[52:53]
	v_mul_f64 v[54:55], v[56:57], v[52:53]
	v_fma_f64 v[50:51], -v[50:51], v[54:55], v[56:57]
	v_div_fmas_f64 v[50:51], v[50:51], v[52:53], v[54:55]
	v_div_fixup_f64 v[50:51], v[50:51], v[48:49], v[46:47]
	v_fma_f64 v[46:47], v[46:47], v[50:51], v[48:49]
	v_div_scale_f64 v[48:49], null, v[46:47], v[46:47], 1.0
	v_rcp_f64_e32 v[52:53], v[48:49]
	v_fma_f64 v[54:55], -v[48:49], v[52:53], 1.0
	v_fma_f64 v[52:53], v[52:53], v[54:55], v[52:53]
	v_fma_f64 v[54:55], -v[48:49], v[52:53], 1.0
	v_fma_f64 v[52:53], v[52:53], v[54:55], v[52:53]
	v_div_scale_f64 v[54:55], vcc_lo, 1.0, v[46:47], 1.0
	v_mul_f64 v[56:57], v[54:55], v[52:53]
	v_fma_f64 v[48:49], -v[48:49], v[56:57], v[54:55]
	v_div_fmas_f64 v[48:49], v[48:49], v[52:53], v[56:57]
	v_div_fixup_f64 v[52:53], v[48:49], v[46:47], 1.0
                                        ; implicit-def: $vgpr46_vgpr47
	v_mul_f64 v[50:51], v[50:51], v[52:53]
	v_xor_b32_e32 v53, 0x80000000, v53
.LBB21_5:
	s_andn2_saveexec_b32 s2, s2
	s_cbranch_execz .LBB21_7
; %bb.6:
	v_div_scale_f64 v[50:51], null, v[46:47], v[46:47], v[48:49]
	v_div_scale_f64 v[56:57], vcc_lo, v[48:49], v[46:47], v[48:49]
	v_rcp_f64_e32 v[52:53], v[50:51]
	v_fma_f64 v[54:55], -v[50:51], v[52:53], 1.0
	v_fma_f64 v[52:53], v[52:53], v[54:55], v[52:53]
	v_fma_f64 v[54:55], -v[50:51], v[52:53], 1.0
	v_fma_f64 v[52:53], v[52:53], v[54:55], v[52:53]
	v_mul_f64 v[54:55], v[56:57], v[52:53]
	v_fma_f64 v[50:51], -v[50:51], v[54:55], v[56:57]
	v_div_fmas_f64 v[50:51], v[50:51], v[52:53], v[54:55]
	v_div_fixup_f64 v[52:53], v[50:51], v[46:47], v[48:49]
	v_fma_f64 v[46:47], v[48:49], v[52:53], v[46:47]
	v_div_scale_f64 v[48:49], null, v[46:47], v[46:47], 1.0
	v_rcp_f64_e32 v[50:51], v[48:49]
	v_fma_f64 v[54:55], -v[48:49], v[50:51], 1.0
	v_fma_f64 v[50:51], v[50:51], v[54:55], v[50:51]
	v_fma_f64 v[54:55], -v[48:49], v[50:51], 1.0
	v_fma_f64 v[50:51], v[50:51], v[54:55], v[50:51]
	v_div_scale_f64 v[54:55], vcc_lo, 1.0, v[46:47], 1.0
	v_mul_f64 v[56:57], v[54:55], v[50:51]
	v_fma_f64 v[48:49], -v[48:49], v[56:57], v[54:55]
	v_div_fmas_f64 v[48:49], v[48:49], v[50:51], v[56:57]
	v_div_fixup_f64 v[50:51], v[48:49], v[46:47], 1.0
	v_mul_f64 v[52:53], v[52:53], -v[50:51]
.LBB21_7:
	s_or_b32 exec_lo, exec_lo, s2
	ds_write2_b64 v1, v[50:51], v[52:53] offset1:1
.LBB21_8:
	s_or_b32 exec_lo, exec_lo, s3
	s_waitcnt vmcnt(0) lgkmcnt(0)
	s_barrier
	buffer_gl0_inv
	ds_read2_b64 v[46:49], v1 offset1:1
	s_and_saveexec_b32 s2, s1
	s_cbranch_execz .LBB21_10
; %bb.9:
	s_waitcnt lgkmcnt(0)
	v_mul_f64 v[50:51], v[46:47], v[16:17]
	v_mul_f64 v[16:17], v[48:49], v[16:17]
	v_fma_f64 v[54:55], v[48:49], v[14:15], v[50:51]
	ds_read2_b64 v[50:53], v114 offset0:2 offset1:3
	v_fma_f64 v[14:15], v[46:47], v[14:15], -v[16:17]
	s_waitcnt lgkmcnt(0)
	v_mul_f64 v[16:17], v[52:53], v[54:55]
	v_fma_f64 v[16:17], v[50:51], v[14:15], -v[16:17]
	v_mul_f64 v[50:51], v[50:51], v[54:55]
	v_add_f64 v[10:11], v[10:11], -v[16:17]
	v_fma_f64 v[50:51], v[52:53], v[14:15], v[50:51]
	v_add_f64 v[12:13], v[12:13], -v[50:51]
	ds_read2_b64 v[50:53], v114 offset0:4 offset1:5
	s_waitcnt lgkmcnt(0)
	v_mul_f64 v[16:17], v[52:53], v[54:55]
	v_fma_f64 v[16:17], v[50:51], v[14:15], -v[16:17]
	v_mul_f64 v[50:51], v[50:51], v[54:55]
	v_add_f64 v[6:7], v[6:7], -v[16:17]
	v_fma_f64 v[50:51], v[52:53], v[14:15], v[50:51]
	v_add_f64 v[8:9], v[8:9], -v[50:51]
	ds_read2_b64 v[50:53], v114 offset0:6 offset1:7
	;; [unrolled: 8-line block ×9, first 2 shown]
	s_waitcnt lgkmcnt(0)
	v_mul_f64 v[16:17], v[52:53], v[54:55]
	v_fma_f64 v[16:17], v[50:51], v[14:15], -v[16:17]
	v_mul_f64 v[50:51], v[50:51], v[54:55]
	v_add_f64 v[26:27], v[26:27], -v[16:17]
	v_fma_f64 v[50:51], v[52:53], v[14:15], v[50:51]
	v_mov_b32_e32 v16, v54
	v_mov_b32_e32 v17, v55
	v_add_f64 v[28:29], v[28:29], -v[50:51]
.LBB21_10:
	s_or_b32 exec_lo, exec_lo, s2
	s_mov_b32 s2, exec_lo
	s_waitcnt lgkmcnt(0)
	s_barrier
	buffer_gl0_inv
	v_cmpx_eq_u32_e32 1, v0
	s_cbranch_execz .LBB21_17
; %bb.11:
	ds_write2_b64 v1, v[10:11], v[12:13] offset1:1
	ds_write2_b64 v114, v[6:7], v[8:9] offset0:4 offset1:5
	ds_write2_b64 v114, v[2:3], v[4:5] offset0:6 offset1:7
	;; [unrolled: 1-line block ×9, first 2 shown]
	ds_read2_b64 v[50:53], v1 offset1:1
	s_waitcnt lgkmcnt(0)
	v_cmp_neq_f64_e32 vcc_lo, 0, v[50:51]
	v_cmp_neq_f64_e64 s1, 0, v[52:53]
	s_or_b32 s1, vcc_lo, s1
	s_and_b32 exec_lo, exec_lo, s1
	s_cbranch_execz .LBB21_17
; %bb.12:
	v_cmp_ngt_f64_e64 s1, |v[50:51]|, |v[52:53]|
                                        ; implicit-def: $vgpr54_vgpr55
	s_and_saveexec_b32 s3, s1
	s_xor_b32 s1, exec_lo, s3
                                        ; implicit-def: $vgpr56_vgpr57
	s_cbranch_execz .LBB21_14
; %bb.13:
	v_div_scale_f64 v[54:55], null, v[52:53], v[52:53], v[50:51]
	v_div_scale_f64 v[60:61], vcc_lo, v[50:51], v[52:53], v[50:51]
	v_rcp_f64_e32 v[56:57], v[54:55]
	v_fma_f64 v[58:59], -v[54:55], v[56:57], 1.0
	v_fma_f64 v[56:57], v[56:57], v[58:59], v[56:57]
	v_fma_f64 v[58:59], -v[54:55], v[56:57], 1.0
	v_fma_f64 v[56:57], v[56:57], v[58:59], v[56:57]
	v_mul_f64 v[58:59], v[60:61], v[56:57]
	v_fma_f64 v[54:55], -v[54:55], v[58:59], v[60:61]
	v_div_fmas_f64 v[54:55], v[54:55], v[56:57], v[58:59]
	v_div_fixup_f64 v[54:55], v[54:55], v[52:53], v[50:51]
	v_fma_f64 v[50:51], v[50:51], v[54:55], v[52:53]
	v_div_scale_f64 v[52:53], null, v[50:51], v[50:51], 1.0
	v_rcp_f64_e32 v[56:57], v[52:53]
	v_fma_f64 v[58:59], -v[52:53], v[56:57], 1.0
	v_fma_f64 v[56:57], v[56:57], v[58:59], v[56:57]
	v_fma_f64 v[58:59], -v[52:53], v[56:57], 1.0
	v_fma_f64 v[56:57], v[56:57], v[58:59], v[56:57]
	v_div_scale_f64 v[58:59], vcc_lo, 1.0, v[50:51], 1.0
	v_mul_f64 v[60:61], v[58:59], v[56:57]
	v_fma_f64 v[52:53], -v[52:53], v[60:61], v[58:59]
	v_div_fmas_f64 v[52:53], v[52:53], v[56:57], v[60:61]
	v_div_fixup_f64 v[56:57], v[52:53], v[50:51], 1.0
                                        ; implicit-def: $vgpr50_vgpr51
	v_mul_f64 v[54:55], v[54:55], v[56:57]
	v_xor_b32_e32 v57, 0x80000000, v57
.LBB21_14:
	s_andn2_saveexec_b32 s1, s1
	s_cbranch_execz .LBB21_16
; %bb.15:
	v_div_scale_f64 v[54:55], null, v[50:51], v[50:51], v[52:53]
	v_div_scale_f64 v[60:61], vcc_lo, v[52:53], v[50:51], v[52:53]
	v_rcp_f64_e32 v[56:57], v[54:55]
	v_fma_f64 v[58:59], -v[54:55], v[56:57], 1.0
	v_fma_f64 v[56:57], v[56:57], v[58:59], v[56:57]
	v_fma_f64 v[58:59], -v[54:55], v[56:57], 1.0
	v_fma_f64 v[56:57], v[56:57], v[58:59], v[56:57]
	v_mul_f64 v[58:59], v[60:61], v[56:57]
	v_fma_f64 v[54:55], -v[54:55], v[58:59], v[60:61]
	v_div_fmas_f64 v[54:55], v[54:55], v[56:57], v[58:59]
	v_div_fixup_f64 v[56:57], v[54:55], v[50:51], v[52:53]
	v_fma_f64 v[50:51], v[52:53], v[56:57], v[50:51]
	v_div_scale_f64 v[52:53], null, v[50:51], v[50:51], 1.0
	v_rcp_f64_e32 v[54:55], v[52:53]
	v_fma_f64 v[58:59], -v[52:53], v[54:55], 1.0
	v_fma_f64 v[54:55], v[54:55], v[58:59], v[54:55]
	v_fma_f64 v[58:59], -v[52:53], v[54:55], 1.0
	v_fma_f64 v[54:55], v[54:55], v[58:59], v[54:55]
	v_div_scale_f64 v[58:59], vcc_lo, 1.0, v[50:51], 1.0
	v_mul_f64 v[60:61], v[58:59], v[54:55]
	v_fma_f64 v[52:53], -v[52:53], v[60:61], v[58:59]
	v_div_fmas_f64 v[52:53], v[52:53], v[54:55], v[60:61]
	v_div_fixup_f64 v[54:55], v[52:53], v[50:51], 1.0
	v_mul_f64 v[56:57], v[56:57], -v[54:55]
.LBB21_16:
	s_or_b32 exec_lo, exec_lo, s1
	ds_write2_b64 v1, v[54:55], v[56:57] offset1:1
.LBB21_17:
	s_or_b32 exec_lo, exec_lo, s2
	s_waitcnt lgkmcnt(0)
	s_barrier
	buffer_gl0_inv
	ds_read2_b64 v[50:53], v1 offset1:1
	s_mov_b32 s1, exec_lo
	v_cmpx_lt_u32_e32 1, v0
	s_cbranch_execz .LBB21_19
; %bb.18:
	s_waitcnt lgkmcnt(0)
	v_mul_f64 v[54:55], v[50:51], v[12:13]
	v_mul_f64 v[12:13], v[52:53], v[12:13]
	v_fma_f64 v[58:59], v[52:53], v[10:11], v[54:55]
	ds_read2_b64 v[54:57], v114 offset0:4 offset1:5
	v_fma_f64 v[10:11], v[50:51], v[10:11], -v[12:13]
	s_waitcnt lgkmcnt(0)
	v_mul_f64 v[12:13], v[56:57], v[58:59]
	v_fma_f64 v[12:13], v[54:55], v[10:11], -v[12:13]
	v_mul_f64 v[54:55], v[54:55], v[58:59]
	v_add_f64 v[6:7], v[6:7], -v[12:13]
	v_fma_f64 v[54:55], v[56:57], v[10:11], v[54:55]
	v_add_f64 v[8:9], v[8:9], -v[54:55]
	ds_read2_b64 v[54:57], v114 offset0:6 offset1:7
	s_waitcnt lgkmcnt(0)
	v_mul_f64 v[12:13], v[56:57], v[58:59]
	v_fma_f64 v[12:13], v[54:55], v[10:11], -v[12:13]
	v_mul_f64 v[54:55], v[54:55], v[58:59]
	v_add_f64 v[2:3], v[2:3], -v[12:13]
	v_fma_f64 v[54:55], v[56:57], v[10:11], v[54:55]
	v_add_f64 v[4:5], v[4:5], -v[54:55]
	ds_read2_b64 v[54:57], v114 offset0:8 offset1:9
	;; [unrolled: 8-line block ×8, first 2 shown]
	s_waitcnt lgkmcnt(0)
	v_mul_f64 v[12:13], v[56:57], v[58:59]
	v_fma_f64 v[12:13], v[54:55], v[10:11], -v[12:13]
	v_mul_f64 v[54:55], v[54:55], v[58:59]
	v_add_f64 v[26:27], v[26:27], -v[12:13]
	v_fma_f64 v[54:55], v[56:57], v[10:11], v[54:55]
	v_mov_b32_e32 v12, v58
	v_mov_b32_e32 v13, v59
	v_add_f64 v[28:29], v[28:29], -v[54:55]
.LBB21_19:
	s_or_b32 exec_lo, exec_lo, s1
	s_mov_b32 s2, exec_lo
	s_waitcnt lgkmcnt(0)
	s_barrier
	buffer_gl0_inv
	v_cmpx_eq_u32_e32 2, v0
	s_cbranch_execz .LBB21_26
; %bb.20:
	ds_write2_b64 v1, v[6:7], v[8:9] offset1:1
	ds_write2_b64 v114, v[2:3], v[4:5] offset0:6 offset1:7
	ds_write2_b64 v114, v[22:23], v[24:25] offset0:8 offset1:9
	;; [unrolled: 1-line block ×8, first 2 shown]
	ds_read2_b64 v[54:57], v1 offset1:1
	s_waitcnt lgkmcnt(0)
	v_cmp_neq_f64_e32 vcc_lo, 0, v[54:55]
	v_cmp_neq_f64_e64 s1, 0, v[56:57]
	s_or_b32 s1, vcc_lo, s1
	s_and_b32 exec_lo, exec_lo, s1
	s_cbranch_execz .LBB21_26
; %bb.21:
	v_cmp_ngt_f64_e64 s1, |v[54:55]|, |v[56:57]|
                                        ; implicit-def: $vgpr58_vgpr59
	s_and_saveexec_b32 s3, s1
	s_xor_b32 s1, exec_lo, s3
                                        ; implicit-def: $vgpr60_vgpr61
	s_cbranch_execz .LBB21_23
; %bb.22:
	v_div_scale_f64 v[58:59], null, v[56:57], v[56:57], v[54:55]
	v_div_scale_f64 v[64:65], vcc_lo, v[54:55], v[56:57], v[54:55]
	v_rcp_f64_e32 v[60:61], v[58:59]
	v_fma_f64 v[62:63], -v[58:59], v[60:61], 1.0
	v_fma_f64 v[60:61], v[60:61], v[62:63], v[60:61]
	v_fma_f64 v[62:63], -v[58:59], v[60:61], 1.0
	v_fma_f64 v[60:61], v[60:61], v[62:63], v[60:61]
	v_mul_f64 v[62:63], v[64:65], v[60:61]
	v_fma_f64 v[58:59], -v[58:59], v[62:63], v[64:65]
	v_div_fmas_f64 v[58:59], v[58:59], v[60:61], v[62:63]
	v_div_fixup_f64 v[58:59], v[58:59], v[56:57], v[54:55]
	v_fma_f64 v[54:55], v[54:55], v[58:59], v[56:57]
	v_div_scale_f64 v[56:57], null, v[54:55], v[54:55], 1.0
	v_rcp_f64_e32 v[60:61], v[56:57]
	v_fma_f64 v[62:63], -v[56:57], v[60:61], 1.0
	v_fma_f64 v[60:61], v[60:61], v[62:63], v[60:61]
	v_fma_f64 v[62:63], -v[56:57], v[60:61], 1.0
	v_fma_f64 v[60:61], v[60:61], v[62:63], v[60:61]
	v_div_scale_f64 v[62:63], vcc_lo, 1.0, v[54:55], 1.0
	v_mul_f64 v[64:65], v[62:63], v[60:61]
	v_fma_f64 v[56:57], -v[56:57], v[64:65], v[62:63]
	v_div_fmas_f64 v[56:57], v[56:57], v[60:61], v[64:65]
	v_div_fixup_f64 v[60:61], v[56:57], v[54:55], 1.0
                                        ; implicit-def: $vgpr54_vgpr55
	v_mul_f64 v[58:59], v[58:59], v[60:61]
	v_xor_b32_e32 v61, 0x80000000, v61
.LBB21_23:
	s_andn2_saveexec_b32 s1, s1
	s_cbranch_execz .LBB21_25
; %bb.24:
	v_div_scale_f64 v[58:59], null, v[54:55], v[54:55], v[56:57]
	v_div_scale_f64 v[64:65], vcc_lo, v[56:57], v[54:55], v[56:57]
	v_rcp_f64_e32 v[60:61], v[58:59]
	v_fma_f64 v[62:63], -v[58:59], v[60:61], 1.0
	v_fma_f64 v[60:61], v[60:61], v[62:63], v[60:61]
	v_fma_f64 v[62:63], -v[58:59], v[60:61], 1.0
	v_fma_f64 v[60:61], v[60:61], v[62:63], v[60:61]
	v_mul_f64 v[62:63], v[64:65], v[60:61]
	v_fma_f64 v[58:59], -v[58:59], v[62:63], v[64:65]
	v_div_fmas_f64 v[58:59], v[58:59], v[60:61], v[62:63]
	v_div_fixup_f64 v[60:61], v[58:59], v[54:55], v[56:57]
	v_fma_f64 v[54:55], v[56:57], v[60:61], v[54:55]
	v_div_scale_f64 v[56:57], null, v[54:55], v[54:55], 1.0
	v_rcp_f64_e32 v[58:59], v[56:57]
	v_fma_f64 v[62:63], -v[56:57], v[58:59], 1.0
	v_fma_f64 v[58:59], v[58:59], v[62:63], v[58:59]
	v_fma_f64 v[62:63], -v[56:57], v[58:59], 1.0
	v_fma_f64 v[58:59], v[58:59], v[62:63], v[58:59]
	v_div_scale_f64 v[62:63], vcc_lo, 1.0, v[54:55], 1.0
	v_mul_f64 v[64:65], v[62:63], v[58:59]
	v_fma_f64 v[56:57], -v[56:57], v[64:65], v[62:63]
	v_div_fmas_f64 v[56:57], v[56:57], v[58:59], v[64:65]
	v_div_fixup_f64 v[58:59], v[56:57], v[54:55], 1.0
	v_mul_f64 v[60:61], v[60:61], -v[58:59]
.LBB21_25:
	s_or_b32 exec_lo, exec_lo, s1
	ds_write2_b64 v1, v[58:59], v[60:61] offset1:1
.LBB21_26:
	s_or_b32 exec_lo, exec_lo, s2
	s_waitcnt lgkmcnt(0)
	s_barrier
	buffer_gl0_inv
	ds_read2_b64 v[54:57], v1 offset1:1
	s_mov_b32 s1, exec_lo
	v_cmpx_lt_u32_e32 2, v0
	s_cbranch_execz .LBB21_28
; %bb.27:
	s_waitcnt lgkmcnt(0)
	v_mul_f64 v[58:59], v[54:55], v[8:9]
	v_mul_f64 v[8:9], v[56:57], v[8:9]
	v_fma_f64 v[62:63], v[56:57], v[6:7], v[58:59]
	ds_read2_b64 v[58:61], v114 offset0:6 offset1:7
	v_fma_f64 v[6:7], v[54:55], v[6:7], -v[8:9]
	s_waitcnt lgkmcnt(0)
	v_mul_f64 v[8:9], v[60:61], v[62:63]
	v_fma_f64 v[8:9], v[58:59], v[6:7], -v[8:9]
	v_mul_f64 v[58:59], v[58:59], v[62:63]
	v_add_f64 v[2:3], v[2:3], -v[8:9]
	v_fma_f64 v[58:59], v[60:61], v[6:7], v[58:59]
	v_add_f64 v[4:5], v[4:5], -v[58:59]
	ds_read2_b64 v[58:61], v114 offset0:8 offset1:9
	s_waitcnt lgkmcnt(0)
	v_mul_f64 v[8:9], v[60:61], v[62:63]
	v_fma_f64 v[8:9], v[58:59], v[6:7], -v[8:9]
	v_mul_f64 v[58:59], v[58:59], v[62:63]
	v_add_f64 v[22:23], v[22:23], -v[8:9]
	v_fma_f64 v[58:59], v[60:61], v[6:7], v[58:59]
	v_add_f64 v[24:25], v[24:25], -v[58:59]
	ds_read2_b64 v[58:61], v114 offset0:10 offset1:11
	;; [unrolled: 8-line block ×7, first 2 shown]
	s_waitcnt lgkmcnt(0)
	v_mul_f64 v[8:9], v[60:61], v[62:63]
	v_fma_f64 v[8:9], v[58:59], v[6:7], -v[8:9]
	v_mul_f64 v[58:59], v[58:59], v[62:63]
	v_add_f64 v[26:27], v[26:27], -v[8:9]
	v_fma_f64 v[58:59], v[60:61], v[6:7], v[58:59]
	v_mov_b32_e32 v8, v62
	v_mov_b32_e32 v9, v63
	v_add_f64 v[28:29], v[28:29], -v[58:59]
.LBB21_28:
	s_or_b32 exec_lo, exec_lo, s1
	s_mov_b32 s2, exec_lo
	s_waitcnt lgkmcnt(0)
	s_barrier
	buffer_gl0_inv
	v_cmpx_eq_u32_e32 3, v0
	s_cbranch_execz .LBB21_35
; %bb.29:
	ds_write2_b64 v1, v[2:3], v[4:5] offset1:1
	ds_write2_b64 v114, v[22:23], v[24:25] offset0:8 offset1:9
	ds_write2_b64 v114, v[18:19], v[20:21] offset0:10 offset1:11
	;; [unrolled: 1-line block ×7, first 2 shown]
	ds_read2_b64 v[58:61], v1 offset1:1
	s_waitcnt lgkmcnt(0)
	v_cmp_neq_f64_e32 vcc_lo, 0, v[58:59]
	v_cmp_neq_f64_e64 s1, 0, v[60:61]
	s_or_b32 s1, vcc_lo, s1
	s_and_b32 exec_lo, exec_lo, s1
	s_cbranch_execz .LBB21_35
; %bb.30:
	v_cmp_ngt_f64_e64 s1, |v[58:59]|, |v[60:61]|
                                        ; implicit-def: $vgpr62_vgpr63
	s_and_saveexec_b32 s3, s1
	s_xor_b32 s1, exec_lo, s3
                                        ; implicit-def: $vgpr64_vgpr65
	s_cbranch_execz .LBB21_32
; %bb.31:
	v_div_scale_f64 v[62:63], null, v[60:61], v[60:61], v[58:59]
	v_div_scale_f64 v[68:69], vcc_lo, v[58:59], v[60:61], v[58:59]
	v_rcp_f64_e32 v[64:65], v[62:63]
	v_fma_f64 v[66:67], -v[62:63], v[64:65], 1.0
	v_fma_f64 v[64:65], v[64:65], v[66:67], v[64:65]
	v_fma_f64 v[66:67], -v[62:63], v[64:65], 1.0
	v_fma_f64 v[64:65], v[64:65], v[66:67], v[64:65]
	v_mul_f64 v[66:67], v[68:69], v[64:65]
	v_fma_f64 v[62:63], -v[62:63], v[66:67], v[68:69]
	v_div_fmas_f64 v[62:63], v[62:63], v[64:65], v[66:67]
	v_div_fixup_f64 v[62:63], v[62:63], v[60:61], v[58:59]
	v_fma_f64 v[58:59], v[58:59], v[62:63], v[60:61]
	v_div_scale_f64 v[60:61], null, v[58:59], v[58:59], 1.0
	v_rcp_f64_e32 v[64:65], v[60:61]
	v_fma_f64 v[66:67], -v[60:61], v[64:65], 1.0
	v_fma_f64 v[64:65], v[64:65], v[66:67], v[64:65]
	v_fma_f64 v[66:67], -v[60:61], v[64:65], 1.0
	v_fma_f64 v[64:65], v[64:65], v[66:67], v[64:65]
	v_div_scale_f64 v[66:67], vcc_lo, 1.0, v[58:59], 1.0
	v_mul_f64 v[68:69], v[66:67], v[64:65]
	v_fma_f64 v[60:61], -v[60:61], v[68:69], v[66:67]
	v_div_fmas_f64 v[60:61], v[60:61], v[64:65], v[68:69]
	v_div_fixup_f64 v[64:65], v[60:61], v[58:59], 1.0
                                        ; implicit-def: $vgpr58_vgpr59
	v_mul_f64 v[62:63], v[62:63], v[64:65]
	v_xor_b32_e32 v65, 0x80000000, v65
.LBB21_32:
	s_andn2_saveexec_b32 s1, s1
	s_cbranch_execz .LBB21_34
; %bb.33:
	v_div_scale_f64 v[62:63], null, v[58:59], v[58:59], v[60:61]
	v_div_scale_f64 v[68:69], vcc_lo, v[60:61], v[58:59], v[60:61]
	v_rcp_f64_e32 v[64:65], v[62:63]
	v_fma_f64 v[66:67], -v[62:63], v[64:65], 1.0
	v_fma_f64 v[64:65], v[64:65], v[66:67], v[64:65]
	v_fma_f64 v[66:67], -v[62:63], v[64:65], 1.0
	v_fma_f64 v[64:65], v[64:65], v[66:67], v[64:65]
	v_mul_f64 v[66:67], v[68:69], v[64:65]
	v_fma_f64 v[62:63], -v[62:63], v[66:67], v[68:69]
	v_div_fmas_f64 v[62:63], v[62:63], v[64:65], v[66:67]
	v_div_fixup_f64 v[64:65], v[62:63], v[58:59], v[60:61]
	v_fma_f64 v[58:59], v[60:61], v[64:65], v[58:59]
	v_div_scale_f64 v[60:61], null, v[58:59], v[58:59], 1.0
	v_rcp_f64_e32 v[62:63], v[60:61]
	v_fma_f64 v[66:67], -v[60:61], v[62:63], 1.0
	v_fma_f64 v[62:63], v[62:63], v[66:67], v[62:63]
	v_fma_f64 v[66:67], -v[60:61], v[62:63], 1.0
	v_fma_f64 v[62:63], v[62:63], v[66:67], v[62:63]
	v_div_scale_f64 v[66:67], vcc_lo, 1.0, v[58:59], 1.0
	v_mul_f64 v[68:69], v[66:67], v[62:63]
	v_fma_f64 v[60:61], -v[60:61], v[68:69], v[66:67]
	v_div_fmas_f64 v[60:61], v[60:61], v[62:63], v[68:69]
	v_div_fixup_f64 v[62:63], v[60:61], v[58:59], 1.0
	v_mul_f64 v[64:65], v[64:65], -v[62:63]
.LBB21_34:
	s_or_b32 exec_lo, exec_lo, s1
	ds_write2_b64 v1, v[62:63], v[64:65] offset1:1
.LBB21_35:
	s_or_b32 exec_lo, exec_lo, s2
	s_waitcnt lgkmcnt(0)
	s_barrier
	buffer_gl0_inv
	ds_read2_b64 v[58:61], v1 offset1:1
	s_mov_b32 s1, exec_lo
	v_cmpx_lt_u32_e32 3, v0
	s_cbranch_execz .LBB21_37
; %bb.36:
	s_waitcnt lgkmcnt(0)
	v_mul_f64 v[62:63], v[58:59], v[4:5]
	v_mul_f64 v[4:5], v[60:61], v[4:5]
	v_fma_f64 v[66:67], v[60:61], v[2:3], v[62:63]
	ds_read2_b64 v[62:65], v114 offset0:8 offset1:9
	v_fma_f64 v[2:3], v[58:59], v[2:3], -v[4:5]
	s_waitcnt lgkmcnt(0)
	v_mul_f64 v[4:5], v[64:65], v[66:67]
	v_fma_f64 v[4:5], v[62:63], v[2:3], -v[4:5]
	v_mul_f64 v[62:63], v[62:63], v[66:67]
	v_add_f64 v[22:23], v[22:23], -v[4:5]
	v_fma_f64 v[62:63], v[64:65], v[2:3], v[62:63]
	v_add_f64 v[24:25], v[24:25], -v[62:63]
	ds_read2_b64 v[62:65], v114 offset0:10 offset1:11
	s_waitcnt lgkmcnt(0)
	v_mul_f64 v[4:5], v[64:65], v[66:67]
	v_fma_f64 v[4:5], v[62:63], v[2:3], -v[4:5]
	v_mul_f64 v[62:63], v[62:63], v[66:67]
	v_add_f64 v[18:19], v[18:19], -v[4:5]
	v_fma_f64 v[62:63], v[64:65], v[2:3], v[62:63]
	v_add_f64 v[20:21], v[20:21], -v[62:63]
	ds_read2_b64 v[62:65], v114 offset0:12 offset1:13
	;; [unrolled: 8-line block ×6, first 2 shown]
	s_waitcnt lgkmcnt(0)
	v_mul_f64 v[4:5], v[64:65], v[66:67]
	v_fma_f64 v[4:5], v[62:63], v[2:3], -v[4:5]
	v_mul_f64 v[62:63], v[62:63], v[66:67]
	v_add_f64 v[26:27], v[26:27], -v[4:5]
	v_fma_f64 v[62:63], v[64:65], v[2:3], v[62:63]
	v_mov_b32_e32 v4, v66
	v_mov_b32_e32 v5, v67
	v_add_f64 v[28:29], v[28:29], -v[62:63]
.LBB21_37:
	s_or_b32 exec_lo, exec_lo, s1
	s_mov_b32 s2, exec_lo
	s_waitcnt lgkmcnt(0)
	s_barrier
	buffer_gl0_inv
	v_cmpx_eq_u32_e32 4, v0
	s_cbranch_execz .LBB21_44
; %bb.38:
	ds_write2_b64 v1, v[22:23], v[24:25] offset1:1
	ds_write2_b64 v114, v[18:19], v[20:21] offset0:10 offset1:11
	ds_write2_b64 v114, v[42:43], v[44:45] offset0:12 offset1:13
	;; [unrolled: 1-line block ×6, first 2 shown]
	ds_read2_b64 v[62:65], v1 offset1:1
	s_waitcnt lgkmcnt(0)
	v_cmp_neq_f64_e32 vcc_lo, 0, v[62:63]
	v_cmp_neq_f64_e64 s1, 0, v[64:65]
	s_or_b32 s1, vcc_lo, s1
	s_and_b32 exec_lo, exec_lo, s1
	s_cbranch_execz .LBB21_44
; %bb.39:
	v_cmp_ngt_f64_e64 s1, |v[62:63]|, |v[64:65]|
                                        ; implicit-def: $vgpr66_vgpr67
	s_and_saveexec_b32 s3, s1
	s_xor_b32 s1, exec_lo, s3
                                        ; implicit-def: $vgpr68_vgpr69
	s_cbranch_execz .LBB21_41
; %bb.40:
	v_div_scale_f64 v[66:67], null, v[64:65], v[64:65], v[62:63]
	v_div_scale_f64 v[72:73], vcc_lo, v[62:63], v[64:65], v[62:63]
	v_rcp_f64_e32 v[68:69], v[66:67]
	v_fma_f64 v[70:71], -v[66:67], v[68:69], 1.0
	v_fma_f64 v[68:69], v[68:69], v[70:71], v[68:69]
	v_fma_f64 v[70:71], -v[66:67], v[68:69], 1.0
	v_fma_f64 v[68:69], v[68:69], v[70:71], v[68:69]
	v_mul_f64 v[70:71], v[72:73], v[68:69]
	v_fma_f64 v[66:67], -v[66:67], v[70:71], v[72:73]
	v_div_fmas_f64 v[66:67], v[66:67], v[68:69], v[70:71]
	v_div_fixup_f64 v[66:67], v[66:67], v[64:65], v[62:63]
	v_fma_f64 v[62:63], v[62:63], v[66:67], v[64:65]
	v_div_scale_f64 v[64:65], null, v[62:63], v[62:63], 1.0
	v_rcp_f64_e32 v[68:69], v[64:65]
	v_fma_f64 v[70:71], -v[64:65], v[68:69], 1.0
	v_fma_f64 v[68:69], v[68:69], v[70:71], v[68:69]
	v_fma_f64 v[70:71], -v[64:65], v[68:69], 1.0
	v_fma_f64 v[68:69], v[68:69], v[70:71], v[68:69]
	v_div_scale_f64 v[70:71], vcc_lo, 1.0, v[62:63], 1.0
	v_mul_f64 v[72:73], v[70:71], v[68:69]
	v_fma_f64 v[64:65], -v[64:65], v[72:73], v[70:71]
	v_div_fmas_f64 v[64:65], v[64:65], v[68:69], v[72:73]
	v_div_fixup_f64 v[68:69], v[64:65], v[62:63], 1.0
                                        ; implicit-def: $vgpr62_vgpr63
	v_mul_f64 v[66:67], v[66:67], v[68:69]
	v_xor_b32_e32 v69, 0x80000000, v69
.LBB21_41:
	s_andn2_saveexec_b32 s1, s1
	s_cbranch_execz .LBB21_43
; %bb.42:
	v_div_scale_f64 v[66:67], null, v[62:63], v[62:63], v[64:65]
	v_div_scale_f64 v[72:73], vcc_lo, v[64:65], v[62:63], v[64:65]
	v_rcp_f64_e32 v[68:69], v[66:67]
	v_fma_f64 v[70:71], -v[66:67], v[68:69], 1.0
	v_fma_f64 v[68:69], v[68:69], v[70:71], v[68:69]
	v_fma_f64 v[70:71], -v[66:67], v[68:69], 1.0
	v_fma_f64 v[68:69], v[68:69], v[70:71], v[68:69]
	v_mul_f64 v[70:71], v[72:73], v[68:69]
	v_fma_f64 v[66:67], -v[66:67], v[70:71], v[72:73]
	v_div_fmas_f64 v[66:67], v[66:67], v[68:69], v[70:71]
	v_div_fixup_f64 v[68:69], v[66:67], v[62:63], v[64:65]
	v_fma_f64 v[62:63], v[64:65], v[68:69], v[62:63]
	v_div_scale_f64 v[64:65], null, v[62:63], v[62:63], 1.0
	v_rcp_f64_e32 v[66:67], v[64:65]
	v_fma_f64 v[70:71], -v[64:65], v[66:67], 1.0
	v_fma_f64 v[66:67], v[66:67], v[70:71], v[66:67]
	v_fma_f64 v[70:71], -v[64:65], v[66:67], 1.0
	v_fma_f64 v[66:67], v[66:67], v[70:71], v[66:67]
	v_div_scale_f64 v[70:71], vcc_lo, 1.0, v[62:63], 1.0
	v_mul_f64 v[72:73], v[70:71], v[66:67]
	v_fma_f64 v[64:65], -v[64:65], v[72:73], v[70:71]
	v_div_fmas_f64 v[64:65], v[64:65], v[66:67], v[72:73]
	v_div_fixup_f64 v[66:67], v[64:65], v[62:63], 1.0
	v_mul_f64 v[68:69], v[68:69], -v[66:67]
.LBB21_43:
	s_or_b32 exec_lo, exec_lo, s1
	ds_write2_b64 v1, v[66:67], v[68:69] offset1:1
.LBB21_44:
	s_or_b32 exec_lo, exec_lo, s2
	s_waitcnt lgkmcnt(0)
	s_barrier
	buffer_gl0_inv
	ds_read2_b64 v[62:65], v1 offset1:1
	s_mov_b32 s1, exec_lo
	v_cmpx_lt_u32_e32 4, v0
	s_cbranch_execz .LBB21_46
; %bb.45:
	s_waitcnt lgkmcnt(0)
	v_mul_f64 v[66:67], v[62:63], v[24:25]
	v_mul_f64 v[24:25], v[64:65], v[24:25]
	v_fma_f64 v[70:71], v[64:65], v[22:23], v[66:67]
	ds_read2_b64 v[66:69], v114 offset0:10 offset1:11
	v_fma_f64 v[22:23], v[62:63], v[22:23], -v[24:25]
	s_waitcnt lgkmcnt(0)
	v_mul_f64 v[24:25], v[68:69], v[70:71]
	v_fma_f64 v[24:25], v[66:67], v[22:23], -v[24:25]
	v_mul_f64 v[66:67], v[66:67], v[70:71]
	v_add_f64 v[18:19], v[18:19], -v[24:25]
	v_fma_f64 v[66:67], v[68:69], v[22:23], v[66:67]
	v_add_f64 v[20:21], v[20:21], -v[66:67]
	ds_read2_b64 v[66:69], v114 offset0:12 offset1:13
	s_waitcnt lgkmcnt(0)
	v_mul_f64 v[24:25], v[68:69], v[70:71]
	v_fma_f64 v[24:25], v[66:67], v[22:23], -v[24:25]
	v_mul_f64 v[66:67], v[66:67], v[70:71]
	v_add_f64 v[42:43], v[42:43], -v[24:25]
	v_fma_f64 v[66:67], v[68:69], v[22:23], v[66:67]
	v_add_f64 v[44:45], v[44:45], -v[66:67]
	ds_read2_b64 v[66:69], v114 offset0:14 offset1:15
	;; [unrolled: 8-line block ×5, first 2 shown]
	s_waitcnt lgkmcnt(0)
	v_mul_f64 v[24:25], v[68:69], v[70:71]
	v_fma_f64 v[24:25], v[66:67], v[22:23], -v[24:25]
	v_mul_f64 v[66:67], v[66:67], v[70:71]
	v_add_f64 v[26:27], v[26:27], -v[24:25]
	v_fma_f64 v[66:67], v[68:69], v[22:23], v[66:67]
	v_mov_b32_e32 v24, v70
	v_mov_b32_e32 v25, v71
	v_add_f64 v[28:29], v[28:29], -v[66:67]
.LBB21_46:
	s_or_b32 exec_lo, exec_lo, s1
	s_mov_b32 s2, exec_lo
	s_waitcnt lgkmcnt(0)
	s_barrier
	buffer_gl0_inv
	v_cmpx_eq_u32_e32 5, v0
	s_cbranch_execz .LBB21_53
; %bb.47:
	ds_write2_b64 v1, v[18:19], v[20:21] offset1:1
	ds_write2_b64 v114, v[42:43], v[44:45] offset0:12 offset1:13
	ds_write2_b64 v114, v[38:39], v[40:41] offset0:14 offset1:15
	;; [unrolled: 1-line block ×5, first 2 shown]
	ds_read2_b64 v[66:69], v1 offset1:1
	s_waitcnt lgkmcnt(0)
	v_cmp_neq_f64_e32 vcc_lo, 0, v[66:67]
	v_cmp_neq_f64_e64 s1, 0, v[68:69]
	s_or_b32 s1, vcc_lo, s1
	s_and_b32 exec_lo, exec_lo, s1
	s_cbranch_execz .LBB21_53
; %bb.48:
	v_cmp_ngt_f64_e64 s1, |v[66:67]|, |v[68:69]|
                                        ; implicit-def: $vgpr70_vgpr71
	s_and_saveexec_b32 s3, s1
	s_xor_b32 s1, exec_lo, s3
                                        ; implicit-def: $vgpr72_vgpr73
	s_cbranch_execz .LBB21_50
; %bb.49:
	v_div_scale_f64 v[70:71], null, v[68:69], v[68:69], v[66:67]
	v_div_scale_f64 v[76:77], vcc_lo, v[66:67], v[68:69], v[66:67]
	v_rcp_f64_e32 v[72:73], v[70:71]
	v_fma_f64 v[74:75], -v[70:71], v[72:73], 1.0
	v_fma_f64 v[72:73], v[72:73], v[74:75], v[72:73]
	v_fma_f64 v[74:75], -v[70:71], v[72:73], 1.0
	v_fma_f64 v[72:73], v[72:73], v[74:75], v[72:73]
	v_mul_f64 v[74:75], v[76:77], v[72:73]
	v_fma_f64 v[70:71], -v[70:71], v[74:75], v[76:77]
	v_div_fmas_f64 v[70:71], v[70:71], v[72:73], v[74:75]
	v_div_fixup_f64 v[70:71], v[70:71], v[68:69], v[66:67]
	v_fma_f64 v[66:67], v[66:67], v[70:71], v[68:69]
	v_div_scale_f64 v[68:69], null, v[66:67], v[66:67], 1.0
	v_rcp_f64_e32 v[72:73], v[68:69]
	v_fma_f64 v[74:75], -v[68:69], v[72:73], 1.0
	v_fma_f64 v[72:73], v[72:73], v[74:75], v[72:73]
	v_fma_f64 v[74:75], -v[68:69], v[72:73], 1.0
	v_fma_f64 v[72:73], v[72:73], v[74:75], v[72:73]
	v_div_scale_f64 v[74:75], vcc_lo, 1.0, v[66:67], 1.0
	v_mul_f64 v[76:77], v[74:75], v[72:73]
	v_fma_f64 v[68:69], -v[68:69], v[76:77], v[74:75]
	v_div_fmas_f64 v[68:69], v[68:69], v[72:73], v[76:77]
	v_div_fixup_f64 v[72:73], v[68:69], v[66:67], 1.0
                                        ; implicit-def: $vgpr66_vgpr67
	v_mul_f64 v[70:71], v[70:71], v[72:73]
	v_xor_b32_e32 v73, 0x80000000, v73
.LBB21_50:
	s_andn2_saveexec_b32 s1, s1
	s_cbranch_execz .LBB21_52
; %bb.51:
	v_div_scale_f64 v[70:71], null, v[66:67], v[66:67], v[68:69]
	v_div_scale_f64 v[76:77], vcc_lo, v[68:69], v[66:67], v[68:69]
	v_rcp_f64_e32 v[72:73], v[70:71]
	v_fma_f64 v[74:75], -v[70:71], v[72:73], 1.0
	v_fma_f64 v[72:73], v[72:73], v[74:75], v[72:73]
	v_fma_f64 v[74:75], -v[70:71], v[72:73], 1.0
	v_fma_f64 v[72:73], v[72:73], v[74:75], v[72:73]
	v_mul_f64 v[74:75], v[76:77], v[72:73]
	v_fma_f64 v[70:71], -v[70:71], v[74:75], v[76:77]
	v_div_fmas_f64 v[70:71], v[70:71], v[72:73], v[74:75]
	v_div_fixup_f64 v[72:73], v[70:71], v[66:67], v[68:69]
	v_fma_f64 v[66:67], v[68:69], v[72:73], v[66:67]
	v_div_scale_f64 v[68:69], null, v[66:67], v[66:67], 1.0
	v_rcp_f64_e32 v[70:71], v[68:69]
	v_fma_f64 v[74:75], -v[68:69], v[70:71], 1.0
	v_fma_f64 v[70:71], v[70:71], v[74:75], v[70:71]
	v_fma_f64 v[74:75], -v[68:69], v[70:71], 1.0
	v_fma_f64 v[70:71], v[70:71], v[74:75], v[70:71]
	v_div_scale_f64 v[74:75], vcc_lo, 1.0, v[66:67], 1.0
	v_mul_f64 v[76:77], v[74:75], v[70:71]
	v_fma_f64 v[68:69], -v[68:69], v[76:77], v[74:75]
	v_div_fmas_f64 v[68:69], v[68:69], v[70:71], v[76:77]
	v_div_fixup_f64 v[70:71], v[68:69], v[66:67], 1.0
	v_mul_f64 v[72:73], v[72:73], -v[70:71]
.LBB21_52:
	s_or_b32 exec_lo, exec_lo, s1
	ds_write2_b64 v1, v[70:71], v[72:73] offset1:1
.LBB21_53:
	s_or_b32 exec_lo, exec_lo, s2
	s_waitcnt lgkmcnt(0)
	s_barrier
	buffer_gl0_inv
	ds_read2_b64 v[66:69], v1 offset1:1
	s_mov_b32 s1, exec_lo
	v_cmpx_lt_u32_e32 5, v0
	s_cbranch_execz .LBB21_55
; %bb.54:
	s_waitcnt lgkmcnt(0)
	v_mul_f64 v[70:71], v[66:67], v[20:21]
	v_mul_f64 v[20:21], v[68:69], v[20:21]
	v_fma_f64 v[74:75], v[68:69], v[18:19], v[70:71]
	ds_read2_b64 v[70:73], v114 offset0:12 offset1:13
	v_fma_f64 v[18:19], v[66:67], v[18:19], -v[20:21]
	s_waitcnt lgkmcnt(0)
	v_mul_f64 v[20:21], v[72:73], v[74:75]
	v_fma_f64 v[20:21], v[70:71], v[18:19], -v[20:21]
	v_mul_f64 v[70:71], v[70:71], v[74:75]
	v_add_f64 v[42:43], v[42:43], -v[20:21]
	v_fma_f64 v[70:71], v[72:73], v[18:19], v[70:71]
	v_add_f64 v[44:45], v[44:45], -v[70:71]
	ds_read2_b64 v[70:73], v114 offset0:14 offset1:15
	s_waitcnt lgkmcnt(0)
	v_mul_f64 v[20:21], v[72:73], v[74:75]
	v_fma_f64 v[20:21], v[70:71], v[18:19], -v[20:21]
	v_mul_f64 v[70:71], v[70:71], v[74:75]
	v_add_f64 v[38:39], v[38:39], -v[20:21]
	v_fma_f64 v[70:71], v[72:73], v[18:19], v[70:71]
	v_add_f64 v[40:41], v[40:41], -v[70:71]
	ds_read2_b64 v[70:73], v114 offset0:16 offset1:17
	;; [unrolled: 8-line block ×4, first 2 shown]
	s_waitcnt lgkmcnt(0)
	v_mul_f64 v[20:21], v[72:73], v[74:75]
	v_fma_f64 v[20:21], v[70:71], v[18:19], -v[20:21]
	v_mul_f64 v[70:71], v[70:71], v[74:75]
	v_add_f64 v[26:27], v[26:27], -v[20:21]
	v_fma_f64 v[70:71], v[72:73], v[18:19], v[70:71]
	v_mov_b32_e32 v20, v74
	v_mov_b32_e32 v21, v75
	v_add_f64 v[28:29], v[28:29], -v[70:71]
.LBB21_55:
	s_or_b32 exec_lo, exec_lo, s1
	s_mov_b32 s2, exec_lo
	s_waitcnt lgkmcnt(0)
	s_barrier
	buffer_gl0_inv
	v_cmpx_eq_u32_e32 6, v0
	s_cbranch_execz .LBB21_62
; %bb.56:
	ds_write2_b64 v1, v[42:43], v[44:45] offset1:1
	ds_write2_b64 v114, v[38:39], v[40:41] offset0:14 offset1:15
	ds_write2_b64 v114, v[34:35], v[36:37] offset0:16 offset1:17
	;; [unrolled: 1-line block ×4, first 2 shown]
	ds_read2_b64 v[70:73], v1 offset1:1
	s_waitcnt lgkmcnt(0)
	v_cmp_neq_f64_e32 vcc_lo, 0, v[70:71]
	v_cmp_neq_f64_e64 s1, 0, v[72:73]
	s_or_b32 s1, vcc_lo, s1
	s_and_b32 exec_lo, exec_lo, s1
	s_cbranch_execz .LBB21_62
; %bb.57:
	v_cmp_ngt_f64_e64 s1, |v[70:71]|, |v[72:73]|
                                        ; implicit-def: $vgpr74_vgpr75
	s_and_saveexec_b32 s3, s1
	s_xor_b32 s1, exec_lo, s3
                                        ; implicit-def: $vgpr76_vgpr77
	s_cbranch_execz .LBB21_59
; %bb.58:
	v_div_scale_f64 v[74:75], null, v[72:73], v[72:73], v[70:71]
	v_div_scale_f64 v[80:81], vcc_lo, v[70:71], v[72:73], v[70:71]
	v_rcp_f64_e32 v[76:77], v[74:75]
	v_fma_f64 v[78:79], -v[74:75], v[76:77], 1.0
	v_fma_f64 v[76:77], v[76:77], v[78:79], v[76:77]
	v_fma_f64 v[78:79], -v[74:75], v[76:77], 1.0
	v_fma_f64 v[76:77], v[76:77], v[78:79], v[76:77]
	v_mul_f64 v[78:79], v[80:81], v[76:77]
	v_fma_f64 v[74:75], -v[74:75], v[78:79], v[80:81]
	v_div_fmas_f64 v[74:75], v[74:75], v[76:77], v[78:79]
	v_div_fixup_f64 v[74:75], v[74:75], v[72:73], v[70:71]
	v_fma_f64 v[70:71], v[70:71], v[74:75], v[72:73]
	v_div_scale_f64 v[72:73], null, v[70:71], v[70:71], 1.0
	v_rcp_f64_e32 v[76:77], v[72:73]
	v_fma_f64 v[78:79], -v[72:73], v[76:77], 1.0
	v_fma_f64 v[76:77], v[76:77], v[78:79], v[76:77]
	v_fma_f64 v[78:79], -v[72:73], v[76:77], 1.0
	v_fma_f64 v[76:77], v[76:77], v[78:79], v[76:77]
	v_div_scale_f64 v[78:79], vcc_lo, 1.0, v[70:71], 1.0
	v_mul_f64 v[80:81], v[78:79], v[76:77]
	v_fma_f64 v[72:73], -v[72:73], v[80:81], v[78:79]
	v_div_fmas_f64 v[72:73], v[72:73], v[76:77], v[80:81]
	v_div_fixup_f64 v[76:77], v[72:73], v[70:71], 1.0
                                        ; implicit-def: $vgpr70_vgpr71
	v_mul_f64 v[74:75], v[74:75], v[76:77]
	v_xor_b32_e32 v77, 0x80000000, v77
.LBB21_59:
	s_andn2_saveexec_b32 s1, s1
	s_cbranch_execz .LBB21_61
; %bb.60:
	v_div_scale_f64 v[74:75], null, v[70:71], v[70:71], v[72:73]
	v_div_scale_f64 v[80:81], vcc_lo, v[72:73], v[70:71], v[72:73]
	v_rcp_f64_e32 v[76:77], v[74:75]
	v_fma_f64 v[78:79], -v[74:75], v[76:77], 1.0
	v_fma_f64 v[76:77], v[76:77], v[78:79], v[76:77]
	v_fma_f64 v[78:79], -v[74:75], v[76:77], 1.0
	v_fma_f64 v[76:77], v[76:77], v[78:79], v[76:77]
	v_mul_f64 v[78:79], v[80:81], v[76:77]
	v_fma_f64 v[74:75], -v[74:75], v[78:79], v[80:81]
	v_div_fmas_f64 v[74:75], v[74:75], v[76:77], v[78:79]
	v_div_fixup_f64 v[76:77], v[74:75], v[70:71], v[72:73]
	v_fma_f64 v[70:71], v[72:73], v[76:77], v[70:71]
	v_div_scale_f64 v[72:73], null, v[70:71], v[70:71], 1.0
	v_rcp_f64_e32 v[74:75], v[72:73]
	v_fma_f64 v[78:79], -v[72:73], v[74:75], 1.0
	v_fma_f64 v[74:75], v[74:75], v[78:79], v[74:75]
	v_fma_f64 v[78:79], -v[72:73], v[74:75], 1.0
	v_fma_f64 v[74:75], v[74:75], v[78:79], v[74:75]
	v_div_scale_f64 v[78:79], vcc_lo, 1.0, v[70:71], 1.0
	v_mul_f64 v[80:81], v[78:79], v[74:75]
	v_fma_f64 v[72:73], -v[72:73], v[80:81], v[78:79]
	v_div_fmas_f64 v[72:73], v[72:73], v[74:75], v[80:81]
	v_div_fixup_f64 v[74:75], v[72:73], v[70:71], 1.0
	v_mul_f64 v[76:77], v[76:77], -v[74:75]
.LBB21_61:
	s_or_b32 exec_lo, exec_lo, s1
	ds_write2_b64 v1, v[74:75], v[76:77] offset1:1
.LBB21_62:
	s_or_b32 exec_lo, exec_lo, s2
	s_waitcnt lgkmcnt(0)
	s_barrier
	buffer_gl0_inv
	ds_read2_b64 v[70:73], v1 offset1:1
	s_mov_b32 s1, exec_lo
	v_cmpx_lt_u32_e32 6, v0
	s_cbranch_execz .LBB21_64
; %bb.63:
	s_waitcnt lgkmcnt(0)
	v_mul_f64 v[74:75], v[70:71], v[44:45]
	v_mul_f64 v[44:45], v[72:73], v[44:45]
	v_fma_f64 v[78:79], v[72:73], v[42:43], v[74:75]
	ds_read2_b64 v[74:77], v114 offset0:14 offset1:15
	v_fma_f64 v[42:43], v[70:71], v[42:43], -v[44:45]
	s_waitcnt lgkmcnt(0)
	v_mul_f64 v[44:45], v[76:77], v[78:79]
	v_fma_f64 v[44:45], v[74:75], v[42:43], -v[44:45]
	v_mul_f64 v[74:75], v[74:75], v[78:79]
	v_add_f64 v[38:39], v[38:39], -v[44:45]
	v_fma_f64 v[74:75], v[76:77], v[42:43], v[74:75]
	v_add_f64 v[40:41], v[40:41], -v[74:75]
	ds_read2_b64 v[74:77], v114 offset0:16 offset1:17
	s_waitcnt lgkmcnt(0)
	v_mul_f64 v[44:45], v[76:77], v[78:79]
	v_fma_f64 v[44:45], v[74:75], v[42:43], -v[44:45]
	v_mul_f64 v[74:75], v[74:75], v[78:79]
	v_add_f64 v[34:35], v[34:35], -v[44:45]
	v_fma_f64 v[74:75], v[76:77], v[42:43], v[74:75]
	v_add_f64 v[36:37], v[36:37], -v[74:75]
	ds_read2_b64 v[74:77], v114 offset0:18 offset1:19
	;; [unrolled: 8-line block ×3, first 2 shown]
	s_waitcnt lgkmcnt(0)
	v_mul_f64 v[44:45], v[76:77], v[78:79]
	v_fma_f64 v[44:45], v[74:75], v[42:43], -v[44:45]
	v_mul_f64 v[74:75], v[74:75], v[78:79]
	v_add_f64 v[26:27], v[26:27], -v[44:45]
	v_fma_f64 v[74:75], v[76:77], v[42:43], v[74:75]
	v_mov_b32_e32 v44, v78
	v_mov_b32_e32 v45, v79
	v_add_f64 v[28:29], v[28:29], -v[74:75]
.LBB21_64:
	s_or_b32 exec_lo, exec_lo, s1
	s_mov_b32 s2, exec_lo
	s_waitcnt lgkmcnt(0)
	s_barrier
	buffer_gl0_inv
	v_cmpx_eq_u32_e32 7, v0
	s_cbranch_execz .LBB21_71
; %bb.65:
	ds_write2_b64 v1, v[38:39], v[40:41] offset1:1
	ds_write2_b64 v114, v[34:35], v[36:37] offset0:16 offset1:17
	ds_write2_b64 v114, v[30:31], v[32:33] offset0:18 offset1:19
	ds_write2_b64 v114, v[26:27], v[28:29] offset0:20 offset1:21
	ds_read2_b64 v[74:77], v1 offset1:1
	s_waitcnt lgkmcnt(0)
	v_cmp_neq_f64_e32 vcc_lo, 0, v[74:75]
	v_cmp_neq_f64_e64 s1, 0, v[76:77]
	s_or_b32 s1, vcc_lo, s1
	s_and_b32 exec_lo, exec_lo, s1
	s_cbranch_execz .LBB21_71
; %bb.66:
	v_cmp_ngt_f64_e64 s1, |v[74:75]|, |v[76:77]|
                                        ; implicit-def: $vgpr78_vgpr79
	s_and_saveexec_b32 s3, s1
	s_xor_b32 s1, exec_lo, s3
                                        ; implicit-def: $vgpr80_vgpr81
	s_cbranch_execz .LBB21_68
; %bb.67:
	v_div_scale_f64 v[78:79], null, v[76:77], v[76:77], v[74:75]
	v_div_scale_f64 v[84:85], vcc_lo, v[74:75], v[76:77], v[74:75]
	v_rcp_f64_e32 v[80:81], v[78:79]
	v_fma_f64 v[82:83], -v[78:79], v[80:81], 1.0
	v_fma_f64 v[80:81], v[80:81], v[82:83], v[80:81]
	v_fma_f64 v[82:83], -v[78:79], v[80:81], 1.0
	v_fma_f64 v[80:81], v[80:81], v[82:83], v[80:81]
	v_mul_f64 v[82:83], v[84:85], v[80:81]
	v_fma_f64 v[78:79], -v[78:79], v[82:83], v[84:85]
	v_div_fmas_f64 v[78:79], v[78:79], v[80:81], v[82:83]
	v_div_fixup_f64 v[78:79], v[78:79], v[76:77], v[74:75]
	v_fma_f64 v[74:75], v[74:75], v[78:79], v[76:77]
	v_div_scale_f64 v[76:77], null, v[74:75], v[74:75], 1.0
	v_rcp_f64_e32 v[80:81], v[76:77]
	v_fma_f64 v[82:83], -v[76:77], v[80:81], 1.0
	v_fma_f64 v[80:81], v[80:81], v[82:83], v[80:81]
	v_fma_f64 v[82:83], -v[76:77], v[80:81], 1.0
	v_fma_f64 v[80:81], v[80:81], v[82:83], v[80:81]
	v_div_scale_f64 v[82:83], vcc_lo, 1.0, v[74:75], 1.0
	v_mul_f64 v[84:85], v[82:83], v[80:81]
	v_fma_f64 v[76:77], -v[76:77], v[84:85], v[82:83]
	v_div_fmas_f64 v[76:77], v[76:77], v[80:81], v[84:85]
	v_div_fixup_f64 v[80:81], v[76:77], v[74:75], 1.0
                                        ; implicit-def: $vgpr74_vgpr75
	v_mul_f64 v[78:79], v[78:79], v[80:81]
	v_xor_b32_e32 v81, 0x80000000, v81
.LBB21_68:
	s_andn2_saveexec_b32 s1, s1
	s_cbranch_execz .LBB21_70
; %bb.69:
	v_div_scale_f64 v[78:79], null, v[74:75], v[74:75], v[76:77]
	v_div_scale_f64 v[84:85], vcc_lo, v[76:77], v[74:75], v[76:77]
	v_rcp_f64_e32 v[80:81], v[78:79]
	v_fma_f64 v[82:83], -v[78:79], v[80:81], 1.0
	v_fma_f64 v[80:81], v[80:81], v[82:83], v[80:81]
	v_fma_f64 v[82:83], -v[78:79], v[80:81], 1.0
	v_fma_f64 v[80:81], v[80:81], v[82:83], v[80:81]
	v_mul_f64 v[82:83], v[84:85], v[80:81]
	v_fma_f64 v[78:79], -v[78:79], v[82:83], v[84:85]
	v_div_fmas_f64 v[78:79], v[78:79], v[80:81], v[82:83]
	v_div_fixup_f64 v[80:81], v[78:79], v[74:75], v[76:77]
	v_fma_f64 v[74:75], v[76:77], v[80:81], v[74:75]
	v_div_scale_f64 v[76:77], null, v[74:75], v[74:75], 1.0
	v_rcp_f64_e32 v[78:79], v[76:77]
	v_fma_f64 v[82:83], -v[76:77], v[78:79], 1.0
	v_fma_f64 v[78:79], v[78:79], v[82:83], v[78:79]
	v_fma_f64 v[82:83], -v[76:77], v[78:79], 1.0
	v_fma_f64 v[78:79], v[78:79], v[82:83], v[78:79]
	v_div_scale_f64 v[82:83], vcc_lo, 1.0, v[74:75], 1.0
	v_mul_f64 v[84:85], v[82:83], v[78:79]
	v_fma_f64 v[76:77], -v[76:77], v[84:85], v[82:83]
	v_div_fmas_f64 v[76:77], v[76:77], v[78:79], v[84:85]
	v_div_fixup_f64 v[78:79], v[76:77], v[74:75], 1.0
	v_mul_f64 v[80:81], v[80:81], -v[78:79]
.LBB21_70:
	s_or_b32 exec_lo, exec_lo, s1
	ds_write2_b64 v1, v[78:79], v[80:81] offset1:1
.LBB21_71:
	s_or_b32 exec_lo, exec_lo, s2
	s_waitcnt lgkmcnt(0)
	s_barrier
	buffer_gl0_inv
	ds_read2_b64 v[74:77], v1 offset1:1
	s_mov_b32 s1, exec_lo
	v_cmpx_lt_u32_e32 7, v0
	s_cbranch_execz .LBB21_73
; %bb.72:
	s_waitcnt lgkmcnt(0)
	v_mul_f64 v[78:79], v[74:75], v[40:41]
	v_mul_f64 v[40:41], v[76:77], v[40:41]
	v_fma_f64 v[82:83], v[76:77], v[38:39], v[78:79]
	ds_read2_b64 v[78:81], v114 offset0:16 offset1:17
	v_fma_f64 v[38:39], v[74:75], v[38:39], -v[40:41]
	s_waitcnt lgkmcnt(0)
	v_mul_f64 v[40:41], v[80:81], v[82:83]
	v_fma_f64 v[40:41], v[78:79], v[38:39], -v[40:41]
	v_mul_f64 v[78:79], v[78:79], v[82:83]
	v_add_f64 v[34:35], v[34:35], -v[40:41]
	v_fma_f64 v[78:79], v[80:81], v[38:39], v[78:79]
	v_add_f64 v[36:37], v[36:37], -v[78:79]
	ds_read2_b64 v[78:81], v114 offset0:18 offset1:19
	s_waitcnt lgkmcnt(0)
	v_mul_f64 v[40:41], v[80:81], v[82:83]
	v_fma_f64 v[40:41], v[78:79], v[38:39], -v[40:41]
	v_mul_f64 v[78:79], v[78:79], v[82:83]
	v_add_f64 v[30:31], v[30:31], -v[40:41]
	v_fma_f64 v[78:79], v[80:81], v[38:39], v[78:79]
	v_add_f64 v[32:33], v[32:33], -v[78:79]
	ds_read2_b64 v[78:81], v114 offset0:20 offset1:21
	s_waitcnt lgkmcnt(0)
	v_mul_f64 v[40:41], v[80:81], v[82:83]
	v_fma_f64 v[40:41], v[78:79], v[38:39], -v[40:41]
	v_mul_f64 v[78:79], v[78:79], v[82:83]
	v_add_f64 v[26:27], v[26:27], -v[40:41]
	v_fma_f64 v[78:79], v[80:81], v[38:39], v[78:79]
	v_mov_b32_e32 v40, v82
	v_mov_b32_e32 v41, v83
	v_add_f64 v[28:29], v[28:29], -v[78:79]
.LBB21_73:
	s_or_b32 exec_lo, exec_lo, s1
	s_mov_b32 s2, exec_lo
	s_waitcnt lgkmcnt(0)
	s_barrier
	buffer_gl0_inv
	v_cmpx_eq_u32_e32 8, v0
	s_cbranch_execz .LBB21_80
; %bb.74:
	ds_write2_b64 v1, v[34:35], v[36:37] offset1:1
	ds_write2_b64 v114, v[30:31], v[32:33] offset0:18 offset1:19
	ds_write2_b64 v114, v[26:27], v[28:29] offset0:20 offset1:21
	ds_read2_b64 v[78:81], v1 offset1:1
	s_waitcnt lgkmcnt(0)
	v_cmp_neq_f64_e32 vcc_lo, 0, v[78:79]
	v_cmp_neq_f64_e64 s1, 0, v[80:81]
	s_or_b32 s1, vcc_lo, s1
	s_and_b32 exec_lo, exec_lo, s1
	s_cbranch_execz .LBB21_80
; %bb.75:
	v_cmp_ngt_f64_e64 s1, |v[78:79]|, |v[80:81]|
                                        ; implicit-def: $vgpr82_vgpr83
	s_and_saveexec_b32 s3, s1
	s_xor_b32 s1, exec_lo, s3
                                        ; implicit-def: $vgpr84_vgpr85
	s_cbranch_execz .LBB21_77
; %bb.76:
	v_div_scale_f64 v[82:83], null, v[80:81], v[80:81], v[78:79]
	v_div_scale_f64 v[88:89], vcc_lo, v[78:79], v[80:81], v[78:79]
	v_rcp_f64_e32 v[84:85], v[82:83]
	v_fma_f64 v[86:87], -v[82:83], v[84:85], 1.0
	v_fma_f64 v[84:85], v[84:85], v[86:87], v[84:85]
	v_fma_f64 v[86:87], -v[82:83], v[84:85], 1.0
	v_fma_f64 v[84:85], v[84:85], v[86:87], v[84:85]
	v_mul_f64 v[86:87], v[88:89], v[84:85]
	v_fma_f64 v[82:83], -v[82:83], v[86:87], v[88:89]
	v_div_fmas_f64 v[82:83], v[82:83], v[84:85], v[86:87]
	v_div_fixup_f64 v[82:83], v[82:83], v[80:81], v[78:79]
	v_fma_f64 v[78:79], v[78:79], v[82:83], v[80:81]
	v_div_scale_f64 v[80:81], null, v[78:79], v[78:79], 1.0
	v_rcp_f64_e32 v[84:85], v[80:81]
	v_fma_f64 v[86:87], -v[80:81], v[84:85], 1.0
	v_fma_f64 v[84:85], v[84:85], v[86:87], v[84:85]
	v_fma_f64 v[86:87], -v[80:81], v[84:85], 1.0
	v_fma_f64 v[84:85], v[84:85], v[86:87], v[84:85]
	v_div_scale_f64 v[86:87], vcc_lo, 1.0, v[78:79], 1.0
	v_mul_f64 v[88:89], v[86:87], v[84:85]
	v_fma_f64 v[80:81], -v[80:81], v[88:89], v[86:87]
	v_div_fmas_f64 v[80:81], v[80:81], v[84:85], v[88:89]
	v_div_fixup_f64 v[84:85], v[80:81], v[78:79], 1.0
                                        ; implicit-def: $vgpr78_vgpr79
	v_mul_f64 v[82:83], v[82:83], v[84:85]
	v_xor_b32_e32 v85, 0x80000000, v85
.LBB21_77:
	s_andn2_saveexec_b32 s1, s1
	s_cbranch_execz .LBB21_79
; %bb.78:
	v_div_scale_f64 v[82:83], null, v[78:79], v[78:79], v[80:81]
	v_div_scale_f64 v[88:89], vcc_lo, v[80:81], v[78:79], v[80:81]
	v_rcp_f64_e32 v[84:85], v[82:83]
	v_fma_f64 v[86:87], -v[82:83], v[84:85], 1.0
	v_fma_f64 v[84:85], v[84:85], v[86:87], v[84:85]
	v_fma_f64 v[86:87], -v[82:83], v[84:85], 1.0
	v_fma_f64 v[84:85], v[84:85], v[86:87], v[84:85]
	v_mul_f64 v[86:87], v[88:89], v[84:85]
	v_fma_f64 v[82:83], -v[82:83], v[86:87], v[88:89]
	v_div_fmas_f64 v[82:83], v[82:83], v[84:85], v[86:87]
	v_div_fixup_f64 v[84:85], v[82:83], v[78:79], v[80:81]
	v_fma_f64 v[78:79], v[80:81], v[84:85], v[78:79]
	v_div_scale_f64 v[80:81], null, v[78:79], v[78:79], 1.0
	v_rcp_f64_e32 v[82:83], v[80:81]
	v_fma_f64 v[86:87], -v[80:81], v[82:83], 1.0
	v_fma_f64 v[82:83], v[82:83], v[86:87], v[82:83]
	v_fma_f64 v[86:87], -v[80:81], v[82:83], 1.0
	v_fma_f64 v[82:83], v[82:83], v[86:87], v[82:83]
	v_div_scale_f64 v[86:87], vcc_lo, 1.0, v[78:79], 1.0
	v_mul_f64 v[88:89], v[86:87], v[82:83]
	v_fma_f64 v[80:81], -v[80:81], v[88:89], v[86:87]
	v_div_fmas_f64 v[80:81], v[80:81], v[82:83], v[88:89]
	v_div_fixup_f64 v[82:83], v[80:81], v[78:79], 1.0
	v_mul_f64 v[84:85], v[84:85], -v[82:83]
.LBB21_79:
	s_or_b32 exec_lo, exec_lo, s1
	ds_write2_b64 v1, v[82:83], v[84:85] offset1:1
.LBB21_80:
	s_or_b32 exec_lo, exec_lo, s2
	s_waitcnt lgkmcnt(0)
	s_barrier
	buffer_gl0_inv
	ds_read2_b64 v[78:81], v1 offset1:1
	s_mov_b32 s1, exec_lo
	v_cmpx_lt_u32_e32 8, v0
	s_cbranch_execz .LBB21_82
; %bb.81:
	s_waitcnt lgkmcnt(0)
	v_mul_f64 v[82:83], v[78:79], v[36:37]
	v_mul_f64 v[36:37], v[80:81], v[36:37]
	v_fma_f64 v[115:116], v[80:81], v[34:35], v[82:83]
	ds_read2_b64 v[82:85], v114 offset0:18 offset1:19
	ds_read2_b64 v[86:89], v114 offset0:20 offset1:21
	v_fma_f64 v[34:35], v[78:79], v[34:35], -v[36:37]
	s_waitcnt lgkmcnt(1)
	v_mul_f64 v[36:37], v[84:85], v[115:116]
	v_mul_f64 v[117:118], v[82:83], v[115:116]
	s_waitcnt lgkmcnt(0)
	v_mul_f64 v[119:120], v[88:89], v[115:116]
	v_mul_f64 v[121:122], v[86:87], v[115:116]
	v_fma_f64 v[36:37], v[82:83], v[34:35], -v[36:37]
	v_fma_f64 v[82:83], v[84:85], v[34:35], v[117:118]
	v_fma_f64 v[84:85], v[86:87], v[34:35], -v[119:120]
	v_fma_f64 v[86:87], v[88:89], v[34:35], v[121:122]
	v_add_f64 v[30:31], v[30:31], -v[36:37]
	v_add_f64 v[32:33], v[32:33], -v[82:83]
	;; [unrolled: 1-line block ×4, first 2 shown]
	v_mov_b32_e32 v36, v115
	v_mov_b32_e32 v37, v116
.LBB21_82:
	s_or_b32 exec_lo, exec_lo, s1
	s_mov_b32 s2, exec_lo
	s_waitcnt lgkmcnt(0)
	s_barrier
	buffer_gl0_inv
	v_cmpx_eq_u32_e32 9, v0
	s_cbranch_execz .LBB21_89
; %bb.83:
	ds_write2_b64 v1, v[30:31], v[32:33] offset1:1
	ds_write2_b64 v114, v[26:27], v[28:29] offset0:20 offset1:21
	ds_read2_b64 v[82:85], v1 offset1:1
	s_waitcnt lgkmcnt(0)
	v_cmp_neq_f64_e32 vcc_lo, 0, v[82:83]
	v_cmp_neq_f64_e64 s1, 0, v[84:85]
	s_or_b32 s1, vcc_lo, s1
	s_and_b32 exec_lo, exec_lo, s1
	s_cbranch_execz .LBB21_89
; %bb.84:
	v_cmp_ngt_f64_e64 s1, |v[82:83]|, |v[84:85]|
                                        ; implicit-def: $vgpr86_vgpr87
	s_and_saveexec_b32 s3, s1
	s_xor_b32 s1, exec_lo, s3
                                        ; implicit-def: $vgpr88_vgpr89
	s_cbranch_execz .LBB21_86
; %bb.85:
	v_div_scale_f64 v[86:87], null, v[84:85], v[84:85], v[82:83]
	v_div_scale_f64 v[117:118], vcc_lo, v[82:83], v[84:85], v[82:83]
	v_rcp_f64_e32 v[88:89], v[86:87]
	v_fma_f64 v[115:116], -v[86:87], v[88:89], 1.0
	v_fma_f64 v[88:89], v[88:89], v[115:116], v[88:89]
	v_fma_f64 v[115:116], -v[86:87], v[88:89], 1.0
	v_fma_f64 v[88:89], v[88:89], v[115:116], v[88:89]
	v_mul_f64 v[115:116], v[117:118], v[88:89]
	v_fma_f64 v[86:87], -v[86:87], v[115:116], v[117:118]
	v_div_fmas_f64 v[86:87], v[86:87], v[88:89], v[115:116]
	v_div_fixup_f64 v[86:87], v[86:87], v[84:85], v[82:83]
	v_fma_f64 v[82:83], v[82:83], v[86:87], v[84:85]
	v_div_scale_f64 v[84:85], null, v[82:83], v[82:83], 1.0
	v_rcp_f64_e32 v[88:89], v[84:85]
	v_fma_f64 v[115:116], -v[84:85], v[88:89], 1.0
	v_fma_f64 v[88:89], v[88:89], v[115:116], v[88:89]
	v_fma_f64 v[115:116], -v[84:85], v[88:89], 1.0
	v_fma_f64 v[88:89], v[88:89], v[115:116], v[88:89]
	v_div_scale_f64 v[115:116], vcc_lo, 1.0, v[82:83], 1.0
	v_mul_f64 v[117:118], v[115:116], v[88:89]
	v_fma_f64 v[84:85], -v[84:85], v[117:118], v[115:116]
	v_div_fmas_f64 v[84:85], v[84:85], v[88:89], v[117:118]
	v_div_fixup_f64 v[88:89], v[84:85], v[82:83], 1.0
                                        ; implicit-def: $vgpr82_vgpr83
	v_mul_f64 v[86:87], v[86:87], v[88:89]
	v_xor_b32_e32 v89, 0x80000000, v89
.LBB21_86:
	s_andn2_saveexec_b32 s1, s1
	s_cbranch_execz .LBB21_88
; %bb.87:
	v_div_scale_f64 v[86:87], null, v[82:83], v[82:83], v[84:85]
	v_div_scale_f64 v[117:118], vcc_lo, v[84:85], v[82:83], v[84:85]
	v_rcp_f64_e32 v[88:89], v[86:87]
	v_fma_f64 v[115:116], -v[86:87], v[88:89], 1.0
	v_fma_f64 v[88:89], v[88:89], v[115:116], v[88:89]
	v_fma_f64 v[115:116], -v[86:87], v[88:89], 1.0
	v_fma_f64 v[88:89], v[88:89], v[115:116], v[88:89]
	v_mul_f64 v[115:116], v[117:118], v[88:89]
	v_fma_f64 v[86:87], -v[86:87], v[115:116], v[117:118]
	v_div_fmas_f64 v[86:87], v[86:87], v[88:89], v[115:116]
	v_div_fixup_f64 v[88:89], v[86:87], v[82:83], v[84:85]
	v_fma_f64 v[82:83], v[84:85], v[88:89], v[82:83]
	v_div_scale_f64 v[84:85], null, v[82:83], v[82:83], 1.0
	v_rcp_f64_e32 v[86:87], v[84:85]
	v_fma_f64 v[115:116], -v[84:85], v[86:87], 1.0
	v_fma_f64 v[86:87], v[86:87], v[115:116], v[86:87]
	v_fma_f64 v[115:116], -v[84:85], v[86:87], 1.0
	v_fma_f64 v[86:87], v[86:87], v[115:116], v[86:87]
	v_div_scale_f64 v[115:116], vcc_lo, 1.0, v[82:83], 1.0
	v_mul_f64 v[117:118], v[115:116], v[86:87]
	v_fma_f64 v[84:85], -v[84:85], v[117:118], v[115:116]
	v_div_fmas_f64 v[84:85], v[84:85], v[86:87], v[117:118]
	v_div_fixup_f64 v[86:87], v[84:85], v[82:83], 1.0
	v_mul_f64 v[88:89], v[88:89], -v[86:87]
.LBB21_88:
	s_or_b32 exec_lo, exec_lo, s1
	ds_write2_b64 v1, v[86:87], v[88:89] offset1:1
.LBB21_89:
	s_or_b32 exec_lo, exec_lo, s2
	s_waitcnt lgkmcnt(0)
	s_barrier
	buffer_gl0_inv
	ds_read2_b64 v[82:85], v1 offset1:1
	s_mov_b32 s1, exec_lo
	v_cmpx_lt_u32_e32 9, v0
	s_cbranch_execz .LBB21_91
; %bb.90:
	s_waitcnt lgkmcnt(0)
	v_mul_f64 v[86:87], v[82:83], v[32:33]
	v_mul_f64 v[32:33], v[84:85], v[32:33]
	v_fma_f64 v[115:116], v[84:85], v[30:31], v[86:87]
	ds_read2_b64 v[86:89], v114 offset0:20 offset1:21
	v_fma_f64 v[30:31], v[82:83], v[30:31], -v[32:33]
	s_waitcnt lgkmcnt(0)
	v_mul_f64 v[32:33], v[88:89], v[115:116]
	v_mul_f64 v[117:118], v[86:87], v[115:116]
	v_fma_f64 v[32:33], v[86:87], v[30:31], -v[32:33]
	v_fma_f64 v[86:87], v[88:89], v[30:31], v[117:118]
	v_add_f64 v[26:27], v[26:27], -v[32:33]
	v_add_f64 v[28:29], v[28:29], -v[86:87]
	v_mov_b32_e32 v32, v115
	v_mov_b32_e32 v33, v116
.LBB21_91:
	s_or_b32 exec_lo, exec_lo, s1
	s_mov_b32 s2, exec_lo
	s_waitcnt lgkmcnt(0)
	s_barrier
	buffer_gl0_inv
	v_cmpx_eq_u32_e32 10, v0
	s_cbranch_execz .LBB21_98
; %bb.92:
	v_cmp_neq_f64_e32 vcc_lo, 0, v[26:27]
	v_cmp_neq_f64_e64 s1, 0, v[28:29]
	ds_write2_b64 v1, v[26:27], v[28:29] offset1:1
	s_or_b32 s1, vcc_lo, s1
	s_and_b32 exec_lo, exec_lo, s1
	s_cbranch_execz .LBB21_98
; %bb.93:
	v_cmp_ngt_f64_e64 s1, |v[26:27]|, |v[28:29]|
                                        ; implicit-def: $vgpr86_vgpr87
	s_and_saveexec_b32 s3, s1
	s_xor_b32 s1, exec_lo, s3
                                        ; implicit-def: $vgpr88_vgpr89
	s_cbranch_execz .LBB21_95
; %bb.94:
	v_div_scale_f64 v[86:87], null, v[28:29], v[28:29], v[26:27]
	v_div_scale_f64 v[116:117], vcc_lo, v[26:27], v[28:29], v[26:27]
	v_rcp_f64_e32 v[88:89], v[86:87]
	v_fma_f64 v[114:115], -v[86:87], v[88:89], 1.0
	v_fma_f64 v[88:89], v[88:89], v[114:115], v[88:89]
	v_fma_f64 v[114:115], -v[86:87], v[88:89], 1.0
	v_fma_f64 v[88:89], v[88:89], v[114:115], v[88:89]
	v_mul_f64 v[114:115], v[116:117], v[88:89]
	v_fma_f64 v[86:87], -v[86:87], v[114:115], v[116:117]
	v_div_fmas_f64 v[86:87], v[86:87], v[88:89], v[114:115]
	v_div_fixup_f64 v[86:87], v[86:87], v[28:29], v[26:27]
	v_fma_f64 v[88:89], v[26:27], v[86:87], v[28:29]
	v_div_scale_f64 v[114:115], null, v[88:89], v[88:89], 1.0
	v_rcp_f64_e32 v[116:117], v[114:115]
	v_fma_f64 v[118:119], -v[114:115], v[116:117], 1.0
	v_fma_f64 v[116:117], v[116:117], v[118:119], v[116:117]
	v_fma_f64 v[118:119], -v[114:115], v[116:117], 1.0
	v_fma_f64 v[116:117], v[116:117], v[118:119], v[116:117]
	v_div_scale_f64 v[118:119], vcc_lo, 1.0, v[88:89], 1.0
	v_mul_f64 v[120:121], v[118:119], v[116:117]
	v_fma_f64 v[114:115], -v[114:115], v[120:121], v[118:119]
	v_div_fmas_f64 v[114:115], v[114:115], v[116:117], v[120:121]
	v_div_fixup_f64 v[88:89], v[114:115], v[88:89], 1.0
	v_mul_f64 v[86:87], v[86:87], v[88:89]
	v_xor_b32_e32 v89, 0x80000000, v89
.LBB21_95:
	s_andn2_saveexec_b32 s1, s1
	s_cbranch_execz .LBB21_97
; %bb.96:
	v_div_scale_f64 v[86:87], null, v[26:27], v[26:27], v[28:29]
	v_div_scale_f64 v[116:117], vcc_lo, v[28:29], v[26:27], v[28:29]
	v_rcp_f64_e32 v[88:89], v[86:87]
	v_fma_f64 v[114:115], -v[86:87], v[88:89], 1.0
	v_fma_f64 v[88:89], v[88:89], v[114:115], v[88:89]
	v_fma_f64 v[114:115], -v[86:87], v[88:89], 1.0
	v_fma_f64 v[88:89], v[88:89], v[114:115], v[88:89]
	v_mul_f64 v[114:115], v[116:117], v[88:89]
	v_fma_f64 v[86:87], -v[86:87], v[114:115], v[116:117]
	v_div_fmas_f64 v[86:87], v[86:87], v[88:89], v[114:115]
	v_div_fixup_f64 v[88:89], v[86:87], v[26:27], v[28:29]
	v_fma_f64 v[86:87], v[28:29], v[88:89], v[26:27]
	v_div_scale_f64 v[114:115], null, v[86:87], v[86:87], 1.0
	v_rcp_f64_e32 v[116:117], v[114:115]
	v_fma_f64 v[118:119], -v[114:115], v[116:117], 1.0
	v_fma_f64 v[116:117], v[116:117], v[118:119], v[116:117]
	v_fma_f64 v[118:119], -v[114:115], v[116:117], 1.0
	v_fma_f64 v[116:117], v[116:117], v[118:119], v[116:117]
	v_div_scale_f64 v[118:119], vcc_lo, 1.0, v[86:87], 1.0
	v_mul_f64 v[120:121], v[118:119], v[116:117]
	v_fma_f64 v[114:115], -v[114:115], v[120:121], v[118:119]
	v_div_fmas_f64 v[114:115], v[114:115], v[116:117], v[120:121]
	v_div_fixup_f64 v[86:87], v[114:115], v[86:87], 1.0
	v_mul_f64 v[88:89], v[88:89], -v[86:87]
.LBB21_97:
	s_or_b32 exec_lo, exec_lo, s1
	ds_write2_b64 v1, v[86:87], v[88:89] offset1:1
.LBB21_98:
	s_or_b32 exec_lo, exec_lo, s2
	s_waitcnt lgkmcnt(0)
	s_barrier
	buffer_gl0_inv
	ds_read2_b64 v[86:89], v1 offset1:1
	s_mov_b32 s1, exec_lo
	v_cmpx_lt_u32_e32 10, v0
	s_cbranch_execz .LBB21_100
; %bb.99:
	s_waitcnt lgkmcnt(0)
	v_mul_f64 v[0:1], v[88:89], v[28:29]
	v_mul_f64 v[28:29], v[86:87], v[28:29]
	v_fma_f64 v[0:1], v[86:87], v[26:27], -v[0:1]
	v_fma_f64 v[28:29], v[88:89], v[26:27], v[28:29]
	v_mov_b32_e32 v27, v1
	v_mov_b32_e32 v26, v0
.LBB21_100:
	s_or_b32 exec_lo, exec_lo, s1
	s_waitcnt lgkmcnt(0)
	s_barrier
	buffer_gl0_inv
	s_and_saveexec_b32 s6, s0
	s_cbranch_execz .LBB21_103
; %bb.101:
	v_lshlrev_b64 v[0:1], 2, v[96:97]
	v_cmp_eq_f64_e64 s0, 0, v[48:49]
	v_cmp_neq_f64_e64 s1, 0, v[50:51]
	v_cmp_neq_f64_e64 s2, 0, v[52:53]
	v_cmp_eq_f64_e64 s3, 0, v[54:55]
	v_cmp_eq_f64_e64 s4, 0, v[56:57]
	v_add_co_u32 v0, vcc_lo, s10, v0
	v_add_co_ci_u32_e64 v1, null, s11, v1, vcc_lo
	v_cmp_eq_f64_e32 vcc_lo, 0, v[46:47]
	v_cmp_eq_f64_e64 s5, 0, v[58:59]
	global_load_dword v96, v[0:1], off
	s_or_b32 s1, s1, s2
	v_cmp_eq_f64_e64 s2, 0, v[64:65]
	s_and_b32 s3, s3, s4
	v_cmp_eq_f64_e64 s4, 0, v[68:69]
	s_and_b32 s0, vcc_lo, s0
	v_cmp_eq_f64_e32 vcc_lo, 0, v[60:61]
	v_cndmask_b32_e64 v46, 0, 1, s0
	s_or_b32 s0, s1, s0
	v_cmp_eq_f64_e64 s1, 0, v[62:63]
	v_cndmask_b32_e64 v46, 2, v46, s0
	v_cmp_eq_u32_e64 s0, 0, v46
	s_and_b32 s0, s3, s0
	v_cmp_eq_f64_e64 s3, 0, v[66:67]
	v_cndmask_b32_e64 v46, v46, 3, s0
	s_and_b32 s5, s5, vcc_lo
	v_cmp_eq_u32_e64 s0, 0, v46
	s_and_b32 s1, s1, s2
	v_cmp_eq_f64_e64 s2, 0, v[76:77]
	s_and_b32 s0, s5, s0
	v_cmp_eq_f64_e64 s5, 0, v[72:73]
	v_cndmask_b32_e64 v46, v46, 4, s0
	v_cmp_eq_f64_e64 s0, 0, v[70:71]
	v_cmp_eq_u32_e32 vcc_lo, 0, v46
	s_and_b32 s3, s3, s4
	s_and_b32 s1, s1, vcc_lo
	v_cmp_eq_f64_e64 s4, 0, v[80:81]
	v_cndmask_b32_e64 v46, v46, 5, s1
	v_cmp_eq_f64_e64 s1, 0, v[74:75]
	v_cmp_eq_u32_e32 vcc_lo, 0, v46
	s_and_b32 s3, s3, vcc_lo
	s_and_b32 s0, s0, s5
	v_cndmask_b32_e64 v46, v46, 6, s3
	v_cmp_eq_f64_e64 s3, 0, v[78:79]
	v_cmp_eq_f64_e64 s5, 0, v[84:85]
	v_cmp_eq_u32_e32 vcc_lo, 0, v46
	s_and_b32 s0, s0, vcc_lo
	s_and_b32 s1, s1, s2
	v_cndmask_b32_e64 v46, v46, 7, s0
	v_cmp_eq_f64_e64 s0, 0, v[82:83]
	;; [unrolled: 6-line block ×3, first 2 shown]
	v_cmp_eq_u32_e32 vcc_lo, 0, v46
	s_and_b32 s3, s3, vcc_lo
	s_and_b32 s0, s0, s5
	v_cndmask_b32_e64 v46, v46, 9, s3
	v_cmp_eq_u32_e32 vcc_lo, 0, v46
	s_and_b32 s0, s0, vcc_lo
	v_cndmask_b32_e64 v46, v46, 10, s0
	s_and_b32 s0, s1, s2
	v_cmp_eq_u32_e32 vcc_lo, 0, v46
	s_and_b32 s0, s0, vcc_lo
	v_cndmask_b32_e64 v46, v46, 11, s0
	v_cmp_ne_u32_e64 s0, 0, v46
	s_waitcnt vmcnt(0)
	v_cmp_eq_u32_e32 vcc_lo, 0, v96
	s_and_b32 s0, vcc_lo, s0
	s_and_b32 exec_lo, exec_lo, s0
	s_cbranch_execz .LBB21_103
; %bb.102:
	v_add_nc_u32_e32 v46, s13, v46
	global_store_dword v[0:1], v46, off
.LBB21_103:
	s_or_b32 exec_lo, exec_lo, s6
	global_store_dwordx4 v[98:99], v[14:17], off
	global_store_dwordx4 v[100:101], v[10:13], off
	;; [unrolled: 1-line block ×11, first 2 shown]
.LBB21_104:
	s_endpgm
	.section	.rodata,"a",@progbits
	.p2align	6, 0x0
	.amdhsa_kernel _ZN9rocsolver6v33100L23getf2_npvt_small_kernelILi11E19rocblas_complex_numIdEiiPS3_EEvT1_T3_lS5_lPT2_S5_S5_
		.amdhsa_group_segment_fixed_size 0
		.amdhsa_private_segment_fixed_size 0
		.amdhsa_kernarg_size 312
		.amdhsa_user_sgpr_count 6
		.amdhsa_user_sgpr_private_segment_buffer 1
		.amdhsa_user_sgpr_dispatch_ptr 0
		.amdhsa_user_sgpr_queue_ptr 0
		.amdhsa_user_sgpr_kernarg_segment_ptr 1
		.amdhsa_user_sgpr_dispatch_id 0
		.amdhsa_user_sgpr_flat_scratch_init 0
		.amdhsa_user_sgpr_private_segment_size 0
		.amdhsa_wavefront_size32 1
		.amdhsa_uses_dynamic_stack 0
		.amdhsa_system_sgpr_private_segment_wavefront_offset 0
		.amdhsa_system_sgpr_workgroup_id_x 1
		.amdhsa_system_sgpr_workgroup_id_y 1
		.amdhsa_system_sgpr_workgroup_id_z 0
		.amdhsa_system_sgpr_workgroup_info 0
		.amdhsa_system_vgpr_workitem_id 1
		.amdhsa_next_free_vgpr 123
		.amdhsa_next_free_sgpr 15
		.amdhsa_reserve_vcc 1
		.amdhsa_reserve_flat_scratch 0
		.amdhsa_float_round_mode_32 0
		.amdhsa_float_round_mode_16_64 0
		.amdhsa_float_denorm_mode_32 3
		.amdhsa_float_denorm_mode_16_64 3
		.amdhsa_dx10_clamp 1
		.amdhsa_ieee_mode 1
		.amdhsa_fp16_overflow 0
		.amdhsa_workgroup_processor_mode 1
		.amdhsa_memory_ordered 1
		.amdhsa_forward_progress 1
		.amdhsa_shared_vgpr_count 0
		.amdhsa_exception_fp_ieee_invalid_op 0
		.amdhsa_exception_fp_denorm_src 0
		.amdhsa_exception_fp_ieee_div_zero 0
		.amdhsa_exception_fp_ieee_overflow 0
		.amdhsa_exception_fp_ieee_underflow 0
		.amdhsa_exception_fp_ieee_inexact 0
		.amdhsa_exception_int_div_zero 0
	.end_amdhsa_kernel
	.section	.text._ZN9rocsolver6v33100L23getf2_npvt_small_kernelILi11E19rocblas_complex_numIdEiiPS3_EEvT1_T3_lS5_lPT2_S5_S5_,"axG",@progbits,_ZN9rocsolver6v33100L23getf2_npvt_small_kernelILi11E19rocblas_complex_numIdEiiPS3_EEvT1_T3_lS5_lPT2_S5_S5_,comdat
.Lfunc_end21:
	.size	_ZN9rocsolver6v33100L23getf2_npvt_small_kernelILi11E19rocblas_complex_numIdEiiPS3_EEvT1_T3_lS5_lPT2_S5_S5_, .Lfunc_end21-_ZN9rocsolver6v33100L23getf2_npvt_small_kernelILi11E19rocblas_complex_numIdEiiPS3_EEvT1_T3_lS5_lPT2_S5_S5_
                                        ; -- End function
	.set _ZN9rocsolver6v33100L23getf2_npvt_small_kernelILi11E19rocblas_complex_numIdEiiPS3_EEvT1_T3_lS5_lPT2_S5_S5_.num_vgpr, 123
	.set _ZN9rocsolver6v33100L23getf2_npvt_small_kernelILi11E19rocblas_complex_numIdEiiPS3_EEvT1_T3_lS5_lPT2_S5_S5_.num_agpr, 0
	.set _ZN9rocsolver6v33100L23getf2_npvt_small_kernelILi11E19rocblas_complex_numIdEiiPS3_EEvT1_T3_lS5_lPT2_S5_S5_.numbered_sgpr, 15
	.set _ZN9rocsolver6v33100L23getf2_npvt_small_kernelILi11E19rocblas_complex_numIdEiiPS3_EEvT1_T3_lS5_lPT2_S5_S5_.num_named_barrier, 0
	.set _ZN9rocsolver6v33100L23getf2_npvt_small_kernelILi11E19rocblas_complex_numIdEiiPS3_EEvT1_T3_lS5_lPT2_S5_S5_.private_seg_size, 0
	.set _ZN9rocsolver6v33100L23getf2_npvt_small_kernelILi11E19rocblas_complex_numIdEiiPS3_EEvT1_T3_lS5_lPT2_S5_S5_.uses_vcc, 1
	.set _ZN9rocsolver6v33100L23getf2_npvt_small_kernelILi11E19rocblas_complex_numIdEiiPS3_EEvT1_T3_lS5_lPT2_S5_S5_.uses_flat_scratch, 0
	.set _ZN9rocsolver6v33100L23getf2_npvt_small_kernelILi11E19rocblas_complex_numIdEiiPS3_EEvT1_T3_lS5_lPT2_S5_S5_.has_dyn_sized_stack, 0
	.set _ZN9rocsolver6v33100L23getf2_npvt_small_kernelILi11E19rocblas_complex_numIdEiiPS3_EEvT1_T3_lS5_lPT2_S5_S5_.has_recursion, 0
	.set _ZN9rocsolver6v33100L23getf2_npvt_small_kernelILi11E19rocblas_complex_numIdEiiPS3_EEvT1_T3_lS5_lPT2_S5_S5_.has_indirect_call, 0
	.section	.AMDGPU.csdata,"",@progbits
; Kernel info:
; codeLenInByte = 11292
; TotalNumSgprs: 17
; NumVgprs: 123
; ScratchSize: 0
; MemoryBound: 0
; FloatMode: 240
; IeeeMode: 1
; LDSByteSize: 0 bytes/workgroup (compile time only)
; SGPRBlocks: 0
; VGPRBlocks: 15
; NumSGPRsForWavesPerEU: 17
; NumVGPRsForWavesPerEU: 123
; Occupancy: 8
; WaveLimiterHint : 0
; COMPUTE_PGM_RSRC2:SCRATCH_EN: 0
; COMPUTE_PGM_RSRC2:USER_SGPR: 6
; COMPUTE_PGM_RSRC2:TRAP_HANDLER: 0
; COMPUTE_PGM_RSRC2:TGID_X_EN: 1
; COMPUTE_PGM_RSRC2:TGID_Y_EN: 1
; COMPUTE_PGM_RSRC2:TGID_Z_EN: 0
; COMPUTE_PGM_RSRC2:TIDIG_COMP_CNT: 1
	.section	.text._ZN9rocsolver6v33100L18getf2_small_kernelILi12E19rocblas_complex_numIdEiiPS3_EEvT1_T3_lS5_lPS5_llPT2_S5_S5_S7_l,"axG",@progbits,_ZN9rocsolver6v33100L18getf2_small_kernelILi12E19rocblas_complex_numIdEiiPS3_EEvT1_T3_lS5_lPS5_llPT2_S5_S5_S7_l,comdat
	.globl	_ZN9rocsolver6v33100L18getf2_small_kernelILi12E19rocblas_complex_numIdEiiPS3_EEvT1_T3_lS5_lPS5_llPT2_S5_S5_S7_l ; -- Begin function _ZN9rocsolver6v33100L18getf2_small_kernelILi12E19rocblas_complex_numIdEiiPS3_EEvT1_T3_lS5_lPS5_llPT2_S5_S5_S7_l
	.p2align	8
	.type	_ZN9rocsolver6v33100L18getf2_small_kernelILi12E19rocblas_complex_numIdEiiPS3_EEvT1_T3_lS5_lPS5_llPT2_S5_S5_S7_l,@function
_ZN9rocsolver6v33100L18getf2_small_kernelILi12E19rocblas_complex_numIdEiiPS3_EEvT1_T3_lS5_lPS5_llPT2_S5_S5_S7_l: ; @_ZN9rocsolver6v33100L18getf2_small_kernelILi12E19rocblas_complex_numIdEiiPS3_EEvT1_T3_lS5_lPS5_llPT2_S5_S5_S7_l
; %bb.0:
	s_clause 0x1
	s_load_dword s0, s[4:5], 0x6c
	s_load_dwordx2 s[16:17], s[4:5], 0x48
	s_waitcnt lgkmcnt(0)
	s_lshr_b32 s0, s0, 16
	v_mad_u64_u32 v[54:55], null, s7, s0, v[1:2]
	s_mov_b32 s0, exec_lo
	v_cmpx_gt_i32_e64 s16, v54
	s_cbranch_execz .LBB22_255
; %bb.1:
	s_load_dwordx4 s[0:3], s[4:5], 0x50
	v_mov_b32_e32 v56, 0
	v_ashrrev_i32_e32 v55, 31, v54
	v_mov_b32_e32 v57, 0
	s_waitcnt lgkmcnt(0)
	s_cmp_eq_u64 s[0:1], 0
	s_cselect_b32 s16, -1, 0
	s_and_b32 vcc_lo, exec_lo, s16
	s_cbranch_vccnz .LBB22_3
; %bb.2:
	v_mul_lo_u32 v4, s3, v54
	v_mul_lo_u32 v5, s2, v55
	v_mad_u64_u32 v[2:3], null, s2, v54, 0
	v_add3_u32 v3, v3, v5, v4
	v_lshlrev_b64 v[2:3], 2, v[2:3]
	v_add_co_u32 v56, vcc_lo, s0, v2
	v_add_co_ci_u32_e64 v57, null, s1, v3, vcc_lo
.LBB22_3:
	s_clause 0x2
	s_load_dwordx8 s[8:15], s[4:5], 0x20
	s_load_dword s6, s[4:5], 0x18
	s_load_dwordx4 s[0:3], s[4:5], 0x8
	v_lshlrev_b32_e32 v58, 4, v0
	s_clause 0x1
	s_load_dword s18, s[4:5], 0x0
	s_load_dwordx2 s[4:5], s[4:5], 0x40
	s_waitcnt lgkmcnt(0)
	v_mul_lo_u32 v5, s9, v54
	v_mul_lo_u32 v7, s8, v55
	v_mad_u64_u32 v[2:3], null, s8, v54, 0
	v_add3_u32 v4, s6, s6, v0
	s_lshl_b64 s[2:3], s[2:3], 4
	s_ashr_i32 s7, s6, 31
	s_lshl_b64 s[8:9], s[6:7], 4
	v_add_nc_u32_e32 v6, s6, v4
	v_add3_u32 v3, v3, v7, v5
	v_ashrrev_i32_e32 v5, 31, v4
	v_add_nc_u32_e32 v8, s6, v6
	v_lshlrev_b64 v[2:3], 4, v[2:3]
	v_ashrrev_i32_e32 v7, 31, v6
	v_lshlrev_b64 v[4:5], 4, v[4:5]
	v_add_nc_u32_e32 v10, s6, v8
	v_ashrrev_i32_e32 v9, 31, v8
	v_add_co_u32 v12, vcc_lo, s0, v2
	v_add_co_ci_u32_e64 v13, null, s1, v3, vcc_lo
	v_lshlrev_b64 v[6:7], 4, v[6:7]
	v_add_co_u32 v61, vcc_lo, v12, s2
	v_add_co_ci_u32_e64 v62, null, s3, v13, vcc_lo
	v_ashrrev_i32_e32 v11, 31, v10
	v_add_co_u32 v13, vcc_lo, v61, v58
	v_lshlrev_b64 v[2:3], 4, v[8:9]
	v_add_nc_u32_e32 v8, s6, v10
	v_add_co_ci_u32_e64 v14, null, 0, v62, vcc_lo
	v_add_co_u32 v4, vcc_lo, v61, v4
	v_lshlrev_b64 v[10:11], 4, v[10:11]
	v_add_co_ci_u32_e64 v5, null, v62, v5, vcc_lo
	v_add_co_u32 v6, vcc_lo, v61, v6
	v_add_nc_u32_e32 v12, s6, v8
	v_add_co_ci_u32_e64 v7, null, v62, v7, vcc_lo
	v_add_co_u32 v15, vcc_lo, v13, s8
	v_add_co_ci_u32_e64 v16, null, s9, v14, vcc_lo
	v_add_co_u32 v2, vcc_lo, v61, v2
	v_add_co_ci_u32_e64 v3, null, v62, v3, vcc_lo
	s_clause 0x3
	global_load_dwordx4 v[34:37], v[4:5], off
	global_load_dwordx4 v[30:33], v[6:7], off
	;; [unrolled: 1-line block ×4, first 2 shown]
	v_add_co_u32 v4, vcc_lo, v61, v10
	v_add_nc_u32_e32 v6, s6, v12
	v_add_co_ci_u32_e64 v5, null, v62, v11, vcc_lo
	s_clause 0x1
	global_load_dwordx4 v[38:41], v[2:3], off
	global_load_dwordx4 v[22:25], v[4:5], off
	v_add_nc_u32_e32 v4, s6, v6
	v_ashrrev_i32_e32 v9, 31, v8
	v_ashrrev_i32_e32 v13, 31, v12
	v_ashrrev_i32_e32 v7, 31, v6
	s_max_i32 s0, s18, 12
	v_add_nc_u32_e32 v10, s6, v4
	v_lshlrev_b64 v[8:9], 4, v[8:9]
	v_lshlrev_b64 v[2:3], 4, v[12:13]
	v_ashrrev_i32_e32 v5, 31, v4
	v_lshlrev_b64 v[6:7], 4, v[6:7]
	v_add_nc_u32_e32 v12, s6, v10
	v_ashrrev_i32_e32 v11, 31, v10
	v_add_co_u32 v8, vcc_lo, v61, v8
	v_lshlrev_b64 v[4:5], 4, v[4:5]
	v_ashrrev_i32_e32 v13, 31, v12
	v_add_co_ci_u32_e64 v9, null, v62, v9, vcc_lo
	v_add_co_u32 v2, vcc_lo, v61, v2
	v_lshlrev_b64 v[10:11], 4, v[10:11]
	v_add_co_ci_u32_e64 v3, null, v62, v3, vcc_lo
	v_add_co_u32 v6, vcc_lo, v61, v6
	v_lshlrev_b64 v[12:13], 4, v[12:13]
	v_add_co_ci_u32_e64 v7, null, v62, v7, vcc_lo
	v_add_co_u32 v4, vcc_lo, v61, v4
	v_add_co_ci_u32_e64 v5, null, v62, v5, vcc_lo
	v_add_co_u32 v50, vcc_lo, v61, v10
	;; [unrolled: 2-line block ×3, first 2 shown]
	v_add_co_ci_u32_e64 v53, null, v62, v13, vcc_lo
	s_clause 0x5
	global_load_dwordx4 v[26:29], v[8:9], off
	global_load_dwordx4 v[18:21], v[2:3], off
	;; [unrolled: 1-line block ×6, first 2 shown]
	v_mul_lo_u32 v59, s0, v1
	s_cmp_lt_i32 s18, 2
	v_lshl_add_u32 v1, v59, 4, 0
	v_lshlrev_b32_e32 v60, 4, v59
	v_add_nc_u32_e32 v50, v1, v58
	v_mov_b32_e32 v58, 0
	s_waitcnt vmcnt(9)
	ds_write2_b64 v50, v[42:43], v[44:45] offset1:1
	s_waitcnt vmcnt(0) lgkmcnt(0)
	s_barrier
	buffer_gl0_inv
	ds_read2_b64 v[50:53], v1 offset1:1
	s_cbranch_scc1 .LBB22_6
; %bb.4:
	v_add3_u32 v59, v60, 0, 16
	v_mov_b32_e32 v58, 0
	s_mov_b32 s3, 1
	s_inst_prefetch 0x1
	.p2align	6
.LBB22_5:                               ; =>This Inner Loop Header: Depth=1
	ds_read2_b64 v[63:66], v59 offset1:1
	s_waitcnt lgkmcnt(1)
	v_cmp_gt_f64_e32 vcc_lo, 0, v[50:51]
	v_cmp_gt_f64_e64 s0, 0, v[52:53]
	v_xor_b32_e32 v68, 0x80000000, v51
	v_xor_b32_e32 v70, 0x80000000, v53
	v_mov_b32_e32 v67, v50
	v_mov_b32_e32 v69, v52
	v_add_nc_u32_e32 v59, 16, v59
	s_waitcnt lgkmcnt(0)
	v_cmp_gt_f64_e64 s1, 0, v[63:64]
	v_cmp_gt_f64_e64 s2, 0, v[65:66]
	v_xor_b32_e32 v72, 0x80000000, v64
	v_xor_b32_e32 v74, 0x80000000, v66
	v_mov_b32_e32 v71, v63
	v_mov_b32_e32 v73, v65
	v_cndmask_b32_e32 v68, v51, v68, vcc_lo
	v_cndmask_b32_e64 v70, v53, v70, s0
	v_add_f64 v[67:68], v[67:68], v[69:70]
	v_cndmask_b32_e64 v72, v64, v72, s1
	v_cndmask_b32_e64 v74, v66, v74, s2
	v_add_f64 v[69:70], v[71:72], v[73:74]
	v_cmp_lt_f64_e32 vcc_lo, v[67:68], v[69:70]
	v_cndmask_b32_e32 v51, v51, v64, vcc_lo
	v_cndmask_b32_e32 v50, v50, v63, vcc_lo
	;; [unrolled: 1-line block ×4, first 2 shown]
	v_cndmask_b32_e64 v58, v58, s3, vcc_lo
	s_add_i32 s3, s3, 1
	s_cmp_eq_u32 s18, s3
	s_cbranch_scc0 .LBB22_5
.LBB22_6:
	s_inst_prefetch 0x2
	s_waitcnt lgkmcnt(0)
	v_cmp_neq_f64_e32 vcc_lo, 0, v[50:51]
	v_cmp_neq_f64_e64 s0, 0, v[52:53]
	v_mov_b32_e32 v63, 1
	v_mov_b32_e32 v65, 1
	s_or_b32 s1, vcc_lo, s0
	s_and_saveexec_b32 s0, s1
	s_cbranch_execz .LBB22_12
; %bb.7:
	v_cmp_ngt_f64_e64 s1, |v[50:51]|, |v[52:53]|
	s_and_saveexec_b32 s2, s1
	s_xor_b32 s1, exec_lo, s2
	s_cbranch_execz .LBB22_9
; %bb.8:
	v_div_scale_f64 v[63:64], null, v[52:53], v[52:53], v[50:51]
	v_div_scale_f64 v[69:70], vcc_lo, v[50:51], v[52:53], v[50:51]
	v_rcp_f64_e32 v[65:66], v[63:64]
	v_fma_f64 v[67:68], -v[63:64], v[65:66], 1.0
	v_fma_f64 v[65:66], v[65:66], v[67:68], v[65:66]
	v_fma_f64 v[67:68], -v[63:64], v[65:66], 1.0
	v_fma_f64 v[65:66], v[65:66], v[67:68], v[65:66]
	v_mul_f64 v[67:68], v[69:70], v[65:66]
	v_fma_f64 v[63:64], -v[63:64], v[67:68], v[69:70]
	v_div_fmas_f64 v[63:64], v[63:64], v[65:66], v[67:68]
	v_div_fixup_f64 v[63:64], v[63:64], v[52:53], v[50:51]
	v_fma_f64 v[50:51], v[50:51], v[63:64], v[52:53]
	v_div_scale_f64 v[52:53], null, v[50:51], v[50:51], 1.0
	v_rcp_f64_e32 v[65:66], v[52:53]
	v_fma_f64 v[67:68], -v[52:53], v[65:66], 1.0
	v_fma_f64 v[65:66], v[65:66], v[67:68], v[65:66]
	v_fma_f64 v[67:68], -v[52:53], v[65:66], 1.0
	v_fma_f64 v[65:66], v[65:66], v[67:68], v[65:66]
	v_div_scale_f64 v[67:68], vcc_lo, 1.0, v[50:51], 1.0
	v_mul_f64 v[69:70], v[67:68], v[65:66]
	v_fma_f64 v[52:53], -v[52:53], v[69:70], v[67:68]
	v_div_fmas_f64 v[52:53], v[52:53], v[65:66], v[69:70]
	v_div_fixup_f64 v[52:53], v[52:53], v[50:51], 1.0
	v_mul_f64 v[50:51], v[63:64], v[52:53]
	v_xor_b32_e32 v53, 0x80000000, v53
.LBB22_9:
	s_andn2_saveexec_b32 s1, s1
	s_cbranch_execz .LBB22_11
; %bb.10:
	v_div_scale_f64 v[63:64], null, v[50:51], v[50:51], v[52:53]
	v_div_scale_f64 v[69:70], vcc_lo, v[52:53], v[50:51], v[52:53]
	v_rcp_f64_e32 v[65:66], v[63:64]
	v_fma_f64 v[67:68], -v[63:64], v[65:66], 1.0
	v_fma_f64 v[65:66], v[65:66], v[67:68], v[65:66]
	v_fma_f64 v[67:68], -v[63:64], v[65:66], 1.0
	v_fma_f64 v[65:66], v[65:66], v[67:68], v[65:66]
	v_mul_f64 v[67:68], v[69:70], v[65:66]
	v_fma_f64 v[63:64], -v[63:64], v[67:68], v[69:70]
	v_div_fmas_f64 v[63:64], v[63:64], v[65:66], v[67:68]
	v_div_fixup_f64 v[63:64], v[63:64], v[50:51], v[52:53]
	v_fma_f64 v[50:51], v[52:53], v[63:64], v[50:51]
	v_div_scale_f64 v[52:53], null, v[50:51], v[50:51], 1.0
	v_rcp_f64_e32 v[65:66], v[52:53]
	v_fma_f64 v[67:68], -v[52:53], v[65:66], 1.0
	v_fma_f64 v[65:66], v[65:66], v[67:68], v[65:66]
	v_fma_f64 v[67:68], -v[52:53], v[65:66], 1.0
	v_fma_f64 v[65:66], v[65:66], v[67:68], v[65:66]
	v_div_scale_f64 v[67:68], vcc_lo, 1.0, v[50:51], 1.0
	v_mul_f64 v[69:70], v[67:68], v[65:66]
	v_fma_f64 v[52:53], -v[52:53], v[69:70], v[67:68]
	v_div_fmas_f64 v[52:53], v[52:53], v[65:66], v[69:70]
	v_div_fixup_f64 v[50:51], v[52:53], v[50:51], 1.0
	v_mul_f64 v[52:53], v[63:64], -v[50:51]
.LBB22_11:
	s_or_b32 exec_lo, exec_lo, s1
	v_mov_b32_e32 v65, 0
	v_mov_b32_e32 v63, 2
.LBB22_12:
	s_or_b32 exec_lo, exec_lo, s0
	s_mov_b32 s0, exec_lo
	v_cmpx_ne_u32_e64 v0, v58
	s_xor_b32 s0, exec_lo, s0
	s_cbranch_execz .LBB22_18
; %bb.13:
	s_mov_b32 s1, exec_lo
	v_cmpx_eq_u32_e32 0, v0
	s_cbranch_execz .LBB22_17
; %bb.14:
	v_cmp_ne_u32_e32 vcc_lo, 0, v58
	s_xor_b32 s2, s16, -1
	s_and_b32 s3, s2, vcc_lo
	s_and_saveexec_b32 s2, s3
	s_cbranch_execz .LBB22_16
; %bb.15:
	v_ashrrev_i32_e32 v59, 31, v58
	v_lshlrev_b64 v[66:67], 2, v[58:59]
	v_add_co_u32 v66, vcc_lo, v56, v66
	v_add_co_ci_u32_e64 v67, null, v57, v67, vcc_lo
	s_clause 0x1
	global_load_dword v0, v[66:67], off
	global_load_dword v59, v[56:57], off
	s_waitcnt vmcnt(1)
	global_store_dword v[56:57], v0, off
	s_waitcnt vmcnt(0)
	global_store_dword v[66:67], v59, off
.LBB22_16:
	s_or_b32 exec_lo, exec_lo, s2
	v_mov_b32_e32 v0, v58
.LBB22_17:
	s_or_b32 exec_lo, exec_lo, s1
.LBB22_18:
	s_or_saveexec_b32 s0, s0
	v_mov_b32_e32 v64, v0
	s_xor_b32 exec_lo, exec_lo, s0
	s_cbranch_execz .LBB22_20
; %bb.19:
	v_mov_b32_e32 v64, 0
	ds_write2_b64 v1, v[46:47], v[48:49] offset0:2 offset1:3
	ds_write2_b64 v1, v[34:35], v[36:37] offset0:4 offset1:5
	;; [unrolled: 1-line block ×11, first 2 shown]
.LBB22_20:
	s_or_b32 exec_lo, exec_lo, s0
	s_mov_b32 s0, exec_lo
	s_waitcnt lgkmcnt(0)
	s_waitcnt_vscnt null, 0x0
	s_barrier
	buffer_gl0_inv
	v_cmpx_lt_i32_e32 0, v64
	s_cbranch_execz .LBB22_22
; %bb.21:
	v_mul_f64 v[58:59], v[50:51], v[44:45]
	v_mul_f64 v[44:45], v[52:53], v[44:45]
	v_fma_f64 v[58:59], v[52:53], v[42:43], v[58:59]
	v_fma_f64 v[42:43], v[50:51], v[42:43], -v[44:45]
	ds_read2_b64 v[50:53], v1 offset0:2 offset1:3
	s_waitcnt lgkmcnt(0)
	v_mul_f64 v[44:45], v[52:53], v[58:59]
	v_fma_f64 v[44:45], v[50:51], v[42:43], -v[44:45]
	v_mul_f64 v[50:51], v[50:51], v[58:59]
	v_add_f64 v[46:47], v[46:47], -v[44:45]
	v_fma_f64 v[50:51], v[52:53], v[42:43], v[50:51]
	v_add_f64 v[48:49], v[48:49], -v[50:51]
	ds_read2_b64 v[50:53], v1 offset0:4 offset1:5
	s_waitcnt lgkmcnt(0)
	v_mul_f64 v[44:45], v[52:53], v[58:59]
	v_fma_f64 v[44:45], v[50:51], v[42:43], -v[44:45]
	v_mul_f64 v[50:51], v[50:51], v[58:59]
	v_add_f64 v[34:35], v[34:35], -v[44:45]
	v_fma_f64 v[50:51], v[52:53], v[42:43], v[50:51]
	v_add_f64 v[36:37], v[36:37], -v[50:51]
	;; [unrolled: 8-line block ×10, first 2 shown]
	ds_read2_b64 v[50:53], v1 offset0:22 offset1:23
	s_waitcnt lgkmcnt(0)
	v_mul_f64 v[44:45], v[52:53], v[58:59]
	v_fma_f64 v[44:45], v[50:51], v[42:43], -v[44:45]
	v_mul_f64 v[50:51], v[50:51], v[58:59]
	v_add_f64 v[2:3], v[2:3], -v[44:45]
	v_fma_f64 v[50:51], v[52:53], v[42:43], v[50:51]
	v_mov_b32_e32 v44, v58
	v_mov_b32_e32 v45, v59
	v_add_f64 v[4:5], v[4:5], -v[50:51]
.LBB22_22:
	s_or_b32 exec_lo, exec_lo, s0
	v_lshl_add_u32 v50, v64, 4, v1
	s_barrier
	buffer_gl0_inv
	v_mov_b32_e32 v58, 1
	ds_write2_b64 v50, v[46:47], v[48:49] offset1:1
	s_waitcnt lgkmcnt(0)
	s_barrier
	buffer_gl0_inv
	ds_read2_b64 v[50:53], v1 offset0:2 offset1:3
	s_cmp_lt_i32 s18, 3
	s_cbranch_scc1 .LBB22_25
; %bb.23:
	v_add3_u32 v59, v60, 0, 32
	v_mov_b32_e32 v58, 1
	s_mov_b32 s1, 2
	s_inst_prefetch 0x1
	.p2align	6
.LBB22_24:                              ; =>This Inner Loop Header: Depth=1
	s_waitcnt lgkmcnt(0)
	v_cmp_gt_f64_e32 vcc_lo, 0, v[52:53]
	v_cmp_gt_f64_e64 s0, 0, v[50:51]
	ds_read2_b64 v[66:69], v59 offset1:1
	v_xor_b32_e32 v71, 0x80000000, v51
	v_xor_b32_e32 v73, 0x80000000, v53
	v_mov_b32_e32 v70, v50
	v_mov_b32_e32 v72, v52
	v_add_nc_u32_e32 v59, 16, v59
	s_waitcnt lgkmcnt(0)
	v_xor_b32_e32 v75, 0x80000000, v69
	v_cndmask_b32_e64 v71, v51, v71, s0
	v_cndmask_b32_e32 v73, v53, v73, vcc_lo
	v_cmp_gt_f64_e32 vcc_lo, 0, v[68:69]
	v_cmp_gt_f64_e64 s0, 0, v[66:67]
	v_mov_b32_e32 v74, v68
	v_add_f64 v[70:71], v[70:71], v[72:73]
	v_xor_b32_e32 v73, 0x80000000, v67
	v_mov_b32_e32 v72, v66
	v_cndmask_b32_e32 v75, v69, v75, vcc_lo
	v_cndmask_b32_e64 v73, v67, v73, s0
	v_add_f64 v[72:73], v[72:73], v[74:75]
	v_cmp_lt_f64_e32 vcc_lo, v[70:71], v[72:73]
	v_cndmask_b32_e32 v51, v51, v67, vcc_lo
	v_cndmask_b32_e32 v50, v50, v66, vcc_lo
	;; [unrolled: 1-line block ×4, first 2 shown]
	v_cndmask_b32_e64 v58, v58, s1, vcc_lo
	s_add_i32 s1, s1, 1
	s_cmp_lg_u32 s18, s1
	s_cbranch_scc1 .LBB22_24
.LBB22_25:
	s_inst_prefetch 0x2
	s_waitcnt lgkmcnt(0)
	v_cmp_neq_f64_e32 vcc_lo, 0, v[50:51]
	v_cmp_neq_f64_e64 s0, 0, v[52:53]
	s_or_b32 s1, vcc_lo, s0
	s_and_saveexec_b32 s0, s1
	s_cbranch_execz .LBB22_31
; %bb.26:
	v_cmp_ngt_f64_e64 s1, |v[50:51]|, |v[52:53]|
	s_and_saveexec_b32 s2, s1
	s_xor_b32 s1, exec_lo, s2
	s_cbranch_execz .LBB22_28
; %bb.27:
	v_div_scale_f64 v[66:67], null, v[52:53], v[52:53], v[50:51]
	v_div_scale_f64 v[72:73], vcc_lo, v[50:51], v[52:53], v[50:51]
	v_rcp_f64_e32 v[68:69], v[66:67]
	v_fma_f64 v[70:71], -v[66:67], v[68:69], 1.0
	v_fma_f64 v[68:69], v[68:69], v[70:71], v[68:69]
	v_fma_f64 v[70:71], -v[66:67], v[68:69], 1.0
	v_fma_f64 v[68:69], v[68:69], v[70:71], v[68:69]
	v_mul_f64 v[70:71], v[72:73], v[68:69]
	v_fma_f64 v[66:67], -v[66:67], v[70:71], v[72:73]
	v_div_fmas_f64 v[66:67], v[66:67], v[68:69], v[70:71]
	v_div_fixup_f64 v[66:67], v[66:67], v[52:53], v[50:51]
	v_fma_f64 v[50:51], v[50:51], v[66:67], v[52:53]
	v_div_scale_f64 v[52:53], null, v[50:51], v[50:51], 1.0
	v_rcp_f64_e32 v[68:69], v[52:53]
	v_fma_f64 v[70:71], -v[52:53], v[68:69], 1.0
	v_fma_f64 v[68:69], v[68:69], v[70:71], v[68:69]
	v_fma_f64 v[70:71], -v[52:53], v[68:69], 1.0
	v_fma_f64 v[68:69], v[68:69], v[70:71], v[68:69]
	v_div_scale_f64 v[70:71], vcc_lo, 1.0, v[50:51], 1.0
	v_mul_f64 v[72:73], v[70:71], v[68:69]
	v_fma_f64 v[52:53], -v[52:53], v[72:73], v[70:71]
	v_div_fmas_f64 v[52:53], v[52:53], v[68:69], v[72:73]
	v_div_fixup_f64 v[52:53], v[52:53], v[50:51], 1.0
	v_mul_f64 v[50:51], v[66:67], v[52:53]
	v_xor_b32_e32 v53, 0x80000000, v53
.LBB22_28:
	s_andn2_saveexec_b32 s1, s1
	s_cbranch_execz .LBB22_30
; %bb.29:
	v_div_scale_f64 v[66:67], null, v[50:51], v[50:51], v[52:53]
	v_div_scale_f64 v[72:73], vcc_lo, v[52:53], v[50:51], v[52:53]
	v_rcp_f64_e32 v[68:69], v[66:67]
	v_fma_f64 v[70:71], -v[66:67], v[68:69], 1.0
	v_fma_f64 v[68:69], v[68:69], v[70:71], v[68:69]
	v_fma_f64 v[70:71], -v[66:67], v[68:69], 1.0
	v_fma_f64 v[68:69], v[68:69], v[70:71], v[68:69]
	v_mul_f64 v[70:71], v[72:73], v[68:69]
	v_fma_f64 v[66:67], -v[66:67], v[70:71], v[72:73]
	v_div_fmas_f64 v[66:67], v[66:67], v[68:69], v[70:71]
	v_div_fixup_f64 v[66:67], v[66:67], v[50:51], v[52:53]
	v_fma_f64 v[50:51], v[52:53], v[66:67], v[50:51]
	v_div_scale_f64 v[52:53], null, v[50:51], v[50:51], 1.0
	v_rcp_f64_e32 v[68:69], v[52:53]
	v_fma_f64 v[70:71], -v[52:53], v[68:69], 1.0
	v_fma_f64 v[68:69], v[68:69], v[70:71], v[68:69]
	v_fma_f64 v[70:71], -v[52:53], v[68:69], 1.0
	v_fma_f64 v[68:69], v[68:69], v[70:71], v[68:69]
	v_div_scale_f64 v[70:71], vcc_lo, 1.0, v[50:51], 1.0
	v_mul_f64 v[72:73], v[70:71], v[68:69]
	v_fma_f64 v[52:53], -v[52:53], v[72:73], v[70:71]
	v_div_fmas_f64 v[52:53], v[52:53], v[68:69], v[72:73]
	v_div_fixup_f64 v[50:51], v[52:53], v[50:51], 1.0
	v_mul_f64 v[52:53], v[66:67], -v[50:51]
.LBB22_30:
	s_or_b32 exec_lo, exec_lo, s1
	v_mov_b32_e32 v63, v65
.LBB22_31:
	s_or_b32 exec_lo, exec_lo, s0
	s_mov_b32 s0, exec_lo
	v_cmpx_ne_u32_e64 v64, v58
	s_xor_b32 s0, exec_lo, s0
	s_cbranch_execz .LBB22_37
; %bb.32:
	s_mov_b32 s1, exec_lo
	v_cmpx_eq_u32_e32 1, v64
	s_cbranch_execz .LBB22_36
; %bb.33:
	v_cmp_ne_u32_e32 vcc_lo, 1, v58
	s_xor_b32 s2, s16, -1
	s_and_b32 s3, s2, vcc_lo
	s_and_saveexec_b32 s2, s3
	s_cbranch_execz .LBB22_35
; %bb.34:
	v_ashrrev_i32_e32 v59, 31, v58
	v_lshlrev_b64 v[64:65], 2, v[58:59]
	v_add_co_u32 v64, vcc_lo, v56, v64
	v_add_co_ci_u32_e64 v65, null, v57, v65, vcc_lo
	s_clause 0x1
	global_load_dword v0, v[64:65], off
	global_load_dword v59, v[56:57], off offset:4
	s_waitcnt vmcnt(1)
	global_store_dword v[56:57], v0, off offset:4
	s_waitcnt vmcnt(0)
	global_store_dword v[64:65], v59, off
.LBB22_35:
	s_or_b32 exec_lo, exec_lo, s2
	v_mov_b32_e32 v64, v58
	v_mov_b32_e32 v0, v58
.LBB22_36:
	s_or_b32 exec_lo, exec_lo, s1
.LBB22_37:
	s_andn2_saveexec_b32 s0, s0
	s_cbranch_execz .LBB22_39
; %bb.38:
	v_mov_b32_e32 v64, 1
	ds_write2_b64 v1, v[34:35], v[36:37] offset0:4 offset1:5
	ds_write2_b64 v1, v[30:31], v[32:33] offset0:6 offset1:7
	;; [unrolled: 1-line block ×10, first 2 shown]
.LBB22_39:
	s_or_b32 exec_lo, exec_lo, s0
	s_mov_b32 s0, exec_lo
	s_waitcnt lgkmcnt(0)
	s_waitcnt_vscnt null, 0x0
	s_barrier
	buffer_gl0_inv
	v_cmpx_lt_i32_e32 1, v64
	s_cbranch_execz .LBB22_41
; %bb.40:
	v_mul_f64 v[58:59], v[50:51], v[48:49]
	v_mul_f64 v[48:49], v[52:53], v[48:49]
	v_fma_f64 v[58:59], v[52:53], v[46:47], v[58:59]
	v_fma_f64 v[46:47], v[50:51], v[46:47], -v[48:49]
	ds_read2_b64 v[48:51], v1 offset0:4 offset1:5
	s_waitcnt lgkmcnt(0)
	v_mul_f64 v[52:53], v[50:51], v[58:59]
	v_fma_f64 v[52:53], v[48:49], v[46:47], -v[52:53]
	v_mul_f64 v[48:49], v[48:49], v[58:59]
	v_add_f64 v[34:35], v[34:35], -v[52:53]
	v_fma_f64 v[48:49], v[50:51], v[46:47], v[48:49]
	v_add_f64 v[36:37], v[36:37], -v[48:49]
	ds_read2_b64 v[48:51], v1 offset0:6 offset1:7
	s_waitcnt lgkmcnt(0)
	v_mul_f64 v[52:53], v[50:51], v[58:59]
	v_fma_f64 v[52:53], v[48:49], v[46:47], -v[52:53]
	v_mul_f64 v[48:49], v[48:49], v[58:59]
	v_add_f64 v[30:31], v[30:31], -v[52:53]
	v_fma_f64 v[48:49], v[50:51], v[46:47], v[48:49]
	v_add_f64 v[32:33], v[32:33], -v[48:49]
	;; [unrolled: 8-line block ×10, first 2 shown]
	v_mov_b32_e32 v48, v58
	v_mov_b32_e32 v49, v59
.LBB22_41:
	s_or_b32 exec_lo, exec_lo, s0
	v_lshl_add_u32 v50, v64, 4, v1
	s_barrier
	buffer_gl0_inv
	v_mov_b32_e32 v58, 2
	ds_write2_b64 v50, v[34:35], v[36:37] offset1:1
	s_waitcnt lgkmcnt(0)
	s_barrier
	buffer_gl0_inv
	ds_read2_b64 v[50:53], v1 offset0:4 offset1:5
	s_cmp_lt_i32 s18, 4
	s_cbranch_scc1 .LBB22_44
; %bb.42:
	v_add3_u32 v59, v60, 0, 48
	v_mov_b32_e32 v58, 2
	s_mov_b32 s1, 3
	s_inst_prefetch 0x1
	.p2align	6
.LBB22_43:                              ; =>This Inner Loop Header: Depth=1
	s_waitcnt lgkmcnt(0)
	v_cmp_gt_f64_e32 vcc_lo, 0, v[52:53]
	v_cmp_gt_f64_e64 s0, 0, v[50:51]
	ds_read2_b64 v[65:68], v59 offset1:1
	v_xor_b32_e32 v70, 0x80000000, v51
	v_xor_b32_e32 v72, 0x80000000, v53
	v_mov_b32_e32 v69, v50
	v_mov_b32_e32 v71, v52
	v_add_nc_u32_e32 v59, 16, v59
	s_waitcnt lgkmcnt(0)
	v_xor_b32_e32 v74, 0x80000000, v68
	v_cndmask_b32_e64 v70, v51, v70, s0
	v_cndmask_b32_e32 v72, v53, v72, vcc_lo
	v_cmp_gt_f64_e32 vcc_lo, 0, v[67:68]
	v_cmp_gt_f64_e64 s0, 0, v[65:66]
	v_mov_b32_e32 v73, v67
	v_add_f64 v[69:70], v[69:70], v[71:72]
	v_xor_b32_e32 v72, 0x80000000, v66
	v_mov_b32_e32 v71, v65
	v_cndmask_b32_e32 v74, v68, v74, vcc_lo
	v_cndmask_b32_e64 v72, v66, v72, s0
	v_add_f64 v[71:72], v[71:72], v[73:74]
	v_cmp_lt_f64_e32 vcc_lo, v[69:70], v[71:72]
	v_cndmask_b32_e32 v51, v51, v66, vcc_lo
	v_cndmask_b32_e32 v50, v50, v65, vcc_lo
	v_cndmask_b32_e32 v53, v53, v68, vcc_lo
	v_cndmask_b32_e32 v52, v52, v67, vcc_lo
	v_cndmask_b32_e64 v58, v58, s1, vcc_lo
	s_add_i32 s1, s1, 1
	s_cmp_lg_u32 s18, s1
	s_cbranch_scc1 .LBB22_43
.LBB22_44:
	s_inst_prefetch 0x2
	s_waitcnt lgkmcnt(0)
	v_cmp_eq_f64_e32 vcc_lo, 0, v[50:51]
	v_cmp_eq_f64_e64 s0, 0, v[52:53]
	s_and_b32 s0, vcc_lo, s0
	s_and_saveexec_b32 s1, s0
	s_xor_b32 s0, exec_lo, s1
; %bb.45:
	v_cmp_ne_u32_e32 vcc_lo, 0, v63
	v_cndmask_b32_e32 v63, 3, v63, vcc_lo
; %bb.46:
	s_andn2_saveexec_b32 s0, s0
	s_cbranch_execz .LBB22_52
; %bb.47:
	v_cmp_ngt_f64_e64 s1, |v[50:51]|, |v[52:53]|
	s_and_saveexec_b32 s2, s1
	s_xor_b32 s1, exec_lo, s2
	s_cbranch_execz .LBB22_49
; %bb.48:
	v_div_scale_f64 v[65:66], null, v[52:53], v[52:53], v[50:51]
	v_div_scale_f64 v[71:72], vcc_lo, v[50:51], v[52:53], v[50:51]
	v_rcp_f64_e32 v[67:68], v[65:66]
	v_fma_f64 v[69:70], -v[65:66], v[67:68], 1.0
	v_fma_f64 v[67:68], v[67:68], v[69:70], v[67:68]
	v_fma_f64 v[69:70], -v[65:66], v[67:68], 1.0
	v_fma_f64 v[67:68], v[67:68], v[69:70], v[67:68]
	v_mul_f64 v[69:70], v[71:72], v[67:68]
	v_fma_f64 v[65:66], -v[65:66], v[69:70], v[71:72]
	v_div_fmas_f64 v[65:66], v[65:66], v[67:68], v[69:70]
	v_div_fixup_f64 v[65:66], v[65:66], v[52:53], v[50:51]
	v_fma_f64 v[50:51], v[50:51], v[65:66], v[52:53]
	v_div_scale_f64 v[52:53], null, v[50:51], v[50:51], 1.0
	v_rcp_f64_e32 v[67:68], v[52:53]
	v_fma_f64 v[69:70], -v[52:53], v[67:68], 1.0
	v_fma_f64 v[67:68], v[67:68], v[69:70], v[67:68]
	v_fma_f64 v[69:70], -v[52:53], v[67:68], 1.0
	v_fma_f64 v[67:68], v[67:68], v[69:70], v[67:68]
	v_div_scale_f64 v[69:70], vcc_lo, 1.0, v[50:51], 1.0
	v_mul_f64 v[71:72], v[69:70], v[67:68]
	v_fma_f64 v[52:53], -v[52:53], v[71:72], v[69:70]
	v_div_fmas_f64 v[52:53], v[52:53], v[67:68], v[71:72]
	v_div_fixup_f64 v[52:53], v[52:53], v[50:51], 1.0
	v_mul_f64 v[50:51], v[65:66], v[52:53]
	v_xor_b32_e32 v53, 0x80000000, v53
.LBB22_49:
	s_andn2_saveexec_b32 s1, s1
	s_cbranch_execz .LBB22_51
; %bb.50:
	v_div_scale_f64 v[65:66], null, v[50:51], v[50:51], v[52:53]
	v_div_scale_f64 v[71:72], vcc_lo, v[52:53], v[50:51], v[52:53]
	v_rcp_f64_e32 v[67:68], v[65:66]
	v_fma_f64 v[69:70], -v[65:66], v[67:68], 1.0
	v_fma_f64 v[67:68], v[67:68], v[69:70], v[67:68]
	v_fma_f64 v[69:70], -v[65:66], v[67:68], 1.0
	v_fma_f64 v[67:68], v[67:68], v[69:70], v[67:68]
	v_mul_f64 v[69:70], v[71:72], v[67:68]
	v_fma_f64 v[65:66], -v[65:66], v[69:70], v[71:72]
	v_div_fmas_f64 v[65:66], v[65:66], v[67:68], v[69:70]
	v_div_fixup_f64 v[65:66], v[65:66], v[50:51], v[52:53]
	v_fma_f64 v[50:51], v[52:53], v[65:66], v[50:51]
	v_div_scale_f64 v[52:53], null, v[50:51], v[50:51], 1.0
	v_rcp_f64_e32 v[67:68], v[52:53]
	v_fma_f64 v[69:70], -v[52:53], v[67:68], 1.0
	v_fma_f64 v[67:68], v[67:68], v[69:70], v[67:68]
	v_fma_f64 v[69:70], -v[52:53], v[67:68], 1.0
	v_fma_f64 v[67:68], v[67:68], v[69:70], v[67:68]
	v_div_scale_f64 v[69:70], vcc_lo, 1.0, v[50:51], 1.0
	v_mul_f64 v[71:72], v[69:70], v[67:68]
	v_fma_f64 v[52:53], -v[52:53], v[71:72], v[69:70]
	v_div_fmas_f64 v[52:53], v[52:53], v[67:68], v[71:72]
	v_div_fixup_f64 v[50:51], v[52:53], v[50:51], 1.0
	v_mul_f64 v[52:53], v[65:66], -v[50:51]
.LBB22_51:
	s_or_b32 exec_lo, exec_lo, s1
.LBB22_52:
	s_or_b32 exec_lo, exec_lo, s0
	s_mov_b32 s0, exec_lo
	v_cmpx_ne_u32_e64 v64, v58
	s_xor_b32 s0, exec_lo, s0
	s_cbranch_execz .LBB22_58
; %bb.53:
	s_mov_b32 s1, exec_lo
	v_cmpx_eq_u32_e32 2, v64
	s_cbranch_execz .LBB22_57
; %bb.54:
	v_cmp_ne_u32_e32 vcc_lo, 2, v58
	s_xor_b32 s2, s16, -1
	s_and_b32 s3, s2, vcc_lo
	s_and_saveexec_b32 s2, s3
	s_cbranch_execz .LBB22_56
; %bb.55:
	v_ashrrev_i32_e32 v59, 31, v58
	v_lshlrev_b64 v[64:65], 2, v[58:59]
	v_add_co_u32 v64, vcc_lo, v56, v64
	v_add_co_ci_u32_e64 v65, null, v57, v65, vcc_lo
	s_clause 0x1
	global_load_dword v0, v[64:65], off
	global_load_dword v59, v[56:57], off offset:8
	s_waitcnt vmcnt(1)
	global_store_dword v[56:57], v0, off offset:8
	s_waitcnt vmcnt(0)
	global_store_dword v[64:65], v59, off
.LBB22_56:
	s_or_b32 exec_lo, exec_lo, s2
	v_mov_b32_e32 v64, v58
	v_mov_b32_e32 v0, v58
.LBB22_57:
	s_or_b32 exec_lo, exec_lo, s1
.LBB22_58:
	s_andn2_saveexec_b32 s0, s0
	s_cbranch_execz .LBB22_60
; %bb.59:
	v_mov_b32_e32 v64, 2
	ds_write2_b64 v1, v[30:31], v[32:33] offset0:6 offset1:7
	ds_write2_b64 v1, v[38:39], v[40:41] offset0:8 offset1:9
	ds_write2_b64 v1, v[22:23], v[24:25] offset0:10 offset1:11
	ds_write2_b64 v1, v[26:27], v[28:29] offset0:12 offset1:13
	ds_write2_b64 v1, v[18:19], v[20:21] offset0:14 offset1:15
	ds_write2_b64 v1, v[14:15], v[16:17] offset0:16 offset1:17
	ds_write2_b64 v1, v[10:11], v[12:13] offset0:18 offset1:19
	ds_write2_b64 v1, v[6:7], v[8:9] offset0:20 offset1:21
	ds_write2_b64 v1, v[2:3], v[4:5] offset0:22 offset1:23
.LBB22_60:
	s_or_b32 exec_lo, exec_lo, s0
	s_mov_b32 s0, exec_lo
	s_waitcnt lgkmcnt(0)
	s_waitcnt_vscnt null, 0x0
	s_barrier
	buffer_gl0_inv
	v_cmpx_lt_i32_e32 2, v64
	s_cbranch_execz .LBB22_62
; %bb.61:
	v_mul_f64 v[58:59], v[50:51], v[36:37]
	v_mul_f64 v[36:37], v[52:53], v[36:37]
	v_fma_f64 v[58:59], v[52:53], v[34:35], v[58:59]
	v_fma_f64 v[34:35], v[50:51], v[34:35], -v[36:37]
	ds_read2_b64 v[50:53], v1 offset0:6 offset1:7
	s_waitcnt lgkmcnt(0)
	v_mul_f64 v[36:37], v[52:53], v[58:59]
	v_fma_f64 v[36:37], v[50:51], v[34:35], -v[36:37]
	v_mul_f64 v[50:51], v[50:51], v[58:59]
	v_add_f64 v[30:31], v[30:31], -v[36:37]
	v_fma_f64 v[50:51], v[52:53], v[34:35], v[50:51]
	v_add_f64 v[32:33], v[32:33], -v[50:51]
	ds_read2_b64 v[50:53], v1 offset0:8 offset1:9
	s_waitcnt lgkmcnt(0)
	v_mul_f64 v[36:37], v[52:53], v[58:59]
	v_fma_f64 v[36:37], v[50:51], v[34:35], -v[36:37]
	v_mul_f64 v[50:51], v[50:51], v[58:59]
	v_add_f64 v[38:39], v[38:39], -v[36:37]
	v_fma_f64 v[50:51], v[52:53], v[34:35], v[50:51]
	v_add_f64 v[40:41], v[40:41], -v[50:51]
	;; [unrolled: 8-line block ×8, first 2 shown]
	ds_read2_b64 v[50:53], v1 offset0:22 offset1:23
	s_waitcnt lgkmcnt(0)
	v_mul_f64 v[36:37], v[52:53], v[58:59]
	v_fma_f64 v[36:37], v[50:51], v[34:35], -v[36:37]
	v_mul_f64 v[50:51], v[50:51], v[58:59]
	v_add_f64 v[2:3], v[2:3], -v[36:37]
	v_fma_f64 v[50:51], v[52:53], v[34:35], v[50:51]
	v_mov_b32_e32 v36, v58
	v_mov_b32_e32 v37, v59
	v_add_f64 v[4:5], v[4:5], -v[50:51]
.LBB22_62:
	s_or_b32 exec_lo, exec_lo, s0
	v_lshl_add_u32 v50, v64, 4, v1
	s_barrier
	buffer_gl0_inv
	v_mov_b32_e32 v58, 3
	ds_write2_b64 v50, v[30:31], v[32:33] offset1:1
	s_waitcnt lgkmcnt(0)
	s_barrier
	buffer_gl0_inv
	ds_read2_b64 v[50:53], v1 offset0:6 offset1:7
	s_cmp_lt_i32 s18, 5
	s_mov_b32 s1, 4
	s_cbranch_scc1 .LBB22_65
; %bb.63:
	v_add3_u32 v59, v60, 0, 64
	v_mov_b32_e32 v58, 3
	s_inst_prefetch 0x1
	.p2align	6
.LBB22_64:                              ; =>This Inner Loop Header: Depth=1
	s_waitcnt lgkmcnt(0)
	v_cmp_gt_f64_e32 vcc_lo, 0, v[52:53]
	v_cmp_gt_f64_e64 s0, 0, v[50:51]
	ds_read2_b64 v[65:68], v59 offset1:1
	v_xor_b32_e32 v70, 0x80000000, v51
	v_xor_b32_e32 v72, 0x80000000, v53
	v_mov_b32_e32 v69, v50
	v_mov_b32_e32 v71, v52
	v_add_nc_u32_e32 v59, 16, v59
	s_waitcnt lgkmcnt(0)
	v_xor_b32_e32 v74, 0x80000000, v68
	v_cndmask_b32_e64 v70, v51, v70, s0
	v_cndmask_b32_e32 v72, v53, v72, vcc_lo
	v_cmp_gt_f64_e32 vcc_lo, 0, v[67:68]
	v_cmp_gt_f64_e64 s0, 0, v[65:66]
	v_mov_b32_e32 v73, v67
	v_add_f64 v[69:70], v[69:70], v[71:72]
	v_xor_b32_e32 v72, 0x80000000, v66
	v_mov_b32_e32 v71, v65
	v_cndmask_b32_e32 v74, v68, v74, vcc_lo
	v_cndmask_b32_e64 v72, v66, v72, s0
	v_add_f64 v[71:72], v[71:72], v[73:74]
	v_cmp_lt_f64_e32 vcc_lo, v[69:70], v[71:72]
	v_cndmask_b32_e32 v51, v51, v66, vcc_lo
	v_cndmask_b32_e32 v50, v50, v65, vcc_lo
	v_cndmask_b32_e32 v53, v53, v68, vcc_lo
	v_cndmask_b32_e32 v52, v52, v67, vcc_lo
	v_cndmask_b32_e64 v58, v58, s1, vcc_lo
	s_add_i32 s1, s1, 1
	s_cmp_lg_u32 s18, s1
	s_cbranch_scc1 .LBB22_64
.LBB22_65:
	s_inst_prefetch 0x2
	s_waitcnt lgkmcnt(0)
	v_cmp_eq_f64_e32 vcc_lo, 0, v[50:51]
	v_cmp_eq_f64_e64 s0, 0, v[52:53]
	s_and_b32 s0, vcc_lo, s0
	s_and_saveexec_b32 s1, s0
	s_xor_b32 s0, exec_lo, s1
; %bb.66:
	v_cmp_ne_u32_e32 vcc_lo, 0, v63
	v_cndmask_b32_e32 v63, 4, v63, vcc_lo
; %bb.67:
	s_andn2_saveexec_b32 s0, s0
	s_cbranch_execz .LBB22_73
; %bb.68:
	v_cmp_ngt_f64_e64 s1, |v[50:51]|, |v[52:53]|
	s_and_saveexec_b32 s2, s1
	s_xor_b32 s1, exec_lo, s2
	s_cbranch_execz .LBB22_70
; %bb.69:
	v_div_scale_f64 v[65:66], null, v[52:53], v[52:53], v[50:51]
	v_div_scale_f64 v[71:72], vcc_lo, v[50:51], v[52:53], v[50:51]
	v_rcp_f64_e32 v[67:68], v[65:66]
	v_fma_f64 v[69:70], -v[65:66], v[67:68], 1.0
	v_fma_f64 v[67:68], v[67:68], v[69:70], v[67:68]
	v_fma_f64 v[69:70], -v[65:66], v[67:68], 1.0
	v_fma_f64 v[67:68], v[67:68], v[69:70], v[67:68]
	v_mul_f64 v[69:70], v[71:72], v[67:68]
	v_fma_f64 v[65:66], -v[65:66], v[69:70], v[71:72]
	v_div_fmas_f64 v[65:66], v[65:66], v[67:68], v[69:70]
	v_div_fixup_f64 v[65:66], v[65:66], v[52:53], v[50:51]
	v_fma_f64 v[50:51], v[50:51], v[65:66], v[52:53]
	v_div_scale_f64 v[52:53], null, v[50:51], v[50:51], 1.0
	v_rcp_f64_e32 v[67:68], v[52:53]
	v_fma_f64 v[69:70], -v[52:53], v[67:68], 1.0
	v_fma_f64 v[67:68], v[67:68], v[69:70], v[67:68]
	v_fma_f64 v[69:70], -v[52:53], v[67:68], 1.0
	v_fma_f64 v[67:68], v[67:68], v[69:70], v[67:68]
	v_div_scale_f64 v[69:70], vcc_lo, 1.0, v[50:51], 1.0
	v_mul_f64 v[71:72], v[69:70], v[67:68]
	v_fma_f64 v[52:53], -v[52:53], v[71:72], v[69:70]
	v_div_fmas_f64 v[52:53], v[52:53], v[67:68], v[71:72]
	v_div_fixup_f64 v[52:53], v[52:53], v[50:51], 1.0
	v_mul_f64 v[50:51], v[65:66], v[52:53]
	v_xor_b32_e32 v53, 0x80000000, v53
.LBB22_70:
	s_andn2_saveexec_b32 s1, s1
	s_cbranch_execz .LBB22_72
; %bb.71:
	v_div_scale_f64 v[65:66], null, v[50:51], v[50:51], v[52:53]
	v_div_scale_f64 v[71:72], vcc_lo, v[52:53], v[50:51], v[52:53]
	v_rcp_f64_e32 v[67:68], v[65:66]
	v_fma_f64 v[69:70], -v[65:66], v[67:68], 1.0
	v_fma_f64 v[67:68], v[67:68], v[69:70], v[67:68]
	v_fma_f64 v[69:70], -v[65:66], v[67:68], 1.0
	v_fma_f64 v[67:68], v[67:68], v[69:70], v[67:68]
	v_mul_f64 v[69:70], v[71:72], v[67:68]
	v_fma_f64 v[65:66], -v[65:66], v[69:70], v[71:72]
	v_div_fmas_f64 v[65:66], v[65:66], v[67:68], v[69:70]
	v_div_fixup_f64 v[65:66], v[65:66], v[50:51], v[52:53]
	v_fma_f64 v[50:51], v[52:53], v[65:66], v[50:51]
	v_div_scale_f64 v[52:53], null, v[50:51], v[50:51], 1.0
	v_rcp_f64_e32 v[67:68], v[52:53]
	v_fma_f64 v[69:70], -v[52:53], v[67:68], 1.0
	v_fma_f64 v[67:68], v[67:68], v[69:70], v[67:68]
	v_fma_f64 v[69:70], -v[52:53], v[67:68], 1.0
	v_fma_f64 v[67:68], v[67:68], v[69:70], v[67:68]
	v_div_scale_f64 v[69:70], vcc_lo, 1.0, v[50:51], 1.0
	v_mul_f64 v[71:72], v[69:70], v[67:68]
	v_fma_f64 v[52:53], -v[52:53], v[71:72], v[69:70]
	v_div_fmas_f64 v[52:53], v[52:53], v[67:68], v[71:72]
	v_div_fixup_f64 v[50:51], v[52:53], v[50:51], 1.0
	v_mul_f64 v[52:53], v[65:66], -v[50:51]
.LBB22_72:
	s_or_b32 exec_lo, exec_lo, s1
.LBB22_73:
	s_or_b32 exec_lo, exec_lo, s0
	s_mov_b32 s0, exec_lo
	v_cmpx_ne_u32_e64 v64, v58
	s_xor_b32 s0, exec_lo, s0
	s_cbranch_execz .LBB22_79
; %bb.74:
	s_mov_b32 s1, exec_lo
	v_cmpx_eq_u32_e32 3, v64
	s_cbranch_execz .LBB22_78
; %bb.75:
	v_cmp_ne_u32_e32 vcc_lo, 3, v58
	s_xor_b32 s2, s16, -1
	s_and_b32 s3, s2, vcc_lo
	s_and_saveexec_b32 s2, s3
	s_cbranch_execz .LBB22_77
; %bb.76:
	v_ashrrev_i32_e32 v59, 31, v58
	v_lshlrev_b64 v[64:65], 2, v[58:59]
	v_add_co_u32 v64, vcc_lo, v56, v64
	v_add_co_ci_u32_e64 v65, null, v57, v65, vcc_lo
	s_clause 0x1
	global_load_dword v0, v[64:65], off
	global_load_dword v59, v[56:57], off offset:12
	s_waitcnt vmcnt(1)
	global_store_dword v[56:57], v0, off offset:12
	s_waitcnt vmcnt(0)
	global_store_dword v[64:65], v59, off
.LBB22_77:
	s_or_b32 exec_lo, exec_lo, s2
	v_mov_b32_e32 v64, v58
	v_mov_b32_e32 v0, v58
.LBB22_78:
	s_or_b32 exec_lo, exec_lo, s1
.LBB22_79:
	s_andn2_saveexec_b32 s0, s0
	s_cbranch_execz .LBB22_81
; %bb.80:
	v_mov_b32_e32 v64, 3
	ds_write2_b64 v1, v[38:39], v[40:41] offset0:8 offset1:9
	ds_write2_b64 v1, v[22:23], v[24:25] offset0:10 offset1:11
	;; [unrolled: 1-line block ×8, first 2 shown]
.LBB22_81:
	s_or_b32 exec_lo, exec_lo, s0
	s_mov_b32 s0, exec_lo
	s_waitcnt lgkmcnt(0)
	s_waitcnt_vscnt null, 0x0
	s_barrier
	buffer_gl0_inv
	v_cmpx_lt_i32_e32 3, v64
	s_cbranch_execz .LBB22_83
; %bb.82:
	v_mul_f64 v[58:59], v[50:51], v[32:33]
	v_mul_f64 v[32:33], v[52:53], v[32:33]
	v_fma_f64 v[58:59], v[52:53], v[30:31], v[58:59]
	v_fma_f64 v[30:31], v[50:51], v[30:31], -v[32:33]
	ds_read2_b64 v[50:53], v1 offset0:8 offset1:9
	s_waitcnt lgkmcnt(0)
	v_mul_f64 v[32:33], v[52:53], v[58:59]
	v_fma_f64 v[32:33], v[50:51], v[30:31], -v[32:33]
	v_mul_f64 v[50:51], v[50:51], v[58:59]
	v_add_f64 v[38:39], v[38:39], -v[32:33]
	v_fma_f64 v[50:51], v[52:53], v[30:31], v[50:51]
	v_add_f64 v[40:41], v[40:41], -v[50:51]
	ds_read2_b64 v[50:53], v1 offset0:10 offset1:11
	s_waitcnt lgkmcnt(0)
	v_mul_f64 v[32:33], v[52:53], v[58:59]
	v_fma_f64 v[32:33], v[50:51], v[30:31], -v[32:33]
	v_mul_f64 v[50:51], v[50:51], v[58:59]
	v_add_f64 v[22:23], v[22:23], -v[32:33]
	v_fma_f64 v[50:51], v[52:53], v[30:31], v[50:51]
	v_add_f64 v[24:25], v[24:25], -v[50:51]
	;; [unrolled: 8-line block ×7, first 2 shown]
	ds_read2_b64 v[50:53], v1 offset0:22 offset1:23
	s_waitcnt lgkmcnt(0)
	v_mul_f64 v[32:33], v[52:53], v[58:59]
	v_fma_f64 v[32:33], v[50:51], v[30:31], -v[32:33]
	v_mul_f64 v[50:51], v[50:51], v[58:59]
	v_add_f64 v[2:3], v[2:3], -v[32:33]
	v_fma_f64 v[50:51], v[52:53], v[30:31], v[50:51]
	v_mov_b32_e32 v32, v58
	v_mov_b32_e32 v33, v59
	v_add_f64 v[4:5], v[4:5], -v[50:51]
.LBB22_83:
	s_or_b32 exec_lo, exec_lo, s0
	v_lshl_add_u32 v50, v64, 4, v1
	s_barrier
	buffer_gl0_inv
	v_mov_b32_e32 v58, 4
	ds_write2_b64 v50, v[38:39], v[40:41] offset1:1
	s_waitcnt lgkmcnt(0)
	s_barrier
	buffer_gl0_inv
	ds_read2_b64 v[50:53], v1 offset0:8 offset1:9
	s_cmp_lt_i32 s18, 6
	s_cbranch_scc1 .LBB22_86
; %bb.84:
	v_mov_b32_e32 v58, 4
	v_add3_u32 v59, v60, 0, 0x50
	s_mov_b32 s1, 5
	s_inst_prefetch 0x1
	.p2align	6
.LBB22_85:                              ; =>This Inner Loop Header: Depth=1
	s_waitcnt lgkmcnt(0)
	v_cmp_gt_f64_e32 vcc_lo, 0, v[52:53]
	v_cmp_gt_f64_e64 s0, 0, v[50:51]
	ds_read2_b64 v[65:68], v59 offset1:1
	v_xor_b32_e32 v70, 0x80000000, v51
	v_xor_b32_e32 v72, 0x80000000, v53
	v_mov_b32_e32 v69, v50
	v_mov_b32_e32 v71, v52
	v_add_nc_u32_e32 v59, 16, v59
	s_waitcnt lgkmcnt(0)
	v_xor_b32_e32 v74, 0x80000000, v68
	v_cndmask_b32_e64 v70, v51, v70, s0
	v_cndmask_b32_e32 v72, v53, v72, vcc_lo
	v_cmp_gt_f64_e32 vcc_lo, 0, v[67:68]
	v_cmp_gt_f64_e64 s0, 0, v[65:66]
	v_mov_b32_e32 v73, v67
	v_add_f64 v[69:70], v[69:70], v[71:72]
	v_xor_b32_e32 v72, 0x80000000, v66
	v_mov_b32_e32 v71, v65
	v_cndmask_b32_e32 v74, v68, v74, vcc_lo
	v_cndmask_b32_e64 v72, v66, v72, s0
	v_add_f64 v[71:72], v[71:72], v[73:74]
	v_cmp_lt_f64_e32 vcc_lo, v[69:70], v[71:72]
	v_cndmask_b32_e32 v51, v51, v66, vcc_lo
	v_cndmask_b32_e32 v50, v50, v65, vcc_lo
	;; [unrolled: 1-line block ×4, first 2 shown]
	v_cndmask_b32_e64 v58, v58, s1, vcc_lo
	s_add_i32 s1, s1, 1
	s_cmp_lg_u32 s18, s1
	s_cbranch_scc1 .LBB22_85
.LBB22_86:
	s_inst_prefetch 0x2
	s_waitcnt lgkmcnt(0)
	v_cmp_eq_f64_e32 vcc_lo, 0, v[50:51]
	v_cmp_eq_f64_e64 s0, 0, v[52:53]
	s_and_b32 s0, vcc_lo, s0
	s_and_saveexec_b32 s1, s0
	s_xor_b32 s0, exec_lo, s1
; %bb.87:
	v_cmp_ne_u32_e32 vcc_lo, 0, v63
	v_cndmask_b32_e32 v63, 5, v63, vcc_lo
; %bb.88:
	s_andn2_saveexec_b32 s0, s0
	s_cbranch_execz .LBB22_94
; %bb.89:
	v_cmp_ngt_f64_e64 s1, |v[50:51]|, |v[52:53]|
	s_and_saveexec_b32 s2, s1
	s_xor_b32 s1, exec_lo, s2
	s_cbranch_execz .LBB22_91
; %bb.90:
	v_div_scale_f64 v[65:66], null, v[52:53], v[52:53], v[50:51]
	v_div_scale_f64 v[71:72], vcc_lo, v[50:51], v[52:53], v[50:51]
	v_rcp_f64_e32 v[67:68], v[65:66]
	v_fma_f64 v[69:70], -v[65:66], v[67:68], 1.0
	v_fma_f64 v[67:68], v[67:68], v[69:70], v[67:68]
	v_fma_f64 v[69:70], -v[65:66], v[67:68], 1.0
	v_fma_f64 v[67:68], v[67:68], v[69:70], v[67:68]
	v_mul_f64 v[69:70], v[71:72], v[67:68]
	v_fma_f64 v[65:66], -v[65:66], v[69:70], v[71:72]
	v_div_fmas_f64 v[65:66], v[65:66], v[67:68], v[69:70]
	v_div_fixup_f64 v[65:66], v[65:66], v[52:53], v[50:51]
	v_fma_f64 v[50:51], v[50:51], v[65:66], v[52:53]
	v_div_scale_f64 v[52:53], null, v[50:51], v[50:51], 1.0
	v_rcp_f64_e32 v[67:68], v[52:53]
	v_fma_f64 v[69:70], -v[52:53], v[67:68], 1.0
	v_fma_f64 v[67:68], v[67:68], v[69:70], v[67:68]
	v_fma_f64 v[69:70], -v[52:53], v[67:68], 1.0
	v_fma_f64 v[67:68], v[67:68], v[69:70], v[67:68]
	v_div_scale_f64 v[69:70], vcc_lo, 1.0, v[50:51], 1.0
	v_mul_f64 v[71:72], v[69:70], v[67:68]
	v_fma_f64 v[52:53], -v[52:53], v[71:72], v[69:70]
	v_div_fmas_f64 v[52:53], v[52:53], v[67:68], v[71:72]
	v_div_fixup_f64 v[52:53], v[52:53], v[50:51], 1.0
	v_mul_f64 v[50:51], v[65:66], v[52:53]
	v_xor_b32_e32 v53, 0x80000000, v53
.LBB22_91:
	s_andn2_saveexec_b32 s1, s1
	s_cbranch_execz .LBB22_93
; %bb.92:
	v_div_scale_f64 v[65:66], null, v[50:51], v[50:51], v[52:53]
	v_div_scale_f64 v[71:72], vcc_lo, v[52:53], v[50:51], v[52:53]
	v_rcp_f64_e32 v[67:68], v[65:66]
	v_fma_f64 v[69:70], -v[65:66], v[67:68], 1.0
	v_fma_f64 v[67:68], v[67:68], v[69:70], v[67:68]
	v_fma_f64 v[69:70], -v[65:66], v[67:68], 1.0
	v_fma_f64 v[67:68], v[67:68], v[69:70], v[67:68]
	v_mul_f64 v[69:70], v[71:72], v[67:68]
	v_fma_f64 v[65:66], -v[65:66], v[69:70], v[71:72]
	v_div_fmas_f64 v[65:66], v[65:66], v[67:68], v[69:70]
	v_div_fixup_f64 v[65:66], v[65:66], v[50:51], v[52:53]
	v_fma_f64 v[50:51], v[52:53], v[65:66], v[50:51]
	v_div_scale_f64 v[52:53], null, v[50:51], v[50:51], 1.0
	v_rcp_f64_e32 v[67:68], v[52:53]
	v_fma_f64 v[69:70], -v[52:53], v[67:68], 1.0
	v_fma_f64 v[67:68], v[67:68], v[69:70], v[67:68]
	v_fma_f64 v[69:70], -v[52:53], v[67:68], 1.0
	v_fma_f64 v[67:68], v[67:68], v[69:70], v[67:68]
	v_div_scale_f64 v[69:70], vcc_lo, 1.0, v[50:51], 1.0
	v_mul_f64 v[71:72], v[69:70], v[67:68]
	v_fma_f64 v[52:53], -v[52:53], v[71:72], v[69:70]
	v_div_fmas_f64 v[52:53], v[52:53], v[67:68], v[71:72]
	v_div_fixup_f64 v[50:51], v[52:53], v[50:51], 1.0
	v_mul_f64 v[52:53], v[65:66], -v[50:51]
.LBB22_93:
	s_or_b32 exec_lo, exec_lo, s1
.LBB22_94:
	s_or_b32 exec_lo, exec_lo, s0
	s_mov_b32 s0, exec_lo
	v_cmpx_ne_u32_e64 v64, v58
	s_xor_b32 s0, exec_lo, s0
	s_cbranch_execz .LBB22_100
; %bb.95:
	s_mov_b32 s1, exec_lo
	v_cmpx_eq_u32_e32 4, v64
	s_cbranch_execz .LBB22_99
; %bb.96:
	v_cmp_ne_u32_e32 vcc_lo, 4, v58
	s_xor_b32 s2, s16, -1
	s_and_b32 s3, s2, vcc_lo
	s_and_saveexec_b32 s2, s3
	s_cbranch_execz .LBB22_98
; %bb.97:
	v_ashrrev_i32_e32 v59, 31, v58
	v_lshlrev_b64 v[64:65], 2, v[58:59]
	v_add_co_u32 v64, vcc_lo, v56, v64
	v_add_co_ci_u32_e64 v65, null, v57, v65, vcc_lo
	s_clause 0x1
	global_load_dword v0, v[64:65], off
	global_load_dword v59, v[56:57], off offset:16
	s_waitcnt vmcnt(1)
	global_store_dword v[56:57], v0, off offset:16
	s_waitcnt vmcnt(0)
	global_store_dword v[64:65], v59, off
.LBB22_98:
	s_or_b32 exec_lo, exec_lo, s2
	v_mov_b32_e32 v64, v58
	v_mov_b32_e32 v0, v58
.LBB22_99:
	s_or_b32 exec_lo, exec_lo, s1
.LBB22_100:
	s_andn2_saveexec_b32 s0, s0
	s_cbranch_execz .LBB22_102
; %bb.101:
	v_mov_b32_e32 v64, 4
	ds_write2_b64 v1, v[22:23], v[24:25] offset0:10 offset1:11
	ds_write2_b64 v1, v[26:27], v[28:29] offset0:12 offset1:13
	;; [unrolled: 1-line block ×7, first 2 shown]
.LBB22_102:
	s_or_b32 exec_lo, exec_lo, s0
	s_mov_b32 s0, exec_lo
	s_waitcnt lgkmcnt(0)
	s_waitcnt_vscnt null, 0x0
	s_barrier
	buffer_gl0_inv
	v_cmpx_lt_i32_e32 4, v64
	s_cbranch_execz .LBB22_104
; %bb.103:
	v_mul_f64 v[58:59], v[50:51], v[40:41]
	v_mul_f64 v[40:41], v[52:53], v[40:41]
	v_fma_f64 v[58:59], v[52:53], v[38:39], v[58:59]
	v_fma_f64 v[38:39], v[50:51], v[38:39], -v[40:41]
	ds_read2_b64 v[50:53], v1 offset0:10 offset1:11
	s_waitcnt lgkmcnt(0)
	v_mul_f64 v[40:41], v[52:53], v[58:59]
	v_fma_f64 v[40:41], v[50:51], v[38:39], -v[40:41]
	v_mul_f64 v[50:51], v[50:51], v[58:59]
	v_add_f64 v[22:23], v[22:23], -v[40:41]
	v_fma_f64 v[50:51], v[52:53], v[38:39], v[50:51]
	v_add_f64 v[24:25], v[24:25], -v[50:51]
	ds_read2_b64 v[50:53], v1 offset0:12 offset1:13
	s_waitcnt lgkmcnt(0)
	v_mul_f64 v[40:41], v[52:53], v[58:59]
	v_fma_f64 v[40:41], v[50:51], v[38:39], -v[40:41]
	v_mul_f64 v[50:51], v[50:51], v[58:59]
	v_add_f64 v[26:27], v[26:27], -v[40:41]
	v_fma_f64 v[50:51], v[52:53], v[38:39], v[50:51]
	v_add_f64 v[28:29], v[28:29], -v[50:51]
	ds_read2_b64 v[50:53], v1 offset0:14 offset1:15
	s_waitcnt lgkmcnt(0)
	v_mul_f64 v[40:41], v[52:53], v[58:59]
	v_fma_f64 v[40:41], v[50:51], v[38:39], -v[40:41]
	v_mul_f64 v[50:51], v[50:51], v[58:59]
	v_add_f64 v[18:19], v[18:19], -v[40:41]
	v_fma_f64 v[50:51], v[52:53], v[38:39], v[50:51]
	v_add_f64 v[20:21], v[20:21], -v[50:51]
	ds_read2_b64 v[50:53], v1 offset0:16 offset1:17
	s_waitcnt lgkmcnt(0)
	v_mul_f64 v[40:41], v[52:53], v[58:59]
	v_fma_f64 v[40:41], v[50:51], v[38:39], -v[40:41]
	v_mul_f64 v[50:51], v[50:51], v[58:59]
	v_add_f64 v[14:15], v[14:15], -v[40:41]
	v_fma_f64 v[50:51], v[52:53], v[38:39], v[50:51]
	v_add_f64 v[16:17], v[16:17], -v[50:51]
	ds_read2_b64 v[50:53], v1 offset0:18 offset1:19
	s_waitcnt lgkmcnt(0)
	v_mul_f64 v[40:41], v[52:53], v[58:59]
	v_fma_f64 v[40:41], v[50:51], v[38:39], -v[40:41]
	v_mul_f64 v[50:51], v[50:51], v[58:59]
	v_add_f64 v[10:11], v[10:11], -v[40:41]
	v_fma_f64 v[50:51], v[52:53], v[38:39], v[50:51]
	v_add_f64 v[12:13], v[12:13], -v[50:51]
	ds_read2_b64 v[50:53], v1 offset0:20 offset1:21
	s_waitcnt lgkmcnt(0)
	v_mul_f64 v[40:41], v[52:53], v[58:59]
	v_fma_f64 v[40:41], v[50:51], v[38:39], -v[40:41]
	v_mul_f64 v[50:51], v[50:51], v[58:59]
	v_add_f64 v[6:7], v[6:7], -v[40:41]
	v_fma_f64 v[50:51], v[52:53], v[38:39], v[50:51]
	v_add_f64 v[8:9], v[8:9], -v[50:51]
	ds_read2_b64 v[50:53], v1 offset0:22 offset1:23
	s_waitcnt lgkmcnt(0)
	v_mul_f64 v[40:41], v[52:53], v[58:59]
	v_fma_f64 v[40:41], v[50:51], v[38:39], -v[40:41]
	v_mul_f64 v[50:51], v[50:51], v[58:59]
	v_add_f64 v[2:3], v[2:3], -v[40:41]
	v_fma_f64 v[50:51], v[52:53], v[38:39], v[50:51]
	v_mov_b32_e32 v40, v58
	v_mov_b32_e32 v41, v59
	v_add_f64 v[4:5], v[4:5], -v[50:51]
.LBB22_104:
	s_or_b32 exec_lo, exec_lo, s0
	v_lshl_add_u32 v50, v64, 4, v1
	s_barrier
	buffer_gl0_inv
	v_mov_b32_e32 v58, 5
	ds_write2_b64 v50, v[22:23], v[24:25] offset1:1
	s_waitcnt lgkmcnt(0)
	s_barrier
	buffer_gl0_inv
	ds_read2_b64 v[50:53], v1 offset0:10 offset1:11
	s_cmp_lt_i32 s18, 7
	s_cbranch_scc1 .LBB22_107
; %bb.105:
	v_add3_u32 v59, v60, 0, 0x60
	v_mov_b32_e32 v58, 5
	s_mov_b32 s1, 6
	s_inst_prefetch 0x1
	.p2align	6
.LBB22_106:                             ; =>This Inner Loop Header: Depth=1
	s_waitcnt lgkmcnt(0)
	v_cmp_gt_f64_e32 vcc_lo, 0, v[52:53]
	v_cmp_gt_f64_e64 s0, 0, v[50:51]
	ds_read2_b64 v[65:68], v59 offset1:1
	v_xor_b32_e32 v70, 0x80000000, v51
	v_xor_b32_e32 v72, 0x80000000, v53
	v_mov_b32_e32 v69, v50
	v_mov_b32_e32 v71, v52
	v_add_nc_u32_e32 v59, 16, v59
	s_waitcnt lgkmcnt(0)
	v_xor_b32_e32 v74, 0x80000000, v68
	v_cndmask_b32_e64 v70, v51, v70, s0
	v_cndmask_b32_e32 v72, v53, v72, vcc_lo
	v_cmp_gt_f64_e32 vcc_lo, 0, v[67:68]
	v_cmp_gt_f64_e64 s0, 0, v[65:66]
	v_mov_b32_e32 v73, v67
	v_add_f64 v[69:70], v[69:70], v[71:72]
	v_xor_b32_e32 v72, 0x80000000, v66
	v_mov_b32_e32 v71, v65
	v_cndmask_b32_e32 v74, v68, v74, vcc_lo
	v_cndmask_b32_e64 v72, v66, v72, s0
	v_add_f64 v[71:72], v[71:72], v[73:74]
	v_cmp_lt_f64_e32 vcc_lo, v[69:70], v[71:72]
	v_cndmask_b32_e32 v51, v51, v66, vcc_lo
	v_cndmask_b32_e32 v50, v50, v65, vcc_lo
	v_cndmask_b32_e32 v53, v53, v68, vcc_lo
	v_cndmask_b32_e32 v52, v52, v67, vcc_lo
	v_cndmask_b32_e64 v58, v58, s1, vcc_lo
	s_add_i32 s1, s1, 1
	s_cmp_lg_u32 s18, s1
	s_cbranch_scc1 .LBB22_106
.LBB22_107:
	s_inst_prefetch 0x2
	s_waitcnt lgkmcnt(0)
	v_cmp_eq_f64_e32 vcc_lo, 0, v[50:51]
	v_cmp_eq_f64_e64 s0, 0, v[52:53]
	s_and_b32 s0, vcc_lo, s0
	s_and_saveexec_b32 s1, s0
	s_xor_b32 s0, exec_lo, s1
; %bb.108:
	v_cmp_ne_u32_e32 vcc_lo, 0, v63
	v_cndmask_b32_e32 v63, 6, v63, vcc_lo
; %bb.109:
	s_andn2_saveexec_b32 s0, s0
	s_cbranch_execz .LBB22_115
; %bb.110:
	v_cmp_ngt_f64_e64 s1, |v[50:51]|, |v[52:53]|
	s_and_saveexec_b32 s2, s1
	s_xor_b32 s1, exec_lo, s2
	s_cbranch_execz .LBB22_112
; %bb.111:
	v_div_scale_f64 v[65:66], null, v[52:53], v[52:53], v[50:51]
	v_div_scale_f64 v[71:72], vcc_lo, v[50:51], v[52:53], v[50:51]
	v_rcp_f64_e32 v[67:68], v[65:66]
	v_fma_f64 v[69:70], -v[65:66], v[67:68], 1.0
	v_fma_f64 v[67:68], v[67:68], v[69:70], v[67:68]
	v_fma_f64 v[69:70], -v[65:66], v[67:68], 1.0
	v_fma_f64 v[67:68], v[67:68], v[69:70], v[67:68]
	v_mul_f64 v[69:70], v[71:72], v[67:68]
	v_fma_f64 v[65:66], -v[65:66], v[69:70], v[71:72]
	v_div_fmas_f64 v[65:66], v[65:66], v[67:68], v[69:70]
	v_div_fixup_f64 v[65:66], v[65:66], v[52:53], v[50:51]
	v_fma_f64 v[50:51], v[50:51], v[65:66], v[52:53]
	v_div_scale_f64 v[52:53], null, v[50:51], v[50:51], 1.0
	v_rcp_f64_e32 v[67:68], v[52:53]
	v_fma_f64 v[69:70], -v[52:53], v[67:68], 1.0
	v_fma_f64 v[67:68], v[67:68], v[69:70], v[67:68]
	v_fma_f64 v[69:70], -v[52:53], v[67:68], 1.0
	v_fma_f64 v[67:68], v[67:68], v[69:70], v[67:68]
	v_div_scale_f64 v[69:70], vcc_lo, 1.0, v[50:51], 1.0
	v_mul_f64 v[71:72], v[69:70], v[67:68]
	v_fma_f64 v[52:53], -v[52:53], v[71:72], v[69:70]
	v_div_fmas_f64 v[52:53], v[52:53], v[67:68], v[71:72]
	v_div_fixup_f64 v[52:53], v[52:53], v[50:51], 1.0
	v_mul_f64 v[50:51], v[65:66], v[52:53]
	v_xor_b32_e32 v53, 0x80000000, v53
.LBB22_112:
	s_andn2_saveexec_b32 s1, s1
	s_cbranch_execz .LBB22_114
; %bb.113:
	v_div_scale_f64 v[65:66], null, v[50:51], v[50:51], v[52:53]
	v_div_scale_f64 v[71:72], vcc_lo, v[52:53], v[50:51], v[52:53]
	v_rcp_f64_e32 v[67:68], v[65:66]
	v_fma_f64 v[69:70], -v[65:66], v[67:68], 1.0
	v_fma_f64 v[67:68], v[67:68], v[69:70], v[67:68]
	v_fma_f64 v[69:70], -v[65:66], v[67:68], 1.0
	v_fma_f64 v[67:68], v[67:68], v[69:70], v[67:68]
	v_mul_f64 v[69:70], v[71:72], v[67:68]
	v_fma_f64 v[65:66], -v[65:66], v[69:70], v[71:72]
	v_div_fmas_f64 v[65:66], v[65:66], v[67:68], v[69:70]
	v_div_fixup_f64 v[65:66], v[65:66], v[50:51], v[52:53]
	v_fma_f64 v[50:51], v[52:53], v[65:66], v[50:51]
	v_div_scale_f64 v[52:53], null, v[50:51], v[50:51], 1.0
	v_rcp_f64_e32 v[67:68], v[52:53]
	v_fma_f64 v[69:70], -v[52:53], v[67:68], 1.0
	v_fma_f64 v[67:68], v[67:68], v[69:70], v[67:68]
	v_fma_f64 v[69:70], -v[52:53], v[67:68], 1.0
	v_fma_f64 v[67:68], v[67:68], v[69:70], v[67:68]
	v_div_scale_f64 v[69:70], vcc_lo, 1.0, v[50:51], 1.0
	v_mul_f64 v[71:72], v[69:70], v[67:68]
	v_fma_f64 v[52:53], -v[52:53], v[71:72], v[69:70]
	v_div_fmas_f64 v[52:53], v[52:53], v[67:68], v[71:72]
	v_div_fixup_f64 v[50:51], v[52:53], v[50:51], 1.0
	v_mul_f64 v[52:53], v[65:66], -v[50:51]
.LBB22_114:
	s_or_b32 exec_lo, exec_lo, s1
.LBB22_115:
	s_or_b32 exec_lo, exec_lo, s0
	s_mov_b32 s0, exec_lo
	v_cmpx_ne_u32_e64 v64, v58
	s_xor_b32 s0, exec_lo, s0
	s_cbranch_execz .LBB22_121
; %bb.116:
	s_mov_b32 s1, exec_lo
	v_cmpx_eq_u32_e32 5, v64
	s_cbranch_execz .LBB22_120
; %bb.117:
	v_cmp_ne_u32_e32 vcc_lo, 5, v58
	s_xor_b32 s2, s16, -1
	s_and_b32 s3, s2, vcc_lo
	s_and_saveexec_b32 s2, s3
	s_cbranch_execz .LBB22_119
; %bb.118:
	v_ashrrev_i32_e32 v59, 31, v58
	v_lshlrev_b64 v[64:65], 2, v[58:59]
	v_add_co_u32 v64, vcc_lo, v56, v64
	v_add_co_ci_u32_e64 v65, null, v57, v65, vcc_lo
	s_clause 0x1
	global_load_dword v0, v[64:65], off
	global_load_dword v59, v[56:57], off offset:20
	s_waitcnt vmcnt(1)
	global_store_dword v[56:57], v0, off offset:20
	s_waitcnt vmcnt(0)
	global_store_dword v[64:65], v59, off
.LBB22_119:
	s_or_b32 exec_lo, exec_lo, s2
	v_mov_b32_e32 v64, v58
	v_mov_b32_e32 v0, v58
.LBB22_120:
	s_or_b32 exec_lo, exec_lo, s1
.LBB22_121:
	s_andn2_saveexec_b32 s0, s0
	s_cbranch_execz .LBB22_123
; %bb.122:
	v_mov_b32_e32 v64, 5
	ds_write2_b64 v1, v[26:27], v[28:29] offset0:12 offset1:13
	ds_write2_b64 v1, v[18:19], v[20:21] offset0:14 offset1:15
	;; [unrolled: 1-line block ×6, first 2 shown]
.LBB22_123:
	s_or_b32 exec_lo, exec_lo, s0
	s_mov_b32 s0, exec_lo
	s_waitcnt lgkmcnt(0)
	s_waitcnt_vscnt null, 0x0
	s_barrier
	buffer_gl0_inv
	v_cmpx_lt_i32_e32 5, v64
	s_cbranch_execz .LBB22_125
; %bb.124:
	v_mul_f64 v[58:59], v[50:51], v[24:25]
	v_mul_f64 v[24:25], v[52:53], v[24:25]
	v_fma_f64 v[58:59], v[52:53], v[22:23], v[58:59]
	v_fma_f64 v[22:23], v[50:51], v[22:23], -v[24:25]
	ds_read2_b64 v[50:53], v1 offset0:12 offset1:13
	s_waitcnt lgkmcnt(0)
	v_mul_f64 v[24:25], v[52:53], v[58:59]
	v_fma_f64 v[24:25], v[50:51], v[22:23], -v[24:25]
	v_mul_f64 v[50:51], v[50:51], v[58:59]
	v_add_f64 v[26:27], v[26:27], -v[24:25]
	v_fma_f64 v[50:51], v[52:53], v[22:23], v[50:51]
	v_add_f64 v[28:29], v[28:29], -v[50:51]
	ds_read2_b64 v[50:53], v1 offset0:14 offset1:15
	s_waitcnt lgkmcnt(0)
	v_mul_f64 v[24:25], v[52:53], v[58:59]
	v_fma_f64 v[24:25], v[50:51], v[22:23], -v[24:25]
	v_mul_f64 v[50:51], v[50:51], v[58:59]
	v_add_f64 v[18:19], v[18:19], -v[24:25]
	v_fma_f64 v[50:51], v[52:53], v[22:23], v[50:51]
	v_add_f64 v[20:21], v[20:21], -v[50:51]
	;; [unrolled: 8-line block ×5, first 2 shown]
	ds_read2_b64 v[50:53], v1 offset0:22 offset1:23
	s_waitcnt lgkmcnt(0)
	v_mul_f64 v[24:25], v[52:53], v[58:59]
	v_fma_f64 v[24:25], v[50:51], v[22:23], -v[24:25]
	v_mul_f64 v[50:51], v[50:51], v[58:59]
	v_add_f64 v[2:3], v[2:3], -v[24:25]
	v_fma_f64 v[50:51], v[52:53], v[22:23], v[50:51]
	v_mov_b32_e32 v24, v58
	v_mov_b32_e32 v25, v59
	v_add_f64 v[4:5], v[4:5], -v[50:51]
.LBB22_125:
	s_or_b32 exec_lo, exec_lo, s0
	v_lshl_add_u32 v50, v64, 4, v1
	s_barrier
	buffer_gl0_inv
	v_mov_b32_e32 v58, 6
	ds_write2_b64 v50, v[26:27], v[28:29] offset1:1
	s_waitcnt lgkmcnt(0)
	s_barrier
	buffer_gl0_inv
	ds_read2_b64 v[50:53], v1 offset0:12 offset1:13
	s_cmp_lt_i32 s18, 8
	s_cbranch_scc1 .LBB22_128
; %bb.126:
	v_add3_u32 v59, v60, 0, 0x70
	v_mov_b32_e32 v58, 6
	s_mov_b32 s1, 7
	s_inst_prefetch 0x1
	.p2align	6
.LBB22_127:                             ; =>This Inner Loop Header: Depth=1
	s_waitcnt lgkmcnt(0)
	v_cmp_gt_f64_e32 vcc_lo, 0, v[52:53]
	v_cmp_gt_f64_e64 s0, 0, v[50:51]
	ds_read2_b64 v[65:68], v59 offset1:1
	v_xor_b32_e32 v70, 0x80000000, v51
	v_xor_b32_e32 v72, 0x80000000, v53
	v_mov_b32_e32 v69, v50
	v_mov_b32_e32 v71, v52
	v_add_nc_u32_e32 v59, 16, v59
	s_waitcnt lgkmcnt(0)
	v_xor_b32_e32 v74, 0x80000000, v68
	v_cndmask_b32_e64 v70, v51, v70, s0
	v_cndmask_b32_e32 v72, v53, v72, vcc_lo
	v_cmp_gt_f64_e32 vcc_lo, 0, v[67:68]
	v_cmp_gt_f64_e64 s0, 0, v[65:66]
	v_mov_b32_e32 v73, v67
	v_add_f64 v[69:70], v[69:70], v[71:72]
	v_xor_b32_e32 v72, 0x80000000, v66
	v_mov_b32_e32 v71, v65
	v_cndmask_b32_e32 v74, v68, v74, vcc_lo
	v_cndmask_b32_e64 v72, v66, v72, s0
	v_add_f64 v[71:72], v[71:72], v[73:74]
	v_cmp_lt_f64_e32 vcc_lo, v[69:70], v[71:72]
	v_cndmask_b32_e32 v51, v51, v66, vcc_lo
	v_cndmask_b32_e32 v50, v50, v65, vcc_lo
	;; [unrolled: 1-line block ×4, first 2 shown]
	v_cndmask_b32_e64 v58, v58, s1, vcc_lo
	s_add_i32 s1, s1, 1
	s_cmp_lg_u32 s18, s1
	s_cbranch_scc1 .LBB22_127
.LBB22_128:
	s_inst_prefetch 0x2
	s_waitcnt lgkmcnt(0)
	v_cmp_eq_f64_e32 vcc_lo, 0, v[50:51]
	v_cmp_eq_f64_e64 s0, 0, v[52:53]
	s_and_b32 s0, vcc_lo, s0
	s_and_saveexec_b32 s1, s0
	s_xor_b32 s0, exec_lo, s1
; %bb.129:
	v_cmp_ne_u32_e32 vcc_lo, 0, v63
	v_cndmask_b32_e32 v63, 7, v63, vcc_lo
; %bb.130:
	s_andn2_saveexec_b32 s0, s0
	s_cbranch_execz .LBB22_136
; %bb.131:
	v_cmp_ngt_f64_e64 s1, |v[50:51]|, |v[52:53]|
	s_and_saveexec_b32 s2, s1
	s_xor_b32 s1, exec_lo, s2
	s_cbranch_execz .LBB22_133
; %bb.132:
	v_div_scale_f64 v[65:66], null, v[52:53], v[52:53], v[50:51]
	v_div_scale_f64 v[71:72], vcc_lo, v[50:51], v[52:53], v[50:51]
	v_rcp_f64_e32 v[67:68], v[65:66]
	v_fma_f64 v[69:70], -v[65:66], v[67:68], 1.0
	v_fma_f64 v[67:68], v[67:68], v[69:70], v[67:68]
	v_fma_f64 v[69:70], -v[65:66], v[67:68], 1.0
	v_fma_f64 v[67:68], v[67:68], v[69:70], v[67:68]
	v_mul_f64 v[69:70], v[71:72], v[67:68]
	v_fma_f64 v[65:66], -v[65:66], v[69:70], v[71:72]
	v_div_fmas_f64 v[65:66], v[65:66], v[67:68], v[69:70]
	v_div_fixup_f64 v[65:66], v[65:66], v[52:53], v[50:51]
	v_fma_f64 v[50:51], v[50:51], v[65:66], v[52:53]
	v_div_scale_f64 v[52:53], null, v[50:51], v[50:51], 1.0
	v_rcp_f64_e32 v[67:68], v[52:53]
	v_fma_f64 v[69:70], -v[52:53], v[67:68], 1.0
	v_fma_f64 v[67:68], v[67:68], v[69:70], v[67:68]
	v_fma_f64 v[69:70], -v[52:53], v[67:68], 1.0
	v_fma_f64 v[67:68], v[67:68], v[69:70], v[67:68]
	v_div_scale_f64 v[69:70], vcc_lo, 1.0, v[50:51], 1.0
	v_mul_f64 v[71:72], v[69:70], v[67:68]
	v_fma_f64 v[52:53], -v[52:53], v[71:72], v[69:70]
	v_div_fmas_f64 v[52:53], v[52:53], v[67:68], v[71:72]
	v_div_fixup_f64 v[52:53], v[52:53], v[50:51], 1.0
	v_mul_f64 v[50:51], v[65:66], v[52:53]
	v_xor_b32_e32 v53, 0x80000000, v53
.LBB22_133:
	s_andn2_saveexec_b32 s1, s1
	s_cbranch_execz .LBB22_135
; %bb.134:
	v_div_scale_f64 v[65:66], null, v[50:51], v[50:51], v[52:53]
	v_div_scale_f64 v[71:72], vcc_lo, v[52:53], v[50:51], v[52:53]
	v_rcp_f64_e32 v[67:68], v[65:66]
	v_fma_f64 v[69:70], -v[65:66], v[67:68], 1.0
	v_fma_f64 v[67:68], v[67:68], v[69:70], v[67:68]
	v_fma_f64 v[69:70], -v[65:66], v[67:68], 1.0
	v_fma_f64 v[67:68], v[67:68], v[69:70], v[67:68]
	v_mul_f64 v[69:70], v[71:72], v[67:68]
	v_fma_f64 v[65:66], -v[65:66], v[69:70], v[71:72]
	v_div_fmas_f64 v[65:66], v[65:66], v[67:68], v[69:70]
	v_div_fixup_f64 v[65:66], v[65:66], v[50:51], v[52:53]
	v_fma_f64 v[50:51], v[52:53], v[65:66], v[50:51]
	v_div_scale_f64 v[52:53], null, v[50:51], v[50:51], 1.0
	v_rcp_f64_e32 v[67:68], v[52:53]
	v_fma_f64 v[69:70], -v[52:53], v[67:68], 1.0
	v_fma_f64 v[67:68], v[67:68], v[69:70], v[67:68]
	v_fma_f64 v[69:70], -v[52:53], v[67:68], 1.0
	v_fma_f64 v[67:68], v[67:68], v[69:70], v[67:68]
	v_div_scale_f64 v[69:70], vcc_lo, 1.0, v[50:51], 1.0
	v_mul_f64 v[71:72], v[69:70], v[67:68]
	v_fma_f64 v[52:53], -v[52:53], v[71:72], v[69:70]
	v_div_fmas_f64 v[52:53], v[52:53], v[67:68], v[71:72]
	v_div_fixup_f64 v[50:51], v[52:53], v[50:51], 1.0
	v_mul_f64 v[52:53], v[65:66], -v[50:51]
.LBB22_135:
	s_or_b32 exec_lo, exec_lo, s1
.LBB22_136:
	s_or_b32 exec_lo, exec_lo, s0
	s_mov_b32 s0, exec_lo
	v_cmpx_ne_u32_e64 v64, v58
	s_xor_b32 s0, exec_lo, s0
	s_cbranch_execz .LBB22_142
; %bb.137:
	s_mov_b32 s1, exec_lo
	v_cmpx_eq_u32_e32 6, v64
	s_cbranch_execz .LBB22_141
; %bb.138:
	v_cmp_ne_u32_e32 vcc_lo, 6, v58
	s_xor_b32 s2, s16, -1
	s_and_b32 s3, s2, vcc_lo
	s_and_saveexec_b32 s2, s3
	s_cbranch_execz .LBB22_140
; %bb.139:
	v_ashrrev_i32_e32 v59, 31, v58
	v_lshlrev_b64 v[64:65], 2, v[58:59]
	v_add_co_u32 v64, vcc_lo, v56, v64
	v_add_co_ci_u32_e64 v65, null, v57, v65, vcc_lo
	s_clause 0x1
	global_load_dword v0, v[64:65], off
	global_load_dword v59, v[56:57], off offset:24
	s_waitcnt vmcnt(1)
	global_store_dword v[56:57], v0, off offset:24
	s_waitcnt vmcnt(0)
	global_store_dword v[64:65], v59, off
.LBB22_140:
	s_or_b32 exec_lo, exec_lo, s2
	v_mov_b32_e32 v64, v58
	v_mov_b32_e32 v0, v58
.LBB22_141:
	s_or_b32 exec_lo, exec_lo, s1
.LBB22_142:
	s_andn2_saveexec_b32 s0, s0
	s_cbranch_execz .LBB22_144
; %bb.143:
	v_mov_b32_e32 v64, 6
	ds_write2_b64 v1, v[18:19], v[20:21] offset0:14 offset1:15
	ds_write2_b64 v1, v[14:15], v[16:17] offset0:16 offset1:17
	;; [unrolled: 1-line block ×5, first 2 shown]
.LBB22_144:
	s_or_b32 exec_lo, exec_lo, s0
	s_mov_b32 s0, exec_lo
	s_waitcnt lgkmcnt(0)
	s_waitcnt_vscnt null, 0x0
	s_barrier
	buffer_gl0_inv
	v_cmpx_lt_i32_e32 6, v64
	s_cbranch_execz .LBB22_146
; %bb.145:
	v_mul_f64 v[58:59], v[50:51], v[28:29]
	v_mul_f64 v[28:29], v[52:53], v[28:29]
	v_fma_f64 v[58:59], v[52:53], v[26:27], v[58:59]
	v_fma_f64 v[26:27], v[50:51], v[26:27], -v[28:29]
	ds_read2_b64 v[50:53], v1 offset0:14 offset1:15
	s_waitcnt lgkmcnt(0)
	v_mul_f64 v[28:29], v[52:53], v[58:59]
	v_fma_f64 v[28:29], v[50:51], v[26:27], -v[28:29]
	v_mul_f64 v[50:51], v[50:51], v[58:59]
	v_add_f64 v[18:19], v[18:19], -v[28:29]
	v_fma_f64 v[50:51], v[52:53], v[26:27], v[50:51]
	v_add_f64 v[20:21], v[20:21], -v[50:51]
	ds_read2_b64 v[50:53], v1 offset0:16 offset1:17
	s_waitcnt lgkmcnt(0)
	v_mul_f64 v[28:29], v[52:53], v[58:59]
	v_fma_f64 v[28:29], v[50:51], v[26:27], -v[28:29]
	v_mul_f64 v[50:51], v[50:51], v[58:59]
	v_add_f64 v[14:15], v[14:15], -v[28:29]
	v_fma_f64 v[50:51], v[52:53], v[26:27], v[50:51]
	v_add_f64 v[16:17], v[16:17], -v[50:51]
	;; [unrolled: 8-line block ×4, first 2 shown]
	ds_read2_b64 v[50:53], v1 offset0:22 offset1:23
	s_waitcnt lgkmcnt(0)
	v_mul_f64 v[28:29], v[52:53], v[58:59]
	v_fma_f64 v[28:29], v[50:51], v[26:27], -v[28:29]
	v_mul_f64 v[50:51], v[50:51], v[58:59]
	v_add_f64 v[2:3], v[2:3], -v[28:29]
	v_fma_f64 v[50:51], v[52:53], v[26:27], v[50:51]
	v_mov_b32_e32 v28, v58
	v_mov_b32_e32 v29, v59
	v_add_f64 v[4:5], v[4:5], -v[50:51]
.LBB22_146:
	s_or_b32 exec_lo, exec_lo, s0
	v_lshl_add_u32 v50, v64, 4, v1
	s_barrier
	buffer_gl0_inv
	v_mov_b32_e32 v58, 7
	ds_write2_b64 v50, v[18:19], v[20:21] offset1:1
	s_waitcnt lgkmcnt(0)
	s_barrier
	buffer_gl0_inv
	ds_read2_b64 v[50:53], v1 offset0:14 offset1:15
	s_cmp_lt_i32 s18, 9
	s_cbranch_scc1 .LBB22_149
; %bb.147:
	v_add3_u32 v59, v60, 0, 0x80
	v_mov_b32_e32 v58, 7
	s_mov_b32 s1, 8
	s_inst_prefetch 0x1
	.p2align	6
.LBB22_148:                             ; =>This Inner Loop Header: Depth=1
	s_waitcnt lgkmcnt(0)
	v_cmp_gt_f64_e32 vcc_lo, 0, v[52:53]
	v_cmp_gt_f64_e64 s0, 0, v[50:51]
	ds_read2_b64 v[65:68], v59 offset1:1
	v_xor_b32_e32 v70, 0x80000000, v51
	v_xor_b32_e32 v72, 0x80000000, v53
	v_mov_b32_e32 v69, v50
	v_mov_b32_e32 v71, v52
	v_add_nc_u32_e32 v59, 16, v59
	s_waitcnt lgkmcnt(0)
	v_xor_b32_e32 v74, 0x80000000, v68
	v_cndmask_b32_e64 v70, v51, v70, s0
	v_cndmask_b32_e32 v72, v53, v72, vcc_lo
	v_cmp_gt_f64_e32 vcc_lo, 0, v[67:68]
	v_cmp_gt_f64_e64 s0, 0, v[65:66]
	v_mov_b32_e32 v73, v67
	v_add_f64 v[69:70], v[69:70], v[71:72]
	v_xor_b32_e32 v72, 0x80000000, v66
	v_mov_b32_e32 v71, v65
	v_cndmask_b32_e32 v74, v68, v74, vcc_lo
	v_cndmask_b32_e64 v72, v66, v72, s0
	v_add_f64 v[71:72], v[71:72], v[73:74]
	v_cmp_lt_f64_e32 vcc_lo, v[69:70], v[71:72]
	v_cndmask_b32_e32 v51, v51, v66, vcc_lo
	v_cndmask_b32_e32 v50, v50, v65, vcc_lo
	;; [unrolled: 1-line block ×4, first 2 shown]
	v_cndmask_b32_e64 v58, v58, s1, vcc_lo
	s_add_i32 s1, s1, 1
	s_cmp_lg_u32 s18, s1
	s_cbranch_scc1 .LBB22_148
.LBB22_149:
	s_inst_prefetch 0x2
	s_waitcnt lgkmcnt(0)
	v_cmp_eq_f64_e32 vcc_lo, 0, v[50:51]
	v_cmp_eq_f64_e64 s0, 0, v[52:53]
	s_and_b32 s0, vcc_lo, s0
	s_and_saveexec_b32 s1, s0
	s_xor_b32 s0, exec_lo, s1
; %bb.150:
	v_cmp_ne_u32_e32 vcc_lo, 0, v63
	v_cndmask_b32_e32 v63, 8, v63, vcc_lo
; %bb.151:
	s_andn2_saveexec_b32 s0, s0
	s_cbranch_execz .LBB22_157
; %bb.152:
	v_cmp_ngt_f64_e64 s1, |v[50:51]|, |v[52:53]|
	s_and_saveexec_b32 s2, s1
	s_xor_b32 s1, exec_lo, s2
	s_cbranch_execz .LBB22_154
; %bb.153:
	v_div_scale_f64 v[65:66], null, v[52:53], v[52:53], v[50:51]
	v_div_scale_f64 v[71:72], vcc_lo, v[50:51], v[52:53], v[50:51]
	v_rcp_f64_e32 v[67:68], v[65:66]
	v_fma_f64 v[69:70], -v[65:66], v[67:68], 1.0
	v_fma_f64 v[67:68], v[67:68], v[69:70], v[67:68]
	v_fma_f64 v[69:70], -v[65:66], v[67:68], 1.0
	v_fma_f64 v[67:68], v[67:68], v[69:70], v[67:68]
	v_mul_f64 v[69:70], v[71:72], v[67:68]
	v_fma_f64 v[65:66], -v[65:66], v[69:70], v[71:72]
	v_div_fmas_f64 v[65:66], v[65:66], v[67:68], v[69:70]
	v_div_fixup_f64 v[65:66], v[65:66], v[52:53], v[50:51]
	v_fma_f64 v[50:51], v[50:51], v[65:66], v[52:53]
	v_div_scale_f64 v[52:53], null, v[50:51], v[50:51], 1.0
	v_rcp_f64_e32 v[67:68], v[52:53]
	v_fma_f64 v[69:70], -v[52:53], v[67:68], 1.0
	v_fma_f64 v[67:68], v[67:68], v[69:70], v[67:68]
	v_fma_f64 v[69:70], -v[52:53], v[67:68], 1.0
	v_fma_f64 v[67:68], v[67:68], v[69:70], v[67:68]
	v_div_scale_f64 v[69:70], vcc_lo, 1.0, v[50:51], 1.0
	v_mul_f64 v[71:72], v[69:70], v[67:68]
	v_fma_f64 v[52:53], -v[52:53], v[71:72], v[69:70]
	v_div_fmas_f64 v[52:53], v[52:53], v[67:68], v[71:72]
	v_div_fixup_f64 v[52:53], v[52:53], v[50:51], 1.0
	v_mul_f64 v[50:51], v[65:66], v[52:53]
	v_xor_b32_e32 v53, 0x80000000, v53
.LBB22_154:
	s_andn2_saveexec_b32 s1, s1
	s_cbranch_execz .LBB22_156
; %bb.155:
	v_div_scale_f64 v[65:66], null, v[50:51], v[50:51], v[52:53]
	v_div_scale_f64 v[71:72], vcc_lo, v[52:53], v[50:51], v[52:53]
	v_rcp_f64_e32 v[67:68], v[65:66]
	v_fma_f64 v[69:70], -v[65:66], v[67:68], 1.0
	v_fma_f64 v[67:68], v[67:68], v[69:70], v[67:68]
	v_fma_f64 v[69:70], -v[65:66], v[67:68], 1.0
	v_fma_f64 v[67:68], v[67:68], v[69:70], v[67:68]
	v_mul_f64 v[69:70], v[71:72], v[67:68]
	v_fma_f64 v[65:66], -v[65:66], v[69:70], v[71:72]
	v_div_fmas_f64 v[65:66], v[65:66], v[67:68], v[69:70]
	v_div_fixup_f64 v[65:66], v[65:66], v[50:51], v[52:53]
	v_fma_f64 v[50:51], v[52:53], v[65:66], v[50:51]
	v_div_scale_f64 v[52:53], null, v[50:51], v[50:51], 1.0
	v_rcp_f64_e32 v[67:68], v[52:53]
	v_fma_f64 v[69:70], -v[52:53], v[67:68], 1.0
	v_fma_f64 v[67:68], v[67:68], v[69:70], v[67:68]
	v_fma_f64 v[69:70], -v[52:53], v[67:68], 1.0
	v_fma_f64 v[67:68], v[67:68], v[69:70], v[67:68]
	v_div_scale_f64 v[69:70], vcc_lo, 1.0, v[50:51], 1.0
	v_mul_f64 v[71:72], v[69:70], v[67:68]
	v_fma_f64 v[52:53], -v[52:53], v[71:72], v[69:70]
	v_div_fmas_f64 v[52:53], v[52:53], v[67:68], v[71:72]
	v_div_fixup_f64 v[50:51], v[52:53], v[50:51], 1.0
	v_mul_f64 v[52:53], v[65:66], -v[50:51]
.LBB22_156:
	s_or_b32 exec_lo, exec_lo, s1
.LBB22_157:
	s_or_b32 exec_lo, exec_lo, s0
	s_mov_b32 s0, exec_lo
	v_cmpx_ne_u32_e64 v64, v58
	s_xor_b32 s0, exec_lo, s0
	s_cbranch_execz .LBB22_163
; %bb.158:
	s_mov_b32 s1, exec_lo
	v_cmpx_eq_u32_e32 7, v64
	s_cbranch_execz .LBB22_162
; %bb.159:
	v_cmp_ne_u32_e32 vcc_lo, 7, v58
	s_xor_b32 s2, s16, -1
	s_and_b32 s3, s2, vcc_lo
	s_and_saveexec_b32 s2, s3
	s_cbranch_execz .LBB22_161
; %bb.160:
	v_ashrrev_i32_e32 v59, 31, v58
	v_lshlrev_b64 v[64:65], 2, v[58:59]
	v_add_co_u32 v64, vcc_lo, v56, v64
	v_add_co_ci_u32_e64 v65, null, v57, v65, vcc_lo
	s_clause 0x1
	global_load_dword v0, v[64:65], off
	global_load_dword v59, v[56:57], off offset:28
	s_waitcnt vmcnt(1)
	global_store_dword v[56:57], v0, off offset:28
	s_waitcnt vmcnt(0)
	global_store_dword v[64:65], v59, off
.LBB22_161:
	s_or_b32 exec_lo, exec_lo, s2
	v_mov_b32_e32 v64, v58
	v_mov_b32_e32 v0, v58
.LBB22_162:
	s_or_b32 exec_lo, exec_lo, s1
.LBB22_163:
	s_andn2_saveexec_b32 s0, s0
	s_cbranch_execz .LBB22_165
; %bb.164:
	v_mov_b32_e32 v64, 7
	ds_write2_b64 v1, v[14:15], v[16:17] offset0:16 offset1:17
	ds_write2_b64 v1, v[10:11], v[12:13] offset0:18 offset1:19
	;; [unrolled: 1-line block ×4, first 2 shown]
.LBB22_165:
	s_or_b32 exec_lo, exec_lo, s0
	s_mov_b32 s0, exec_lo
	s_waitcnt lgkmcnt(0)
	s_waitcnt_vscnt null, 0x0
	s_barrier
	buffer_gl0_inv
	v_cmpx_lt_i32_e32 7, v64
	s_cbranch_execz .LBB22_167
; %bb.166:
	v_mul_f64 v[58:59], v[50:51], v[20:21]
	v_mul_f64 v[20:21], v[52:53], v[20:21]
	v_fma_f64 v[58:59], v[52:53], v[18:19], v[58:59]
	v_fma_f64 v[18:19], v[50:51], v[18:19], -v[20:21]
	ds_read2_b64 v[50:53], v1 offset0:16 offset1:17
	s_waitcnt lgkmcnt(0)
	v_mul_f64 v[20:21], v[52:53], v[58:59]
	v_fma_f64 v[20:21], v[50:51], v[18:19], -v[20:21]
	v_mul_f64 v[50:51], v[50:51], v[58:59]
	v_add_f64 v[14:15], v[14:15], -v[20:21]
	v_fma_f64 v[50:51], v[52:53], v[18:19], v[50:51]
	v_add_f64 v[16:17], v[16:17], -v[50:51]
	ds_read2_b64 v[50:53], v1 offset0:18 offset1:19
	s_waitcnt lgkmcnt(0)
	v_mul_f64 v[20:21], v[52:53], v[58:59]
	v_fma_f64 v[20:21], v[50:51], v[18:19], -v[20:21]
	v_mul_f64 v[50:51], v[50:51], v[58:59]
	v_add_f64 v[10:11], v[10:11], -v[20:21]
	v_fma_f64 v[50:51], v[52:53], v[18:19], v[50:51]
	v_add_f64 v[12:13], v[12:13], -v[50:51]
	;; [unrolled: 8-line block ×3, first 2 shown]
	ds_read2_b64 v[50:53], v1 offset0:22 offset1:23
	s_waitcnt lgkmcnt(0)
	v_mul_f64 v[20:21], v[52:53], v[58:59]
	v_fma_f64 v[20:21], v[50:51], v[18:19], -v[20:21]
	v_mul_f64 v[50:51], v[50:51], v[58:59]
	v_add_f64 v[2:3], v[2:3], -v[20:21]
	v_fma_f64 v[50:51], v[52:53], v[18:19], v[50:51]
	v_mov_b32_e32 v20, v58
	v_mov_b32_e32 v21, v59
	v_add_f64 v[4:5], v[4:5], -v[50:51]
.LBB22_167:
	s_or_b32 exec_lo, exec_lo, s0
	v_lshl_add_u32 v50, v64, 4, v1
	s_barrier
	buffer_gl0_inv
	v_mov_b32_e32 v58, 8
	ds_write2_b64 v50, v[14:15], v[16:17] offset1:1
	s_waitcnt lgkmcnt(0)
	s_barrier
	buffer_gl0_inv
	ds_read2_b64 v[50:53], v1 offset0:16 offset1:17
	s_cmp_lt_i32 s18, 10
	s_cbranch_scc1 .LBB22_170
; %bb.168:
	v_add3_u32 v59, v60, 0, 0x90
	v_mov_b32_e32 v58, 8
	s_mov_b32 s1, 9
	s_inst_prefetch 0x1
	.p2align	6
.LBB22_169:                             ; =>This Inner Loop Header: Depth=1
	s_waitcnt lgkmcnt(0)
	v_cmp_gt_f64_e32 vcc_lo, 0, v[52:53]
	v_cmp_gt_f64_e64 s0, 0, v[50:51]
	ds_read2_b64 v[65:68], v59 offset1:1
	v_xor_b32_e32 v70, 0x80000000, v51
	v_xor_b32_e32 v72, 0x80000000, v53
	v_mov_b32_e32 v69, v50
	v_mov_b32_e32 v71, v52
	v_add_nc_u32_e32 v59, 16, v59
	s_waitcnt lgkmcnt(0)
	v_xor_b32_e32 v74, 0x80000000, v68
	v_cndmask_b32_e64 v70, v51, v70, s0
	v_cndmask_b32_e32 v72, v53, v72, vcc_lo
	v_cmp_gt_f64_e32 vcc_lo, 0, v[67:68]
	v_cmp_gt_f64_e64 s0, 0, v[65:66]
	v_mov_b32_e32 v73, v67
	v_add_f64 v[69:70], v[69:70], v[71:72]
	v_xor_b32_e32 v72, 0x80000000, v66
	v_mov_b32_e32 v71, v65
	v_cndmask_b32_e32 v74, v68, v74, vcc_lo
	v_cndmask_b32_e64 v72, v66, v72, s0
	v_add_f64 v[71:72], v[71:72], v[73:74]
	v_cmp_lt_f64_e32 vcc_lo, v[69:70], v[71:72]
	v_cndmask_b32_e32 v51, v51, v66, vcc_lo
	v_cndmask_b32_e32 v50, v50, v65, vcc_lo
	v_cndmask_b32_e32 v53, v53, v68, vcc_lo
	v_cndmask_b32_e32 v52, v52, v67, vcc_lo
	v_cndmask_b32_e64 v58, v58, s1, vcc_lo
	s_add_i32 s1, s1, 1
	s_cmp_lg_u32 s18, s1
	s_cbranch_scc1 .LBB22_169
.LBB22_170:
	s_inst_prefetch 0x2
	s_waitcnt lgkmcnt(0)
	v_cmp_eq_f64_e32 vcc_lo, 0, v[50:51]
	v_cmp_eq_f64_e64 s0, 0, v[52:53]
	s_and_b32 s0, vcc_lo, s0
	s_and_saveexec_b32 s1, s0
	s_xor_b32 s0, exec_lo, s1
; %bb.171:
	v_cmp_ne_u32_e32 vcc_lo, 0, v63
	v_cndmask_b32_e32 v63, 9, v63, vcc_lo
; %bb.172:
	s_andn2_saveexec_b32 s0, s0
	s_cbranch_execz .LBB22_178
; %bb.173:
	v_cmp_ngt_f64_e64 s1, |v[50:51]|, |v[52:53]|
	s_and_saveexec_b32 s2, s1
	s_xor_b32 s1, exec_lo, s2
	s_cbranch_execz .LBB22_175
; %bb.174:
	v_div_scale_f64 v[65:66], null, v[52:53], v[52:53], v[50:51]
	v_div_scale_f64 v[71:72], vcc_lo, v[50:51], v[52:53], v[50:51]
	v_rcp_f64_e32 v[67:68], v[65:66]
	v_fma_f64 v[69:70], -v[65:66], v[67:68], 1.0
	v_fma_f64 v[67:68], v[67:68], v[69:70], v[67:68]
	v_fma_f64 v[69:70], -v[65:66], v[67:68], 1.0
	v_fma_f64 v[67:68], v[67:68], v[69:70], v[67:68]
	v_mul_f64 v[69:70], v[71:72], v[67:68]
	v_fma_f64 v[65:66], -v[65:66], v[69:70], v[71:72]
	v_div_fmas_f64 v[65:66], v[65:66], v[67:68], v[69:70]
	v_div_fixup_f64 v[65:66], v[65:66], v[52:53], v[50:51]
	v_fma_f64 v[50:51], v[50:51], v[65:66], v[52:53]
	v_div_scale_f64 v[52:53], null, v[50:51], v[50:51], 1.0
	v_rcp_f64_e32 v[67:68], v[52:53]
	v_fma_f64 v[69:70], -v[52:53], v[67:68], 1.0
	v_fma_f64 v[67:68], v[67:68], v[69:70], v[67:68]
	v_fma_f64 v[69:70], -v[52:53], v[67:68], 1.0
	v_fma_f64 v[67:68], v[67:68], v[69:70], v[67:68]
	v_div_scale_f64 v[69:70], vcc_lo, 1.0, v[50:51], 1.0
	v_mul_f64 v[71:72], v[69:70], v[67:68]
	v_fma_f64 v[52:53], -v[52:53], v[71:72], v[69:70]
	v_div_fmas_f64 v[52:53], v[52:53], v[67:68], v[71:72]
	v_div_fixup_f64 v[52:53], v[52:53], v[50:51], 1.0
	v_mul_f64 v[50:51], v[65:66], v[52:53]
	v_xor_b32_e32 v53, 0x80000000, v53
.LBB22_175:
	s_andn2_saveexec_b32 s1, s1
	s_cbranch_execz .LBB22_177
; %bb.176:
	v_div_scale_f64 v[65:66], null, v[50:51], v[50:51], v[52:53]
	v_div_scale_f64 v[71:72], vcc_lo, v[52:53], v[50:51], v[52:53]
	v_rcp_f64_e32 v[67:68], v[65:66]
	v_fma_f64 v[69:70], -v[65:66], v[67:68], 1.0
	v_fma_f64 v[67:68], v[67:68], v[69:70], v[67:68]
	v_fma_f64 v[69:70], -v[65:66], v[67:68], 1.0
	v_fma_f64 v[67:68], v[67:68], v[69:70], v[67:68]
	v_mul_f64 v[69:70], v[71:72], v[67:68]
	v_fma_f64 v[65:66], -v[65:66], v[69:70], v[71:72]
	v_div_fmas_f64 v[65:66], v[65:66], v[67:68], v[69:70]
	v_div_fixup_f64 v[65:66], v[65:66], v[50:51], v[52:53]
	v_fma_f64 v[50:51], v[52:53], v[65:66], v[50:51]
	v_div_scale_f64 v[52:53], null, v[50:51], v[50:51], 1.0
	v_rcp_f64_e32 v[67:68], v[52:53]
	v_fma_f64 v[69:70], -v[52:53], v[67:68], 1.0
	v_fma_f64 v[67:68], v[67:68], v[69:70], v[67:68]
	v_fma_f64 v[69:70], -v[52:53], v[67:68], 1.0
	v_fma_f64 v[67:68], v[67:68], v[69:70], v[67:68]
	v_div_scale_f64 v[69:70], vcc_lo, 1.0, v[50:51], 1.0
	v_mul_f64 v[71:72], v[69:70], v[67:68]
	v_fma_f64 v[52:53], -v[52:53], v[71:72], v[69:70]
	v_div_fmas_f64 v[52:53], v[52:53], v[67:68], v[71:72]
	v_div_fixup_f64 v[50:51], v[52:53], v[50:51], 1.0
	v_mul_f64 v[52:53], v[65:66], -v[50:51]
.LBB22_177:
	s_or_b32 exec_lo, exec_lo, s1
.LBB22_178:
	s_or_b32 exec_lo, exec_lo, s0
	s_mov_b32 s0, exec_lo
	v_cmpx_ne_u32_e64 v64, v58
	s_xor_b32 s0, exec_lo, s0
	s_cbranch_execz .LBB22_184
; %bb.179:
	s_mov_b32 s1, exec_lo
	v_cmpx_eq_u32_e32 8, v64
	s_cbranch_execz .LBB22_183
; %bb.180:
	v_cmp_ne_u32_e32 vcc_lo, 8, v58
	s_xor_b32 s2, s16, -1
	s_and_b32 s3, s2, vcc_lo
	s_and_saveexec_b32 s2, s3
	s_cbranch_execz .LBB22_182
; %bb.181:
	v_ashrrev_i32_e32 v59, 31, v58
	v_lshlrev_b64 v[64:65], 2, v[58:59]
	v_add_co_u32 v64, vcc_lo, v56, v64
	v_add_co_ci_u32_e64 v65, null, v57, v65, vcc_lo
	s_clause 0x1
	global_load_dword v0, v[64:65], off
	global_load_dword v59, v[56:57], off offset:32
	s_waitcnt vmcnt(1)
	global_store_dword v[56:57], v0, off offset:32
	s_waitcnt vmcnt(0)
	global_store_dword v[64:65], v59, off
.LBB22_182:
	s_or_b32 exec_lo, exec_lo, s2
	v_mov_b32_e32 v64, v58
	v_mov_b32_e32 v0, v58
.LBB22_183:
	s_or_b32 exec_lo, exec_lo, s1
.LBB22_184:
	s_andn2_saveexec_b32 s0, s0
	s_cbranch_execz .LBB22_186
; %bb.185:
	v_mov_b32_e32 v64, 8
	ds_write2_b64 v1, v[10:11], v[12:13] offset0:18 offset1:19
	ds_write2_b64 v1, v[6:7], v[8:9] offset0:20 offset1:21
	;; [unrolled: 1-line block ×3, first 2 shown]
.LBB22_186:
	s_or_b32 exec_lo, exec_lo, s0
	s_mov_b32 s0, exec_lo
	s_waitcnt lgkmcnt(0)
	s_waitcnt_vscnt null, 0x0
	s_barrier
	buffer_gl0_inv
	v_cmpx_lt_i32_e32 8, v64
	s_cbranch_execz .LBB22_188
; %bb.187:
	v_mul_f64 v[58:59], v[50:51], v[16:17]
	v_mul_f64 v[16:17], v[52:53], v[16:17]
	v_fma_f64 v[58:59], v[52:53], v[14:15], v[58:59]
	v_fma_f64 v[14:15], v[50:51], v[14:15], -v[16:17]
	ds_read2_b64 v[50:53], v1 offset0:18 offset1:19
	s_waitcnt lgkmcnt(0)
	v_mul_f64 v[16:17], v[52:53], v[58:59]
	v_fma_f64 v[16:17], v[50:51], v[14:15], -v[16:17]
	v_mul_f64 v[50:51], v[50:51], v[58:59]
	v_add_f64 v[10:11], v[10:11], -v[16:17]
	v_fma_f64 v[50:51], v[52:53], v[14:15], v[50:51]
	v_add_f64 v[12:13], v[12:13], -v[50:51]
	ds_read2_b64 v[50:53], v1 offset0:20 offset1:21
	s_waitcnt lgkmcnt(0)
	v_mul_f64 v[16:17], v[52:53], v[58:59]
	v_fma_f64 v[16:17], v[50:51], v[14:15], -v[16:17]
	v_mul_f64 v[50:51], v[50:51], v[58:59]
	v_add_f64 v[6:7], v[6:7], -v[16:17]
	v_fma_f64 v[50:51], v[52:53], v[14:15], v[50:51]
	v_add_f64 v[8:9], v[8:9], -v[50:51]
	ds_read2_b64 v[50:53], v1 offset0:22 offset1:23
	s_waitcnt lgkmcnt(0)
	v_mul_f64 v[16:17], v[52:53], v[58:59]
	v_fma_f64 v[16:17], v[50:51], v[14:15], -v[16:17]
	v_mul_f64 v[50:51], v[50:51], v[58:59]
	v_add_f64 v[2:3], v[2:3], -v[16:17]
	v_fma_f64 v[50:51], v[52:53], v[14:15], v[50:51]
	v_mov_b32_e32 v16, v58
	v_mov_b32_e32 v17, v59
	v_add_f64 v[4:5], v[4:5], -v[50:51]
.LBB22_188:
	s_or_b32 exec_lo, exec_lo, s0
	v_lshl_add_u32 v50, v64, 4, v1
	s_barrier
	buffer_gl0_inv
	v_mov_b32_e32 v58, 9
	ds_write2_b64 v50, v[10:11], v[12:13] offset1:1
	s_waitcnt lgkmcnt(0)
	s_barrier
	buffer_gl0_inv
	ds_read2_b64 v[50:53], v1 offset0:18 offset1:19
	s_cmp_lt_i32 s18, 11
	s_cbranch_scc1 .LBB22_191
; %bb.189:
	v_add3_u32 v59, v60, 0, 0xa0
	v_mov_b32_e32 v58, 9
	s_mov_b32 s1, 10
	s_inst_prefetch 0x1
	.p2align	6
.LBB22_190:                             ; =>This Inner Loop Header: Depth=1
	s_waitcnt lgkmcnt(0)
	v_cmp_gt_f64_e32 vcc_lo, 0, v[52:53]
	v_cmp_gt_f64_e64 s0, 0, v[50:51]
	ds_read2_b64 v[65:68], v59 offset1:1
	v_xor_b32_e32 v70, 0x80000000, v51
	v_xor_b32_e32 v72, 0x80000000, v53
	v_mov_b32_e32 v69, v50
	v_mov_b32_e32 v71, v52
	v_add_nc_u32_e32 v59, 16, v59
	s_waitcnt lgkmcnt(0)
	v_xor_b32_e32 v74, 0x80000000, v68
	v_cndmask_b32_e64 v70, v51, v70, s0
	v_cndmask_b32_e32 v72, v53, v72, vcc_lo
	v_cmp_gt_f64_e32 vcc_lo, 0, v[67:68]
	v_cmp_gt_f64_e64 s0, 0, v[65:66]
	v_mov_b32_e32 v73, v67
	v_add_f64 v[69:70], v[69:70], v[71:72]
	v_xor_b32_e32 v72, 0x80000000, v66
	v_mov_b32_e32 v71, v65
	v_cndmask_b32_e32 v74, v68, v74, vcc_lo
	v_cndmask_b32_e64 v72, v66, v72, s0
	v_add_f64 v[71:72], v[71:72], v[73:74]
	v_cmp_lt_f64_e32 vcc_lo, v[69:70], v[71:72]
	v_cndmask_b32_e32 v51, v51, v66, vcc_lo
	v_cndmask_b32_e32 v50, v50, v65, vcc_lo
	v_cndmask_b32_e32 v53, v53, v68, vcc_lo
	v_cndmask_b32_e32 v52, v52, v67, vcc_lo
	v_cndmask_b32_e64 v58, v58, s1, vcc_lo
	s_add_i32 s1, s1, 1
	s_cmp_lg_u32 s18, s1
	s_cbranch_scc1 .LBB22_190
.LBB22_191:
	s_inst_prefetch 0x2
	s_waitcnt lgkmcnt(0)
	v_cmp_eq_f64_e32 vcc_lo, 0, v[50:51]
	v_cmp_eq_f64_e64 s0, 0, v[52:53]
	s_and_b32 s0, vcc_lo, s0
	s_and_saveexec_b32 s1, s0
	s_xor_b32 s0, exec_lo, s1
; %bb.192:
	v_cmp_ne_u32_e32 vcc_lo, 0, v63
	v_cndmask_b32_e32 v63, 10, v63, vcc_lo
; %bb.193:
	s_andn2_saveexec_b32 s0, s0
	s_cbranch_execz .LBB22_199
; %bb.194:
	v_cmp_ngt_f64_e64 s1, |v[50:51]|, |v[52:53]|
	s_and_saveexec_b32 s2, s1
	s_xor_b32 s1, exec_lo, s2
	s_cbranch_execz .LBB22_196
; %bb.195:
	v_div_scale_f64 v[65:66], null, v[52:53], v[52:53], v[50:51]
	v_div_scale_f64 v[71:72], vcc_lo, v[50:51], v[52:53], v[50:51]
	v_rcp_f64_e32 v[67:68], v[65:66]
	v_fma_f64 v[69:70], -v[65:66], v[67:68], 1.0
	v_fma_f64 v[67:68], v[67:68], v[69:70], v[67:68]
	v_fma_f64 v[69:70], -v[65:66], v[67:68], 1.0
	v_fma_f64 v[67:68], v[67:68], v[69:70], v[67:68]
	v_mul_f64 v[69:70], v[71:72], v[67:68]
	v_fma_f64 v[65:66], -v[65:66], v[69:70], v[71:72]
	v_div_fmas_f64 v[65:66], v[65:66], v[67:68], v[69:70]
	v_div_fixup_f64 v[65:66], v[65:66], v[52:53], v[50:51]
	v_fma_f64 v[50:51], v[50:51], v[65:66], v[52:53]
	v_div_scale_f64 v[52:53], null, v[50:51], v[50:51], 1.0
	v_rcp_f64_e32 v[67:68], v[52:53]
	v_fma_f64 v[69:70], -v[52:53], v[67:68], 1.0
	v_fma_f64 v[67:68], v[67:68], v[69:70], v[67:68]
	v_fma_f64 v[69:70], -v[52:53], v[67:68], 1.0
	v_fma_f64 v[67:68], v[67:68], v[69:70], v[67:68]
	v_div_scale_f64 v[69:70], vcc_lo, 1.0, v[50:51], 1.0
	v_mul_f64 v[71:72], v[69:70], v[67:68]
	v_fma_f64 v[52:53], -v[52:53], v[71:72], v[69:70]
	v_div_fmas_f64 v[52:53], v[52:53], v[67:68], v[71:72]
	v_div_fixup_f64 v[52:53], v[52:53], v[50:51], 1.0
	v_mul_f64 v[50:51], v[65:66], v[52:53]
	v_xor_b32_e32 v53, 0x80000000, v53
.LBB22_196:
	s_andn2_saveexec_b32 s1, s1
	s_cbranch_execz .LBB22_198
; %bb.197:
	v_div_scale_f64 v[65:66], null, v[50:51], v[50:51], v[52:53]
	v_div_scale_f64 v[71:72], vcc_lo, v[52:53], v[50:51], v[52:53]
	v_rcp_f64_e32 v[67:68], v[65:66]
	v_fma_f64 v[69:70], -v[65:66], v[67:68], 1.0
	v_fma_f64 v[67:68], v[67:68], v[69:70], v[67:68]
	v_fma_f64 v[69:70], -v[65:66], v[67:68], 1.0
	v_fma_f64 v[67:68], v[67:68], v[69:70], v[67:68]
	v_mul_f64 v[69:70], v[71:72], v[67:68]
	v_fma_f64 v[65:66], -v[65:66], v[69:70], v[71:72]
	v_div_fmas_f64 v[65:66], v[65:66], v[67:68], v[69:70]
	v_div_fixup_f64 v[65:66], v[65:66], v[50:51], v[52:53]
	v_fma_f64 v[50:51], v[52:53], v[65:66], v[50:51]
	v_div_scale_f64 v[52:53], null, v[50:51], v[50:51], 1.0
	v_rcp_f64_e32 v[67:68], v[52:53]
	v_fma_f64 v[69:70], -v[52:53], v[67:68], 1.0
	v_fma_f64 v[67:68], v[67:68], v[69:70], v[67:68]
	v_fma_f64 v[69:70], -v[52:53], v[67:68], 1.0
	v_fma_f64 v[67:68], v[67:68], v[69:70], v[67:68]
	v_div_scale_f64 v[69:70], vcc_lo, 1.0, v[50:51], 1.0
	v_mul_f64 v[71:72], v[69:70], v[67:68]
	v_fma_f64 v[52:53], -v[52:53], v[71:72], v[69:70]
	v_div_fmas_f64 v[52:53], v[52:53], v[67:68], v[71:72]
	v_div_fixup_f64 v[50:51], v[52:53], v[50:51], 1.0
	v_mul_f64 v[52:53], v[65:66], -v[50:51]
.LBB22_198:
	s_or_b32 exec_lo, exec_lo, s1
.LBB22_199:
	s_or_b32 exec_lo, exec_lo, s0
	s_mov_b32 s0, exec_lo
	v_cmpx_ne_u32_e64 v64, v58
	s_xor_b32 s0, exec_lo, s0
	s_cbranch_execz .LBB22_205
; %bb.200:
	s_mov_b32 s1, exec_lo
	v_cmpx_eq_u32_e32 9, v64
	s_cbranch_execz .LBB22_204
; %bb.201:
	v_cmp_ne_u32_e32 vcc_lo, 9, v58
	s_xor_b32 s2, s16, -1
	s_and_b32 s3, s2, vcc_lo
	s_and_saveexec_b32 s2, s3
	s_cbranch_execz .LBB22_203
; %bb.202:
	v_ashrrev_i32_e32 v59, 31, v58
	v_lshlrev_b64 v[64:65], 2, v[58:59]
	v_add_co_u32 v64, vcc_lo, v56, v64
	v_add_co_ci_u32_e64 v65, null, v57, v65, vcc_lo
	s_clause 0x1
	global_load_dword v0, v[64:65], off
	global_load_dword v59, v[56:57], off offset:36
	s_waitcnt vmcnt(1)
	global_store_dword v[56:57], v0, off offset:36
	s_waitcnt vmcnt(0)
	global_store_dword v[64:65], v59, off
.LBB22_203:
	s_or_b32 exec_lo, exec_lo, s2
	v_mov_b32_e32 v64, v58
	v_mov_b32_e32 v0, v58
.LBB22_204:
	s_or_b32 exec_lo, exec_lo, s1
.LBB22_205:
	s_andn2_saveexec_b32 s0, s0
	s_cbranch_execz .LBB22_207
; %bb.206:
	v_mov_b32_e32 v64, 9
	ds_write2_b64 v1, v[6:7], v[8:9] offset0:20 offset1:21
	ds_write2_b64 v1, v[2:3], v[4:5] offset0:22 offset1:23
.LBB22_207:
	s_or_b32 exec_lo, exec_lo, s0
	s_mov_b32 s0, exec_lo
	s_waitcnt lgkmcnt(0)
	s_waitcnt_vscnt null, 0x0
	s_barrier
	buffer_gl0_inv
	v_cmpx_lt_i32_e32 9, v64
	s_cbranch_execz .LBB22_209
; %bb.208:
	v_mul_f64 v[58:59], v[50:51], v[12:13]
	v_mul_f64 v[12:13], v[52:53], v[12:13]
	ds_read2_b64 v[65:68], v1 offset0:20 offset1:21
	ds_read2_b64 v[69:72], v1 offset0:22 offset1:23
	v_fma_f64 v[52:53], v[52:53], v[10:11], v[58:59]
	v_fma_f64 v[10:11], v[50:51], v[10:11], -v[12:13]
	s_waitcnt lgkmcnt(1)
	v_mul_f64 v[12:13], v[67:68], v[52:53]
	v_mul_f64 v[50:51], v[65:66], v[52:53]
	s_waitcnt lgkmcnt(0)
	v_mul_f64 v[58:59], v[71:72], v[52:53]
	v_mul_f64 v[73:74], v[69:70], v[52:53]
	v_fma_f64 v[12:13], v[65:66], v[10:11], -v[12:13]
	v_fma_f64 v[50:51], v[67:68], v[10:11], v[50:51]
	v_fma_f64 v[58:59], v[69:70], v[10:11], -v[58:59]
	v_fma_f64 v[65:66], v[71:72], v[10:11], v[73:74]
	v_add_f64 v[6:7], v[6:7], -v[12:13]
	v_add_f64 v[8:9], v[8:9], -v[50:51]
	;; [unrolled: 1-line block ×4, first 2 shown]
	v_mov_b32_e32 v12, v52
	v_mov_b32_e32 v13, v53
.LBB22_209:
	s_or_b32 exec_lo, exec_lo, s0
	v_lshl_add_u32 v50, v64, 4, v1
	s_barrier
	buffer_gl0_inv
	v_mov_b32_e32 v58, 10
	ds_write2_b64 v50, v[6:7], v[8:9] offset1:1
	s_waitcnt lgkmcnt(0)
	s_barrier
	buffer_gl0_inv
	ds_read2_b64 v[50:53], v1 offset0:20 offset1:21
	s_cmp_lt_i32 s18, 12
	s_cbranch_scc1 .LBB22_212
; %bb.210:
	v_add3_u32 v59, v60, 0, 0xb0
	v_mov_b32_e32 v58, 10
	s_mov_b32 s1, 11
	s_inst_prefetch 0x1
	.p2align	6
.LBB22_211:                             ; =>This Inner Loop Header: Depth=1
	s_waitcnt lgkmcnt(0)
	v_cmp_gt_f64_e32 vcc_lo, 0, v[52:53]
	v_cmp_gt_f64_e64 s0, 0, v[50:51]
	ds_read2_b64 v[65:68], v59 offset1:1
	v_xor_b32_e32 v70, 0x80000000, v51
	v_xor_b32_e32 v72, 0x80000000, v53
	v_mov_b32_e32 v69, v50
	v_mov_b32_e32 v71, v52
	v_add_nc_u32_e32 v59, 16, v59
	s_waitcnt lgkmcnt(0)
	v_xor_b32_e32 v74, 0x80000000, v68
	v_cndmask_b32_e64 v70, v51, v70, s0
	v_cndmask_b32_e32 v72, v53, v72, vcc_lo
	v_cmp_gt_f64_e32 vcc_lo, 0, v[67:68]
	v_cmp_gt_f64_e64 s0, 0, v[65:66]
	v_mov_b32_e32 v73, v67
	v_add_f64 v[69:70], v[69:70], v[71:72]
	v_xor_b32_e32 v72, 0x80000000, v66
	v_mov_b32_e32 v71, v65
	v_cndmask_b32_e32 v74, v68, v74, vcc_lo
	v_cndmask_b32_e64 v72, v66, v72, s0
	v_add_f64 v[71:72], v[71:72], v[73:74]
	v_cmp_lt_f64_e32 vcc_lo, v[69:70], v[71:72]
	v_cndmask_b32_e32 v51, v51, v66, vcc_lo
	v_cndmask_b32_e32 v50, v50, v65, vcc_lo
	v_cndmask_b32_e32 v53, v53, v68, vcc_lo
	v_cndmask_b32_e32 v52, v52, v67, vcc_lo
	v_cndmask_b32_e64 v58, v58, s1, vcc_lo
	s_add_i32 s1, s1, 1
	s_cmp_lg_u32 s18, s1
	s_cbranch_scc1 .LBB22_211
.LBB22_212:
	s_inst_prefetch 0x2
	s_waitcnt lgkmcnt(0)
	v_cmp_eq_f64_e32 vcc_lo, 0, v[50:51]
	v_cmp_eq_f64_e64 s0, 0, v[52:53]
	s_and_b32 s0, vcc_lo, s0
	s_and_saveexec_b32 s1, s0
	s_xor_b32 s0, exec_lo, s1
; %bb.213:
	v_cmp_ne_u32_e32 vcc_lo, 0, v63
	v_cndmask_b32_e32 v63, 11, v63, vcc_lo
; %bb.214:
	s_andn2_saveexec_b32 s0, s0
	s_cbranch_execz .LBB22_220
; %bb.215:
	v_cmp_ngt_f64_e64 s1, |v[50:51]|, |v[52:53]|
	s_and_saveexec_b32 s2, s1
	s_xor_b32 s1, exec_lo, s2
	s_cbranch_execz .LBB22_217
; %bb.216:
	v_div_scale_f64 v[65:66], null, v[52:53], v[52:53], v[50:51]
	v_div_scale_f64 v[71:72], vcc_lo, v[50:51], v[52:53], v[50:51]
	v_rcp_f64_e32 v[67:68], v[65:66]
	v_fma_f64 v[69:70], -v[65:66], v[67:68], 1.0
	v_fma_f64 v[67:68], v[67:68], v[69:70], v[67:68]
	v_fma_f64 v[69:70], -v[65:66], v[67:68], 1.0
	v_fma_f64 v[67:68], v[67:68], v[69:70], v[67:68]
	v_mul_f64 v[69:70], v[71:72], v[67:68]
	v_fma_f64 v[65:66], -v[65:66], v[69:70], v[71:72]
	v_div_fmas_f64 v[65:66], v[65:66], v[67:68], v[69:70]
	v_div_fixup_f64 v[65:66], v[65:66], v[52:53], v[50:51]
	v_fma_f64 v[50:51], v[50:51], v[65:66], v[52:53]
	v_div_scale_f64 v[52:53], null, v[50:51], v[50:51], 1.0
	v_rcp_f64_e32 v[67:68], v[52:53]
	v_fma_f64 v[69:70], -v[52:53], v[67:68], 1.0
	v_fma_f64 v[67:68], v[67:68], v[69:70], v[67:68]
	v_fma_f64 v[69:70], -v[52:53], v[67:68], 1.0
	v_fma_f64 v[67:68], v[67:68], v[69:70], v[67:68]
	v_div_scale_f64 v[69:70], vcc_lo, 1.0, v[50:51], 1.0
	v_mul_f64 v[71:72], v[69:70], v[67:68]
	v_fma_f64 v[52:53], -v[52:53], v[71:72], v[69:70]
	v_div_fmas_f64 v[52:53], v[52:53], v[67:68], v[71:72]
	v_div_fixup_f64 v[52:53], v[52:53], v[50:51], 1.0
	v_mul_f64 v[50:51], v[65:66], v[52:53]
	v_xor_b32_e32 v53, 0x80000000, v53
.LBB22_217:
	s_andn2_saveexec_b32 s1, s1
	s_cbranch_execz .LBB22_219
; %bb.218:
	v_div_scale_f64 v[65:66], null, v[50:51], v[50:51], v[52:53]
	v_div_scale_f64 v[71:72], vcc_lo, v[52:53], v[50:51], v[52:53]
	v_rcp_f64_e32 v[67:68], v[65:66]
	v_fma_f64 v[69:70], -v[65:66], v[67:68], 1.0
	v_fma_f64 v[67:68], v[67:68], v[69:70], v[67:68]
	v_fma_f64 v[69:70], -v[65:66], v[67:68], 1.0
	v_fma_f64 v[67:68], v[67:68], v[69:70], v[67:68]
	v_mul_f64 v[69:70], v[71:72], v[67:68]
	v_fma_f64 v[65:66], -v[65:66], v[69:70], v[71:72]
	v_div_fmas_f64 v[65:66], v[65:66], v[67:68], v[69:70]
	v_div_fixup_f64 v[65:66], v[65:66], v[50:51], v[52:53]
	v_fma_f64 v[50:51], v[52:53], v[65:66], v[50:51]
	v_div_scale_f64 v[52:53], null, v[50:51], v[50:51], 1.0
	v_rcp_f64_e32 v[67:68], v[52:53]
	v_fma_f64 v[69:70], -v[52:53], v[67:68], 1.0
	v_fma_f64 v[67:68], v[67:68], v[69:70], v[67:68]
	v_fma_f64 v[69:70], -v[52:53], v[67:68], 1.0
	v_fma_f64 v[67:68], v[67:68], v[69:70], v[67:68]
	v_div_scale_f64 v[69:70], vcc_lo, 1.0, v[50:51], 1.0
	v_mul_f64 v[71:72], v[69:70], v[67:68]
	v_fma_f64 v[52:53], -v[52:53], v[71:72], v[69:70]
	v_div_fmas_f64 v[52:53], v[52:53], v[67:68], v[71:72]
	v_div_fixup_f64 v[50:51], v[52:53], v[50:51], 1.0
	v_mul_f64 v[52:53], v[65:66], -v[50:51]
.LBB22_219:
	s_or_b32 exec_lo, exec_lo, s1
.LBB22_220:
	s_or_b32 exec_lo, exec_lo, s0
	s_mov_b32 s0, exec_lo
	v_cmpx_ne_u32_e64 v64, v58
	s_xor_b32 s0, exec_lo, s0
	s_cbranch_execz .LBB22_226
; %bb.221:
	s_mov_b32 s1, exec_lo
	v_cmpx_eq_u32_e32 10, v64
	s_cbranch_execz .LBB22_225
; %bb.222:
	v_cmp_ne_u32_e32 vcc_lo, 10, v58
	s_xor_b32 s2, s16, -1
	s_and_b32 s3, s2, vcc_lo
	s_and_saveexec_b32 s2, s3
	s_cbranch_execz .LBB22_224
; %bb.223:
	v_ashrrev_i32_e32 v59, 31, v58
	v_lshlrev_b64 v[64:65], 2, v[58:59]
	v_add_co_u32 v64, vcc_lo, v56, v64
	v_add_co_ci_u32_e64 v65, null, v57, v65, vcc_lo
	s_clause 0x1
	global_load_dword v0, v[64:65], off
	global_load_dword v59, v[56:57], off offset:40
	s_waitcnt vmcnt(1)
	global_store_dword v[56:57], v0, off offset:40
	s_waitcnt vmcnt(0)
	global_store_dword v[64:65], v59, off
.LBB22_224:
	s_or_b32 exec_lo, exec_lo, s2
	v_mov_b32_e32 v64, v58
	v_mov_b32_e32 v0, v58
.LBB22_225:
	s_or_b32 exec_lo, exec_lo, s1
.LBB22_226:
	s_andn2_saveexec_b32 s0, s0
; %bb.227:
	v_mov_b32_e32 v64, 10
	ds_write2_b64 v1, v[2:3], v[4:5] offset0:22 offset1:23
; %bb.228:
	s_or_b32 exec_lo, exec_lo, s0
	s_mov_b32 s0, exec_lo
	s_waitcnt lgkmcnt(0)
	s_waitcnt_vscnt null, 0x0
	s_barrier
	buffer_gl0_inv
	v_cmpx_lt_i32_e32 10, v64
	s_cbranch_execz .LBB22_230
; %bb.229:
	v_mul_f64 v[58:59], v[50:51], v[8:9]
	v_mul_f64 v[8:9], v[52:53], v[8:9]
	ds_read2_b64 v[65:68], v1 offset0:22 offset1:23
	v_fma_f64 v[52:53], v[52:53], v[6:7], v[58:59]
	v_fma_f64 v[6:7], v[50:51], v[6:7], -v[8:9]
	s_waitcnt lgkmcnt(0)
	v_mul_f64 v[8:9], v[67:68], v[52:53]
	v_mul_f64 v[50:51], v[65:66], v[52:53]
	v_fma_f64 v[8:9], v[65:66], v[6:7], -v[8:9]
	v_fma_f64 v[50:51], v[67:68], v[6:7], v[50:51]
	v_add_f64 v[2:3], v[2:3], -v[8:9]
	v_add_f64 v[4:5], v[4:5], -v[50:51]
	v_mov_b32_e32 v8, v52
	v_mov_b32_e32 v9, v53
.LBB22_230:
	s_or_b32 exec_lo, exec_lo, s0
	v_lshl_add_u32 v50, v64, 4, v1
	s_barrier
	buffer_gl0_inv
	v_mov_b32_e32 v58, 11
	ds_write2_b64 v50, v[2:3], v[4:5] offset1:1
	s_waitcnt lgkmcnt(0)
	s_barrier
	buffer_gl0_inv
	ds_read2_b64 v[50:53], v1 offset0:22 offset1:23
	s_cmp_lt_i32 s18, 13
	s_cbranch_scc1 .LBB22_233
; %bb.231:
	v_add3_u32 v1, v60, 0, 0xc0
	v_mov_b32_e32 v58, 11
	s_mov_b32 s1, 12
	s_inst_prefetch 0x1
	.p2align	6
.LBB22_232:                             ; =>This Inner Loop Header: Depth=1
	s_waitcnt lgkmcnt(0)
	v_cmp_gt_f64_e32 vcc_lo, 0, v[52:53]
	v_cmp_gt_f64_e64 s0, 0, v[50:51]
	ds_read2_b64 v[65:68], v1 offset1:1
	v_xor_b32_e32 v60, 0x80000000, v51
	v_xor_b32_e32 v70, 0x80000000, v53
	v_mov_b32_e32 v59, v50
	v_mov_b32_e32 v69, v52
	v_add_nc_u32_e32 v1, 16, v1
	s_waitcnt lgkmcnt(0)
	v_xor_b32_e32 v72, 0x80000000, v68
	v_cndmask_b32_e64 v60, v51, v60, s0
	v_cndmask_b32_e32 v70, v53, v70, vcc_lo
	v_cmp_gt_f64_e32 vcc_lo, 0, v[67:68]
	v_cmp_gt_f64_e64 s0, 0, v[65:66]
	v_mov_b32_e32 v71, v67
	v_add_f64 v[59:60], v[59:60], v[69:70]
	v_xor_b32_e32 v70, 0x80000000, v66
	v_mov_b32_e32 v69, v65
	v_cndmask_b32_e32 v72, v68, v72, vcc_lo
	v_cndmask_b32_e64 v70, v66, v70, s0
	v_add_f64 v[69:70], v[69:70], v[71:72]
	v_cmp_lt_f64_e32 vcc_lo, v[59:60], v[69:70]
	v_cndmask_b32_e32 v51, v51, v66, vcc_lo
	v_cndmask_b32_e32 v50, v50, v65, vcc_lo
	;; [unrolled: 1-line block ×4, first 2 shown]
	v_cndmask_b32_e64 v58, v58, s1, vcc_lo
	s_add_i32 s1, s1, 1
	s_cmp_lg_u32 s18, s1
	s_cbranch_scc1 .LBB22_232
.LBB22_233:
	s_inst_prefetch 0x2
	s_waitcnt lgkmcnt(0)
	v_cmp_eq_f64_e32 vcc_lo, 0, v[50:51]
	v_cmp_eq_f64_e64 s0, 0, v[52:53]
	s_and_b32 s0, vcc_lo, s0
	s_and_saveexec_b32 s1, s0
	s_xor_b32 s0, exec_lo, s1
; %bb.234:
	v_cmp_ne_u32_e32 vcc_lo, 0, v63
	v_cndmask_b32_e32 v63, 12, v63, vcc_lo
; %bb.235:
	s_andn2_saveexec_b32 s0, s0
	s_cbranch_execz .LBB22_241
; %bb.236:
	v_cmp_ngt_f64_e64 s1, |v[50:51]|, |v[52:53]|
	s_and_saveexec_b32 s2, s1
	s_xor_b32 s1, exec_lo, s2
	s_cbranch_execz .LBB22_238
; %bb.237:
	v_div_scale_f64 v[59:60], null, v[52:53], v[52:53], v[50:51]
	v_div_scale_f64 v[69:70], vcc_lo, v[50:51], v[52:53], v[50:51]
	v_rcp_f64_e32 v[65:66], v[59:60]
	v_fma_f64 v[67:68], -v[59:60], v[65:66], 1.0
	v_fma_f64 v[65:66], v[65:66], v[67:68], v[65:66]
	v_fma_f64 v[67:68], -v[59:60], v[65:66], 1.0
	v_fma_f64 v[65:66], v[65:66], v[67:68], v[65:66]
	v_mul_f64 v[67:68], v[69:70], v[65:66]
	v_fma_f64 v[59:60], -v[59:60], v[67:68], v[69:70]
	v_div_fmas_f64 v[59:60], v[59:60], v[65:66], v[67:68]
	v_div_fixup_f64 v[59:60], v[59:60], v[52:53], v[50:51]
	v_fma_f64 v[50:51], v[50:51], v[59:60], v[52:53]
	v_div_scale_f64 v[52:53], null, v[50:51], v[50:51], 1.0
	v_rcp_f64_e32 v[65:66], v[52:53]
	v_fma_f64 v[67:68], -v[52:53], v[65:66], 1.0
	v_fma_f64 v[65:66], v[65:66], v[67:68], v[65:66]
	v_fma_f64 v[67:68], -v[52:53], v[65:66], 1.0
	v_fma_f64 v[65:66], v[65:66], v[67:68], v[65:66]
	v_div_scale_f64 v[67:68], vcc_lo, 1.0, v[50:51], 1.0
	v_mul_f64 v[69:70], v[67:68], v[65:66]
	v_fma_f64 v[52:53], -v[52:53], v[69:70], v[67:68]
	v_div_fmas_f64 v[52:53], v[52:53], v[65:66], v[69:70]
	v_div_fixup_f64 v[52:53], v[52:53], v[50:51], 1.0
	v_mul_f64 v[50:51], v[59:60], v[52:53]
	v_xor_b32_e32 v53, 0x80000000, v53
.LBB22_238:
	s_andn2_saveexec_b32 s1, s1
	s_cbranch_execz .LBB22_240
; %bb.239:
	v_div_scale_f64 v[59:60], null, v[50:51], v[50:51], v[52:53]
	v_div_scale_f64 v[69:70], vcc_lo, v[52:53], v[50:51], v[52:53]
	v_rcp_f64_e32 v[65:66], v[59:60]
	v_fma_f64 v[67:68], -v[59:60], v[65:66], 1.0
	v_fma_f64 v[65:66], v[65:66], v[67:68], v[65:66]
	v_fma_f64 v[67:68], -v[59:60], v[65:66], 1.0
	v_fma_f64 v[65:66], v[65:66], v[67:68], v[65:66]
	v_mul_f64 v[67:68], v[69:70], v[65:66]
	v_fma_f64 v[59:60], -v[59:60], v[67:68], v[69:70]
	v_div_fmas_f64 v[59:60], v[59:60], v[65:66], v[67:68]
	v_div_fixup_f64 v[59:60], v[59:60], v[50:51], v[52:53]
	v_fma_f64 v[50:51], v[52:53], v[59:60], v[50:51]
	v_div_scale_f64 v[52:53], null, v[50:51], v[50:51], 1.0
	v_rcp_f64_e32 v[65:66], v[52:53]
	v_fma_f64 v[67:68], -v[52:53], v[65:66], 1.0
	v_fma_f64 v[65:66], v[65:66], v[67:68], v[65:66]
	v_fma_f64 v[67:68], -v[52:53], v[65:66], 1.0
	v_fma_f64 v[65:66], v[65:66], v[67:68], v[65:66]
	v_div_scale_f64 v[67:68], vcc_lo, 1.0, v[50:51], 1.0
	v_mul_f64 v[69:70], v[67:68], v[65:66]
	v_fma_f64 v[52:53], -v[52:53], v[69:70], v[67:68]
	v_div_fmas_f64 v[52:53], v[52:53], v[65:66], v[69:70]
	v_div_fixup_f64 v[50:51], v[52:53], v[50:51], 1.0
	v_mul_f64 v[52:53], v[59:60], -v[50:51]
.LBB22_240:
	s_or_b32 exec_lo, exec_lo, s1
.LBB22_241:
	s_or_b32 exec_lo, exec_lo, s0
	v_mov_b32_e32 v59, 11
	s_mov_b32 s0, exec_lo
	v_cmpx_ne_u32_e64 v64, v58
	s_cbranch_execz .LBB22_247
; %bb.242:
	s_mov_b32 s1, exec_lo
	v_cmpx_eq_u32_e32 11, v64
	s_cbranch_execz .LBB22_246
; %bb.243:
	v_cmp_ne_u32_e32 vcc_lo, 11, v58
	s_xor_b32 s2, s16, -1
	s_and_b32 s3, s2, vcc_lo
	s_and_saveexec_b32 s2, s3
	s_cbranch_execz .LBB22_245
; %bb.244:
	v_ashrrev_i32_e32 v59, 31, v58
	v_lshlrev_b64 v[0:1], 2, v[58:59]
	v_add_co_u32 v0, vcc_lo, v56, v0
	v_add_co_ci_u32_e64 v1, null, v57, v1, vcc_lo
	s_clause 0x1
	global_load_dword v59, v[0:1], off
	global_load_dword v60, v[56:57], off offset:44
	s_waitcnt vmcnt(1)
	global_store_dword v[56:57], v59, off offset:44
	s_waitcnt vmcnt(0)
	global_store_dword v[0:1], v60, off
.LBB22_245:
	s_or_b32 exec_lo, exec_lo, s2
	v_mov_b32_e32 v64, v58
	v_mov_b32_e32 v0, v58
.LBB22_246:
	s_or_b32 exec_lo, exec_lo, s1
	v_mov_b32_e32 v59, v64
.LBB22_247:
	s_or_b32 exec_lo, exec_lo, s0
	s_mov_b32 s0, exec_lo
	s_waitcnt_vscnt null, 0x0
	s_barrier
	buffer_gl0_inv
	v_cmpx_lt_i32_e32 11, v59
	s_cbranch_execz .LBB22_249
; %bb.248:
	v_mul_f64 v[56:57], v[52:53], v[4:5]
	v_mul_f64 v[4:5], v[50:51], v[4:5]
	v_fma_f64 v[50:51], v[50:51], v[2:3], -v[56:57]
	v_fma_f64 v[4:5], v[52:53], v[2:3], v[4:5]
	v_mov_b32_e32 v2, v50
	v_mov_b32_e32 v3, v51
.LBB22_249:
	s_or_b32 exec_lo, exec_lo, s0
	v_ashrrev_i32_e32 v60, 31, v59
	s_mov_b32 s0, exec_lo
	s_barrier
	buffer_gl0_inv
	v_cmpx_gt_i32_e32 12, v59
	s_cbranch_execz .LBB22_251
; %bb.250:
	v_mul_lo_u32 v1, s15, v54
	v_mul_lo_u32 v52, s14, v55
	v_mad_u64_u32 v[50:51], null, s14, v54, 0
	s_lshl_b64 s[2:3], s[12:13], 2
	v_add3_u32 v0, v0, s17, 1
	v_add3_u32 v51, v51, v52, v1
	v_lshlrev_b64 v[50:51], 2, v[50:51]
	v_add_co_u32 v1, vcc_lo, s10, v50
	v_add_co_ci_u32_e64 v52, null, s11, v51, vcc_lo
	v_lshlrev_b64 v[50:51], 2, v[59:60]
	v_add_co_u32 v1, vcc_lo, v1, s2
	v_add_co_ci_u32_e64 v52, null, s3, v52, vcc_lo
	v_add_co_u32 v50, vcc_lo, v1, v50
	v_add_co_ci_u32_e64 v51, null, v52, v51, vcc_lo
	global_store_dword v[50:51], v0, off
.LBB22_251:
	s_or_b32 exec_lo, exec_lo, s0
	s_mov_b32 s1, exec_lo
	v_cmpx_eq_u32_e32 0, v59
	s_cbranch_execz .LBB22_254
; %bb.252:
	v_lshlrev_b64 v[0:1], 2, v[54:55]
	v_cmp_ne_u32_e64 s0, 0, v63
	v_add_co_u32 v0, vcc_lo, s4, v0
	v_add_co_ci_u32_e64 v1, null, s5, v1, vcc_lo
	global_load_dword v50, v[0:1], off
	s_waitcnt vmcnt(0)
	v_cmp_eq_u32_e32 vcc_lo, 0, v50
	s_and_b32 s0, vcc_lo, s0
	s_and_b32 exec_lo, exec_lo, s0
	s_cbranch_execz .LBB22_254
; %bb.253:
	v_add_nc_u32_e32 v50, s17, v63
	global_store_dword v[0:1], v50, off
.LBB22_254:
	s_or_b32 exec_lo, exec_lo, s1
	v_add3_u32 v0, s6, s6, v59
	v_lshlrev_b64 v[50:51], 4, v[59:60]
	v_add_nc_u32_e32 v52, s6, v0
	v_ashrrev_i32_e32 v1, 31, v0
	v_add_co_u32 v50, vcc_lo, v61, v50
	v_add_co_ci_u32_e64 v51, null, v62, v51, vcc_lo
	v_add_nc_u32_e32 v56, s6, v52
	v_add_co_u32 v54, vcc_lo, v50, s8
	v_ashrrev_i32_e32 v53, 31, v52
	v_add_co_ci_u32_e64 v55, null, s9, v51, vcc_lo
	v_ashrrev_i32_e32 v57, 31, v56
	v_lshlrev_b64 v[0:1], 4, v[0:1]
	global_store_dwordx4 v[50:51], v[42:45], off
	global_store_dwordx4 v[54:55], v[46:49], off
	v_lshlrev_b64 v[42:43], 4, v[52:53]
	v_add_nc_u32_e32 v46, s6, v56
	v_lshlrev_b64 v[44:45], 4, v[56:57]
	v_add_co_u32 v0, vcc_lo, v61, v0
	v_add_co_ci_u32_e64 v1, null, v62, v1, vcc_lo
	v_add_co_u32 v42, vcc_lo, v61, v42
	v_add_co_ci_u32_e64 v43, null, v62, v43, vcc_lo
	v_add_co_u32 v44, vcc_lo, v61, v44
	v_add_nc_u32_e32 v48, s6, v46
	v_add_co_ci_u32_e64 v45, null, v62, v45, vcc_lo
	v_ashrrev_i32_e32 v47, 31, v46
	global_store_dwordx4 v[0:1], v[34:37], off
	global_store_dwordx4 v[42:43], v[30:33], off
	;; [unrolled: 1-line block ×3, first 2 shown]
	v_add_nc_u32_e32 v32, s6, v48
	v_ashrrev_i32_e32 v49, 31, v48
	v_lshlrev_b64 v[0:1], 4, v[46:47]
	v_add_nc_u32_e32 v34, s6, v32
	v_lshlrev_b64 v[30:31], 4, v[48:49]
	v_ashrrev_i32_e32 v33, 31, v32
	v_add_co_u32 v0, vcc_lo, v61, v0
	v_add_co_ci_u32_e64 v1, null, v62, v1, vcc_lo
	v_add_nc_u32_e32 v36, s6, v34
	v_add_co_u32 v30, vcc_lo, v61, v30
	v_add_co_ci_u32_e64 v31, null, v62, v31, vcc_lo
	global_store_dwordx4 v[0:1], v[22:25], off
	v_add_nc_u32_e32 v24, s6, v36
	v_ashrrev_i32_e32 v35, 31, v34
	global_store_dwordx4 v[30:31], v[26:29], off
	v_ashrrev_i32_e32 v37, 31, v36
	v_lshlrev_b64 v[0:1], 4, v[32:33]
	v_add_nc_u32_e32 v28, s6, v24
	v_ashrrev_i32_e32 v25, 31, v24
	v_lshlrev_b64 v[22:23], 4, v[34:35]
	v_lshlrev_b64 v[26:27], 4, v[36:37]
	v_ashrrev_i32_e32 v29, 31, v28
	v_add_co_u32 v0, vcc_lo, v61, v0
	v_lshlrev_b64 v[24:25], 4, v[24:25]
	v_add_co_ci_u32_e64 v1, null, v62, v1, vcc_lo
	v_add_co_u32 v22, vcc_lo, v61, v22
	v_lshlrev_b64 v[28:29], 4, v[28:29]
	v_add_co_ci_u32_e64 v23, null, v62, v23, vcc_lo
	v_add_co_u32 v26, vcc_lo, v61, v26
	v_add_co_ci_u32_e64 v27, null, v62, v27, vcc_lo
	v_add_co_u32 v24, vcc_lo, v61, v24
	;; [unrolled: 2-line block ×3, first 2 shown]
	v_add_co_ci_u32_e64 v29, null, v62, v29, vcc_lo
	global_store_dwordx4 v[0:1], v[18:21], off
	global_store_dwordx4 v[22:23], v[14:17], off
	;; [unrolled: 1-line block ×5, first 2 shown]
.LBB22_255:
	s_endpgm
	.section	.rodata,"a",@progbits
	.p2align	6, 0x0
	.amdhsa_kernel _ZN9rocsolver6v33100L18getf2_small_kernelILi12E19rocblas_complex_numIdEiiPS3_EEvT1_T3_lS5_lPS5_llPT2_S5_S5_S7_l
		.amdhsa_group_segment_fixed_size 0
		.amdhsa_private_segment_fixed_size 0
		.amdhsa_kernarg_size 352
		.amdhsa_user_sgpr_count 6
		.amdhsa_user_sgpr_private_segment_buffer 1
		.amdhsa_user_sgpr_dispatch_ptr 0
		.amdhsa_user_sgpr_queue_ptr 0
		.amdhsa_user_sgpr_kernarg_segment_ptr 1
		.amdhsa_user_sgpr_dispatch_id 0
		.amdhsa_user_sgpr_flat_scratch_init 0
		.amdhsa_user_sgpr_private_segment_size 0
		.amdhsa_wavefront_size32 1
		.amdhsa_uses_dynamic_stack 0
		.amdhsa_system_sgpr_private_segment_wavefront_offset 0
		.amdhsa_system_sgpr_workgroup_id_x 1
		.amdhsa_system_sgpr_workgroup_id_y 1
		.amdhsa_system_sgpr_workgroup_id_z 0
		.amdhsa_system_sgpr_workgroup_info 0
		.amdhsa_system_vgpr_workitem_id 1
		.amdhsa_next_free_vgpr 76
		.amdhsa_next_free_sgpr 19
		.amdhsa_reserve_vcc 1
		.amdhsa_reserve_flat_scratch 0
		.amdhsa_float_round_mode_32 0
		.amdhsa_float_round_mode_16_64 0
		.amdhsa_float_denorm_mode_32 3
		.amdhsa_float_denorm_mode_16_64 3
		.amdhsa_dx10_clamp 1
		.amdhsa_ieee_mode 1
		.amdhsa_fp16_overflow 0
		.amdhsa_workgroup_processor_mode 1
		.amdhsa_memory_ordered 1
		.amdhsa_forward_progress 1
		.amdhsa_shared_vgpr_count 0
		.amdhsa_exception_fp_ieee_invalid_op 0
		.amdhsa_exception_fp_denorm_src 0
		.amdhsa_exception_fp_ieee_div_zero 0
		.amdhsa_exception_fp_ieee_overflow 0
		.amdhsa_exception_fp_ieee_underflow 0
		.amdhsa_exception_fp_ieee_inexact 0
		.amdhsa_exception_int_div_zero 0
	.end_amdhsa_kernel
	.section	.text._ZN9rocsolver6v33100L18getf2_small_kernelILi12E19rocblas_complex_numIdEiiPS3_EEvT1_T3_lS5_lPS5_llPT2_S5_S5_S7_l,"axG",@progbits,_ZN9rocsolver6v33100L18getf2_small_kernelILi12E19rocblas_complex_numIdEiiPS3_EEvT1_T3_lS5_lPS5_llPT2_S5_S5_S7_l,comdat
.Lfunc_end22:
	.size	_ZN9rocsolver6v33100L18getf2_small_kernelILi12E19rocblas_complex_numIdEiiPS3_EEvT1_T3_lS5_lPS5_llPT2_S5_S5_S7_l, .Lfunc_end22-_ZN9rocsolver6v33100L18getf2_small_kernelILi12E19rocblas_complex_numIdEiiPS3_EEvT1_T3_lS5_lPS5_llPT2_S5_S5_S7_l
                                        ; -- End function
	.set _ZN9rocsolver6v33100L18getf2_small_kernelILi12E19rocblas_complex_numIdEiiPS3_EEvT1_T3_lS5_lPS5_llPT2_S5_S5_S7_l.num_vgpr, 76
	.set _ZN9rocsolver6v33100L18getf2_small_kernelILi12E19rocblas_complex_numIdEiiPS3_EEvT1_T3_lS5_lPS5_llPT2_S5_S5_S7_l.num_agpr, 0
	.set _ZN9rocsolver6v33100L18getf2_small_kernelILi12E19rocblas_complex_numIdEiiPS3_EEvT1_T3_lS5_lPS5_llPT2_S5_S5_S7_l.numbered_sgpr, 19
	.set _ZN9rocsolver6v33100L18getf2_small_kernelILi12E19rocblas_complex_numIdEiiPS3_EEvT1_T3_lS5_lPS5_llPT2_S5_S5_S7_l.num_named_barrier, 0
	.set _ZN9rocsolver6v33100L18getf2_small_kernelILi12E19rocblas_complex_numIdEiiPS3_EEvT1_T3_lS5_lPS5_llPT2_S5_S5_S7_l.private_seg_size, 0
	.set _ZN9rocsolver6v33100L18getf2_small_kernelILi12E19rocblas_complex_numIdEiiPS3_EEvT1_T3_lS5_lPS5_llPT2_S5_S5_S7_l.uses_vcc, 1
	.set _ZN9rocsolver6v33100L18getf2_small_kernelILi12E19rocblas_complex_numIdEiiPS3_EEvT1_T3_lS5_lPS5_llPT2_S5_S5_S7_l.uses_flat_scratch, 0
	.set _ZN9rocsolver6v33100L18getf2_small_kernelILi12E19rocblas_complex_numIdEiiPS3_EEvT1_T3_lS5_lPS5_llPT2_S5_S5_S7_l.has_dyn_sized_stack, 0
	.set _ZN9rocsolver6v33100L18getf2_small_kernelILi12E19rocblas_complex_numIdEiiPS3_EEvT1_T3_lS5_lPS5_llPT2_S5_S5_S7_l.has_recursion, 0
	.set _ZN9rocsolver6v33100L18getf2_small_kernelILi12E19rocblas_complex_numIdEiiPS3_EEvT1_T3_lS5_lPS5_llPT2_S5_S5_S7_l.has_indirect_call, 0
	.section	.AMDGPU.csdata,"",@progbits
; Kernel info:
; codeLenInByte = 17808
; TotalNumSgprs: 21
; NumVgprs: 76
; ScratchSize: 0
; MemoryBound: 0
; FloatMode: 240
; IeeeMode: 1
; LDSByteSize: 0 bytes/workgroup (compile time only)
; SGPRBlocks: 0
; VGPRBlocks: 9
; NumSGPRsForWavesPerEU: 21
; NumVGPRsForWavesPerEU: 76
; Occupancy: 12
; WaveLimiterHint : 0
; COMPUTE_PGM_RSRC2:SCRATCH_EN: 0
; COMPUTE_PGM_RSRC2:USER_SGPR: 6
; COMPUTE_PGM_RSRC2:TRAP_HANDLER: 0
; COMPUTE_PGM_RSRC2:TGID_X_EN: 1
; COMPUTE_PGM_RSRC2:TGID_Y_EN: 1
; COMPUTE_PGM_RSRC2:TGID_Z_EN: 0
; COMPUTE_PGM_RSRC2:TIDIG_COMP_CNT: 1
	.section	.text._ZN9rocsolver6v33100L23getf2_npvt_small_kernelILi12E19rocblas_complex_numIdEiiPS3_EEvT1_T3_lS5_lPT2_S5_S5_,"axG",@progbits,_ZN9rocsolver6v33100L23getf2_npvt_small_kernelILi12E19rocblas_complex_numIdEiiPS3_EEvT1_T3_lS5_lPT2_S5_S5_,comdat
	.globl	_ZN9rocsolver6v33100L23getf2_npvt_small_kernelILi12E19rocblas_complex_numIdEiiPS3_EEvT1_T3_lS5_lPT2_S5_S5_ ; -- Begin function _ZN9rocsolver6v33100L23getf2_npvt_small_kernelILi12E19rocblas_complex_numIdEiiPS3_EEvT1_T3_lS5_lPT2_S5_S5_
	.p2align	8
	.type	_ZN9rocsolver6v33100L23getf2_npvt_small_kernelILi12E19rocblas_complex_numIdEiiPS3_EEvT1_T3_lS5_lPT2_S5_S5_,@function
_ZN9rocsolver6v33100L23getf2_npvt_small_kernelILi12E19rocblas_complex_numIdEiiPS3_EEvT1_T3_lS5_lPT2_S5_S5_: ; @_ZN9rocsolver6v33100L23getf2_npvt_small_kernelILi12E19rocblas_complex_numIdEiiPS3_EEvT1_T3_lS5_lPT2_S5_S5_
; %bb.0:
	s_clause 0x1
	s_load_dword s0, s[4:5], 0x44
	s_load_dwordx2 s[12:13], s[4:5], 0x30
	s_waitcnt lgkmcnt(0)
	s_lshr_b32 s14, s0, 16
	s_mov_b32 s0, exec_lo
	v_mad_u64_u32 v[110:111], null, s7, s14, v[1:2]
	v_cmpx_gt_i32_e64 s12, v110
	s_cbranch_execz .LBB23_113
; %bb.1:
	s_clause 0x2
	s_load_dwordx4 s[8:11], s[4:5], 0x20
	s_load_dword s6, s[4:5], 0x18
	s_load_dwordx4 s[0:3], s[4:5], 0x8
	v_ashrrev_i32_e32 v111, 31, v110
	v_lshlrev_b32_e32 v12, 4, v0
	v_lshlrev_b32_e32 v50, 4, v1
	s_mulk_i32 s14, 0xc0
	v_mad_u32_u24 v124, 0xc0, v1, 0
	v_add3_u32 v1, 0, s14, v50
	s_waitcnt lgkmcnt(0)
	v_mul_lo_u32 v5, s9, v110
	v_mul_lo_u32 v7, s8, v111
	v_mad_u64_u32 v[2:3], null, s8, v110, 0
	v_add3_u32 v4, s6, s6, v0
	s_lshl_b64 s[2:3], s[2:3], 4
	s_ashr_i32 s7, s6, 31
	s_lshl_b64 s[4:5], s[6:7], 4
	v_add_nc_u32_e32 v6, s6, v4
	v_add3_u32 v3, v3, v7, v5
	v_ashrrev_i32_e32 v5, 31, v4
	v_add_nc_u32_e32 v8, s6, v6
	v_lshlrev_b64 v[2:3], 4, v[2:3]
	v_ashrrev_i32_e32 v7, 31, v6
	v_lshlrev_b64 v[4:5], 4, v[4:5]
	v_add_nc_u32_e32 v10, s6, v8
	v_ashrrev_i32_e32 v9, 31, v8
	v_add_co_u32 v13, vcc_lo, s0, v2
	v_add_co_ci_u32_e64 v14, null, s1, v3, vcc_lo
	v_add_nc_u32_e32 v18, s6, v10
	v_add_co_u32 v34, vcc_lo, v13, s2
	v_add_co_ci_u32_e64 v35, null, s3, v14, vcc_lo
	v_add_nc_u32_e32 v26, s6, v18
	v_lshlrev_b64 v[6:7], 4, v[6:7]
	v_ashrrev_i32_e32 v11, 31, v10
	v_add_co_u32 v104, vcc_lo, v34, v12
	v_ashrrev_i32_e32 v19, 31, v18
	v_lshlrev_b64 v[2:3], 4, v[8:9]
	v_add_co_ci_u32_e64 v105, null, 0, v35, vcc_lo
	v_add_co_u32 v102, vcc_lo, v34, v4
	v_add_nc_u32_e32 v28, s6, v26
	v_lshlrev_b64 v[20:21], 4, v[10:11]
	v_add_co_ci_u32_e64 v103, null, v35, v5, vcc_lo
	v_add_co_u32 v100, vcc_lo, v34, v6
	v_ashrrev_i32_e32 v27, 31, v26
	v_add_co_ci_u32_e64 v101, null, v35, v7, vcc_lo
	v_add_co_u32 v106, vcc_lo, v104, s4
	v_lshlrev_b64 v[30:31], 4, v[18:19]
	v_add_nc_u32_e32 v32, s6, v28
	v_add_co_ci_u32_e64 v107, null, s5, v105, vcc_lo
	v_add_co_u32 v98, vcc_lo, v34, v2
	v_lshlrev_b64 v[26:27], 4, v[26:27]
	v_add_co_ci_u32_e64 v99, null, v35, v3, vcc_lo
	v_add_co_u32 v108, vcc_lo, v34, v20
	v_add_co_ci_u32_e64 v109, null, v35, v21, vcc_lo
	v_ashrrev_i32_e32 v29, 31, v28
	v_add_co_u32 v112, vcc_lo, v34, v30
	v_ashrrev_i32_e32 v33, 31, v32
	v_add_nc_u32_e32 v30, s6, v32
	v_add_co_ci_u32_e64 v113, null, v35, v31, vcc_lo
	v_add_co_u32 v114, vcc_lo, v34, v26
	v_lshlrev_b64 v[28:29], 4, v[28:29]
	v_add_co_ci_u32_e64 v115, null, v35, v27, vcc_lo
	v_lshlrev_b64 v[26:27], 4, v[32:33]
	v_add_nc_u32_e32 v32, s6, v30
	v_ashrrev_i32_e32 v31, 31, v30
	v_add_co_u32 v120, vcc_lo, v34, v28
	v_add_co_ci_u32_e64 v121, null, v35, v29, vcc_lo
	v_ashrrev_i32_e32 v33, 31, v32
	v_lshlrev_b64 v[28:29], 4, v[30:31]
	v_add_co_u32 v116, vcc_lo, v34, v26
	v_add_co_ci_u32_e64 v117, null, v35, v27, vcc_lo
	v_lshlrev_b64 v[26:27], 4, v[32:33]
	v_add_co_u32 v118, vcc_lo, v34, v28
	v_add_co_ci_u32_e64 v119, null, v35, v29, vcc_lo
	s_clause 0x3
	global_load_dwordx4 v[6:9], v[102:103], off
	global_load_dwordx4 v[2:5], v[100:101], off
	;; [unrolled: 1-line block ×4, first 2 shown]
	v_add_co_u32 v122, vcc_lo, v34, v26
	s_clause 0x1
	global_load_dwordx4 v[22:25], v[98:99], off
	global_load_dwordx4 v[18:21], v[108:109], off
	v_add_co_ci_u32_e64 v123, null, v35, v27, vcc_lo
	s_clause 0x5
	global_load_dwordx4 v[46:49], v[112:113], off
	global_load_dwordx4 v[42:45], v[114:115], off
	;; [unrolled: 1-line block ×6, first 2 shown]
	v_cmp_ne_u32_e64 s1, 0, v0
	v_cmp_eq_u32_e64 s0, 0, v0
	s_and_saveexec_b32 s3, s0
	s_cbranch_execz .LBB23_8
; %bb.2:
	s_waitcnt vmcnt(9)
	ds_write2_b64 v1, v[14:15], v[16:17] offset1:1
	s_waitcnt vmcnt(8)
	ds_write2_b64 v124, v[10:11], v[12:13] offset0:2 offset1:3
	ds_write2_b64 v124, v[6:7], v[8:9] offset0:4 offset1:5
	;; [unrolled: 1-line block ×3, first 2 shown]
	s_waitcnt vmcnt(7)
	ds_write2_b64 v124, v[22:23], v[24:25] offset0:8 offset1:9
	s_waitcnt vmcnt(6)
	ds_write2_b64 v124, v[18:19], v[20:21] offset0:10 offset1:11
	;; [unrolled: 2-line block ×8, first 2 shown]
	ds_read2_b64 v[50:53], v1 offset1:1
	s_waitcnt lgkmcnt(0)
	v_cmp_neq_f64_e32 vcc_lo, 0, v[50:51]
	v_cmp_neq_f64_e64 s2, 0, v[52:53]
	s_or_b32 s2, vcc_lo, s2
	s_and_b32 exec_lo, exec_lo, s2
	s_cbranch_execz .LBB23_8
; %bb.3:
	v_cmp_ngt_f64_e64 s2, |v[50:51]|, |v[52:53]|
                                        ; implicit-def: $vgpr54_vgpr55
	s_and_saveexec_b32 s4, s2
	s_xor_b32 s2, exec_lo, s4
                                        ; implicit-def: $vgpr56_vgpr57
	s_cbranch_execz .LBB23_5
; %bb.4:
	v_div_scale_f64 v[54:55], null, v[52:53], v[52:53], v[50:51]
	v_div_scale_f64 v[60:61], vcc_lo, v[50:51], v[52:53], v[50:51]
	v_rcp_f64_e32 v[56:57], v[54:55]
	v_fma_f64 v[58:59], -v[54:55], v[56:57], 1.0
	v_fma_f64 v[56:57], v[56:57], v[58:59], v[56:57]
	v_fma_f64 v[58:59], -v[54:55], v[56:57], 1.0
	v_fma_f64 v[56:57], v[56:57], v[58:59], v[56:57]
	v_mul_f64 v[58:59], v[60:61], v[56:57]
	v_fma_f64 v[54:55], -v[54:55], v[58:59], v[60:61]
	v_div_fmas_f64 v[54:55], v[54:55], v[56:57], v[58:59]
	v_div_fixup_f64 v[54:55], v[54:55], v[52:53], v[50:51]
	v_fma_f64 v[50:51], v[50:51], v[54:55], v[52:53]
	v_div_scale_f64 v[52:53], null, v[50:51], v[50:51], 1.0
	v_rcp_f64_e32 v[56:57], v[52:53]
	v_fma_f64 v[58:59], -v[52:53], v[56:57], 1.0
	v_fma_f64 v[56:57], v[56:57], v[58:59], v[56:57]
	v_fma_f64 v[58:59], -v[52:53], v[56:57], 1.0
	v_fma_f64 v[56:57], v[56:57], v[58:59], v[56:57]
	v_div_scale_f64 v[58:59], vcc_lo, 1.0, v[50:51], 1.0
	v_mul_f64 v[60:61], v[58:59], v[56:57]
	v_fma_f64 v[52:53], -v[52:53], v[60:61], v[58:59]
	v_div_fmas_f64 v[52:53], v[52:53], v[56:57], v[60:61]
	v_div_fixup_f64 v[56:57], v[52:53], v[50:51], 1.0
                                        ; implicit-def: $vgpr50_vgpr51
	v_mul_f64 v[54:55], v[54:55], v[56:57]
	v_xor_b32_e32 v57, 0x80000000, v57
.LBB23_5:
	s_andn2_saveexec_b32 s2, s2
	s_cbranch_execz .LBB23_7
; %bb.6:
	v_div_scale_f64 v[54:55], null, v[50:51], v[50:51], v[52:53]
	v_div_scale_f64 v[60:61], vcc_lo, v[52:53], v[50:51], v[52:53]
	v_rcp_f64_e32 v[56:57], v[54:55]
	v_fma_f64 v[58:59], -v[54:55], v[56:57], 1.0
	v_fma_f64 v[56:57], v[56:57], v[58:59], v[56:57]
	v_fma_f64 v[58:59], -v[54:55], v[56:57], 1.0
	v_fma_f64 v[56:57], v[56:57], v[58:59], v[56:57]
	v_mul_f64 v[58:59], v[60:61], v[56:57]
	v_fma_f64 v[54:55], -v[54:55], v[58:59], v[60:61]
	v_div_fmas_f64 v[54:55], v[54:55], v[56:57], v[58:59]
	v_div_fixup_f64 v[56:57], v[54:55], v[50:51], v[52:53]
	v_fma_f64 v[50:51], v[52:53], v[56:57], v[50:51]
	v_div_scale_f64 v[52:53], null, v[50:51], v[50:51], 1.0
	v_rcp_f64_e32 v[54:55], v[52:53]
	v_fma_f64 v[58:59], -v[52:53], v[54:55], 1.0
	v_fma_f64 v[54:55], v[54:55], v[58:59], v[54:55]
	v_fma_f64 v[58:59], -v[52:53], v[54:55], 1.0
	v_fma_f64 v[54:55], v[54:55], v[58:59], v[54:55]
	v_div_scale_f64 v[58:59], vcc_lo, 1.0, v[50:51], 1.0
	v_mul_f64 v[60:61], v[58:59], v[54:55]
	v_fma_f64 v[52:53], -v[52:53], v[60:61], v[58:59]
	v_div_fmas_f64 v[52:53], v[52:53], v[54:55], v[60:61]
	v_div_fixup_f64 v[54:55], v[52:53], v[50:51], 1.0
	v_mul_f64 v[56:57], v[56:57], -v[54:55]
.LBB23_7:
	s_or_b32 exec_lo, exec_lo, s2
	ds_write2_b64 v1, v[54:55], v[56:57] offset1:1
.LBB23_8:
	s_or_b32 exec_lo, exec_lo, s3
	s_waitcnt vmcnt(0) lgkmcnt(0)
	s_barrier
	buffer_gl0_inv
	ds_read2_b64 v[50:53], v1 offset1:1
	s_and_saveexec_b32 s2, s1
	s_cbranch_execz .LBB23_10
; %bb.9:
	s_waitcnt lgkmcnt(0)
	v_mul_f64 v[54:55], v[50:51], v[16:17]
	v_mul_f64 v[16:17], v[52:53], v[16:17]
	v_fma_f64 v[58:59], v[52:53], v[14:15], v[54:55]
	ds_read2_b64 v[54:57], v124 offset0:2 offset1:3
	v_fma_f64 v[14:15], v[50:51], v[14:15], -v[16:17]
	s_waitcnt lgkmcnt(0)
	v_mul_f64 v[16:17], v[56:57], v[58:59]
	v_fma_f64 v[16:17], v[54:55], v[14:15], -v[16:17]
	v_mul_f64 v[54:55], v[54:55], v[58:59]
	v_add_f64 v[10:11], v[10:11], -v[16:17]
	v_fma_f64 v[54:55], v[56:57], v[14:15], v[54:55]
	v_add_f64 v[12:13], v[12:13], -v[54:55]
	ds_read2_b64 v[54:57], v124 offset0:4 offset1:5
	s_waitcnt lgkmcnt(0)
	v_mul_f64 v[16:17], v[56:57], v[58:59]
	v_fma_f64 v[16:17], v[54:55], v[14:15], -v[16:17]
	v_mul_f64 v[54:55], v[54:55], v[58:59]
	v_add_f64 v[6:7], v[6:7], -v[16:17]
	v_fma_f64 v[54:55], v[56:57], v[14:15], v[54:55]
	v_add_f64 v[8:9], v[8:9], -v[54:55]
	ds_read2_b64 v[54:57], v124 offset0:6 offset1:7
	;; [unrolled: 8-line block ×10, first 2 shown]
	s_waitcnt lgkmcnt(0)
	v_mul_f64 v[16:17], v[56:57], v[58:59]
	v_fma_f64 v[16:17], v[54:55], v[14:15], -v[16:17]
	v_mul_f64 v[54:55], v[54:55], v[58:59]
	v_add_f64 v[26:27], v[26:27], -v[16:17]
	v_fma_f64 v[54:55], v[56:57], v[14:15], v[54:55]
	v_mov_b32_e32 v16, v58
	v_mov_b32_e32 v17, v59
	v_add_f64 v[28:29], v[28:29], -v[54:55]
.LBB23_10:
	s_or_b32 exec_lo, exec_lo, s2
	s_mov_b32 s2, exec_lo
	s_waitcnt lgkmcnt(0)
	s_barrier
	buffer_gl0_inv
	v_cmpx_eq_u32_e32 1, v0
	s_cbranch_execz .LBB23_17
; %bb.11:
	ds_write2_b64 v1, v[10:11], v[12:13] offset1:1
	ds_write2_b64 v124, v[6:7], v[8:9] offset0:4 offset1:5
	ds_write2_b64 v124, v[2:3], v[4:5] offset0:6 offset1:7
	;; [unrolled: 1-line block ×10, first 2 shown]
	ds_read2_b64 v[54:57], v1 offset1:1
	s_waitcnt lgkmcnt(0)
	v_cmp_neq_f64_e32 vcc_lo, 0, v[54:55]
	v_cmp_neq_f64_e64 s1, 0, v[56:57]
	s_or_b32 s1, vcc_lo, s1
	s_and_b32 exec_lo, exec_lo, s1
	s_cbranch_execz .LBB23_17
; %bb.12:
	v_cmp_ngt_f64_e64 s1, |v[54:55]|, |v[56:57]|
                                        ; implicit-def: $vgpr58_vgpr59
	s_and_saveexec_b32 s3, s1
	s_xor_b32 s1, exec_lo, s3
                                        ; implicit-def: $vgpr60_vgpr61
	s_cbranch_execz .LBB23_14
; %bb.13:
	v_div_scale_f64 v[58:59], null, v[56:57], v[56:57], v[54:55]
	v_div_scale_f64 v[64:65], vcc_lo, v[54:55], v[56:57], v[54:55]
	v_rcp_f64_e32 v[60:61], v[58:59]
	v_fma_f64 v[62:63], -v[58:59], v[60:61], 1.0
	v_fma_f64 v[60:61], v[60:61], v[62:63], v[60:61]
	v_fma_f64 v[62:63], -v[58:59], v[60:61], 1.0
	v_fma_f64 v[60:61], v[60:61], v[62:63], v[60:61]
	v_mul_f64 v[62:63], v[64:65], v[60:61]
	v_fma_f64 v[58:59], -v[58:59], v[62:63], v[64:65]
	v_div_fmas_f64 v[58:59], v[58:59], v[60:61], v[62:63]
	v_div_fixup_f64 v[58:59], v[58:59], v[56:57], v[54:55]
	v_fma_f64 v[54:55], v[54:55], v[58:59], v[56:57]
	v_div_scale_f64 v[56:57], null, v[54:55], v[54:55], 1.0
	v_rcp_f64_e32 v[60:61], v[56:57]
	v_fma_f64 v[62:63], -v[56:57], v[60:61], 1.0
	v_fma_f64 v[60:61], v[60:61], v[62:63], v[60:61]
	v_fma_f64 v[62:63], -v[56:57], v[60:61], 1.0
	v_fma_f64 v[60:61], v[60:61], v[62:63], v[60:61]
	v_div_scale_f64 v[62:63], vcc_lo, 1.0, v[54:55], 1.0
	v_mul_f64 v[64:65], v[62:63], v[60:61]
	v_fma_f64 v[56:57], -v[56:57], v[64:65], v[62:63]
	v_div_fmas_f64 v[56:57], v[56:57], v[60:61], v[64:65]
	v_div_fixup_f64 v[60:61], v[56:57], v[54:55], 1.0
                                        ; implicit-def: $vgpr54_vgpr55
	v_mul_f64 v[58:59], v[58:59], v[60:61]
	v_xor_b32_e32 v61, 0x80000000, v61
.LBB23_14:
	s_andn2_saveexec_b32 s1, s1
	s_cbranch_execz .LBB23_16
; %bb.15:
	v_div_scale_f64 v[58:59], null, v[54:55], v[54:55], v[56:57]
	v_div_scale_f64 v[64:65], vcc_lo, v[56:57], v[54:55], v[56:57]
	v_rcp_f64_e32 v[60:61], v[58:59]
	v_fma_f64 v[62:63], -v[58:59], v[60:61], 1.0
	v_fma_f64 v[60:61], v[60:61], v[62:63], v[60:61]
	v_fma_f64 v[62:63], -v[58:59], v[60:61], 1.0
	v_fma_f64 v[60:61], v[60:61], v[62:63], v[60:61]
	v_mul_f64 v[62:63], v[64:65], v[60:61]
	v_fma_f64 v[58:59], -v[58:59], v[62:63], v[64:65]
	v_div_fmas_f64 v[58:59], v[58:59], v[60:61], v[62:63]
	v_div_fixup_f64 v[60:61], v[58:59], v[54:55], v[56:57]
	v_fma_f64 v[54:55], v[56:57], v[60:61], v[54:55]
	v_div_scale_f64 v[56:57], null, v[54:55], v[54:55], 1.0
	v_rcp_f64_e32 v[58:59], v[56:57]
	v_fma_f64 v[62:63], -v[56:57], v[58:59], 1.0
	v_fma_f64 v[58:59], v[58:59], v[62:63], v[58:59]
	v_fma_f64 v[62:63], -v[56:57], v[58:59], 1.0
	v_fma_f64 v[58:59], v[58:59], v[62:63], v[58:59]
	v_div_scale_f64 v[62:63], vcc_lo, 1.0, v[54:55], 1.0
	v_mul_f64 v[64:65], v[62:63], v[58:59]
	v_fma_f64 v[56:57], -v[56:57], v[64:65], v[62:63]
	v_div_fmas_f64 v[56:57], v[56:57], v[58:59], v[64:65]
	v_div_fixup_f64 v[58:59], v[56:57], v[54:55], 1.0
	v_mul_f64 v[60:61], v[60:61], -v[58:59]
.LBB23_16:
	s_or_b32 exec_lo, exec_lo, s1
	ds_write2_b64 v1, v[58:59], v[60:61] offset1:1
.LBB23_17:
	s_or_b32 exec_lo, exec_lo, s2
	s_waitcnt lgkmcnt(0)
	s_barrier
	buffer_gl0_inv
	ds_read2_b64 v[54:57], v1 offset1:1
	s_mov_b32 s1, exec_lo
	v_cmpx_lt_u32_e32 1, v0
	s_cbranch_execz .LBB23_19
; %bb.18:
	s_waitcnt lgkmcnt(0)
	v_mul_f64 v[58:59], v[54:55], v[12:13]
	v_mul_f64 v[12:13], v[56:57], v[12:13]
	v_fma_f64 v[62:63], v[56:57], v[10:11], v[58:59]
	ds_read2_b64 v[58:61], v124 offset0:4 offset1:5
	v_fma_f64 v[10:11], v[54:55], v[10:11], -v[12:13]
	s_waitcnt lgkmcnt(0)
	v_mul_f64 v[12:13], v[60:61], v[62:63]
	v_fma_f64 v[12:13], v[58:59], v[10:11], -v[12:13]
	v_mul_f64 v[58:59], v[58:59], v[62:63]
	v_add_f64 v[6:7], v[6:7], -v[12:13]
	v_fma_f64 v[58:59], v[60:61], v[10:11], v[58:59]
	v_add_f64 v[8:9], v[8:9], -v[58:59]
	ds_read2_b64 v[58:61], v124 offset0:6 offset1:7
	s_waitcnt lgkmcnt(0)
	v_mul_f64 v[12:13], v[60:61], v[62:63]
	v_fma_f64 v[12:13], v[58:59], v[10:11], -v[12:13]
	v_mul_f64 v[58:59], v[58:59], v[62:63]
	v_add_f64 v[2:3], v[2:3], -v[12:13]
	v_fma_f64 v[58:59], v[60:61], v[10:11], v[58:59]
	v_add_f64 v[4:5], v[4:5], -v[58:59]
	ds_read2_b64 v[58:61], v124 offset0:8 offset1:9
	;; [unrolled: 8-line block ×9, first 2 shown]
	s_waitcnt lgkmcnt(0)
	v_mul_f64 v[12:13], v[60:61], v[62:63]
	v_fma_f64 v[12:13], v[58:59], v[10:11], -v[12:13]
	v_mul_f64 v[58:59], v[58:59], v[62:63]
	v_add_f64 v[26:27], v[26:27], -v[12:13]
	v_fma_f64 v[58:59], v[60:61], v[10:11], v[58:59]
	v_mov_b32_e32 v12, v62
	v_mov_b32_e32 v13, v63
	v_add_f64 v[28:29], v[28:29], -v[58:59]
.LBB23_19:
	s_or_b32 exec_lo, exec_lo, s1
	s_mov_b32 s2, exec_lo
	s_waitcnt lgkmcnt(0)
	s_barrier
	buffer_gl0_inv
	v_cmpx_eq_u32_e32 2, v0
	s_cbranch_execz .LBB23_26
; %bb.20:
	ds_write2_b64 v1, v[6:7], v[8:9] offset1:1
	ds_write2_b64 v124, v[2:3], v[4:5] offset0:6 offset1:7
	ds_write2_b64 v124, v[22:23], v[24:25] offset0:8 offset1:9
	;; [unrolled: 1-line block ×9, first 2 shown]
	ds_read2_b64 v[58:61], v1 offset1:1
	s_waitcnt lgkmcnt(0)
	v_cmp_neq_f64_e32 vcc_lo, 0, v[58:59]
	v_cmp_neq_f64_e64 s1, 0, v[60:61]
	s_or_b32 s1, vcc_lo, s1
	s_and_b32 exec_lo, exec_lo, s1
	s_cbranch_execz .LBB23_26
; %bb.21:
	v_cmp_ngt_f64_e64 s1, |v[58:59]|, |v[60:61]|
                                        ; implicit-def: $vgpr62_vgpr63
	s_and_saveexec_b32 s3, s1
	s_xor_b32 s1, exec_lo, s3
                                        ; implicit-def: $vgpr64_vgpr65
	s_cbranch_execz .LBB23_23
; %bb.22:
	v_div_scale_f64 v[62:63], null, v[60:61], v[60:61], v[58:59]
	v_div_scale_f64 v[68:69], vcc_lo, v[58:59], v[60:61], v[58:59]
	v_rcp_f64_e32 v[64:65], v[62:63]
	v_fma_f64 v[66:67], -v[62:63], v[64:65], 1.0
	v_fma_f64 v[64:65], v[64:65], v[66:67], v[64:65]
	v_fma_f64 v[66:67], -v[62:63], v[64:65], 1.0
	v_fma_f64 v[64:65], v[64:65], v[66:67], v[64:65]
	v_mul_f64 v[66:67], v[68:69], v[64:65]
	v_fma_f64 v[62:63], -v[62:63], v[66:67], v[68:69]
	v_div_fmas_f64 v[62:63], v[62:63], v[64:65], v[66:67]
	v_div_fixup_f64 v[62:63], v[62:63], v[60:61], v[58:59]
	v_fma_f64 v[58:59], v[58:59], v[62:63], v[60:61]
	v_div_scale_f64 v[60:61], null, v[58:59], v[58:59], 1.0
	v_rcp_f64_e32 v[64:65], v[60:61]
	v_fma_f64 v[66:67], -v[60:61], v[64:65], 1.0
	v_fma_f64 v[64:65], v[64:65], v[66:67], v[64:65]
	v_fma_f64 v[66:67], -v[60:61], v[64:65], 1.0
	v_fma_f64 v[64:65], v[64:65], v[66:67], v[64:65]
	v_div_scale_f64 v[66:67], vcc_lo, 1.0, v[58:59], 1.0
	v_mul_f64 v[68:69], v[66:67], v[64:65]
	v_fma_f64 v[60:61], -v[60:61], v[68:69], v[66:67]
	v_div_fmas_f64 v[60:61], v[60:61], v[64:65], v[68:69]
	v_div_fixup_f64 v[64:65], v[60:61], v[58:59], 1.0
                                        ; implicit-def: $vgpr58_vgpr59
	v_mul_f64 v[62:63], v[62:63], v[64:65]
	v_xor_b32_e32 v65, 0x80000000, v65
.LBB23_23:
	s_andn2_saveexec_b32 s1, s1
	s_cbranch_execz .LBB23_25
; %bb.24:
	v_div_scale_f64 v[62:63], null, v[58:59], v[58:59], v[60:61]
	v_div_scale_f64 v[68:69], vcc_lo, v[60:61], v[58:59], v[60:61]
	v_rcp_f64_e32 v[64:65], v[62:63]
	v_fma_f64 v[66:67], -v[62:63], v[64:65], 1.0
	v_fma_f64 v[64:65], v[64:65], v[66:67], v[64:65]
	v_fma_f64 v[66:67], -v[62:63], v[64:65], 1.0
	v_fma_f64 v[64:65], v[64:65], v[66:67], v[64:65]
	v_mul_f64 v[66:67], v[68:69], v[64:65]
	v_fma_f64 v[62:63], -v[62:63], v[66:67], v[68:69]
	v_div_fmas_f64 v[62:63], v[62:63], v[64:65], v[66:67]
	v_div_fixup_f64 v[64:65], v[62:63], v[58:59], v[60:61]
	v_fma_f64 v[58:59], v[60:61], v[64:65], v[58:59]
	v_div_scale_f64 v[60:61], null, v[58:59], v[58:59], 1.0
	v_rcp_f64_e32 v[62:63], v[60:61]
	v_fma_f64 v[66:67], -v[60:61], v[62:63], 1.0
	v_fma_f64 v[62:63], v[62:63], v[66:67], v[62:63]
	v_fma_f64 v[66:67], -v[60:61], v[62:63], 1.0
	v_fma_f64 v[62:63], v[62:63], v[66:67], v[62:63]
	v_div_scale_f64 v[66:67], vcc_lo, 1.0, v[58:59], 1.0
	v_mul_f64 v[68:69], v[66:67], v[62:63]
	v_fma_f64 v[60:61], -v[60:61], v[68:69], v[66:67]
	v_div_fmas_f64 v[60:61], v[60:61], v[62:63], v[68:69]
	v_div_fixup_f64 v[62:63], v[60:61], v[58:59], 1.0
	v_mul_f64 v[64:65], v[64:65], -v[62:63]
.LBB23_25:
	s_or_b32 exec_lo, exec_lo, s1
	ds_write2_b64 v1, v[62:63], v[64:65] offset1:1
.LBB23_26:
	s_or_b32 exec_lo, exec_lo, s2
	s_waitcnt lgkmcnt(0)
	s_barrier
	buffer_gl0_inv
	ds_read2_b64 v[58:61], v1 offset1:1
	s_mov_b32 s1, exec_lo
	v_cmpx_lt_u32_e32 2, v0
	s_cbranch_execz .LBB23_28
; %bb.27:
	s_waitcnt lgkmcnt(0)
	v_mul_f64 v[62:63], v[58:59], v[8:9]
	v_mul_f64 v[8:9], v[60:61], v[8:9]
	v_fma_f64 v[66:67], v[60:61], v[6:7], v[62:63]
	ds_read2_b64 v[62:65], v124 offset0:6 offset1:7
	v_fma_f64 v[6:7], v[58:59], v[6:7], -v[8:9]
	s_waitcnt lgkmcnt(0)
	v_mul_f64 v[8:9], v[64:65], v[66:67]
	v_fma_f64 v[8:9], v[62:63], v[6:7], -v[8:9]
	v_mul_f64 v[62:63], v[62:63], v[66:67]
	v_add_f64 v[2:3], v[2:3], -v[8:9]
	v_fma_f64 v[62:63], v[64:65], v[6:7], v[62:63]
	v_add_f64 v[4:5], v[4:5], -v[62:63]
	ds_read2_b64 v[62:65], v124 offset0:8 offset1:9
	s_waitcnt lgkmcnt(0)
	v_mul_f64 v[8:9], v[64:65], v[66:67]
	v_fma_f64 v[8:9], v[62:63], v[6:7], -v[8:9]
	v_mul_f64 v[62:63], v[62:63], v[66:67]
	v_add_f64 v[22:23], v[22:23], -v[8:9]
	v_fma_f64 v[62:63], v[64:65], v[6:7], v[62:63]
	v_add_f64 v[24:25], v[24:25], -v[62:63]
	ds_read2_b64 v[62:65], v124 offset0:10 offset1:11
	;; [unrolled: 8-line block ×8, first 2 shown]
	s_waitcnt lgkmcnt(0)
	v_mul_f64 v[8:9], v[64:65], v[66:67]
	v_fma_f64 v[8:9], v[62:63], v[6:7], -v[8:9]
	v_mul_f64 v[62:63], v[62:63], v[66:67]
	v_add_f64 v[26:27], v[26:27], -v[8:9]
	v_fma_f64 v[62:63], v[64:65], v[6:7], v[62:63]
	v_mov_b32_e32 v8, v66
	v_mov_b32_e32 v9, v67
	v_add_f64 v[28:29], v[28:29], -v[62:63]
.LBB23_28:
	s_or_b32 exec_lo, exec_lo, s1
	s_mov_b32 s2, exec_lo
	s_waitcnt lgkmcnt(0)
	s_barrier
	buffer_gl0_inv
	v_cmpx_eq_u32_e32 3, v0
	s_cbranch_execz .LBB23_35
; %bb.29:
	ds_write2_b64 v1, v[2:3], v[4:5] offset1:1
	ds_write2_b64 v124, v[22:23], v[24:25] offset0:8 offset1:9
	ds_write2_b64 v124, v[18:19], v[20:21] offset0:10 offset1:11
	;; [unrolled: 1-line block ×8, first 2 shown]
	ds_read2_b64 v[62:65], v1 offset1:1
	s_waitcnt lgkmcnt(0)
	v_cmp_neq_f64_e32 vcc_lo, 0, v[62:63]
	v_cmp_neq_f64_e64 s1, 0, v[64:65]
	s_or_b32 s1, vcc_lo, s1
	s_and_b32 exec_lo, exec_lo, s1
	s_cbranch_execz .LBB23_35
; %bb.30:
	v_cmp_ngt_f64_e64 s1, |v[62:63]|, |v[64:65]|
                                        ; implicit-def: $vgpr66_vgpr67
	s_and_saveexec_b32 s3, s1
	s_xor_b32 s1, exec_lo, s3
                                        ; implicit-def: $vgpr68_vgpr69
	s_cbranch_execz .LBB23_32
; %bb.31:
	v_div_scale_f64 v[66:67], null, v[64:65], v[64:65], v[62:63]
	v_div_scale_f64 v[72:73], vcc_lo, v[62:63], v[64:65], v[62:63]
	v_rcp_f64_e32 v[68:69], v[66:67]
	v_fma_f64 v[70:71], -v[66:67], v[68:69], 1.0
	v_fma_f64 v[68:69], v[68:69], v[70:71], v[68:69]
	v_fma_f64 v[70:71], -v[66:67], v[68:69], 1.0
	v_fma_f64 v[68:69], v[68:69], v[70:71], v[68:69]
	v_mul_f64 v[70:71], v[72:73], v[68:69]
	v_fma_f64 v[66:67], -v[66:67], v[70:71], v[72:73]
	v_div_fmas_f64 v[66:67], v[66:67], v[68:69], v[70:71]
	v_div_fixup_f64 v[66:67], v[66:67], v[64:65], v[62:63]
	v_fma_f64 v[62:63], v[62:63], v[66:67], v[64:65]
	v_div_scale_f64 v[64:65], null, v[62:63], v[62:63], 1.0
	v_rcp_f64_e32 v[68:69], v[64:65]
	v_fma_f64 v[70:71], -v[64:65], v[68:69], 1.0
	v_fma_f64 v[68:69], v[68:69], v[70:71], v[68:69]
	v_fma_f64 v[70:71], -v[64:65], v[68:69], 1.0
	v_fma_f64 v[68:69], v[68:69], v[70:71], v[68:69]
	v_div_scale_f64 v[70:71], vcc_lo, 1.0, v[62:63], 1.0
	v_mul_f64 v[72:73], v[70:71], v[68:69]
	v_fma_f64 v[64:65], -v[64:65], v[72:73], v[70:71]
	v_div_fmas_f64 v[64:65], v[64:65], v[68:69], v[72:73]
	v_div_fixup_f64 v[68:69], v[64:65], v[62:63], 1.0
                                        ; implicit-def: $vgpr62_vgpr63
	v_mul_f64 v[66:67], v[66:67], v[68:69]
	v_xor_b32_e32 v69, 0x80000000, v69
.LBB23_32:
	s_andn2_saveexec_b32 s1, s1
	s_cbranch_execz .LBB23_34
; %bb.33:
	v_div_scale_f64 v[66:67], null, v[62:63], v[62:63], v[64:65]
	v_div_scale_f64 v[72:73], vcc_lo, v[64:65], v[62:63], v[64:65]
	v_rcp_f64_e32 v[68:69], v[66:67]
	v_fma_f64 v[70:71], -v[66:67], v[68:69], 1.0
	v_fma_f64 v[68:69], v[68:69], v[70:71], v[68:69]
	v_fma_f64 v[70:71], -v[66:67], v[68:69], 1.0
	v_fma_f64 v[68:69], v[68:69], v[70:71], v[68:69]
	v_mul_f64 v[70:71], v[72:73], v[68:69]
	v_fma_f64 v[66:67], -v[66:67], v[70:71], v[72:73]
	v_div_fmas_f64 v[66:67], v[66:67], v[68:69], v[70:71]
	v_div_fixup_f64 v[68:69], v[66:67], v[62:63], v[64:65]
	v_fma_f64 v[62:63], v[64:65], v[68:69], v[62:63]
	v_div_scale_f64 v[64:65], null, v[62:63], v[62:63], 1.0
	v_rcp_f64_e32 v[66:67], v[64:65]
	v_fma_f64 v[70:71], -v[64:65], v[66:67], 1.0
	v_fma_f64 v[66:67], v[66:67], v[70:71], v[66:67]
	v_fma_f64 v[70:71], -v[64:65], v[66:67], 1.0
	v_fma_f64 v[66:67], v[66:67], v[70:71], v[66:67]
	v_div_scale_f64 v[70:71], vcc_lo, 1.0, v[62:63], 1.0
	v_mul_f64 v[72:73], v[70:71], v[66:67]
	v_fma_f64 v[64:65], -v[64:65], v[72:73], v[70:71]
	v_div_fmas_f64 v[64:65], v[64:65], v[66:67], v[72:73]
	v_div_fixup_f64 v[66:67], v[64:65], v[62:63], 1.0
	v_mul_f64 v[68:69], v[68:69], -v[66:67]
.LBB23_34:
	s_or_b32 exec_lo, exec_lo, s1
	ds_write2_b64 v1, v[66:67], v[68:69] offset1:1
.LBB23_35:
	s_or_b32 exec_lo, exec_lo, s2
	s_waitcnt lgkmcnt(0)
	s_barrier
	buffer_gl0_inv
	ds_read2_b64 v[62:65], v1 offset1:1
	s_mov_b32 s1, exec_lo
	v_cmpx_lt_u32_e32 3, v0
	s_cbranch_execz .LBB23_37
; %bb.36:
	s_waitcnt lgkmcnt(0)
	v_mul_f64 v[66:67], v[62:63], v[4:5]
	v_mul_f64 v[4:5], v[64:65], v[4:5]
	v_fma_f64 v[70:71], v[64:65], v[2:3], v[66:67]
	ds_read2_b64 v[66:69], v124 offset0:8 offset1:9
	v_fma_f64 v[2:3], v[62:63], v[2:3], -v[4:5]
	s_waitcnt lgkmcnt(0)
	v_mul_f64 v[4:5], v[68:69], v[70:71]
	v_fma_f64 v[4:5], v[66:67], v[2:3], -v[4:5]
	v_mul_f64 v[66:67], v[66:67], v[70:71]
	v_add_f64 v[22:23], v[22:23], -v[4:5]
	v_fma_f64 v[66:67], v[68:69], v[2:3], v[66:67]
	v_add_f64 v[24:25], v[24:25], -v[66:67]
	ds_read2_b64 v[66:69], v124 offset0:10 offset1:11
	s_waitcnt lgkmcnt(0)
	v_mul_f64 v[4:5], v[68:69], v[70:71]
	v_fma_f64 v[4:5], v[66:67], v[2:3], -v[4:5]
	v_mul_f64 v[66:67], v[66:67], v[70:71]
	v_add_f64 v[18:19], v[18:19], -v[4:5]
	v_fma_f64 v[66:67], v[68:69], v[2:3], v[66:67]
	v_add_f64 v[20:21], v[20:21], -v[66:67]
	ds_read2_b64 v[66:69], v124 offset0:12 offset1:13
	;; [unrolled: 8-line block ×7, first 2 shown]
	s_waitcnt lgkmcnt(0)
	v_mul_f64 v[4:5], v[68:69], v[70:71]
	v_fma_f64 v[4:5], v[66:67], v[2:3], -v[4:5]
	v_mul_f64 v[66:67], v[66:67], v[70:71]
	v_add_f64 v[26:27], v[26:27], -v[4:5]
	v_fma_f64 v[66:67], v[68:69], v[2:3], v[66:67]
	v_mov_b32_e32 v4, v70
	v_mov_b32_e32 v5, v71
	v_add_f64 v[28:29], v[28:29], -v[66:67]
.LBB23_37:
	s_or_b32 exec_lo, exec_lo, s1
	s_mov_b32 s2, exec_lo
	s_waitcnt lgkmcnt(0)
	s_barrier
	buffer_gl0_inv
	v_cmpx_eq_u32_e32 4, v0
	s_cbranch_execz .LBB23_44
; %bb.38:
	ds_write2_b64 v1, v[22:23], v[24:25] offset1:1
	ds_write2_b64 v124, v[18:19], v[20:21] offset0:10 offset1:11
	ds_write2_b64 v124, v[46:47], v[48:49] offset0:12 offset1:13
	;; [unrolled: 1-line block ×7, first 2 shown]
	ds_read2_b64 v[66:69], v1 offset1:1
	s_waitcnt lgkmcnt(0)
	v_cmp_neq_f64_e32 vcc_lo, 0, v[66:67]
	v_cmp_neq_f64_e64 s1, 0, v[68:69]
	s_or_b32 s1, vcc_lo, s1
	s_and_b32 exec_lo, exec_lo, s1
	s_cbranch_execz .LBB23_44
; %bb.39:
	v_cmp_ngt_f64_e64 s1, |v[66:67]|, |v[68:69]|
                                        ; implicit-def: $vgpr70_vgpr71
	s_and_saveexec_b32 s3, s1
	s_xor_b32 s1, exec_lo, s3
                                        ; implicit-def: $vgpr72_vgpr73
	s_cbranch_execz .LBB23_41
; %bb.40:
	v_div_scale_f64 v[70:71], null, v[68:69], v[68:69], v[66:67]
	v_div_scale_f64 v[76:77], vcc_lo, v[66:67], v[68:69], v[66:67]
	v_rcp_f64_e32 v[72:73], v[70:71]
	v_fma_f64 v[74:75], -v[70:71], v[72:73], 1.0
	v_fma_f64 v[72:73], v[72:73], v[74:75], v[72:73]
	v_fma_f64 v[74:75], -v[70:71], v[72:73], 1.0
	v_fma_f64 v[72:73], v[72:73], v[74:75], v[72:73]
	v_mul_f64 v[74:75], v[76:77], v[72:73]
	v_fma_f64 v[70:71], -v[70:71], v[74:75], v[76:77]
	v_div_fmas_f64 v[70:71], v[70:71], v[72:73], v[74:75]
	v_div_fixup_f64 v[70:71], v[70:71], v[68:69], v[66:67]
	v_fma_f64 v[66:67], v[66:67], v[70:71], v[68:69]
	v_div_scale_f64 v[68:69], null, v[66:67], v[66:67], 1.0
	v_rcp_f64_e32 v[72:73], v[68:69]
	v_fma_f64 v[74:75], -v[68:69], v[72:73], 1.0
	v_fma_f64 v[72:73], v[72:73], v[74:75], v[72:73]
	v_fma_f64 v[74:75], -v[68:69], v[72:73], 1.0
	v_fma_f64 v[72:73], v[72:73], v[74:75], v[72:73]
	v_div_scale_f64 v[74:75], vcc_lo, 1.0, v[66:67], 1.0
	v_mul_f64 v[76:77], v[74:75], v[72:73]
	v_fma_f64 v[68:69], -v[68:69], v[76:77], v[74:75]
	v_div_fmas_f64 v[68:69], v[68:69], v[72:73], v[76:77]
	v_div_fixup_f64 v[72:73], v[68:69], v[66:67], 1.0
                                        ; implicit-def: $vgpr66_vgpr67
	v_mul_f64 v[70:71], v[70:71], v[72:73]
	v_xor_b32_e32 v73, 0x80000000, v73
.LBB23_41:
	s_andn2_saveexec_b32 s1, s1
	s_cbranch_execz .LBB23_43
; %bb.42:
	v_div_scale_f64 v[70:71], null, v[66:67], v[66:67], v[68:69]
	v_div_scale_f64 v[76:77], vcc_lo, v[68:69], v[66:67], v[68:69]
	v_rcp_f64_e32 v[72:73], v[70:71]
	v_fma_f64 v[74:75], -v[70:71], v[72:73], 1.0
	v_fma_f64 v[72:73], v[72:73], v[74:75], v[72:73]
	v_fma_f64 v[74:75], -v[70:71], v[72:73], 1.0
	v_fma_f64 v[72:73], v[72:73], v[74:75], v[72:73]
	v_mul_f64 v[74:75], v[76:77], v[72:73]
	v_fma_f64 v[70:71], -v[70:71], v[74:75], v[76:77]
	v_div_fmas_f64 v[70:71], v[70:71], v[72:73], v[74:75]
	v_div_fixup_f64 v[72:73], v[70:71], v[66:67], v[68:69]
	v_fma_f64 v[66:67], v[68:69], v[72:73], v[66:67]
	v_div_scale_f64 v[68:69], null, v[66:67], v[66:67], 1.0
	v_rcp_f64_e32 v[70:71], v[68:69]
	v_fma_f64 v[74:75], -v[68:69], v[70:71], 1.0
	v_fma_f64 v[70:71], v[70:71], v[74:75], v[70:71]
	v_fma_f64 v[74:75], -v[68:69], v[70:71], 1.0
	v_fma_f64 v[70:71], v[70:71], v[74:75], v[70:71]
	v_div_scale_f64 v[74:75], vcc_lo, 1.0, v[66:67], 1.0
	v_mul_f64 v[76:77], v[74:75], v[70:71]
	v_fma_f64 v[68:69], -v[68:69], v[76:77], v[74:75]
	v_div_fmas_f64 v[68:69], v[68:69], v[70:71], v[76:77]
	v_div_fixup_f64 v[70:71], v[68:69], v[66:67], 1.0
	v_mul_f64 v[72:73], v[72:73], -v[70:71]
.LBB23_43:
	s_or_b32 exec_lo, exec_lo, s1
	ds_write2_b64 v1, v[70:71], v[72:73] offset1:1
.LBB23_44:
	s_or_b32 exec_lo, exec_lo, s2
	s_waitcnt lgkmcnt(0)
	s_barrier
	buffer_gl0_inv
	ds_read2_b64 v[66:69], v1 offset1:1
	s_mov_b32 s1, exec_lo
	v_cmpx_lt_u32_e32 4, v0
	s_cbranch_execz .LBB23_46
; %bb.45:
	s_waitcnt lgkmcnt(0)
	v_mul_f64 v[70:71], v[66:67], v[24:25]
	v_mul_f64 v[24:25], v[68:69], v[24:25]
	v_fma_f64 v[74:75], v[68:69], v[22:23], v[70:71]
	ds_read2_b64 v[70:73], v124 offset0:10 offset1:11
	v_fma_f64 v[22:23], v[66:67], v[22:23], -v[24:25]
	s_waitcnt lgkmcnt(0)
	v_mul_f64 v[24:25], v[72:73], v[74:75]
	v_fma_f64 v[24:25], v[70:71], v[22:23], -v[24:25]
	v_mul_f64 v[70:71], v[70:71], v[74:75]
	v_add_f64 v[18:19], v[18:19], -v[24:25]
	v_fma_f64 v[70:71], v[72:73], v[22:23], v[70:71]
	v_add_f64 v[20:21], v[20:21], -v[70:71]
	ds_read2_b64 v[70:73], v124 offset0:12 offset1:13
	s_waitcnt lgkmcnt(0)
	v_mul_f64 v[24:25], v[72:73], v[74:75]
	v_fma_f64 v[24:25], v[70:71], v[22:23], -v[24:25]
	v_mul_f64 v[70:71], v[70:71], v[74:75]
	v_add_f64 v[46:47], v[46:47], -v[24:25]
	v_fma_f64 v[70:71], v[72:73], v[22:23], v[70:71]
	v_add_f64 v[48:49], v[48:49], -v[70:71]
	ds_read2_b64 v[70:73], v124 offset0:14 offset1:15
	;; [unrolled: 8-line block ×6, first 2 shown]
	s_waitcnt lgkmcnt(0)
	v_mul_f64 v[24:25], v[72:73], v[74:75]
	v_fma_f64 v[24:25], v[70:71], v[22:23], -v[24:25]
	v_mul_f64 v[70:71], v[70:71], v[74:75]
	v_add_f64 v[26:27], v[26:27], -v[24:25]
	v_fma_f64 v[70:71], v[72:73], v[22:23], v[70:71]
	v_mov_b32_e32 v24, v74
	v_mov_b32_e32 v25, v75
	v_add_f64 v[28:29], v[28:29], -v[70:71]
.LBB23_46:
	s_or_b32 exec_lo, exec_lo, s1
	s_mov_b32 s2, exec_lo
	s_waitcnt lgkmcnt(0)
	s_barrier
	buffer_gl0_inv
	v_cmpx_eq_u32_e32 5, v0
	s_cbranch_execz .LBB23_53
; %bb.47:
	ds_write2_b64 v1, v[18:19], v[20:21] offset1:1
	ds_write2_b64 v124, v[46:47], v[48:49] offset0:12 offset1:13
	ds_write2_b64 v124, v[42:43], v[44:45] offset0:14 offset1:15
	;; [unrolled: 1-line block ×6, first 2 shown]
	ds_read2_b64 v[70:73], v1 offset1:1
	s_waitcnt lgkmcnt(0)
	v_cmp_neq_f64_e32 vcc_lo, 0, v[70:71]
	v_cmp_neq_f64_e64 s1, 0, v[72:73]
	s_or_b32 s1, vcc_lo, s1
	s_and_b32 exec_lo, exec_lo, s1
	s_cbranch_execz .LBB23_53
; %bb.48:
	v_cmp_ngt_f64_e64 s1, |v[70:71]|, |v[72:73]|
                                        ; implicit-def: $vgpr74_vgpr75
	s_and_saveexec_b32 s3, s1
	s_xor_b32 s1, exec_lo, s3
                                        ; implicit-def: $vgpr76_vgpr77
	s_cbranch_execz .LBB23_50
; %bb.49:
	v_div_scale_f64 v[74:75], null, v[72:73], v[72:73], v[70:71]
	v_div_scale_f64 v[80:81], vcc_lo, v[70:71], v[72:73], v[70:71]
	v_rcp_f64_e32 v[76:77], v[74:75]
	v_fma_f64 v[78:79], -v[74:75], v[76:77], 1.0
	v_fma_f64 v[76:77], v[76:77], v[78:79], v[76:77]
	v_fma_f64 v[78:79], -v[74:75], v[76:77], 1.0
	v_fma_f64 v[76:77], v[76:77], v[78:79], v[76:77]
	v_mul_f64 v[78:79], v[80:81], v[76:77]
	v_fma_f64 v[74:75], -v[74:75], v[78:79], v[80:81]
	v_div_fmas_f64 v[74:75], v[74:75], v[76:77], v[78:79]
	v_div_fixup_f64 v[74:75], v[74:75], v[72:73], v[70:71]
	v_fma_f64 v[70:71], v[70:71], v[74:75], v[72:73]
	v_div_scale_f64 v[72:73], null, v[70:71], v[70:71], 1.0
	v_rcp_f64_e32 v[76:77], v[72:73]
	v_fma_f64 v[78:79], -v[72:73], v[76:77], 1.0
	v_fma_f64 v[76:77], v[76:77], v[78:79], v[76:77]
	v_fma_f64 v[78:79], -v[72:73], v[76:77], 1.0
	v_fma_f64 v[76:77], v[76:77], v[78:79], v[76:77]
	v_div_scale_f64 v[78:79], vcc_lo, 1.0, v[70:71], 1.0
	v_mul_f64 v[80:81], v[78:79], v[76:77]
	v_fma_f64 v[72:73], -v[72:73], v[80:81], v[78:79]
	v_div_fmas_f64 v[72:73], v[72:73], v[76:77], v[80:81]
	v_div_fixup_f64 v[76:77], v[72:73], v[70:71], 1.0
                                        ; implicit-def: $vgpr70_vgpr71
	v_mul_f64 v[74:75], v[74:75], v[76:77]
	v_xor_b32_e32 v77, 0x80000000, v77
.LBB23_50:
	s_andn2_saveexec_b32 s1, s1
	s_cbranch_execz .LBB23_52
; %bb.51:
	v_div_scale_f64 v[74:75], null, v[70:71], v[70:71], v[72:73]
	v_div_scale_f64 v[80:81], vcc_lo, v[72:73], v[70:71], v[72:73]
	v_rcp_f64_e32 v[76:77], v[74:75]
	v_fma_f64 v[78:79], -v[74:75], v[76:77], 1.0
	v_fma_f64 v[76:77], v[76:77], v[78:79], v[76:77]
	v_fma_f64 v[78:79], -v[74:75], v[76:77], 1.0
	v_fma_f64 v[76:77], v[76:77], v[78:79], v[76:77]
	v_mul_f64 v[78:79], v[80:81], v[76:77]
	v_fma_f64 v[74:75], -v[74:75], v[78:79], v[80:81]
	v_div_fmas_f64 v[74:75], v[74:75], v[76:77], v[78:79]
	v_div_fixup_f64 v[76:77], v[74:75], v[70:71], v[72:73]
	v_fma_f64 v[70:71], v[72:73], v[76:77], v[70:71]
	v_div_scale_f64 v[72:73], null, v[70:71], v[70:71], 1.0
	v_rcp_f64_e32 v[74:75], v[72:73]
	v_fma_f64 v[78:79], -v[72:73], v[74:75], 1.0
	v_fma_f64 v[74:75], v[74:75], v[78:79], v[74:75]
	v_fma_f64 v[78:79], -v[72:73], v[74:75], 1.0
	v_fma_f64 v[74:75], v[74:75], v[78:79], v[74:75]
	v_div_scale_f64 v[78:79], vcc_lo, 1.0, v[70:71], 1.0
	v_mul_f64 v[80:81], v[78:79], v[74:75]
	v_fma_f64 v[72:73], -v[72:73], v[80:81], v[78:79]
	v_div_fmas_f64 v[72:73], v[72:73], v[74:75], v[80:81]
	v_div_fixup_f64 v[74:75], v[72:73], v[70:71], 1.0
	v_mul_f64 v[76:77], v[76:77], -v[74:75]
.LBB23_52:
	s_or_b32 exec_lo, exec_lo, s1
	ds_write2_b64 v1, v[74:75], v[76:77] offset1:1
.LBB23_53:
	s_or_b32 exec_lo, exec_lo, s2
	s_waitcnt lgkmcnt(0)
	s_barrier
	buffer_gl0_inv
	ds_read2_b64 v[70:73], v1 offset1:1
	s_mov_b32 s1, exec_lo
	v_cmpx_lt_u32_e32 5, v0
	s_cbranch_execz .LBB23_55
; %bb.54:
	s_waitcnt lgkmcnt(0)
	v_mul_f64 v[74:75], v[70:71], v[20:21]
	v_mul_f64 v[20:21], v[72:73], v[20:21]
	v_fma_f64 v[78:79], v[72:73], v[18:19], v[74:75]
	ds_read2_b64 v[74:77], v124 offset0:12 offset1:13
	v_fma_f64 v[18:19], v[70:71], v[18:19], -v[20:21]
	s_waitcnt lgkmcnt(0)
	v_mul_f64 v[20:21], v[76:77], v[78:79]
	v_fma_f64 v[20:21], v[74:75], v[18:19], -v[20:21]
	v_mul_f64 v[74:75], v[74:75], v[78:79]
	v_add_f64 v[46:47], v[46:47], -v[20:21]
	v_fma_f64 v[74:75], v[76:77], v[18:19], v[74:75]
	v_add_f64 v[48:49], v[48:49], -v[74:75]
	ds_read2_b64 v[74:77], v124 offset0:14 offset1:15
	s_waitcnt lgkmcnt(0)
	v_mul_f64 v[20:21], v[76:77], v[78:79]
	v_fma_f64 v[20:21], v[74:75], v[18:19], -v[20:21]
	v_mul_f64 v[74:75], v[74:75], v[78:79]
	v_add_f64 v[42:43], v[42:43], -v[20:21]
	v_fma_f64 v[74:75], v[76:77], v[18:19], v[74:75]
	v_add_f64 v[44:45], v[44:45], -v[74:75]
	ds_read2_b64 v[74:77], v124 offset0:16 offset1:17
	;; [unrolled: 8-line block ×5, first 2 shown]
	s_waitcnt lgkmcnt(0)
	v_mul_f64 v[20:21], v[76:77], v[78:79]
	v_fma_f64 v[20:21], v[74:75], v[18:19], -v[20:21]
	v_mul_f64 v[74:75], v[74:75], v[78:79]
	v_add_f64 v[26:27], v[26:27], -v[20:21]
	v_fma_f64 v[74:75], v[76:77], v[18:19], v[74:75]
	v_mov_b32_e32 v20, v78
	v_mov_b32_e32 v21, v79
	v_add_f64 v[28:29], v[28:29], -v[74:75]
.LBB23_55:
	s_or_b32 exec_lo, exec_lo, s1
	s_mov_b32 s2, exec_lo
	s_waitcnt lgkmcnt(0)
	s_barrier
	buffer_gl0_inv
	v_cmpx_eq_u32_e32 6, v0
	s_cbranch_execz .LBB23_62
; %bb.56:
	ds_write2_b64 v1, v[46:47], v[48:49] offset1:1
	ds_write2_b64 v124, v[42:43], v[44:45] offset0:14 offset1:15
	ds_write2_b64 v124, v[38:39], v[40:41] offset0:16 offset1:17
	;; [unrolled: 1-line block ×5, first 2 shown]
	ds_read2_b64 v[74:77], v1 offset1:1
	s_waitcnt lgkmcnt(0)
	v_cmp_neq_f64_e32 vcc_lo, 0, v[74:75]
	v_cmp_neq_f64_e64 s1, 0, v[76:77]
	s_or_b32 s1, vcc_lo, s1
	s_and_b32 exec_lo, exec_lo, s1
	s_cbranch_execz .LBB23_62
; %bb.57:
	v_cmp_ngt_f64_e64 s1, |v[74:75]|, |v[76:77]|
                                        ; implicit-def: $vgpr78_vgpr79
	s_and_saveexec_b32 s3, s1
	s_xor_b32 s1, exec_lo, s3
                                        ; implicit-def: $vgpr80_vgpr81
	s_cbranch_execz .LBB23_59
; %bb.58:
	v_div_scale_f64 v[78:79], null, v[76:77], v[76:77], v[74:75]
	v_div_scale_f64 v[84:85], vcc_lo, v[74:75], v[76:77], v[74:75]
	v_rcp_f64_e32 v[80:81], v[78:79]
	v_fma_f64 v[82:83], -v[78:79], v[80:81], 1.0
	v_fma_f64 v[80:81], v[80:81], v[82:83], v[80:81]
	v_fma_f64 v[82:83], -v[78:79], v[80:81], 1.0
	v_fma_f64 v[80:81], v[80:81], v[82:83], v[80:81]
	v_mul_f64 v[82:83], v[84:85], v[80:81]
	v_fma_f64 v[78:79], -v[78:79], v[82:83], v[84:85]
	v_div_fmas_f64 v[78:79], v[78:79], v[80:81], v[82:83]
	v_div_fixup_f64 v[78:79], v[78:79], v[76:77], v[74:75]
	v_fma_f64 v[74:75], v[74:75], v[78:79], v[76:77]
	v_div_scale_f64 v[76:77], null, v[74:75], v[74:75], 1.0
	v_rcp_f64_e32 v[80:81], v[76:77]
	v_fma_f64 v[82:83], -v[76:77], v[80:81], 1.0
	v_fma_f64 v[80:81], v[80:81], v[82:83], v[80:81]
	v_fma_f64 v[82:83], -v[76:77], v[80:81], 1.0
	v_fma_f64 v[80:81], v[80:81], v[82:83], v[80:81]
	v_div_scale_f64 v[82:83], vcc_lo, 1.0, v[74:75], 1.0
	v_mul_f64 v[84:85], v[82:83], v[80:81]
	v_fma_f64 v[76:77], -v[76:77], v[84:85], v[82:83]
	v_div_fmas_f64 v[76:77], v[76:77], v[80:81], v[84:85]
	v_div_fixup_f64 v[80:81], v[76:77], v[74:75], 1.0
                                        ; implicit-def: $vgpr74_vgpr75
	v_mul_f64 v[78:79], v[78:79], v[80:81]
	v_xor_b32_e32 v81, 0x80000000, v81
.LBB23_59:
	s_andn2_saveexec_b32 s1, s1
	s_cbranch_execz .LBB23_61
; %bb.60:
	v_div_scale_f64 v[78:79], null, v[74:75], v[74:75], v[76:77]
	v_div_scale_f64 v[84:85], vcc_lo, v[76:77], v[74:75], v[76:77]
	v_rcp_f64_e32 v[80:81], v[78:79]
	v_fma_f64 v[82:83], -v[78:79], v[80:81], 1.0
	v_fma_f64 v[80:81], v[80:81], v[82:83], v[80:81]
	v_fma_f64 v[82:83], -v[78:79], v[80:81], 1.0
	v_fma_f64 v[80:81], v[80:81], v[82:83], v[80:81]
	v_mul_f64 v[82:83], v[84:85], v[80:81]
	v_fma_f64 v[78:79], -v[78:79], v[82:83], v[84:85]
	v_div_fmas_f64 v[78:79], v[78:79], v[80:81], v[82:83]
	v_div_fixup_f64 v[80:81], v[78:79], v[74:75], v[76:77]
	v_fma_f64 v[74:75], v[76:77], v[80:81], v[74:75]
	v_div_scale_f64 v[76:77], null, v[74:75], v[74:75], 1.0
	v_rcp_f64_e32 v[78:79], v[76:77]
	v_fma_f64 v[82:83], -v[76:77], v[78:79], 1.0
	v_fma_f64 v[78:79], v[78:79], v[82:83], v[78:79]
	v_fma_f64 v[82:83], -v[76:77], v[78:79], 1.0
	v_fma_f64 v[78:79], v[78:79], v[82:83], v[78:79]
	v_div_scale_f64 v[82:83], vcc_lo, 1.0, v[74:75], 1.0
	v_mul_f64 v[84:85], v[82:83], v[78:79]
	v_fma_f64 v[76:77], -v[76:77], v[84:85], v[82:83]
	v_div_fmas_f64 v[76:77], v[76:77], v[78:79], v[84:85]
	v_div_fixup_f64 v[78:79], v[76:77], v[74:75], 1.0
	v_mul_f64 v[80:81], v[80:81], -v[78:79]
.LBB23_61:
	s_or_b32 exec_lo, exec_lo, s1
	ds_write2_b64 v1, v[78:79], v[80:81] offset1:1
.LBB23_62:
	s_or_b32 exec_lo, exec_lo, s2
	s_waitcnt lgkmcnt(0)
	s_barrier
	buffer_gl0_inv
	ds_read2_b64 v[74:77], v1 offset1:1
	s_mov_b32 s1, exec_lo
	v_cmpx_lt_u32_e32 6, v0
	s_cbranch_execz .LBB23_64
; %bb.63:
	s_waitcnt lgkmcnt(0)
	v_mul_f64 v[78:79], v[74:75], v[48:49]
	v_mul_f64 v[48:49], v[76:77], v[48:49]
	v_fma_f64 v[82:83], v[76:77], v[46:47], v[78:79]
	ds_read2_b64 v[78:81], v124 offset0:14 offset1:15
	v_fma_f64 v[46:47], v[74:75], v[46:47], -v[48:49]
	s_waitcnt lgkmcnt(0)
	v_mul_f64 v[48:49], v[80:81], v[82:83]
	v_fma_f64 v[48:49], v[78:79], v[46:47], -v[48:49]
	v_mul_f64 v[78:79], v[78:79], v[82:83]
	v_add_f64 v[42:43], v[42:43], -v[48:49]
	v_fma_f64 v[78:79], v[80:81], v[46:47], v[78:79]
	v_add_f64 v[44:45], v[44:45], -v[78:79]
	ds_read2_b64 v[78:81], v124 offset0:16 offset1:17
	s_waitcnt lgkmcnt(0)
	v_mul_f64 v[48:49], v[80:81], v[82:83]
	v_fma_f64 v[48:49], v[78:79], v[46:47], -v[48:49]
	v_mul_f64 v[78:79], v[78:79], v[82:83]
	v_add_f64 v[38:39], v[38:39], -v[48:49]
	v_fma_f64 v[78:79], v[80:81], v[46:47], v[78:79]
	v_add_f64 v[40:41], v[40:41], -v[78:79]
	ds_read2_b64 v[78:81], v124 offset0:18 offset1:19
	;; [unrolled: 8-line block ×4, first 2 shown]
	s_waitcnt lgkmcnt(0)
	v_mul_f64 v[48:49], v[80:81], v[82:83]
	v_fma_f64 v[48:49], v[78:79], v[46:47], -v[48:49]
	v_mul_f64 v[78:79], v[78:79], v[82:83]
	v_add_f64 v[26:27], v[26:27], -v[48:49]
	v_fma_f64 v[78:79], v[80:81], v[46:47], v[78:79]
	v_mov_b32_e32 v48, v82
	v_mov_b32_e32 v49, v83
	v_add_f64 v[28:29], v[28:29], -v[78:79]
.LBB23_64:
	s_or_b32 exec_lo, exec_lo, s1
	s_mov_b32 s2, exec_lo
	s_waitcnt lgkmcnt(0)
	s_barrier
	buffer_gl0_inv
	v_cmpx_eq_u32_e32 7, v0
	s_cbranch_execz .LBB23_71
; %bb.65:
	ds_write2_b64 v1, v[42:43], v[44:45] offset1:1
	ds_write2_b64 v124, v[38:39], v[40:41] offset0:16 offset1:17
	ds_write2_b64 v124, v[34:35], v[36:37] offset0:18 offset1:19
	;; [unrolled: 1-line block ×4, first 2 shown]
	ds_read2_b64 v[78:81], v1 offset1:1
	s_waitcnt lgkmcnt(0)
	v_cmp_neq_f64_e32 vcc_lo, 0, v[78:79]
	v_cmp_neq_f64_e64 s1, 0, v[80:81]
	s_or_b32 s1, vcc_lo, s1
	s_and_b32 exec_lo, exec_lo, s1
	s_cbranch_execz .LBB23_71
; %bb.66:
	v_cmp_ngt_f64_e64 s1, |v[78:79]|, |v[80:81]|
                                        ; implicit-def: $vgpr82_vgpr83
	s_and_saveexec_b32 s3, s1
	s_xor_b32 s1, exec_lo, s3
                                        ; implicit-def: $vgpr84_vgpr85
	s_cbranch_execz .LBB23_68
; %bb.67:
	v_div_scale_f64 v[82:83], null, v[80:81], v[80:81], v[78:79]
	v_div_scale_f64 v[88:89], vcc_lo, v[78:79], v[80:81], v[78:79]
	v_rcp_f64_e32 v[84:85], v[82:83]
	v_fma_f64 v[86:87], -v[82:83], v[84:85], 1.0
	v_fma_f64 v[84:85], v[84:85], v[86:87], v[84:85]
	v_fma_f64 v[86:87], -v[82:83], v[84:85], 1.0
	v_fma_f64 v[84:85], v[84:85], v[86:87], v[84:85]
	v_mul_f64 v[86:87], v[88:89], v[84:85]
	v_fma_f64 v[82:83], -v[82:83], v[86:87], v[88:89]
	v_div_fmas_f64 v[82:83], v[82:83], v[84:85], v[86:87]
	v_div_fixup_f64 v[82:83], v[82:83], v[80:81], v[78:79]
	v_fma_f64 v[78:79], v[78:79], v[82:83], v[80:81]
	v_div_scale_f64 v[80:81], null, v[78:79], v[78:79], 1.0
	v_rcp_f64_e32 v[84:85], v[80:81]
	v_fma_f64 v[86:87], -v[80:81], v[84:85], 1.0
	v_fma_f64 v[84:85], v[84:85], v[86:87], v[84:85]
	v_fma_f64 v[86:87], -v[80:81], v[84:85], 1.0
	v_fma_f64 v[84:85], v[84:85], v[86:87], v[84:85]
	v_div_scale_f64 v[86:87], vcc_lo, 1.0, v[78:79], 1.0
	v_mul_f64 v[88:89], v[86:87], v[84:85]
	v_fma_f64 v[80:81], -v[80:81], v[88:89], v[86:87]
	v_div_fmas_f64 v[80:81], v[80:81], v[84:85], v[88:89]
	v_div_fixup_f64 v[84:85], v[80:81], v[78:79], 1.0
                                        ; implicit-def: $vgpr78_vgpr79
	v_mul_f64 v[82:83], v[82:83], v[84:85]
	v_xor_b32_e32 v85, 0x80000000, v85
.LBB23_68:
	s_andn2_saveexec_b32 s1, s1
	s_cbranch_execz .LBB23_70
; %bb.69:
	v_div_scale_f64 v[82:83], null, v[78:79], v[78:79], v[80:81]
	v_div_scale_f64 v[88:89], vcc_lo, v[80:81], v[78:79], v[80:81]
	v_rcp_f64_e32 v[84:85], v[82:83]
	v_fma_f64 v[86:87], -v[82:83], v[84:85], 1.0
	v_fma_f64 v[84:85], v[84:85], v[86:87], v[84:85]
	v_fma_f64 v[86:87], -v[82:83], v[84:85], 1.0
	v_fma_f64 v[84:85], v[84:85], v[86:87], v[84:85]
	v_mul_f64 v[86:87], v[88:89], v[84:85]
	v_fma_f64 v[82:83], -v[82:83], v[86:87], v[88:89]
	v_div_fmas_f64 v[82:83], v[82:83], v[84:85], v[86:87]
	v_div_fixup_f64 v[84:85], v[82:83], v[78:79], v[80:81]
	v_fma_f64 v[78:79], v[80:81], v[84:85], v[78:79]
	v_div_scale_f64 v[80:81], null, v[78:79], v[78:79], 1.0
	v_rcp_f64_e32 v[82:83], v[80:81]
	v_fma_f64 v[86:87], -v[80:81], v[82:83], 1.0
	v_fma_f64 v[82:83], v[82:83], v[86:87], v[82:83]
	v_fma_f64 v[86:87], -v[80:81], v[82:83], 1.0
	v_fma_f64 v[82:83], v[82:83], v[86:87], v[82:83]
	v_div_scale_f64 v[86:87], vcc_lo, 1.0, v[78:79], 1.0
	v_mul_f64 v[88:89], v[86:87], v[82:83]
	v_fma_f64 v[80:81], -v[80:81], v[88:89], v[86:87]
	v_div_fmas_f64 v[80:81], v[80:81], v[82:83], v[88:89]
	v_div_fixup_f64 v[82:83], v[80:81], v[78:79], 1.0
	v_mul_f64 v[84:85], v[84:85], -v[82:83]
.LBB23_70:
	s_or_b32 exec_lo, exec_lo, s1
	ds_write2_b64 v1, v[82:83], v[84:85] offset1:1
.LBB23_71:
	s_or_b32 exec_lo, exec_lo, s2
	s_waitcnt lgkmcnt(0)
	s_barrier
	buffer_gl0_inv
	ds_read2_b64 v[78:81], v1 offset1:1
	s_mov_b32 s1, exec_lo
	v_cmpx_lt_u32_e32 7, v0
	s_cbranch_execz .LBB23_73
; %bb.72:
	s_waitcnt lgkmcnt(0)
	v_mul_f64 v[82:83], v[78:79], v[44:45]
	v_mul_f64 v[44:45], v[80:81], v[44:45]
	v_fma_f64 v[86:87], v[80:81], v[42:43], v[82:83]
	ds_read2_b64 v[82:85], v124 offset0:16 offset1:17
	v_fma_f64 v[42:43], v[78:79], v[42:43], -v[44:45]
	s_waitcnt lgkmcnt(0)
	v_mul_f64 v[44:45], v[84:85], v[86:87]
	v_fma_f64 v[44:45], v[82:83], v[42:43], -v[44:45]
	v_mul_f64 v[82:83], v[82:83], v[86:87]
	v_add_f64 v[38:39], v[38:39], -v[44:45]
	v_fma_f64 v[82:83], v[84:85], v[42:43], v[82:83]
	v_add_f64 v[40:41], v[40:41], -v[82:83]
	ds_read2_b64 v[82:85], v124 offset0:18 offset1:19
	s_waitcnt lgkmcnt(0)
	v_mul_f64 v[44:45], v[84:85], v[86:87]
	v_fma_f64 v[44:45], v[82:83], v[42:43], -v[44:45]
	v_mul_f64 v[82:83], v[82:83], v[86:87]
	v_add_f64 v[34:35], v[34:35], -v[44:45]
	v_fma_f64 v[82:83], v[84:85], v[42:43], v[82:83]
	v_add_f64 v[36:37], v[36:37], -v[82:83]
	ds_read2_b64 v[82:85], v124 offset0:20 offset1:21
	;; [unrolled: 8-line block ×3, first 2 shown]
	s_waitcnt lgkmcnt(0)
	v_mul_f64 v[44:45], v[84:85], v[86:87]
	v_fma_f64 v[44:45], v[82:83], v[42:43], -v[44:45]
	v_mul_f64 v[82:83], v[82:83], v[86:87]
	v_add_f64 v[26:27], v[26:27], -v[44:45]
	v_fma_f64 v[82:83], v[84:85], v[42:43], v[82:83]
	v_mov_b32_e32 v44, v86
	v_mov_b32_e32 v45, v87
	v_add_f64 v[28:29], v[28:29], -v[82:83]
.LBB23_73:
	s_or_b32 exec_lo, exec_lo, s1
	s_mov_b32 s2, exec_lo
	s_waitcnt lgkmcnt(0)
	s_barrier
	buffer_gl0_inv
	v_cmpx_eq_u32_e32 8, v0
	s_cbranch_execz .LBB23_80
; %bb.74:
	ds_write2_b64 v1, v[38:39], v[40:41] offset1:1
	ds_write2_b64 v124, v[34:35], v[36:37] offset0:18 offset1:19
	ds_write2_b64 v124, v[30:31], v[32:33] offset0:20 offset1:21
	;; [unrolled: 1-line block ×3, first 2 shown]
	ds_read2_b64 v[82:85], v1 offset1:1
	s_waitcnt lgkmcnt(0)
	v_cmp_neq_f64_e32 vcc_lo, 0, v[82:83]
	v_cmp_neq_f64_e64 s1, 0, v[84:85]
	s_or_b32 s1, vcc_lo, s1
	s_and_b32 exec_lo, exec_lo, s1
	s_cbranch_execz .LBB23_80
; %bb.75:
	v_cmp_ngt_f64_e64 s1, |v[82:83]|, |v[84:85]|
                                        ; implicit-def: $vgpr86_vgpr87
	s_and_saveexec_b32 s3, s1
	s_xor_b32 s1, exec_lo, s3
                                        ; implicit-def: $vgpr88_vgpr89
	s_cbranch_execz .LBB23_77
; %bb.76:
	v_div_scale_f64 v[86:87], null, v[84:85], v[84:85], v[82:83]
	v_div_scale_f64 v[92:93], vcc_lo, v[82:83], v[84:85], v[82:83]
	v_rcp_f64_e32 v[88:89], v[86:87]
	v_fma_f64 v[90:91], -v[86:87], v[88:89], 1.0
	v_fma_f64 v[88:89], v[88:89], v[90:91], v[88:89]
	v_fma_f64 v[90:91], -v[86:87], v[88:89], 1.0
	v_fma_f64 v[88:89], v[88:89], v[90:91], v[88:89]
	v_mul_f64 v[90:91], v[92:93], v[88:89]
	v_fma_f64 v[86:87], -v[86:87], v[90:91], v[92:93]
	v_div_fmas_f64 v[86:87], v[86:87], v[88:89], v[90:91]
	v_div_fixup_f64 v[86:87], v[86:87], v[84:85], v[82:83]
	v_fma_f64 v[82:83], v[82:83], v[86:87], v[84:85]
	v_div_scale_f64 v[84:85], null, v[82:83], v[82:83], 1.0
	v_rcp_f64_e32 v[88:89], v[84:85]
	v_fma_f64 v[90:91], -v[84:85], v[88:89], 1.0
	v_fma_f64 v[88:89], v[88:89], v[90:91], v[88:89]
	v_fma_f64 v[90:91], -v[84:85], v[88:89], 1.0
	v_fma_f64 v[88:89], v[88:89], v[90:91], v[88:89]
	v_div_scale_f64 v[90:91], vcc_lo, 1.0, v[82:83], 1.0
	v_mul_f64 v[92:93], v[90:91], v[88:89]
	v_fma_f64 v[84:85], -v[84:85], v[92:93], v[90:91]
	v_div_fmas_f64 v[84:85], v[84:85], v[88:89], v[92:93]
	v_div_fixup_f64 v[88:89], v[84:85], v[82:83], 1.0
                                        ; implicit-def: $vgpr82_vgpr83
	v_mul_f64 v[86:87], v[86:87], v[88:89]
	v_xor_b32_e32 v89, 0x80000000, v89
.LBB23_77:
	s_andn2_saveexec_b32 s1, s1
	s_cbranch_execz .LBB23_79
; %bb.78:
	v_div_scale_f64 v[86:87], null, v[82:83], v[82:83], v[84:85]
	v_div_scale_f64 v[92:93], vcc_lo, v[84:85], v[82:83], v[84:85]
	v_rcp_f64_e32 v[88:89], v[86:87]
	v_fma_f64 v[90:91], -v[86:87], v[88:89], 1.0
	v_fma_f64 v[88:89], v[88:89], v[90:91], v[88:89]
	v_fma_f64 v[90:91], -v[86:87], v[88:89], 1.0
	v_fma_f64 v[88:89], v[88:89], v[90:91], v[88:89]
	v_mul_f64 v[90:91], v[92:93], v[88:89]
	v_fma_f64 v[86:87], -v[86:87], v[90:91], v[92:93]
	v_div_fmas_f64 v[86:87], v[86:87], v[88:89], v[90:91]
	v_div_fixup_f64 v[88:89], v[86:87], v[82:83], v[84:85]
	v_fma_f64 v[82:83], v[84:85], v[88:89], v[82:83]
	v_div_scale_f64 v[84:85], null, v[82:83], v[82:83], 1.0
	v_rcp_f64_e32 v[86:87], v[84:85]
	v_fma_f64 v[90:91], -v[84:85], v[86:87], 1.0
	v_fma_f64 v[86:87], v[86:87], v[90:91], v[86:87]
	v_fma_f64 v[90:91], -v[84:85], v[86:87], 1.0
	v_fma_f64 v[86:87], v[86:87], v[90:91], v[86:87]
	v_div_scale_f64 v[90:91], vcc_lo, 1.0, v[82:83], 1.0
	v_mul_f64 v[92:93], v[90:91], v[86:87]
	v_fma_f64 v[84:85], -v[84:85], v[92:93], v[90:91]
	v_div_fmas_f64 v[84:85], v[84:85], v[86:87], v[92:93]
	v_div_fixup_f64 v[86:87], v[84:85], v[82:83], 1.0
	v_mul_f64 v[88:89], v[88:89], -v[86:87]
.LBB23_79:
	s_or_b32 exec_lo, exec_lo, s1
	ds_write2_b64 v1, v[86:87], v[88:89] offset1:1
.LBB23_80:
	s_or_b32 exec_lo, exec_lo, s2
	s_waitcnt lgkmcnt(0)
	s_barrier
	buffer_gl0_inv
	ds_read2_b64 v[82:85], v1 offset1:1
	s_mov_b32 s1, exec_lo
	v_cmpx_lt_u32_e32 8, v0
	s_cbranch_execz .LBB23_82
; %bb.81:
	s_waitcnt lgkmcnt(0)
	v_mul_f64 v[86:87], v[82:83], v[40:41]
	v_mul_f64 v[40:41], v[84:85], v[40:41]
	v_fma_f64 v[90:91], v[84:85], v[38:39], v[86:87]
	ds_read2_b64 v[86:89], v124 offset0:18 offset1:19
	v_fma_f64 v[38:39], v[82:83], v[38:39], -v[40:41]
	s_waitcnt lgkmcnt(0)
	v_mul_f64 v[40:41], v[88:89], v[90:91]
	v_fma_f64 v[40:41], v[86:87], v[38:39], -v[40:41]
	v_mul_f64 v[86:87], v[86:87], v[90:91]
	v_add_f64 v[34:35], v[34:35], -v[40:41]
	v_fma_f64 v[86:87], v[88:89], v[38:39], v[86:87]
	v_add_f64 v[36:37], v[36:37], -v[86:87]
	ds_read2_b64 v[86:89], v124 offset0:20 offset1:21
	s_waitcnt lgkmcnt(0)
	v_mul_f64 v[40:41], v[88:89], v[90:91]
	v_fma_f64 v[40:41], v[86:87], v[38:39], -v[40:41]
	v_mul_f64 v[86:87], v[86:87], v[90:91]
	v_add_f64 v[30:31], v[30:31], -v[40:41]
	v_fma_f64 v[86:87], v[88:89], v[38:39], v[86:87]
	v_add_f64 v[32:33], v[32:33], -v[86:87]
	ds_read2_b64 v[86:89], v124 offset0:22 offset1:23
	s_waitcnt lgkmcnt(0)
	v_mul_f64 v[40:41], v[88:89], v[90:91]
	v_fma_f64 v[40:41], v[86:87], v[38:39], -v[40:41]
	v_mul_f64 v[86:87], v[86:87], v[90:91]
	v_add_f64 v[26:27], v[26:27], -v[40:41]
	v_fma_f64 v[86:87], v[88:89], v[38:39], v[86:87]
	v_mov_b32_e32 v40, v90
	v_mov_b32_e32 v41, v91
	v_add_f64 v[28:29], v[28:29], -v[86:87]
.LBB23_82:
	s_or_b32 exec_lo, exec_lo, s1
	s_mov_b32 s2, exec_lo
	s_waitcnt lgkmcnt(0)
	s_barrier
	buffer_gl0_inv
	v_cmpx_eq_u32_e32 9, v0
	s_cbranch_execz .LBB23_89
; %bb.83:
	ds_write2_b64 v1, v[34:35], v[36:37] offset1:1
	ds_write2_b64 v124, v[30:31], v[32:33] offset0:20 offset1:21
	ds_write2_b64 v124, v[26:27], v[28:29] offset0:22 offset1:23
	ds_read2_b64 v[86:89], v1 offset1:1
	s_waitcnt lgkmcnt(0)
	v_cmp_neq_f64_e32 vcc_lo, 0, v[86:87]
	v_cmp_neq_f64_e64 s1, 0, v[88:89]
	s_or_b32 s1, vcc_lo, s1
	s_and_b32 exec_lo, exec_lo, s1
	s_cbranch_execz .LBB23_89
; %bb.84:
	v_cmp_ngt_f64_e64 s1, |v[86:87]|, |v[88:89]|
                                        ; implicit-def: $vgpr90_vgpr91
	s_and_saveexec_b32 s3, s1
	s_xor_b32 s1, exec_lo, s3
                                        ; implicit-def: $vgpr92_vgpr93
	s_cbranch_execz .LBB23_86
; %bb.85:
	v_div_scale_f64 v[90:91], null, v[88:89], v[88:89], v[86:87]
	v_div_scale_f64 v[96:97], vcc_lo, v[86:87], v[88:89], v[86:87]
	v_rcp_f64_e32 v[92:93], v[90:91]
	v_fma_f64 v[94:95], -v[90:91], v[92:93], 1.0
	v_fma_f64 v[92:93], v[92:93], v[94:95], v[92:93]
	v_fma_f64 v[94:95], -v[90:91], v[92:93], 1.0
	v_fma_f64 v[92:93], v[92:93], v[94:95], v[92:93]
	v_mul_f64 v[94:95], v[96:97], v[92:93]
	v_fma_f64 v[90:91], -v[90:91], v[94:95], v[96:97]
	v_div_fmas_f64 v[90:91], v[90:91], v[92:93], v[94:95]
	v_div_fixup_f64 v[90:91], v[90:91], v[88:89], v[86:87]
	v_fma_f64 v[86:87], v[86:87], v[90:91], v[88:89]
	v_div_scale_f64 v[88:89], null, v[86:87], v[86:87], 1.0
	v_rcp_f64_e32 v[92:93], v[88:89]
	v_fma_f64 v[94:95], -v[88:89], v[92:93], 1.0
	v_fma_f64 v[92:93], v[92:93], v[94:95], v[92:93]
	v_fma_f64 v[94:95], -v[88:89], v[92:93], 1.0
	v_fma_f64 v[92:93], v[92:93], v[94:95], v[92:93]
	v_div_scale_f64 v[94:95], vcc_lo, 1.0, v[86:87], 1.0
	v_mul_f64 v[96:97], v[94:95], v[92:93]
	v_fma_f64 v[88:89], -v[88:89], v[96:97], v[94:95]
	v_div_fmas_f64 v[88:89], v[88:89], v[92:93], v[96:97]
	v_div_fixup_f64 v[92:93], v[88:89], v[86:87], 1.0
                                        ; implicit-def: $vgpr86_vgpr87
	v_mul_f64 v[90:91], v[90:91], v[92:93]
	v_xor_b32_e32 v93, 0x80000000, v93
.LBB23_86:
	s_andn2_saveexec_b32 s1, s1
	s_cbranch_execz .LBB23_88
; %bb.87:
	v_div_scale_f64 v[90:91], null, v[86:87], v[86:87], v[88:89]
	v_div_scale_f64 v[96:97], vcc_lo, v[88:89], v[86:87], v[88:89]
	v_rcp_f64_e32 v[92:93], v[90:91]
	v_fma_f64 v[94:95], -v[90:91], v[92:93], 1.0
	v_fma_f64 v[92:93], v[92:93], v[94:95], v[92:93]
	v_fma_f64 v[94:95], -v[90:91], v[92:93], 1.0
	v_fma_f64 v[92:93], v[92:93], v[94:95], v[92:93]
	v_mul_f64 v[94:95], v[96:97], v[92:93]
	v_fma_f64 v[90:91], -v[90:91], v[94:95], v[96:97]
	v_div_fmas_f64 v[90:91], v[90:91], v[92:93], v[94:95]
	v_div_fixup_f64 v[92:93], v[90:91], v[86:87], v[88:89]
	v_fma_f64 v[86:87], v[88:89], v[92:93], v[86:87]
	v_div_scale_f64 v[88:89], null, v[86:87], v[86:87], 1.0
	v_rcp_f64_e32 v[90:91], v[88:89]
	v_fma_f64 v[94:95], -v[88:89], v[90:91], 1.0
	v_fma_f64 v[90:91], v[90:91], v[94:95], v[90:91]
	v_fma_f64 v[94:95], -v[88:89], v[90:91], 1.0
	v_fma_f64 v[90:91], v[90:91], v[94:95], v[90:91]
	v_div_scale_f64 v[94:95], vcc_lo, 1.0, v[86:87], 1.0
	v_mul_f64 v[96:97], v[94:95], v[90:91]
	v_fma_f64 v[88:89], -v[88:89], v[96:97], v[94:95]
	v_div_fmas_f64 v[88:89], v[88:89], v[90:91], v[96:97]
	v_div_fixup_f64 v[90:91], v[88:89], v[86:87], 1.0
	v_mul_f64 v[92:93], v[92:93], -v[90:91]
.LBB23_88:
	s_or_b32 exec_lo, exec_lo, s1
	ds_write2_b64 v1, v[90:91], v[92:93] offset1:1
.LBB23_89:
	s_or_b32 exec_lo, exec_lo, s2
	s_waitcnt lgkmcnt(0)
	s_barrier
	buffer_gl0_inv
	ds_read2_b64 v[86:89], v1 offset1:1
	s_mov_b32 s1, exec_lo
	v_cmpx_lt_u32_e32 9, v0
	s_cbranch_execz .LBB23_91
; %bb.90:
	s_waitcnt lgkmcnt(0)
	v_mul_f64 v[90:91], v[86:87], v[36:37]
	v_mul_f64 v[36:37], v[88:89], v[36:37]
	v_fma_f64 v[94:95], v[88:89], v[34:35], v[90:91]
	ds_read2_b64 v[90:93], v124 offset0:20 offset1:21
	v_fma_f64 v[34:35], v[86:87], v[34:35], -v[36:37]
	s_waitcnt lgkmcnt(0)
	v_mul_f64 v[36:37], v[92:93], v[94:95]
	v_fma_f64 v[36:37], v[90:91], v[34:35], -v[36:37]
	v_mul_f64 v[90:91], v[90:91], v[94:95]
	v_add_f64 v[30:31], v[30:31], -v[36:37]
	v_fma_f64 v[90:91], v[92:93], v[34:35], v[90:91]
	v_add_f64 v[32:33], v[32:33], -v[90:91]
	ds_read2_b64 v[90:93], v124 offset0:22 offset1:23
	s_waitcnt lgkmcnt(0)
	v_mul_f64 v[36:37], v[92:93], v[94:95]
	v_fma_f64 v[36:37], v[90:91], v[34:35], -v[36:37]
	v_mul_f64 v[90:91], v[90:91], v[94:95]
	v_add_f64 v[26:27], v[26:27], -v[36:37]
	v_fma_f64 v[90:91], v[92:93], v[34:35], v[90:91]
	v_mov_b32_e32 v36, v94
	v_mov_b32_e32 v37, v95
	v_add_f64 v[28:29], v[28:29], -v[90:91]
.LBB23_91:
	s_or_b32 exec_lo, exec_lo, s1
	s_mov_b32 s2, exec_lo
	s_waitcnt lgkmcnt(0)
	s_barrier
	buffer_gl0_inv
	v_cmpx_eq_u32_e32 10, v0
	s_cbranch_execz .LBB23_98
; %bb.92:
	ds_write2_b64 v1, v[30:31], v[32:33] offset1:1
	ds_write2_b64 v124, v[26:27], v[28:29] offset0:22 offset1:23
	ds_read2_b64 v[90:93], v1 offset1:1
	s_waitcnt lgkmcnt(0)
	v_cmp_neq_f64_e32 vcc_lo, 0, v[90:91]
	v_cmp_neq_f64_e64 s1, 0, v[92:93]
	s_or_b32 s1, vcc_lo, s1
	s_and_b32 exec_lo, exec_lo, s1
	s_cbranch_execz .LBB23_98
; %bb.93:
	v_cmp_ngt_f64_e64 s1, |v[90:91]|, |v[92:93]|
                                        ; implicit-def: $vgpr94_vgpr95
	s_and_saveexec_b32 s3, s1
	s_xor_b32 s1, exec_lo, s3
                                        ; implicit-def: $vgpr96_vgpr97
	s_cbranch_execz .LBB23_95
; %bb.94:
	v_div_scale_f64 v[94:95], null, v[92:93], v[92:93], v[90:91]
	v_div_scale_f64 v[127:128], vcc_lo, v[90:91], v[92:93], v[90:91]
	v_rcp_f64_e32 v[96:97], v[94:95]
	v_fma_f64 v[125:126], -v[94:95], v[96:97], 1.0
	v_fma_f64 v[96:97], v[96:97], v[125:126], v[96:97]
	v_fma_f64 v[125:126], -v[94:95], v[96:97], 1.0
	v_fma_f64 v[96:97], v[96:97], v[125:126], v[96:97]
	v_mul_f64 v[125:126], v[127:128], v[96:97]
	v_fma_f64 v[94:95], -v[94:95], v[125:126], v[127:128]
	v_div_fmas_f64 v[94:95], v[94:95], v[96:97], v[125:126]
	v_div_fixup_f64 v[94:95], v[94:95], v[92:93], v[90:91]
	v_fma_f64 v[90:91], v[90:91], v[94:95], v[92:93]
	v_div_scale_f64 v[92:93], null, v[90:91], v[90:91], 1.0
	v_rcp_f64_e32 v[96:97], v[92:93]
	v_fma_f64 v[125:126], -v[92:93], v[96:97], 1.0
	v_fma_f64 v[96:97], v[96:97], v[125:126], v[96:97]
	v_fma_f64 v[125:126], -v[92:93], v[96:97], 1.0
	v_fma_f64 v[96:97], v[96:97], v[125:126], v[96:97]
	v_div_scale_f64 v[125:126], vcc_lo, 1.0, v[90:91], 1.0
	v_mul_f64 v[127:128], v[125:126], v[96:97]
	v_fma_f64 v[92:93], -v[92:93], v[127:128], v[125:126]
	v_div_fmas_f64 v[92:93], v[92:93], v[96:97], v[127:128]
	v_div_fixup_f64 v[96:97], v[92:93], v[90:91], 1.0
                                        ; implicit-def: $vgpr90_vgpr91
	v_mul_f64 v[94:95], v[94:95], v[96:97]
	v_xor_b32_e32 v97, 0x80000000, v97
.LBB23_95:
	s_andn2_saveexec_b32 s1, s1
	s_cbranch_execz .LBB23_97
; %bb.96:
	v_div_scale_f64 v[94:95], null, v[90:91], v[90:91], v[92:93]
	v_div_scale_f64 v[127:128], vcc_lo, v[92:93], v[90:91], v[92:93]
	v_rcp_f64_e32 v[96:97], v[94:95]
	v_fma_f64 v[125:126], -v[94:95], v[96:97], 1.0
	v_fma_f64 v[96:97], v[96:97], v[125:126], v[96:97]
	v_fma_f64 v[125:126], -v[94:95], v[96:97], 1.0
	v_fma_f64 v[96:97], v[96:97], v[125:126], v[96:97]
	v_mul_f64 v[125:126], v[127:128], v[96:97]
	v_fma_f64 v[94:95], -v[94:95], v[125:126], v[127:128]
	v_div_fmas_f64 v[94:95], v[94:95], v[96:97], v[125:126]
	v_div_fixup_f64 v[96:97], v[94:95], v[90:91], v[92:93]
	v_fma_f64 v[90:91], v[92:93], v[96:97], v[90:91]
	v_div_scale_f64 v[92:93], null, v[90:91], v[90:91], 1.0
	v_rcp_f64_e32 v[94:95], v[92:93]
	v_fma_f64 v[125:126], -v[92:93], v[94:95], 1.0
	v_fma_f64 v[94:95], v[94:95], v[125:126], v[94:95]
	v_fma_f64 v[125:126], -v[92:93], v[94:95], 1.0
	v_fma_f64 v[94:95], v[94:95], v[125:126], v[94:95]
	v_div_scale_f64 v[125:126], vcc_lo, 1.0, v[90:91], 1.0
	v_mul_f64 v[127:128], v[125:126], v[94:95]
	v_fma_f64 v[92:93], -v[92:93], v[127:128], v[125:126]
	v_div_fmas_f64 v[92:93], v[92:93], v[94:95], v[127:128]
	v_div_fixup_f64 v[94:95], v[92:93], v[90:91], 1.0
	v_mul_f64 v[96:97], v[96:97], -v[94:95]
.LBB23_97:
	s_or_b32 exec_lo, exec_lo, s1
	ds_write2_b64 v1, v[94:95], v[96:97] offset1:1
.LBB23_98:
	s_or_b32 exec_lo, exec_lo, s2
	s_waitcnt lgkmcnt(0)
	s_barrier
	buffer_gl0_inv
	ds_read2_b64 v[90:93], v1 offset1:1
	s_mov_b32 s1, exec_lo
	v_cmpx_lt_u32_e32 10, v0
	s_cbranch_execz .LBB23_100
; %bb.99:
	s_waitcnt lgkmcnt(0)
	v_mul_f64 v[94:95], v[90:91], v[32:33]
	v_mul_f64 v[32:33], v[92:93], v[32:33]
	v_fma_f64 v[125:126], v[92:93], v[30:31], v[94:95]
	ds_read2_b64 v[94:97], v124 offset0:22 offset1:23
	v_fma_f64 v[30:31], v[90:91], v[30:31], -v[32:33]
	s_waitcnt lgkmcnt(0)
	v_mul_f64 v[32:33], v[96:97], v[125:126]
	v_mul_f64 v[127:128], v[94:95], v[125:126]
	v_fma_f64 v[32:33], v[94:95], v[30:31], -v[32:33]
	v_fma_f64 v[94:95], v[96:97], v[30:31], v[127:128]
	v_add_f64 v[26:27], v[26:27], -v[32:33]
	v_add_f64 v[28:29], v[28:29], -v[94:95]
	v_mov_b32_e32 v32, v125
	v_mov_b32_e32 v33, v126
.LBB23_100:
	s_or_b32 exec_lo, exec_lo, s1
	s_mov_b32 s2, exec_lo
	s_waitcnt lgkmcnt(0)
	s_barrier
	buffer_gl0_inv
	v_cmpx_eq_u32_e32 11, v0
	s_cbranch_execz .LBB23_107
; %bb.101:
	v_cmp_neq_f64_e32 vcc_lo, 0, v[26:27]
	v_cmp_neq_f64_e64 s1, 0, v[28:29]
	ds_write2_b64 v1, v[26:27], v[28:29] offset1:1
	s_or_b32 s1, vcc_lo, s1
	s_and_b32 exec_lo, exec_lo, s1
	s_cbranch_execz .LBB23_107
; %bb.102:
	v_cmp_ngt_f64_e64 s1, |v[26:27]|, |v[28:29]|
                                        ; implicit-def: $vgpr94_vgpr95
	s_and_saveexec_b32 s3, s1
	s_xor_b32 s1, exec_lo, s3
                                        ; implicit-def: $vgpr96_vgpr97
	s_cbranch_execz .LBB23_104
; %bb.103:
	v_div_scale_f64 v[94:95], null, v[28:29], v[28:29], v[26:27]
	v_div_scale_f64 v[126:127], vcc_lo, v[26:27], v[28:29], v[26:27]
	v_rcp_f64_e32 v[96:97], v[94:95]
	v_fma_f64 v[124:125], -v[94:95], v[96:97], 1.0
	v_fma_f64 v[96:97], v[96:97], v[124:125], v[96:97]
	v_fma_f64 v[124:125], -v[94:95], v[96:97], 1.0
	v_fma_f64 v[96:97], v[96:97], v[124:125], v[96:97]
	v_mul_f64 v[124:125], v[126:127], v[96:97]
	v_fma_f64 v[94:95], -v[94:95], v[124:125], v[126:127]
	v_div_fmas_f64 v[94:95], v[94:95], v[96:97], v[124:125]
	v_div_fixup_f64 v[94:95], v[94:95], v[28:29], v[26:27]
	v_fma_f64 v[96:97], v[26:27], v[94:95], v[28:29]
	v_div_scale_f64 v[124:125], null, v[96:97], v[96:97], 1.0
	v_rcp_f64_e32 v[126:127], v[124:125]
	v_fma_f64 v[128:129], -v[124:125], v[126:127], 1.0
	v_fma_f64 v[126:127], v[126:127], v[128:129], v[126:127]
	v_fma_f64 v[128:129], -v[124:125], v[126:127], 1.0
	v_fma_f64 v[126:127], v[126:127], v[128:129], v[126:127]
	v_div_scale_f64 v[128:129], vcc_lo, 1.0, v[96:97], 1.0
	v_mul_f64 v[130:131], v[128:129], v[126:127]
	v_fma_f64 v[124:125], -v[124:125], v[130:131], v[128:129]
	v_div_fmas_f64 v[124:125], v[124:125], v[126:127], v[130:131]
	v_div_fixup_f64 v[96:97], v[124:125], v[96:97], 1.0
	v_mul_f64 v[94:95], v[94:95], v[96:97]
	v_xor_b32_e32 v97, 0x80000000, v97
.LBB23_104:
	s_andn2_saveexec_b32 s1, s1
	s_cbranch_execz .LBB23_106
; %bb.105:
	v_div_scale_f64 v[94:95], null, v[26:27], v[26:27], v[28:29]
	v_div_scale_f64 v[126:127], vcc_lo, v[28:29], v[26:27], v[28:29]
	v_rcp_f64_e32 v[96:97], v[94:95]
	v_fma_f64 v[124:125], -v[94:95], v[96:97], 1.0
	v_fma_f64 v[96:97], v[96:97], v[124:125], v[96:97]
	v_fma_f64 v[124:125], -v[94:95], v[96:97], 1.0
	v_fma_f64 v[96:97], v[96:97], v[124:125], v[96:97]
	v_mul_f64 v[124:125], v[126:127], v[96:97]
	v_fma_f64 v[94:95], -v[94:95], v[124:125], v[126:127]
	v_div_fmas_f64 v[94:95], v[94:95], v[96:97], v[124:125]
	v_div_fixup_f64 v[96:97], v[94:95], v[26:27], v[28:29]
	v_fma_f64 v[94:95], v[28:29], v[96:97], v[26:27]
	v_div_scale_f64 v[124:125], null, v[94:95], v[94:95], 1.0
	v_rcp_f64_e32 v[126:127], v[124:125]
	v_fma_f64 v[128:129], -v[124:125], v[126:127], 1.0
	v_fma_f64 v[126:127], v[126:127], v[128:129], v[126:127]
	v_fma_f64 v[128:129], -v[124:125], v[126:127], 1.0
	v_fma_f64 v[126:127], v[126:127], v[128:129], v[126:127]
	v_div_scale_f64 v[128:129], vcc_lo, 1.0, v[94:95], 1.0
	v_mul_f64 v[130:131], v[128:129], v[126:127]
	v_fma_f64 v[124:125], -v[124:125], v[130:131], v[128:129]
	v_div_fmas_f64 v[124:125], v[124:125], v[126:127], v[130:131]
	v_div_fixup_f64 v[94:95], v[124:125], v[94:95], 1.0
	v_mul_f64 v[96:97], v[96:97], -v[94:95]
.LBB23_106:
	s_or_b32 exec_lo, exec_lo, s1
	ds_write2_b64 v1, v[94:95], v[96:97] offset1:1
.LBB23_107:
	s_or_b32 exec_lo, exec_lo, s2
	s_waitcnt lgkmcnt(0)
	s_barrier
	buffer_gl0_inv
	ds_read2_b64 v[94:97], v1 offset1:1
	s_mov_b32 s1, exec_lo
	v_cmpx_lt_u32_e32 11, v0
	s_cbranch_execz .LBB23_109
; %bb.108:
	s_waitcnt lgkmcnt(0)
	v_mul_f64 v[0:1], v[96:97], v[28:29]
	v_mul_f64 v[28:29], v[94:95], v[28:29]
	v_fma_f64 v[0:1], v[94:95], v[26:27], -v[0:1]
	v_fma_f64 v[28:29], v[96:97], v[26:27], v[28:29]
	v_mov_b32_e32 v27, v1
	v_mov_b32_e32 v26, v0
.LBB23_109:
	s_or_b32 exec_lo, exec_lo, s1
	s_waitcnt lgkmcnt(0)
	s_barrier
	buffer_gl0_inv
	s_and_saveexec_b32 s6, s0
	s_cbranch_execz .LBB23_112
; %bb.110:
	v_lshlrev_b64 v[0:1], 2, v[110:111]
	v_cmp_eq_f64_e64 s0, 0, v[52:53]
	v_cmp_neq_f64_e64 s1, 0, v[54:55]
	v_cmp_neq_f64_e64 s2, 0, v[56:57]
	v_cmp_eq_f64_e64 s3, 0, v[58:59]
	v_cmp_eq_f64_e64 s4, 0, v[60:61]
	v_add_co_u32 v0, vcc_lo, s10, v0
	v_add_co_ci_u32_e64 v1, null, s11, v1, vcc_lo
	v_cmp_eq_f64_e32 vcc_lo, 0, v[50:51]
	v_cmp_eq_f64_e64 s5, 0, v[62:63]
	global_load_dword v110, v[0:1], off
	s_or_b32 s1, s1, s2
	v_cmp_eq_f64_e64 s2, 0, v[68:69]
	s_and_b32 s3, s3, s4
	v_cmp_eq_f64_e64 s4, 0, v[72:73]
	s_and_b32 s0, vcc_lo, s0
	v_cmp_eq_f64_e32 vcc_lo, 0, v[64:65]
	v_cndmask_b32_e64 v50, 0, 1, s0
	s_or_b32 s0, s1, s0
	v_cmp_eq_f64_e64 s1, 0, v[66:67]
	v_cndmask_b32_e64 v50, 2, v50, s0
	v_cmp_eq_u32_e64 s0, 0, v50
	s_and_b32 s0, s3, s0
	v_cmp_eq_f64_e64 s3, 0, v[70:71]
	v_cndmask_b32_e64 v50, v50, 3, s0
	s_and_b32 s5, s5, vcc_lo
	v_cmp_eq_u32_e64 s0, 0, v50
	s_and_b32 s1, s1, s2
	v_cmp_eq_f64_e64 s2, 0, v[80:81]
	s_and_b32 s0, s5, s0
	v_cmp_eq_f64_e64 s5, 0, v[76:77]
	v_cndmask_b32_e64 v50, v50, 4, s0
	v_cmp_eq_f64_e64 s0, 0, v[74:75]
	v_cmp_eq_u32_e32 vcc_lo, 0, v50
	s_and_b32 s3, s3, s4
	s_and_b32 s1, s1, vcc_lo
	v_cmp_eq_f64_e64 s4, 0, v[84:85]
	v_cndmask_b32_e64 v50, v50, 5, s1
	v_cmp_eq_f64_e64 s1, 0, v[78:79]
	v_cmp_eq_u32_e32 vcc_lo, 0, v50
	s_and_b32 s3, s3, vcc_lo
	s_and_b32 s0, s0, s5
	v_cndmask_b32_e64 v50, v50, 6, s3
	v_cmp_eq_f64_e64 s3, 0, v[82:83]
	v_cmp_eq_f64_e64 s5, 0, v[88:89]
	v_cmp_eq_u32_e32 vcc_lo, 0, v50
	s_and_b32 s0, s0, vcc_lo
	s_and_b32 s1, s1, s2
	v_cndmask_b32_e64 v50, v50, 7, s0
	v_cmp_eq_f64_e64 s0, 0, v[86:87]
	;; [unrolled: 6-line block ×4, first 2 shown]
	v_cmp_eq_u32_e32 vcc_lo, 0, v50
	s_and_b32 s0, s0, vcc_lo
	v_cndmask_b32_e64 v50, v50, 10, s0
	s_and_b32 s0, s1, s2
	v_cmp_eq_u32_e32 vcc_lo, 0, v50
	s_and_b32 s0, s0, vcc_lo
	v_cndmask_b32_e64 v50, v50, 11, s0
	s_and_b32 s0, s3, s4
	v_cmp_eq_u32_e32 vcc_lo, 0, v50
	s_and_b32 s0, s0, vcc_lo
	v_cndmask_b32_e64 v50, v50, 12, s0
	v_cmp_ne_u32_e64 s0, 0, v50
	s_waitcnt vmcnt(0)
	v_cmp_eq_u32_e32 vcc_lo, 0, v110
	s_and_b32 s0, vcc_lo, s0
	s_and_b32 exec_lo, exec_lo, s0
	s_cbranch_execz .LBB23_112
; %bb.111:
	v_add_nc_u32_e32 v50, s13, v50
	global_store_dword v[0:1], v50, off
.LBB23_112:
	s_or_b32 exec_lo, exec_lo, s6
	global_store_dwordx4 v[104:105], v[14:17], off
	global_store_dwordx4 v[106:107], v[10:13], off
	;; [unrolled: 1-line block ×12, first 2 shown]
.LBB23_113:
	s_endpgm
	.section	.rodata,"a",@progbits
	.p2align	6, 0x0
	.amdhsa_kernel _ZN9rocsolver6v33100L23getf2_npvt_small_kernelILi12E19rocblas_complex_numIdEiiPS3_EEvT1_T3_lS5_lPT2_S5_S5_
		.amdhsa_group_segment_fixed_size 0
		.amdhsa_private_segment_fixed_size 0
		.amdhsa_kernarg_size 312
		.amdhsa_user_sgpr_count 6
		.amdhsa_user_sgpr_private_segment_buffer 1
		.amdhsa_user_sgpr_dispatch_ptr 0
		.amdhsa_user_sgpr_queue_ptr 0
		.amdhsa_user_sgpr_kernarg_segment_ptr 1
		.amdhsa_user_sgpr_dispatch_id 0
		.amdhsa_user_sgpr_flat_scratch_init 0
		.amdhsa_user_sgpr_private_segment_size 0
		.amdhsa_wavefront_size32 1
		.amdhsa_uses_dynamic_stack 0
		.amdhsa_system_sgpr_private_segment_wavefront_offset 0
		.amdhsa_system_sgpr_workgroup_id_x 1
		.amdhsa_system_sgpr_workgroup_id_y 1
		.amdhsa_system_sgpr_workgroup_id_z 0
		.amdhsa_system_sgpr_workgroup_info 0
		.amdhsa_system_vgpr_workitem_id 1
		.amdhsa_next_free_vgpr 132
		.amdhsa_next_free_sgpr 15
		.amdhsa_reserve_vcc 1
		.amdhsa_reserve_flat_scratch 0
		.amdhsa_float_round_mode_32 0
		.amdhsa_float_round_mode_16_64 0
		.amdhsa_float_denorm_mode_32 3
		.amdhsa_float_denorm_mode_16_64 3
		.amdhsa_dx10_clamp 1
		.amdhsa_ieee_mode 1
		.amdhsa_fp16_overflow 0
		.amdhsa_workgroup_processor_mode 1
		.amdhsa_memory_ordered 1
		.amdhsa_forward_progress 1
		.amdhsa_shared_vgpr_count 0
		.amdhsa_exception_fp_ieee_invalid_op 0
		.amdhsa_exception_fp_denorm_src 0
		.amdhsa_exception_fp_ieee_div_zero 0
		.amdhsa_exception_fp_ieee_overflow 0
		.amdhsa_exception_fp_ieee_underflow 0
		.amdhsa_exception_fp_ieee_inexact 0
		.amdhsa_exception_int_div_zero 0
	.end_amdhsa_kernel
	.section	.text._ZN9rocsolver6v33100L23getf2_npvt_small_kernelILi12E19rocblas_complex_numIdEiiPS3_EEvT1_T3_lS5_lPT2_S5_S5_,"axG",@progbits,_ZN9rocsolver6v33100L23getf2_npvt_small_kernelILi12E19rocblas_complex_numIdEiiPS3_EEvT1_T3_lS5_lPT2_S5_S5_,comdat
.Lfunc_end23:
	.size	_ZN9rocsolver6v33100L23getf2_npvt_small_kernelILi12E19rocblas_complex_numIdEiiPS3_EEvT1_T3_lS5_lPT2_S5_S5_, .Lfunc_end23-_ZN9rocsolver6v33100L23getf2_npvt_small_kernelILi12E19rocblas_complex_numIdEiiPS3_EEvT1_T3_lS5_lPT2_S5_S5_
                                        ; -- End function
	.set _ZN9rocsolver6v33100L23getf2_npvt_small_kernelILi12E19rocblas_complex_numIdEiiPS3_EEvT1_T3_lS5_lPT2_S5_S5_.num_vgpr, 132
	.set _ZN9rocsolver6v33100L23getf2_npvt_small_kernelILi12E19rocblas_complex_numIdEiiPS3_EEvT1_T3_lS5_lPT2_S5_S5_.num_agpr, 0
	.set _ZN9rocsolver6v33100L23getf2_npvt_small_kernelILi12E19rocblas_complex_numIdEiiPS3_EEvT1_T3_lS5_lPT2_S5_S5_.numbered_sgpr, 15
	.set _ZN9rocsolver6v33100L23getf2_npvt_small_kernelILi12E19rocblas_complex_numIdEiiPS3_EEvT1_T3_lS5_lPT2_S5_S5_.num_named_barrier, 0
	.set _ZN9rocsolver6v33100L23getf2_npvt_small_kernelILi12E19rocblas_complex_numIdEiiPS3_EEvT1_T3_lS5_lPT2_S5_S5_.private_seg_size, 0
	.set _ZN9rocsolver6v33100L23getf2_npvt_small_kernelILi12E19rocblas_complex_numIdEiiPS3_EEvT1_T3_lS5_lPT2_S5_S5_.uses_vcc, 1
	.set _ZN9rocsolver6v33100L23getf2_npvt_small_kernelILi12E19rocblas_complex_numIdEiiPS3_EEvT1_T3_lS5_lPT2_S5_S5_.uses_flat_scratch, 0
	.set _ZN9rocsolver6v33100L23getf2_npvt_small_kernelILi12E19rocblas_complex_numIdEiiPS3_EEvT1_T3_lS5_lPT2_S5_S5_.has_dyn_sized_stack, 0
	.set _ZN9rocsolver6v33100L23getf2_npvt_small_kernelILi12E19rocblas_complex_numIdEiiPS3_EEvT1_T3_lS5_lPT2_S5_S5_.has_recursion, 0
	.set _ZN9rocsolver6v33100L23getf2_npvt_small_kernelILi12E19rocblas_complex_numIdEiiPS3_EEvT1_T3_lS5_lPT2_S5_S5_.has_indirect_call, 0
	.section	.AMDGPU.csdata,"",@progbits
; Kernel info:
; codeLenInByte = 12708
; TotalNumSgprs: 17
; NumVgprs: 132
; ScratchSize: 0
; MemoryBound: 0
; FloatMode: 240
; IeeeMode: 1
; LDSByteSize: 0 bytes/workgroup (compile time only)
; SGPRBlocks: 0
; VGPRBlocks: 16
; NumSGPRsForWavesPerEU: 17
; NumVGPRsForWavesPerEU: 132
; Occupancy: 7
; WaveLimiterHint : 0
; COMPUTE_PGM_RSRC2:SCRATCH_EN: 0
; COMPUTE_PGM_RSRC2:USER_SGPR: 6
; COMPUTE_PGM_RSRC2:TRAP_HANDLER: 0
; COMPUTE_PGM_RSRC2:TGID_X_EN: 1
; COMPUTE_PGM_RSRC2:TGID_Y_EN: 1
; COMPUTE_PGM_RSRC2:TGID_Z_EN: 0
; COMPUTE_PGM_RSRC2:TIDIG_COMP_CNT: 1
	.section	.text._ZN9rocsolver6v33100L18getf2_small_kernelILi13E19rocblas_complex_numIdEiiPS3_EEvT1_T3_lS5_lPS5_llPT2_S5_S5_S7_l,"axG",@progbits,_ZN9rocsolver6v33100L18getf2_small_kernelILi13E19rocblas_complex_numIdEiiPS3_EEvT1_T3_lS5_lPS5_llPT2_S5_S5_S7_l,comdat
	.globl	_ZN9rocsolver6v33100L18getf2_small_kernelILi13E19rocblas_complex_numIdEiiPS3_EEvT1_T3_lS5_lPS5_llPT2_S5_S5_S7_l ; -- Begin function _ZN9rocsolver6v33100L18getf2_small_kernelILi13E19rocblas_complex_numIdEiiPS3_EEvT1_T3_lS5_lPS5_llPT2_S5_S5_S7_l
	.p2align	8
	.type	_ZN9rocsolver6v33100L18getf2_small_kernelILi13E19rocblas_complex_numIdEiiPS3_EEvT1_T3_lS5_lPS5_llPT2_S5_S5_S7_l,@function
_ZN9rocsolver6v33100L18getf2_small_kernelILi13E19rocblas_complex_numIdEiiPS3_EEvT1_T3_lS5_lPS5_llPT2_S5_S5_S7_l: ; @_ZN9rocsolver6v33100L18getf2_small_kernelILi13E19rocblas_complex_numIdEiiPS3_EEvT1_T3_lS5_lPS5_llPT2_S5_S5_S7_l
; %bb.0:
	s_clause 0x1
	s_load_dword s0, s[4:5], 0x6c
	s_load_dwordx2 s[16:17], s[4:5], 0x48
	s_waitcnt lgkmcnt(0)
	s_lshr_b32 s0, s0, 16
	v_mad_u64_u32 v[58:59], null, s7, s0, v[1:2]
	s_mov_b32 s0, exec_lo
	v_cmpx_gt_i32_e64 s16, v58
	s_cbranch_execz .LBB24_276
; %bb.1:
	s_load_dwordx4 s[0:3], s[4:5], 0x50
	v_mov_b32_e32 v60, 0
	v_ashrrev_i32_e32 v59, 31, v58
	v_mov_b32_e32 v61, 0
	s_waitcnt lgkmcnt(0)
	s_cmp_eq_u64 s[0:1], 0
	s_cselect_b32 s16, -1, 0
	s_and_b32 vcc_lo, exec_lo, s16
	s_cbranch_vccnz .LBB24_3
; %bb.2:
	v_mul_lo_u32 v4, s3, v58
	v_mul_lo_u32 v5, s2, v59
	v_mad_u64_u32 v[2:3], null, s2, v58, 0
	v_add3_u32 v3, v3, v5, v4
	v_lshlrev_b64 v[2:3], 2, v[2:3]
	v_add_co_u32 v60, vcc_lo, s0, v2
	v_add_co_ci_u32_e64 v61, null, s1, v3, vcc_lo
.LBB24_3:
	s_clause 0x2
	s_load_dwordx8 s[8:15], s[4:5], 0x20
	s_load_dword s6, s[4:5], 0x18
	s_load_dwordx4 s[0:3], s[4:5], 0x8
	v_lshlrev_b32_e32 v56, 4, v0
	s_clause 0x1
	s_load_dword s18, s[4:5], 0x0
	s_load_dwordx2 s[4:5], s[4:5], 0x40
	s_waitcnt lgkmcnt(0)
	v_mul_lo_u32 v5, s9, v58
	v_mul_lo_u32 v7, s8, v59
	v_mad_u64_u32 v[2:3], null, s8, v58, 0
	v_add3_u32 v4, s6, s6, v0
	s_lshl_b64 s[2:3], s[2:3], 4
	s_ashr_i32 s7, s6, 31
	s_lshl_b64 s[8:9], s[6:7], 4
	v_add_nc_u32_e32 v6, s6, v4
	v_add3_u32 v3, v3, v7, v5
	v_ashrrev_i32_e32 v5, 31, v4
	v_add_nc_u32_e32 v8, s6, v6
	v_lshlrev_b64 v[2:3], 4, v[2:3]
	v_ashrrev_i32_e32 v7, 31, v6
	v_lshlrev_b64 v[4:5], 4, v[4:5]
	v_add_nc_u32_e32 v10, s6, v8
	v_ashrrev_i32_e32 v9, 31, v8
	v_add_co_u32 v12, vcc_lo, s0, v2
	v_add_co_ci_u32_e64 v13, null, s1, v3, vcc_lo
	v_lshlrev_b64 v[6:7], 4, v[6:7]
	v_add_co_u32 v65, vcc_lo, v12, s2
	v_add_co_ci_u32_e64 v66, null, s3, v13, vcc_lo
	v_ashrrev_i32_e32 v11, 31, v10
	v_add_co_u32 v13, vcc_lo, v65, v56
	v_lshlrev_b64 v[2:3], 4, v[8:9]
	v_add_nc_u32_e32 v8, s6, v10
	v_add_co_ci_u32_e64 v14, null, 0, v66, vcc_lo
	v_add_co_u32 v4, vcc_lo, v65, v4
	v_add_co_ci_u32_e64 v5, null, v66, v5, vcc_lo
	v_add_co_u32 v6, vcc_lo, v65, v6
	v_lshlrev_b64 v[10:11], 4, v[10:11]
	v_add_co_ci_u32_e64 v7, null, v66, v7, vcc_lo
	v_add_co_u32 v15, vcc_lo, v13, s8
	v_add_nc_u32_e32 v12, s6, v8
	v_add_co_ci_u32_e64 v16, null, s9, v14, vcc_lo
	v_add_co_u32 v2, vcc_lo, v65, v2
	v_ashrrev_i32_e32 v9, 31, v8
	v_add_co_ci_u32_e64 v3, null, v66, v3, vcc_lo
	v_add_co_u32 v10, vcc_lo, v65, v10
	s_clause 0x1
	global_load_dwordx4 v[50:53], v[13:14], off
	global_load_dwordx4 v[42:45], v[15:16], off
	v_ashrrev_i32_e32 v13, 31, v12
	v_add_co_ci_u32_e64 v11, null, v66, v11, vcc_lo
	s_clause 0x1
	global_load_dwordx4 v[46:49], v[4:5], off
	global_load_dwordx4 v[38:41], v[6:7], off
	v_add_nc_u32_e32 v6, s6, v12
	v_lshlrev_b64 v[4:5], 4, v[8:9]
	s_clause 0x1
	global_load_dwordx4 v[34:37], v[2:3], off
	global_load_dwordx4 v[30:33], v[10:11], off
	v_lshlrev_b64 v[2:3], 4, v[12:13]
	s_max_i32 s0, s18, 13
	v_add_nc_u32_e32 v8, s6, v6
	v_ashrrev_i32_e32 v7, 31, v6
	v_add_co_u32 v4, vcc_lo, v65, v4
	v_add_co_ci_u32_e64 v5, null, v66, v5, vcc_lo
	v_add_co_u32 v2, vcc_lo, v65, v2
	v_add_nc_u32_e32 v10, s6, v8
	v_add_co_ci_u32_e64 v3, null, v66, v3, vcc_lo
	v_ashrrev_i32_e32 v9, 31, v8
	s_clause 0x1
	global_load_dwordx4 v[26:29], v[4:5], off
	global_load_dwordx4 v[22:25], v[2:3], off
	v_ashrrev_i32_e32 v11, 31, v10
	v_add_nc_u32_e32 v4, s6, v10
	v_lshlrev_b64 v[2:3], 4, v[8:9]
	v_lshlrev_b64 v[6:7], 4, v[6:7]
	v_mul_lo_u32 v62, s0, v1
	v_lshlrev_b64 v[8:9], 4, v[10:11]
	v_add_nc_u32_e32 v10, s6, v4
	v_ashrrev_i32_e32 v5, 31, v4
	s_cmp_lt_i32 s18, 2
	v_add_co_u32 v6, vcc_lo, v65, v6
	v_ashrrev_i32_e32 v11, 31, v10
	v_lshlrev_b64 v[4:5], 4, v[4:5]
	v_add_co_ci_u32_e64 v7, null, v66, v7, vcc_lo
	v_add_co_u32 v2, vcc_lo, v65, v2
	v_lshlrev_b64 v[10:11], 4, v[10:11]
	v_add_co_ci_u32_e64 v3, null, v66, v3, vcc_lo
	v_add_co_u32 v8, vcc_lo, v65, v8
	v_add_co_ci_u32_e64 v9, null, v66, v9, vcc_lo
	v_add_co_u32 v4, vcc_lo, v65, v4
	;; [unrolled: 2-line block ×3, first 2 shown]
	v_add_co_ci_u32_e64 v55, null, v66, v11, vcc_lo
	s_clause 0x4
	global_load_dwordx4 v[18:21], v[6:7], off
	global_load_dwordx4 v[14:17], v[2:3], off
	;; [unrolled: 1-line block ×5, first 2 shown]
	v_lshl_add_u32 v1, v62, 4, 0
	v_lshlrev_b32_e32 v64, 4, v62
	v_mov_b32_e32 v62, 0
	v_add_nc_u32_e32 v54, v1, v56
	s_waitcnt vmcnt(12)
	ds_write2_b64 v54, v[50:51], v[52:53] offset1:1
	s_waitcnt vmcnt(0) lgkmcnt(0)
	s_barrier
	buffer_gl0_inv
	ds_read2_b64 v[54:57], v1 offset1:1
	s_cbranch_scc1 .LBB24_6
; %bb.4:
	v_add3_u32 v63, v64, 0, 16
	v_mov_b32_e32 v62, 0
	s_mov_b32 s1, 1
	s_inst_prefetch 0x1
	.p2align	6
.LBB24_5:                               ; =>This Inner Loop Header: Depth=1
	s_waitcnt lgkmcnt(0)
	v_cmp_gt_f64_e32 vcc_lo, 0, v[56:57]
	v_cmp_gt_f64_e64 s0, 0, v[54:55]
	ds_read2_b64 v[67:70], v63 offset1:1
	v_xor_b32_e32 v72, 0x80000000, v55
	v_xor_b32_e32 v74, 0x80000000, v57
	v_mov_b32_e32 v71, v54
	v_mov_b32_e32 v73, v56
	v_add_nc_u32_e32 v63, 16, v63
	s_waitcnt lgkmcnt(0)
	v_xor_b32_e32 v76, 0x80000000, v70
	v_cndmask_b32_e64 v72, v55, v72, s0
	v_cndmask_b32_e32 v74, v57, v74, vcc_lo
	v_cmp_gt_f64_e32 vcc_lo, 0, v[69:70]
	v_cmp_gt_f64_e64 s0, 0, v[67:68]
	v_mov_b32_e32 v75, v69
	v_add_f64 v[71:72], v[71:72], v[73:74]
	v_xor_b32_e32 v74, 0x80000000, v68
	v_mov_b32_e32 v73, v67
	v_cndmask_b32_e32 v76, v70, v76, vcc_lo
	v_cndmask_b32_e64 v74, v68, v74, s0
	v_add_f64 v[73:74], v[73:74], v[75:76]
	v_cmp_lt_f64_e32 vcc_lo, v[71:72], v[73:74]
	v_cndmask_b32_e32 v55, v55, v68, vcc_lo
	v_cndmask_b32_e32 v54, v54, v67, vcc_lo
	;; [unrolled: 1-line block ×4, first 2 shown]
	v_cndmask_b32_e64 v62, v62, s1, vcc_lo
	s_add_i32 s1, s1, 1
	s_cmp_eq_u32 s18, s1
	s_cbranch_scc0 .LBB24_5
.LBB24_6:
	s_inst_prefetch 0x2
	s_waitcnt lgkmcnt(0)
	v_cmp_neq_f64_e32 vcc_lo, 0, v[54:55]
	v_cmp_neq_f64_e64 s0, 0, v[56:57]
	v_mov_b32_e32 v67, 1
	v_mov_b32_e32 v69, 1
	s_or_b32 s1, vcc_lo, s0
	s_and_saveexec_b32 s0, s1
	s_cbranch_execz .LBB24_12
; %bb.7:
	v_cmp_ngt_f64_e64 s1, |v[54:55]|, |v[56:57]|
	s_and_saveexec_b32 s2, s1
	s_xor_b32 s1, exec_lo, s2
	s_cbranch_execz .LBB24_9
; %bb.8:
	v_div_scale_f64 v[67:68], null, v[56:57], v[56:57], v[54:55]
	v_div_scale_f64 v[73:74], vcc_lo, v[54:55], v[56:57], v[54:55]
	v_rcp_f64_e32 v[69:70], v[67:68]
	v_fma_f64 v[71:72], -v[67:68], v[69:70], 1.0
	v_fma_f64 v[69:70], v[69:70], v[71:72], v[69:70]
	v_fma_f64 v[71:72], -v[67:68], v[69:70], 1.0
	v_fma_f64 v[69:70], v[69:70], v[71:72], v[69:70]
	v_mul_f64 v[71:72], v[73:74], v[69:70]
	v_fma_f64 v[67:68], -v[67:68], v[71:72], v[73:74]
	v_div_fmas_f64 v[67:68], v[67:68], v[69:70], v[71:72]
	v_div_fixup_f64 v[67:68], v[67:68], v[56:57], v[54:55]
	v_fma_f64 v[54:55], v[54:55], v[67:68], v[56:57]
	v_div_scale_f64 v[56:57], null, v[54:55], v[54:55], 1.0
	v_rcp_f64_e32 v[69:70], v[56:57]
	v_fma_f64 v[71:72], -v[56:57], v[69:70], 1.0
	v_fma_f64 v[69:70], v[69:70], v[71:72], v[69:70]
	v_fma_f64 v[71:72], -v[56:57], v[69:70], 1.0
	v_fma_f64 v[69:70], v[69:70], v[71:72], v[69:70]
	v_div_scale_f64 v[71:72], vcc_lo, 1.0, v[54:55], 1.0
	v_mul_f64 v[73:74], v[71:72], v[69:70]
	v_fma_f64 v[56:57], -v[56:57], v[73:74], v[71:72]
	v_div_fmas_f64 v[56:57], v[56:57], v[69:70], v[73:74]
	v_div_fixup_f64 v[56:57], v[56:57], v[54:55], 1.0
	v_mul_f64 v[54:55], v[67:68], v[56:57]
	v_xor_b32_e32 v57, 0x80000000, v57
.LBB24_9:
	s_andn2_saveexec_b32 s1, s1
	s_cbranch_execz .LBB24_11
; %bb.10:
	v_div_scale_f64 v[67:68], null, v[54:55], v[54:55], v[56:57]
	v_div_scale_f64 v[73:74], vcc_lo, v[56:57], v[54:55], v[56:57]
	v_rcp_f64_e32 v[69:70], v[67:68]
	v_fma_f64 v[71:72], -v[67:68], v[69:70], 1.0
	v_fma_f64 v[69:70], v[69:70], v[71:72], v[69:70]
	v_fma_f64 v[71:72], -v[67:68], v[69:70], 1.0
	v_fma_f64 v[69:70], v[69:70], v[71:72], v[69:70]
	v_mul_f64 v[71:72], v[73:74], v[69:70]
	v_fma_f64 v[67:68], -v[67:68], v[71:72], v[73:74]
	v_div_fmas_f64 v[67:68], v[67:68], v[69:70], v[71:72]
	v_div_fixup_f64 v[67:68], v[67:68], v[54:55], v[56:57]
	v_fma_f64 v[54:55], v[56:57], v[67:68], v[54:55]
	v_div_scale_f64 v[56:57], null, v[54:55], v[54:55], 1.0
	v_rcp_f64_e32 v[69:70], v[56:57]
	v_fma_f64 v[71:72], -v[56:57], v[69:70], 1.0
	v_fma_f64 v[69:70], v[69:70], v[71:72], v[69:70]
	v_fma_f64 v[71:72], -v[56:57], v[69:70], 1.0
	v_fma_f64 v[69:70], v[69:70], v[71:72], v[69:70]
	v_div_scale_f64 v[71:72], vcc_lo, 1.0, v[54:55], 1.0
	v_mul_f64 v[73:74], v[71:72], v[69:70]
	v_fma_f64 v[56:57], -v[56:57], v[73:74], v[71:72]
	v_div_fmas_f64 v[56:57], v[56:57], v[69:70], v[73:74]
	v_div_fixup_f64 v[54:55], v[56:57], v[54:55], 1.0
	v_mul_f64 v[56:57], v[67:68], -v[54:55]
.LBB24_11:
	s_or_b32 exec_lo, exec_lo, s1
	v_mov_b32_e32 v69, 0
	v_mov_b32_e32 v67, 2
.LBB24_12:
	s_or_b32 exec_lo, exec_lo, s0
	s_mov_b32 s0, exec_lo
	v_cmpx_ne_u32_e64 v0, v62
	s_xor_b32 s0, exec_lo, s0
	s_cbranch_execz .LBB24_18
; %bb.13:
	s_mov_b32 s1, exec_lo
	v_cmpx_eq_u32_e32 0, v0
	s_cbranch_execz .LBB24_17
; %bb.14:
	v_cmp_ne_u32_e32 vcc_lo, 0, v62
	s_xor_b32 s2, s16, -1
	s_and_b32 s3, s2, vcc_lo
	s_and_saveexec_b32 s2, s3
	s_cbranch_execz .LBB24_16
; %bb.15:
	v_ashrrev_i32_e32 v63, 31, v62
	v_lshlrev_b64 v[70:71], 2, v[62:63]
	v_add_co_u32 v70, vcc_lo, v60, v70
	v_add_co_ci_u32_e64 v71, null, v61, v71, vcc_lo
	s_clause 0x1
	global_load_dword v0, v[70:71], off
	global_load_dword v63, v[60:61], off
	s_waitcnt vmcnt(1)
	global_store_dword v[60:61], v0, off
	s_waitcnt vmcnt(0)
	global_store_dword v[70:71], v63, off
.LBB24_16:
	s_or_b32 exec_lo, exec_lo, s2
	v_mov_b32_e32 v0, v62
.LBB24_17:
	s_or_b32 exec_lo, exec_lo, s1
.LBB24_18:
	s_or_saveexec_b32 s0, s0
	v_mov_b32_e32 v68, v0
	s_xor_b32 exec_lo, exec_lo, s0
	s_cbranch_execz .LBB24_20
; %bb.19:
	v_mov_b32_e32 v68, 0
	ds_write2_b64 v1, v[42:43], v[44:45] offset0:2 offset1:3
	ds_write2_b64 v1, v[46:47], v[48:49] offset0:4 offset1:5
	;; [unrolled: 1-line block ×12, first 2 shown]
.LBB24_20:
	s_or_b32 exec_lo, exec_lo, s0
	s_mov_b32 s0, exec_lo
	s_waitcnt lgkmcnt(0)
	s_waitcnt_vscnt null, 0x0
	s_barrier
	buffer_gl0_inv
	v_cmpx_lt_i32_e32 0, v68
	s_cbranch_execz .LBB24_22
; %bb.21:
	v_mul_f64 v[62:63], v[54:55], v[52:53]
	v_mul_f64 v[52:53], v[56:57], v[52:53]
	v_fma_f64 v[62:63], v[56:57], v[50:51], v[62:63]
	v_fma_f64 v[50:51], v[54:55], v[50:51], -v[52:53]
	ds_read2_b64 v[52:55], v1 offset0:2 offset1:3
	s_waitcnt lgkmcnt(0)
	v_mul_f64 v[56:57], v[54:55], v[62:63]
	v_fma_f64 v[56:57], v[52:53], v[50:51], -v[56:57]
	v_mul_f64 v[52:53], v[52:53], v[62:63]
	v_add_f64 v[42:43], v[42:43], -v[56:57]
	v_fma_f64 v[52:53], v[54:55], v[50:51], v[52:53]
	v_add_f64 v[44:45], v[44:45], -v[52:53]
	ds_read2_b64 v[52:55], v1 offset0:4 offset1:5
	s_waitcnt lgkmcnt(0)
	v_mul_f64 v[56:57], v[54:55], v[62:63]
	v_fma_f64 v[56:57], v[52:53], v[50:51], -v[56:57]
	v_mul_f64 v[52:53], v[52:53], v[62:63]
	v_add_f64 v[46:47], v[46:47], -v[56:57]
	v_fma_f64 v[52:53], v[54:55], v[50:51], v[52:53]
	v_add_f64 v[48:49], v[48:49], -v[52:53]
	;; [unrolled: 8-line block ×12, first 2 shown]
	v_mov_b32_e32 v52, v62
	v_mov_b32_e32 v53, v63
.LBB24_22:
	s_or_b32 exec_lo, exec_lo, s0
	v_lshl_add_u32 v54, v68, 4, v1
	s_barrier
	buffer_gl0_inv
	v_mov_b32_e32 v62, 1
	ds_write2_b64 v54, v[42:43], v[44:45] offset1:1
	s_waitcnt lgkmcnt(0)
	s_barrier
	buffer_gl0_inv
	ds_read2_b64 v[54:57], v1 offset0:2 offset1:3
	s_cmp_lt_i32 s18, 3
	s_cbranch_scc1 .LBB24_25
; %bb.23:
	v_add3_u32 v63, v64, 0, 32
	v_mov_b32_e32 v62, 1
	s_mov_b32 s3, 2
	s_inst_prefetch 0x1
	.p2align	6
.LBB24_24:                              ; =>This Inner Loop Header: Depth=1
	ds_read2_b64 v[70:73], v63 offset1:1
	s_waitcnt lgkmcnt(1)
	v_cmp_gt_f64_e32 vcc_lo, 0, v[54:55]
	v_cmp_gt_f64_e64 s0, 0, v[56:57]
	v_xor_b32_e32 v75, 0x80000000, v55
	v_xor_b32_e32 v77, 0x80000000, v57
	v_mov_b32_e32 v74, v54
	v_mov_b32_e32 v76, v56
	v_add_nc_u32_e32 v63, 16, v63
	s_waitcnt lgkmcnt(0)
	v_cmp_gt_f64_e64 s1, 0, v[70:71]
	v_cmp_gt_f64_e64 s2, 0, v[72:73]
	v_xor_b32_e32 v79, 0x80000000, v71
	v_xor_b32_e32 v81, 0x80000000, v73
	v_mov_b32_e32 v78, v70
	v_mov_b32_e32 v80, v72
	v_cndmask_b32_e32 v75, v55, v75, vcc_lo
	v_cndmask_b32_e64 v77, v57, v77, s0
	v_add_f64 v[74:75], v[74:75], v[76:77]
	v_cndmask_b32_e64 v79, v71, v79, s1
	v_cndmask_b32_e64 v81, v73, v81, s2
	v_add_f64 v[76:77], v[78:79], v[80:81]
	v_cmp_lt_f64_e32 vcc_lo, v[74:75], v[76:77]
	v_cndmask_b32_e32 v55, v55, v71, vcc_lo
	v_cndmask_b32_e32 v54, v54, v70, vcc_lo
	;; [unrolled: 1-line block ×4, first 2 shown]
	v_cndmask_b32_e64 v62, v62, s3, vcc_lo
	s_add_i32 s3, s3, 1
	s_cmp_lg_u32 s18, s3
	s_cbranch_scc1 .LBB24_24
.LBB24_25:
	s_inst_prefetch 0x2
	s_waitcnt lgkmcnt(0)
	v_cmp_neq_f64_e32 vcc_lo, 0, v[54:55]
	v_cmp_neq_f64_e64 s0, 0, v[56:57]
	s_or_b32 s1, vcc_lo, s0
	s_and_saveexec_b32 s0, s1
	s_cbranch_execz .LBB24_31
; %bb.26:
	v_cmp_ngt_f64_e64 s1, |v[54:55]|, |v[56:57]|
	s_and_saveexec_b32 s2, s1
	s_xor_b32 s1, exec_lo, s2
	s_cbranch_execz .LBB24_28
; %bb.27:
	v_div_scale_f64 v[70:71], null, v[56:57], v[56:57], v[54:55]
	v_div_scale_f64 v[76:77], vcc_lo, v[54:55], v[56:57], v[54:55]
	v_rcp_f64_e32 v[72:73], v[70:71]
	v_fma_f64 v[74:75], -v[70:71], v[72:73], 1.0
	v_fma_f64 v[72:73], v[72:73], v[74:75], v[72:73]
	v_fma_f64 v[74:75], -v[70:71], v[72:73], 1.0
	v_fma_f64 v[72:73], v[72:73], v[74:75], v[72:73]
	v_mul_f64 v[74:75], v[76:77], v[72:73]
	v_fma_f64 v[70:71], -v[70:71], v[74:75], v[76:77]
	v_div_fmas_f64 v[70:71], v[70:71], v[72:73], v[74:75]
	v_div_fixup_f64 v[70:71], v[70:71], v[56:57], v[54:55]
	v_fma_f64 v[54:55], v[54:55], v[70:71], v[56:57]
	v_div_scale_f64 v[56:57], null, v[54:55], v[54:55], 1.0
	v_rcp_f64_e32 v[72:73], v[56:57]
	v_fma_f64 v[74:75], -v[56:57], v[72:73], 1.0
	v_fma_f64 v[72:73], v[72:73], v[74:75], v[72:73]
	v_fma_f64 v[74:75], -v[56:57], v[72:73], 1.0
	v_fma_f64 v[72:73], v[72:73], v[74:75], v[72:73]
	v_div_scale_f64 v[74:75], vcc_lo, 1.0, v[54:55], 1.0
	v_mul_f64 v[76:77], v[74:75], v[72:73]
	v_fma_f64 v[56:57], -v[56:57], v[76:77], v[74:75]
	v_div_fmas_f64 v[56:57], v[56:57], v[72:73], v[76:77]
	v_div_fixup_f64 v[56:57], v[56:57], v[54:55], 1.0
	v_mul_f64 v[54:55], v[70:71], v[56:57]
	v_xor_b32_e32 v57, 0x80000000, v57
.LBB24_28:
	s_andn2_saveexec_b32 s1, s1
	s_cbranch_execz .LBB24_30
; %bb.29:
	v_div_scale_f64 v[70:71], null, v[54:55], v[54:55], v[56:57]
	v_div_scale_f64 v[76:77], vcc_lo, v[56:57], v[54:55], v[56:57]
	v_rcp_f64_e32 v[72:73], v[70:71]
	v_fma_f64 v[74:75], -v[70:71], v[72:73], 1.0
	v_fma_f64 v[72:73], v[72:73], v[74:75], v[72:73]
	v_fma_f64 v[74:75], -v[70:71], v[72:73], 1.0
	v_fma_f64 v[72:73], v[72:73], v[74:75], v[72:73]
	v_mul_f64 v[74:75], v[76:77], v[72:73]
	v_fma_f64 v[70:71], -v[70:71], v[74:75], v[76:77]
	v_div_fmas_f64 v[70:71], v[70:71], v[72:73], v[74:75]
	v_div_fixup_f64 v[70:71], v[70:71], v[54:55], v[56:57]
	v_fma_f64 v[54:55], v[56:57], v[70:71], v[54:55]
	v_div_scale_f64 v[56:57], null, v[54:55], v[54:55], 1.0
	v_rcp_f64_e32 v[72:73], v[56:57]
	v_fma_f64 v[74:75], -v[56:57], v[72:73], 1.0
	v_fma_f64 v[72:73], v[72:73], v[74:75], v[72:73]
	v_fma_f64 v[74:75], -v[56:57], v[72:73], 1.0
	v_fma_f64 v[72:73], v[72:73], v[74:75], v[72:73]
	v_div_scale_f64 v[74:75], vcc_lo, 1.0, v[54:55], 1.0
	v_mul_f64 v[76:77], v[74:75], v[72:73]
	v_fma_f64 v[56:57], -v[56:57], v[76:77], v[74:75]
	v_div_fmas_f64 v[56:57], v[56:57], v[72:73], v[76:77]
	v_div_fixup_f64 v[54:55], v[56:57], v[54:55], 1.0
	v_mul_f64 v[56:57], v[70:71], -v[54:55]
.LBB24_30:
	s_or_b32 exec_lo, exec_lo, s1
	v_mov_b32_e32 v67, v69
.LBB24_31:
	s_or_b32 exec_lo, exec_lo, s0
	s_mov_b32 s0, exec_lo
	v_cmpx_ne_u32_e64 v68, v62
	s_xor_b32 s0, exec_lo, s0
	s_cbranch_execz .LBB24_37
; %bb.32:
	s_mov_b32 s1, exec_lo
	v_cmpx_eq_u32_e32 1, v68
	s_cbranch_execz .LBB24_36
; %bb.33:
	v_cmp_ne_u32_e32 vcc_lo, 1, v62
	s_xor_b32 s2, s16, -1
	s_and_b32 s3, s2, vcc_lo
	s_and_saveexec_b32 s2, s3
	s_cbranch_execz .LBB24_35
; %bb.34:
	v_ashrrev_i32_e32 v63, 31, v62
	v_lshlrev_b64 v[68:69], 2, v[62:63]
	v_add_co_u32 v68, vcc_lo, v60, v68
	v_add_co_ci_u32_e64 v69, null, v61, v69, vcc_lo
	s_clause 0x1
	global_load_dword v0, v[68:69], off
	global_load_dword v63, v[60:61], off offset:4
	s_waitcnt vmcnt(1)
	global_store_dword v[60:61], v0, off offset:4
	s_waitcnt vmcnt(0)
	global_store_dword v[68:69], v63, off
.LBB24_35:
	s_or_b32 exec_lo, exec_lo, s2
	v_mov_b32_e32 v68, v62
	v_mov_b32_e32 v0, v62
.LBB24_36:
	s_or_b32 exec_lo, exec_lo, s1
.LBB24_37:
	s_andn2_saveexec_b32 s0, s0
	s_cbranch_execz .LBB24_39
; %bb.38:
	v_mov_b32_e32 v68, 1
	ds_write2_b64 v1, v[46:47], v[48:49] offset0:4 offset1:5
	ds_write2_b64 v1, v[38:39], v[40:41] offset0:6 offset1:7
	;; [unrolled: 1-line block ×11, first 2 shown]
.LBB24_39:
	s_or_b32 exec_lo, exec_lo, s0
	s_mov_b32 s0, exec_lo
	s_waitcnt lgkmcnt(0)
	s_waitcnt_vscnt null, 0x0
	s_barrier
	buffer_gl0_inv
	v_cmpx_lt_i32_e32 1, v68
	s_cbranch_execz .LBB24_41
; %bb.40:
	v_mul_f64 v[62:63], v[54:55], v[44:45]
	v_mul_f64 v[44:45], v[56:57], v[44:45]
	v_fma_f64 v[62:63], v[56:57], v[42:43], v[62:63]
	v_fma_f64 v[42:43], v[54:55], v[42:43], -v[44:45]
	ds_read2_b64 v[54:57], v1 offset0:4 offset1:5
	s_waitcnt lgkmcnt(0)
	v_mul_f64 v[44:45], v[56:57], v[62:63]
	v_fma_f64 v[44:45], v[54:55], v[42:43], -v[44:45]
	v_mul_f64 v[54:55], v[54:55], v[62:63]
	v_add_f64 v[46:47], v[46:47], -v[44:45]
	v_fma_f64 v[54:55], v[56:57], v[42:43], v[54:55]
	v_add_f64 v[48:49], v[48:49], -v[54:55]
	ds_read2_b64 v[54:57], v1 offset0:6 offset1:7
	s_waitcnt lgkmcnt(0)
	v_mul_f64 v[44:45], v[56:57], v[62:63]
	v_fma_f64 v[44:45], v[54:55], v[42:43], -v[44:45]
	v_mul_f64 v[54:55], v[54:55], v[62:63]
	v_add_f64 v[38:39], v[38:39], -v[44:45]
	v_fma_f64 v[54:55], v[56:57], v[42:43], v[54:55]
	v_add_f64 v[40:41], v[40:41], -v[54:55]
	ds_read2_b64 v[54:57], v1 offset0:8 offset1:9
	s_waitcnt lgkmcnt(0)
	v_mul_f64 v[44:45], v[56:57], v[62:63]
	v_fma_f64 v[44:45], v[54:55], v[42:43], -v[44:45]
	v_mul_f64 v[54:55], v[54:55], v[62:63]
	v_add_f64 v[34:35], v[34:35], -v[44:45]
	v_fma_f64 v[54:55], v[56:57], v[42:43], v[54:55]
	v_add_f64 v[36:37], v[36:37], -v[54:55]
	ds_read2_b64 v[54:57], v1 offset0:10 offset1:11
	s_waitcnt lgkmcnt(0)
	v_mul_f64 v[44:45], v[56:57], v[62:63]
	v_fma_f64 v[44:45], v[54:55], v[42:43], -v[44:45]
	v_mul_f64 v[54:55], v[54:55], v[62:63]
	v_add_f64 v[30:31], v[30:31], -v[44:45]
	v_fma_f64 v[54:55], v[56:57], v[42:43], v[54:55]
	v_add_f64 v[32:33], v[32:33], -v[54:55]
	ds_read2_b64 v[54:57], v1 offset0:12 offset1:13
	s_waitcnt lgkmcnt(0)
	v_mul_f64 v[44:45], v[56:57], v[62:63]
	v_fma_f64 v[44:45], v[54:55], v[42:43], -v[44:45]
	v_mul_f64 v[54:55], v[54:55], v[62:63]
	v_add_f64 v[26:27], v[26:27], -v[44:45]
	v_fma_f64 v[54:55], v[56:57], v[42:43], v[54:55]
	v_add_f64 v[28:29], v[28:29], -v[54:55]
	ds_read2_b64 v[54:57], v1 offset0:14 offset1:15
	s_waitcnt lgkmcnt(0)
	v_mul_f64 v[44:45], v[56:57], v[62:63]
	v_fma_f64 v[44:45], v[54:55], v[42:43], -v[44:45]
	v_mul_f64 v[54:55], v[54:55], v[62:63]
	v_add_f64 v[22:23], v[22:23], -v[44:45]
	v_fma_f64 v[54:55], v[56:57], v[42:43], v[54:55]
	v_add_f64 v[24:25], v[24:25], -v[54:55]
	ds_read2_b64 v[54:57], v1 offset0:16 offset1:17
	s_waitcnt lgkmcnt(0)
	v_mul_f64 v[44:45], v[56:57], v[62:63]
	v_fma_f64 v[44:45], v[54:55], v[42:43], -v[44:45]
	v_mul_f64 v[54:55], v[54:55], v[62:63]
	v_add_f64 v[18:19], v[18:19], -v[44:45]
	v_fma_f64 v[54:55], v[56:57], v[42:43], v[54:55]
	v_add_f64 v[20:21], v[20:21], -v[54:55]
	ds_read2_b64 v[54:57], v1 offset0:18 offset1:19
	s_waitcnt lgkmcnt(0)
	v_mul_f64 v[44:45], v[56:57], v[62:63]
	v_fma_f64 v[44:45], v[54:55], v[42:43], -v[44:45]
	v_mul_f64 v[54:55], v[54:55], v[62:63]
	v_add_f64 v[14:15], v[14:15], -v[44:45]
	v_fma_f64 v[54:55], v[56:57], v[42:43], v[54:55]
	v_add_f64 v[16:17], v[16:17], -v[54:55]
	ds_read2_b64 v[54:57], v1 offset0:20 offset1:21
	s_waitcnt lgkmcnt(0)
	v_mul_f64 v[44:45], v[56:57], v[62:63]
	v_fma_f64 v[44:45], v[54:55], v[42:43], -v[44:45]
	v_mul_f64 v[54:55], v[54:55], v[62:63]
	v_add_f64 v[10:11], v[10:11], -v[44:45]
	v_fma_f64 v[54:55], v[56:57], v[42:43], v[54:55]
	v_add_f64 v[12:13], v[12:13], -v[54:55]
	ds_read2_b64 v[54:57], v1 offset0:22 offset1:23
	s_waitcnt lgkmcnt(0)
	v_mul_f64 v[44:45], v[56:57], v[62:63]
	v_fma_f64 v[44:45], v[54:55], v[42:43], -v[44:45]
	v_mul_f64 v[54:55], v[54:55], v[62:63]
	v_add_f64 v[6:7], v[6:7], -v[44:45]
	v_fma_f64 v[54:55], v[56:57], v[42:43], v[54:55]
	v_add_f64 v[8:9], v[8:9], -v[54:55]
	ds_read2_b64 v[54:57], v1 offset0:24 offset1:25
	s_waitcnt lgkmcnt(0)
	v_mul_f64 v[44:45], v[56:57], v[62:63]
	v_fma_f64 v[44:45], v[54:55], v[42:43], -v[44:45]
	v_mul_f64 v[54:55], v[54:55], v[62:63]
	v_add_f64 v[2:3], v[2:3], -v[44:45]
	v_fma_f64 v[54:55], v[56:57], v[42:43], v[54:55]
	v_mov_b32_e32 v44, v62
	v_mov_b32_e32 v45, v63
	v_add_f64 v[4:5], v[4:5], -v[54:55]
.LBB24_41:
	s_or_b32 exec_lo, exec_lo, s0
	v_lshl_add_u32 v54, v68, 4, v1
	s_barrier
	buffer_gl0_inv
	v_mov_b32_e32 v62, 2
	ds_write2_b64 v54, v[46:47], v[48:49] offset1:1
	s_waitcnt lgkmcnt(0)
	s_barrier
	buffer_gl0_inv
	ds_read2_b64 v[54:57], v1 offset0:4 offset1:5
	s_cmp_lt_i32 s18, 4
	s_cbranch_scc1 .LBB24_44
; %bb.42:
	v_add3_u32 v63, v64, 0, 48
	v_mov_b32_e32 v62, 2
	s_mov_b32 s1, 3
	s_inst_prefetch 0x1
	.p2align	6
.LBB24_43:                              ; =>This Inner Loop Header: Depth=1
	s_waitcnt lgkmcnt(0)
	v_cmp_gt_f64_e32 vcc_lo, 0, v[56:57]
	v_cmp_gt_f64_e64 s0, 0, v[54:55]
	ds_read2_b64 v[69:72], v63 offset1:1
	v_xor_b32_e32 v74, 0x80000000, v55
	v_xor_b32_e32 v76, 0x80000000, v57
	v_mov_b32_e32 v73, v54
	v_mov_b32_e32 v75, v56
	v_add_nc_u32_e32 v63, 16, v63
	s_waitcnt lgkmcnt(0)
	v_xor_b32_e32 v78, 0x80000000, v72
	v_cndmask_b32_e64 v74, v55, v74, s0
	v_cndmask_b32_e32 v76, v57, v76, vcc_lo
	v_cmp_gt_f64_e32 vcc_lo, 0, v[71:72]
	v_cmp_gt_f64_e64 s0, 0, v[69:70]
	v_mov_b32_e32 v77, v71
	v_add_f64 v[73:74], v[73:74], v[75:76]
	v_xor_b32_e32 v76, 0x80000000, v70
	v_mov_b32_e32 v75, v69
	v_cndmask_b32_e32 v78, v72, v78, vcc_lo
	v_cndmask_b32_e64 v76, v70, v76, s0
	v_add_f64 v[75:76], v[75:76], v[77:78]
	v_cmp_lt_f64_e32 vcc_lo, v[73:74], v[75:76]
	v_cndmask_b32_e32 v55, v55, v70, vcc_lo
	v_cndmask_b32_e32 v54, v54, v69, vcc_lo
	;; [unrolled: 1-line block ×4, first 2 shown]
	v_cndmask_b32_e64 v62, v62, s1, vcc_lo
	s_add_i32 s1, s1, 1
	s_cmp_lg_u32 s18, s1
	s_cbranch_scc1 .LBB24_43
.LBB24_44:
	s_inst_prefetch 0x2
	s_waitcnt lgkmcnt(0)
	v_cmp_eq_f64_e32 vcc_lo, 0, v[54:55]
	v_cmp_eq_f64_e64 s0, 0, v[56:57]
	s_and_b32 s0, vcc_lo, s0
	s_and_saveexec_b32 s1, s0
	s_xor_b32 s0, exec_lo, s1
; %bb.45:
	v_cmp_ne_u32_e32 vcc_lo, 0, v67
	v_cndmask_b32_e32 v67, 3, v67, vcc_lo
; %bb.46:
	s_andn2_saveexec_b32 s0, s0
	s_cbranch_execz .LBB24_52
; %bb.47:
	v_cmp_ngt_f64_e64 s1, |v[54:55]|, |v[56:57]|
	s_and_saveexec_b32 s2, s1
	s_xor_b32 s1, exec_lo, s2
	s_cbranch_execz .LBB24_49
; %bb.48:
	v_div_scale_f64 v[69:70], null, v[56:57], v[56:57], v[54:55]
	v_div_scale_f64 v[75:76], vcc_lo, v[54:55], v[56:57], v[54:55]
	v_rcp_f64_e32 v[71:72], v[69:70]
	v_fma_f64 v[73:74], -v[69:70], v[71:72], 1.0
	v_fma_f64 v[71:72], v[71:72], v[73:74], v[71:72]
	v_fma_f64 v[73:74], -v[69:70], v[71:72], 1.0
	v_fma_f64 v[71:72], v[71:72], v[73:74], v[71:72]
	v_mul_f64 v[73:74], v[75:76], v[71:72]
	v_fma_f64 v[69:70], -v[69:70], v[73:74], v[75:76]
	v_div_fmas_f64 v[69:70], v[69:70], v[71:72], v[73:74]
	v_div_fixup_f64 v[69:70], v[69:70], v[56:57], v[54:55]
	v_fma_f64 v[54:55], v[54:55], v[69:70], v[56:57]
	v_div_scale_f64 v[56:57], null, v[54:55], v[54:55], 1.0
	v_rcp_f64_e32 v[71:72], v[56:57]
	v_fma_f64 v[73:74], -v[56:57], v[71:72], 1.0
	v_fma_f64 v[71:72], v[71:72], v[73:74], v[71:72]
	v_fma_f64 v[73:74], -v[56:57], v[71:72], 1.0
	v_fma_f64 v[71:72], v[71:72], v[73:74], v[71:72]
	v_div_scale_f64 v[73:74], vcc_lo, 1.0, v[54:55], 1.0
	v_mul_f64 v[75:76], v[73:74], v[71:72]
	v_fma_f64 v[56:57], -v[56:57], v[75:76], v[73:74]
	v_div_fmas_f64 v[56:57], v[56:57], v[71:72], v[75:76]
	v_div_fixup_f64 v[56:57], v[56:57], v[54:55], 1.0
	v_mul_f64 v[54:55], v[69:70], v[56:57]
	v_xor_b32_e32 v57, 0x80000000, v57
.LBB24_49:
	s_andn2_saveexec_b32 s1, s1
	s_cbranch_execz .LBB24_51
; %bb.50:
	v_div_scale_f64 v[69:70], null, v[54:55], v[54:55], v[56:57]
	v_div_scale_f64 v[75:76], vcc_lo, v[56:57], v[54:55], v[56:57]
	v_rcp_f64_e32 v[71:72], v[69:70]
	v_fma_f64 v[73:74], -v[69:70], v[71:72], 1.0
	v_fma_f64 v[71:72], v[71:72], v[73:74], v[71:72]
	v_fma_f64 v[73:74], -v[69:70], v[71:72], 1.0
	v_fma_f64 v[71:72], v[71:72], v[73:74], v[71:72]
	v_mul_f64 v[73:74], v[75:76], v[71:72]
	v_fma_f64 v[69:70], -v[69:70], v[73:74], v[75:76]
	v_div_fmas_f64 v[69:70], v[69:70], v[71:72], v[73:74]
	v_div_fixup_f64 v[69:70], v[69:70], v[54:55], v[56:57]
	v_fma_f64 v[54:55], v[56:57], v[69:70], v[54:55]
	v_div_scale_f64 v[56:57], null, v[54:55], v[54:55], 1.0
	v_rcp_f64_e32 v[71:72], v[56:57]
	v_fma_f64 v[73:74], -v[56:57], v[71:72], 1.0
	v_fma_f64 v[71:72], v[71:72], v[73:74], v[71:72]
	v_fma_f64 v[73:74], -v[56:57], v[71:72], 1.0
	v_fma_f64 v[71:72], v[71:72], v[73:74], v[71:72]
	v_div_scale_f64 v[73:74], vcc_lo, 1.0, v[54:55], 1.0
	v_mul_f64 v[75:76], v[73:74], v[71:72]
	v_fma_f64 v[56:57], -v[56:57], v[75:76], v[73:74]
	v_div_fmas_f64 v[56:57], v[56:57], v[71:72], v[75:76]
	v_div_fixup_f64 v[54:55], v[56:57], v[54:55], 1.0
	v_mul_f64 v[56:57], v[69:70], -v[54:55]
.LBB24_51:
	s_or_b32 exec_lo, exec_lo, s1
.LBB24_52:
	s_or_b32 exec_lo, exec_lo, s0
	s_mov_b32 s0, exec_lo
	v_cmpx_ne_u32_e64 v68, v62
	s_xor_b32 s0, exec_lo, s0
	s_cbranch_execz .LBB24_58
; %bb.53:
	s_mov_b32 s1, exec_lo
	v_cmpx_eq_u32_e32 2, v68
	s_cbranch_execz .LBB24_57
; %bb.54:
	v_cmp_ne_u32_e32 vcc_lo, 2, v62
	s_xor_b32 s2, s16, -1
	s_and_b32 s3, s2, vcc_lo
	s_and_saveexec_b32 s2, s3
	s_cbranch_execz .LBB24_56
; %bb.55:
	v_ashrrev_i32_e32 v63, 31, v62
	v_lshlrev_b64 v[68:69], 2, v[62:63]
	v_add_co_u32 v68, vcc_lo, v60, v68
	v_add_co_ci_u32_e64 v69, null, v61, v69, vcc_lo
	s_clause 0x1
	global_load_dword v0, v[68:69], off
	global_load_dword v63, v[60:61], off offset:8
	s_waitcnt vmcnt(1)
	global_store_dword v[60:61], v0, off offset:8
	s_waitcnt vmcnt(0)
	global_store_dword v[68:69], v63, off
.LBB24_56:
	s_or_b32 exec_lo, exec_lo, s2
	v_mov_b32_e32 v68, v62
	v_mov_b32_e32 v0, v62
.LBB24_57:
	s_or_b32 exec_lo, exec_lo, s1
.LBB24_58:
	s_andn2_saveexec_b32 s0, s0
	s_cbranch_execz .LBB24_60
; %bb.59:
	v_mov_b32_e32 v68, 2
	ds_write2_b64 v1, v[38:39], v[40:41] offset0:6 offset1:7
	ds_write2_b64 v1, v[34:35], v[36:37] offset0:8 offset1:9
	ds_write2_b64 v1, v[30:31], v[32:33] offset0:10 offset1:11
	ds_write2_b64 v1, v[26:27], v[28:29] offset0:12 offset1:13
	ds_write2_b64 v1, v[22:23], v[24:25] offset0:14 offset1:15
	ds_write2_b64 v1, v[18:19], v[20:21] offset0:16 offset1:17
	ds_write2_b64 v1, v[14:15], v[16:17] offset0:18 offset1:19
	ds_write2_b64 v1, v[10:11], v[12:13] offset0:20 offset1:21
	ds_write2_b64 v1, v[6:7], v[8:9] offset0:22 offset1:23
	ds_write2_b64 v1, v[2:3], v[4:5] offset0:24 offset1:25
.LBB24_60:
	s_or_b32 exec_lo, exec_lo, s0
	s_mov_b32 s0, exec_lo
	s_waitcnt lgkmcnt(0)
	s_waitcnt_vscnt null, 0x0
	s_barrier
	buffer_gl0_inv
	v_cmpx_lt_i32_e32 2, v68
	s_cbranch_execz .LBB24_62
; %bb.61:
	v_mul_f64 v[62:63], v[54:55], v[48:49]
	v_mul_f64 v[48:49], v[56:57], v[48:49]
	v_fma_f64 v[62:63], v[56:57], v[46:47], v[62:63]
	v_fma_f64 v[46:47], v[54:55], v[46:47], -v[48:49]
	ds_read2_b64 v[54:57], v1 offset0:6 offset1:7
	s_waitcnt lgkmcnt(0)
	v_mul_f64 v[48:49], v[56:57], v[62:63]
	v_fma_f64 v[48:49], v[54:55], v[46:47], -v[48:49]
	v_mul_f64 v[54:55], v[54:55], v[62:63]
	v_add_f64 v[38:39], v[38:39], -v[48:49]
	v_fma_f64 v[54:55], v[56:57], v[46:47], v[54:55]
	v_add_f64 v[40:41], v[40:41], -v[54:55]
	ds_read2_b64 v[54:57], v1 offset0:8 offset1:9
	s_waitcnt lgkmcnt(0)
	v_mul_f64 v[48:49], v[56:57], v[62:63]
	v_fma_f64 v[48:49], v[54:55], v[46:47], -v[48:49]
	v_mul_f64 v[54:55], v[54:55], v[62:63]
	v_add_f64 v[34:35], v[34:35], -v[48:49]
	v_fma_f64 v[54:55], v[56:57], v[46:47], v[54:55]
	v_add_f64 v[36:37], v[36:37], -v[54:55]
	;; [unrolled: 8-line block ×9, first 2 shown]
	ds_read2_b64 v[54:57], v1 offset0:24 offset1:25
	s_waitcnt lgkmcnt(0)
	v_mul_f64 v[48:49], v[56:57], v[62:63]
	v_fma_f64 v[48:49], v[54:55], v[46:47], -v[48:49]
	v_mul_f64 v[54:55], v[54:55], v[62:63]
	v_add_f64 v[2:3], v[2:3], -v[48:49]
	v_fma_f64 v[54:55], v[56:57], v[46:47], v[54:55]
	v_mov_b32_e32 v48, v62
	v_mov_b32_e32 v49, v63
	v_add_f64 v[4:5], v[4:5], -v[54:55]
.LBB24_62:
	s_or_b32 exec_lo, exec_lo, s0
	v_lshl_add_u32 v54, v68, 4, v1
	s_barrier
	buffer_gl0_inv
	v_mov_b32_e32 v62, 3
	ds_write2_b64 v54, v[38:39], v[40:41] offset1:1
	s_waitcnt lgkmcnt(0)
	s_barrier
	buffer_gl0_inv
	ds_read2_b64 v[54:57], v1 offset0:6 offset1:7
	s_cmp_lt_i32 s18, 5
	s_mov_b32 s1, 4
	s_cbranch_scc1 .LBB24_65
; %bb.63:
	v_add3_u32 v63, v64, 0, 64
	v_mov_b32_e32 v62, 3
	s_inst_prefetch 0x1
	.p2align	6
.LBB24_64:                              ; =>This Inner Loop Header: Depth=1
	s_waitcnt lgkmcnt(0)
	v_cmp_gt_f64_e32 vcc_lo, 0, v[56:57]
	v_cmp_gt_f64_e64 s0, 0, v[54:55]
	ds_read2_b64 v[69:72], v63 offset1:1
	v_xor_b32_e32 v74, 0x80000000, v55
	v_xor_b32_e32 v76, 0x80000000, v57
	v_mov_b32_e32 v73, v54
	v_mov_b32_e32 v75, v56
	v_add_nc_u32_e32 v63, 16, v63
	s_waitcnt lgkmcnt(0)
	v_xor_b32_e32 v78, 0x80000000, v72
	v_cndmask_b32_e64 v74, v55, v74, s0
	v_cndmask_b32_e32 v76, v57, v76, vcc_lo
	v_cmp_gt_f64_e32 vcc_lo, 0, v[71:72]
	v_cmp_gt_f64_e64 s0, 0, v[69:70]
	v_mov_b32_e32 v77, v71
	v_add_f64 v[73:74], v[73:74], v[75:76]
	v_xor_b32_e32 v76, 0x80000000, v70
	v_mov_b32_e32 v75, v69
	v_cndmask_b32_e32 v78, v72, v78, vcc_lo
	v_cndmask_b32_e64 v76, v70, v76, s0
	v_add_f64 v[75:76], v[75:76], v[77:78]
	v_cmp_lt_f64_e32 vcc_lo, v[73:74], v[75:76]
	v_cndmask_b32_e32 v55, v55, v70, vcc_lo
	v_cndmask_b32_e32 v54, v54, v69, vcc_lo
	;; [unrolled: 1-line block ×4, first 2 shown]
	v_cndmask_b32_e64 v62, v62, s1, vcc_lo
	s_add_i32 s1, s1, 1
	s_cmp_lg_u32 s18, s1
	s_cbranch_scc1 .LBB24_64
.LBB24_65:
	s_inst_prefetch 0x2
	s_waitcnt lgkmcnt(0)
	v_cmp_eq_f64_e32 vcc_lo, 0, v[54:55]
	v_cmp_eq_f64_e64 s0, 0, v[56:57]
	s_and_b32 s0, vcc_lo, s0
	s_and_saveexec_b32 s1, s0
	s_xor_b32 s0, exec_lo, s1
; %bb.66:
	v_cmp_ne_u32_e32 vcc_lo, 0, v67
	v_cndmask_b32_e32 v67, 4, v67, vcc_lo
; %bb.67:
	s_andn2_saveexec_b32 s0, s0
	s_cbranch_execz .LBB24_73
; %bb.68:
	v_cmp_ngt_f64_e64 s1, |v[54:55]|, |v[56:57]|
	s_and_saveexec_b32 s2, s1
	s_xor_b32 s1, exec_lo, s2
	s_cbranch_execz .LBB24_70
; %bb.69:
	v_div_scale_f64 v[69:70], null, v[56:57], v[56:57], v[54:55]
	v_div_scale_f64 v[75:76], vcc_lo, v[54:55], v[56:57], v[54:55]
	v_rcp_f64_e32 v[71:72], v[69:70]
	v_fma_f64 v[73:74], -v[69:70], v[71:72], 1.0
	v_fma_f64 v[71:72], v[71:72], v[73:74], v[71:72]
	v_fma_f64 v[73:74], -v[69:70], v[71:72], 1.0
	v_fma_f64 v[71:72], v[71:72], v[73:74], v[71:72]
	v_mul_f64 v[73:74], v[75:76], v[71:72]
	v_fma_f64 v[69:70], -v[69:70], v[73:74], v[75:76]
	v_div_fmas_f64 v[69:70], v[69:70], v[71:72], v[73:74]
	v_div_fixup_f64 v[69:70], v[69:70], v[56:57], v[54:55]
	v_fma_f64 v[54:55], v[54:55], v[69:70], v[56:57]
	v_div_scale_f64 v[56:57], null, v[54:55], v[54:55], 1.0
	v_rcp_f64_e32 v[71:72], v[56:57]
	v_fma_f64 v[73:74], -v[56:57], v[71:72], 1.0
	v_fma_f64 v[71:72], v[71:72], v[73:74], v[71:72]
	v_fma_f64 v[73:74], -v[56:57], v[71:72], 1.0
	v_fma_f64 v[71:72], v[71:72], v[73:74], v[71:72]
	v_div_scale_f64 v[73:74], vcc_lo, 1.0, v[54:55], 1.0
	v_mul_f64 v[75:76], v[73:74], v[71:72]
	v_fma_f64 v[56:57], -v[56:57], v[75:76], v[73:74]
	v_div_fmas_f64 v[56:57], v[56:57], v[71:72], v[75:76]
	v_div_fixup_f64 v[56:57], v[56:57], v[54:55], 1.0
	v_mul_f64 v[54:55], v[69:70], v[56:57]
	v_xor_b32_e32 v57, 0x80000000, v57
.LBB24_70:
	s_andn2_saveexec_b32 s1, s1
	s_cbranch_execz .LBB24_72
; %bb.71:
	v_div_scale_f64 v[69:70], null, v[54:55], v[54:55], v[56:57]
	v_div_scale_f64 v[75:76], vcc_lo, v[56:57], v[54:55], v[56:57]
	v_rcp_f64_e32 v[71:72], v[69:70]
	v_fma_f64 v[73:74], -v[69:70], v[71:72], 1.0
	v_fma_f64 v[71:72], v[71:72], v[73:74], v[71:72]
	v_fma_f64 v[73:74], -v[69:70], v[71:72], 1.0
	v_fma_f64 v[71:72], v[71:72], v[73:74], v[71:72]
	v_mul_f64 v[73:74], v[75:76], v[71:72]
	v_fma_f64 v[69:70], -v[69:70], v[73:74], v[75:76]
	v_div_fmas_f64 v[69:70], v[69:70], v[71:72], v[73:74]
	v_div_fixup_f64 v[69:70], v[69:70], v[54:55], v[56:57]
	v_fma_f64 v[54:55], v[56:57], v[69:70], v[54:55]
	v_div_scale_f64 v[56:57], null, v[54:55], v[54:55], 1.0
	v_rcp_f64_e32 v[71:72], v[56:57]
	v_fma_f64 v[73:74], -v[56:57], v[71:72], 1.0
	v_fma_f64 v[71:72], v[71:72], v[73:74], v[71:72]
	v_fma_f64 v[73:74], -v[56:57], v[71:72], 1.0
	v_fma_f64 v[71:72], v[71:72], v[73:74], v[71:72]
	v_div_scale_f64 v[73:74], vcc_lo, 1.0, v[54:55], 1.0
	v_mul_f64 v[75:76], v[73:74], v[71:72]
	v_fma_f64 v[56:57], -v[56:57], v[75:76], v[73:74]
	v_div_fmas_f64 v[56:57], v[56:57], v[71:72], v[75:76]
	v_div_fixup_f64 v[54:55], v[56:57], v[54:55], 1.0
	v_mul_f64 v[56:57], v[69:70], -v[54:55]
.LBB24_72:
	s_or_b32 exec_lo, exec_lo, s1
.LBB24_73:
	s_or_b32 exec_lo, exec_lo, s0
	s_mov_b32 s0, exec_lo
	v_cmpx_ne_u32_e64 v68, v62
	s_xor_b32 s0, exec_lo, s0
	s_cbranch_execz .LBB24_79
; %bb.74:
	s_mov_b32 s1, exec_lo
	v_cmpx_eq_u32_e32 3, v68
	s_cbranch_execz .LBB24_78
; %bb.75:
	v_cmp_ne_u32_e32 vcc_lo, 3, v62
	s_xor_b32 s2, s16, -1
	s_and_b32 s3, s2, vcc_lo
	s_and_saveexec_b32 s2, s3
	s_cbranch_execz .LBB24_77
; %bb.76:
	v_ashrrev_i32_e32 v63, 31, v62
	v_lshlrev_b64 v[68:69], 2, v[62:63]
	v_add_co_u32 v68, vcc_lo, v60, v68
	v_add_co_ci_u32_e64 v69, null, v61, v69, vcc_lo
	s_clause 0x1
	global_load_dword v0, v[68:69], off
	global_load_dword v63, v[60:61], off offset:12
	s_waitcnt vmcnt(1)
	global_store_dword v[60:61], v0, off offset:12
	s_waitcnt vmcnt(0)
	global_store_dword v[68:69], v63, off
.LBB24_77:
	s_or_b32 exec_lo, exec_lo, s2
	v_mov_b32_e32 v68, v62
	v_mov_b32_e32 v0, v62
.LBB24_78:
	s_or_b32 exec_lo, exec_lo, s1
.LBB24_79:
	s_andn2_saveexec_b32 s0, s0
	s_cbranch_execz .LBB24_81
; %bb.80:
	v_mov_b32_e32 v68, 3
	ds_write2_b64 v1, v[34:35], v[36:37] offset0:8 offset1:9
	ds_write2_b64 v1, v[30:31], v[32:33] offset0:10 offset1:11
	;; [unrolled: 1-line block ×9, first 2 shown]
.LBB24_81:
	s_or_b32 exec_lo, exec_lo, s0
	s_mov_b32 s0, exec_lo
	s_waitcnt lgkmcnt(0)
	s_waitcnt_vscnt null, 0x0
	s_barrier
	buffer_gl0_inv
	v_cmpx_lt_i32_e32 3, v68
	s_cbranch_execz .LBB24_83
; %bb.82:
	v_mul_f64 v[62:63], v[54:55], v[40:41]
	v_mul_f64 v[40:41], v[56:57], v[40:41]
	v_fma_f64 v[62:63], v[56:57], v[38:39], v[62:63]
	v_fma_f64 v[38:39], v[54:55], v[38:39], -v[40:41]
	ds_read2_b64 v[54:57], v1 offset0:8 offset1:9
	s_waitcnt lgkmcnt(0)
	v_mul_f64 v[40:41], v[56:57], v[62:63]
	v_fma_f64 v[40:41], v[54:55], v[38:39], -v[40:41]
	v_mul_f64 v[54:55], v[54:55], v[62:63]
	v_add_f64 v[34:35], v[34:35], -v[40:41]
	v_fma_f64 v[54:55], v[56:57], v[38:39], v[54:55]
	v_add_f64 v[36:37], v[36:37], -v[54:55]
	ds_read2_b64 v[54:57], v1 offset0:10 offset1:11
	s_waitcnt lgkmcnt(0)
	v_mul_f64 v[40:41], v[56:57], v[62:63]
	v_fma_f64 v[40:41], v[54:55], v[38:39], -v[40:41]
	v_mul_f64 v[54:55], v[54:55], v[62:63]
	v_add_f64 v[30:31], v[30:31], -v[40:41]
	v_fma_f64 v[54:55], v[56:57], v[38:39], v[54:55]
	v_add_f64 v[32:33], v[32:33], -v[54:55]
	;; [unrolled: 8-line block ×8, first 2 shown]
	ds_read2_b64 v[54:57], v1 offset0:24 offset1:25
	s_waitcnt lgkmcnt(0)
	v_mul_f64 v[40:41], v[56:57], v[62:63]
	v_fma_f64 v[40:41], v[54:55], v[38:39], -v[40:41]
	v_mul_f64 v[54:55], v[54:55], v[62:63]
	v_add_f64 v[2:3], v[2:3], -v[40:41]
	v_fma_f64 v[54:55], v[56:57], v[38:39], v[54:55]
	v_mov_b32_e32 v40, v62
	v_mov_b32_e32 v41, v63
	v_add_f64 v[4:5], v[4:5], -v[54:55]
.LBB24_83:
	s_or_b32 exec_lo, exec_lo, s0
	v_lshl_add_u32 v54, v68, 4, v1
	s_barrier
	buffer_gl0_inv
	v_mov_b32_e32 v62, 4
	ds_write2_b64 v54, v[34:35], v[36:37] offset1:1
	s_waitcnt lgkmcnt(0)
	s_barrier
	buffer_gl0_inv
	ds_read2_b64 v[54:57], v1 offset0:8 offset1:9
	s_cmp_lt_i32 s18, 6
	s_cbranch_scc1 .LBB24_86
; %bb.84:
	v_mov_b32_e32 v62, 4
	v_add3_u32 v63, v64, 0, 0x50
	s_mov_b32 s1, 5
	s_inst_prefetch 0x1
	.p2align	6
.LBB24_85:                              ; =>This Inner Loop Header: Depth=1
	s_waitcnt lgkmcnt(0)
	v_cmp_gt_f64_e32 vcc_lo, 0, v[56:57]
	v_cmp_gt_f64_e64 s0, 0, v[54:55]
	ds_read2_b64 v[69:72], v63 offset1:1
	v_xor_b32_e32 v74, 0x80000000, v55
	v_xor_b32_e32 v76, 0x80000000, v57
	v_mov_b32_e32 v73, v54
	v_mov_b32_e32 v75, v56
	v_add_nc_u32_e32 v63, 16, v63
	s_waitcnt lgkmcnt(0)
	v_xor_b32_e32 v78, 0x80000000, v72
	v_cndmask_b32_e64 v74, v55, v74, s0
	v_cndmask_b32_e32 v76, v57, v76, vcc_lo
	v_cmp_gt_f64_e32 vcc_lo, 0, v[71:72]
	v_cmp_gt_f64_e64 s0, 0, v[69:70]
	v_mov_b32_e32 v77, v71
	v_add_f64 v[73:74], v[73:74], v[75:76]
	v_xor_b32_e32 v76, 0x80000000, v70
	v_mov_b32_e32 v75, v69
	v_cndmask_b32_e32 v78, v72, v78, vcc_lo
	v_cndmask_b32_e64 v76, v70, v76, s0
	v_add_f64 v[75:76], v[75:76], v[77:78]
	v_cmp_lt_f64_e32 vcc_lo, v[73:74], v[75:76]
	v_cndmask_b32_e32 v55, v55, v70, vcc_lo
	v_cndmask_b32_e32 v54, v54, v69, vcc_lo
	;; [unrolled: 1-line block ×4, first 2 shown]
	v_cndmask_b32_e64 v62, v62, s1, vcc_lo
	s_add_i32 s1, s1, 1
	s_cmp_lg_u32 s18, s1
	s_cbranch_scc1 .LBB24_85
.LBB24_86:
	s_inst_prefetch 0x2
	s_waitcnt lgkmcnt(0)
	v_cmp_eq_f64_e32 vcc_lo, 0, v[54:55]
	v_cmp_eq_f64_e64 s0, 0, v[56:57]
	s_and_b32 s0, vcc_lo, s0
	s_and_saveexec_b32 s1, s0
	s_xor_b32 s0, exec_lo, s1
; %bb.87:
	v_cmp_ne_u32_e32 vcc_lo, 0, v67
	v_cndmask_b32_e32 v67, 5, v67, vcc_lo
; %bb.88:
	s_andn2_saveexec_b32 s0, s0
	s_cbranch_execz .LBB24_94
; %bb.89:
	v_cmp_ngt_f64_e64 s1, |v[54:55]|, |v[56:57]|
	s_and_saveexec_b32 s2, s1
	s_xor_b32 s1, exec_lo, s2
	s_cbranch_execz .LBB24_91
; %bb.90:
	v_div_scale_f64 v[69:70], null, v[56:57], v[56:57], v[54:55]
	v_div_scale_f64 v[75:76], vcc_lo, v[54:55], v[56:57], v[54:55]
	v_rcp_f64_e32 v[71:72], v[69:70]
	v_fma_f64 v[73:74], -v[69:70], v[71:72], 1.0
	v_fma_f64 v[71:72], v[71:72], v[73:74], v[71:72]
	v_fma_f64 v[73:74], -v[69:70], v[71:72], 1.0
	v_fma_f64 v[71:72], v[71:72], v[73:74], v[71:72]
	v_mul_f64 v[73:74], v[75:76], v[71:72]
	v_fma_f64 v[69:70], -v[69:70], v[73:74], v[75:76]
	v_div_fmas_f64 v[69:70], v[69:70], v[71:72], v[73:74]
	v_div_fixup_f64 v[69:70], v[69:70], v[56:57], v[54:55]
	v_fma_f64 v[54:55], v[54:55], v[69:70], v[56:57]
	v_div_scale_f64 v[56:57], null, v[54:55], v[54:55], 1.0
	v_rcp_f64_e32 v[71:72], v[56:57]
	v_fma_f64 v[73:74], -v[56:57], v[71:72], 1.0
	v_fma_f64 v[71:72], v[71:72], v[73:74], v[71:72]
	v_fma_f64 v[73:74], -v[56:57], v[71:72], 1.0
	v_fma_f64 v[71:72], v[71:72], v[73:74], v[71:72]
	v_div_scale_f64 v[73:74], vcc_lo, 1.0, v[54:55], 1.0
	v_mul_f64 v[75:76], v[73:74], v[71:72]
	v_fma_f64 v[56:57], -v[56:57], v[75:76], v[73:74]
	v_div_fmas_f64 v[56:57], v[56:57], v[71:72], v[75:76]
	v_div_fixup_f64 v[56:57], v[56:57], v[54:55], 1.0
	v_mul_f64 v[54:55], v[69:70], v[56:57]
	v_xor_b32_e32 v57, 0x80000000, v57
.LBB24_91:
	s_andn2_saveexec_b32 s1, s1
	s_cbranch_execz .LBB24_93
; %bb.92:
	v_div_scale_f64 v[69:70], null, v[54:55], v[54:55], v[56:57]
	v_div_scale_f64 v[75:76], vcc_lo, v[56:57], v[54:55], v[56:57]
	v_rcp_f64_e32 v[71:72], v[69:70]
	v_fma_f64 v[73:74], -v[69:70], v[71:72], 1.0
	v_fma_f64 v[71:72], v[71:72], v[73:74], v[71:72]
	v_fma_f64 v[73:74], -v[69:70], v[71:72], 1.0
	v_fma_f64 v[71:72], v[71:72], v[73:74], v[71:72]
	v_mul_f64 v[73:74], v[75:76], v[71:72]
	v_fma_f64 v[69:70], -v[69:70], v[73:74], v[75:76]
	v_div_fmas_f64 v[69:70], v[69:70], v[71:72], v[73:74]
	v_div_fixup_f64 v[69:70], v[69:70], v[54:55], v[56:57]
	v_fma_f64 v[54:55], v[56:57], v[69:70], v[54:55]
	v_div_scale_f64 v[56:57], null, v[54:55], v[54:55], 1.0
	v_rcp_f64_e32 v[71:72], v[56:57]
	v_fma_f64 v[73:74], -v[56:57], v[71:72], 1.0
	v_fma_f64 v[71:72], v[71:72], v[73:74], v[71:72]
	v_fma_f64 v[73:74], -v[56:57], v[71:72], 1.0
	v_fma_f64 v[71:72], v[71:72], v[73:74], v[71:72]
	v_div_scale_f64 v[73:74], vcc_lo, 1.0, v[54:55], 1.0
	v_mul_f64 v[75:76], v[73:74], v[71:72]
	v_fma_f64 v[56:57], -v[56:57], v[75:76], v[73:74]
	v_div_fmas_f64 v[56:57], v[56:57], v[71:72], v[75:76]
	v_div_fixup_f64 v[54:55], v[56:57], v[54:55], 1.0
	v_mul_f64 v[56:57], v[69:70], -v[54:55]
.LBB24_93:
	s_or_b32 exec_lo, exec_lo, s1
.LBB24_94:
	s_or_b32 exec_lo, exec_lo, s0
	s_mov_b32 s0, exec_lo
	v_cmpx_ne_u32_e64 v68, v62
	s_xor_b32 s0, exec_lo, s0
	s_cbranch_execz .LBB24_100
; %bb.95:
	s_mov_b32 s1, exec_lo
	v_cmpx_eq_u32_e32 4, v68
	s_cbranch_execz .LBB24_99
; %bb.96:
	v_cmp_ne_u32_e32 vcc_lo, 4, v62
	s_xor_b32 s2, s16, -1
	s_and_b32 s3, s2, vcc_lo
	s_and_saveexec_b32 s2, s3
	s_cbranch_execz .LBB24_98
; %bb.97:
	v_ashrrev_i32_e32 v63, 31, v62
	v_lshlrev_b64 v[68:69], 2, v[62:63]
	v_add_co_u32 v68, vcc_lo, v60, v68
	v_add_co_ci_u32_e64 v69, null, v61, v69, vcc_lo
	s_clause 0x1
	global_load_dword v0, v[68:69], off
	global_load_dword v63, v[60:61], off offset:16
	s_waitcnt vmcnt(1)
	global_store_dword v[60:61], v0, off offset:16
	s_waitcnt vmcnt(0)
	global_store_dword v[68:69], v63, off
.LBB24_98:
	s_or_b32 exec_lo, exec_lo, s2
	v_mov_b32_e32 v68, v62
	v_mov_b32_e32 v0, v62
.LBB24_99:
	s_or_b32 exec_lo, exec_lo, s1
.LBB24_100:
	s_andn2_saveexec_b32 s0, s0
	s_cbranch_execz .LBB24_102
; %bb.101:
	v_mov_b32_e32 v68, 4
	ds_write2_b64 v1, v[30:31], v[32:33] offset0:10 offset1:11
	ds_write2_b64 v1, v[26:27], v[28:29] offset0:12 offset1:13
	;; [unrolled: 1-line block ×8, first 2 shown]
.LBB24_102:
	s_or_b32 exec_lo, exec_lo, s0
	s_mov_b32 s0, exec_lo
	s_waitcnt lgkmcnt(0)
	s_waitcnt_vscnt null, 0x0
	s_barrier
	buffer_gl0_inv
	v_cmpx_lt_i32_e32 4, v68
	s_cbranch_execz .LBB24_104
; %bb.103:
	v_mul_f64 v[62:63], v[54:55], v[36:37]
	v_mul_f64 v[36:37], v[56:57], v[36:37]
	v_fma_f64 v[62:63], v[56:57], v[34:35], v[62:63]
	v_fma_f64 v[34:35], v[54:55], v[34:35], -v[36:37]
	ds_read2_b64 v[54:57], v1 offset0:10 offset1:11
	s_waitcnt lgkmcnt(0)
	v_mul_f64 v[36:37], v[56:57], v[62:63]
	v_fma_f64 v[36:37], v[54:55], v[34:35], -v[36:37]
	v_mul_f64 v[54:55], v[54:55], v[62:63]
	v_add_f64 v[30:31], v[30:31], -v[36:37]
	v_fma_f64 v[54:55], v[56:57], v[34:35], v[54:55]
	v_add_f64 v[32:33], v[32:33], -v[54:55]
	ds_read2_b64 v[54:57], v1 offset0:12 offset1:13
	s_waitcnt lgkmcnt(0)
	v_mul_f64 v[36:37], v[56:57], v[62:63]
	v_fma_f64 v[36:37], v[54:55], v[34:35], -v[36:37]
	v_mul_f64 v[54:55], v[54:55], v[62:63]
	v_add_f64 v[26:27], v[26:27], -v[36:37]
	v_fma_f64 v[54:55], v[56:57], v[34:35], v[54:55]
	v_add_f64 v[28:29], v[28:29], -v[54:55]
	;; [unrolled: 8-line block ×7, first 2 shown]
	ds_read2_b64 v[54:57], v1 offset0:24 offset1:25
	s_waitcnt lgkmcnt(0)
	v_mul_f64 v[36:37], v[56:57], v[62:63]
	v_fma_f64 v[36:37], v[54:55], v[34:35], -v[36:37]
	v_mul_f64 v[54:55], v[54:55], v[62:63]
	v_add_f64 v[2:3], v[2:3], -v[36:37]
	v_fma_f64 v[54:55], v[56:57], v[34:35], v[54:55]
	v_mov_b32_e32 v36, v62
	v_mov_b32_e32 v37, v63
	v_add_f64 v[4:5], v[4:5], -v[54:55]
.LBB24_104:
	s_or_b32 exec_lo, exec_lo, s0
	v_lshl_add_u32 v54, v68, 4, v1
	s_barrier
	buffer_gl0_inv
	v_mov_b32_e32 v62, 5
	ds_write2_b64 v54, v[30:31], v[32:33] offset1:1
	s_waitcnt lgkmcnt(0)
	s_barrier
	buffer_gl0_inv
	ds_read2_b64 v[54:57], v1 offset0:10 offset1:11
	s_cmp_lt_i32 s18, 7
	s_cbranch_scc1 .LBB24_107
; %bb.105:
	v_add3_u32 v63, v64, 0, 0x60
	v_mov_b32_e32 v62, 5
	s_mov_b32 s1, 6
	s_inst_prefetch 0x1
	.p2align	6
.LBB24_106:                             ; =>This Inner Loop Header: Depth=1
	s_waitcnt lgkmcnt(0)
	v_cmp_gt_f64_e32 vcc_lo, 0, v[56:57]
	v_cmp_gt_f64_e64 s0, 0, v[54:55]
	ds_read2_b64 v[69:72], v63 offset1:1
	v_xor_b32_e32 v74, 0x80000000, v55
	v_xor_b32_e32 v76, 0x80000000, v57
	v_mov_b32_e32 v73, v54
	v_mov_b32_e32 v75, v56
	v_add_nc_u32_e32 v63, 16, v63
	s_waitcnt lgkmcnt(0)
	v_xor_b32_e32 v78, 0x80000000, v72
	v_cndmask_b32_e64 v74, v55, v74, s0
	v_cndmask_b32_e32 v76, v57, v76, vcc_lo
	v_cmp_gt_f64_e32 vcc_lo, 0, v[71:72]
	v_cmp_gt_f64_e64 s0, 0, v[69:70]
	v_mov_b32_e32 v77, v71
	v_add_f64 v[73:74], v[73:74], v[75:76]
	v_xor_b32_e32 v76, 0x80000000, v70
	v_mov_b32_e32 v75, v69
	v_cndmask_b32_e32 v78, v72, v78, vcc_lo
	v_cndmask_b32_e64 v76, v70, v76, s0
	v_add_f64 v[75:76], v[75:76], v[77:78]
	v_cmp_lt_f64_e32 vcc_lo, v[73:74], v[75:76]
	v_cndmask_b32_e32 v55, v55, v70, vcc_lo
	v_cndmask_b32_e32 v54, v54, v69, vcc_lo
	v_cndmask_b32_e32 v57, v57, v72, vcc_lo
	v_cndmask_b32_e32 v56, v56, v71, vcc_lo
	v_cndmask_b32_e64 v62, v62, s1, vcc_lo
	s_add_i32 s1, s1, 1
	s_cmp_lg_u32 s18, s1
	s_cbranch_scc1 .LBB24_106
.LBB24_107:
	s_inst_prefetch 0x2
	s_waitcnt lgkmcnt(0)
	v_cmp_eq_f64_e32 vcc_lo, 0, v[54:55]
	v_cmp_eq_f64_e64 s0, 0, v[56:57]
	s_and_b32 s0, vcc_lo, s0
	s_and_saveexec_b32 s1, s0
	s_xor_b32 s0, exec_lo, s1
; %bb.108:
	v_cmp_ne_u32_e32 vcc_lo, 0, v67
	v_cndmask_b32_e32 v67, 6, v67, vcc_lo
; %bb.109:
	s_andn2_saveexec_b32 s0, s0
	s_cbranch_execz .LBB24_115
; %bb.110:
	v_cmp_ngt_f64_e64 s1, |v[54:55]|, |v[56:57]|
	s_and_saveexec_b32 s2, s1
	s_xor_b32 s1, exec_lo, s2
	s_cbranch_execz .LBB24_112
; %bb.111:
	v_div_scale_f64 v[69:70], null, v[56:57], v[56:57], v[54:55]
	v_div_scale_f64 v[75:76], vcc_lo, v[54:55], v[56:57], v[54:55]
	v_rcp_f64_e32 v[71:72], v[69:70]
	v_fma_f64 v[73:74], -v[69:70], v[71:72], 1.0
	v_fma_f64 v[71:72], v[71:72], v[73:74], v[71:72]
	v_fma_f64 v[73:74], -v[69:70], v[71:72], 1.0
	v_fma_f64 v[71:72], v[71:72], v[73:74], v[71:72]
	v_mul_f64 v[73:74], v[75:76], v[71:72]
	v_fma_f64 v[69:70], -v[69:70], v[73:74], v[75:76]
	v_div_fmas_f64 v[69:70], v[69:70], v[71:72], v[73:74]
	v_div_fixup_f64 v[69:70], v[69:70], v[56:57], v[54:55]
	v_fma_f64 v[54:55], v[54:55], v[69:70], v[56:57]
	v_div_scale_f64 v[56:57], null, v[54:55], v[54:55], 1.0
	v_rcp_f64_e32 v[71:72], v[56:57]
	v_fma_f64 v[73:74], -v[56:57], v[71:72], 1.0
	v_fma_f64 v[71:72], v[71:72], v[73:74], v[71:72]
	v_fma_f64 v[73:74], -v[56:57], v[71:72], 1.0
	v_fma_f64 v[71:72], v[71:72], v[73:74], v[71:72]
	v_div_scale_f64 v[73:74], vcc_lo, 1.0, v[54:55], 1.0
	v_mul_f64 v[75:76], v[73:74], v[71:72]
	v_fma_f64 v[56:57], -v[56:57], v[75:76], v[73:74]
	v_div_fmas_f64 v[56:57], v[56:57], v[71:72], v[75:76]
	v_div_fixup_f64 v[56:57], v[56:57], v[54:55], 1.0
	v_mul_f64 v[54:55], v[69:70], v[56:57]
	v_xor_b32_e32 v57, 0x80000000, v57
.LBB24_112:
	s_andn2_saveexec_b32 s1, s1
	s_cbranch_execz .LBB24_114
; %bb.113:
	v_div_scale_f64 v[69:70], null, v[54:55], v[54:55], v[56:57]
	v_div_scale_f64 v[75:76], vcc_lo, v[56:57], v[54:55], v[56:57]
	v_rcp_f64_e32 v[71:72], v[69:70]
	v_fma_f64 v[73:74], -v[69:70], v[71:72], 1.0
	v_fma_f64 v[71:72], v[71:72], v[73:74], v[71:72]
	v_fma_f64 v[73:74], -v[69:70], v[71:72], 1.0
	v_fma_f64 v[71:72], v[71:72], v[73:74], v[71:72]
	v_mul_f64 v[73:74], v[75:76], v[71:72]
	v_fma_f64 v[69:70], -v[69:70], v[73:74], v[75:76]
	v_div_fmas_f64 v[69:70], v[69:70], v[71:72], v[73:74]
	v_div_fixup_f64 v[69:70], v[69:70], v[54:55], v[56:57]
	v_fma_f64 v[54:55], v[56:57], v[69:70], v[54:55]
	v_div_scale_f64 v[56:57], null, v[54:55], v[54:55], 1.0
	v_rcp_f64_e32 v[71:72], v[56:57]
	v_fma_f64 v[73:74], -v[56:57], v[71:72], 1.0
	v_fma_f64 v[71:72], v[71:72], v[73:74], v[71:72]
	v_fma_f64 v[73:74], -v[56:57], v[71:72], 1.0
	v_fma_f64 v[71:72], v[71:72], v[73:74], v[71:72]
	v_div_scale_f64 v[73:74], vcc_lo, 1.0, v[54:55], 1.0
	v_mul_f64 v[75:76], v[73:74], v[71:72]
	v_fma_f64 v[56:57], -v[56:57], v[75:76], v[73:74]
	v_div_fmas_f64 v[56:57], v[56:57], v[71:72], v[75:76]
	v_div_fixup_f64 v[54:55], v[56:57], v[54:55], 1.0
	v_mul_f64 v[56:57], v[69:70], -v[54:55]
.LBB24_114:
	s_or_b32 exec_lo, exec_lo, s1
.LBB24_115:
	s_or_b32 exec_lo, exec_lo, s0
	s_mov_b32 s0, exec_lo
	v_cmpx_ne_u32_e64 v68, v62
	s_xor_b32 s0, exec_lo, s0
	s_cbranch_execz .LBB24_121
; %bb.116:
	s_mov_b32 s1, exec_lo
	v_cmpx_eq_u32_e32 5, v68
	s_cbranch_execz .LBB24_120
; %bb.117:
	v_cmp_ne_u32_e32 vcc_lo, 5, v62
	s_xor_b32 s2, s16, -1
	s_and_b32 s3, s2, vcc_lo
	s_and_saveexec_b32 s2, s3
	s_cbranch_execz .LBB24_119
; %bb.118:
	v_ashrrev_i32_e32 v63, 31, v62
	v_lshlrev_b64 v[68:69], 2, v[62:63]
	v_add_co_u32 v68, vcc_lo, v60, v68
	v_add_co_ci_u32_e64 v69, null, v61, v69, vcc_lo
	s_clause 0x1
	global_load_dword v0, v[68:69], off
	global_load_dword v63, v[60:61], off offset:20
	s_waitcnt vmcnt(1)
	global_store_dword v[60:61], v0, off offset:20
	s_waitcnt vmcnt(0)
	global_store_dword v[68:69], v63, off
.LBB24_119:
	s_or_b32 exec_lo, exec_lo, s2
	v_mov_b32_e32 v68, v62
	v_mov_b32_e32 v0, v62
.LBB24_120:
	s_or_b32 exec_lo, exec_lo, s1
.LBB24_121:
	s_andn2_saveexec_b32 s0, s0
	s_cbranch_execz .LBB24_123
; %bb.122:
	v_mov_b32_e32 v68, 5
	ds_write2_b64 v1, v[26:27], v[28:29] offset0:12 offset1:13
	ds_write2_b64 v1, v[22:23], v[24:25] offset0:14 offset1:15
	;; [unrolled: 1-line block ×7, first 2 shown]
.LBB24_123:
	s_or_b32 exec_lo, exec_lo, s0
	s_mov_b32 s0, exec_lo
	s_waitcnt lgkmcnt(0)
	s_waitcnt_vscnt null, 0x0
	s_barrier
	buffer_gl0_inv
	v_cmpx_lt_i32_e32 5, v68
	s_cbranch_execz .LBB24_125
; %bb.124:
	v_mul_f64 v[62:63], v[54:55], v[32:33]
	v_mul_f64 v[32:33], v[56:57], v[32:33]
	v_fma_f64 v[62:63], v[56:57], v[30:31], v[62:63]
	v_fma_f64 v[30:31], v[54:55], v[30:31], -v[32:33]
	ds_read2_b64 v[54:57], v1 offset0:12 offset1:13
	s_waitcnt lgkmcnt(0)
	v_mul_f64 v[32:33], v[56:57], v[62:63]
	v_fma_f64 v[32:33], v[54:55], v[30:31], -v[32:33]
	v_mul_f64 v[54:55], v[54:55], v[62:63]
	v_add_f64 v[26:27], v[26:27], -v[32:33]
	v_fma_f64 v[54:55], v[56:57], v[30:31], v[54:55]
	v_add_f64 v[28:29], v[28:29], -v[54:55]
	ds_read2_b64 v[54:57], v1 offset0:14 offset1:15
	s_waitcnt lgkmcnt(0)
	v_mul_f64 v[32:33], v[56:57], v[62:63]
	v_fma_f64 v[32:33], v[54:55], v[30:31], -v[32:33]
	v_mul_f64 v[54:55], v[54:55], v[62:63]
	v_add_f64 v[22:23], v[22:23], -v[32:33]
	v_fma_f64 v[54:55], v[56:57], v[30:31], v[54:55]
	v_add_f64 v[24:25], v[24:25], -v[54:55]
	;; [unrolled: 8-line block ×6, first 2 shown]
	ds_read2_b64 v[54:57], v1 offset0:24 offset1:25
	s_waitcnt lgkmcnt(0)
	v_mul_f64 v[32:33], v[56:57], v[62:63]
	v_fma_f64 v[32:33], v[54:55], v[30:31], -v[32:33]
	v_mul_f64 v[54:55], v[54:55], v[62:63]
	v_add_f64 v[2:3], v[2:3], -v[32:33]
	v_fma_f64 v[54:55], v[56:57], v[30:31], v[54:55]
	v_mov_b32_e32 v32, v62
	v_mov_b32_e32 v33, v63
	v_add_f64 v[4:5], v[4:5], -v[54:55]
.LBB24_125:
	s_or_b32 exec_lo, exec_lo, s0
	v_lshl_add_u32 v54, v68, 4, v1
	s_barrier
	buffer_gl0_inv
	v_mov_b32_e32 v62, 6
	ds_write2_b64 v54, v[26:27], v[28:29] offset1:1
	s_waitcnt lgkmcnt(0)
	s_barrier
	buffer_gl0_inv
	ds_read2_b64 v[54:57], v1 offset0:12 offset1:13
	s_cmp_lt_i32 s18, 8
	s_cbranch_scc1 .LBB24_128
; %bb.126:
	v_add3_u32 v63, v64, 0, 0x70
	v_mov_b32_e32 v62, 6
	s_mov_b32 s1, 7
	s_inst_prefetch 0x1
	.p2align	6
.LBB24_127:                             ; =>This Inner Loop Header: Depth=1
	s_waitcnt lgkmcnt(0)
	v_cmp_gt_f64_e32 vcc_lo, 0, v[56:57]
	v_cmp_gt_f64_e64 s0, 0, v[54:55]
	ds_read2_b64 v[69:72], v63 offset1:1
	v_xor_b32_e32 v74, 0x80000000, v55
	v_xor_b32_e32 v76, 0x80000000, v57
	v_mov_b32_e32 v73, v54
	v_mov_b32_e32 v75, v56
	v_add_nc_u32_e32 v63, 16, v63
	s_waitcnt lgkmcnt(0)
	v_xor_b32_e32 v78, 0x80000000, v72
	v_cndmask_b32_e64 v74, v55, v74, s0
	v_cndmask_b32_e32 v76, v57, v76, vcc_lo
	v_cmp_gt_f64_e32 vcc_lo, 0, v[71:72]
	v_cmp_gt_f64_e64 s0, 0, v[69:70]
	v_mov_b32_e32 v77, v71
	v_add_f64 v[73:74], v[73:74], v[75:76]
	v_xor_b32_e32 v76, 0x80000000, v70
	v_mov_b32_e32 v75, v69
	v_cndmask_b32_e32 v78, v72, v78, vcc_lo
	v_cndmask_b32_e64 v76, v70, v76, s0
	v_add_f64 v[75:76], v[75:76], v[77:78]
	v_cmp_lt_f64_e32 vcc_lo, v[73:74], v[75:76]
	v_cndmask_b32_e32 v55, v55, v70, vcc_lo
	v_cndmask_b32_e32 v54, v54, v69, vcc_lo
	;; [unrolled: 1-line block ×4, first 2 shown]
	v_cndmask_b32_e64 v62, v62, s1, vcc_lo
	s_add_i32 s1, s1, 1
	s_cmp_lg_u32 s18, s1
	s_cbranch_scc1 .LBB24_127
.LBB24_128:
	s_inst_prefetch 0x2
	s_waitcnt lgkmcnt(0)
	v_cmp_eq_f64_e32 vcc_lo, 0, v[54:55]
	v_cmp_eq_f64_e64 s0, 0, v[56:57]
	s_and_b32 s0, vcc_lo, s0
	s_and_saveexec_b32 s1, s0
	s_xor_b32 s0, exec_lo, s1
; %bb.129:
	v_cmp_ne_u32_e32 vcc_lo, 0, v67
	v_cndmask_b32_e32 v67, 7, v67, vcc_lo
; %bb.130:
	s_andn2_saveexec_b32 s0, s0
	s_cbranch_execz .LBB24_136
; %bb.131:
	v_cmp_ngt_f64_e64 s1, |v[54:55]|, |v[56:57]|
	s_and_saveexec_b32 s2, s1
	s_xor_b32 s1, exec_lo, s2
	s_cbranch_execz .LBB24_133
; %bb.132:
	v_div_scale_f64 v[69:70], null, v[56:57], v[56:57], v[54:55]
	v_div_scale_f64 v[75:76], vcc_lo, v[54:55], v[56:57], v[54:55]
	v_rcp_f64_e32 v[71:72], v[69:70]
	v_fma_f64 v[73:74], -v[69:70], v[71:72], 1.0
	v_fma_f64 v[71:72], v[71:72], v[73:74], v[71:72]
	v_fma_f64 v[73:74], -v[69:70], v[71:72], 1.0
	v_fma_f64 v[71:72], v[71:72], v[73:74], v[71:72]
	v_mul_f64 v[73:74], v[75:76], v[71:72]
	v_fma_f64 v[69:70], -v[69:70], v[73:74], v[75:76]
	v_div_fmas_f64 v[69:70], v[69:70], v[71:72], v[73:74]
	v_div_fixup_f64 v[69:70], v[69:70], v[56:57], v[54:55]
	v_fma_f64 v[54:55], v[54:55], v[69:70], v[56:57]
	v_div_scale_f64 v[56:57], null, v[54:55], v[54:55], 1.0
	v_rcp_f64_e32 v[71:72], v[56:57]
	v_fma_f64 v[73:74], -v[56:57], v[71:72], 1.0
	v_fma_f64 v[71:72], v[71:72], v[73:74], v[71:72]
	v_fma_f64 v[73:74], -v[56:57], v[71:72], 1.0
	v_fma_f64 v[71:72], v[71:72], v[73:74], v[71:72]
	v_div_scale_f64 v[73:74], vcc_lo, 1.0, v[54:55], 1.0
	v_mul_f64 v[75:76], v[73:74], v[71:72]
	v_fma_f64 v[56:57], -v[56:57], v[75:76], v[73:74]
	v_div_fmas_f64 v[56:57], v[56:57], v[71:72], v[75:76]
	v_div_fixup_f64 v[56:57], v[56:57], v[54:55], 1.0
	v_mul_f64 v[54:55], v[69:70], v[56:57]
	v_xor_b32_e32 v57, 0x80000000, v57
.LBB24_133:
	s_andn2_saveexec_b32 s1, s1
	s_cbranch_execz .LBB24_135
; %bb.134:
	v_div_scale_f64 v[69:70], null, v[54:55], v[54:55], v[56:57]
	v_div_scale_f64 v[75:76], vcc_lo, v[56:57], v[54:55], v[56:57]
	v_rcp_f64_e32 v[71:72], v[69:70]
	v_fma_f64 v[73:74], -v[69:70], v[71:72], 1.0
	v_fma_f64 v[71:72], v[71:72], v[73:74], v[71:72]
	v_fma_f64 v[73:74], -v[69:70], v[71:72], 1.0
	v_fma_f64 v[71:72], v[71:72], v[73:74], v[71:72]
	v_mul_f64 v[73:74], v[75:76], v[71:72]
	v_fma_f64 v[69:70], -v[69:70], v[73:74], v[75:76]
	v_div_fmas_f64 v[69:70], v[69:70], v[71:72], v[73:74]
	v_div_fixup_f64 v[69:70], v[69:70], v[54:55], v[56:57]
	v_fma_f64 v[54:55], v[56:57], v[69:70], v[54:55]
	v_div_scale_f64 v[56:57], null, v[54:55], v[54:55], 1.0
	v_rcp_f64_e32 v[71:72], v[56:57]
	v_fma_f64 v[73:74], -v[56:57], v[71:72], 1.0
	v_fma_f64 v[71:72], v[71:72], v[73:74], v[71:72]
	v_fma_f64 v[73:74], -v[56:57], v[71:72], 1.0
	v_fma_f64 v[71:72], v[71:72], v[73:74], v[71:72]
	v_div_scale_f64 v[73:74], vcc_lo, 1.0, v[54:55], 1.0
	v_mul_f64 v[75:76], v[73:74], v[71:72]
	v_fma_f64 v[56:57], -v[56:57], v[75:76], v[73:74]
	v_div_fmas_f64 v[56:57], v[56:57], v[71:72], v[75:76]
	v_div_fixup_f64 v[54:55], v[56:57], v[54:55], 1.0
	v_mul_f64 v[56:57], v[69:70], -v[54:55]
.LBB24_135:
	s_or_b32 exec_lo, exec_lo, s1
.LBB24_136:
	s_or_b32 exec_lo, exec_lo, s0
	s_mov_b32 s0, exec_lo
	v_cmpx_ne_u32_e64 v68, v62
	s_xor_b32 s0, exec_lo, s0
	s_cbranch_execz .LBB24_142
; %bb.137:
	s_mov_b32 s1, exec_lo
	v_cmpx_eq_u32_e32 6, v68
	s_cbranch_execz .LBB24_141
; %bb.138:
	v_cmp_ne_u32_e32 vcc_lo, 6, v62
	s_xor_b32 s2, s16, -1
	s_and_b32 s3, s2, vcc_lo
	s_and_saveexec_b32 s2, s3
	s_cbranch_execz .LBB24_140
; %bb.139:
	v_ashrrev_i32_e32 v63, 31, v62
	v_lshlrev_b64 v[68:69], 2, v[62:63]
	v_add_co_u32 v68, vcc_lo, v60, v68
	v_add_co_ci_u32_e64 v69, null, v61, v69, vcc_lo
	s_clause 0x1
	global_load_dword v0, v[68:69], off
	global_load_dword v63, v[60:61], off offset:24
	s_waitcnt vmcnt(1)
	global_store_dword v[60:61], v0, off offset:24
	s_waitcnt vmcnt(0)
	global_store_dword v[68:69], v63, off
.LBB24_140:
	s_or_b32 exec_lo, exec_lo, s2
	v_mov_b32_e32 v68, v62
	v_mov_b32_e32 v0, v62
.LBB24_141:
	s_or_b32 exec_lo, exec_lo, s1
.LBB24_142:
	s_andn2_saveexec_b32 s0, s0
	s_cbranch_execz .LBB24_144
; %bb.143:
	v_mov_b32_e32 v68, 6
	ds_write2_b64 v1, v[22:23], v[24:25] offset0:14 offset1:15
	ds_write2_b64 v1, v[18:19], v[20:21] offset0:16 offset1:17
	;; [unrolled: 1-line block ×6, first 2 shown]
.LBB24_144:
	s_or_b32 exec_lo, exec_lo, s0
	s_mov_b32 s0, exec_lo
	s_waitcnt lgkmcnt(0)
	s_waitcnt_vscnt null, 0x0
	s_barrier
	buffer_gl0_inv
	v_cmpx_lt_i32_e32 6, v68
	s_cbranch_execz .LBB24_146
; %bb.145:
	v_mul_f64 v[62:63], v[54:55], v[28:29]
	v_mul_f64 v[28:29], v[56:57], v[28:29]
	v_fma_f64 v[62:63], v[56:57], v[26:27], v[62:63]
	v_fma_f64 v[26:27], v[54:55], v[26:27], -v[28:29]
	ds_read2_b64 v[54:57], v1 offset0:14 offset1:15
	s_waitcnt lgkmcnt(0)
	v_mul_f64 v[28:29], v[56:57], v[62:63]
	v_fma_f64 v[28:29], v[54:55], v[26:27], -v[28:29]
	v_mul_f64 v[54:55], v[54:55], v[62:63]
	v_add_f64 v[22:23], v[22:23], -v[28:29]
	v_fma_f64 v[54:55], v[56:57], v[26:27], v[54:55]
	v_add_f64 v[24:25], v[24:25], -v[54:55]
	ds_read2_b64 v[54:57], v1 offset0:16 offset1:17
	s_waitcnt lgkmcnt(0)
	v_mul_f64 v[28:29], v[56:57], v[62:63]
	v_fma_f64 v[28:29], v[54:55], v[26:27], -v[28:29]
	v_mul_f64 v[54:55], v[54:55], v[62:63]
	v_add_f64 v[18:19], v[18:19], -v[28:29]
	v_fma_f64 v[54:55], v[56:57], v[26:27], v[54:55]
	v_add_f64 v[20:21], v[20:21], -v[54:55]
	;; [unrolled: 8-line block ×5, first 2 shown]
	ds_read2_b64 v[54:57], v1 offset0:24 offset1:25
	s_waitcnt lgkmcnt(0)
	v_mul_f64 v[28:29], v[56:57], v[62:63]
	v_fma_f64 v[28:29], v[54:55], v[26:27], -v[28:29]
	v_mul_f64 v[54:55], v[54:55], v[62:63]
	v_add_f64 v[2:3], v[2:3], -v[28:29]
	v_fma_f64 v[54:55], v[56:57], v[26:27], v[54:55]
	v_mov_b32_e32 v28, v62
	v_mov_b32_e32 v29, v63
	v_add_f64 v[4:5], v[4:5], -v[54:55]
.LBB24_146:
	s_or_b32 exec_lo, exec_lo, s0
	v_lshl_add_u32 v54, v68, 4, v1
	s_barrier
	buffer_gl0_inv
	v_mov_b32_e32 v62, 7
	ds_write2_b64 v54, v[22:23], v[24:25] offset1:1
	s_waitcnt lgkmcnt(0)
	s_barrier
	buffer_gl0_inv
	ds_read2_b64 v[54:57], v1 offset0:14 offset1:15
	s_cmp_lt_i32 s18, 9
	s_cbranch_scc1 .LBB24_149
; %bb.147:
	v_add3_u32 v63, v64, 0, 0x80
	v_mov_b32_e32 v62, 7
	s_mov_b32 s1, 8
	s_inst_prefetch 0x1
	.p2align	6
.LBB24_148:                             ; =>This Inner Loop Header: Depth=1
	s_waitcnt lgkmcnt(0)
	v_cmp_gt_f64_e32 vcc_lo, 0, v[56:57]
	v_cmp_gt_f64_e64 s0, 0, v[54:55]
	ds_read2_b64 v[69:72], v63 offset1:1
	v_xor_b32_e32 v74, 0x80000000, v55
	v_xor_b32_e32 v76, 0x80000000, v57
	v_mov_b32_e32 v73, v54
	v_mov_b32_e32 v75, v56
	v_add_nc_u32_e32 v63, 16, v63
	s_waitcnt lgkmcnt(0)
	v_xor_b32_e32 v78, 0x80000000, v72
	v_cndmask_b32_e64 v74, v55, v74, s0
	v_cndmask_b32_e32 v76, v57, v76, vcc_lo
	v_cmp_gt_f64_e32 vcc_lo, 0, v[71:72]
	v_cmp_gt_f64_e64 s0, 0, v[69:70]
	v_mov_b32_e32 v77, v71
	v_add_f64 v[73:74], v[73:74], v[75:76]
	v_xor_b32_e32 v76, 0x80000000, v70
	v_mov_b32_e32 v75, v69
	v_cndmask_b32_e32 v78, v72, v78, vcc_lo
	v_cndmask_b32_e64 v76, v70, v76, s0
	v_add_f64 v[75:76], v[75:76], v[77:78]
	v_cmp_lt_f64_e32 vcc_lo, v[73:74], v[75:76]
	v_cndmask_b32_e32 v55, v55, v70, vcc_lo
	v_cndmask_b32_e32 v54, v54, v69, vcc_lo
	;; [unrolled: 1-line block ×4, first 2 shown]
	v_cndmask_b32_e64 v62, v62, s1, vcc_lo
	s_add_i32 s1, s1, 1
	s_cmp_lg_u32 s18, s1
	s_cbranch_scc1 .LBB24_148
.LBB24_149:
	s_inst_prefetch 0x2
	s_waitcnt lgkmcnt(0)
	v_cmp_eq_f64_e32 vcc_lo, 0, v[54:55]
	v_cmp_eq_f64_e64 s0, 0, v[56:57]
	s_and_b32 s0, vcc_lo, s0
	s_and_saveexec_b32 s1, s0
	s_xor_b32 s0, exec_lo, s1
; %bb.150:
	v_cmp_ne_u32_e32 vcc_lo, 0, v67
	v_cndmask_b32_e32 v67, 8, v67, vcc_lo
; %bb.151:
	s_andn2_saveexec_b32 s0, s0
	s_cbranch_execz .LBB24_157
; %bb.152:
	v_cmp_ngt_f64_e64 s1, |v[54:55]|, |v[56:57]|
	s_and_saveexec_b32 s2, s1
	s_xor_b32 s1, exec_lo, s2
	s_cbranch_execz .LBB24_154
; %bb.153:
	v_div_scale_f64 v[69:70], null, v[56:57], v[56:57], v[54:55]
	v_div_scale_f64 v[75:76], vcc_lo, v[54:55], v[56:57], v[54:55]
	v_rcp_f64_e32 v[71:72], v[69:70]
	v_fma_f64 v[73:74], -v[69:70], v[71:72], 1.0
	v_fma_f64 v[71:72], v[71:72], v[73:74], v[71:72]
	v_fma_f64 v[73:74], -v[69:70], v[71:72], 1.0
	v_fma_f64 v[71:72], v[71:72], v[73:74], v[71:72]
	v_mul_f64 v[73:74], v[75:76], v[71:72]
	v_fma_f64 v[69:70], -v[69:70], v[73:74], v[75:76]
	v_div_fmas_f64 v[69:70], v[69:70], v[71:72], v[73:74]
	v_div_fixup_f64 v[69:70], v[69:70], v[56:57], v[54:55]
	v_fma_f64 v[54:55], v[54:55], v[69:70], v[56:57]
	v_div_scale_f64 v[56:57], null, v[54:55], v[54:55], 1.0
	v_rcp_f64_e32 v[71:72], v[56:57]
	v_fma_f64 v[73:74], -v[56:57], v[71:72], 1.0
	v_fma_f64 v[71:72], v[71:72], v[73:74], v[71:72]
	v_fma_f64 v[73:74], -v[56:57], v[71:72], 1.0
	v_fma_f64 v[71:72], v[71:72], v[73:74], v[71:72]
	v_div_scale_f64 v[73:74], vcc_lo, 1.0, v[54:55], 1.0
	v_mul_f64 v[75:76], v[73:74], v[71:72]
	v_fma_f64 v[56:57], -v[56:57], v[75:76], v[73:74]
	v_div_fmas_f64 v[56:57], v[56:57], v[71:72], v[75:76]
	v_div_fixup_f64 v[56:57], v[56:57], v[54:55], 1.0
	v_mul_f64 v[54:55], v[69:70], v[56:57]
	v_xor_b32_e32 v57, 0x80000000, v57
.LBB24_154:
	s_andn2_saveexec_b32 s1, s1
	s_cbranch_execz .LBB24_156
; %bb.155:
	v_div_scale_f64 v[69:70], null, v[54:55], v[54:55], v[56:57]
	v_div_scale_f64 v[75:76], vcc_lo, v[56:57], v[54:55], v[56:57]
	v_rcp_f64_e32 v[71:72], v[69:70]
	v_fma_f64 v[73:74], -v[69:70], v[71:72], 1.0
	v_fma_f64 v[71:72], v[71:72], v[73:74], v[71:72]
	v_fma_f64 v[73:74], -v[69:70], v[71:72], 1.0
	v_fma_f64 v[71:72], v[71:72], v[73:74], v[71:72]
	v_mul_f64 v[73:74], v[75:76], v[71:72]
	v_fma_f64 v[69:70], -v[69:70], v[73:74], v[75:76]
	v_div_fmas_f64 v[69:70], v[69:70], v[71:72], v[73:74]
	v_div_fixup_f64 v[69:70], v[69:70], v[54:55], v[56:57]
	v_fma_f64 v[54:55], v[56:57], v[69:70], v[54:55]
	v_div_scale_f64 v[56:57], null, v[54:55], v[54:55], 1.0
	v_rcp_f64_e32 v[71:72], v[56:57]
	v_fma_f64 v[73:74], -v[56:57], v[71:72], 1.0
	v_fma_f64 v[71:72], v[71:72], v[73:74], v[71:72]
	v_fma_f64 v[73:74], -v[56:57], v[71:72], 1.0
	v_fma_f64 v[71:72], v[71:72], v[73:74], v[71:72]
	v_div_scale_f64 v[73:74], vcc_lo, 1.0, v[54:55], 1.0
	v_mul_f64 v[75:76], v[73:74], v[71:72]
	v_fma_f64 v[56:57], -v[56:57], v[75:76], v[73:74]
	v_div_fmas_f64 v[56:57], v[56:57], v[71:72], v[75:76]
	v_div_fixup_f64 v[54:55], v[56:57], v[54:55], 1.0
	v_mul_f64 v[56:57], v[69:70], -v[54:55]
.LBB24_156:
	s_or_b32 exec_lo, exec_lo, s1
.LBB24_157:
	s_or_b32 exec_lo, exec_lo, s0
	s_mov_b32 s0, exec_lo
	v_cmpx_ne_u32_e64 v68, v62
	s_xor_b32 s0, exec_lo, s0
	s_cbranch_execz .LBB24_163
; %bb.158:
	s_mov_b32 s1, exec_lo
	v_cmpx_eq_u32_e32 7, v68
	s_cbranch_execz .LBB24_162
; %bb.159:
	v_cmp_ne_u32_e32 vcc_lo, 7, v62
	s_xor_b32 s2, s16, -1
	s_and_b32 s3, s2, vcc_lo
	s_and_saveexec_b32 s2, s3
	s_cbranch_execz .LBB24_161
; %bb.160:
	v_ashrrev_i32_e32 v63, 31, v62
	v_lshlrev_b64 v[68:69], 2, v[62:63]
	v_add_co_u32 v68, vcc_lo, v60, v68
	v_add_co_ci_u32_e64 v69, null, v61, v69, vcc_lo
	s_clause 0x1
	global_load_dword v0, v[68:69], off
	global_load_dword v63, v[60:61], off offset:28
	s_waitcnt vmcnt(1)
	global_store_dword v[60:61], v0, off offset:28
	s_waitcnt vmcnt(0)
	global_store_dword v[68:69], v63, off
.LBB24_161:
	s_or_b32 exec_lo, exec_lo, s2
	v_mov_b32_e32 v68, v62
	v_mov_b32_e32 v0, v62
.LBB24_162:
	s_or_b32 exec_lo, exec_lo, s1
.LBB24_163:
	s_andn2_saveexec_b32 s0, s0
	s_cbranch_execz .LBB24_165
; %bb.164:
	v_mov_b32_e32 v68, 7
	ds_write2_b64 v1, v[18:19], v[20:21] offset0:16 offset1:17
	ds_write2_b64 v1, v[14:15], v[16:17] offset0:18 offset1:19
	;; [unrolled: 1-line block ×5, first 2 shown]
.LBB24_165:
	s_or_b32 exec_lo, exec_lo, s0
	s_mov_b32 s0, exec_lo
	s_waitcnt lgkmcnt(0)
	s_waitcnt_vscnt null, 0x0
	s_barrier
	buffer_gl0_inv
	v_cmpx_lt_i32_e32 7, v68
	s_cbranch_execz .LBB24_167
; %bb.166:
	v_mul_f64 v[62:63], v[54:55], v[24:25]
	v_mul_f64 v[24:25], v[56:57], v[24:25]
	v_fma_f64 v[62:63], v[56:57], v[22:23], v[62:63]
	v_fma_f64 v[22:23], v[54:55], v[22:23], -v[24:25]
	ds_read2_b64 v[54:57], v1 offset0:16 offset1:17
	s_waitcnt lgkmcnt(0)
	v_mul_f64 v[24:25], v[56:57], v[62:63]
	v_fma_f64 v[24:25], v[54:55], v[22:23], -v[24:25]
	v_mul_f64 v[54:55], v[54:55], v[62:63]
	v_add_f64 v[18:19], v[18:19], -v[24:25]
	v_fma_f64 v[54:55], v[56:57], v[22:23], v[54:55]
	v_add_f64 v[20:21], v[20:21], -v[54:55]
	ds_read2_b64 v[54:57], v1 offset0:18 offset1:19
	s_waitcnt lgkmcnt(0)
	v_mul_f64 v[24:25], v[56:57], v[62:63]
	v_fma_f64 v[24:25], v[54:55], v[22:23], -v[24:25]
	v_mul_f64 v[54:55], v[54:55], v[62:63]
	v_add_f64 v[14:15], v[14:15], -v[24:25]
	v_fma_f64 v[54:55], v[56:57], v[22:23], v[54:55]
	v_add_f64 v[16:17], v[16:17], -v[54:55]
	;; [unrolled: 8-line block ×4, first 2 shown]
	ds_read2_b64 v[54:57], v1 offset0:24 offset1:25
	s_waitcnt lgkmcnt(0)
	v_mul_f64 v[24:25], v[56:57], v[62:63]
	v_fma_f64 v[24:25], v[54:55], v[22:23], -v[24:25]
	v_mul_f64 v[54:55], v[54:55], v[62:63]
	v_add_f64 v[2:3], v[2:3], -v[24:25]
	v_fma_f64 v[54:55], v[56:57], v[22:23], v[54:55]
	v_mov_b32_e32 v24, v62
	v_mov_b32_e32 v25, v63
	v_add_f64 v[4:5], v[4:5], -v[54:55]
.LBB24_167:
	s_or_b32 exec_lo, exec_lo, s0
	v_lshl_add_u32 v54, v68, 4, v1
	s_barrier
	buffer_gl0_inv
	v_mov_b32_e32 v62, 8
	ds_write2_b64 v54, v[18:19], v[20:21] offset1:1
	s_waitcnt lgkmcnt(0)
	s_barrier
	buffer_gl0_inv
	ds_read2_b64 v[54:57], v1 offset0:16 offset1:17
	s_cmp_lt_i32 s18, 10
	s_cbranch_scc1 .LBB24_170
; %bb.168:
	v_add3_u32 v63, v64, 0, 0x90
	v_mov_b32_e32 v62, 8
	s_mov_b32 s1, 9
	s_inst_prefetch 0x1
	.p2align	6
.LBB24_169:                             ; =>This Inner Loop Header: Depth=1
	s_waitcnt lgkmcnt(0)
	v_cmp_gt_f64_e32 vcc_lo, 0, v[56:57]
	v_cmp_gt_f64_e64 s0, 0, v[54:55]
	ds_read2_b64 v[69:72], v63 offset1:1
	v_xor_b32_e32 v74, 0x80000000, v55
	v_xor_b32_e32 v76, 0x80000000, v57
	v_mov_b32_e32 v73, v54
	v_mov_b32_e32 v75, v56
	v_add_nc_u32_e32 v63, 16, v63
	s_waitcnt lgkmcnt(0)
	v_xor_b32_e32 v78, 0x80000000, v72
	v_cndmask_b32_e64 v74, v55, v74, s0
	v_cndmask_b32_e32 v76, v57, v76, vcc_lo
	v_cmp_gt_f64_e32 vcc_lo, 0, v[71:72]
	v_cmp_gt_f64_e64 s0, 0, v[69:70]
	v_mov_b32_e32 v77, v71
	v_add_f64 v[73:74], v[73:74], v[75:76]
	v_xor_b32_e32 v76, 0x80000000, v70
	v_mov_b32_e32 v75, v69
	v_cndmask_b32_e32 v78, v72, v78, vcc_lo
	v_cndmask_b32_e64 v76, v70, v76, s0
	v_add_f64 v[75:76], v[75:76], v[77:78]
	v_cmp_lt_f64_e32 vcc_lo, v[73:74], v[75:76]
	v_cndmask_b32_e32 v55, v55, v70, vcc_lo
	v_cndmask_b32_e32 v54, v54, v69, vcc_lo
	v_cndmask_b32_e32 v57, v57, v72, vcc_lo
	v_cndmask_b32_e32 v56, v56, v71, vcc_lo
	v_cndmask_b32_e64 v62, v62, s1, vcc_lo
	s_add_i32 s1, s1, 1
	s_cmp_lg_u32 s18, s1
	s_cbranch_scc1 .LBB24_169
.LBB24_170:
	s_inst_prefetch 0x2
	s_waitcnt lgkmcnt(0)
	v_cmp_eq_f64_e32 vcc_lo, 0, v[54:55]
	v_cmp_eq_f64_e64 s0, 0, v[56:57]
	s_and_b32 s0, vcc_lo, s0
	s_and_saveexec_b32 s1, s0
	s_xor_b32 s0, exec_lo, s1
; %bb.171:
	v_cmp_ne_u32_e32 vcc_lo, 0, v67
	v_cndmask_b32_e32 v67, 9, v67, vcc_lo
; %bb.172:
	s_andn2_saveexec_b32 s0, s0
	s_cbranch_execz .LBB24_178
; %bb.173:
	v_cmp_ngt_f64_e64 s1, |v[54:55]|, |v[56:57]|
	s_and_saveexec_b32 s2, s1
	s_xor_b32 s1, exec_lo, s2
	s_cbranch_execz .LBB24_175
; %bb.174:
	v_div_scale_f64 v[69:70], null, v[56:57], v[56:57], v[54:55]
	v_div_scale_f64 v[75:76], vcc_lo, v[54:55], v[56:57], v[54:55]
	v_rcp_f64_e32 v[71:72], v[69:70]
	v_fma_f64 v[73:74], -v[69:70], v[71:72], 1.0
	v_fma_f64 v[71:72], v[71:72], v[73:74], v[71:72]
	v_fma_f64 v[73:74], -v[69:70], v[71:72], 1.0
	v_fma_f64 v[71:72], v[71:72], v[73:74], v[71:72]
	v_mul_f64 v[73:74], v[75:76], v[71:72]
	v_fma_f64 v[69:70], -v[69:70], v[73:74], v[75:76]
	v_div_fmas_f64 v[69:70], v[69:70], v[71:72], v[73:74]
	v_div_fixup_f64 v[69:70], v[69:70], v[56:57], v[54:55]
	v_fma_f64 v[54:55], v[54:55], v[69:70], v[56:57]
	v_div_scale_f64 v[56:57], null, v[54:55], v[54:55], 1.0
	v_rcp_f64_e32 v[71:72], v[56:57]
	v_fma_f64 v[73:74], -v[56:57], v[71:72], 1.0
	v_fma_f64 v[71:72], v[71:72], v[73:74], v[71:72]
	v_fma_f64 v[73:74], -v[56:57], v[71:72], 1.0
	v_fma_f64 v[71:72], v[71:72], v[73:74], v[71:72]
	v_div_scale_f64 v[73:74], vcc_lo, 1.0, v[54:55], 1.0
	v_mul_f64 v[75:76], v[73:74], v[71:72]
	v_fma_f64 v[56:57], -v[56:57], v[75:76], v[73:74]
	v_div_fmas_f64 v[56:57], v[56:57], v[71:72], v[75:76]
	v_div_fixup_f64 v[56:57], v[56:57], v[54:55], 1.0
	v_mul_f64 v[54:55], v[69:70], v[56:57]
	v_xor_b32_e32 v57, 0x80000000, v57
.LBB24_175:
	s_andn2_saveexec_b32 s1, s1
	s_cbranch_execz .LBB24_177
; %bb.176:
	v_div_scale_f64 v[69:70], null, v[54:55], v[54:55], v[56:57]
	v_div_scale_f64 v[75:76], vcc_lo, v[56:57], v[54:55], v[56:57]
	v_rcp_f64_e32 v[71:72], v[69:70]
	v_fma_f64 v[73:74], -v[69:70], v[71:72], 1.0
	v_fma_f64 v[71:72], v[71:72], v[73:74], v[71:72]
	v_fma_f64 v[73:74], -v[69:70], v[71:72], 1.0
	v_fma_f64 v[71:72], v[71:72], v[73:74], v[71:72]
	v_mul_f64 v[73:74], v[75:76], v[71:72]
	v_fma_f64 v[69:70], -v[69:70], v[73:74], v[75:76]
	v_div_fmas_f64 v[69:70], v[69:70], v[71:72], v[73:74]
	v_div_fixup_f64 v[69:70], v[69:70], v[54:55], v[56:57]
	v_fma_f64 v[54:55], v[56:57], v[69:70], v[54:55]
	v_div_scale_f64 v[56:57], null, v[54:55], v[54:55], 1.0
	v_rcp_f64_e32 v[71:72], v[56:57]
	v_fma_f64 v[73:74], -v[56:57], v[71:72], 1.0
	v_fma_f64 v[71:72], v[71:72], v[73:74], v[71:72]
	v_fma_f64 v[73:74], -v[56:57], v[71:72], 1.0
	v_fma_f64 v[71:72], v[71:72], v[73:74], v[71:72]
	v_div_scale_f64 v[73:74], vcc_lo, 1.0, v[54:55], 1.0
	v_mul_f64 v[75:76], v[73:74], v[71:72]
	v_fma_f64 v[56:57], -v[56:57], v[75:76], v[73:74]
	v_div_fmas_f64 v[56:57], v[56:57], v[71:72], v[75:76]
	v_div_fixup_f64 v[54:55], v[56:57], v[54:55], 1.0
	v_mul_f64 v[56:57], v[69:70], -v[54:55]
.LBB24_177:
	s_or_b32 exec_lo, exec_lo, s1
.LBB24_178:
	s_or_b32 exec_lo, exec_lo, s0
	s_mov_b32 s0, exec_lo
	v_cmpx_ne_u32_e64 v68, v62
	s_xor_b32 s0, exec_lo, s0
	s_cbranch_execz .LBB24_184
; %bb.179:
	s_mov_b32 s1, exec_lo
	v_cmpx_eq_u32_e32 8, v68
	s_cbranch_execz .LBB24_183
; %bb.180:
	v_cmp_ne_u32_e32 vcc_lo, 8, v62
	s_xor_b32 s2, s16, -1
	s_and_b32 s3, s2, vcc_lo
	s_and_saveexec_b32 s2, s3
	s_cbranch_execz .LBB24_182
; %bb.181:
	v_ashrrev_i32_e32 v63, 31, v62
	v_lshlrev_b64 v[68:69], 2, v[62:63]
	v_add_co_u32 v68, vcc_lo, v60, v68
	v_add_co_ci_u32_e64 v69, null, v61, v69, vcc_lo
	s_clause 0x1
	global_load_dword v0, v[68:69], off
	global_load_dword v63, v[60:61], off offset:32
	s_waitcnt vmcnt(1)
	global_store_dword v[60:61], v0, off offset:32
	s_waitcnt vmcnt(0)
	global_store_dword v[68:69], v63, off
.LBB24_182:
	s_or_b32 exec_lo, exec_lo, s2
	v_mov_b32_e32 v68, v62
	v_mov_b32_e32 v0, v62
.LBB24_183:
	s_or_b32 exec_lo, exec_lo, s1
.LBB24_184:
	s_andn2_saveexec_b32 s0, s0
	s_cbranch_execz .LBB24_186
; %bb.185:
	v_mov_b32_e32 v68, 8
	ds_write2_b64 v1, v[14:15], v[16:17] offset0:18 offset1:19
	ds_write2_b64 v1, v[10:11], v[12:13] offset0:20 offset1:21
	;; [unrolled: 1-line block ×4, first 2 shown]
.LBB24_186:
	s_or_b32 exec_lo, exec_lo, s0
	s_mov_b32 s0, exec_lo
	s_waitcnt lgkmcnt(0)
	s_waitcnt_vscnt null, 0x0
	s_barrier
	buffer_gl0_inv
	v_cmpx_lt_i32_e32 8, v68
	s_cbranch_execz .LBB24_188
; %bb.187:
	v_mul_f64 v[62:63], v[54:55], v[20:21]
	v_mul_f64 v[20:21], v[56:57], v[20:21]
	v_fma_f64 v[62:63], v[56:57], v[18:19], v[62:63]
	v_fma_f64 v[18:19], v[54:55], v[18:19], -v[20:21]
	ds_read2_b64 v[54:57], v1 offset0:18 offset1:19
	s_waitcnt lgkmcnt(0)
	v_mul_f64 v[20:21], v[56:57], v[62:63]
	v_fma_f64 v[20:21], v[54:55], v[18:19], -v[20:21]
	v_mul_f64 v[54:55], v[54:55], v[62:63]
	v_add_f64 v[14:15], v[14:15], -v[20:21]
	v_fma_f64 v[54:55], v[56:57], v[18:19], v[54:55]
	v_add_f64 v[16:17], v[16:17], -v[54:55]
	ds_read2_b64 v[54:57], v1 offset0:20 offset1:21
	s_waitcnt lgkmcnt(0)
	v_mul_f64 v[20:21], v[56:57], v[62:63]
	v_fma_f64 v[20:21], v[54:55], v[18:19], -v[20:21]
	v_mul_f64 v[54:55], v[54:55], v[62:63]
	v_add_f64 v[10:11], v[10:11], -v[20:21]
	v_fma_f64 v[54:55], v[56:57], v[18:19], v[54:55]
	v_add_f64 v[12:13], v[12:13], -v[54:55]
	;; [unrolled: 8-line block ×3, first 2 shown]
	ds_read2_b64 v[54:57], v1 offset0:24 offset1:25
	s_waitcnt lgkmcnt(0)
	v_mul_f64 v[20:21], v[56:57], v[62:63]
	v_fma_f64 v[20:21], v[54:55], v[18:19], -v[20:21]
	v_mul_f64 v[54:55], v[54:55], v[62:63]
	v_add_f64 v[2:3], v[2:3], -v[20:21]
	v_fma_f64 v[54:55], v[56:57], v[18:19], v[54:55]
	v_mov_b32_e32 v20, v62
	v_mov_b32_e32 v21, v63
	v_add_f64 v[4:5], v[4:5], -v[54:55]
.LBB24_188:
	s_or_b32 exec_lo, exec_lo, s0
	v_lshl_add_u32 v54, v68, 4, v1
	s_barrier
	buffer_gl0_inv
	v_mov_b32_e32 v62, 9
	ds_write2_b64 v54, v[14:15], v[16:17] offset1:1
	s_waitcnt lgkmcnt(0)
	s_barrier
	buffer_gl0_inv
	ds_read2_b64 v[54:57], v1 offset0:18 offset1:19
	s_cmp_lt_i32 s18, 11
	s_cbranch_scc1 .LBB24_191
; %bb.189:
	v_add3_u32 v63, v64, 0, 0xa0
	v_mov_b32_e32 v62, 9
	s_mov_b32 s1, 10
	s_inst_prefetch 0x1
	.p2align	6
.LBB24_190:                             ; =>This Inner Loop Header: Depth=1
	s_waitcnt lgkmcnt(0)
	v_cmp_gt_f64_e32 vcc_lo, 0, v[56:57]
	v_cmp_gt_f64_e64 s0, 0, v[54:55]
	ds_read2_b64 v[69:72], v63 offset1:1
	v_xor_b32_e32 v74, 0x80000000, v55
	v_xor_b32_e32 v76, 0x80000000, v57
	v_mov_b32_e32 v73, v54
	v_mov_b32_e32 v75, v56
	v_add_nc_u32_e32 v63, 16, v63
	s_waitcnt lgkmcnt(0)
	v_xor_b32_e32 v78, 0x80000000, v72
	v_cndmask_b32_e64 v74, v55, v74, s0
	v_cndmask_b32_e32 v76, v57, v76, vcc_lo
	v_cmp_gt_f64_e32 vcc_lo, 0, v[71:72]
	v_cmp_gt_f64_e64 s0, 0, v[69:70]
	v_mov_b32_e32 v77, v71
	v_add_f64 v[73:74], v[73:74], v[75:76]
	v_xor_b32_e32 v76, 0x80000000, v70
	v_mov_b32_e32 v75, v69
	v_cndmask_b32_e32 v78, v72, v78, vcc_lo
	v_cndmask_b32_e64 v76, v70, v76, s0
	v_add_f64 v[75:76], v[75:76], v[77:78]
	v_cmp_lt_f64_e32 vcc_lo, v[73:74], v[75:76]
	v_cndmask_b32_e32 v55, v55, v70, vcc_lo
	v_cndmask_b32_e32 v54, v54, v69, vcc_lo
	;; [unrolled: 1-line block ×4, first 2 shown]
	v_cndmask_b32_e64 v62, v62, s1, vcc_lo
	s_add_i32 s1, s1, 1
	s_cmp_lg_u32 s18, s1
	s_cbranch_scc1 .LBB24_190
.LBB24_191:
	s_inst_prefetch 0x2
	s_waitcnt lgkmcnt(0)
	v_cmp_eq_f64_e32 vcc_lo, 0, v[54:55]
	v_cmp_eq_f64_e64 s0, 0, v[56:57]
	s_and_b32 s0, vcc_lo, s0
	s_and_saveexec_b32 s1, s0
	s_xor_b32 s0, exec_lo, s1
; %bb.192:
	v_cmp_ne_u32_e32 vcc_lo, 0, v67
	v_cndmask_b32_e32 v67, 10, v67, vcc_lo
; %bb.193:
	s_andn2_saveexec_b32 s0, s0
	s_cbranch_execz .LBB24_199
; %bb.194:
	v_cmp_ngt_f64_e64 s1, |v[54:55]|, |v[56:57]|
	s_and_saveexec_b32 s2, s1
	s_xor_b32 s1, exec_lo, s2
	s_cbranch_execz .LBB24_196
; %bb.195:
	v_div_scale_f64 v[69:70], null, v[56:57], v[56:57], v[54:55]
	v_div_scale_f64 v[75:76], vcc_lo, v[54:55], v[56:57], v[54:55]
	v_rcp_f64_e32 v[71:72], v[69:70]
	v_fma_f64 v[73:74], -v[69:70], v[71:72], 1.0
	v_fma_f64 v[71:72], v[71:72], v[73:74], v[71:72]
	v_fma_f64 v[73:74], -v[69:70], v[71:72], 1.0
	v_fma_f64 v[71:72], v[71:72], v[73:74], v[71:72]
	v_mul_f64 v[73:74], v[75:76], v[71:72]
	v_fma_f64 v[69:70], -v[69:70], v[73:74], v[75:76]
	v_div_fmas_f64 v[69:70], v[69:70], v[71:72], v[73:74]
	v_div_fixup_f64 v[69:70], v[69:70], v[56:57], v[54:55]
	v_fma_f64 v[54:55], v[54:55], v[69:70], v[56:57]
	v_div_scale_f64 v[56:57], null, v[54:55], v[54:55], 1.0
	v_rcp_f64_e32 v[71:72], v[56:57]
	v_fma_f64 v[73:74], -v[56:57], v[71:72], 1.0
	v_fma_f64 v[71:72], v[71:72], v[73:74], v[71:72]
	v_fma_f64 v[73:74], -v[56:57], v[71:72], 1.0
	v_fma_f64 v[71:72], v[71:72], v[73:74], v[71:72]
	v_div_scale_f64 v[73:74], vcc_lo, 1.0, v[54:55], 1.0
	v_mul_f64 v[75:76], v[73:74], v[71:72]
	v_fma_f64 v[56:57], -v[56:57], v[75:76], v[73:74]
	v_div_fmas_f64 v[56:57], v[56:57], v[71:72], v[75:76]
	v_div_fixup_f64 v[56:57], v[56:57], v[54:55], 1.0
	v_mul_f64 v[54:55], v[69:70], v[56:57]
	v_xor_b32_e32 v57, 0x80000000, v57
.LBB24_196:
	s_andn2_saveexec_b32 s1, s1
	s_cbranch_execz .LBB24_198
; %bb.197:
	v_div_scale_f64 v[69:70], null, v[54:55], v[54:55], v[56:57]
	v_div_scale_f64 v[75:76], vcc_lo, v[56:57], v[54:55], v[56:57]
	v_rcp_f64_e32 v[71:72], v[69:70]
	v_fma_f64 v[73:74], -v[69:70], v[71:72], 1.0
	v_fma_f64 v[71:72], v[71:72], v[73:74], v[71:72]
	v_fma_f64 v[73:74], -v[69:70], v[71:72], 1.0
	v_fma_f64 v[71:72], v[71:72], v[73:74], v[71:72]
	v_mul_f64 v[73:74], v[75:76], v[71:72]
	v_fma_f64 v[69:70], -v[69:70], v[73:74], v[75:76]
	v_div_fmas_f64 v[69:70], v[69:70], v[71:72], v[73:74]
	v_div_fixup_f64 v[69:70], v[69:70], v[54:55], v[56:57]
	v_fma_f64 v[54:55], v[56:57], v[69:70], v[54:55]
	v_div_scale_f64 v[56:57], null, v[54:55], v[54:55], 1.0
	v_rcp_f64_e32 v[71:72], v[56:57]
	v_fma_f64 v[73:74], -v[56:57], v[71:72], 1.0
	v_fma_f64 v[71:72], v[71:72], v[73:74], v[71:72]
	v_fma_f64 v[73:74], -v[56:57], v[71:72], 1.0
	v_fma_f64 v[71:72], v[71:72], v[73:74], v[71:72]
	v_div_scale_f64 v[73:74], vcc_lo, 1.0, v[54:55], 1.0
	v_mul_f64 v[75:76], v[73:74], v[71:72]
	v_fma_f64 v[56:57], -v[56:57], v[75:76], v[73:74]
	v_div_fmas_f64 v[56:57], v[56:57], v[71:72], v[75:76]
	v_div_fixup_f64 v[54:55], v[56:57], v[54:55], 1.0
	v_mul_f64 v[56:57], v[69:70], -v[54:55]
.LBB24_198:
	s_or_b32 exec_lo, exec_lo, s1
.LBB24_199:
	s_or_b32 exec_lo, exec_lo, s0
	s_mov_b32 s0, exec_lo
	v_cmpx_ne_u32_e64 v68, v62
	s_xor_b32 s0, exec_lo, s0
	s_cbranch_execz .LBB24_205
; %bb.200:
	s_mov_b32 s1, exec_lo
	v_cmpx_eq_u32_e32 9, v68
	s_cbranch_execz .LBB24_204
; %bb.201:
	v_cmp_ne_u32_e32 vcc_lo, 9, v62
	s_xor_b32 s2, s16, -1
	s_and_b32 s3, s2, vcc_lo
	s_and_saveexec_b32 s2, s3
	s_cbranch_execz .LBB24_203
; %bb.202:
	v_ashrrev_i32_e32 v63, 31, v62
	v_lshlrev_b64 v[68:69], 2, v[62:63]
	v_add_co_u32 v68, vcc_lo, v60, v68
	v_add_co_ci_u32_e64 v69, null, v61, v69, vcc_lo
	s_clause 0x1
	global_load_dword v0, v[68:69], off
	global_load_dword v63, v[60:61], off offset:36
	s_waitcnt vmcnt(1)
	global_store_dword v[60:61], v0, off offset:36
	s_waitcnt vmcnt(0)
	global_store_dword v[68:69], v63, off
.LBB24_203:
	s_or_b32 exec_lo, exec_lo, s2
	v_mov_b32_e32 v68, v62
	v_mov_b32_e32 v0, v62
.LBB24_204:
	s_or_b32 exec_lo, exec_lo, s1
.LBB24_205:
	s_andn2_saveexec_b32 s0, s0
	s_cbranch_execz .LBB24_207
; %bb.206:
	v_mov_b32_e32 v68, 9
	ds_write2_b64 v1, v[10:11], v[12:13] offset0:20 offset1:21
	ds_write2_b64 v1, v[6:7], v[8:9] offset0:22 offset1:23
	;; [unrolled: 1-line block ×3, first 2 shown]
.LBB24_207:
	s_or_b32 exec_lo, exec_lo, s0
	s_mov_b32 s0, exec_lo
	s_waitcnt lgkmcnt(0)
	s_waitcnt_vscnt null, 0x0
	s_barrier
	buffer_gl0_inv
	v_cmpx_lt_i32_e32 9, v68
	s_cbranch_execz .LBB24_209
; %bb.208:
	v_mul_f64 v[62:63], v[54:55], v[16:17]
	v_mul_f64 v[16:17], v[56:57], v[16:17]
	ds_read2_b64 v[69:72], v1 offset0:20 offset1:21
	ds_read2_b64 v[73:76], v1 offset0:22 offset1:23
	;; [unrolled: 1-line block ×3, first 2 shown]
	v_fma_f64 v[56:57], v[56:57], v[14:15], v[62:63]
	v_fma_f64 v[14:15], v[54:55], v[14:15], -v[16:17]
	s_waitcnt lgkmcnt(2)
	v_mul_f64 v[16:17], v[71:72], v[56:57]
	v_mul_f64 v[54:55], v[69:70], v[56:57]
	s_waitcnt lgkmcnt(1)
	v_mul_f64 v[62:63], v[75:76], v[56:57]
	v_mul_f64 v[81:82], v[73:74], v[56:57]
	;; [unrolled: 3-line block ×3, first 2 shown]
	v_fma_f64 v[16:17], v[69:70], v[14:15], -v[16:17]
	v_fma_f64 v[54:55], v[71:72], v[14:15], v[54:55]
	v_fma_f64 v[62:63], v[73:74], v[14:15], -v[62:63]
	v_fma_f64 v[69:70], v[75:76], v[14:15], v[81:82]
	;; [unrolled: 2-line block ×3, first 2 shown]
	v_add_f64 v[10:11], v[10:11], -v[16:17]
	v_add_f64 v[12:13], v[12:13], -v[54:55]
	;; [unrolled: 1-line block ×6, first 2 shown]
	v_mov_b32_e32 v16, v56
	v_mov_b32_e32 v17, v57
.LBB24_209:
	s_or_b32 exec_lo, exec_lo, s0
	v_lshl_add_u32 v54, v68, 4, v1
	s_barrier
	buffer_gl0_inv
	v_mov_b32_e32 v62, 10
	ds_write2_b64 v54, v[10:11], v[12:13] offset1:1
	s_waitcnt lgkmcnt(0)
	s_barrier
	buffer_gl0_inv
	ds_read2_b64 v[54:57], v1 offset0:20 offset1:21
	s_cmp_lt_i32 s18, 12
	s_cbranch_scc1 .LBB24_212
; %bb.210:
	v_add3_u32 v63, v64, 0, 0xb0
	v_mov_b32_e32 v62, 10
	s_mov_b32 s1, 11
	s_inst_prefetch 0x1
	.p2align	6
.LBB24_211:                             ; =>This Inner Loop Header: Depth=1
	s_waitcnt lgkmcnt(0)
	v_cmp_gt_f64_e32 vcc_lo, 0, v[56:57]
	v_cmp_gt_f64_e64 s0, 0, v[54:55]
	ds_read2_b64 v[69:72], v63 offset1:1
	v_xor_b32_e32 v74, 0x80000000, v55
	v_xor_b32_e32 v76, 0x80000000, v57
	v_mov_b32_e32 v73, v54
	v_mov_b32_e32 v75, v56
	v_add_nc_u32_e32 v63, 16, v63
	s_waitcnt lgkmcnt(0)
	v_xor_b32_e32 v78, 0x80000000, v72
	v_cndmask_b32_e64 v74, v55, v74, s0
	v_cndmask_b32_e32 v76, v57, v76, vcc_lo
	v_cmp_gt_f64_e32 vcc_lo, 0, v[71:72]
	v_cmp_gt_f64_e64 s0, 0, v[69:70]
	v_mov_b32_e32 v77, v71
	v_add_f64 v[73:74], v[73:74], v[75:76]
	v_xor_b32_e32 v76, 0x80000000, v70
	v_mov_b32_e32 v75, v69
	v_cndmask_b32_e32 v78, v72, v78, vcc_lo
	v_cndmask_b32_e64 v76, v70, v76, s0
	v_add_f64 v[75:76], v[75:76], v[77:78]
	v_cmp_lt_f64_e32 vcc_lo, v[73:74], v[75:76]
	v_cndmask_b32_e32 v55, v55, v70, vcc_lo
	v_cndmask_b32_e32 v54, v54, v69, vcc_lo
	v_cndmask_b32_e32 v57, v57, v72, vcc_lo
	v_cndmask_b32_e32 v56, v56, v71, vcc_lo
	v_cndmask_b32_e64 v62, v62, s1, vcc_lo
	s_add_i32 s1, s1, 1
	s_cmp_lg_u32 s18, s1
	s_cbranch_scc1 .LBB24_211
.LBB24_212:
	s_inst_prefetch 0x2
	s_waitcnt lgkmcnt(0)
	v_cmp_eq_f64_e32 vcc_lo, 0, v[54:55]
	v_cmp_eq_f64_e64 s0, 0, v[56:57]
	s_and_b32 s0, vcc_lo, s0
	s_and_saveexec_b32 s1, s0
	s_xor_b32 s0, exec_lo, s1
; %bb.213:
	v_cmp_ne_u32_e32 vcc_lo, 0, v67
	v_cndmask_b32_e32 v67, 11, v67, vcc_lo
; %bb.214:
	s_andn2_saveexec_b32 s0, s0
	s_cbranch_execz .LBB24_220
; %bb.215:
	v_cmp_ngt_f64_e64 s1, |v[54:55]|, |v[56:57]|
	s_and_saveexec_b32 s2, s1
	s_xor_b32 s1, exec_lo, s2
	s_cbranch_execz .LBB24_217
; %bb.216:
	v_div_scale_f64 v[69:70], null, v[56:57], v[56:57], v[54:55]
	v_div_scale_f64 v[75:76], vcc_lo, v[54:55], v[56:57], v[54:55]
	v_rcp_f64_e32 v[71:72], v[69:70]
	v_fma_f64 v[73:74], -v[69:70], v[71:72], 1.0
	v_fma_f64 v[71:72], v[71:72], v[73:74], v[71:72]
	v_fma_f64 v[73:74], -v[69:70], v[71:72], 1.0
	v_fma_f64 v[71:72], v[71:72], v[73:74], v[71:72]
	v_mul_f64 v[73:74], v[75:76], v[71:72]
	v_fma_f64 v[69:70], -v[69:70], v[73:74], v[75:76]
	v_div_fmas_f64 v[69:70], v[69:70], v[71:72], v[73:74]
	v_div_fixup_f64 v[69:70], v[69:70], v[56:57], v[54:55]
	v_fma_f64 v[54:55], v[54:55], v[69:70], v[56:57]
	v_div_scale_f64 v[56:57], null, v[54:55], v[54:55], 1.0
	v_rcp_f64_e32 v[71:72], v[56:57]
	v_fma_f64 v[73:74], -v[56:57], v[71:72], 1.0
	v_fma_f64 v[71:72], v[71:72], v[73:74], v[71:72]
	v_fma_f64 v[73:74], -v[56:57], v[71:72], 1.0
	v_fma_f64 v[71:72], v[71:72], v[73:74], v[71:72]
	v_div_scale_f64 v[73:74], vcc_lo, 1.0, v[54:55], 1.0
	v_mul_f64 v[75:76], v[73:74], v[71:72]
	v_fma_f64 v[56:57], -v[56:57], v[75:76], v[73:74]
	v_div_fmas_f64 v[56:57], v[56:57], v[71:72], v[75:76]
	v_div_fixup_f64 v[56:57], v[56:57], v[54:55], 1.0
	v_mul_f64 v[54:55], v[69:70], v[56:57]
	v_xor_b32_e32 v57, 0x80000000, v57
.LBB24_217:
	s_andn2_saveexec_b32 s1, s1
	s_cbranch_execz .LBB24_219
; %bb.218:
	v_div_scale_f64 v[69:70], null, v[54:55], v[54:55], v[56:57]
	v_div_scale_f64 v[75:76], vcc_lo, v[56:57], v[54:55], v[56:57]
	v_rcp_f64_e32 v[71:72], v[69:70]
	v_fma_f64 v[73:74], -v[69:70], v[71:72], 1.0
	v_fma_f64 v[71:72], v[71:72], v[73:74], v[71:72]
	v_fma_f64 v[73:74], -v[69:70], v[71:72], 1.0
	v_fma_f64 v[71:72], v[71:72], v[73:74], v[71:72]
	v_mul_f64 v[73:74], v[75:76], v[71:72]
	v_fma_f64 v[69:70], -v[69:70], v[73:74], v[75:76]
	v_div_fmas_f64 v[69:70], v[69:70], v[71:72], v[73:74]
	v_div_fixup_f64 v[69:70], v[69:70], v[54:55], v[56:57]
	v_fma_f64 v[54:55], v[56:57], v[69:70], v[54:55]
	v_div_scale_f64 v[56:57], null, v[54:55], v[54:55], 1.0
	v_rcp_f64_e32 v[71:72], v[56:57]
	v_fma_f64 v[73:74], -v[56:57], v[71:72], 1.0
	v_fma_f64 v[71:72], v[71:72], v[73:74], v[71:72]
	v_fma_f64 v[73:74], -v[56:57], v[71:72], 1.0
	v_fma_f64 v[71:72], v[71:72], v[73:74], v[71:72]
	v_div_scale_f64 v[73:74], vcc_lo, 1.0, v[54:55], 1.0
	v_mul_f64 v[75:76], v[73:74], v[71:72]
	v_fma_f64 v[56:57], -v[56:57], v[75:76], v[73:74]
	v_div_fmas_f64 v[56:57], v[56:57], v[71:72], v[75:76]
	v_div_fixup_f64 v[54:55], v[56:57], v[54:55], 1.0
	v_mul_f64 v[56:57], v[69:70], -v[54:55]
.LBB24_219:
	s_or_b32 exec_lo, exec_lo, s1
.LBB24_220:
	s_or_b32 exec_lo, exec_lo, s0
	s_mov_b32 s0, exec_lo
	v_cmpx_ne_u32_e64 v68, v62
	s_xor_b32 s0, exec_lo, s0
	s_cbranch_execz .LBB24_226
; %bb.221:
	s_mov_b32 s1, exec_lo
	v_cmpx_eq_u32_e32 10, v68
	s_cbranch_execz .LBB24_225
; %bb.222:
	v_cmp_ne_u32_e32 vcc_lo, 10, v62
	s_xor_b32 s2, s16, -1
	s_and_b32 s3, s2, vcc_lo
	s_and_saveexec_b32 s2, s3
	s_cbranch_execz .LBB24_224
; %bb.223:
	v_ashrrev_i32_e32 v63, 31, v62
	v_lshlrev_b64 v[68:69], 2, v[62:63]
	v_add_co_u32 v68, vcc_lo, v60, v68
	v_add_co_ci_u32_e64 v69, null, v61, v69, vcc_lo
	s_clause 0x1
	global_load_dword v0, v[68:69], off
	global_load_dword v63, v[60:61], off offset:40
	s_waitcnt vmcnt(1)
	global_store_dword v[60:61], v0, off offset:40
	s_waitcnt vmcnt(0)
	global_store_dword v[68:69], v63, off
.LBB24_224:
	s_or_b32 exec_lo, exec_lo, s2
	v_mov_b32_e32 v68, v62
	v_mov_b32_e32 v0, v62
.LBB24_225:
	s_or_b32 exec_lo, exec_lo, s1
.LBB24_226:
	s_andn2_saveexec_b32 s0, s0
	s_cbranch_execz .LBB24_228
; %bb.227:
	v_mov_b32_e32 v68, 10
	ds_write2_b64 v1, v[6:7], v[8:9] offset0:22 offset1:23
	ds_write2_b64 v1, v[2:3], v[4:5] offset0:24 offset1:25
.LBB24_228:
	s_or_b32 exec_lo, exec_lo, s0
	s_mov_b32 s0, exec_lo
	s_waitcnt lgkmcnt(0)
	s_waitcnt_vscnt null, 0x0
	s_barrier
	buffer_gl0_inv
	v_cmpx_lt_i32_e32 10, v68
	s_cbranch_execz .LBB24_230
; %bb.229:
	v_mul_f64 v[62:63], v[54:55], v[12:13]
	v_mul_f64 v[12:13], v[56:57], v[12:13]
	ds_read2_b64 v[69:72], v1 offset0:22 offset1:23
	ds_read2_b64 v[73:76], v1 offset0:24 offset1:25
	v_fma_f64 v[56:57], v[56:57], v[10:11], v[62:63]
	v_fma_f64 v[10:11], v[54:55], v[10:11], -v[12:13]
	s_waitcnt lgkmcnt(1)
	v_mul_f64 v[12:13], v[71:72], v[56:57]
	v_mul_f64 v[54:55], v[69:70], v[56:57]
	s_waitcnt lgkmcnt(0)
	v_mul_f64 v[62:63], v[75:76], v[56:57]
	v_mul_f64 v[77:78], v[73:74], v[56:57]
	v_fma_f64 v[12:13], v[69:70], v[10:11], -v[12:13]
	v_fma_f64 v[54:55], v[71:72], v[10:11], v[54:55]
	v_fma_f64 v[62:63], v[73:74], v[10:11], -v[62:63]
	v_fma_f64 v[69:70], v[75:76], v[10:11], v[77:78]
	v_add_f64 v[6:7], v[6:7], -v[12:13]
	v_add_f64 v[8:9], v[8:9], -v[54:55]
	;; [unrolled: 1-line block ×4, first 2 shown]
	v_mov_b32_e32 v12, v56
	v_mov_b32_e32 v13, v57
.LBB24_230:
	s_or_b32 exec_lo, exec_lo, s0
	v_lshl_add_u32 v54, v68, 4, v1
	s_barrier
	buffer_gl0_inv
	v_mov_b32_e32 v62, 11
	ds_write2_b64 v54, v[6:7], v[8:9] offset1:1
	s_waitcnt lgkmcnt(0)
	s_barrier
	buffer_gl0_inv
	ds_read2_b64 v[54:57], v1 offset0:22 offset1:23
	s_cmp_lt_i32 s18, 13
	s_cbranch_scc1 .LBB24_233
; %bb.231:
	v_add3_u32 v63, v64, 0, 0xc0
	v_mov_b32_e32 v62, 11
	s_mov_b32 s1, 12
	s_inst_prefetch 0x1
	.p2align	6
.LBB24_232:                             ; =>This Inner Loop Header: Depth=1
	s_waitcnt lgkmcnt(0)
	v_cmp_gt_f64_e32 vcc_lo, 0, v[56:57]
	v_cmp_gt_f64_e64 s0, 0, v[54:55]
	ds_read2_b64 v[69:72], v63 offset1:1
	v_xor_b32_e32 v74, 0x80000000, v55
	v_xor_b32_e32 v76, 0x80000000, v57
	v_mov_b32_e32 v73, v54
	v_mov_b32_e32 v75, v56
	v_add_nc_u32_e32 v63, 16, v63
	s_waitcnt lgkmcnt(0)
	v_xor_b32_e32 v78, 0x80000000, v72
	v_cndmask_b32_e64 v74, v55, v74, s0
	v_cndmask_b32_e32 v76, v57, v76, vcc_lo
	v_cmp_gt_f64_e32 vcc_lo, 0, v[71:72]
	v_cmp_gt_f64_e64 s0, 0, v[69:70]
	v_mov_b32_e32 v77, v71
	v_add_f64 v[73:74], v[73:74], v[75:76]
	v_xor_b32_e32 v76, 0x80000000, v70
	v_mov_b32_e32 v75, v69
	v_cndmask_b32_e32 v78, v72, v78, vcc_lo
	v_cndmask_b32_e64 v76, v70, v76, s0
	v_add_f64 v[75:76], v[75:76], v[77:78]
	v_cmp_lt_f64_e32 vcc_lo, v[73:74], v[75:76]
	v_cndmask_b32_e32 v55, v55, v70, vcc_lo
	v_cndmask_b32_e32 v54, v54, v69, vcc_lo
	;; [unrolled: 1-line block ×4, first 2 shown]
	v_cndmask_b32_e64 v62, v62, s1, vcc_lo
	s_add_i32 s1, s1, 1
	s_cmp_lg_u32 s18, s1
	s_cbranch_scc1 .LBB24_232
.LBB24_233:
	s_inst_prefetch 0x2
	s_waitcnt lgkmcnt(0)
	v_cmp_eq_f64_e32 vcc_lo, 0, v[54:55]
	v_cmp_eq_f64_e64 s0, 0, v[56:57]
	s_and_b32 s0, vcc_lo, s0
	s_and_saveexec_b32 s1, s0
	s_xor_b32 s0, exec_lo, s1
; %bb.234:
	v_cmp_ne_u32_e32 vcc_lo, 0, v67
	v_cndmask_b32_e32 v67, 12, v67, vcc_lo
; %bb.235:
	s_andn2_saveexec_b32 s0, s0
	s_cbranch_execz .LBB24_241
; %bb.236:
	v_cmp_ngt_f64_e64 s1, |v[54:55]|, |v[56:57]|
	s_and_saveexec_b32 s2, s1
	s_xor_b32 s1, exec_lo, s2
	s_cbranch_execz .LBB24_238
; %bb.237:
	v_div_scale_f64 v[69:70], null, v[56:57], v[56:57], v[54:55]
	v_div_scale_f64 v[75:76], vcc_lo, v[54:55], v[56:57], v[54:55]
	v_rcp_f64_e32 v[71:72], v[69:70]
	v_fma_f64 v[73:74], -v[69:70], v[71:72], 1.0
	v_fma_f64 v[71:72], v[71:72], v[73:74], v[71:72]
	v_fma_f64 v[73:74], -v[69:70], v[71:72], 1.0
	v_fma_f64 v[71:72], v[71:72], v[73:74], v[71:72]
	v_mul_f64 v[73:74], v[75:76], v[71:72]
	v_fma_f64 v[69:70], -v[69:70], v[73:74], v[75:76]
	v_div_fmas_f64 v[69:70], v[69:70], v[71:72], v[73:74]
	v_div_fixup_f64 v[69:70], v[69:70], v[56:57], v[54:55]
	v_fma_f64 v[54:55], v[54:55], v[69:70], v[56:57]
	v_div_scale_f64 v[56:57], null, v[54:55], v[54:55], 1.0
	v_rcp_f64_e32 v[71:72], v[56:57]
	v_fma_f64 v[73:74], -v[56:57], v[71:72], 1.0
	v_fma_f64 v[71:72], v[71:72], v[73:74], v[71:72]
	v_fma_f64 v[73:74], -v[56:57], v[71:72], 1.0
	v_fma_f64 v[71:72], v[71:72], v[73:74], v[71:72]
	v_div_scale_f64 v[73:74], vcc_lo, 1.0, v[54:55], 1.0
	v_mul_f64 v[75:76], v[73:74], v[71:72]
	v_fma_f64 v[56:57], -v[56:57], v[75:76], v[73:74]
	v_div_fmas_f64 v[56:57], v[56:57], v[71:72], v[75:76]
	v_div_fixup_f64 v[56:57], v[56:57], v[54:55], 1.0
	v_mul_f64 v[54:55], v[69:70], v[56:57]
	v_xor_b32_e32 v57, 0x80000000, v57
.LBB24_238:
	s_andn2_saveexec_b32 s1, s1
	s_cbranch_execz .LBB24_240
; %bb.239:
	v_div_scale_f64 v[69:70], null, v[54:55], v[54:55], v[56:57]
	v_div_scale_f64 v[75:76], vcc_lo, v[56:57], v[54:55], v[56:57]
	v_rcp_f64_e32 v[71:72], v[69:70]
	v_fma_f64 v[73:74], -v[69:70], v[71:72], 1.0
	v_fma_f64 v[71:72], v[71:72], v[73:74], v[71:72]
	v_fma_f64 v[73:74], -v[69:70], v[71:72], 1.0
	v_fma_f64 v[71:72], v[71:72], v[73:74], v[71:72]
	v_mul_f64 v[73:74], v[75:76], v[71:72]
	v_fma_f64 v[69:70], -v[69:70], v[73:74], v[75:76]
	v_div_fmas_f64 v[69:70], v[69:70], v[71:72], v[73:74]
	v_div_fixup_f64 v[69:70], v[69:70], v[54:55], v[56:57]
	v_fma_f64 v[54:55], v[56:57], v[69:70], v[54:55]
	v_div_scale_f64 v[56:57], null, v[54:55], v[54:55], 1.0
	v_rcp_f64_e32 v[71:72], v[56:57]
	v_fma_f64 v[73:74], -v[56:57], v[71:72], 1.0
	v_fma_f64 v[71:72], v[71:72], v[73:74], v[71:72]
	v_fma_f64 v[73:74], -v[56:57], v[71:72], 1.0
	v_fma_f64 v[71:72], v[71:72], v[73:74], v[71:72]
	v_div_scale_f64 v[73:74], vcc_lo, 1.0, v[54:55], 1.0
	v_mul_f64 v[75:76], v[73:74], v[71:72]
	v_fma_f64 v[56:57], -v[56:57], v[75:76], v[73:74]
	v_div_fmas_f64 v[56:57], v[56:57], v[71:72], v[75:76]
	v_div_fixup_f64 v[54:55], v[56:57], v[54:55], 1.0
	v_mul_f64 v[56:57], v[69:70], -v[54:55]
.LBB24_240:
	s_or_b32 exec_lo, exec_lo, s1
.LBB24_241:
	s_or_b32 exec_lo, exec_lo, s0
	s_mov_b32 s0, exec_lo
	v_cmpx_ne_u32_e64 v68, v62
	s_xor_b32 s0, exec_lo, s0
	s_cbranch_execz .LBB24_247
; %bb.242:
	s_mov_b32 s1, exec_lo
	v_cmpx_eq_u32_e32 11, v68
	s_cbranch_execz .LBB24_246
; %bb.243:
	v_cmp_ne_u32_e32 vcc_lo, 11, v62
	s_xor_b32 s2, s16, -1
	s_and_b32 s3, s2, vcc_lo
	s_and_saveexec_b32 s2, s3
	s_cbranch_execz .LBB24_245
; %bb.244:
	v_ashrrev_i32_e32 v63, 31, v62
	v_lshlrev_b64 v[68:69], 2, v[62:63]
	v_add_co_u32 v68, vcc_lo, v60, v68
	v_add_co_ci_u32_e64 v69, null, v61, v69, vcc_lo
	s_clause 0x1
	global_load_dword v0, v[68:69], off
	global_load_dword v63, v[60:61], off offset:44
	s_waitcnt vmcnt(1)
	global_store_dword v[60:61], v0, off offset:44
	s_waitcnt vmcnt(0)
	global_store_dword v[68:69], v63, off
.LBB24_245:
	s_or_b32 exec_lo, exec_lo, s2
	v_mov_b32_e32 v68, v62
	v_mov_b32_e32 v0, v62
.LBB24_246:
	s_or_b32 exec_lo, exec_lo, s1
.LBB24_247:
	s_andn2_saveexec_b32 s0, s0
; %bb.248:
	v_mov_b32_e32 v68, 11
	ds_write2_b64 v1, v[2:3], v[4:5] offset0:24 offset1:25
; %bb.249:
	s_or_b32 exec_lo, exec_lo, s0
	s_mov_b32 s0, exec_lo
	s_waitcnt lgkmcnt(0)
	s_waitcnt_vscnt null, 0x0
	s_barrier
	buffer_gl0_inv
	v_cmpx_lt_i32_e32 11, v68
	s_cbranch_execz .LBB24_251
; %bb.250:
	v_mul_f64 v[62:63], v[54:55], v[8:9]
	v_mul_f64 v[8:9], v[56:57], v[8:9]
	ds_read2_b64 v[69:72], v1 offset0:24 offset1:25
	v_fma_f64 v[56:57], v[56:57], v[6:7], v[62:63]
	v_fma_f64 v[6:7], v[54:55], v[6:7], -v[8:9]
	s_waitcnt lgkmcnt(0)
	v_mul_f64 v[8:9], v[71:72], v[56:57]
	v_mul_f64 v[54:55], v[69:70], v[56:57]
	v_fma_f64 v[8:9], v[69:70], v[6:7], -v[8:9]
	v_fma_f64 v[54:55], v[71:72], v[6:7], v[54:55]
	v_add_f64 v[2:3], v[2:3], -v[8:9]
	v_add_f64 v[4:5], v[4:5], -v[54:55]
	v_mov_b32_e32 v8, v56
	v_mov_b32_e32 v9, v57
.LBB24_251:
	s_or_b32 exec_lo, exec_lo, s0
	v_lshl_add_u32 v54, v68, 4, v1
	s_barrier
	buffer_gl0_inv
	v_mov_b32_e32 v62, 12
	ds_write2_b64 v54, v[2:3], v[4:5] offset1:1
	s_waitcnt lgkmcnt(0)
	s_barrier
	buffer_gl0_inv
	ds_read2_b64 v[54:57], v1 offset0:24 offset1:25
	s_cmp_lt_i32 s18, 14
	s_cbranch_scc1 .LBB24_254
; %bb.252:
	v_add3_u32 v1, v64, 0, 0xd0
	v_mov_b32_e32 v62, 12
	s_mov_b32 s1, 13
	s_inst_prefetch 0x1
	.p2align	6
.LBB24_253:                             ; =>This Inner Loop Header: Depth=1
	s_waitcnt lgkmcnt(0)
	v_cmp_gt_f64_e32 vcc_lo, 0, v[56:57]
	v_cmp_gt_f64_e64 s0, 0, v[54:55]
	ds_read2_b64 v[69:72], v1 offset1:1
	v_xor_b32_e32 v64, 0x80000000, v55
	v_xor_b32_e32 v74, 0x80000000, v57
	v_mov_b32_e32 v63, v54
	v_mov_b32_e32 v73, v56
	v_add_nc_u32_e32 v1, 16, v1
	s_waitcnt lgkmcnt(0)
	v_xor_b32_e32 v76, 0x80000000, v72
	v_cndmask_b32_e64 v64, v55, v64, s0
	v_cndmask_b32_e32 v74, v57, v74, vcc_lo
	v_cmp_gt_f64_e32 vcc_lo, 0, v[71:72]
	v_cmp_gt_f64_e64 s0, 0, v[69:70]
	v_mov_b32_e32 v75, v71
	v_add_f64 v[63:64], v[63:64], v[73:74]
	v_xor_b32_e32 v74, 0x80000000, v70
	v_mov_b32_e32 v73, v69
	v_cndmask_b32_e32 v76, v72, v76, vcc_lo
	v_cndmask_b32_e64 v74, v70, v74, s0
	v_add_f64 v[73:74], v[73:74], v[75:76]
	v_cmp_lt_f64_e32 vcc_lo, v[63:64], v[73:74]
	v_cndmask_b32_e32 v55, v55, v70, vcc_lo
	v_cndmask_b32_e32 v54, v54, v69, vcc_lo
	;; [unrolled: 1-line block ×4, first 2 shown]
	v_cndmask_b32_e64 v62, v62, s1, vcc_lo
	s_add_i32 s1, s1, 1
	s_cmp_lg_u32 s18, s1
	s_cbranch_scc1 .LBB24_253
.LBB24_254:
	s_inst_prefetch 0x2
	s_waitcnt lgkmcnt(0)
	v_cmp_eq_f64_e32 vcc_lo, 0, v[54:55]
	v_cmp_eq_f64_e64 s0, 0, v[56:57]
	s_and_b32 s0, vcc_lo, s0
	s_and_saveexec_b32 s1, s0
	s_xor_b32 s0, exec_lo, s1
; %bb.255:
	v_cmp_ne_u32_e32 vcc_lo, 0, v67
	v_cndmask_b32_e32 v67, 13, v67, vcc_lo
; %bb.256:
	s_andn2_saveexec_b32 s0, s0
	s_cbranch_execz .LBB24_262
; %bb.257:
	v_cmp_ngt_f64_e64 s1, |v[54:55]|, |v[56:57]|
	s_and_saveexec_b32 s2, s1
	s_xor_b32 s1, exec_lo, s2
	s_cbranch_execz .LBB24_259
; %bb.258:
	v_div_scale_f64 v[63:64], null, v[56:57], v[56:57], v[54:55]
	v_div_scale_f64 v[73:74], vcc_lo, v[54:55], v[56:57], v[54:55]
	v_rcp_f64_e32 v[69:70], v[63:64]
	v_fma_f64 v[71:72], -v[63:64], v[69:70], 1.0
	v_fma_f64 v[69:70], v[69:70], v[71:72], v[69:70]
	v_fma_f64 v[71:72], -v[63:64], v[69:70], 1.0
	v_fma_f64 v[69:70], v[69:70], v[71:72], v[69:70]
	v_mul_f64 v[71:72], v[73:74], v[69:70]
	v_fma_f64 v[63:64], -v[63:64], v[71:72], v[73:74]
	v_div_fmas_f64 v[63:64], v[63:64], v[69:70], v[71:72]
	v_div_fixup_f64 v[63:64], v[63:64], v[56:57], v[54:55]
	v_fma_f64 v[54:55], v[54:55], v[63:64], v[56:57]
	v_div_scale_f64 v[56:57], null, v[54:55], v[54:55], 1.0
	v_rcp_f64_e32 v[69:70], v[56:57]
	v_fma_f64 v[71:72], -v[56:57], v[69:70], 1.0
	v_fma_f64 v[69:70], v[69:70], v[71:72], v[69:70]
	v_fma_f64 v[71:72], -v[56:57], v[69:70], 1.0
	v_fma_f64 v[69:70], v[69:70], v[71:72], v[69:70]
	v_div_scale_f64 v[71:72], vcc_lo, 1.0, v[54:55], 1.0
	v_mul_f64 v[73:74], v[71:72], v[69:70]
	v_fma_f64 v[56:57], -v[56:57], v[73:74], v[71:72]
	v_div_fmas_f64 v[56:57], v[56:57], v[69:70], v[73:74]
	v_div_fixup_f64 v[56:57], v[56:57], v[54:55], 1.0
	v_mul_f64 v[54:55], v[63:64], v[56:57]
	v_xor_b32_e32 v57, 0x80000000, v57
.LBB24_259:
	s_andn2_saveexec_b32 s1, s1
	s_cbranch_execz .LBB24_261
; %bb.260:
	v_div_scale_f64 v[63:64], null, v[54:55], v[54:55], v[56:57]
	v_div_scale_f64 v[73:74], vcc_lo, v[56:57], v[54:55], v[56:57]
	v_rcp_f64_e32 v[69:70], v[63:64]
	v_fma_f64 v[71:72], -v[63:64], v[69:70], 1.0
	v_fma_f64 v[69:70], v[69:70], v[71:72], v[69:70]
	v_fma_f64 v[71:72], -v[63:64], v[69:70], 1.0
	v_fma_f64 v[69:70], v[69:70], v[71:72], v[69:70]
	v_mul_f64 v[71:72], v[73:74], v[69:70]
	v_fma_f64 v[63:64], -v[63:64], v[71:72], v[73:74]
	v_div_fmas_f64 v[63:64], v[63:64], v[69:70], v[71:72]
	v_div_fixup_f64 v[63:64], v[63:64], v[54:55], v[56:57]
	v_fma_f64 v[54:55], v[56:57], v[63:64], v[54:55]
	v_div_scale_f64 v[56:57], null, v[54:55], v[54:55], 1.0
	v_rcp_f64_e32 v[69:70], v[56:57]
	v_fma_f64 v[71:72], -v[56:57], v[69:70], 1.0
	v_fma_f64 v[69:70], v[69:70], v[71:72], v[69:70]
	v_fma_f64 v[71:72], -v[56:57], v[69:70], 1.0
	v_fma_f64 v[69:70], v[69:70], v[71:72], v[69:70]
	v_div_scale_f64 v[71:72], vcc_lo, 1.0, v[54:55], 1.0
	v_mul_f64 v[73:74], v[71:72], v[69:70]
	v_fma_f64 v[56:57], -v[56:57], v[73:74], v[71:72]
	v_div_fmas_f64 v[56:57], v[56:57], v[69:70], v[73:74]
	v_div_fixup_f64 v[54:55], v[56:57], v[54:55], 1.0
	v_mul_f64 v[56:57], v[63:64], -v[54:55]
.LBB24_261:
	s_or_b32 exec_lo, exec_lo, s1
.LBB24_262:
	s_or_b32 exec_lo, exec_lo, s0
	v_mov_b32_e32 v63, 12
	s_mov_b32 s0, exec_lo
	v_cmpx_ne_u32_e64 v68, v62
	s_cbranch_execz .LBB24_268
; %bb.263:
	s_mov_b32 s1, exec_lo
	v_cmpx_eq_u32_e32 12, v68
	s_cbranch_execz .LBB24_267
; %bb.264:
	v_cmp_ne_u32_e32 vcc_lo, 12, v62
	s_xor_b32 s2, s16, -1
	s_and_b32 s3, s2, vcc_lo
	s_and_saveexec_b32 s2, s3
	s_cbranch_execz .LBB24_266
; %bb.265:
	v_ashrrev_i32_e32 v63, 31, v62
	v_lshlrev_b64 v[0:1], 2, v[62:63]
	v_add_co_u32 v0, vcc_lo, v60, v0
	v_add_co_ci_u32_e64 v1, null, v61, v1, vcc_lo
	s_clause 0x1
	global_load_dword v63, v[0:1], off
	global_load_dword v64, v[60:61], off offset:48
	s_waitcnt vmcnt(1)
	global_store_dword v[60:61], v63, off offset:48
	s_waitcnt vmcnt(0)
	global_store_dword v[0:1], v64, off
.LBB24_266:
	s_or_b32 exec_lo, exec_lo, s2
	v_mov_b32_e32 v68, v62
	v_mov_b32_e32 v0, v62
.LBB24_267:
	s_or_b32 exec_lo, exec_lo, s1
	v_mov_b32_e32 v63, v68
.LBB24_268:
	s_or_b32 exec_lo, exec_lo, s0
	s_mov_b32 s0, exec_lo
	s_waitcnt_vscnt null, 0x0
	s_barrier
	buffer_gl0_inv
	v_cmpx_lt_i32_e32 12, v63
	s_cbranch_execz .LBB24_270
; %bb.269:
	v_mul_f64 v[60:61], v[56:57], v[4:5]
	v_mul_f64 v[4:5], v[54:55], v[4:5]
	v_fma_f64 v[54:55], v[54:55], v[2:3], -v[60:61]
	v_fma_f64 v[4:5], v[56:57], v[2:3], v[4:5]
	v_mov_b32_e32 v2, v54
	v_mov_b32_e32 v3, v55
.LBB24_270:
	s_or_b32 exec_lo, exec_lo, s0
	v_ashrrev_i32_e32 v64, 31, v63
	s_mov_b32 s0, exec_lo
	s_barrier
	buffer_gl0_inv
	v_cmpx_gt_i32_e32 13, v63
	s_cbranch_execz .LBB24_272
; %bb.271:
	v_mul_lo_u32 v1, s15, v58
	v_mul_lo_u32 v56, s14, v59
	v_mad_u64_u32 v[54:55], null, s14, v58, 0
	s_lshl_b64 s[2:3], s[12:13], 2
	v_add3_u32 v0, v0, s17, 1
	v_add3_u32 v55, v55, v56, v1
	v_lshlrev_b64 v[54:55], 2, v[54:55]
	v_add_co_u32 v1, vcc_lo, s10, v54
	v_add_co_ci_u32_e64 v56, null, s11, v55, vcc_lo
	v_lshlrev_b64 v[54:55], 2, v[63:64]
	v_add_co_u32 v1, vcc_lo, v1, s2
	v_add_co_ci_u32_e64 v56, null, s3, v56, vcc_lo
	v_add_co_u32 v54, vcc_lo, v1, v54
	v_add_co_ci_u32_e64 v55, null, v56, v55, vcc_lo
	global_store_dword v[54:55], v0, off
.LBB24_272:
	s_or_b32 exec_lo, exec_lo, s0
	s_mov_b32 s1, exec_lo
	v_cmpx_eq_u32_e32 0, v63
	s_cbranch_execz .LBB24_275
; %bb.273:
	v_lshlrev_b64 v[0:1], 2, v[58:59]
	v_cmp_ne_u32_e64 s0, 0, v67
	v_add_co_u32 v0, vcc_lo, s4, v0
	v_add_co_ci_u32_e64 v1, null, s5, v1, vcc_lo
	global_load_dword v54, v[0:1], off
	s_waitcnt vmcnt(0)
	v_cmp_eq_u32_e32 vcc_lo, 0, v54
	s_and_b32 s0, vcc_lo, s0
	s_and_b32 exec_lo, exec_lo, s0
	s_cbranch_execz .LBB24_275
; %bb.274:
	v_add_nc_u32_e32 v54, s17, v67
	global_store_dword v[0:1], v54, off
.LBB24_275:
	s_or_b32 exec_lo, exec_lo, s1
	v_lshlrev_b64 v[54:55], 4, v[63:64]
	v_add3_u32 v0, s6, s6, v63
	v_add_nc_u32_e32 v56, s6, v0
	v_add_co_u32 v54, vcc_lo, v65, v54
	v_add_co_ci_u32_e64 v55, null, v66, v55, vcc_lo
	v_ashrrev_i32_e32 v1, 31, v0
	v_ashrrev_i32_e32 v57, 31, v56
	global_store_dwordx4 v[54:55], v[50:53], off
	v_add_nc_u32_e32 v52, s6, v56
	v_lshlrev_b64 v[0:1], 4, v[0:1]
	v_add_co_u32 v50, vcc_lo, v54, s8
	v_add_co_ci_u32_e64 v51, null, s9, v55, vcc_lo
	v_add_nc_u32_e32 v54, s6, v52
	v_add_co_u32 v0, vcc_lo, v65, v0
	v_ashrrev_i32_e32 v53, 31, v52
	v_add_co_ci_u32_e64 v1, null, v66, v1, vcc_lo
	v_ashrrev_i32_e32 v55, 31, v54
	v_lshlrev_b64 v[56:57], 4, v[56:57]
	global_store_dwordx4 v[50:51], v[42:45], off
	global_store_dwordx4 v[0:1], v[46:49], off
	v_lshlrev_b64 v[0:1], 4, v[52:53]
	v_add_nc_u32_e32 v46, s6, v54
	v_lshlrev_b64 v[44:45], 4, v[54:55]
	v_add_co_u32 v42, vcc_lo, v65, v56
	v_add_co_ci_u32_e64 v43, null, v66, v57, vcc_lo
	v_add_co_u32 v0, vcc_lo, v65, v0
	v_add_nc_u32_e32 v48, s6, v46
	v_add_co_ci_u32_e64 v1, null, v66, v1, vcc_lo
	v_add_co_u32 v44, vcc_lo, v65, v44
	v_ashrrev_i32_e32 v47, 31, v46
	v_add_co_ci_u32_e64 v45, null, v66, v45, vcc_lo
	v_ashrrev_i32_e32 v49, 31, v48
	global_store_dwordx4 v[42:43], v[38:41], off
	v_lshlrev_b64 v[38:39], 4, v[46:47]
	global_store_dwordx4 v[0:1], v[34:37], off
	global_store_dwordx4 v[44:45], v[30:33], off
	v_add_nc_u32_e32 v30, s6, v48
	v_lshlrev_b64 v[0:1], 4, v[48:49]
	v_add_co_u32 v32, vcc_lo, v65, v38
	v_add_nc_u32_e32 v34, s6, v30
	v_add_co_ci_u32_e64 v33, null, v66, v39, vcc_lo
	v_add_co_u32 v0, vcc_lo, v65, v0
	v_add_co_ci_u32_e64 v1, null, v66, v1, vcc_lo
	v_add_nc_u32_e32 v36, s6, v34
	v_ashrrev_i32_e32 v31, 31, v30
	global_store_dwordx4 v[32:33], v[26:29], off
	global_store_dwordx4 v[0:1], v[22:25], off
	v_ashrrev_i32_e32 v35, 31, v34
	v_add_nc_u32_e32 v22, s6, v36
	v_lshlrev_b64 v[26:27], 4, v[30:31]
	v_ashrrev_i32_e32 v37, 31, v36
	v_lshlrev_b64 v[0:1], 4, v[34:35]
	v_add_nc_u32_e32 v28, s6, v22
	v_ashrrev_i32_e32 v23, 31, v22
	v_add_co_u32 v24, vcc_lo, v65, v26
	v_add_co_ci_u32_e64 v25, null, v66, v27, vcc_lo
	v_ashrrev_i32_e32 v29, 31, v28
	v_lshlrev_b64 v[26:27], 4, v[36:37]
	v_lshlrev_b64 v[22:23], 4, v[22:23]
	v_add_co_u32 v0, vcc_lo, v65, v0
	v_lshlrev_b64 v[28:29], 4, v[28:29]
	v_add_co_ci_u32_e64 v1, null, v66, v1, vcc_lo
	v_add_co_u32 v26, vcc_lo, v65, v26
	v_add_co_ci_u32_e64 v27, null, v66, v27, vcc_lo
	v_add_co_u32 v22, vcc_lo, v65, v22
	;; [unrolled: 2-line block ×3, first 2 shown]
	v_add_co_ci_u32_e64 v29, null, v66, v29, vcc_lo
	global_store_dwordx4 v[24:25], v[18:21], off
	global_store_dwordx4 v[0:1], v[14:17], off
	;; [unrolled: 1-line block ×5, first 2 shown]
.LBB24_276:
	s_endpgm
	.section	.rodata,"a",@progbits
	.p2align	6, 0x0
	.amdhsa_kernel _ZN9rocsolver6v33100L18getf2_small_kernelILi13E19rocblas_complex_numIdEiiPS3_EEvT1_T3_lS5_lPS5_llPT2_S5_S5_S7_l
		.amdhsa_group_segment_fixed_size 0
		.amdhsa_private_segment_fixed_size 0
		.amdhsa_kernarg_size 352
		.amdhsa_user_sgpr_count 6
		.amdhsa_user_sgpr_private_segment_buffer 1
		.amdhsa_user_sgpr_dispatch_ptr 0
		.amdhsa_user_sgpr_queue_ptr 0
		.amdhsa_user_sgpr_kernarg_segment_ptr 1
		.amdhsa_user_sgpr_dispatch_id 0
		.amdhsa_user_sgpr_flat_scratch_init 0
		.amdhsa_user_sgpr_private_segment_size 0
		.amdhsa_wavefront_size32 1
		.amdhsa_uses_dynamic_stack 0
		.amdhsa_system_sgpr_private_segment_wavefront_offset 0
		.amdhsa_system_sgpr_workgroup_id_x 1
		.amdhsa_system_sgpr_workgroup_id_y 1
		.amdhsa_system_sgpr_workgroup_id_z 0
		.amdhsa_system_sgpr_workgroup_info 0
		.amdhsa_system_vgpr_workitem_id 1
		.amdhsa_next_free_vgpr 87
		.amdhsa_next_free_sgpr 19
		.amdhsa_reserve_vcc 1
		.amdhsa_reserve_flat_scratch 0
		.amdhsa_float_round_mode_32 0
		.amdhsa_float_round_mode_16_64 0
		.amdhsa_float_denorm_mode_32 3
		.amdhsa_float_denorm_mode_16_64 3
		.amdhsa_dx10_clamp 1
		.amdhsa_ieee_mode 1
		.amdhsa_fp16_overflow 0
		.amdhsa_workgroup_processor_mode 1
		.amdhsa_memory_ordered 1
		.amdhsa_forward_progress 1
		.amdhsa_shared_vgpr_count 0
		.amdhsa_exception_fp_ieee_invalid_op 0
		.amdhsa_exception_fp_denorm_src 0
		.amdhsa_exception_fp_ieee_div_zero 0
		.amdhsa_exception_fp_ieee_overflow 0
		.amdhsa_exception_fp_ieee_underflow 0
		.amdhsa_exception_fp_ieee_inexact 0
		.amdhsa_exception_int_div_zero 0
	.end_amdhsa_kernel
	.section	.text._ZN9rocsolver6v33100L18getf2_small_kernelILi13E19rocblas_complex_numIdEiiPS3_EEvT1_T3_lS5_lPS5_llPT2_S5_S5_S7_l,"axG",@progbits,_ZN9rocsolver6v33100L18getf2_small_kernelILi13E19rocblas_complex_numIdEiiPS3_EEvT1_T3_lS5_lPS5_llPT2_S5_S5_S7_l,comdat
.Lfunc_end24:
	.size	_ZN9rocsolver6v33100L18getf2_small_kernelILi13E19rocblas_complex_numIdEiiPS3_EEvT1_T3_lS5_lPS5_llPT2_S5_S5_S7_l, .Lfunc_end24-_ZN9rocsolver6v33100L18getf2_small_kernelILi13E19rocblas_complex_numIdEiiPS3_EEvT1_T3_lS5_lPS5_llPT2_S5_S5_S7_l
                                        ; -- End function
	.set _ZN9rocsolver6v33100L18getf2_small_kernelILi13E19rocblas_complex_numIdEiiPS3_EEvT1_T3_lS5_lPS5_llPT2_S5_S5_S7_l.num_vgpr, 87
	.set _ZN9rocsolver6v33100L18getf2_small_kernelILi13E19rocblas_complex_numIdEiiPS3_EEvT1_T3_lS5_lPS5_llPT2_S5_S5_S7_l.num_agpr, 0
	.set _ZN9rocsolver6v33100L18getf2_small_kernelILi13E19rocblas_complex_numIdEiiPS3_EEvT1_T3_lS5_lPS5_llPT2_S5_S5_S7_l.numbered_sgpr, 19
	.set _ZN9rocsolver6v33100L18getf2_small_kernelILi13E19rocblas_complex_numIdEiiPS3_EEvT1_T3_lS5_lPS5_llPT2_S5_S5_S7_l.num_named_barrier, 0
	.set _ZN9rocsolver6v33100L18getf2_small_kernelILi13E19rocblas_complex_numIdEiiPS3_EEvT1_T3_lS5_lPS5_llPT2_S5_S5_S7_l.private_seg_size, 0
	.set _ZN9rocsolver6v33100L18getf2_small_kernelILi13E19rocblas_complex_numIdEiiPS3_EEvT1_T3_lS5_lPS5_llPT2_S5_S5_S7_l.uses_vcc, 1
	.set _ZN9rocsolver6v33100L18getf2_small_kernelILi13E19rocblas_complex_numIdEiiPS3_EEvT1_T3_lS5_lPS5_llPT2_S5_S5_S7_l.uses_flat_scratch, 0
	.set _ZN9rocsolver6v33100L18getf2_small_kernelILi13E19rocblas_complex_numIdEiiPS3_EEvT1_T3_lS5_lPS5_llPT2_S5_S5_S7_l.has_dyn_sized_stack, 0
	.set _ZN9rocsolver6v33100L18getf2_small_kernelILi13E19rocblas_complex_numIdEiiPS3_EEvT1_T3_lS5_lPS5_llPT2_S5_S5_S7_l.has_recursion, 0
	.set _ZN9rocsolver6v33100L18getf2_small_kernelILi13E19rocblas_complex_numIdEiiPS3_EEvT1_T3_lS5_lPS5_llPT2_S5_S5_S7_l.has_indirect_call, 0
	.section	.AMDGPU.csdata,"",@progbits
; Kernel info:
; codeLenInByte = 19640
; TotalNumSgprs: 21
; NumVgprs: 87
; ScratchSize: 0
; MemoryBound: 0
; FloatMode: 240
; IeeeMode: 1
; LDSByteSize: 0 bytes/workgroup (compile time only)
; SGPRBlocks: 0
; VGPRBlocks: 10
; NumSGPRsForWavesPerEU: 21
; NumVGPRsForWavesPerEU: 87
; Occupancy: 10
; WaveLimiterHint : 0
; COMPUTE_PGM_RSRC2:SCRATCH_EN: 0
; COMPUTE_PGM_RSRC2:USER_SGPR: 6
; COMPUTE_PGM_RSRC2:TRAP_HANDLER: 0
; COMPUTE_PGM_RSRC2:TGID_X_EN: 1
; COMPUTE_PGM_RSRC2:TGID_Y_EN: 1
; COMPUTE_PGM_RSRC2:TGID_Z_EN: 0
; COMPUTE_PGM_RSRC2:TIDIG_COMP_CNT: 1
	.section	.text._ZN9rocsolver6v33100L23getf2_npvt_small_kernelILi13E19rocblas_complex_numIdEiiPS3_EEvT1_T3_lS5_lPT2_S5_S5_,"axG",@progbits,_ZN9rocsolver6v33100L23getf2_npvt_small_kernelILi13E19rocblas_complex_numIdEiiPS3_EEvT1_T3_lS5_lPT2_S5_S5_,comdat
	.globl	_ZN9rocsolver6v33100L23getf2_npvt_small_kernelILi13E19rocblas_complex_numIdEiiPS3_EEvT1_T3_lS5_lPT2_S5_S5_ ; -- Begin function _ZN9rocsolver6v33100L23getf2_npvt_small_kernelILi13E19rocblas_complex_numIdEiiPS3_EEvT1_T3_lS5_lPT2_S5_S5_
	.p2align	8
	.type	_ZN9rocsolver6v33100L23getf2_npvt_small_kernelILi13E19rocblas_complex_numIdEiiPS3_EEvT1_T3_lS5_lPT2_S5_S5_,@function
_ZN9rocsolver6v33100L23getf2_npvt_small_kernelILi13E19rocblas_complex_numIdEiiPS3_EEvT1_T3_lS5_lPT2_S5_S5_: ; @_ZN9rocsolver6v33100L23getf2_npvt_small_kernelILi13E19rocblas_complex_numIdEiiPS3_EEvT1_T3_lS5_lPT2_S5_S5_
; %bb.0:
	s_clause 0x1
	s_load_dword s0, s[4:5], 0x44
	s_load_dwordx2 s[12:13], s[4:5], 0x30
	s_waitcnt lgkmcnt(0)
	s_lshr_b32 s14, s0, 16
	s_mov_b32 s0, exec_lo
	v_mad_u64_u32 v[118:119], null, s7, s14, v[1:2]
	v_cmpx_gt_i32_e64 s12, v118
	s_cbranch_execz .LBB25_122
; %bb.1:
	s_clause 0x2
	s_load_dwordx4 s[8:11], s[4:5], 0x20
	s_load_dword s6, s[4:5], 0x18
	s_load_dwordx4 s[0:3], s[4:5], 0x8
	v_ashrrev_i32_e32 v119, 31, v118
	v_lshlrev_b32_e32 v12, 4, v0
	v_lshlrev_b32_e32 v54, 4, v1
	s_mulk_i32 s14, 0xd0
	v_mad_u32_u24 v134, 0xd0, v1, 0
	v_add3_u32 v1, 0, s14, v54
	s_waitcnt lgkmcnt(0)
	v_mul_lo_u32 v5, s9, v118
	v_mul_lo_u32 v7, s8, v119
	v_mad_u64_u32 v[2:3], null, s8, v118, 0
	v_add3_u32 v4, s6, s6, v0
	s_lshl_b64 s[2:3], s[2:3], 4
	s_ashr_i32 s7, s6, 31
	s_lshl_b64 s[4:5], s[6:7], 4
	v_add_nc_u32_e32 v6, s6, v4
	v_add3_u32 v3, v3, v7, v5
	v_ashrrev_i32_e32 v5, 31, v4
	v_add_nc_u32_e32 v8, s6, v6
	v_lshlrev_b64 v[2:3], 4, v[2:3]
	v_ashrrev_i32_e32 v7, 31, v6
	v_lshlrev_b64 v[4:5], 4, v[4:5]
	v_add_nc_u32_e32 v10, s6, v8
	v_ashrrev_i32_e32 v9, 31, v8
	v_add_co_u32 v13, vcc_lo, s0, v2
	v_add_co_ci_u32_e64 v14, null, s1, v3, vcc_lo
	v_add_nc_u32_e32 v18, s6, v10
	v_add_co_u32 v34, vcc_lo, v13, s2
	v_add_co_ci_u32_e64 v35, null, s3, v14, vcc_lo
	v_add_nc_u32_e32 v26, s6, v18
	v_lshlrev_b64 v[6:7], 4, v[6:7]
	v_ashrrev_i32_e32 v11, 31, v10
	v_add_co_u32 v112, vcc_lo, v34, v12
	v_ashrrev_i32_e32 v19, 31, v18
	v_lshlrev_b64 v[2:3], 4, v[8:9]
	v_add_co_ci_u32_e64 v113, null, 0, v35, vcc_lo
	v_add_co_u32 v110, vcc_lo, v34, v4
	v_add_nc_u32_e32 v28, s6, v26
	v_lshlrev_b64 v[20:21], 4, v[10:11]
	v_add_co_ci_u32_e64 v111, null, v35, v5, vcc_lo
	v_add_co_u32 v108, vcc_lo, v34, v6
	v_ashrrev_i32_e32 v27, 31, v26
	v_add_co_ci_u32_e64 v109, null, v35, v7, vcc_lo
	v_add_co_u32 v114, vcc_lo, v112, s4
	v_lshlrev_b64 v[30:31], 4, v[18:19]
	v_add_nc_u32_e32 v32, s6, v28
	v_add_co_ci_u32_e64 v115, null, s5, v113, vcc_lo
	v_add_co_u32 v106, vcc_lo, v34, v2
	v_lshlrev_b64 v[26:27], 4, v[26:27]
	v_ashrrev_i32_e32 v29, 31, v28
	v_add_co_ci_u32_e64 v107, null, v35, v3, vcc_lo
	v_add_co_u32 v116, vcc_lo, v34, v20
	v_add_co_ci_u32_e64 v117, null, v35, v21, vcc_lo
	v_add_co_u32 v120, vcc_lo, v34, v30
	v_ashrrev_i32_e32 v33, 31, v32
	v_add_nc_u32_e32 v30, s6, v32
	v_lshlrev_b64 v[28:29], 4, v[28:29]
	v_add_co_ci_u32_e64 v121, null, v35, v31, vcc_lo
	v_add_co_u32 v122, vcc_lo, v34, v26
	v_add_co_ci_u32_e64 v123, null, v35, v27, vcc_lo
	v_lshlrev_b64 v[26:27], 4, v[32:33]
	v_ashrrev_i32_e32 v31, 31, v30
	v_add_nc_u32_e32 v32, s6, v30
	v_add_co_u32 v124, vcc_lo, v34, v28
	v_add_co_ci_u32_e64 v125, null, v35, v29, vcc_lo
	v_lshlrev_b64 v[28:29], 4, v[30:31]
	v_add_nc_u32_e32 v30, s6, v32
	v_ashrrev_i32_e32 v33, 31, v32
	v_add_co_u32 v130, vcc_lo, v34, v26
	v_add_co_ci_u32_e64 v131, null, v35, v27, vcc_lo
	v_ashrrev_i32_e32 v31, 31, v30
	v_lshlrev_b64 v[26:27], 4, v[32:33]
	v_add_co_u32 v126, vcc_lo, v34, v28
	v_add_co_ci_u32_e64 v127, null, v35, v29, vcc_lo
	v_lshlrev_b64 v[28:29], 4, v[30:31]
	v_add_co_u32 v128, vcc_lo, v34, v26
	v_add_co_ci_u32_e64 v129, null, v35, v27, vcc_lo
	s_clause 0x3
	global_load_dwordx4 v[6:9], v[110:111], off
	global_load_dwordx4 v[2:5], v[108:109], off
	global_load_dwordx4 v[14:17], v[112:113], off
	global_load_dwordx4 v[10:13], v[114:115], off
	v_add_co_u32 v132, vcc_lo, v34, v28
	s_clause 0x1
	global_load_dwordx4 v[22:25], v[106:107], off
	global_load_dwordx4 v[18:21], v[116:117], off
	v_add_co_ci_u32_e64 v133, null, v35, v29, vcc_lo
	s_clause 0x6
	global_load_dwordx4 v[50:53], v[120:121], off
	global_load_dwordx4 v[46:49], v[122:123], off
	;; [unrolled: 1-line block ×7, first 2 shown]
	v_cmp_ne_u32_e64 s1, 0, v0
	v_cmp_eq_u32_e64 s0, 0, v0
	s_and_saveexec_b32 s3, s0
	s_cbranch_execz .LBB25_8
; %bb.2:
	s_waitcnt vmcnt(10)
	ds_write2_b64 v1, v[14:15], v[16:17] offset1:1
	s_waitcnt vmcnt(9)
	ds_write2_b64 v134, v[10:11], v[12:13] offset0:2 offset1:3
	ds_write2_b64 v134, v[6:7], v[8:9] offset0:4 offset1:5
	;; [unrolled: 1-line block ×3, first 2 shown]
	s_waitcnt vmcnt(8)
	ds_write2_b64 v134, v[22:23], v[24:25] offset0:8 offset1:9
	s_waitcnt vmcnt(7)
	ds_write2_b64 v134, v[18:19], v[20:21] offset0:10 offset1:11
	;; [unrolled: 2-line block ×9, first 2 shown]
	ds_read2_b64 v[54:57], v1 offset1:1
	s_waitcnt lgkmcnt(0)
	v_cmp_neq_f64_e32 vcc_lo, 0, v[54:55]
	v_cmp_neq_f64_e64 s2, 0, v[56:57]
	s_or_b32 s2, vcc_lo, s2
	s_and_b32 exec_lo, exec_lo, s2
	s_cbranch_execz .LBB25_8
; %bb.3:
	v_cmp_ngt_f64_e64 s2, |v[54:55]|, |v[56:57]|
                                        ; implicit-def: $vgpr58_vgpr59
	s_and_saveexec_b32 s4, s2
	s_xor_b32 s2, exec_lo, s4
                                        ; implicit-def: $vgpr60_vgpr61
	s_cbranch_execz .LBB25_5
; %bb.4:
	v_div_scale_f64 v[58:59], null, v[56:57], v[56:57], v[54:55]
	v_div_scale_f64 v[64:65], vcc_lo, v[54:55], v[56:57], v[54:55]
	v_rcp_f64_e32 v[60:61], v[58:59]
	v_fma_f64 v[62:63], -v[58:59], v[60:61], 1.0
	v_fma_f64 v[60:61], v[60:61], v[62:63], v[60:61]
	v_fma_f64 v[62:63], -v[58:59], v[60:61], 1.0
	v_fma_f64 v[60:61], v[60:61], v[62:63], v[60:61]
	v_mul_f64 v[62:63], v[64:65], v[60:61]
	v_fma_f64 v[58:59], -v[58:59], v[62:63], v[64:65]
	v_div_fmas_f64 v[58:59], v[58:59], v[60:61], v[62:63]
	v_div_fixup_f64 v[58:59], v[58:59], v[56:57], v[54:55]
	v_fma_f64 v[54:55], v[54:55], v[58:59], v[56:57]
	v_div_scale_f64 v[56:57], null, v[54:55], v[54:55], 1.0
	v_rcp_f64_e32 v[60:61], v[56:57]
	v_fma_f64 v[62:63], -v[56:57], v[60:61], 1.0
	v_fma_f64 v[60:61], v[60:61], v[62:63], v[60:61]
	v_fma_f64 v[62:63], -v[56:57], v[60:61], 1.0
	v_fma_f64 v[60:61], v[60:61], v[62:63], v[60:61]
	v_div_scale_f64 v[62:63], vcc_lo, 1.0, v[54:55], 1.0
	v_mul_f64 v[64:65], v[62:63], v[60:61]
	v_fma_f64 v[56:57], -v[56:57], v[64:65], v[62:63]
	v_div_fmas_f64 v[56:57], v[56:57], v[60:61], v[64:65]
	v_div_fixup_f64 v[60:61], v[56:57], v[54:55], 1.0
                                        ; implicit-def: $vgpr54_vgpr55
	v_mul_f64 v[58:59], v[58:59], v[60:61]
	v_xor_b32_e32 v61, 0x80000000, v61
.LBB25_5:
	s_andn2_saveexec_b32 s2, s2
	s_cbranch_execz .LBB25_7
; %bb.6:
	v_div_scale_f64 v[58:59], null, v[54:55], v[54:55], v[56:57]
	v_div_scale_f64 v[64:65], vcc_lo, v[56:57], v[54:55], v[56:57]
	v_rcp_f64_e32 v[60:61], v[58:59]
	v_fma_f64 v[62:63], -v[58:59], v[60:61], 1.0
	v_fma_f64 v[60:61], v[60:61], v[62:63], v[60:61]
	v_fma_f64 v[62:63], -v[58:59], v[60:61], 1.0
	v_fma_f64 v[60:61], v[60:61], v[62:63], v[60:61]
	v_mul_f64 v[62:63], v[64:65], v[60:61]
	v_fma_f64 v[58:59], -v[58:59], v[62:63], v[64:65]
	v_div_fmas_f64 v[58:59], v[58:59], v[60:61], v[62:63]
	v_div_fixup_f64 v[60:61], v[58:59], v[54:55], v[56:57]
	v_fma_f64 v[54:55], v[56:57], v[60:61], v[54:55]
	v_div_scale_f64 v[56:57], null, v[54:55], v[54:55], 1.0
	v_rcp_f64_e32 v[58:59], v[56:57]
	v_fma_f64 v[62:63], -v[56:57], v[58:59], 1.0
	v_fma_f64 v[58:59], v[58:59], v[62:63], v[58:59]
	v_fma_f64 v[62:63], -v[56:57], v[58:59], 1.0
	v_fma_f64 v[58:59], v[58:59], v[62:63], v[58:59]
	v_div_scale_f64 v[62:63], vcc_lo, 1.0, v[54:55], 1.0
	v_mul_f64 v[64:65], v[62:63], v[58:59]
	v_fma_f64 v[56:57], -v[56:57], v[64:65], v[62:63]
	v_div_fmas_f64 v[56:57], v[56:57], v[58:59], v[64:65]
	v_div_fixup_f64 v[58:59], v[56:57], v[54:55], 1.0
	v_mul_f64 v[60:61], v[60:61], -v[58:59]
.LBB25_7:
	s_or_b32 exec_lo, exec_lo, s2
	ds_write2_b64 v1, v[58:59], v[60:61] offset1:1
.LBB25_8:
	s_or_b32 exec_lo, exec_lo, s3
	s_waitcnt vmcnt(0) lgkmcnt(0)
	s_barrier
	buffer_gl0_inv
	ds_read2_b64 v[54:57], v1 offset1:1
	s_and_saveexec_b32 s2, s1
	s_cbranch_execz .LBB25_10
; %bb.9:
	s_waitcnt lgkmcnt(0)
	v_mul_f64 v[58:59], v[54:55], v[16:17]
	v_mul_f64 v[16:17], v[56:57], v[16:17]
	v_fma_f64 v[62:63], v[56:57], v[14:15], v[58:59]
	ds_read2_b64 v[58:61], v134 offset0:2 offset1:3
	v_fma_f64 v[14:15], v[54:55], v[14:15], -v[16:17]
	s_waitcnt lgkmcnt(0)
	v_mul_f64 v[16:17], v[60:61], v[62:63]
	v_fma_f64 v[16:17], v[58:59], v[14:15], -v[16:17]
	v_mul_f64 v[58:59], v[58:59], v[62:63]
	v_add_f64 v[10:11], v[10:11], -v[16:17]
	v_fma_f64 v[58:59], v[60:61], v[14:15], v[58:59]
	v_add_f64 v[12:13], v[12:13], -v[58:59]
	ds_read2_b64 v[58:61], v134 offset0:4 offset1:5
	s_waitcnt lgkmcnt(0)
	v_mul_f64 v[16:17], v[60:61], v[62:63]
	v_fma_f64 v[16:17], v[58:59], v[14:15], -v[16:17]
	v_mul_f64 v[58:59], v[58:59], v[62:63]
	v_add_f64 v[6:7], v[6:7], -v[16:17]
	v_fma_f64 v[58:59], v[60:61], v[14:15], v[58:59]
	v_add_f64 v[8:9], v[8:9], -v[58:59]
	ds_read2_b64 v[58:61], v134 offset0:6 offset1:7
	;; [unrolled: 8-line block ×11, first 2 shown]
	s_waitcnt lgkmcnt(0)
	v_mul_f64 v[16:17], v[60:61], v[62:63]
	v_fma_f64 v[16:17], v[58:59], v[14:15], -v[16:17]
	v_mul_f64 v[58:59], v[58:59], v[62:63]
	v_add_f64 v[26:27], v[26:27], -v[16:17]
	v_fma_f64 v[58:59], v[60:61], v[14:15], v[58:59]
	v_mov_b32_e32 v16, v62
	v_mov_b32_e32 v17, v63
	v_add_f64 v[28:29], v[28:29], -v[58:59]
.LBB25_10:
	s_or_b32 exec_lo, exec_lo, s2
	s_mov_b32 s2, exec_lo
	s_waitcnt lgkmcnt(0)
	s_barrier
	buffer_gl0_inv
	v_cmpx_eq_u32_e32 1, v0
	s_cbranch_execz .LBB25_17
; %bb.11:
	ds_write2_b64 v1, v[10:11], v[12:13] offset1:1
	ds_write2_b64 v134, v[6:7], v[8:9] offset0:4 offset1:5
	ds_write2_b64 v134, v[2:3], v[4:5] offset0:6 offset1:7
	;; [unrolled: 1-line block ×11, first 2 shown]
	ds_read2_b64 v[58:61], v1 offset1:1
	s_waitcnt lgkmcnt(0)
	v_cmp_neq_f64_e32 vcc_lo, 0, v[58:59]
	v_cmp_neq_f64_e64 s1, 0, v[60:61]
	s_or_b32 s1, vcc_lo, s1
	s_and_b32 exec_lo, exec_lo, s1
	s_cbranch_execz .LBB25_17
; %bb.12:
	v_cmp_ngt_f64_e64 s1, |v[58:59]|, |v[60:61]|
                                        ; implicit-def: $vgpr62_vgpr63
	s_and_saveexec_b32 s3, s1
	s_xor_b32 s1, exec_lo, s3
                                        ; implicit-def: $vgpr64_vgpr65
	s_cbranch_execz .LBB25_14
; %bb.13:
	v_div_scale_f64 v[62:63], null, v[60:61], v[60:61], v[58:59]
	v_div_scale_f64 v[68:69], vcc_lo, v[58:59], v[60:61], v[58:59]
	v_rcp_f64_e32 v[64:65], v[62:63]
	v_fma_f64 v[66:67], -v[62:63], v[64:65], 1.0
	v_fma_f64 v[64:65], v[64:65], v[66:67], v[64:65]
	v_fma_f64 v[66:67], -v[62:63], v[64:65], 1.0
	v_fma_f64 v[64:65], v[64:65], v[66:67], v[64:65]
	v_mul_f64 v[66:67], v[68:69], v[64:65]
	v_fma_f64 v[62:63], -v[62:63], v[66:67], v[68:69]
	v_div_fmas_f64 v[62:63], v[62:63], v[64:65], v[66:67]
	v_div_fixup_f64 v[62:63], v[62:63], v[60:61], v[58:59]
	v_fma_f64 v[58:59], v[58:59], v[62:63], v[60:61]
	v_div_scale_f64 v[60:61], null, v[58:59], v[58:59], 1.0
	v_rcp_f64_e32 v[64:65], v[60:61]
	v_fma_f64 v[66:67], -v[60:61], v[64:65], 1.0
	v_fma_f64 v[64:65], v[64:65], v[66:67], v[64:65]
	v_fma_f64 v[66:67], -v[60:61], v[64:65], 1.0
	v_fma_f64 v[64:65], v[64:65], v[66:67], v[64:65]
	v_div_scale_f64 v[66:67], vcc_lo, 1.0, v[58:59], 1.0
	v_mul_f64 v[68:69], v[66:67], v[64:65]
	v_fma_f64 v[60:61], -v[60:61], v[68:69], v[66:67]
	v_div_fmas_f64 v[60:61], v[60:61], v[64:65], v[68:69]
	v_div_fixup_f64 v[64:65], v[60:61], v[58:59], 1.0
                                        ; implicit-def: $vgpr58_vgpr59
	v_mul_f64 v[62:63], v[62:63], v[64:65]
	v_xor_b32_e32 v65, 0x80000000, v65
.LBB25_14:
	s_andn2_saveexec_b32 s1, s1
	s_cbranch_execz .LBB25_16
; %bb.15:
	v_div_scale_f64 v[62:63], null, v[58:59], v[58:59], v[60:61]
	v_div_scale_f64 v[68:69], vcc_lo, v[60:61], v[58:59], v[60:61]
	v_rcp_f64_e32 v[64:65], v[62:63]
	v_fma_f64 v[66:67], -v[62:63], v[64:65], 1.0
	v_fma_f64 v[64:65], v[64:65], v[66:67], v[64:65]
	v_fma_f64 v[66:67], -v[62:63], v[64:65], 1.0
	v_fma_f64 v[64:65], v[64:65], v[66:67], v[64:65]
	v_mul_f64 v[66:67], v[68:69], v[64:65]
	v_fma_f64 v[62:63], -v[62:63], v[66:67], v[68:69]
	v_div_fmas_f64 v[62:63], v[62:63], v[64:65], v[66:67]
	v_div_fixup_f64 v[64:65], v[62:63], v[58:59], v[60:61]
	v_fma_f64 v[58:59], v[60:61], v[64:65], v[58:59]
	v_div_scale_f64 v[60:61], null, v[58:59], v[58:59], 1.0
	v_rcp_f64_e32 v[62:63], v[60:61]
	v_fma_f64 v[66:67], -v[60:61], v[62:63], 1.0
	v_fma_f64 v[62:63], v[62:63], v[66:67], v[62:63]
	v_fma_f64 v[66:67], -v[60:61], v[62:63], 1.0
	v_fma_f64 v[62:63], v[62:63], v[66:67], v[62:63]
	v_div_scale_f64 v[66:67], vcc_lo, 1.0, v[58:59], 1.0
	v_mul_f64 v[68:69], v[66:67], v[62:63]
	v_fma_f64 v[60:61], -v[60:61], v[68:69], v[66:67]
	v_div_fmas_f64 v[60:61], v[60:61], v[62:63], v[68:69]
	v_div_fixup_f64 v[62:63], v[60:61], v[58:59], 1.0
	v_mul_f64 v[64:65], v[64:65], -v[62:63]
.LBB25_16:
	s_or_b32 exec_lo, exec_lo, s1
	ds_write2_b64 v1, v[62:63], v[64:65] offset1:1
.LBB25_17:
	s_or_b32 exec_lo, exec_lo, s2
	s_waitcnt lgkmcnt(0)
	s_barrier
	buffer_gl0_inv
	ds_read2_b64 v[58:61], v1 offset1:1
	s_mov_b32 s1, exec_lo
	v_cmpx_lt_u32_e32 1, v0
	s_cbranch_execz .LBB25_19
; %bb.18:
	s_waitcnt lgkmcnt(0)
	v_mul_f64 v[62:63], v[58:59], v[12:13]
	v_mul_f64 v[12:13], v[60:61], v[12:13]
	v_fma_f64 v[66:67], v[60:61], v[10:11], v[62:63]
	ds_read2_b64 v[62:65], v134 offset0:4 offset1:5
	v_fma_f64 v[10:11], v[58:59], v[10:11], -v[12:13]
	s_waitcnt lgkmcnt(0)
	v_mul_f64 v[12:13], v[64:65], v[66:67]
	v_fma_f64 v[12:13], v[62:63], v[10:11], -v[12:13]
	v_mul_f64 v[62:63], v[62:63], v[66:67]
	v_add_f64 v[6:7], v[6:7], -v[12:13]
	v_fma_f64 v[62:63], v[64:65], v[10:11], v[62:63]
	v_add_f64 v[8:9], v[8:9], -v[62:63]
	ds_read2_b64 v[62:65], v134 offset0:6 offset1:7
	s_waitcnt lgkmcnt(0)
	v_mul_f64 v[12:13], v[64:65], v[66:67]
	v_fma_f64 v[12:13], v[62:63], v[10:11], -v[12:13]
	v_mul_f64 v[62:63], v[62:63], v[66:67]
	v_add_f64 v[2:3], v[2:3], -v[12:13]
	v_fma_f64 v[62:63], v[64:65], v[10:11], v[62:63]
	v_add_f64 v[4:5], v[4:5], -v[62:63]
	ds_read2_b64 v[62:65], v134 offset0:8 offset1:9
	;; [unrolled: 8-line block ×10, first 2 shown]
	s_waitcnt lgkmcnt(0)
	v_mul_f64 v[12:13], v[64:65], v[66:67]
	v_fma_f64 v[12:13], v[62:63], v[10:11], -v[12:13]
	v_mul_f64 v[62:63], v[62:63], v[66:67]
	v_add_f64 v[26:27], v[26:27], -v[12:13]
	v_fma_f64 v[62:63], v[64:65], v[10:11], v[62:63]
	v_mov_b32_e32 v12, v66
	v_mov_b32_e32 v13, v67
	v_add_f64 v[28:29], v[28:29], -v[62:63]
.LBB25_19:
	s_or_b32 exec_lo, exec_lo, s1
	s_mov_b32 s2, exec_lo
	s_waitcnt lgkmcnt(0)
	s_barrier
	buffer_gl0_inv
	v_cmpx_eq_u32_e32 2, v0
	s_cbranch_execz .LBB25_26
; %bb.20:
	ds_write2_b64 v1, v[6:7], v[8:9] offset1:1
	ds_write2_b64 v134, v[2:3], v[4:5] offset0:6 offset1:7
	ds_write2_b64 v134, v[22:23], v[24:25] offset0:8 offset1:9
	;; [unrolled: 1-line block ×10, first 2 shown]
	ds_read2_b64 v[62:65], v1 offset1:1
	s_waitcnt lgkmcnt(0)
	v_cmp_neq_f64_e32 vcc_lo, 0, v[62:63]
	v_cmp_neq_f64_e64 s1, 0, v[64:65]
	s_or_b32 s1, vcc_lo, s1
	s_and_b32 exec_lo, exec_lo, s1
	s_cbranch_execz .LBB25_26
; %bb.21:
	v_cmp_ngt_f64_e64 s1, |v[62:63]|, |v[64:65]|
                                        ; implicit-def: $vgpr66_vgpr67
	s_and_saveexec_b32 s3, s1
	s_xor_b32 s1, exec_lo, s3
                                        ; implicit-def: $vgpr68_vgpr69
	s_cbranch_execz .LBB25_23
; %bb.22:
	v_div_scale_f64 v[66:67], null, v[64:65], v[64:65], v[62:63]
	v_div_scale_f64 v[72:73], vcc_lo, v[62:63], v[64:65], v[62:63]
	v_rcp_f64_e32 v[68:69], v[66:67]
	v_fma_f64 v[70:71], -v[66:67], v[68:69], 1.0
	v_fma_f64 v[68:69], v[68:69], v[70:71], v[68:69]
	v_fma_f64 v[70:71], -v[66:67], v[68:69], 1.0
	v_fma_f64 v[68:69], v[68:69], v[70:71], v[68:69]
	v_mul_f64 v[70:71], v[72:73], v[68:69]
	v_fma_f64 v[66:67], -v[66:67], v[70:71], v[72:73]
	v_div_fmas_f64 v[66:67], v[66:67], v[68:69], v[70:71]
	v_div_fixup_f64 v[66:67], v[66:67], v[64:65], v[62:63]
	v_fma_f64 v[62:63], v[62:63], v[66:67], v[64:65]
	v_div_scale_f64 v[64:65], null, v[62:63], v[62:63], 1.0
	v_rcp_f64_e32 v[68:69], v[64:65]
	v_fma_f64 v[70:71], -v[64:65], v[68:69], 1.0
	v_fma_f64 v[68:69], v[68:69], v[70:71], v[68:69]
	v_fma_f64 v[70:71], -v[64:65], v[68:69], 1.0
	v_fma_f64 v[68:69], v[68:69], v[70:71], v[68:69]
	v_div_scale_f64 v[70:71], vcc_lo, 1.0, v[62:63], 1.0
	v_mul_f64 v[72:73], v[70:71], v[68:69]
	v_fma_f64 v[64:65], -v[64:65], v[72:73], v[70:71]
	v_div_fmas_f64 v[64:65], v[64:65], v[68:69], v[72:73]
	v_div_fixup_f64 v[68:69], v[64:65], v[62:63], 1.0
                                        ; implicit-def: $vgpr62_vgpr63
	v_mul_f64 v[66:67], v[66:67], v[68:69]
	v_xor_b32_e32 v69, 0x80000000, v69
.LBB25_23:
	s_andn2_saveexec_b32 s1, s1
	s_cbranch_execz .LBB25_25
; %bb.24:
	v_div_scale_f64 v[66:67], null, v[62:63], v[62:63], v[64:65]
	v_div_scale_f64 v[72:73], vcc_lo, v[64:65], v[62:63], v[64:65]
	v_rcp_f64_e32 v[68:69], v[66:67]
	v_fma_f64 v[70:71], -v[66:67], v[68:69], 1.0
	v_fma_f64 v[68:69], v[68:69], v[70:71], v[68:69]
	v_fma_f64 v[70:71], -v[66:67], v[68:69], 1.0
	v_fma_f64 v[68:69], v[68:69], v[70:71], v[68:69]
	v_mul_f64 v[70:71], v[72:73], v[68:69]
	v_fma_f64 v[66:67], -v[66:67], v[70:71], v[72:73]
	v_div_fmas_f64 v[66:67], v[66:67], v[68:69], v[70:71]
	v_div_fixup_f64 v[68:69], v[66:67], v[62:63], v[64:65]
	v_fma_f64 v[62:63], v[64:65], v[68:69], v[62:63]
	v_div_scale_f64 v[64:65], null, v[62:63], v[62:63], 1.0
	v_rcp_f64_e32 v[66:67], v[64:65]
	v_fma_f64 v[70:71], -v[64:65], v[66:67], 1.0
	v_fma_f64 v[66:67], v[66:67], v[70:71], v[66:67]
	v_fma_f64 v[70:71], -v[64:65], v[66:67], 1.0
	v_fma_f64 v[66:67], v[66:67], v[70:71], v[66:67]
	v_div_scale_f64 v[70:71], vcc_lo, 1.0, v[62:63], 1.0
	v_mul_f64 v[72:73], v[70:71], v[66:67]
	v_fma_f64 v[64:65], -v[64:65], v[72:73], v[70:71]
	v_div_fmas_f64 v[64:65], v[64:65], v[66:67], v[72:73]
	v_div_fixup_f64 v[66:67], v[64:65], v[62:63], 1.0
	v_mul_f64 v[68:69], v[68:69], -v[66:67]
.LBB25_25:
	s_or_b32 exec_lo, exec_lo, s1
	ds_write2_b64 v1, v[66:67], v[68:69] offset1:1
.LBB25_26:
	s_or_b32 exec_lo, exec_lo, s2
	s_waitcnt lgkmcnt(0)
	s_barrier
	buffer_gl0_inv
	ds_read2_b64 v[62:65], v1 offset1:1
	s_mov_b32 s1, exec_lo
	v_cmpx_lt_u32_e32 2, v0
	s_cbranch_execz .LBB25_28
; %bb.27:
	s_waitcnt lgkmcnt(0)
	v_mul_f64 v[66:67], v[62:63], v[8:9]
	v_mul_f64 v[8:9], v[64:65], v[8:9]
	v_fma_f64 v[70:71], v[64:65], v[6:7], v[66:67]
	ds_read2_b64 v[66:69], v134 offset0:6 offset1:7
	v_fma_f64 v[6:7], v[62:63], v[6:7], -v[8:9]
	s_waitcnt lgkmcnt(0)
	v_mul_f64 v[8:9], v[68:69], v[70:71]
	v_fma_f64 v[8:9], v[66:67], v[6:7], -v[8:9]
	v_mul_f64 v[66:67], v[66:67], v[70:71]
	v_add_f64 v[2:3], v[2:3], -v[8:9]
	v_fma_f64 v[66:67], v[68:69], v[6:7], v[66:67]
	v_add_f64 v[4:5], v[4:5], -v[66:67]
	ds_read2_b64 v[66:69], v134 offset0:8 offset1:9
	s_waitcnt lgkmcnt(0)
	v_mul_f64 v[8:9], v[68:69], v[70:71]
	v_fma_f64 v[8:9], v[66:67], v[6:7], -v[8:9]
	v_mul_f64 v[66:67], v[66:67], v[70:71]
	v_add_f64 v[22:23], v[22:23], -v[8:9]
	v_fma_f64 v[66:67], v[68:69], v[6:7], v[66:67]
	v_add_f64 v[24:25], v[24:25], -v[66:67]
	ds_read2_b64 v[66:69], v134 offset0:10 offset1:11
	;; [unrolled: 8-line block ×9, first 2 shown]
	s_waitcnt lgkmcnt(0)
	v_mul_f64 v[8:9], v[68:69], v[70:71]
	v_fma_f64 v[8:9], v[66:67], v[6:7], -v[8:9]
	v_mul_f64 v[66:67], v[66:67], v[70:71]
	v_add_f64 v[26:27], v[26:27], -v[8:9]
	v_fma_f64 v[66:67], v[68:69], v[6:7], v[66:67]
	v_mov_b32_e32 v8, v70
	v_mov_b32_e32 v9, v71
	v_add_f64 v[28:29], v[28:29], -v[66:67]
.LBB25_28:
	s_or_b32 exec_lo, exec_lo, s1
	s_mov_b32 s2, exec_lo
	s_waitcnt lgkmcnt(0)
	s_barrier
	buffer_gl0_inv
	v_cmpx_eq_u32_e32 3, v0
	s_cbranch_execz .LBB25_35
; %bb.29:
	ds_write2_b64 v1, v[2:3], v[4:5] offset1:1
	ds_write2_b64 v134, v[22:23], v[24:25] offset0:8 offset1:9
	ds_write2_b64 v134, v[18:19], v[20:21] offset0:10 offset1:11
	;; [unrolled: 1-line block ×9, first 2 shown]
	ds_read2_b64 v[66:69], v1 offset1:1
	s_waitcnt lgkmcnt(0)
	v_cmp_neq_f64_e32 vcc_lo, 0, v[66:67]
	v_cmp_neq_f64_e64 s1, 0, v[68:69]
	s_or_b32 s1, vcc_lo, s1
	s_and_b32 exec_lo, exec_lo, s1
	s_cbranch_execz .LBB25_35
; %bb.30:
	v_cmp_ngt_f64_e64 s1, |v[66:67]|, |v[68:69]|
                                        ; implicit-def: $vgpr70_vgpr71
	s_and_saveexec_b32 s3, s1
	s_xor_b32 s1, exec_lo, s3
                                        ; implicit-def: $vgpr72_vgpr73
	s_cbranch_execz .LBB25_32
; %bb.31:
	v_div_scale_f64 v[70:71], null, v[68:69], v[68:69], v[66:67]
	v_div_scale_f64 v[76:77], vcc_lo, v[66:67], v[68:69], v[66:67]
	v_rcp_f64_e32 v[72:73], v[70:71]
	v_fma_f64 v[74:75], -v[70:71], v[72:73], 1.0
	v_fma_f64 v[72:73], v[72:73], v[74:75], v[72:73]
	v_fma_f64 v[74:75], -v[70:71], v[72:73], 1.0
	v_fma_f64 v[72:73], v[72:73], v[74:75], v[72:73]
	v_mul_f64 v[74:75], v[76:77], v[72:73]
	v_fma_f64 v[70:71], -v[70:71], v[74:75], v[76:77]
	v_div_fmas_f64 v[70:71], v[70:71], v[72:73], v[74:75]
	v_div_fixup_f64 v[70:71], v[70:71], v[68:69], v[66:67]
	v_fma_f64 v[66:67], v[66:67], v[70:71], v[68:69]
	v_div_scale_f64 v[68:69], null, v[66:67], v[66:67], 1.0
	v_rcp_f64_e32 v[72:73], v[68:69]
	v_fma_f64 v[74:75], -v[68:69], v[72:73], 1.0
	v_fma_f64 v[72:73], v[72:73], v[74:75], v[72:73]
	v_fma_f64 v[74:75], -v[68:69], v[72:73], 1.0
	v_fma_f64 v[72:73], v[72:73], v[74:75], v[72:73]
	v_div_scale_f64 v[74:75], vcc_lo, 1.0, v[66:67], 1.0
	v_mul_f64 v[76:77], v[74:75], v[72:73]
	v_fma_f64 v[68:69], -v[68:69], v[76:77], v[74:75]
	v_div_fmas_f64 v[68:69], v[68:69], v[72:73], v[76:77]
	v_div_fixup_f64 v[72:73], v[68:69], v[66:67], 1.0
                                        ; implicit-def: $vgpr66_vgpr67
	v_mul_f64 v[70:71], v[70:71], v[72:73]
	v_xor_b32_e32 v73, 0x80000000, v73
.LBB25_32:
	s_andn2_saveexec_b32 s1, s1
	s_cbranch_execz .LBB25_34
; %bb.33:
	v_div_scale_f64 v[70:71], null, v[66:67], v[66:67], v[68:69]
	v_div_scale_f64 v[76:77], vcc_lo, v[68:69], v[66:67], v[68:69]
	v_rcp_f64_e32 v[72:73], v[70:71]
	v_fma_f64 v[74:75], -v[70:71], v[72:73], 1.0
	v_fma_f64 v[72:73], v[72:73], v[74:75], v[72:73]
	v_fma_f64 v[74:75], -v[70:71], v[72:73], 1.0
	v_fma_f64 v[72:73], v[72:73], v[74:75], v[72:73]
	v_mul_f64 v[74:75], v[76:77], v[72:73]
	v_fma_f64 v[70:71], -v[70:71], v[74:75], v[76:77]
	v_div_fmas_f64 v[70:71], v[70:71], v[72:73], v[74:75]
	v_div_fixup_f64 v[72:73], v[70:71], v[66:67], v[68:69]
	v_fma_f64 v[66:67], v[68:69], v[72:73], v[66:67]
	v_div_scale_f64 v[68:69], null, v[66:67], v[66:67], 1.0
	v_rcp_f64_e32 v[70:71], v[68:69]
	v_fma_f64 v[74:75], -v[68:69], v[70:71], 1.0
	v_fma_f64 v[70:71], v[70:71], v[74:75], v[70:71]
	v_fma_f64 v[74:75], -v[68:69], v[70:71], 1.0
	v_fma_f64 v[70:71], v[70:71], v[74:75], v[70:71]
	v_div_scale_f64 v[74:75], vcc_lo, 1.0, v[66:67], 1.0
	v_mul_f64 v[76:77], v[74:75], v[70:71]
	v_fma_f64 v[68:69], -v[68:69], v[76:77], v[74:75]
	v_div_fmas_f64 v[68:69], v[68:69], v[70:71], v[76:77]
	v_div_fixup_f64 v[70:71], v[68:69], v[66:67], 1.0
	v_mul_f64 v[72:73], v[72:73], -v[70:71]
.LBB25_34:
	s_or_b32 exec_lo, exec_lo, s1
	ds_write2_b64 v1, v[70:71], v[72:73] offset1:1
.LBB25_35:
	s_or_b32 exec_lo, exec_lo, s2
	s_waitcnt lgkmcnt(0)
	s_barrier
	buffer_gl0_inv
	ds_read2_b64 v[66:69], v1 offset1:1
	s_mov_b32 s1, exec_lo
	v_cmpx_lt_u32_e32 3, v0
	s_cbranch_execz .LBB25_37
; %bb.36:
	s_waitcnt lgkmcnt(0)
	v_mul_f64 v[70:71], v[66:67], v[4:5]
	v_mul_f64 v[4:5], v[68:69], v[4:5]
	v_fma_f64 v[74:75], v[68:69], v[2:3], v[70:71]
	ds_read2_b64 v[70:73], v134 offset0:8 offset1:9
	v_fma_f64 v[2:3], v[66:67], v[2:3], -v[4:5]
	s_waitcnt lgkmcnt(0)
	v_mul_f64 v[4:5], v[72:73], v[74:75]
	v_fma_f64 v[4:5], v[70:71], v[2:3], -v[4:5]
	v_mul_f64 v[70:71], v[70:71], v[74:75]
	v_add_f64 v[22:23], v[22:23], -v[4:5]
	v_fma_f64 v[70:71], v[72:73], v[2:3], v[70:71]
	v_add_f64 v[24:25], v[24:25], -v[70:71]
	ds_read2_b64 v[70:73], v134 offset0:10 offset1:11
	s_waitcnt lgkmcnt(0)
	v_mul_f64 v[4:5], v[72:73], v[74:75]
	v_fma_f64 v[4:5], v[70:71], v[2:3], -v[4:5]
	v_mul_f64 v[70:71], v[70:71], v[74:75]
	v_add_f64 v[18:19], v[18:19], -v[4:5]
	v_fma_f64 v[70:71], v[72:73], v[2:3], v[70:71]
	v_add_f64 v[20:21], v[20:21], -v[70:71]
	ds_read2_b64 v[70:73], v134 offset0:12 offset1:13
	;; [unrolled: 8-line block ×8, first 2 shown]
	s_waitcnt lgkmcnt(0)
	v_mul_f64 v[4:5], v[72:73], v[74:75]
	v_fma_f64 v[4:5], v[70:71], v[2:3], -v[4:5]
	v_mul_f64 v[70:71], v[70:71], v[74:75]
	v_add_f64 v[26:27], v[26:27], -v[4:5]
	v_fma_f64 v[70:71], v[72:73], v[2:3], v[70:71]
	v_mov_b32_e32 v4, v74
	v_mov_b32_e32 v5, v75
	v_add_f64 v[28:29], v[28:29], -v[70:71]
.LBB25_37:
	s_or_b32 exec_lo, exec_lo, s1
	s_mov_b32 s2, exec_lo
	s_waitcnt lgkmcnt(0)
	s_barrier
	buffer_gl0_inv
	v_cmpx_eq_u32_e32 4, v0
	s_cbranch_execz .LBB25_44
; %bb.38:
	ds_write2_b64 v1, v[22:23], v[24:25] offset1:1
	ds_write2_b64 v134, v[18:19], v[20:21] offset0:10 offset1:11
	ds_write2_b64 v134, v[50:51], v[52:53] offset0:12 offset1:13
	;; [unrolled: 1-line block ×8, first 2 shown]
	ds_read2_b64 v[70:73], v1 offset1:1
	s_waitcnt lgkmcnt(0)
	v_cmp_neq_f64_e32 vcc_lo, 0, v[70:71]
	v_cmp_neq_f64_e64 s1, 0, v[72:73]
	s_or_b32 s1, vcc_lo, s1
	s_and_b32 exec_lo, exec_lo, s1
	s_cbranch_execz .LBB25_44
; %bb.39:
	v_cmp_ngt_f64_e64 s1, |v[70:71]|, |v[72:73]|
                                        ; implicit-def: $vgpr74_vgpr75
	s_and_saveexec_b32 s3, s1
	s_xor_b32 s1, exec_lo, s3
                                        ; implicit-def: $vgpr76_vgpr77
	s_cbranch_execz .LBB25_41
; %bb.40:
	v_div_scale_f64 v[74:75], null, v[72:73], v[72:73], v[70:71]
	v_div_scale_f64 v[80:81], vcc_lo, v[70:71], v[72:73], v[70:71]
	v_rcp_f64_e32 v[76:77], v[74:75]
	v_fma_f64 v[78:79], -v[74:75], v[76:77], 1.0
	v_fma_f64 v[76:77], v[76:77], v[78:79], v[76:77]
	v_fma_f64 v[78:79], -v[74:75], v[76:77], 1.0
	v_fma_f64 v[76:77], v[76:77], v[78:79], v[76:77]
	v_mul_f64 v[78:79], v[80:81], v[76:77]
	v_fma_f64 v[74:75], -v[74:75], v[78:79], v[80:81]
	v_div_fmas_f64 v[74:75], v[74:75], v[76:77], v[78:79]
	v_div_fixup_f64 v[74:75], v[74:75], v[72:73], v[70:71]
	v_fma_f64 v[70:71], v[70:71], v[74:75], v[72:73]
	v_div_scale_f64 v[72:73], null, v[70:71], v[70:71], 1.0
	v_rcp_f64_e32 v[76:77], v[72:73]
	v_fma_f64 v[78:79], -v[72:73], v[76:77], 1.0
	v_fma_f64 v[76:77], v[76:77], v[78:79], v[76:77]
	v_fma_f64 v[78:79], -v[72:73], v[76:77], 1.0
	v_fma_f64 v[76:77], v[76:77], v[78:79], v[76:77]
	v_div_scale_f64 v[78:79], vcc_lo, 1.0, v[70:71], 1.0
	v_mul_f64 v[80:81], v[78:79], v[76:77]
	v_fma_f64 v[72:73], -v[72:73], v[80:81], v[78:79]
	v_div_fmas_f64 v[72:73], v[72:73], v[76:77], v[80:81]
	v_div_fixup_f64 v[76:77], v[72:73], v[70:71], 1.0
                                        ; implicit-def: $vgpr70_vgpr71
	v_mul_f64 v[74:75], v[74:75], v[76:77]
	v_xor_b32_e32 v77, 0x80000000, v77
.LBB25_41:
	s_andn2_saveexec_b32 s1, s1
	s_cbranch_execz .LBB25_43
; %bb.42:
	v_div_scale_f64 v[74:75], null, v[70:71], v[70:71], v[72:73]
	v_div_scale_f64 v[80:81], vcc_lo, v[72:73], v[70:71], v[72:73]
	v_rcp_f64_e32 v[76:77], v[74:75]
	v_fma_f64 v[78:79], -v[74:75], v[76:77], 1.0
	v_fma_f64 v[76:77], v[76:77], v[78:79], v[76:77]
	v_fma_f64 v[78:79], -v[74:75], v[76:77], 1.0
	v_fma_f64 v[76:77], v[76:77], v[78:79], v[76:77]
	v_mul_f64 v[78:79], v[80:81], v[76:77]
	v_fma_f64 v[74:75], -v[74:75], v[78:79], v[80:81]
	v_div_fmas_f64 v[74:75], v[74:75], v[76:77], v[78:79]
	v_div_fixup_f64 v[76:77], v[74:75], v[70:71], v[72:73]
	v_fma_f64 v[70:71], v[72:73], v[76:77], v[70:71]
	v_div_scale_f64 v[72:73], null, v[70:71], v[70:71], 1.0
	v_rcp_f64_e32 v[74:75], v[72:73]
	v_fma_f64 v[78:79], -v[72:73], v[74:75], 1.0
	v_fma_f64 v[74:75], v[74:75], v[78:79], v[74:75]
	v_fma_f64 v[78:79], -v[72:73], v[74:75], 1.0
	v_fma_f64 v[74:75], v[74:75], v[78:79], v[74:75]
	v_div_scale_f64 v[78:79], vcc_lo, 1.0, v[70:71], 1.0
	v_mul_f64 v[80:81], v[78:79], v[74:75]
	v_fma_f64 v[72:73], -v[72:73], v[80:81], v[78:79]
	v_div_fmas_f64 v[72:73], v[72:73], v[74:75], v[80:81]
	v_div_fixup_f64 v[74:75], v[72:73], v[70:71], 1.0
	v_mul_f64 v[76:77], v[76:77], -v[74:75]
.LBB25_43:
	s_or_b32 exec_lo, exec_lo, s1
	ds_write2_b64 v1, v[74:75], v[76:77] offset1:1
.LBB25_44:
	s_or_b32 exec_lo, exec_lo, s2
	s_waitcnt lgkmcnt(0)
	s_barrier
	buffer_gl0_inv
	ds_read2_b64 v[70:73], v1 offset1:1
	s_mov_b32 s1, exec_lo
	v_cmpx_lt_u32_e32 4, v0
	s_cbranch_execz .LBB25_46
; %bb.45:
	s_waitcnt lgkmcnt(0)
	v_mul_f64 v[74:75], v[70:71], v[24:25]
	v_mul_f64 v[24:25], v[72:73], v[24:25]
	v_fma_f64 v[78:79], v[72:73], v[22:23], v[74:75]
	ds_read2_b64 v[74:77], v134 offset0:10 offset1:11
	v_fma_f64 v[22:23], v[70:71], v[22:23], -v[24:25]
	s_waitcnt lgkmcnt(0)
	v_mul_f64 v[24:25], v[76:77], v[78:79]
	v_fma_f64 v[24:25], v[74:75], v[22:23], -v[24:25]
	v_mul_f64 v[74:75], v[74:75], v[78:79]
	v_add_f64 v[18:19], v[18:19], -v[24:25]
	v_fma_f64 v[74:75], v[76:77], v[22:23], v[74:75]
	v_add_f64 v[20:21], v[20:21], -v[74:75]
	ds_read2_b64 v[74:77], v134 offset0:12 offset1:13
	s_waitcnt lgkmcnt(0)
	v_mul_f64 v[24:25], v[76:77], v[78:79]
	v_fma_f64 v[24:25], v[74:75], v[22:23], -v[24:25]
	v_mul_f64 v[74:75], v[74:75], v[78:79]
	v_add_f64 v[50:51], v[50:51], -v[24:25]
	v_fma_f64 v[74:75], v[76:77], v[22:23], v[74:75]
	v_add_f64 v[52:53], v[52:53], -v[74:75]
	ds_read2_b64 v[74:77], v134 offset0:14 offset1:15
	;; [unrolled: 8-line block ×7, first 2 shown]
	s_waitcnt lgkmcnt(0)
	v_mul_f64 v[24:25], v[76:77], v[78:79]
	v_fma_f64 v[24:25], v[74:75], v[22:23], -v[24:25]
	v_mul_f64 v[74:75], v[74:75], v[78:79]
	v_add_f64 v[26:27], v[26:27], -v[24:25]
	v_fma_f64 v[74:75], v[76:77], v[22:23], v[74:75]
	v_mov_b32_e32 v24, v78
	v_mov_b32_e32 v25, v79
	v_add_f64 v[28:29], v[28:29], -v[74:75]
.LBB25_46:
	s_or_b32 exec_lo, exec_lo, s1
	s_mov_b32 s2, exec_lo
	s_waitcnt lgkmcnt(0)
	s_barrier
	buffer_gl0_inv
	v_cmpx_eq_u32_e32 5, v0
	s_cbranch_execz .LBB25_53
; %bb.47:
	ds_write2_b64 v1, v[18:19], v[20:21] offset1:1
	ds_write2_b64 v134, v[50:51], v[52:53] offset0:12 offset1:13
	ds_write2_b64 v134, v[46:47], v[48:49] offset0:14 offset1:15
	;; [unrolled: 1-line block ×7, first 2 shown]
	ds_read2_b64 v[74:77], v1 offset1:1
	s_waitcnt lgkmcnt(0)
	v_cmp_neq_f64_e32 vcc_lo, 0, v[74:75]
	v_cmp_neq_f64_e64 s1, 0, v[76:77]
	s_or_b32 s1, vcc_lo, s1
	s_and_b32 exec_lo, exec_lo, s1
	s_cbranch_execz .LBB25_53
; %bb.48:
	v_cmp_ngt_f64_e64 s1, |v[74:75]|, |v[76:77]|
                                        ; implicit-def: $vgpr78_vgpr79
	s_and_saveexec_b32 s3, s1
	s_xor_b32 s1, exec_lo, s3
                                        ; implicit-def: $vgpr80_vgpr81
	s_cbranch_execz .LBB25_50
; %bb.49:
	v_div_scale_f64 v[78:79], null, v[76:77], v[76:77], v[74:75]
	v_div_scale_f64 v[84:85], vcc_lo, v[74:75], v[76:77], v[74:75]
	v_rcp_f64_e32 v[80:81], v[78:79]
	v_fma_f64 v[82:83], -v[78:79], v[80:81], 1.0
	v_fma_f64 v[80:81], v[80:81], v[82:83], v[80:81]
	v_fma_f64 v[82:83], -v[78:79], v[80:81], 1.0
	v_fma_f64 v[80:81], v[80:81], v[82:83], v[80:81]
	v_mul_f64 v[82:83], v[84:85], v[80:81]
	v_fma_f64 v[78:79], -v[78:79], v[82:83], v[84:85]
	v_div_fmas_f64 v[78:79], v[78:79], v[80:81], v[82:83]
	v_div_fixup_f64 v[78:79], v[78:79], v[76:77], v[74:75]
	v_fma_f64 v[74:75], v[74:75], v[78:79], v[76:77]
	v_div_scale_f64 v[76:77], null, v[74:75], v[74:75], 1.0
	v_rcp_f64_e32 v[80:81], v[76:77]
	v_fma_f64 v[82:83], -v[76:77], v[80:81], 1.0
	v_fma_f64 v[80:81], v[80:81], v[82:83], v[80:81]
	v_fma_f64 v[82:83], -v[76:77], v[80:81], 1.0
	v_fma_f64 v[80:81], v[80:81], v[82:83], v[80:81]
	v_div_scale_f64 v[82:83], vcc_lo, 1.0, v[74:75], 1.0
	v_mul_f64 v[84:85], v[82:83], v[80:81]
	v_fma_f64 v[76:77], -v[76:77], v[84:85], v[82:83]
	v_div_fmas_f64 v[76:77], v[76:77], v[80:81], v[84:85]
	v_div_fixup_f64 v[80:81], v[76:77], v[74:75], 1.0
                                        ; implicit-def: $vgpr74_vgpr75
	v_mul_f64 v[78:79], v[78:79], v[80:81]
	v_xor_b32_e32 v81, 0x80000000, v81
.LBB25_50:
	s_andn2_saveexec_b32 s1, s1
	s_cbranch_execz .LBB25_52
; %bb.51:
	v_div_scale_f64 v[78:79], null, v[74:75], v[74:75], v[76:77]
	v_div_scale_f64 v[84:85], vcc_lo, v[76:77], v[74:75], v[76:77]
	v_rcp_f64_e32 v[80:81], v[78:79]
	v_fma_f64 v[82:83], -v[78:79], v[80:81], 1.0
	v_fma_f64 v[80:81], v[80:81], v[82:83], v[80:81]
	v_fma_f64 v[82:83], -v[78:79], v[80:81], 1.0
	v_fma_f64 v[80:81], v[80:81], v[82:83], v[80:81]
	v_mul_f64 v[82:83], v[84:85], v[80:81]
	v_fma_f64 v[78:79], -v[78:79], v[82:83], v[84:85]
	v_div_fmas_f64 v[78:79], v[78:79], v[80:81], v[82:83]
	v_div_fixup_f64 v[80:81], v[78:79], v[74:75], v[76:77]
	v_fma_f64 v[74:75], v[76:77], v[80:81], v[74:75]
	v_div_scale_f64 v[76:77], null, v[74:75], v[74:75], 1.0
	v_rcp_f64_e32 v[78:79], v[76:77]
	v_fma_f64 v[82:83], -v[76:77], v[78:79], 1.0
	v_fma_f64 v[78:79], v[78:79], v[82:83], v[78:79]
	v_fma_f64 v[82:83], -v[76:77], v[78:79], 1.0
	v_fma_f64 v[78:79], v[78:79], v[82:83], v[78:79]
	v_div_scale_f64 v[82:83], vcc_lo, 1.0, v[74:75], 1.0
	v_mul_f64 v[84:85], v[82:83], v[78:79]
	v_fma_f64 v[76:77], -v[76:77], v[84:85], v[82:83]
	v_div_fmas_f64 v[76:77], v[76:77], v[78:79], v[84:85]
	v_div_fixup_f64 v[78:79], v[76:77], v[74:75], 1.0
	v_mul_f64 v[80:81], v[80:81], -v[78:79]
.LBB25_52:
	s_or_b32 exec_lo, exec_lo, s1
	ds_write2_b64 v1, v[78:79], v[80:81] offset1:1
.LBB25_53:
	s_or_b32 exec_lo, exec_lo, s2
	s_waitcnt lgkmcnt(0)
	s_barrier
	buffer_gl0_inv
	ds_read2_b64 v[74:77], v1 offset1:1
	s_mov_b32 s1, exec_lo
	v_cmpx_lt_u32_e32 5, v0
	s_cbranch_execz .LBB25_55
; %bb.54:
	s_waitcnt lgkmcnt(0)
	v_mul_f64 v[78:79], v[74:75], v[20:21]
	v_mul_f64 v[20:21], v[76:77], v[20:21]
	v_fma_f64 v[82:83], v[76:77], v[18:19], v[78:79]
	ds_read2_b64 v[78:81], v134 offset0:12 offset1:13
	v_fma_f64 v[18:19], v[74:75], v[18:19], -v[20:21]
	s_waitcnt lgkmcnt(0)
	v_mul_f64 v[20:21], v[80:81], v[82:83]
	v_fma_f64 v[20:21], v[78:79], v[18:19], -v[20:21]
	v_mul_f64 v[78:79], v[78:79], v[82:83]
	v_add_f64 v[50:51], v[50:51], -v[20:21]
	v_fma_f64 v[78:79], v[80:81], v[18:19], v[78:79]
	v_add_f64 v[52:53], v[52:53], -v[78:79]
	ds_read2_b64 v[78:81], v134 offset0:14 offset1:15
	s_waitcnt lgkmcnt(0)
	v_mul_f64 v[20:21], v[80:81], v[82:83]
	v_fma_f64 v[20:21], v[78:79], v[18:19], -v[20:21]
	v_mul_f64 v[78:79], v[78:79], v[82:83]
	v_add_f64 v[46:47], v[46:47], -v[20:21]
	v_fma_f64 v[78:79], v[80:81], v[18:19], v[78:79]
	v_add_f64 v[48:49], v[48:49], -v[78:79]
	ds_read2_b64 v[78:81], v134 offset0:16 offset1:17
	;; [unrolled: 8-line block ×6, first 2 shown]
	s_waitcnt lgkmcnt(0)
	v_mul_f64 v[20:21], v[80:81], v[82:83]
	v_fma_f64 v[20:21], v[78:79], v[18:19], -v[20:21]
	v_mul_f64 v[78:79], v[78:79], v[82:83]
	v_add_f64 v[26:27], v[26:27], -v[20:21]
	v_fma_f64 v[78:79], v[80:81], v[18:19], v[78:79]
	v_mov_b32_e32 v20, v82
	v_mov_b32_e32 v21, v83
	v_add_f64 v[28:29], v[28:29], -v[78:79]
.LBB25_55:
	s_or_b32 exec_lo, exec_lo, s1
	s_mov_b32 s2, exec_lo
	s_waitcnt lgkmcnt(0)
	s_barrier
	buffer_gl0_inv
	v_cmpx_eq_u32_e32 6, v0
	s_cbranch_execz .LBB25_62
; %bb.56:
	ds_write2_b64 v1, v[50:51], v[52:53] offset1:1
	ds_write2_b64 v134, v[46:47], v[48:49] offset0:14 offset1:15
	ds_write2_b64 v134, v[42:43], v[44:45] offset0:16 offset1:17
	;; [unrolled: 1-line block ×6, first 2 shown]
	ds_read2_b64 v[78:81], v1 offset1:1
	s_waitcnt lgkmcnt(0)
	v_cmp_neq_f64_e32 vcc_lo, 0, v[78:79]
	v_cmp_neq_f64_e64 s1, 0, v[80:81]
	s_or_b32 s1, vcc_lo, s1
	s_and_b32 exec_lo, exec_lo, s1
	s_cbranch_execz .LBB25_62
; %bb.57:
	v_cmp_ngt_f64_e64 s1, |v[78:79]|, |v[80:81]|
                                        ; implicit-def: $vgpr82_vgpr83
	s_and_saveexec_b32 s3, s1
	s_xor_b32 s1, exec_lo, s3
                                        ; implicit-def: $vgpr84_vgpr85
	s_cbranch_execz .LBB25_59
; %bb.58:
	v_div_scale_f64 v[82:83], null, v[80:81], v[80:81], v[78:79]
	v_div_scale_f64 v[88:89], vcc_lo, v[78:79], v[80:81], v[78:79]
	v_rcp_f64_e32 v[84:85], v[82:83]
	v_fma_f64 v[86:87], -v[82:83], v[84:85], 1.0
	v_fma_f64 v[84:85], v[84:85], v[86:87], v[84:85]
	v_fma_f64 v[86:87], -v[82:83], v[84:85], 1.0
	v_fma_f64 v[84:85], v[84:85], v[86:87], v[84:85]
	v_mul_f64 v[86:87], v[88:89], v[84:85]
	v_fma_f64 v[82:83], -v[82:83], v[86:87], v[88:89]
	v_div_fmas_f64 v[82:83], v[82:83], v[84:85], v[86:87]
	v_div_fixup_f64 v[82:83], v[82:83], v[80:81], v[78:79]
	v_fma_f64 v[78:79], v[78:79], v[82:83], v[80:81]
	v_div_scale_f64 v[80:81], null, v[78:79], v[78:79], 1.0
	v_rcp_f64_e32 v[84:85], v[80:81]
	v_fma_f64 v[86:87], -v[80:81], v[84:85], 1.0
	v_fma_f64 v[84:85], v[84:85], v[86:87], v[84:85]
	v_fma_f64 v[86:87], -v[80:81], v[84:85], 1.0
	v_fma_f64 v[84:85], v[84:85], v[86:87], v[84:85]
	v_div_scale_f64 v[86:87], vcc_lo, 1.0, v[78:79], 1.0
	v_mul_f64 v[88:89], v[86:87], v[84:85]
	v_fma_f64 v[80:81], -v[80:81], v[88:89], v[86:87]
	v_div_fmas_f64 v[80:81], v[80:81], v[84:85], v[88:89]
	v_div_fixup_f64 v[84:85], v[80:81], v[78:79], 1.0
                                        ; implicit-def: $vgpr78_vgpr79
	v_mul_f64 v[82:83], v[82:83], v[84:85]
	v_xor_b32_e32 v85, 0x80000000, v85
.LBB25_59:
	s_andn2_saveexec_b32 s1, s1
	s_cbranch_execz .LBB25_61
; %bb.60:
	v_div_scale_f64 v[82:83], null, v[78:79], v[78:79], v[80:81]
	v_div_scale_f64 v[88:89], vcc_lo, v[80:81], v[78:79], v[80:81]
	v_rcp_f64_e32 v[84:85], v[82:83]
	v_fma_f64 v[86:87], -v[82:83], v[84:85], 1.0
	v_fma_f64 v[84:85], v[84:85], v[86:87], v[84:85]
	v_fma_f64 v[86:87], -v[82:83], v[84:85], 1.0
	v_fma_f64 v[84:85], v[84:85], v[86:87], v[84:85]
	v_mul_f64 v[86:87], v[88:89], v[84:85]
	v_fma_f64 v[82:83], -v[82:83], v[86:87], v[88:89]
	v_div_fmas_f64 v[82:83], v[82:83], v[84:85], v[86:87]
	v_div_fixup_f64 v[84:85], v[82:83], v[78:79], v[80:81]
	v_fma_f64 v[78:79], v[80:81], v[84:85], v[78:79]
	v_div_scale_f64 v[80:81], null, v[78:79], v[78:79], 1.0
	v_rcp_f64_e32 v[82:83], v[80:81]
	v_fma_f64 v[86:87], -v[80:81], v[82:83], 1.0
	v_fma_f64 v[82:83], v[82:83], v[86:87], v[82:83]
	v_fma_f64 v[86:87], -v[80:81], v[82:83], 1.0
	v_fma_f64 v[82:83], v[82:83], v[86:87], v[82:83]
	v_div_scale_f64 v[86:87], vcc_lo, 1.0, v[78:79], 1.0
	v_mul_f64 v[88:89], v[86:87], v[82:83]
	v_fma_f64 v[80:81], -v[80:81], v[88:89], v[86:87]
	v_div_fmas_f64 v[80:81], v[80:81], v[82:83], v[88:89]
	v_div_fixup_f64 v[82:83], v[80:81], v[78:79], 1.0
	v_mul_f64 v[84:85], v[84:85], -v[82:83]
.LBB25_61:
	s_or_b32 exec_lo, exec_lo, s1
	ds_write2_b64 v1, v[82:83], v[84:85] offset1:1
.LBB25_62:
	s_or_b32 exec_lo, exec_lo, s2
	s_waitcnt lgkmcnt(0)
	s_barrier
	buffer_gl0_inv
	ds_read2_b64 v[78:81], v1 offset1:1
	s_mov_b32 s1, exec_lo
	v_cmpx_lt_u32_e32 6, v0
	s_cbranch_execz .LBB25_64
; %bb.63:
	s_waitcnt lgkmcnt(0)
	v_mul_f64 v[82:83], v[78:79], v[52:53]
	v_mul_f64 v[52:53], v[80:81], v[52:53]
	v_fma_f64 v[86:87], v[80:81], v[50:51], v[82:83]
	ds_read2_b64 v[82:85], v134 offset0:14 offset1:15
	v_fma_f64 v[50:51], v[78:79], v[50:51], -v[52:53]
	s_waitcnt lgkmcnt(0)
	v_mul_f64 v[52:53], v[84:85], v[86:87]
	v_fma_f64 v[52:53], v[82:83], v[50:51], -v[52:53]
	v_mul_f64 v[82:83], v[82:83], v[86:87]
	v_add_f64 v[46:47], v[46:47], -v[52:53]
	v_fma_f64 v[82:83], v[84:85], v[50:51], v[82:83]
	v_add_f64 v[48:49], v[48:49], -v[82:83]
	ds_read2_b64 v[82:85], v134 offset0:16 offset1:17
	s_waitcnt lgkmcnt(0)
	v_mul_f64 v[52:53], v[84:85], v[86:87]
	v_fma_f64 v[52:53], v[82:83], v[50:51], -v[52:53]
	v_mul_f64 v[82:83], v[82:83], v[86:87]
	v_add_f64 v[42:43], v[42:43], -v[52:53]
	v_fma_f64 v[82:83], v[84:85], v[50:51], v[82:83]
	v_add_f64 v[44:45], v[44:45], -v[82:83]
	ds_read2_b64 v[82:85], v134 offset0:18 offset1:19
	;; [unrolled: 8-line block ×5, first 2 shown]
	s_waitcnt lgkmcnt(0)
	v_mul_f64 v[52:53], v[84:85], v[86:87]
	v_fma_f64 v[52:53], v[82:83], v[50:51], -v[52:53]
	v_mul_f64 v[82:83], v[82:83], v[86:87]
	v_add_f64 v[26:27], v[26:27], -v[52:53]
	v_fma_f64 v[82:83], v[84:85], v[50:51], v[82:83]
	v_mov_b32_e32 v52, v86
	v_mov_b32_e32 v53, v87
	v_add_f64 v[28:29], v[28:29], -v[82:83]
.LBB25_64:
	s_or_b32 exec_lo, exec_lo, s1
	s_mov_b32 s2, exec_lo
	s_waitcnt lgkmcnt(0)
	s_barrier
	buffer_gl0_inv
	v_cmpx_eq_u32_e32 7, v0
	s_cbranch_execz .LBB25_71
; %bb.65:
	ds_write2_b64 v1, v[46:47], v[48:49] offset1:1
	ds_write2_b64 v134, v[42:43], v[44:45] offset0:16 offset1:17
	ds_write2_b64 v134, v[38:39], v[40:41] offset0:18 offset1:19
	;; [unrolled: 1-line block ×5, first 2 shown]
	ds_read2_b64 v[82:85], v1 offset1:1
	s_waitcnt lgkmcnt(0)
	v_cmp_neq_f64_e32 vcc_lo, 0, v[82:83]
	v_cmp_neq_f64_e64 s1, 0, v[84:85]
	s_or_b32 s1, vcc_lo, s1
	s_and_b32 exec_lo, exec_lo, s1
	s_cbranch_execz .LBB25_71
; %bb.66:
	v_cmp_ngt_f64_e64 s1, |v[82:83]|, |v[84:85]|
                                        ; implicit-def: $vgpr86_vgpr87
	s_and_saveexec_b32 s3, s1
	s_xor_b32 s1, exec_lo, s3
                                        ; implicit-def: $vgpr88_vgpr89
	s_cbranch_execz .LBB25_68
; %bb.67:
	v_div_scale_f64 v[86:87], null, v[84:85], v[84:85], v[82:83]
	v_div_scale_f64 v[92:93], vcc_lo, v[82:83], v[84:85], v[82:83]
	v_rcp_f64_e32 v[88:89], v[86:87]
	v_fma_f64 v[90:91], -v[86:87], v[88:89], 1.0
	v_fma_f64 v[88:89], v[88:89], v[90:91], v[88:89]
	v_fma_f64 v[90:91], -v[86:87], v[88:89], 1.0
	v_fma_f64 v[88:89], v[88:89], v[90:91], v[88:89]
	v_mul_f64 v[90:91], v[92:93], v[88:89]
	v_fma_f64 v[86:87], -v[86:87], v[90:91], v[92:93]
	v_div_fmas_f64 v[86:87], v[86:87], v[88:89], v[90:91]
	v_div_fixup_f64 v[86:87], v[86:87], v[84:85], v[82:83]
	v_fma_f64 v[82:83], v[82:83], v[86:87], v[84:85]
	v_div_scale_f64 v[84:85], null, v[82:83], v[82:83], 1.0
	v_rcp_f64_e32 v[88:89], v[84:85]
	v_fma_f64 v[90:91], -v[84:85], v[88:89], 1.0
	v_fma_f64 v[88:89], v[88:89], v[90:91], v[88:89]
	v_fma_f64 v[90:91], -v[84:85], v[88:89], 1.0
	v_fma_f64 v[88:89], v[88:89], v[90:91], v[88:89]
	v_div_scale_f64 v[90:91], vcc_lo, 1.0, v[82:83], 1.0
	v_mul_f64 v[92:93], v[90:91], v[88:89]
	v_fma_f64 v[84:85], -v[84:85], v[92:93], v[90:91]
	v_div_fmas_f64 v[84:85], v[84:85], v[88:89], v[92:93]
	v_div_fixup_f64 v[88:89], v[84:85], v[82:83], 1.0
                                        ; implicit-def: $vgpr82_vgpr83
	v_mul_f64 v[86:87], v[86:87], v[88:89]
	v_xor_b32_e32 v89, 0x80000000, v89
.LBB25_68:
	s_andn2_saveexec_b32 s1, s1
	s_cbranch_execz .LBB25_70
; %bb.69:
	v_div_scale_f64 v[86:87], null, v[82:83], v[82:83], v[84:85]
	v_div_scale_f64 v[92:93], vcc_lo, v[84:85], v[82:83], v[84:85]
	v_rcp_f64_e32 v[88:89], v[86:87]
	v_fma_f64 v[90:91], -v[86:87], v[88:89], 1.0
	v_fma_f64 v[88:89], v[88:89], v[90:91], v[88:89]
	v_fma_f64 v[90:91], -v[86:87], v[88:89], 1.0
	v_fma_f64 v[88:89], v[88:89], v[90:91], v[88:89]
	v_mul_f64 v[90:91], v[92:93], v[88:89]
	v_fma_f64 v[86:87], -v[86:87], v[90:91], v[92:93]
	v_div_fmas_f64 v[86:87], v[86:87], v[88:89], v[90:91]
	v_div_fixup_f64 v[88:89], v[86:87], v[82:83], v[84:85]
	v_fma_f64 v[82:83], v[84:85], v[88:89], v[82:83]
	v_div_scale_f64 v[84:85], null, v[82:83], v[82:83], 1.0
	v_rcp_f64_e32 v[86:87], v[84:85]
	v_fma_f64 v[90:91], -v[84:85], v[86:87], 1.0
	v_fma_f64 v[86:87], v[86:87], v[90:91], v[86:87]
	v_fma_f64 v[90:91], -v[84:85], v[86:87], 1.0
	v_fma_f64 v[86:87], v[86:87], v[90:91], v[86:87]
	v_div_scale_f64 v[90:91], vcc_lo, 1.0, v[82:83], 1.0
	v_mul_f64 v[92:93], v[90:91], v[86:87]
	v_fma_f64 v[84:85], -v[84:85], v[92:93], v[90:91]
	v_div_fmas_f64 v[84:85], v[84:85], v[86:87], v[92:93]
	v_div_fixup_f64 v[86:87], v[84:85], v[82:83], 1.0
	v_mul_f64 v[88:89], v[88:89], -v[86:87]
.LBB25_70:
	s_or_b32 exec_lo, exec_lo, s1
	ds_write2_b64 v1, v[86:87], v[88:89] offset1:1
.LBB25_71:
	s_or_b32 exec_lo, exec_lo, s2
	s_waitcnt lgkmcnt(0)
	s_barrier
	buffer_gl0_inv
	ds_read2_b64 v[82:85], v1 offset1:1
	s_mov_b32 s1, exec_lo
	v_cmpx_lt_u32_e32 7, v0
	s_cbranch_execz .LBB25_73
; %bb.72:
	s_waitcnt lgkmcnt(0)
	v_mul_f64 v[86:87], v[82:83], v[48:49]
	v_mul_f64 v[48:49], v[84:85], v[48:49]
	v_fma_f64 v[90:91], v[84:85], v[46:47], v[86:87]
	ds_read2_b64 v[86:89], v134 offset0:16 offset1:17
	v_fma_f64 v[46:47], v[82:83], v[46:47], -v[48:49]
	s_waitcnt lgkmcnt(0)
	v_mul_f64 v[48:49], v[88:89], v[90:91]
	v_fma_f64 v[48:49], v[86:87], v[46:47], -v[48:49]
	v_mul_f64 v[86:87], v[86:87], v[90:91]
	v_add_f64 v[42:43], v[42:43], -v[48:49]
	v_fma_f64 v[86:87], v[88:89], v[46:47], v[86:87]
	v_add_f64 v[44:45], v[44:45], -v[86:87]
	ds_read2_b64 v[86:89], v134 offset0:18 offset1:19
	s_waitcnt lgkmcnt(0)
	v_mul_f64 v[48:49], v[88:89], v[90:91]
	v_fma_f64 v[48:49], v[86:87], v[46:47], -v[48:49]
	v_mul_f64 v[86:87], v[86:87], v[90:91]
	v_add_f64 v[38:39], v[38:39], -v[48:49]
	v_fma_f64 v[86:87], v[88:89], v[46:47], v[86:87]
	v_add_f64 v[40:41], v[40:41], -v[86:87]
	ds_read2_b64 v[86:89], v134 offset0:20 offset1:21
	;; [unrolled: 8-line block ×4, first 2 shown]
	s_waitcnt lgkmcnt(0)
	v_mul_f64 v[48:49], v[88:89], v[90:91]
	v_fma_f64 v[48:49], v[86:87], v[46:47], -v[48:49]
	v_mul_f64 v[86:87], v[86:87], v[90:91]
	v_add_f64 v[26:27], v[26:27], -v[48:49]
	v_fma_f64 v[86:87], v[88:89], v[46:47], v[86:87]
	v_mov_b32_e32 v48, v90
	v_mov_b32_e32 v49, v91
	v_add_f64 v[28:29], v[28:29], -v[86:87]
.LBB25_73:
	s_or_b32 exec_lo, exec_lo, s1
	s_mov_b32 s2, exec_lo
	s_waitcnt lgkmcnt(0)
	s_barrier
	buffer_gl0_inv
	v_cmpx_eq_u32_e32 8, v0
	s_cbranch_execz .LBB25_80
; %bb.74:
	ds_write2_b64 v1, v[42:43], v[44:45] offset1:1
	ds_write2_b64 v134, v[38:39], v[40:41] offset0:18 offset1:19
	ds_write2_b64 v134, v[34:35], v[36:37] offset0:20 offset1:21
	;; [unrolled: 1-line block ×4, first 2 shown]
	ds_read2_b64 v[86:89], v1 offset1:1
	s_waitcnt lgkmcnt(0)
	v_cmp_neq_f64_e32 vcc_lo, 0, v[86:87]
	v_cmp_neq_f64_e64 s1, 0, v[88:89]
	s_or_b32 s1, vcc_lo, s1
	s_and_b32 exec_lo, exec_lo, s1
	s_cbranch_execz .LBB25_80
; %bb.75:
	v_cmp_ngt_f64_e64 s1, |v[86:87]|, |v[88:89]|
                                        ; implicit-def: $vgpr90_vgpr91
	s_and_saveexec_b32 s3, s1
	s_xor_b32 s1, exec_lo, s3
                                        ; implicit-def: $vgpr92_vgpr93
	s_cbranch_execz .LBB25_77
; %bb.76:
	v_div_scale_f64 v[90:91], null, v[88:89], v[88:89], v[86:87]
	v_div_scale_f64 v[96:97], vcc_lo, v[86:87], v[88:89], v[86:87]
	v_rcp_f64_e32 v[92:93], v[90:91]
	v_fma_f64 v[94:95], -v[90:91], v[92:93], 1.0
	v_fma_f64 v[92:93], v[92:93], v[94:95], v[92:93]
	v_fma_f64 v[94:95], -v[90:91], v[92:93], 1.0
	v_fma_f64 v[92:93], v[92:93], v[94:95], v[92:93]
	v_mul_f64 v[94:95], v[96:97], v[92:93]
	v_fma_f64 v[90:91], -v[90:91], v[94:95], v[96:97]
	v_div_fmas_f64 v[90:91], v[90:91], v[92:93], v[94:95]
	v_div_fixup_f64 v[90:91], v[90:91], v[88:89], v[86:87]
	v_fma_f64 v[86:87], v[86:87], v[90:91], v[88:89]
	v_div_scale_f64 v[88:89], null, v[86:87], v[86:87], 1.0
	v_rcp_f64_e32 v[92:93], v[88:89]
	v_fma_f64 v[94:95], -v[88:89], v[92:93], 1.0
	v_fma_f64 v[92:93], v[92:93], v[94:95], v[92:93]
	v_fma_f64 v[94:95], -v[88:89], v[92:93], 1.0
	v_fma_f64 v[92:93], v[92:93], v[94:95], v[92:93]
	v_div_scale_f64 v[94:95], vcc_lo, 1.0, v[86:87], 1.0
	v_mul_f64 v[96:97], v[94:95], v[92:93]
	v_fma_f64 v[88:89], -v[88:89], v[96:97], v[94:95]
	v_div_fmas_f64 v[88:89], v[88:89], v[92:93], v[96:97]
	v_div_fixup_f64 v[92:93], v[88:89], v[86:87], 1.0
                                        ; implicit-def: $vgpr86_vgpr87
	v_mul_f64 v[90:91], v[90:91], v[92:93]
	v_xor_b32_e32 v93, 0x80000000, v93
.LBB25_77:
	s_andn2_saveexec_b32 s1, s1
	s_cbranch_execz .LBB25_79
; %bb.78:
	v_div_scale_f64 v[90:91], null, v[86:87], v[86:87], v[88:89]
	v_div_scale_f64 v[96:97], vcc_lo, v[88:89], v[86:87], v[88:89]
	v_rcp_f64_e32 v[92:93], v[90:91]
	v_fma_f64 v[94:95], -v[90:91], v[92:93], 1.0
	v_fma_f64 v[92:93], v[92:93], v[94:95], v[92:93]
	v_fma_f64 v[94:95], -v[90:91], v[92:93], 1.0
	v_fma_f64 v[92:93], v[92:93], v[94:95], v[92:93]
	v_mul_f64 v[94:95], v[96:97], v[92:93]
	v_fma_f64 v[90:91], -v[90:91], v[94:95], v[96:97]
	v_div_fmas_f64 v[90:91], v[90:91], v[92:93], v[94:95]
	v_div_fixup_f64 v[92:93], v[90:91], v[86:87], v[88:89]
	v_fma_f64 v[86:87], v[88:89], v[92:93], v[86:87]
	v_div_scale_f64 v[88:89], null, v[86:87], v[86:87], 1.0
	v_rcp_f64_e32 v[90:91], v[88:89]
	v_fma_f64 v[94:95], -v[88:89], v[90:91], 1.0
	v_fma_f64 v[90:91], v[90:91], v[94:95], v[90:91]
	v_fma_f64 v[94:95], -v[88:89], v[90:91], 1.0
	v_fma_f64 v[90:91], v[90:91], v[94:95], v[90:91]
	v_div_scale_f64 v[94:95], vcc_lo, 1.0, v[86:87], 1.0
	v_mul_f64 v[96:97], v[94:95], v[90:91]
	v_fma_f64 v[88:89], -v[88:89], v[96:97], v[94:95]
	v_div_fmas_f64 v[88:89], v[88:89], v[90:91], v[96:97]
	v_div_fixup_f64 v[90:91], v[88:89], v[86:87], 1.0
	v_mul_f64 v[92:93], v[92:93], -v[90:91]
.LBB25_79:
	s_or_b32 exec_lo, exec_lo, s1
	ds_write2_b64 v1, v[90:91], v[92:93] offset1:1
.LBB25_80:
	s_or_b32 exec_lo, exec_lo, s2
	s_waitcnt lgkmcnt(0)
	s_barrier
	buffer_gl0_inv
	ds_read2_b64 v[86:89], v1 offset1:1
	s_mov_b32 s1, exec_lo
	v_cmpx_lt_u32_e32 8, v0
	s_cbranch_execz .LBB25_82
; %bb.81:
	s_waitcnt lgkmcnt(0)
	v_mul_f64 v[90:91], v[86:87], v[44:45]
	v_mul_f64 v[44:45], v[88:89], v[44:45]
	v_fma_f64 v[94:95], v[88:89], v[42:43], v[90:91]
	ds_read2_b64 v[90:93], v134 offset0:18 offset1:19
	v_fma_f64 v[42:43], v[86:87], v[42:43], -v[44:45]
	s_waitcnt lgkmcnt(0)
	v_mul_f64 v[44:45], v[92:93], v[94:95]
	v_fma_f64 v[44:45], v[90:91], v[42:43], -v[44:45]
	v_mul_f64 v[90:91], v[90:91], v[94:95]
	v_add_f64 v[38:39], v[38:39], -v[44:45]
	v_fma_f64 v[90:91], v[92:93], v[42:43], v[90:91]
	v_add_f64 v[40:41], v[40:41], -v[90:91]
	ds_read2_b64 v[90:93], v134 offset0:20 offset1:21
	s_waitcnt lgkmcnt(0)
	v_mul_f64 v[44:45], v[92:93], v[94:95]
	v_fma_f64 v[44:45], v[90:91], v[42:43], -v[44:45]
	v_mul_f64 v[90:91], v[90:91], v[94:95]
	v_add_f64 v[34:35], v[34:35], -v[44:45]
	v_fma_f64 v[90:91], v[92:93], v[42:43], v[90:91]
	v_add_f64 v[36:37], v[36:37], -v[90:91]
	ds_read2_b64 v[90:93], v134 offset0:22 offset1:23
	;; [unrolled: 8-line block ×3, first 2 shown]
	s_waitcnt lgkmcnt(0)
	v_mul_f64 v[44:45], v[92:93], v[94:95]
	v_fma_f64 v[44:45], v[90:91], v[42:43], -v[44:45]
	v_mul_f64 v[90:91], v[90:91], v[94:95]
	v_add_f64 v[26:27], v[26:27], -v[44:45]
	v_fma_f64 v[90:91], v[92:93], v[42:43], v[90:91]
	v_mov_b32_e32 v44, v94
	v_mov_b32_e32 v45, v95
	v_add_f64 v[28:29], v[28:29], -v[90:91]
.LBB25_82:
	s_or_b32 exec_lo, exec_lo, s1
	s_mov_b32 s2, exec_lo
	s_waitcnt lgkmcnt(0)
	s_barrier
	buffer_gl0_inv
	v_cmpx_eq_u32_e32 9, v0
	s_cbranch_execz .LBB25_89
; %bb.83:
	ds_write2_b64 v1, v[38:39], v[40:41] offset1:1
	ds_write2_b64 v134, v[34:35], v[36:37] offset0:20 offset1:21
	ds_write2_b64 v134, v[30:31], v[32:33] offset0:22 offset1:23
	;; [unrolled: 1-line block ×3, first 2 shown]
	ds_read2_b64 v[90:93], v1 offset1:1
	s_waitcnt lgkmcnt(0)
	v_cmp_neq_f64_e32 vcc_lo, 0, v[90:91]
	v_cmp_neq_f64_e64 s1, 0, v[92:93]
	s_or_b32 s1, vcc_lo, s1
	s_and_b32 exec_lo, exec_lo, s1
	s_cbranch_execz .LBB25_89
; %bb.84:
	v_cmp_ngt_f64_e64 s1, |v[90:91]|, |v[92:93]|
                                        ; implicit-def: $vgpr94_vgpr95
	s_and_saveexec_b32 s3, s1
	s_xor_b32 s1, exec_lo, s3
                                        ; implicit-def: $vgpr96_vgpr97
	s_cbranch_execz .LBB25_86
; %bb.85:
	v_div_scale_f64 v[94:95], null, v[92:93], v[92:93], v[90:91]
	v_div_scale_f64 v[100:101], vcc_lo, v[90:91], v[92:93], v[90:91]
	v_rcp_f64_e32 v[96:97], v[94:95]
	v_fma_f64 v[98:99], -v[94:95], v[96:97], 1.0
	v_fma_f64 v[96:97], v[96:97], v[98:99], v[96:97]
	v_fma_f64 v[98:99], -v[94:95], v[96:97], 1.0
	v_fma_f64 v[96:97], v[96:97], v[98:99], v[96:97]
	v_mul_f64 v[98:99], v[100:101], v[96:97]
	v_fma_f64 v[94:95], -v[94:95], v[98:99], v[100:101]
	v_div_fmas_f64 v[94:95], v[94:95], v[96:97], v[98:99]
	v_div_fixup_f64 v[94:95], v[94:95], v[92:93], v[90:91]
	v_fma_f64 v[90:91], v[90:91], v[94:95], v[92:93]
	v_div_scale_f64 v[92:93], null, v[90:91], v[90:91], 1.0
	v_rcp_f64_e32 v[96:97], v[92:93]
	v_fma_f64 v[98:99], -v[92:93], v[96:97], 1.0
	v_fma_f64 v[96:97], v[96:97], v[98:99], v[96:97]
	v_fma_f64 v[98:99], -v[92:93], v[96:97], 1.0
	v_fma_f64 v[96:97], v[96:97], v[98:99], v[96:97]
	v_div_scale_f64 v[98:99], vcc_lo, 1.0, v[90:91], 1.0
	v_mul_f64 v[100:101], v[98:99], v[96:97]
	v_fma_f64 v[92:93], -v[92:93], v[100:101], v[98:99]
	v_div_fmas_f64 v[92:93], v[92:93], v[96:97], v[100:101]
	v_div_fixup_f64 v[96:97], v[92:93], v[90:91], 1.0
                                        ; implicit-def: $vgpr90_vgpr91
	v_mul_f64 v[94:95], v[94:95], v[96:97]
	v_xor_b32_e32 v97, 0x80000000, v97
.LBB25_86:
	s_andn2_saveexec_b32 s1, s1
	s_cbranch_execz .LBB25_88
; %bb.87:
	v_div_scale_f64 v[94:95], null, v[90:91], v[90:91], v[92:93]
	v_div_scale_f64 v[100:101], vcc_lo, v[92:93], v[90:91], v[92:93]
	v_rcp_f64_e32 v[96:97], v[94:95]
	v_fma_f64 v[98:99], -v[94:95], v[96:97], 1.0
	v_fma_f64 v[96:97], v[96:97], v[98:99], v[96:97]
	v_fma_f64 v[98:99], -v[94:95], v[96:97], 1.0
	v_fma_f64 v[96:97], v[96:97], v[98:99], v[96:97]
	v_mul_f64 v[98:99], v[100:101], v[96:97]
	v_fma_f64 v[94:95], -v[94:95], v[98:99], v[100:101]
	v_div_fmas_f64 v[94:95], v[94:95], v[96:97], v[98:99]
	v_div_fixup_f64 v[96:97], v[94:95], v[90:91], v[92:93]
	v_fma_f64 v[90:91], v[92:93], v[96:97], v[90:91]
	v_div_scale_f64 v[92:93], null, v[90:91], v[90:91], 1.0
	v_rcp_f64_e32 v[94:95], v[92:93]
	v_fma_f64 v[98:99], -v[92:93], v[94:95], 1.0
	v_fma_f64 v[94:95], v[94:95], v[98:99], v[94:95]
	v_fma_f64 v[98:99], -v[92:93], v[94:95], 1.0
	v_fma_f64 v[94:95], v[94:95], v[98:99], v[94:95]
	v_div_scale_f64 v[98:99], vcc_lo, 1.0, v[90:91], 1.0
	v_mul_f64 v[100:101], v[98:99], v[94:95]
	v_fma_f64 v[92:93], -v[92:93], v[100:101], v[98:99]
	v_div_fmas_f64 v[92:93], v[92:93], v[94:95], v[100:101]
	v_div_fixup_f64 v[94:95], v[92:93], v[90:91], 1.0
	v_mul_f64 v[96:97], v[96:97], -v[94:95]
.LBB25_88:
	s_or_b32 exec_lo, exec_lo, s1
	ds_write2_b64 v1, v[94:95], v[96:97] offset1:1
.LBB25_89:
	s_or_b32 exec_lo, exec_lo, s2
	s_waitcnt lgkmcnt(0)
	s_barrier
	buffer_gl0_inv
	ds_read2_b64 v[90:93], v1 offset1:1
	s_mov_b32 s1, exec_lo
	v_cmpx_lt_u32_e32 9, v0
	s_cbranch_execz .LBB25_91
; %bb.90:
	s_waitcnt lgkmcnt(0)
	v_mul_f64 v[94:95], v[90:91], v[40:41]
	v_mul_f64 v[40:41], v[92:93], v[40:41]
	v_fma_f64 v[98:99], v[92:93], v[38:39], v[94:95]
	ds_read2_b64 v[94:97], v134 offset0:20 offset1:21
	v_fma_f64 v[38:39], v[90:91], v[38:39], -v[40:41]
	s_waitcnt lgkmcnt(0)
	v_mul_f64 v[40:41], v[96:97], v[98:99]
	v_fma_f64 v[40:41], v[94:95], v[38:39], -v[40:41]
	v_mul_f64 v[94:95], v[94:95], v[98:99]
	v_add_f64 v[34:35], v[34:35], -v[40:41]
	v_fma_f64 v[94:95], v[96:97], v[38:39], v[94:95]
	v_add_f64 v[36:37], v[36:37], -v[94:95]
	ds_read2_b64 v[94:97], v134 offset0:22 offset1:23
	s_waitcnt lgkmcnt(0)
	v_mul_f64 v[40:41], v[96:97], v[98:99]
	v_fma_f64 v[40:41], v[94:95], v[38:39], -v[40:41]
	v_mul_f64 v[94:95], v[94:95], v[98:99]
	v_add_f64 v[30:31], v[30:31], -v[40:41]
	v_fma_f64 v[94:95], v[96:97], v[38:39], v[94:95]
	v_add_f64 v[32:33], v[32:33], -v[94:95]
	ds_read2_b64 v[94:97], v134 offset0:24 offset1:25
	s_waitcnt lgkmcnt(0)
	v_mul_f64 v[40:41], v[96:97], v[98:99]
	v_fma_f64 v[40:41], v[94:95], v[38:39], -v[40:41]
	v_mul_f64 v[94:95], v[94:95], v[98:99]
	v_add_f64 v[26:27], v[26:27], -v[40:41]
	v_fma_f64 v[94:95], v[96:97], v[38:39], v[94:95]
	v_mov_b32_e32 v40, v98
	v_mov_b32_e32 v41, v99
	v_add_f64 v[28:29], v[28:29], -v[94:95]
.LBB25_91:
	s_or_b32 exec_lo, exec_lo, s1
	s_mov_b32 s2, exec_lo
	s_waitcnt lgkmcnt(0)
	s_barrier
	buffer_gl0_inv
	v_cmpx_eq_u32_e32 10, v0
	s_cbranch_execz .LBB25_98
; %bb.92:
	ds_write2_b64 v1, v[34:35], v[36:37] offset1:1
	ds_write2_b64 v134, v[30:31], v[32:33] offset0:22 offset1:23
	ds_write2_b64 v134, v[26:27], v[28:29] offset0:24 offset1:25
	ds_read2_b64 v[94:97], v1 offset1:1
	s_waitcnt lgkmcnt(0)
	v_cmp_neq_f64_e32 vcc_lo, 0, v[94:95]
	v_cmp_neq_f64_e64 s1, 0, v[96:97]
	s_or_b32 s1, vcc_lo, s1
	s_and_b32 exec_lo, exec_lo, s1
	s_cbranch_execz .LBB25_98
; %bb.93:
	v_cmp_ngt_f64_e64 s1, |v[94:95]|, |v[96:97]|
                                        ; implicit-def: $vgpr98_vgpr99
	s_and_saveexec_b32 s3, s1
	s_xor_b32 s1, exec_lo, s3
                                        ; implicit-def: $vgpr100_vgpr101
	s_cbranch_execz .LBB25_95
; %bb.94:
	v_div_scale_f64 v[98:99], null, v[96:97], v[96:97], v[94:95]
	v_div_scale_f64 v[104:105], vcc_lo, v[94:95], v[96:97], v[94:95]
	v_rcp_f64_e32 v[100:101], v[98:99]
	v_fma_f64 v[102:103], -v[98:99], v[100:101], 1.0
	v_fma_f64 v[100:101], v[100:101], v[102:103], v[100:101]
	v_fma_f64 v[102:103], -v[98:99], v[100:101], 1.0
	v_fma_f64 v[100:101], v[100:101], v[102:103], v[100:101]
	v_mul_f64 v[102:103], v[104:105], v[100:101]
	v_fma_f64 v[98:99], -v[98:99], v[102:103], v[104:105]
	v_div_fmas_f64 v[98:99], v[98:99], v[100:101], v[102:103]
	v_div_fixup_f64 v[98:99], v[98:99], v[96:97], v[94:95]
	v_fma_f64 v[94:95], v[94:95], v[98:99], v[96:97]
	v_div_scale_f64 v[96:97], null, v[94:95], v[94:95], 1.0
	v_rcp_f64_e32 v[100:101], v[96:97]
	v_fma_f64 v[102:103], -v[96:97], v[100:101], 1.0
	v_fma_f64 v[100:101], v[100:101], v[102:103], v[100:101]
	v_fma_f64 v[102:103], -v[96:97], v[100:101], 1.0
	v_fma_f64 v[100:101], v[100:101], v[102:103], v[100:101]
	v_div_scale_f64 v[102:103], vcc_lo, 1.0, v[94:95], 1.0
	v_mul_f64 v[104:105], v[102:103], v[100:101]
	v_fma_f64 v[96:97], -v[96:97], v[104:105], v[102:103]
	v_div_fmas_f64 v[96:97], v[96:97], v[100:101], v[104:105]
	v_div_fixup_f64 v[100:101], v[96:97], v[94:95], 1.0
                                        ; implicit-def: $vgpr94_vgpr95
	v_mul_f64 v[98:99], v[98:99], v[100:101]
	v_xor_b32_e32 v101, 0x80000000, v101
.LBB25_95:
	s_andn2_saveexec_b32 s1, s1
	s_cbranch_execz .LBB25_97
; %bb.96:
	v_div_scale_f64 v[98:99], null, v[94:95], v[94:95], v[96:97]
	v_div_scale_f64 v[104:105], vcc_lo, v[96:97], v[94:95], v[96:97]
	v_rcp_f64_e32 v[100:101], v[98:99]
	v_fma_f64 v[102:103], -v[98:99], v[100:101], 1.0
	v_fma_f64 v[100:101], v[100:101], v[102:103], v[100:101]
	v_fma_f64 v[102:103], -v[98:99], v[100:101], 1.0
	v_fma_f64 v[100:101], v[100:101], v[102:103], v[100:101]
	v_mul_f64 v[102:103], v[104:105], v[100:101]
	v_fma_f64 v[98:99], -v[98:99], v[102:103], v[104:105]
	v_div_fmas_f64 v[98:99], v[98:99], v[100:101], v[102:103]
	v_div_fixup_f64 v[100:101], v[98:99], v[94:95], v[96:97]
	v_fma_f64 v[94:95], v[96:97], v[100:101], v[94:95]
	v_div_scale_f64 v[96:97], null, v[94:95], v[94:95], 1.0
	v_rcp_f64_e32 v[98:99], v[96:97]
	v_fma_f64 v[102:103], -v[96:97], v[98:99], 1.0
	v_fma_f64 v[98:99], v[98:99], v[102:103], v[98:99]
	v_fma_f64 v[102:103], -v[96:97], v[98:99], 1.0
	v_fma_f64 v[98:99], v[98:99], v[102:103], v[98:99]
	v_div_scale_f64 v[102:103], vcc_lo, 1.0, v[94:95], 1.0
	v_mul_f64 v[104:105], v[102:103], v[98:99]
	v_fma_f64 v[96:97], -v[96:97], v[104:105], v[102:103]
	v_div_fmas_f64 v[96:97], v[96:97], v[98:99], v[104:105]
	v_div_fixup_f64 v[98:99], v[96:97], v[94:95], 1.0
	v_mul_f64 v[100:101], v[100:101], -v[98:99]
.LBB25_97:
	s_or_b32 exec_lo, exec_lo, s1
	ds_write2_b64 v1, v[98:99], v[100:101] offset1:1
.LBB25_98:
	s_or_b32 exec_lo, exec_lo, s2
	s_waitcnt lgkmcnt(0)
	s_barrier
	buffer_gl0_inv
	ds_read2_b64 v[94:97], v1 offset1:1
	s_mov_b32 s1, exec_lo
	v_cmpx_lt_u32_e32 10, v0
	s_cbranch_execz .LBB25_100
; %bb.99:
	s_waitcnt lgkmcnt(0)
	v_mul_f64 v[98:99], v[94:95], v[36:37]
	v_mul_f64 v[36:37], v[96:97], v[36:37]
	v_fma_f64 v[102:103], v[96:97], v[34:35], v[98:99]
	ds_read2_b64 v[98:101], v134 offset0:22 offset1:23
	v_fma_f64 v[34:35], v[94:95], v[34:35], -v[36:37]
	s_waitcnt lgkmcnt(0)
	v_mul_f64 v[36:37], v[100:101], v[102:103]
	v_fma_f64 v[36:37], v[98:99], v[34:35], -v[36:37]
	v_mul_f64 v[98:99], v[98:99], v[102:103]
	v_add_f64 v[30:31], v[30:31], -v[36:37]
	v_fma_f64 v[98:99], v[100:101], v[34:35], v[98:99]
	v_add_f64 v[32:33], v[32:33], -v[98:99]
	ds_read2_b64 v[98:101], v134 offset0:24 offset1:25
	s_waitcnt lgkmcnt(0)
	v_mul_f64 v[36:37], v[100:101], v[102:103]
	v_fma_f64 v[36:37], v[98:99], v[34:35], -v[36:37]
	v_mul_f64 v[98:99], v[98:99], v[102:103]
	v_add_f64 v[26:27], v[26:27], -v[36:37]
	v_fma_f64 v[98:99], v[100:101], v[34:35], v[98:99]
	v_mov_b32_e32 v36, v102
	v_mov_b32_e32 v37, v103
	v_add_f64 v[28:29], v[28:29], -v[98:99]
.LBB25_100:
	s_or_b32 exec_lo, exec_lo, s1
	s_mov_b32 s2, exec_lo
	s_waitcnt lgkmcnt(0)
	s_barrier
	buffer_gl0_inv
	v_cmpx_eq_u32_e32 11, v0
	s_cbranch_execz .LBB25_107
; %bb.101:
	ds_write2_b64 v1, v[30:31], v[32:33] offset1:1
	ds_write2_b64 v134, v[26:27], v[28:29] offset0:24 offset1:25
	ds_read2_b64 v[98:101], v1 offset1:1
	s_waitcnt lgkmcnt(0)
	v_cmp_neq_f64_e32 vcc_lo, 0, v[98:99]
	v_cmp_neq_f64_e64 s1, 0, v[100:101]
	s_or_b32 s1, vcc_lo, s1
	s_and_b32 exec_lo, exec_lo, s1
	s_cbranch_execz .LBB25_107
; %bb.102:
	v_cmp_ngt_f64_e64 s1, |v[98:99]|, |v[100:101]|
                                        ; implicit-def: $vgpr102_vgpr103
	s_and_saveexec_b32 s3, s1
	s_xor_b32 s1, exec_lo, s3
                                        ; implicit-def: $vgpr104_vgpr105
	s_cbranch_execz .LBB25_104
; %bb.103:
	v_div_scale_f64 v[102:103], null, v[100:101], v[100:101], v[98:99]
	v_div_scale_f64 v[137:138], vcc_lo, v[98:99], v[100:101], v[98:99]
	v_rcp_f64_e32 v[104:105], v[102:103]
	v_fma_f64 v[135:136], -v[102:103], v[104:105], 1.0
	v_fma_f64 v[104:105], v[104:105], v[135:136], v[104:105]
	v_fma_f64 v[135:136], -v[102:103], v[104:105], 1.0
	v_fma_f64 v[104:105], v[104:105], v[135:136], v[104:105]
	v_mul_f64 v[135:136], v[137:138], v[104:105]
	v_fma_f64 v[102:103], -v[102:103], v[135:136], v[137:138]
	v_div_fmas_f64 v[102:103], v[102:103], v[104:105], v[135:136]
	v_div_fixup_f64 v[102:103], v[102:103], v[100:101], v[98:99]
	v_fma_f64 v[98:99], v[98:99], v[102:103], v[100:101]
	v_div_scale_f64 v[100:101], null, v[98:99], v[98:99], 1.0
	v_rcp_f64_e32 v[104:105], v[100:101]
	v_fma_f64 v[135:136], -v[100:101], v[104:105], 1.0
	v_fma_f64 v[104:105], v[104:105], v[135:136], v[104:105]
	v_fma_f64 v[135:136], -v[100:101], v[104:105], 1.0
	v_fma_f64 v[104:105], v[104:105], v[135:136], v[104:105]
	v_div_scale_f64 v[135:136], vcc_lo, 1.0, v[98:99], 1.0
	v_mul_f64 v[137:138], v[135:136], v[104:105]
	v_fma_f64 v[100:101], -v[100:101], v[137:138], v[135:136]
	v_div_fmas_f64 v[100:101], v[100:101], v[104:105], v[137:138]
	v_div_fixup_f64 v[104:105], v[100:101], v[98:99], 1.0
                                        ; implicit-def: $vgpr98_vgpr99
	v_mul_f64 v[102:103], v[102:103], v[104:105]
	v_xor_b32_e32 v105, 0x80000000, v105
.LBB25_104:
	s_andn2_saveexec_b32 s1, s1
	s_cbranch_execz .LBB25_106
; %bb.105:
	v_div_scale_f64 v[102:103], null, v[98:99], v[98:99], v[100:101]
	v_div_scale_f64 v[137:138], vcc_lo, v[100:101], v[98:99], v[100:101]
	v_rcp_f64_e32 v[104:105], v[102:103]
	v_fma_f64 v[135:136], -v[102:103], v[104:105], 1.0
	v_fma_f64 v[104:105], v[104:105], v[135:136], v[104:105]
	v_fma_f64 v[135:136], -v[102:103], v[104:105], 1.0
	v_fma_f64 v[104:105], v[104:105], v[135:136], v[104:105]
	v_mul_f64 v[135:136], v[137:138], v[104:105]
	v_fma_f64 v[102:103], -v[102:103], v[135:136], v[137:138]
	v_div_fmas_f64 v[102:103], v[102:103], v[104:105], v[135:136]
	v_div_fixup_f64 v[104:105], v[102:103], v[98:99], v[100:101]
	v_fma_f64 v[98:99], v[100:101], v[104:105], v[98:99]
	v_div_scale_f64 v[100:101], null, v[98:99], v[98:99], 1.0
	v_rcp_f64_e32 v[102:103], v[100:101]
	v_fma_f64 v[135:136], -v[100:101], v[102:103], 1.0
	v_fma_f64 v[102:103], v[102:103], v[135:136], v[102:103]
	v_fma_f64 v[135:136], -v[100:101], v[102:103], 1.0
	v_fma_f64 v[102:103], v[102:103], v[135:136], v[102:103]
	v_div_scale_f64 v[135:136], vcc_lo, 1.0, v[98:99], 1.0
	v_mul_f64 v[137:138], v[135:136], v[102:103]
	v_fma_f64 v[100:101], -v[100:101], v[137:138], v[135:136]
	v_div_fmas_f64 v[100:101], v[100:101], v[102:103], v[137:138]
	v_div_fixup_f64 v[102:103], v[100:101], v[98:99], 1.0
	v_mul_f64 v[104:105], v[104:105], -v[102:103]
.LBB25_106:
	s_or_b32 exec_lo, exec_lo, s1
	ds_write2_b64 v1, v[102:103], v[104:105] offset1:1
.LBB25_107:
	s_or_b32 exec_lo, exec_lo, s2
	s_waitcnt lgkmcnt(0)
	s_barrier
	buffer_gl0_inv
	ds_read2_b64 v[98:101], v1 offset1:1
	s_mov_b32 s1, exec_lo
	v_cmpx_lt_u32_e32 11, v0
	s_cbranch_execz .LBB25_109
; %bb.108:
	s_waitcnt lgkmcnt(0)
	v_mul_f64 v[102:103], v[98:99], v[32:33]
	v_mul_f64 v[32:33], v[100:101], v[32:33]
	v_fma_f64 v[135:136], v[100:101], v[30:31], v[102:103]
	ds_read2_b64 v[102:105], v134 offset0:24 offset1:25
	v_fma_f64 v[30:31], v[98:99], v[30:31], -v[32:33]
	s_waitcnt lgkmcnt(0)
	v_mul_f64 v[32:33], v[104:105], v[135:136]
	v_mul_f64 v[137:138], v[102:103], v[135:136]
	v_fma_f64 v[32:33], v[102:103], v[30:31], -v[32:33]
	v_fma_f64 v[102:103], v[104:105], v[30:31], v[137:138]
	v_add_f64 v[26:27], v[26:27], -v[32:33]
	v_add_f64 v[28:29], v[28:29], -v[102:103]
	v_mov_b32_e32 v32, v135
	v_mov_b32_e32 v33, v136
.LBB25_109:
	s_or_b32 exec_lo, exec_lo, s1
	s_mov_b32 s2, exec_lo
	s_waitcnt lgkmcnt(0)
	s_barrier
	buffer_gl0_inv
	v_cmpx_eq_u32_e32 12, v0
	s_cbranch_execz .LBB25_116
; %bb.110:
	v_cmp_neq_f64_e32 vcc_lo, 0, v[26:27]
	v_cmp_neq_f64_e64 s1, 0, v[28:29]
	ds_write2_b64 v1, v[26:27], v[28:29] offset1:1
	s_or_b32 s1, vcc_lo, s1
	s_and_b32 exec_lo, exec_lo, s1
	s_cbranch_execz .LBB25_116
; %bb.111:
	v_cmp_ngt_f64_e64 s1, |v[26:27]|, |v[28:29]|
                                        ; implicit-def: $vgpr102_vgpr103
	s_and_saveexec_b32 s3, s1
	s_xor_b32 s1, exec_lo, s3
                                        ; implicit-def: $vgpr104_vgpr105
	s_cbranch_execz .LBB25_113
; %bb.112:
	v_div_scale_f64 v[102:103], null, v[28:29], v[28:29], v[26:27]
	v_div_scale_f64 v[136:137], vcc_lo, v[26:27], v[28:29], v[26:27]
	v_rcp_f64_e32 v[104:105], v[102:103]
	v_fma_f64 v[134:135], -v[102:103], v[104:105], 1.0
	v_fma_f64 v[104:105], v[104:105], v[134:135], v[104:105]
	v_fma_f64 v[134:135], -v[102:103], v[104:105], 1.0
	v_fma_f64 v[104:105], v[104:105], v[134:135], v[104:105]
	v_mul_f64 v[134:135], v[136:137], v[104:105]
	v_fma_f64 v[102:103], -v[102:103], v[134:135], v[136:137]
	v_div_fmas_f64 v[102:103], v[102:103], v[104:105], v[134:135]
	v_div_fixup_f64 v[102:103], v[102:103], v[28:29], v[26:27]
	v_fma_f64 v[104:105], v[26:27], v[102:103], v[28:29]
	v_div_scale_f64 v[134:135], null, v[104:105], v[104:105], 1.0
	v_rcp_f64_e32 v[136:137], v[134:135]
	v_fma_f64 v[138:139], -v[134:135], v[136:137], 1.0
	v_fma_f64 v[136:137], v[136:137], v[138:139], v[136:137]
	v_fma_f64 v[138:139], -v[134:135], v[136:137], 1.0
	v_fma_f64 v[136:137], v[136:137], v[138:139], v[136:137]
	v_div_scale_f64 v[138:139], vcc_lo, 1.0, v[104:105], 1.0
	v_mul_f64 v[140:141], v[138:139], v[136:137]
	v_fma_f64 v[134:135], -v[134:135], v[140:141], v[138:139]
	v_div_fmas_f64 v[134:135], v[134:135], v[136:137], v[140:141]
	v_div_fixup_f64 v[104:105], v[134:135], v[104:105], 1.0
	v_mul_f64 v[102:103], v[102:103], v[104:105]
	v_xor_b32_e32 v105, 0x80000000, v105
.LBB25_113:
	s_andn2_saveexec_b32 s1, s1
	s_cbranch_execz .LBB25_115
; %bb.114:
	v_div_scale_f64 v[102:103], null, v[26:27], v[26:27], v[28:29]
	v_div_scale_f64 v[136:137], vcc_lo, v[28:29], v[26:27], v[28:29]
	v_rcp_f64_e32 v[104:105], v[102:103]
	v_fma_f64 v[134:135], -v[102:103], v[104:105], 1.0
	v_fma_f64 v[104:105], v[104:105], v[134:135], v[104:105]
	v_fma_f64 v[134:135], -v[102:103], v[104:105], 1.0
	v_fma_f64 v[104:105], v[104:105], v[134:135], v[104:105]
	v_mul_f64 v[134:135], v[136:137], v[104:105]
	v_fma_f64 v[102:103], -v[102:103], v[134:135], v[136:137]
	v_div_fmas_f64 v[102:103], v[102:103], v[104:105], v[134:135]
	v_div_fixup_f64 v[104:105], v[102:103], v[26:27], v[28:29]
	v_fma_f64 v[102:103], v[28:29], v[104:105], v[26:27]
	v_div_scale_f64 v[134:135], null, v[102:103], v[102:103], 1.0
	v_rcp_f64_e32 v[136:137], v[134:135]
	v_fma_f64 v[138:139], -v[134:135], v[136:137], 1.0
	v_fma_f64 v[136:137], v[136:137], v[138:139], v[136:137]
	v_fma_f64 v[138:139], -v[134:135], v[136:137], 1.0
	v_fma_f64 v[136:137], v[136:137], v[138:139], v[136:137]
	v_div_scale_f64 v[138:139], vcc_lo, 1.0, v[102:103], 1.0
	v_mul_f64 v[140:141], v[138:139], v[136:137]
	v_fma_f64 v[134:135], -v[134:135], v[140:141], v[138:139]
	v_div_fmas_f64 v[134:135], v[134:135], v[136:137], v[140:141]
	v_div_fixup_f64 v[102:103], v[134:135], v[102:103], 1.0
	v_mul_f64 v[104:105], v[104:105], -v[102:103]
.LBB25_115:
	s_or_b32 exec_lo, exec_lo, s1
	ds_write2_b64 v1, v[102:103], v[104:105] offset1:1
.LBB25_116:
	s_or_b32 exec_lo, exec_lo, s2
	s_waitcnt lgkmcnt(0)
	s_barrier
	buffer_gl0_inv
	ds_read2_b64 v[102:105], v1 offset1:1
	s_mov_b32 s1, exec_lo
	v_cmpx_lt_u32_e32 12, v0
	s_cbranch_execz .LBB25_118
; %bb.117:
	s_waitcnt lgkmcnt(0)
	v_mul_f64 v[0:1], v[104:105], v[28:29]
	v_mul_f64 v[28:29], v[102:103], v[28:29]
	v_fma_f64 v[0:1], v[102:103], v[26:27], -v[0:1]
	v_fma_f64 v[28:29], v[104:105], v[26:27], v[28:29]
	v_mov_b32_e32 v27, v1
	v_mov_b32_e32 v26, v0
.LBB25_118:
	s_or_b32 exec_lo, exec_lo, s1
	s_waitcnt lgkmcnt(0)
	s_barrier
	buffer_gl0_inv
	s_and_saveexec_b32 s6, s0
	s_cbranch_execz .LBB25_121
; %bb.119:
	v_lshlrev_b64 v[0:1], 2, v[118:119]
	v_cmp_eq_f64_e64 s0, 0, v[56:57]
	v_cmp_neq_f64_e64 s1, 0, v[58:59]
	v_cmp_neq_f64_e64 s2, 0, v[60:61]
	v_cmp_eq_f64_e64 s3, 0, v[62:63]
	v_cmp_eq_f64_e64 s4, 0, v[64:65]
	v_add_co_u32 v0, vcc_lo, s10, v0
	v_add_co_ci_u32_e64 v1, null, s11, v1, vcc_lo
	v_cmp_eq_f64_e32 vcc_lo, 0, v[54:55]
	v_cmp_eq_f64_e64 s5, 0, v[66:67]
	global_load_dword v118, v[0:1], off
	s_or_b32 s1, s1, s2
	v_cmp_eq_f64_e64 s2, 0, v[72:73]
	s_and_b32 s3, s3, s4
	v_cmp_eq_f64_e64 s4, 0, v[76:77]
	s_and_b32 s0, vcc_lo, s0
	v_cmp_eq_f64_e32 vcc_lo, 0, v[68:69]
	v_cndmask_b32_e64 v54, 0, 1, s0
	s_or_b32 s0, s1, s0
	v_cmp_eq_f64_e64 s1, 0, v[70:71]
	v_cndmask_b32_e64 v54, 2, v54, s0
	v_cmp_eq_u32_e64 s0, 0, v54
	s_and_b32 s0, s3, s0
	v_cmp_eq_f64_e64 s3, 0, v[74:75]
	v_cndmask_b32_e64 v54, v54, 3, s0
	s_and_b32 s5, s5, vcc_lo
	v_cmp_eq_u32_e64 s0, 0, v54
	s_and_b32 s1, s1, s2
	v_cmp_eq_f64_e64 s2, 0, v[84:85]
	s_and_b32 s0, s5, s0
	v_cmp_eq_f64_e64 s5, 0, v[80:81]
	v_cndmask_b32_e64 v54, v54, 4, s0
	v_cmp_eq_f64_e64 s0, 0, v[78:79]
	v_cmp_eq_u32_e32 vcc_lo, 0, v54
	s_and_b32 s3, s3, s4
	s_and_b32 s1, s1, vcc_lo
	v_cmp_eq_f64_e64 s4, 0, v[88:89]
	v_cndmask_b32_e64 v54, v54, 5, s1
	v_cmp_eq_f64_e64 s1, 0, v[82:83]
	v_cmp_eq_u32_e32 vcc_lo, 0, v54
	s_and_b32 s3, s3, vcc_lo
	s_and_b32 s0, s0, s5
	v_cndmask_b32_e64 v54, v54, 6, s3
	v_cmp_eq_f64_e64 s3, 0, v[86:87]
	v_cmp_eq_f64_e64 s5, 0, v[92:93]
	v_cmp_eq_u32_e32 vcc_lo, 0, v54
	s_and_b32 s0, s0, vcc_lo
	s_and_b32 s1, s1, s2
	v_cndmask_b32_e64 v54, v54, 7, s0
	v_cmp_eq_f64_e64 s0, 0, v[90:91]
	;; [unrolled: 6-line block ×5, first 2 shown]
	v_cmp_eq_u32_e32 vcc_lo, 0, v54
	s_and_b32 s1, s1, vcc_lo
	v_cndmask_b32_e64 v54, v54, 11, s1
	s_and_b32 s1, s3, s4
	v_cmp_eq_u32_e32 vcc_lo, 0, v54
	s_and_b32 s1, s1, vcc_lo
	s_and_b32 s0, s0, s5
	v_cndmask_b32_e64 v54, v54, 12, s1
	v_cmp_eq_u32_e32 vcc_lo, 0, v54
	s_and_b32 s0, s0, vcc_lo
	v_cndmask_b32_e64 v54, v54, 13, s0
	v_cmp_ne_u32_e64 s0, 0, v54
	s_waitcnt vmcnt(0)
	v_cmp_eq_u32_e32 vcc_lo, 0, v118
	s_and_b32 s0, vcc_lo, s0
	s_and_b32 exec_lo, exec_lo, s0
	s_cbranch_execz .LBB25_121
; %bb.120:
	v_add_nc_u32_e32 v54, s13, v54
	global_store_dword v[0:1], v54, off
.LBB25_121:
	s_or_b32 exec_lo, exec_lo, s6
	global_store_dwordx4 v[112:113], v[14:17], off
	global_store_dwordx4 v[114:115], v[10:13], off
	;; [unrolled: 1-line block ×13, first 2 shown]
.LBB25_122:
	s_endpgm
	.section	.rodata,"a",@progbits
	.p2align	6, 0x0
	.amdhsa_kernel _ZN9rocsolver6v33100L23getf2_npvt_small_kernelILi13E19rocblas_complex_numIdEiiPS3_EEvT1_T3_lS5_lPT2_S5_S5_
		.amdhsa_group_segment_fixed_size 0
		.amdhsa_private_segment_fixed_size 0
		.amdhsa_kernarg_size 312
		.amdhsa_user_sgpr_count 6
		.amdhsa_user_sgpr_private_segment_buffer 1
		.amdhsa_user_sgpr_dispatch_ptr 0
		.amdhsa_user_sgpr_queue_ptr 0
		.amdhsa_user_sgpr_kernarg_segment_ptr 1
		.amdhsa_user_sgpr_dispatch_id 0
		.amdhsa_user_sgpr_flat_scratch_init 0
		.amdhsa_user_sgpr_private_segment_size 0
		.amdhsa_wavefront_size32 1
		.amdhsa_uses_dynamic_stack 0
		.amdhsa_system_sgpr_private_segment_wavefront_offset 0
		.amdhsa_system_sgpr_workgroup_id_x 1
		.amdhsa_system_sgpr_workgroup_id_y 1
		.amdhsa_system_sgpr_workgroup_id_z 0
		.amdhsa_system_sgpr_workgroup_info 0
		.amdhsa_system_vgpr_workitem_id 1
		.amdhsa_next_free_vgpr 142
		.amdhsa_next_free_sgpr 15
		.amdhsa_reserve_vcc 1
		.amdhsa_reserve_flat_scratch 0
		.amdhsa_float_round_mode_32 0
		.amdhsa_float_round_mode_16_64 0
		.amdhsa_float_denorm_mode_32 3
		.amdhsa_float_denorm_mode_16_64 3
		.amdhsa_dx10_clamp 1
		.amdhsa_ieee_mode 1
		.amdhsa_fp16_overflow 0
		.amdhsa_workgroup_processor_mode 1
		.amdhsa_memory_ordered 1
		.amdhsa_forward_progress 1
		.amdhsa_shared_vgpr_count 0
		.amdhsa_exception_fp_ieee_invalid_op 0
		.amdhsa_exception_fp_denorm_src 0
		.amdhsa_exception_fp_ieee_div_zero 0
		.amdhsa_exception_fp_ieee_overflow 0
		.amdhsa_exception_fp_ieee_underflow 0
		.amdhsa_exception_fp_ieee_inexact 0
		.amdhsa_exception_int_div_zero 0
	.end_amdhsa_kernel
	.section	.text._ZN9rocsolver6v33100L23getf2_npvt_small_kernelILi13E19rocblas_complex_numIdEiiPS3_EEvT1_T3_lS5_lPT2_S5_S5_,"axG",@progbits,_ZN9rocsolver6v33100L23getf2_npvt_small_kernelILi13E19rocblas_complex_numIdEiiPS3_EEvT1_T3_lS5_lPT2_S5_S5_,comdat
.Lfunc_end25:
	.size	_ZN9rocsolver6v33100L23getf2_npvt_small_kernelILi13E19rocblas_complex_numIdEiiPS3_EEvT1_T3_lS5_lPT2_S5_S5_, .Lfunc_end25-_ZN9rocsolver6v33100L23getf2_npvt_small_kernelILi13E19rocblas_complex_numIdEiiPS3_EEvT1_T3_lS5_lPT2_S5_S5_
                                        ; -- End function
	.set _ZN9rocsolver6v33100L23getf2_npvt_small_kernelILi13E19rocblas_complex_numIdEiiPS3_EEvT1_T3_lS5_lPT2_S5_S5_.num_vgpr, 142
	.set _ZN9rocsolver6v33100L23getf2_npvt_small_kernelILi13E19rocblas_complex_numIdEiiPS3_EEvT1_T3_lS5_lPT2_S5_S5_.num_agpr, 0
	.set _ZN9rocsolver6v33100L23getf2_npvt_small_kernelILi13E19rocblas_complex_numIdEiiPS3_EEvT1_T3_lS5_lPT2_S5_S5_.numbered_sgpr, 15
	.set _ZN9rocsolver6v33100L23getf2_npvt_small_kernelILi13E19rocblas_complex_numIdEiiPS3_EEvT1_T3_lS5_lPT2_S5_S5_.num_named_barrier, 0
	.set _ZN9rocsolver6v33100L23getf2_npvt_small_kernelILi13E19rocblas_complex_numIdEiiPS3_EEvT1_T3_lS5_lPT2_S5_S5_.private_seg_size, 0
	.set _ZN9rocsolver6v33100L23getf2_npvt_small_kernelILi13E19rocblas_complex_numIdEiiPS3_EEvT1_T3_lS5_lPT2_S5_S5_.uses_vcc, 1
	.set _ZN9rocsolver6v33100L23getf2_npvt_small_kernelILi13E19rocblas_complex_numIdEiiPS3_EEvT1_T3_lS5_lPT2_S5_S5_.uses_flat_scratch, 0
	.set _ZN9rocsolver6v33100L23getf2_npvt_small_kernelILi13E19rocblas_complex_numIdEiiPS3_EEvT1_T3_lS5_lPT2_S5_S5_.has_dyn_sized_stack, 0
	.set _ZN9rocsolver6v33100L23getf2_npvt_small_kernelILi13E19rocblas_complex_numIdEiiPS3_EEvT1_T3_lS5_lPT2_S5_S5_.has_recursion, 0
	.set _ZN9rocsolver6v33100L23getf2_npvt_small_kernelILi13E19rocblas_complex_numIdEiiPS3_EEvT1_T3_lS5_lPT2_S5_S5_.has_indirect_call, 0
	.section	.AMDGPU.csdata,"",@progbits
; Kernel info:
; codeLenInByte = 14188
; TotalNumSgprs: 17
; NumVgprs: 142
; ScratchSize: 0
; MemoryBound: 0
; FloatMode: 240
; IeeeMode: 1
; LDSByteSize: 0 bytes/workgroup (compile time only)
; SGPRBlocks: 0
; VGPRBlocks: 17
; NumSGPRsForWavesPerEU: 17
; NumVGPRsForWavesPerEU: 142
; Occupancy: 7
; WaveLimiterHint : 0
; COMPUTE_PGM_RSRC2:SCRATCH_EN: 0
; COMPUTE_PGM_RSRC2:USER_SGPR: 6
; COMPUTE_PGM_RSRC2:TRAP_HANDLER: 0
; COMPUTE_PGM_RSRC2:TGID_X_EN: 1
; COMPUTE_PGM_RSRC2:TGID_Y_EN: 1
; COMPUTE_PGM_RSRC2:TGID_Z_EN: 0
; COMPUTE_PGM_RSRC2:TIDIG_COMP_CNT: 1
	.section	.text._ZN9rocsolver6v33100L18getf2_small_kernelILi14E19rocblas_complex_numIdEiiPS3_EEvT1_T3_lS5_lPS5_llPT2_S5_S5_S7_l,"axG",@progbits,_ZN9rocsolver6v33100L18getf2_small_kernelILi14E19rocblas_complex_numIdEiiPS3_EEvT1_T3_lS5_lPS5_llPT2_S5_S5_S7_l,comdat
	.globl	_ZN9rocsolver6v33100L18getf2_small_kernelILi14E19rocblas_complex_numIdEiiPS3_EEvT1_T3_lS5_lPS5_llPT2_S5_S5_S7_l ; -- Begin function _ZN9rocsolver6v33100L18getf2_small_kernelILi14E19rocblas_complex_numIdEiiPS3_EEvT1_T3_lS5_lPS5_llPT2_S5_S5_S7_l
	.p2align	8
	.type	_ZN9rocsolver6v33100L18getf2_small_kernelILi14E19rocblas_complex_numIdEiiPS3_EEvT1_T3_lS5_lPS5_llPT2_S5_S5_S7_l,@function
_ZN9rocsolver6v33100L18getf2_small_kernelILi14E19rocblas_complex_numIdEiiPS3_EEvT1_T3_lS5_lPS5_llPT2_S5_S5_S7_l: ; @_ZN9rocsolver6v33100L18getf2_small_kernelILi14E19rocblas_complex_numIdEiiPS3_EEvT1_T3_lS5_lPS5_llPT2_S5_S5_S7_l
; %bb.0:
	s_clause 0x1
	s_load_dword s0, s[4:5], 0x6c
	s_load_dwordx2 s[16:17], s[4:5], 0x48
	s_waitcnt lgkmcnt(0)
	s_lshr_b32 s0, s0, 16
	v_mad_u64_u32 v[62:63], null, s7, s0, v[1:2]
	s_mov_b32 s0, exec_lo
	v_cmpx_gt_i32_e64 s16, v62
	s_cbranch_execz .LBB26_297
; %bb.1:
	s_load_dwordx4 s[0:3], s[4:5], 0x50
	v_mov_b32_e32 v64, 0
	v_ashrrev_i32_e32 v63, 31, v62
	v_mov_b32_e32 v65, 0
	s_waitcnt lgkmcnt(0)
	s_cmp_eq_u64 s[0:1], 0
	s_cselect_b32 s16, -1, 0
	s_and_b32 vcc_lo, exec_lo, s16
	s_cbranch_vccnz .LBB26_3
; %bb.2:
	v_mul_lo_u32 v4, s3, v62
	v_mul_lo_u32 v5, s2, v63
	v_mad_u64_u32 v[2:3], null, s2, v62, 0
	v_add3_u32 v3, v3, v5, v4
	v_lshlrev_b64 v[2:3], 2, v[2:3]
	v_add_co_u32 v64, vcc_lo, s0, v2
	v_add_co_ci_u32_e64 v65, null, s1, v3, vcc_lo
.LBB26_3:
	s_clause 0x2
	s_load_dwordx8 s[8:15], s[4:5], 0x20
	s_load_dword s6, s[4:5], 0x18
	s_load_dwordx4 s[0:3], s[4:5], 0x8
	v_lshlrev_b32_e32 v60, 4, v0
	s_clause 0x1
	s_load_dword s18, s[4:5], 0x0
	s_load_dwordx2 s[4:5], s[4:5], 0x40
	s_waitcnt lgkmcnt(0)
	v_mul_lo_u32 v5, s9, v62
	v_mul_lo_u32 v7, s8, v63
	v_mad_u64_u32 v[2:3], null, s8, v62, 0
	v_add3_u32 v4, s6, s6, v0
	s_lshl_b64 s[2:3], s[2:3], 4
	s_ashr_i32 s7, s6, 31
	s_lshl_b64 s[8:9], s[6:7], 4
	v_add_nc_u32_e32 v6, s6, v4
	v_add3_u32 v3, v3, v7, v5
	v_ashrrev_i32_e32 v5, 31, v4
	v_add_nc_u32_e32 v8, s6, v6
	v_lshlrev_b64 v[2:3], 4, v[2:3]
	v_ashrrev_i32_e32 v7, 31, v6
	v_lshlrev_b64 v[4:5], 4, v[4:5]
	v_add_nc_u32_e32 v10, s6, v8
	v_ashrrev_i32_e32 v9, 31, v8
	v_add_co_u32 v12, vcc_lo, s0, v2
	v_add_co_ci_u32_e64 v3, null, s1, v3, vcc_lo
	v_add_nc_u32_e32 v2, s6, v10
	v_add_co_u32 v69, vcc_lo, v12, s2
	v_add_co_ci_u32_e64 v70, null, s3, v3, vcc_lo
	v_lshlrev_b64 v[6:7], 4, v[6:7]
	v_ashrrev_i32_e32 v11, 31, v10
	v_add_nc_u32_e32 v12, s6, v2
	v_add_co_u32 v14, vcc_lo, v69, v60
	v_lshlrev_b64 v[8:9], 4, v[8:9]
	v_add_co_ci_u32_e64 v15, null, 0, v70, vcc_lo
	v_add_co_u32 v4, vcc_lo, v69, v4
	v_lshlrev_b64 v[10:11], 4, v[10:11]
	v_add_co_ci_u32_e64 v5, null, v70, v5, vcc_lo
	v_add_co_u32 v6, vcc_lo, v69, v6
	v_add_nc_u32_e32 v16, s6, v12
	v_ashrrev_i32_e32 v3, 31, v2
	v_add_co_ci_u32_e64 v7, null, v70, v7, vcc_lo
	v_add_co_u32 v8, vcc_lo, v69, v8
	v_ashrrev_i32_e32 v13, 31, v12
	v_add_co_ci_u32_e64 v9, null, v70, v9, vcc_lo
	v_add_co_u32 v10, vcc_lo, v69, v10
	s_clause 0x1
	global_load_dwordx4 v[46:49], v[4:5], off
	global_load_dwordx4 v[42:45], v[6:7], off
	v_add_nc_u32_e32 v6, s6, v16
	v_lshlrev_b64 v[2:3], 4, v[2:3]
	v_add_co_ci_u32_e64 v11, null, v70, v11, vcc_lo
	v_lshlrev_b64 v[4:5], 4, v[12:13]
	v_ashrrev_i32_e32 v17, 31, v16
	v_add_co_u32 v18, vcc_lo, v14, s8
	s_clause 0x1
	global_load_dwordx4 v[34:37], v[8:9], off
	global_load_dwordx4 v[30:33], v[10:11], off
	v_add_nc_u32_e32 v10, s6, v6
	v_add_co_ci_u32_e64 v19, null, s9, v15, vcc_lo
	v_add_co_u32 v2, vcc_lo, v69, v2
	v_add_co_ci_u32_e64 v3, null, v70, v3, vcc_lo
	v_lshlrev_b64 v[8:9], 4, v[16:17]
	v_add_co_u32 v4, vcc_lo, v69, v4
	v_add_nc_u32_e32 v12, s6, v10
	v_add_co_ci_u32_e64 v5, null, v70, v5, vcc_lo
	v_ashrrev_i32_e32 v7, 31, v6
	s_clause 0x1
	global_load_dwordx4 v[54:57], v[14:15], off
	global_load_dwordx4 v[50:53], v[18:19], off
	v_ashrrev_i32_e32 v11, 31, v10
	s_clause 0x1
	global_load_dwordx4 v[38:41], v[2:3], off
	global_load_dwordx4 v[22:25], v[4:5], off
	v_add_co_u32 v2, vcc_lo, v69, v8
	v_ashrrev_i32_e32 v13, 31, v12
	v_add_nc_u32_e32 v8, s6, v12
	v_lshlrev_b64 v[6:7], 4, v[6:7]
	v_lshlrev_b64 v[4:5], 4, v[10:11]
	v_add_co_ci_u32_e64 v3, null, v70, v9, vcc_lo
	v_lshlrev_b64 v[10:11], 4, v[12:13]
	v_add_nc_u32_e32 v12, s6, v8
	v_ashrrev_i32_e32 v9, 31, v8
	v_add_co_u32 v6, vcc_lo, v69, v6
	v_add_co_ci_u32_e64 v7, null, v70, v7, vcc_lo
	v_ashrrev_i32_e32 v13, 31, v12
	v_add_co_u32 v4, vcc_lo, v69, v4
	v_add_co_ci_u32_e64 v5, null, v70, v5, vcc_lo
	v_lshlrev_b64 v[8:9], 4, v[8:9]
	v_add_co_u32 v18, vcc_lo, v69, v10
	v_add_co_ci_u32_e64 v19, null, v70, v11, vcc_lo
	v_lshlrev_b64 v[10:11], 4, v[12:13]
	v_add_co_u32 v20, vcc_lo, v69, v8
	v_add_co_ci_u32_e64 v21, null, v70, v9, vcc_lo
	s_max_i32 s0, s18, 14
	v_add_co_u32 v58, vcc_lo, v69, v10
	v_add_co_ci_u32_e64 v59, null, v70, v11, vcc_lo
	s_clause 0x5
	global_load_dwordx4 v[26:29], v[2:3], off
	global_load_dwordx4 v[14:17], v[6:7], off
	;; [unrolled: 1-line block ×6, first 2 shown]
	v_mul_lo_u32 v66, s0, v1
	s_cmp_lt_i32 s18, 2
	v_lshl_add_u32 v1, v66, 4, 0
	v_lshlrev_b32_e32 v68, 4, v66
	v_mov_b32_e32 v66, 0
	v_add_nc_u32_e32 v58, v1, v60
	s_waitcnt vmcnt(9)
	ds_write2_b64 v58, v[54:55], v[56:57] offset1:1
	s_waitcnt vmcnt(0) lgkmcnt(0)
	s_barrier
	buffer_gl0_inv
	ds_read2_b64 v[58:61], v1 offset1:1
	s_cbranch_scc1 .LBB26_6
; %bb.4:
	v_add3_u32 v67, v68, 0, 16
	v_mov_b32_e32 v66, 0
	s_mov_b32 s3, 1
	s_inst_prefetch 0x1
	.p2align	6
.LBB26_5:                               ; =>This Inner Loop Header: Depth=1
	ds_read2_b64 v[71:74], v67 offset1:1
	s_waitcnt lgkmcnt(1)
	v_cmp_gt_f64_e32 vcc_lo, 0, v[58:59]
	v_cmp_gt_f64_e64 s0, 0, v[60:61]
	v_xor_b32_e32 v76, 0x80000000, v59
	v_xor_b32_e32 v78, 0x80000000, v61
	v_mov_b32_e32 v75, v58
	v_mov_b32_e32 v77, v60
	v_add_nc_u32_e32 v67, 16, v67
	s_waitcnt lgkmcnt(0)
	v_cmp_gt_f64_e64 s1, 0, v[71:72]
	v_cmp_gt_f64_e64 s2, 0, v[73:74]
	v_xor_b32_e32 v80, 0x80000000, v72
	v_xor_b32_e32 v82, 0x80000000, v74
	v_mov_b32_e32 v79, v71
	v_mov_b32_e32 v81, v73
	v_cndmask_b32_e32 v76, v59, v76, vcc_lo
	v_cndmask_b32_e64 v78, v61, v78, s0
	v_add_f64 v[75:76], v[75:76], v[77:78]
	v_cndmask_b32_e64 v80, v72, v80, s1
	v_cndmask_b32_e64 v82, v74, v82, s2
	v_add_f64 v[77:78], v[79:80], v[81:82]
	v_cmp_lt_f64_e32 vcc_lo, v[75:76], v[77:78]
	v_cndmask_b32_e32 v59, v59, v72, vcc_lo
	v_cndmask_b32_e32 v58, v58, v71, vcc_lo
	;; [unrolled: 1-line block ×4, first 2 shown]
	v_cndmask_b32_e64 v66, v66, s3, vcc_lo
	s_add_i32 s3, s3, 1
	s_cmp_eq_u32 s18, s3
	s_cbranch_scc0 .LBB26_5
.LBB26_6:
	s_inst_prefetch 0x2
	s_waitcnt lgkmcnt(0)
	v_cmp_neq_f64_e32 vcc_lo, 0, v[58:59]
	v_cmp_neq_f64_e64 s0, 0, v[60:61]
	v_mov_b32_e32 v71, 1
	v_mov_b32_e32 v73, 1
	s_or_b32 s1, vcc_lo, s0
	s_and_saveexec_b32 s0, s1
	s_cbranch_execz .LBB26_12
; %bb.7:
	v_cmp_ngt_f64_e64 s1, |v[58:59]|, |v[60:61]|
	s_and_saveexec_b32 s2, s1
	s_xor_b32 s1, exec_lo, s2
	s_cbranch_execz .LBB26_9
; %bb.8:
	v_div_scale_f64 v[71:72], null, v[60:61], v[60:61], v[58:59]
	v_div_scale_f64 v[77:78], vcc_lo, v[58:59], v[60:61], v[58:59]
	v_rcp_f64_e32 v[73:74], v[71:72]
	v_fma_f64 v[75:76], -v[71:72], v[73:74], 1.0
	v_fma_f64 v[73:74], v[73:74], v[75:76], v[73:74]
	v_fma_f64 v[75:76], -v[71:72], v[73:74], 1.0
	v_fma_f64 v[73:74], v[73:74], v[75:76], v[73:74]
	v_mul_f64 v[75:76], v[77:78], v[73:74]
	v_fma_f64 v[71:72], -v[71:72], v[75:76], v[77:78]
	v_div_fmas_f64 v[71:72], v[71:72], v[73:74], v[75:76]
	v_div_fixup_f64 v[71:72], v[71:72], v[60:61], v[58:59]
	v_fma_f64 v[58:59], v[58:59], v[71:72], v[60:61]
	v_div_scale_f64 v[60:61], null, v[58:59], v[58:59], 1.0
	v_rcp_f64_e32 v[73:74], v[60:61]
	v_fma_f64 v[75:76], -v[60:61], v[73:74], 1.0
	v_fma_f64 v[73:74], v[73:74], v[75:76], v[73:74]
	v_fma_f64 v[75:76], -v[60:61], v[73:74], 1.0
	v_fma_f64 v[73:74], v[73:74], v[75:76], v[73:74]
	v_div_scale_f64 v[75:76], vcc_lo, 1.0, v[58:59], 1.0
	v_mul_f64 v[77:78], v[75:76], v[73:74]
	v_fma_f64 v[60:61], -v[60:61], v[77:78], v[75:76]
	v_div_fmas_f64 v[60:61], v[60:61], v[73:74], v[77:78]
	v_div_fixup_f64 v[60:61], v[60:61], v[58:59], 1.0
	v_mul_f64 v[58:59], v[71:72], v[60:61]
	v_xor_b32_e32 v61, 0x80000000, v61
.LBB26_9:
	s_andn2_saveexec_b32 s1, s1
	s_cbranch_execz .LBB26_11
; %bb.10:
	v_div_scale_f64 v[71:72], null, v[58:59], v[58:59], v[60:61]
	v_div_scale_f64 v[77:78], vcc_lo, v[60:61], v[58:59], v[60:61]
	v_rcp_f64_e32 v[73:74], v[71:72]
	v_fma_f64 v[75:76], -v[71:72], v[73:74], 1.0
	v_fma_f64 v[73:74], v[73:74], v[75:76], v[73:74]
	v_fma_f64 v[75:76], -v[71:72], v[73:74], 1.0
	v_fma_f64 v[73:74], v[73:74], v[75:76], v[73:74]
	v_mul_f64 v[75:76], v[77:78], v[73:74]
	v_fma_f64 v[71:72], -v[71:72], v[75:76], v[77:78]
	v_div_fmas_f64 v[71:72], v[71:72], v[73:74], v[75:76]
	v_div_fixup_f64 v[71:72], v[71:72], v[58:59], v[60:61]
	v_fma_f64 v[58:59], v[60:61], v[71:72], v[58:59]
	v_div_scale_f64 v[60:61], null, v[58:59], v[58:59], 1.0
	v_rcp_f64_e32 v[73:74], v[60:61]
	v_fma_f64 v[75:76], -v[60:61], v[73:74], 1.0
	v_fma_f64 v[73:74], v[73:74], v[75:76], v[73:74]
	v_fma_f64 v[75:76], -v[60:61], v[73:74], 1.0
	v_fma_f64 v[73:74], v[73:74], v[75:76], v[73:74]
	v_div_scale_f64 v[75:76], vcc_lo, 1.0, v[58:59], 1.0
	v_mul_f64 v[77:78], v[75:76], v[73:74]
	v_fma_f64 v[60:61], -v[60:61], v[77:78], v[75:76]
	v_div_fmas_f64 v[60:61], v[60:61], v[73:74], v[77:78]
	v_div_fixup_f64 v[58:59], v[60:61], v[58:59], 1.0
	v_mul_f64 v[60:61], v[71:72], -v[58:59]
.LBB26_11:
	s_or_b32 exec_lo, exec_lo, s1
	v_mov_b32_e32 v73, 0
	v_mov_b32_e32 v71, 2
.LBB26_12:
	s_or_b32 exec_lo, exec_lo, s0
	s_mov_b32 s0, exec_lo
	v_cmpx_ne_u32_e64 v0, v66
	s_xor_b32 s0, exec_lo, s0
	s_cbranch_execz .LBB26_18
; %bb.13:
	s_mov_b32 s1, exec_lo
	v_cmpx_eq_u32_e32 0, v0
	s_cbranch_execz .LBB26_17
; %bb.14:
	v_cmp_ne_u32_e32 vcc_lo, 0, v66
	s_xor_b32 s2, s16, -1
	s_and_b32 s3, s2, vcc_lo
	s_and_saveexec_b32 s2, s3
	s_cbranch_execz .LBB26_16
; %bb.15:
	v_ashrrev_i32_e32 v67, 31, v66
	v_lshlrev_b64 v[74:75], 2, v[66:67]
	v_add_co_u32 v74, vcc_lo, v64, v74
	v_add_co_ci_u32_e64 v75, null, v65, v75, vcc_lo
	s_clause 0x1
	global_load_dword v0, v[74:75], off
	global_load_dword v67, v[64:65], off
	s_waitcnt vmcnt(1)
	global_store_dword v[64:65], v0, off
	s_waitcnt vmcnt(0)
	global_store_dword v[74:75], v67, off
.LBB26_16:
	s_or_b32 exec_lo, exec_lo, s2
	v_mov_b32_e32 v0, v66
.LBB26_17:
	s_or_b32 exec_lo, exec_lo, s1
.LBB26_18:
	s_or_saveexec_b32 s0, s0
	v_mov_b32_e32 v72, v0
	s_xor_b32 exec_lo, exec_lo, s0
	s_cbranch_execz .LBB26_20
; %bb.19:
	v_mov_b32_e32 v72, 0
	ds_write2_b64 v1, v[50:51], v[52:53] offset0:2 offset1:3
	ds_write2_b64 v1, v[46:47], v[48:49] offset0:4 offset1:5
	;; [unrolled: 1-line block ×13, first 2 shown]
.LBB26_20:
	s_or_b32 exec_lo, exec_lo, s0
	s_mov_b32 s0, exec_lo
	s_waitcnt lgkmcnt(0)
	s_waitcnt_vscnt null, 0x0
	s_barrier
	buffer_gl0_inv
	v_cmpx_lt_i32_e32 0, v72
	s_cbranch_execz .LBB26_22
; %bb.21:
	v_mul_f64 v[66:67], v[58:59], v[56:57]
	v_mul_f64 v[56:57], v[60:61], v[56:57]
	v_fma_f64 v[66:67], v[60:61], v[54:55], v[66:67]
	v_fma_f64 v[54:55], v[58:59], v[54:55], -v[56:57]
	ds_read2_b64 v[56:59], v1 offset0:2 offset1:3
	s_waitcnt lgkmcnt(0)
	v_mul_f64 v[60:61], v[58:59], v[66:67]
	v_fma_f64 v[60:61], v[56:57], v[54:55], -v[60:61]
	v_mul_f64 v[56:57], v[56:57], v[66:67]
	v_add_f64 v[50:51], v[50:51], -v[60:61]
	v_fma_f64 v[56:57], v[58:59], v[54:55], v[56:57]
	v_add_f64 v[52:53], v[52:53], -v[56:57]
	ds_read2_b64 v[56:59], v1 offset0:4 offset1:5
	s_waitcnt lgkmcnt(0)
	v_mul_f64 v[60:61], v[58:59], v[66:67]
	v_fma_f64 v[60:61], v[56:57], v[54:55], -v[60:61]
	v_mul_f64 v[56:57], v[56:57], v[66:67]
	v_add_f64 v[46:47], v[46:47], -v[60:61]
	v_fma_f64 v[56:57], v[58:59], v[54:55], v[56:57]
	v_add_f64 v[48:49], v[48:49], -v[56:57]
	ds_read2_b64 v[56:59], v1 offset0:6 offset1:7
	s_waitcnt lgkmcnt(0)
	v_mul_f64 v[60:61], v[58:59], v[66:67]
	v_fma_f64 v[60:61], v[56:57], v[54:55], -v[60:61]
	v_mul_f64 v[56:57], v[56:57], v[66:67]
	v_add_f64 v[42:43], v[42:43], -v[60:61]
	v_fma_f64 v[56:57], v[58:59], v[54:55], v[56:57]
	v_add_f64 v[44:45], v[44:45], -v[56:57]
	ds_read2_b64 v[56:59], v1 offset0:8 offset1:9
	s_waitcnt lgkmcnt(0)
	v_mul_f64 v[60:61], v[58:59], v[66:67]
	v_fma_f64 v[60:61], v[56:57], v[54:55], -v[60:61]
	v_mul_f64 v[56:57], v[56:57], v[66:67]
	v_add_f64 v[34:35], v[34:35], -v[60:61]
	v_fma_f64 v[56:57], v[58:59], v[54:55], v[56:57]
	v_add_f64 v[36:37], v[36:37], -v[56:57]
	ds_read2_b64 v[56:59], v1 offset0:10 offset1:11
	s_waitcnt lgkmcnt(0)
	v_mul_f64 v[60:61], v[58:59], v[66:67]
	v_fma_f64 v[60:61], v[56:57], v[54:55], -v[60:61]
	v_mul_f64 v[56:57], v[56:57], v[66:67]
	v_add_f64 v[30:31], v[30:31], -v[60:61]
	v_fma_f64 v[56:57], v[58:59], v[54:55], v[56:57]
	v_add_f64 v[32:33], v[32:33], -v[56:57]
	ds_read2_b64 v[56:59], v1 offset0:12 offset1:13
	s_waitcnt lgkmcnt(0)
	v_mul_f64 v[60:61], v[58:59], v[66:67]
	v_fma_f64 v[60:61], v[56:57], v[54:55], -v[60:61]
	v_mul_f64 v[56:57], v[56:57], v[66:67]
	v_add_f64 v[38:39], v[38:39], -v[60:61]
	v_fma_f64 v[56:57], v[58:59], v[54:55], v[56:57]
	v_add_f64 v[40:41], v[40:41], -v[56:57]
	ds_read2_b64 v[56:59], v1 offset0:14 offset1:15
	s_waitcnt lgkmcnt(0)
	v_mul_f64 v[60:61], v[58:59], v[66:67]
	v_fma_f64 v[60:61], v[56:57], v[54:55], -v[60:61]
	v_mul_f64 v[56:57], v[56:57], v[66:67]
	v_add_f64 v[22:23], v[22:23], -v[60:61]
	v_fma_f64 v[56:57], v[58:59], v[54:55], v[56:57]
	v_add_f64 v[24:25], v[24:25], -v[56:57]
	ds_read2_b64 v[56:59], v1 offset0:16 offset1:17
	s_waitcnt lgkmcnt(0)
	v_mul_f64 v[60:61], v[58:59], v[66:67]
	v_fma_f64 v[60:61], v[56:57], v[54:55], -v[60:61]
	v_mul_f64 v[56:57], v[56:57], v[66:67]
	v_add_f64 v[26:27], v[26:27], -v[60:61]
	v_fma_f64 v[56:57], v[58:59], v[54:55], v[56:57]
	v_add_f64 v[28:29], v[28:29], -v[56:57]
	ds_read2_b64 v[56:59], v1 offset0:18 offset1:19
	s_waitcnt lgkmcnt(0)
	v_mul_f64 v[60:61], v[58:59], v[66:67]
	v_fma_f64 v[60:61], v[56:57], v[54:55], -v[60:61]
	v_mul_f64 v[56:57], v[56:57], v[66:67]
	v_add_f64 v[14:15], v[14:15], -v[60:61]
	v_fma_f64 v[56:57], v[58:59], v[54:55], v[56:57]
	v_add_f64 v[16:17], v[16:17], -v[56:57]
	ds_read2_b64 v[56:59], v1 offset0:20 offset1:21
	s_waitcnt lgkmcnt(0)
	v_mul_f64 v[60:61], v[58:59], v[66:67]
	v_fma_f64 v[60:61], v[56:57], v[54:55], -v[60:61]
	v_mul_f64 v[56:57], v[56:57], v[66:67]
	v_add_f64 v[10:11], v[10:11], -v[60:61]
	v_fma_f64 v[56:57], v[58:59], v[54:55], v[56:57]
	v_add_f64 v[12:13], v[12:13], -v[56:57]
	ds_read2_b64 v[56:59], v1 offset0:22 offset1:23
	s_waitcnt lgkmcnt(0)
	v_mul_f64 v[60:61], v[58:59], v[66:67]
	v_fma_f64 v[60:61], v[56:57], v[54:55], -v[60:61]
	v_mul_f64 v[56:57], v[56:57], v[66:67]
	v_add_f64 v[6:7], v[6:7], -v[60:61]
	v_fma_f64 v[56:57], v[58:59], v[54:55], v[56:57]
	v_add_f64 v[8:9], v[8:9], -v[56:57]
	ds_read2_b64 v[56:59], v1 offset0:24 offset1:25
	s_waitcnt lgkmcnt(0)
	v_mul_f64 v[60:61], v[58:59], v[66:67]
	v_fma_f64 v[60:61], v[56:57], v[54:55], -v[60:61]
	v_mul_f64 v[56:57], v[56:57], v[66:67]
	v_add_f64 v[18:19], v[18:19], -v[60:61]
	v_fma_f64 v[56:57], v[58:59], v[54:55], v[56:57]
	v_add_f64 v[20:21], v[20:21], -v[56:57]
	ds_read2_b64 v[56:59], v1 offset0:26 offset1:27
	s_waitcnt lgkmcnt(0)
	v_mul_f64 v[60:61], v[58:59], v[66:67]
	v_fma_f64 v[60:61], v[56:57], v[54:55], -v[60:61]
	v_mul_f64 v[56:57], v[56:57], v[66:67]
	v_add_f64 v[2:3], v[2:3], -v[60:61]
	v_fma_f64 v[56:57], v[58:59], v[54:55], v[56:57]
	v_add_f64 v[4:5], v[4:5], -v[56:57]
	v_mov_b32_e32 v56, v66
	v_mov_b32_e32 v57, v67
.LBB26_22:
	s_or_b32 exec_lo, exec_lo, s0
	v_lshl_add_u32 v58, v72, 4, v1
	s_barrier
	buffer_gl0_inv
	v_mov_b32_e32 v66, 1
	ds_write2_b64 v58, v[50:51], v[52:53] offset1:1
	s_waitcnt lgkmcnt(0)
	s_barrier
	buffer_gl0_inv
	ds_read2_b64 v[58:61], v1 offset0:2 offset1:3
	s_cmp_lt_i32 s18, 3
	s_cbranch_scc1 .LBB26_25
; %bb.23:
	v_add3_u32 v67, v68, 0, 32
	v_mov_b32_e32 v66, 1
	s_mov_b32 s1, 2
	s_inst_prefetch 0x1
	.p2align	6
.LBB26_24:                              ; =>This Inner Loop Header: Depth=1
	s_waitcnt lgkmcnt(0)
	v_cmp_gt_f64_e32 vcc_lo, 0, v[60:61]
	v_cmp_gt_f64_e64 s0, 0, v[58:59]
	ds_read2_b64 v[74:77], v67 offset1:1
	v_xor_b32_e32 v79, 0x80000000, v59
	v_xor_b32_e32 v81, 0x80000000, v61
	v_mov_b32_e32 v78, v58
	v_mov_b32_e32 v80, v60
	v_add_nc_u32_e32 v67, 16, v67
	s_waitcnt lgkmcnt(0)
	v_xor_b32_e32 v83, 0x80000000, v77
	v_cndmask_b32_e64 v79, v59, v79, s0
	v_cndmask_b32_e32 v81, v61, v81, vcc_lo
	v_cmp_gt_f64_e32 vcc_lo, 0, v[76:77]
	v_cmp_gt_f64_e64 s0, 0, v[74:75]
	v_mov_b32_e32 v82, v76
	v_add_f64 v[78:79], v[78:79], v[80:81]
	v_xor_b32_e32 v81, 0x80000000, v75
	v_mov_b32_e32 v80, v74
	v_cndmask_b32_e32 v83, v77, v83, vcc_lo
	v_cndmask_b32_e64 v81, v75, v81, s0
	v_add_f64 v[80:81], v[80:81], v[82:83]
	v_cmp_lt_f64_e32 vcc_lo, v[78:79], v[80:81]
	v_cndmask_b32_e32 v59, v59, v75, vcc_lo
	v_cndmask_b32_e32 v58, v58, v74, vcc_lo
	;; [unrolled: 1-line block ×4, first 2 shown]
	v_cndmask_b32_e64 v66, v66, s1, vcc_lo
	s_add_i32 s1, s1, 1
	s_cmp_lg_u32 s18, s1
	s_cbranch_scc1 .LBB26_24
.LBB26_25:
	s_inst_prefetch 0x2
	s_waitcnt lgkmcnt(0)
	v_cmp_neq_f64_e32 vcc_lo, 0, v[58:59]
	v_cmp_neq_f64_e64 s0, 0, v[60:61]
	s_or_b32 s1, vcc_lo, s0
	s_and_saveexec_b32 s0, s1
	s_cbranch_execz .LBB26_31
; %bb.26:
	v_cmp_ngt_f64_e64 s1, |v[58:59]|, |v[60:61]|
	s_and_saveexec_b32 s2, s1
	s_xor_b32 s1, exec_lo, s2
	s_cbranch_execz .LBB26_28
; %bb.27:
	v_div_scale_f64 v[74:75], null, v[60:61], v[60:61], v[58:59]
	v_div_scale_f64 v[80:81], vcc_lo, v[58:59], v[60:61], v[58:59]
	v_rcp_f64_e32 v[76:77], v[74:75]
	v_fma_f64 v[78:79], -v[74:75], v[76:77], 1.0
	v_fma_f64 v[76:77], v[76:77], v[78:79], v[76:77]
	v_fma_f64 v[78:79], -v[74:75], v[76:77], 1.0
	v_fma_f64 v[76:77], v[76:77], v[78:79], v[76:77]
	v_mul_f64 v[78:79], v[80:81], v[76:77]
	v_fma_f64 v[74:75], -v[74:75], v[78:79], v[80:81]
	v_div_fmas_f64 v[74:75], v[74:75], v[76:77], v[78:79]
	v_div_fixup_f64 v[74:75], v[74:75], v[60:61], v[58:59]
	v_fma_f64 v[58:59], v[58:59], v[74:75], v[60:61]
	v_div_scale_f64 v[60:61], null, v[58:59], v[58:59], 1.0
	v_rcp_f64_e32 v[76:77], v[60:61]
	v_fma_f64 v[78:79], -v[60:61], v[76:77], 1.0
	v_fma_f64 v[76:77], v[76:77], v[78:79], v[76:77]
	v_fma_f64 v[78:79], -v[60:61], v[76:77], 1.0
	v_fma_f64 v[76:77], v[76:77], v[78:79], v[76:77]
	v_div_scale_f64 v[78:79], vcc_lo, 1.0, v[58:59], 1.0
	v_mul_f64 v[80:81], v[78:79], v[76:77]
	v_fma_f64 v[60:61], -v[60:61], v[80:81], v[78:79]
	v_div_fmas_f64 v[60:61], v[60:61], v[76:77], v[80:81]
	v_div_fixup_f64 v[60:61], v[60:61], v[58:59], 1.0
	v_mul_f64 v[58:59], v[74:75], v[60:61]
	v_xor_b32_e32 v61, 0x80000000, v61
.LBB26_28:
	s_andn2_saveexec_b32 s1, s1
	s_cbranch_execz .LBB26_30
; %bb.29:
	v_div_scale_f64 v[74:75], null, v[58:59], v[58:59], v[60:61]
	v_div_scale_f64 v[80:81], vcc_lo, v[60:61], v[58:59], v[60:61]
	v_rcp_f64_e32 v[76:77], v[74:75]
	v_fma_f64 v[78:79], -v[74:75], v[76:77], 1.0
	v_fma_f64 v[76:77], v[76:77], v[78:79], v[76:77]
	v_fma_f64 v[78:79], -v[74:75], v[76:77], 1.0
	v_fma_f64 v[76:77], v[76:77], v[78:79], v[76:77]
	v_mul_f64 v[78:79], v[80:81], v[76:77]
	v_fma_f64 v[74:75], -v[74:75], v[78:79], v[80:81]
	v_div_fmas_f64 v[74:75], v[74:75], v[76:77], v[78:79]
	v_div_fixup_f64 v[74:75], v[74:75], v[58:59], v[60:61]
	v_fma_f64 v[58:59], v[60:61], v[74:75], v[58:59]
	v_div_scale_f64 v[60:61], null, v[58:59], v[58:59], 1.0
	v_rcp_f64_e32 v[76:77], v[60:61]
	v_fma_f64 v[78:79], -v[60:61], v[76:77], 1.0
	v_fma_f64 v[76:77], v[76:77], v[78:79], v[76:77]
	v_fma_f64 v[78:79], -v[60:61], v[76:77], 1.0
	v_fma_f64 v[76:77], v[76:77], v[78:79], v[76:77]
	v_div_scale_f64 v[78:79], vcc_lo, 1.0, v[58:59], 1.0
	v_mul_f64 v[80:81], v[78:79], v[76:77]
	v_fma_f64 v[60:61], -v[60:61], v[80:81], v[78:79]
	v_div_fmas_f64 v[60:61], v[60:61], v[76:77], v[80:81]
	v_div_fixup_f64 v[58:59], v[60:61], v[58:59], 1.0
	v_mul_f64 v[60:61], v[74:75], -v[58:59]
.LBB26_30:
	s_or_b32 exec_lo, exec_lo, s1
	v_mov_b32_e32 v71, v73
.LBB26_31:
	s_or_b32 exec_lo, exec_lo, s0
	s_mov_b32 s0, exec_lo
	v_cmpx_ne_u32_e64 v72, v66
	s_xor_b32 s0, exec_lo, s0
	s_cbranch_execz .LBB26_37
; %bb.32:
	s_mov_b32 s1, exec_lo
	v_cmpx_eq_u32_e32 1, v72
	s_cbranch_execz .LBB26_36
; %bb.33:
	v_cmp_ne_u32_e32 vcc_lo, 1, v66
	s_xor_b32 s2, s16, -1
	s_and_b32 s3, s2, vcc_lo
	s_and_saveexec_b32 s2, s3
	s_cbranch_execz .LBB26_35
; %bb.34:
	v_ashrrev_i32_e32 v67, 31, v66
	v_lshlrev_b64 v[72:73], 2, v[66:67]
	v_add_co_u32 v72, vcc_lo, v64, v72
	v_add_co_ci_u32_e64 v73, null, v65, v73, vcc_lo
	s_clause 0x1
	global_load_dword v0, v[72:73], off
	global_load_dword v67, v[64:65], off offset:4
	s_waitcnt vmcnt(1)
	global_store_dword v[64:65], v0, off offset:4
	s_waitcnt vmcnt(0)
	global_store_dword v[72:73], v67, off
.LBB26_35:
	s_or_b32 exec_lo, exec_lo, s2
	v_mov_b32_e32 v72, v66
	v_mov_b32_e32 v0, v66
.LBB26_36:
	s_or_b32 exec_lo, exec_lo, s1
.LBB26_37:
	s_andn2_saveexec_b32 s0, s0
	s_cbranch_execz .LBB26_39
; %bb.38:
	v_mov_b32_e32 v72, 1
	ds_write2_b64 v1, v[46:47], v[48:49] offset0:4 offset1:5
	ds_write2_b64 v1, v[42:43], v[44:45] offset0:6 offset1:7
	;; [unrolled: 1-line block ×12, first 2 shown]
.LBB26_39:
	s_or_b32 exec_lo, exec_lo, s0
	s_mov_b32 s0, exec_lo
	s_waitcnt lgkmcnt(0)
	s_waitcnt_vscnt null, 0x0
	s_barrier
	buffer_gl0_inv
	v_cmpx_lt_i32_e32 1, v72
	s_cbranch_execz .LBB26_41
; %bb.40:
	v_mul_f64 v[66:67], v[58:59], v[52:53]
	v_mul_f64 v[52:53], v[60:61], v[52:53]
	v_fma_f64 v[66:67], v[60:61], v[50:51], v[66:67]
	v_fma_f64 v[50:51], v[58:59], v[50:51], -v[52:53]
	ds_read2_b64 v[58:61], v1 offset0:4 offset1:5
	s_waitcnt lgkmcnt(0)
	v_mul_f64 v[52:53], v[60:61], v[66:67]
	v_fma_f64 v[52:53], v[58:59], v[50:51], -v[52:53]
	v_mul_f64 v[58:59], v[58:59], v[66:67]
	v_add_f64 v[46:47], v[46:47], -v[52:53]
	v_fma_f64 v[58:59], v[60:61], v[50:51], v[58:59]
	v_add_f64 v[48:49], v[48:49], -v[58:59]
	ds_read2_b64 v[58:61], v1 offset0:6 offset1:7
	s_waitcnt lgkmcnt(0)
	v_mul_f64 v[52:53], v[60:61], v[66:67]
	v_fma_f64 v[52:53], v[58:59], v[50:51], -v[52:53]
	v_mul_f64 v[58:59], v[58:59], v[66:67]
	v_add_f64 v[42:43], v[42:43], -v[52:53]
	v_fma_f64 v[58:59], v[60:61], v[50:51], v[58:59]
	v_add_f64 v[44:45], v[44:45], -v[58:59]
	;; [unrolled: 8-line block ×11, first 2 shown]
	ds_read2_b64 v[58:61], v1 offset0:26 offset1:27
	s_waitcnt lgkmcnt(0)
	v_mul_f64 v[52:53], v[60:61], v[66:67]
	v_fma_f64 v[52:53], v[58:59], v[50:51], -v[52:53]
	v_mul_f64 v[58:59], v[58:59], v[66:67]
	v_add_f64 v[2:3], v[2:3], -v[52:53]
	v_fma_f64 v[58:59], v[60:61], v[50:51], v[58:59]
	v_mov_b32_e32 v52, v66
	v_mov_b32_e32 v53, v67
	v_add_f64 v[4:5], v[4:5], -v[58:59]
.LBB26_41:
	s_or_b32 exec_lo, exec_lo, s0
	v_lshl_add_u32 v58, v72, 4, v1
	s_barrier
	buffer_gl0_inv
	v_mov_b32_e32 v66, 2
	ds_write2_b64 v58, v[46:47], v[48:49] offset1:1
	s_waitcnt lgkmcnt(0)
	s_barrier
	buffer_gl0_inv
	ds_read2_b64 v[58:61], v1 offset0:4 offset1:5
	s_cmp_lt_i32 s18, 4
	s_cbranch_scc1 .LBB26_44
; %bb.42:
	v_add3_u32 v67, v68, 0, 48
	v_mov_b32_e32 v66, 2
	s_mov_b32 s1, 3
	s_inst_prefetch 0x1
	.p2align	6
.LBB26_43:                              ; =>This Inner Loop Header: Depth=1
	s_waitcnt lgkmcnt(0)
	v_cmp_gt_f64_e32 vcc_lo, 0, v[60:61]
	v_cmp_gt_f64_e64 s0, 0, v[58:59]
	ds_read2_b64 v[73:76], v67 offset1:1
	v_xor_b32_e32 v78, 0x80000000, v59
	v_xor_b32_e32 v80, 0x80000000, v61
	v_mov_b32_e32 v77, v58
	v_mov_b32_e32 v79, v60
	v_add_nc_u32_e32 v67, 16, v67
	s_waitcnt lgkmcnt(0)
	v_xor_b32_e32 v82, 0x80000000, v76
	v_cndmask_b32_e64 v78, v59, v78, s0
	v_cndmask_b32_e32 v80, v61, v80, vcc_lo
	v_cmp_gt_f64_e32 vcc_lo, 0, v[75:76]
	v_cmp_gt_f64_e64 s0, 0, v[73:74]
	v_mov_b32_e32 v81, v75
	v_add_f64 v[77:78], v[77:78], v[79:80]
	v_xor_b32_e32 v80, 0x80000000, v74
	v_mov_b32_e32 v79, v73
	v_cndmask_b32_e32 v82, v76, v82, vcc_lo
	v_cndmask_b32_e64 v80, v74, v80, s0
	v_add_f64 v[79:80], v[79:80], v[81:82]
	v_cmp_lt_f64_e32 vcc_lo, v[77:78], v[79:80]
	v_cndmask_b32_e32 v59, v59, v74, vcc_lo
	v_cndmask_b32_e32 v58, v58, v73, vcc_lo
	;; [unrolled: 1-line block ×4, first 2 shown]
	v_cndmask_b32_e64 v66, v66, s1, vcc_lo
	s_add_i32 s1, s1, 1
	s_cmp_lg_u32 s18, s1
	s_cbranch_scc1 .LBB26_43
.LBB26_44:
	s_inst_prefetch 0x2
	s_waitcnt lgkmcnt(0)
	v_cmp_eq_f64_e32 vcc_lo, 0, v[58:59]
	v_cmp_eq_f64_e64 s0, 0, v[60:61]
	s_and_b32 s0, vcc_lo, s0
	s_and_saveexec_b32 s1, s0
	s_xor_b32 s0, exec_lo, s1
; %bb.45:
	v_cmp_ne_u32_e32 vcc_lo, 0, v71
	v_cndmask_b32_e32 v71, 3, v71, vcc_lo
; %bb.46:
	s_andn2_saveexec_b32 s0, s0
	s_cbranch_execz .LBB26_52
; %bb.47:
	v_cmp_ngt_f64_e64 s1, |v[58:59]|, |v[60:61]|
	s_and_saveexec_b32 s2, s1
	s_xor_b32 s1, exec_lo, s2
	s_cbranch_execz .LBB26_49
; %bb.48:
	v_div_scale_f64 v[73:74], null, v[60:61], v[60:61], v[58:59]
	v_div_scale_f64 v[79:80], vcc_lo, v[58:59], v[60:61], v[58:59]
	v_rcp_f64_e32 v[75:76], v[73:74]
	v_fma_f64 v[77:78], -v[73:74], v[75:76], 1.0
	v_fma_f64 v[75:76], v[75:76], v[77:78], v[75:76]
	v_fma_f64 v[77:78], -v[73:74], v[75:76], 1.0
	v_fma_f64 v[75:76], v[75:76], v[77:78], v[75:76]
	v_mul_f64 v[77:78], v[79:80], v[75:76]
	v_fma_f64 v[73:74], -v[73:74], v[77:78], v[79:80]
	v_div_fmas_f64 v[73:74], v[73:74], v[75:76], v[77:78]
	v_div_fixup_f64 v[73:74], v[73:74], v[60:61], v[58:59]
	v_fma_f64 v[58:59], v[58:59], v[73:74], v[60:61]
	v_div_scale_f64 v[60:61], null, v[58:59], v[58:59], 1.0
	v_rcp_f64_e32 v[75:76], v[60:61]
	v_fma_f64 v[77:78], -v[60:61], v[75:76], 1.0
	v_fma_f64 v[75:76], v[75:76], v[77:78], v[75:76]
	v_fma_f64 v[77:78], -v[60:61], v[75:76], 1.0
	v_fma_f64 v[75:76], v[75:76], v[77:78], v[75:76]
	v_div_scale_f64 v[77:78], vcc_lo, 1.0, v[58:59], 1.0
	v_mul_f64 v[79:80], v[77:78], v[75:76]
	v_fma_f64 v[60:61], -v[60:61], v[79:80], v[77:78]
	v_div_fmas_f64 v[60:61], v[60:61], v[75:76], v[79:80]
	v_div_fixup_f64 v[60:61], v[60:61], v[58:59], 1.0
	v_mul_f64 v[58:59], v[73:74], v[60:61]
	v_xor_b32_e32 v61, 0x80000000, v61
.LBB26_49:
	s_andn2_saveexec_b32 s1, s1
	s_cbranch_execz .LBB26_51
; %bb.50:
	v_div_scale_f64 v[73:74], null, v[58:59], v[58:59], v[60:61]
	v_div_scale_f64 v[79:80], vcc_lo, v[60:61], v[58:59], v[60:61]
	v_rcp_f64_e32 v[75:76], v[73:74]
	v_fma_f64 v[77:78], -v[73:74], v[75:76], 1.0
	v_fma_f64 v[75:76], v[75:76], v[77:78], v[75:76]
	v_fma_f64 v[77:78], -v[73:74], v[75:76], 1.0
	v_fma_f64 v[75:76], v[75:76], v[77:78], v[75:76]
	v_mul_f64 v[77:78], v[79:80], v[75:76]
	v_fma_f64 v[73:74], -v[73:74], v[77:78], v[79:80]
	v_div_fmas_f64 v[73:74], v[73:74], v[75:76], v[77:78]
	v_div_fixup_f64 v[73:74], v[73:74], v[58:59], v[60:61]
	v_fma_f64 v[58:59], v[60:61], v[73:74], v[58:59]
	v_div_scale_f64 v[60:61], null, v[58:59], v[58:59], 1.0
	v_rcp_f64_e32 v[75:76], v[60:61]
	v_fma_f64 v[77:78], -v[60:61], v[75:76], 1.0
	v_fma_f64 v[75:76], v[75:76], v[77:78], v[75:76]
	v_fma_f64 v[77:78], -v[60:61], v[75:76], 1.0
	v_fma_f64 v[75:76], v[75:76], v[77:78], v[75:76]
	v_div_scale_f64 v[77:78], vcc_lo, 1.0, v[58:59], 1.0
	v_mul_f64 v[79:80], v[77:78], v[75:76]
	v_fma_f64 v[60:61], -v[60:61], v[79:80], v[77:78]
	v_div_fmas_f64 v[60:61], v[60:61], v[75:76], v[79:80]
	v_div_fixup_f64 v[58:59], v[60:61], v[58:59], 1.0
	v_mul_f64 v[60:61], v[73:74], -v[58:59]
.LBB26_51:
	s_or_b32 exec_lo, exec_lo, s1
.LBB26_52:
	s_or_b32 exec_lo, exec_lo, s0
	s_mov_b32 s0, exec_lo
	v_cmpx_ne_u32_e64 v72, v66
	s_xor_b32 s0, exec_lo, s0
	s_cbranch_execz .LBB26_58
; %bb.53:
	s_mov_b32 s1, exec_lo
	v_cmpx_eq_u32_e32 2, v72
	s_cbranch_execz .LBB26_57
; %bb.54:
	v_cmp_ne_u32_e32 vcc_lo, 2, v66
	s_xor_b32 s2, s16, -1
	s_and_b32 s3, s2, vcc_lo
	s_and_saveexec_b32 s2, s3
	s_cbranch_execz .LBB26_56
; %bb.55:
	v_ashrrev_i32_e32 v67, 31, v66
	v_lshlrev_b64 v[72:73], 2, v[66:67]
	v_add_co_u32 v72, vcc_lo, v64, v72
	v_add_co_ci_u32_e64 v73, null, v65, v73, vcc_lo
	s_clause 0x1
	global_load_dword v0, v[72:73], off
	global_load_dword v67, v[64:65], off offset:8
	s_waitcnt vmcnt(1)
	global_store_dword v[64:65], v0, off offset:8
	s_waitcnt vmcnt(0)
	global_store_dword v[72:73], v67, off
.LBB26_56:
	s_or_b32 exec_lo, exec_lo, s2
	v_mov_b32_e32 v72, v66
	v_mov_b32_e32 v0, v66
.LBB26_57:
	s_or_b32 exec_lo, exec_lo, s1
.LBB26_58:
	s_andn2_saveexec_b32 s0, s0
	s_cbranch_execz .LBB26_60
; %bb.59:
	v_mov_b32_e32 v72, 2
	ds_write2_b64 v1, v[42:43], v[44:45] offset0:6 offset1:7
	ds_write2_b64 v1, v[34:35], v[36:37] offset0:8 offset1:9
	;; [unrolled: 1-line block ×11, first 2 shown]
.LBB26_60:
	s_or_b32 exec_lo, exec_lo, s0
	s_mov_b32 s0, exec_lo
	s_waitcnt lgkmcnt(0)
	s_waitcnt_vscnt null, 0x0
	s_barrier
	buffer_gl0_inv
	v_cmpx_lt_i32_e32 2, v72
	s_cbranch_execz .LBB26_62
; %bb.61:
	v_mul_f64 v[66:67], v[58:59], v[48:49]
	v_mul_f64 v[48:49], v[60:61], v[48:49]
	v_fma_f64 v[66:67], v[60:61], v[46:47], v[66:67]
	v_fma_f64 v[46:47], v[58:59], v[46:47], -v[48:49]
	ds_read2_b64 v[58:61], v1 offset0:6 offset1:7
	s_waitcnt lgkmcnt(0)
	v_mul_f64 v[48:49], v[60:61], v[66:67]
	v_fma_f64 v[48:49], v[58:59], v[46:47], -v[48:49]
	v_mul_f64 v[58:59], v[58:59], v[66:67]
	v_add_f64 v[42:43], v[42:43], -v[48:49]
	v_fma_f64 v[58:59], v[60:61], v[46:47], v[58:59]
	v_add_f64 v[44:45], v[44:45], -v[58:59]
	ds_read2_b64 v[58:61], v1 offset0:8 offset1:9
	s_waitcnt lgkmcnt(0)
	v_mul_f64 v[48:49], v[60:61], v[66:67]
	v_fma_f64 v[48:49], v[58:59], v[46:47], -v[48:49]
	v_mul_f64 v[58:59], v[58:59], v[66:67]
	v_add_f64 v[34:35], v[34:35], -v[48:49]
	v_fma_f64 v[58:59], v[60:61], v[46:47], v[58:59]
	v_add_f64 v[36:37], v[36:37], -v[58:59]
	;; [unrolled: 8-line block ×10, first 2 shown]
	ds_read2_b64 v[58:61], v1 offset0:26 offset1:27
	s_waitcnt lgkmcnt(0)
	v_mul_f64 v[48:49], v[60:61], v[66:67]
	v_fma_f64 v[48:49], v[58:59], v[46:47], -v[48:49]
	v_mul_f64 v[58:59], v[58:59], v[66:67]
	v_add_f64 v[2:3], v[2:3], -v[48:49]
	v_fma_f64 v[58:59], v[60:61], v[46:47], v[58:59]
	v_mov_b32_e32 v48, v66
	v_mov_b32_e32 v49, v67
	v_add_f64 v[4:5], v[4:5], -v[58:59]
.LBB26_62:
	s_or_b32 exec_lo, exec_lo, s0
	v_lshl_add_u32 v58, v72, 4, v1
	s_barrier
	buffer_gl0_inv
	v_mov_b32_e32 v66, 3
	ds_write2_b64 v58, v[42:43], v[44:45] offset1:1
	s_waitcnt lgkmcnt(0)
	s_barrier
	buffer_gl0_inv
	ds_read2_b64 v[58:61], v1 offset0:6 offset1:7
	s_cmp_lt_i32 s18, 5
	s_mov_b32 s1, 4
	s_cbranch_scc1 .LBB26_65
; %bb.63:
	v_add3_u32 v67, v68, 0, 64
	v_mov_b32_e32 v66, 3
	s_inst_prefetch 0x1
	.p2align	6
.LBB26_64:                              ; =>This Inner Loop Header: Depth=1
	s_waitcnt lgkmcnt(0)
	v_cmp_gt_f64_e32 vcc_lo, 0, v[60:61]
	v_cmp_gt_f64_e64 s0, 0, v[58:59]
	ds_read2_b64 v[73:76], v67 offset1:1
	v_xor_b32_e32 v78, 0x80000000, v59
	v_xor_b32_e32 v80, 0x80000000, v61
	v_mov_b32_e32 v77, v58
	v_mov_b32_e32 v79, v60
	v_add_nc_u32_e32 v67, 16, v67
	s_waitcnt lgkmcnt(0)
	v_xor_b32_e32 v82, 0x80000000, v76
	v_cndmask_b32_e64 v78, v59, v78, s0
	v_cndmask_b32_e32 v80, v61, v80, vcc_lo
	v_cmp_gt_f64_e32 vcc_lo, 0, v[75:76]
	v_cmp_gt_f64_e64 s0, 0, v[73:74]
	v_mov_b32_e32 v81, v75
	v_add_f64 v[77:78], v[77:78], v[79:80]
	v_xor_b32_e32 v80, 0x80000000, v74
	v_mov_b32_e32 v79, v73
	v_cndmask_b32_e32 v82, v76, v82, vcc_lo
	v_cndmask_b32_e64 v80, v74, v80, s0
	v_add_f64 v[79:80], v[79:80], v[81:82]
	v_cmp_lt_f64_e32 vcc_lo, v[77:78], v[79:80]
	v_cndmask_b32_e32 v59, v59, v74, vcc_lo
	v_cndmask_b32_e32 v58, v58, v73, vcc_lo
	;; [unrolled: 1-line block ×4, first 2 shown]
	v_cndmask_b32_e64 v66, v66, s1, vcc_lo
	s_add_i32 s1, s1, 1
	s_cmp_lg_u32 s18, s1
	s_cbranch_scc1 .LBB26_64
.LBB26_65:
	s_inst_prefetch 0x2
	s_waitcnt lgkmcnt(0)
	v_cmp_eq_f64_e32 vcc_lo, 0, v[58:59]
	v_cmp_eq_f64_e64 s0, 0, v[60:61]
	s_and_b32 s0, vcc_lo, s0
	s_and_saveexec_b32 s1, s0
	s_xor_b32 s0, exec_lo, s1
; %bb.66:
	v_cmp_ne_u32_e32 vcc_lo, 0, v71
	v_cndmask_b32_e32 v71, 4, v71, vcc_lo
; %bb.67:
	s_andn2_saveexec_b32 s0, s0
	s_cbranch_execz .LBB26_73
; %bb.68:
	v_cmp_ngt_f64_e64 s1, |v[58:59]|, |v[60:61]|
	s_and_saveexec_b32 s2, s1
	s_xor_b32 s1, exec_lo, s2
	s_cbranch_execz .LBB26_70
; %bb.69:
	v_div_scale_f64 v[73:74], null, v[60:61], v[60:61], v[58:59]
	v_div_scale_f64 v[79:80], vcc_lo, v[58:59], v[60:61], v[58:59]
	v_rcp_f64_e32 v[75:76], v[73:74]
	v_fma_f64 v[77:78], -v[73:74], v[75:76], 1.0
	v_fma_f64 v[75:76], v[75:76], v[77:78], v[75:76]
	v_fma_f64 v[77:78], -v[73:74], v[75:76], 1.0
	v_fma_f64 v[75:76], v[75:76], v[77:78], v[75:76]
	v_mul_f64 v[77:78], v[79:80], v[75:76]
	v_fma_f64 v[73:74], -v[73:74], v[77:78], v[79:80]
	v_div_fmas_f64 v[73:74], v[73:74], v[75:76], v[77:78]
	v_div_fixup_f64 v[73:74], v[73:74], v[60:61], v[58:59]
	v_fma_f64 v[58:59], v[58:59], v[73:74], v[60:61]
	v_div_scale_f64 v[60:61], null, v[58:59], v[58:59], 1.0
	v_rcp_f64_e32 v[75:76], v[60:61]
	v_fma_f64 v[77:78], -v[60:61], v[75:76], 1.0
	v_fma_f64 v[75:76], v[75:76], v[77:78], v[75:76]
	v_fma_f64 v[77:78], -v[60:61], v[75:76], 1.0
	v_fma_f64 v[75:76], v[75:76], v[77:78], v[75:76]
	v_div_scale_f64 v[77:78], vcc_lo, 1.0, v[58:59], 1.0
	v_mul_f64 v[79:80], v[77:78], v[75:76]
	v_fma_f64 v[60:61], -v[60:61], v[79:80], v[77:78]
	v_div_fmas_f64 v[60:61], v[60:61], v[75:76], v[79:80]
	v_div_fixup_f64 v[60:61], v[60:61], v[58:59], 1.0
	v_mul_f64 v[58:59], v[73:74], v[60:61]
	v_xor_b32_e32 v61, 0x80000000, v61
.LBB26_70:
	s_andn2_saveexec_b32 s1, s1
	s_cbranch_execz .LBB26_72
; %bb.71:
	v_div_scale_f64 v[73:74], null, v[58:59], v[58:59], v[60:61]
	v_div_scale_f64 v[79:80], vcc_lo, v[60:61], v[58:59], v[60:61]
	v_rcp_f64_e32 v[75:76], v[73:74]
	v_fma_f64 v[77:78], -v[73:74], v[75:76], 1.0
	v_fma_f64 v[75:76], v[75:76], v[77:78], v[75:76]
	v_fma_f64 v[77:78], -v[73:74], v[75:76], 1.0
	v_fma_f64 v[75:76], v[75:76], v[77:78], v[75:76]
	v_mul_f64 v[77:78], v[79:80], v[75:76]
	v_fma_f64 v[73:74], -v[73:74], v[77:78], v[79:80]
	v_div_fmas_f64 v[73:74], v[73:74], v[75:76], v[77:78]
	v_div_fixup_f64 v[73:74], v[73:74], v[58:59], v[60:61]
	v_fma_f64 v[58:59], v[60:61], v[73:74], v[58:59]
	v_div_scale_f64 v[60:61], null, v[58:59], v[58:59], 1.0
	v_rcp_f64_e32 v[75:76], v[60:61]
	v_fma_f64 v[77:78], -v[60:61], v[75:76], 1.0
	v_fma_f64 v[75:76], v[75:76], v[77:78], v[75:76]
	v_fma_f64 v[77:78], -v[60:61], v[75:76], 1.0
	v_fma_f64 v[75:76], v[75:76], v[77:78], v[75:76]
	v_div_scale_f64 v[77:78], vcc_lo, 1.0, v[58:59], 1.0
	v_mul_f64 v[79:80], v[77:78], v[75:76]
	v_fma_f64 v[60:61], -v[60:61], v[79:80], v[77:78]
	v_div_fmas_f64 v[60:61], v[60:61], v[75:76], v[79:80]
	v_div_fixup_f64 v[58:59], v[60:61], v[58:59], 1.0
	v_mul_f64 v[60:61], v[73:74], -v[58:59]
.LBB26_72:
	s_or_b32 exec_lo, exec_lo, s1
.LBB26_73:
	s_or_b32 exec_lo, exec_lo, s0
	s_mov_b32 s0, exec_lo
	v_cmpx_ne_u32_e64 v72, v66
	s_xor_b32 s0, exec_lo, s0
	s_cbranch_execz .LBB26_79
; %bb.74:
	s_mov_b32 s1, exec_lo
	v_cmpx_eq_u32_e32 3, v72
	s_cbranch_execz .LBB26_78
; %bb.75:
	v_cmp_ne_u32_e32 vcc_lo, 3, v66
	s_xor_b32 s2, s16, -1
	s_and_b32 s3, s2, vcc_lo
	s_and_saveexec_b32 s2, s3
	s_cbranch_execz .LBB26_77
; %bb.76:
	v_ashrrev_i32_e32 v67, 31, v66
	v_lshlrev_b64 v[72:73], 2, v[66:67]
	v_add_co_u32 v72, vcc_lo, v64, v72
	v_add_co_ci_u32_e64 v73, null, v65, v73, vcc_lo
	s_clause 0x1
	global_load_dword v0, v[72:73], off
	global_load_dword v67, v[64:65], off offset:12
	s_waitcnt vmcnt(1)
	global_store_dword v[64:65], v0, off offset:12
	s_waitcnt vmcnt(0)
	global_store_dword v[72:73], v67, off
.LBB26_77:
	s_or_b32 exec_lo, exec_lo, s2
	v_mov_b32_e32 v72, v66
	v_mov_b32_e32 v0, v66
.LBB26_78:
	s_or_b32 exec_lo, exec_lo, s1
.LBB26_79:
	s_andn2_saveexec_b32 s0, s0
	s_cbranch_execz .LBB26_81
; %bb.80:
	v_mov_b32_e32 v72, 3
	ds_write2_b64 v1, v[34:35], v[36:37] offset0:8 offset1:9
	ds_write2_b64 v1, v[30:31], v[32:33] offset0:10 offset1:11
	;; [unrolled: 1-line block ×10, first 2 shown]
.LBB26_81:
	s_or_b32 exec_lo, exec_lo, s0
	s_mov_b32 s0, exec_lo
	s_waitcnt lgkmcnt(0)
	s_waitcnt_vscnt null, 0x0
	s_barrier
	buffer_gl0_inv
	v_cmpx_lt_i32_e32 3, v72
	s_cbranch_execz .LBB26_83
; %bb.82:
	v_mul_f64 v[66:67], v[58:59], v[44:45]
	v_mul_f64 v[44:45], v[60:61], v[44:45]
	v_fma_f64 v[66:67], v[60:61], v[42:43], v[66:67]
	v_fma_f64 v[42:43], v[58:59], v[42:43], -v[44:45]
	ds_read2_b64 v[58:61], v1 offset0:8 offset1:9
	s_waitcnt lgkmcnt(0)
	v_mul_f64 v[44:45], v[60:61], v[66:67]
	v_fma_f64 v[44:45], v[58:59], v[42:43], -v[44:45]
	v_mul_f64 v[58:59], v[58:59], v[66:67]
	v_add_f64 v[34:35], v[34:35], -v[44:45]
	v_fma_f64 v[58:59], v[60:61], v[42:43], v[58:59]
	v_add_f64 v[36:37], v[36:37], -v[58:59]
	ds_read2_b64 v[58:61], v1 offset0:10 offset1:11
	s_waitcnt lgkmcnt(0)
	v_mul_f64 v[44:45], v[60:61], v[66:67]
	v_fma_f64 v[44:45], v[58:59], v[42:43], -v[44:45]
	v_mul_f64 v[58:59], v[58:59], v[66:67]
	v_add_f64 v[30:31], v[30:31], -v[44:45]
	v_fma_f64 v[58:59], v[60:61], v[42:43], v[58:59]
	v_add_f64 v[32:33], v[32:33], -v[58:59]
	;; [unrolled: 8-line block ×9, first 2 shown]
	ds_read2_b64 v[58:61], v1 offset0:26 offset1:27
	s_waitcnt lgkmcnt(0)
	v_mul_f64 v[44:45], v[60:61], v[66:67]
	v_fma_f64 v[44:45], v[58:59], v[42:43], -v[44:45]
	v_mul_f64 v[58:59], v[58:59], v[66:67]
	v_add_f64 v[2:3], v[2:3], -v[44:45]
	v_fma_f64 v[58:59], v[60:61], v[42:43], v[58:59]
	v_mov_b32_e32 v44, v66
	v_mov_b32_e32 v45, v67
	v_add_f64 v[4:5], v[4:5], -v[58:59]
.LBB26_83:
	s_or_b32 exec_lo, exec_lo, s0
	v_lshl_add_u32 v58, v72, 4, v1
	s_barrier
	buffer_gl0_inv
	v_mov_b32_e32 v66, 4
	ds_write2_b64 v58, v[34:35], v[36:37] offset1:1
	s_waitcnt lgkmcnt(0)
	s_barrier
	buffer_gl0_inv
	ds_read2_b64 v[58:61], v1 offset0:8 offset1:9
	s_cmp_lt_i32 s18, 6
	s_cbranch_scc1 .LBB26_86
; %bb.84:
	v_mov_b32_e32 v66, 4
	v_add3_u32 v67, v68, 0, 0x50
	s_mov_b32 s1, 5
	s_inst_prefetch 0x1
	.p2align	6
.LBB26_85:                              ; =>This Inner Loop Header: Depth=1
	s_waitcnt lgkmcnt(0)
	v_cmp_gt_f64_e32 vcc_lo, 0, v[60:61]
	v_cmp_gt_f64_e64 s0, 0, v[58:59]
	ds_read2_b64 v[73:76], v67 offset1:1
	v_xor_b32_e32 v78, 0x80000000, v59
	v_xor_b32_e32 v80, 0x80000000, v61
	v_mov_b32_e32 v77, v58
	v_mov_b32_e32 v79, v60
	v_add_nc_u32_e32 v67, 16, v67
	s_waitcnt lgkmcnt(0)
	v_xor_b32_e32 v82, 0x80000000, v76
	v_cndmask_b32_e64 v78, v59, v78, s0
	v_cndmask_b32_e32 v80, v61, v80, vcc_lo
	v_cmp_gt_f64_e32 vcc_lo, 0, v[75:76]
	v_cmp_gt_f64_e64 s0, 0, v[73:74]
	v_mov_b32_e32 v81, v75
	v_add_f64 v[77:78], v[77:78], v[79:80]
	v_xor_b32_e32 v80, 0x80000000, v74
	v_mov_b32_e32 v79, v73
	v_cndmask_b32_e32 v82, v76, v82, vcc_lo
	v_cndmask_b32_e64 v80, v74, v80, s0
	v_add_f64 v[79:80], v[79:80], v[81:82]
	v_cmp_lt_f64_e32 vcc_lo, v[77:78], v[79:80]
	v_cndmask_b32_e32 v59, v59, v74, vcc_lo
	v_cndmask_b32_e32 v58, v58, v73, vcc_lo
	;; [unrolled: 1-line block ×4, first 2 shown]
	v_cndmask_b32_e64 v66, v66, s1, vcc_lo
	s_add_i32 s1, s1, 1
	s_cmp_lg_u32 s18, s1
	s_cbranch_scc1 .LBB26_85
.LBB26_86:
	s_inst_prefetch 0x2
	s_waitcnt lgkmcnt(0)
	v_cmp_eq_f64_e32 vcc_lo, 0, v[58:59]
	v_cmp_eq_f64_e64 s0, 0, v[60:61]
	s_and_b32 s0, vcc_lo, s0
	s_and_saveexec_b32 s1, s0
	s_xor_b32 s0, exec_lo, s1
; %bb.87:
	v_cmp_ne_u32_e32 vcc_lo, 0, v71
	v_cndmask_b32_e32 v71, 5, v71, vcc_lo
; %bb.88:
	s_andn2_saveexec_b32 s0, s0
	s_cbranch_execz .LBB26_94
; %bb.89:
	v_cmp_ngt_f64_e64 s1, |v[58:59]|, |v[60:61]|
	s_and_saveexec_b32 s2, s1
	s_xor_b32 s1, exec_lo, s2
	s_cbranch_execz .LBB26_91
; %bb.90:
	v_div_scale_f64 v[73:74], null, v[60:61], v[60:61], v[58:59]
	v_div_scale_f64 v[79:80], vcc_lo, v[58:59], v[60:61], v[58:59]
	v_rcp_f64_e32 v[75:76], v[73:74]
	v_fma_f64 v[77:78], -v[73:74], v[75:76], 1.0
	v_fma_f64 v[75:76], v[75:76], v[77:78], v[75:76]
	v_fma_f64 v[77:78], -v[73:74], v[75:76], 1.0
	v_fma_f64 v[75:76], v[75:76], v[77:78], v[75:76]
	v_mul_f64 v[77:78], v[79:80], v[75:76]
	v_fma_f64 v[73:74], -v[73:74], v[77:78], v[79:80]
	v_div_fmas_f64 v[73:74], v[73:74], v[75:76], v[77:78]
	v_div_fixup_f64 v[73:74], v[73:74], v[60:61], v[58:59]
	v_fma_f64 v[58:59], v[58:59], v[73:74], v[60:61]
	v_div_scale_f64 v[60:61], null, v[58:59], v[58:59], 1.0
	v_rcp_f64_e32 v[75:76], v[60:61]
	v_fma_f64 v[77:78], -v[60:61], v[75:76], 1.0
	v_fma_f64 v[75:76], v[75:76], v[77:78], v[75:76]
	v_fma_f64 v[77:78], -v[60:61], v[75:76], 1.0
	v_fma_f64 v[75:76], v[75:76], v[77:78], v[75:76]
	v_div_scale_f64 v[77:78], vcc_lo, 1.0, v[58:59], 1.0
	v_mul_f64 v[79:80], v[77:78], v[75:76]
	v_fma_f64 v[60:61], -v[60:61], v[79:80], v[77:78]
	v_div_fmas_f64 v[60:61], v[60:61], v[75:76], v[79:80]
	v_div_fixup_f64 v[60:61], v[60:61], v[58:59], 1.0
	v_mul_f64 v[58:59], v[73:74], v[60:61]
	v_xor_b32_e32 v61, 0x80000000, v61
.LBB26_91:
	s_andn2_saveexec_b32 s1, s1
	s_cbranch_execz .LBB26_93
; %bb.92:
	v_div_scale_f64 v[73:74], null, v[58:59], v[58:59], v[60:61]
	v_div_scale_f64 v[79:80], vcc_lo, v[60:61], v[58:59], v[60:61]
	v_rcp_f64_e32 v[75:76], v[73:74]
	v_fma_f64 v[77:78], -v[73:74], v[75:76], 1.0
	v_fma_f64 v[75:76], v[75:76], v[77:78], v[75:76]
	v_fma_f64 v[77:78], -v[73:74], v[75:76], 1.0
	v_fma_f64 v[75:76], v[75:76], v[77:78], v[75:76]
	v_mul_f64 v[77:78], v[79:80], v[75:76]
	v_fma_f64 v[73:74], -v[73:74], v[77:78], v[79:80]
	v_div_fmas_f64 v[73:74], v[73:74], v[75:76], v[77:78]
	v_div_fixup_f64 v[73:74], v[73:74], v[58:59], v[60:61]
	v_fma_f64 v[58:59], v[60:61], v[73:74], v[58:59]
	v_div_scale_f64 v[60:61], null, v[58:59], v[58:59], 1.0
	v_rcp_f64_e32 v[75:76], v[60:61]
	v_fma_f64 v[77:78], -v[60:61], v[75:76], 1.0
	v_fma_f64 v[75:76], v[75:76], v[77:78], v[75:76]
	v_fma_f64 v[77:78], -v[60:61], v[75:76], 1.0
	v_fma_f64 v[75:76], v[75:76], v[77:78], v[75:76]
	v_div_scale_f64 v[77:78], vcc_lo, 1.0, v[58:59], 1.0
	v_mul_f64 v[79:80], v[77:78], v[75:76]
	v_fma_f64 v[60:61], -v[60:61], v[79:80], v[77:78]
	v_div_fmas_f64 v[60:61], v[60:61], v[75:76], v[79:80]
	v_div_fixup_f64 v[58:59], v[60:61], v[58:59], 1.0
	v_mul_f64 v[60:61], v[73:74], -v[58:59]
.LBB26_93:
	s_or_b32 exec_lo, exec_lo, s1
.LBB26_94:
	s_or_b32 exec_lo, exec_lo, s0
	s_mov_b32 s0, exec_lo
	v_cmpx_ne_u32_e64 v72, v66
	s_xor_b32 s0, exec_lo, s0
	s_cbranch_execz .LBB26_100
; %bb.95:
	s_mov_b32 s1, exec_lo
	v_cmpx_eq_u32_e32 4, v72
	s_cbranch_execz .LBB26_99
; %bb.96:
	v_cmp_ne_u32_e32 vcc_lo, 4, v66
	s_xor_b32 s2, s16, -1
	s_and_b32 s3, s2, vcc_lo
	s_and_saveexec_b32 s2, s3
	s_cbranch_execz .LBB26_98
; %bb.97:
	v_ashrrev_i32_e32 v67, 31, v66
	v_lshlrev_b64 v[72:73], 2, v[66:67]
	v_add_co_u32 v72, vcc_lo, v64, v72
	v_add_co_ci_u32_e64 v73, null, v65, v73, vcc_lo
	s_clause 0x1
	global_load_dword v0, v[72:73], off
	global_load_dword v67, v[64:65], off offset:16
	s_waitcnt vmcnt(1)
	global_store_dword v[64:65], v0, off offset:16
	s_waitcnt vmcnt(0)
	global_store_dword v[72:73], v67, off
.LBB26_98:
	s_or_b32 exec_lo, exec_lo, s2
	v_mov_b32_e32 v72, v66
	v_mov_b32_e32 v0, v66
.LBB26_99:
	s_or_b32 exec_lo, exec_lo, s1
.LBB26_100:
	s_andn2_saveexec_b32 s0, s0
	s_cbranch_execz .LBB26_102
; %bb.101:
	v_mov_b32_e32 v72, 4
	ds_write2_b64 v1, v[30:31], v[32:33] offset0:10 offset1:11
	ds_write2_b64 v1, v[38:39], v[40:41] offset0:12 offset1:13
	;; [unrolled: 1-line block ×9, first 2 shown]
.LBB26_102:
	s_or_b32 exec_lo, exec_lo, s0
	s_mov_b32 s0, exec_lo
	s_waitcnt lgkmcnt(0)
	s_waitcnt_vscnt null, 0x0
	s_barrier
	buffer_gl0_inv
	v_cmpx_lt_i32_e32 4, v72
	s_cbranch_execz .LBB26_104
; %bb.103:
	v_mul_f64 v[66:67], v[58:59], v[36:37]
	v_mul_f64 v[36:37], v[60:61], v[36:37]
	v_fma_f64 v[66:67], v[60:61], v[34:35], v[66:67]
	v_fma_f64 v[34:35], v[58:59], v[34:35], -v[36:37]
	ds_read2_b64 v[58:61], v1 offset0:10 offset1:11
	s_waitcnt lgkmcnt(0)
	v_mul_f64 v[36:37], v[60:61], v[66:67]
	v_fma_f64 v[36:37], v[58:59], v[34:35], -v[36:37]
	v_mul_f64 v[58:59], v[58:59], v[66:67]
	v_add_f64 v[30:31], v[30:31], -v[36:37]
	v_fma_f64 v[58:59], v[60:61], v[34:35], v[58:59]
	v_add_f64 v[32:33], v[32:33], -v[58:59]
	ds_read2_b64 v[58:61], v1 offset0:12 offset1:13
	s_waitcnt lgkmcnt(0)
	v_mul_f64 v[36:37], v[60:61], v[66:67]
	v_fma_f64 v[36:37], v[58:59], v[34:35], -v[36:37]
	v_mul_f64 v[58:59], v[58:59], v[66:67]
	v_add_f64 v[38:39], v[38:39], -v[36:37]
	v_fma_f64 v[58:59], v[60:61], v[34:35], v[58:59]
	v_add_f64 v[40:41], v[40:41], -v[58:59]
	ds_read2_b64 v[58:61], v1 offset0:14 offset1:15
	s_waitcnt lgkmcnt(0)
	v_mul_f64 v[36:37], v[60:61], v[66:67]
	v_fma_f64 v[36:37], v[58:59], v[34:35], -v[36:37]
	v_mul_f64 v[58:59], v[58:59], v[66:67]
	v_add_f64 v[22:23], v[22:23], -v[36:37]
	v_fma_f64 v[58:59], v[60:61], v[34:35], v[58:59]
	v_add_f64 v[24:25], v[24:25], -v[58:59]
	ds_read2_b64 v[58:61], v1 offset0:16 offset1:17
	s_waitcnt lgkmcnt(0)
	v_mul_f64 v[36:37], v[60:61], v[66:67]
	v_fma_f64 v[36:37], v[58:59], v[34:35], -v[36:37]
	v_mul_f64 v[58:59], v[58:59], v[66:67]
	v_add_f64 v[26:27], v[26:27], -v[36:37]
	v_fma_f64 v[58:59], v[60:61], v[34:35], v[58:59]
	v_add_f64 v[28:29], v[28:29], -v[58:59]
	ds_read2_b64 v[58:61], v1 offset0:18 offset1:19
	s_waitcnt lgkmcnt(0)
	v_mul_f64 v[36:37], v[60:61], v[66:67]
	v_fma_f64 v[36:37], v[58:59], v[34:35], -v[36:37]
	v_mul_f64 v[58:59], v[58:59], v[66:67]
	v_add_f64 v[14:15], v[14:15], -v[36:37]
	v_fma_f64 v[58:59], v[60:61], v[34:35], v[58:59]
	v_add_f64 v[16:17], v[16:17], -v[58:59]
	ds_read2_b64 v[58:61], v1 offset0:20 offset1:21
	s_waitcnt lgkmcnt(0)
	v_mul_f64 v[36:37], v[60:61], v[66:67]
	v_fma_f64 v[36:37], v[58:59], v[34:35], -v[36:37]
	v_mul_f64 v[58:59], v[58:59], v[66:67]
	v_add_f64 v[10:11], v[10:11], -v[36:37]
	v_fma_f64 v[58:59], v[60:61], v[34:35], v[58:59]
	v_add_f64 v[12:13], v[12:13], -v[58:59]
	ds_read2_b64 v[58:61], v1 offset0:22 offset1:23
	s_waitcnt lgkmcnt(0)
	v_mul_f64 v[36:37], v[60:61], v[66:67]
	v_fma_f64 v[36:37], v[58:59], v[34:35], -v[36:37]
	v_mul_f64 v[58:59], v[58:59], v[66:67]
	v_add_f64 v[6:7], v[6:7], -v[36:37]
	v_fma_f64 v[58:59], v[60:61], v[34:35], v[58:59]
	v_add_f64 v[8:9], v[8:9], -v[58:59]
	ds_read2_b64 v[58:61], v1 offset0:24 offset1:25
	s_waitcnt lgkmcnt(0)
	v_mul_f64 v[36:37], v[60:61], v[66:67]
	v_fma_f64 v[36:37], v[58:59], v[34:35], -v[36:37]
	v_mul_f64 v[58:59], v[58:59], v[66:67]
	v_add_f64 v[18:19], v[18:19], -v[36:37]
	v_fma_f64 v[58:59], v[60:61], v[34:35], v[58:59]
	v_add_f64 v[20:21], v[20:21], -v[58:59]
	ds_read2_b64 v[58:61], v1 offset0:26 offset1:27
	s_waitcnt lgkmcnt(0)
	v_mul_f64 v[36:37], v[60:61], v[66:67]
	v_fma_f64 v[36:37], v[58:59], v[34:35], -v[36:37]
	v_mul_f64 v[58:59], v[58:59], v[66:67]
	v_add_f64 v[2:3], v[2:3], -v[36:37]
	v_fma_f64 v[58:59], v[60:61], v[34:35], v[58:59]
	v_mov_b32_e32 v36, v66
	v_mov_b32_e32 v37, v67
	v_add_f64 v[4:5], v[4:5], -v[58:59]
.LBB26_104:
	s_or_b32 exec_lo, exec_lo, s0
	v_lshl_add_u32 v58, v72, 4, v1
	s_barrier
	buffer_gl0_inv
	v_mov_b32_e32 v66, 5
	ds_write2_b64 v58, v[30:31], v[32:33] offset1:1
	s_waitcnt lgkmcnt(0)
	s_barrier
	buffer_gl0_inv
	ds_read2_b64 v[58:61], v1 offset0:10 offset1:11
	s_cmp_lt_i32 s18, 7
	s_cbranch_scc1 .LBB26_107
; %bb.105:
	v_add3_u32 v67, v68, 0, 0x60
	v_mov_b32_e32 v66, 5
	s_mov_b32 s1, 6
	s_inst_prefetch 0x1
	.p2align	6
.LBB26_106:                             ; =>This Inner Loop Header: Depth=1
	s_waitcnt lgkmcnt(0)
	v_cmp_gt_f64_e32 vcc_lo, 0, v[60:61]
	v_cmp_gt_f64_e64 s0, 0, v[58:59]
	ds_read2_b64 v[73:76], v67 offset1:1
	v_xor_b32_e32 v78, 0x80000000, v59
	v_xor_b32_e32 v80, 0x80000000, v61
	v_mov_b32_e32 v77, v58
	v_mov_b32_e32 v79, v60
	v_add_nc_u32_e32 v67, 16, v67
	s_waitcnt lgkmcnt(0)
	v_xor_b32_e32 v82, 0x80000000, v76
	v_cndmask_b32_e64 v78, v59, v78, s0
	v_cndmask_b32_e32 v80, v61, v80, vcc_lo
	v_cmp_gt_f64_e32 vcc_lo, 0, v[75:76]
	v_cmp_gt_f64_e64 s0, 0, v[73:74]
	v_mov_b32_e32 v81, v75
	v_add_f64 v[77:78], v[77:78], v[79:80]
	v_xor_b32_e32 v80, 0x80000000, v74
	v_mov_b32_e32 v79, v73
	v_cndmask_b32_e32 v82, v76, v82, vcc_lo
	v_cndmask_b32_e64 v80, v74, v80, s0
	v_add_f64 v[79:80], v[79:80], v[81:82]
	v_cmp_lt_f64_e32 vcc_lo, v[77:78], v[79:80]
	v_cndmask_b32_e32 v59, v59, v74, vcc_lo
	v_cndmask_b32_e32 v58, v58, v73, vcc_lo
	;; [unrolled: 1-line block ×4, first 2 shown]
	v_cndmask_b32_e64 v66, v66, s1, vcc_lo
	s_add_i32 s1, s1, 1
	s_cmp_lg_u32 s18, s1
	s_cbranch_scc1 .LBB26_106
.LBB26_107:
	s_inst_prefetch 0x2
	s_waitcnt lgkmcnt(0)
	v_cmp_eq_f64_e32 vcc_lo, 0, v[58:59]
	v_cmp_eq_f64_e64 s0, 0, v[60:61]
	s_and_b32 s0, vcc_lo, s0
	s_and_saveexec_b32 s1, s0
	s_xor_b32 s0, exec_lo, s1
; %bb.108:
	v_cmp_ne_u32_e32 vcc_lo, 0, v71
	v_cndmask_b32_e32 v71, 6, v71, vcc_lo
; %bb.109:
	s_andn2_saveexec_b32 s0, s0
	s_cbranch_execz .LBB26_115
; %bb.110:
	v_cmp_ngt_f64_e64 s1, |v[58:59]|, |v[60:61]|
	s_and_saveexec_b32 s2, s1
	s_xor_b32 s1, exec_lo, s2
	s_cbranch_execz .LBB26_112
; %bb.111:
	v_div_scale_f64 v[73:74], null, v[60:61], v[60:61], v[58:59]
	v_div_scale_f64 v[79:80], vcc_lo, v[58:59], v[60:61], v[58:59]
	v_rcp_f64_e32 v[75:76], v[73:74]
	v_fma_f64 v[77:78], -v[73:74], v[75:76], 1.0
	v_fma_f64 v[75:76], v[75:76], v[77:78], v[75:76]
	v_fma_f64 v[77:78], -v[73:74], v[75:76], 1.0
	v_fma_f64 v[75:76], v[75:76], v[77:78], v[75:76]
	v_mul_f64 v[77:78], v[79:80], v[75:76]
	v_fma_f64 v[73:74], -v[73:74], v[77:78], v[79:80]
	v_div_fmas_f64 v[73:74], v[73:74], v[75:76], v[77:78]
	v_div_fixup_f64 v[73:74], v[73:74], v[60:61], v[58:59]
	v_fma_f64 v[58:59], v[58:59], v[73:74], v[60:61]
	v_div_scale_f64 v[60:61], null, v[58:59], v[58:59], 1.0
	v_rcp_f64_e32 v[75:76], v[60:61]
	v_fma_f64 v[77:78], -v[60:61], v[75:76], 1.0
	v_fma_f64 v[75:76], v[75:76], v[77:78], v[75:76]
	v_fma_f64 v[77:78], -v[60:61], v[75:76], 1.0
	v_fma_f64 v[75:76], v[75:76], v[77:78], v[75:76]
	v_div_scale_f64 v[77:78], vcc_lo, 1.0, v[58:59], 1.0
	v_mul_f64 v[79:80], v[77:78], v[75:76]
	v_fma_f64 v[60:61], -v[60:61], v[79:80], v[77:78]
	v_div_fmas_f64 v[60:61], v[60:61], v[75:76], v[79:80]
	v_div_fixup_f64 v[60:61], v[60:61], v[58:59], 1.0
	v_mul_f64 v[58:59], v[73:74], v[60:61]
	v_xor_b32_e32 v61, 0x80000000, v61
.LBB26_112:
	s_andn2_saveexec_b32 s1, s1
	s_cbranch_execz .LBB26_114
; %bb.113:
	v_div_scale_f64 v[73:74], null, v[58:59], v[58:59], v[60:61]
	v_div_scale_f64 v[79:80], vcc_lo, v[60:61], v[58:59], v[60:61]
	v_rcp_f64_e32 v[75:76], v[73:74]
	v_fma_f64 v[77:78], -v[73:74], v[75:76], 1.0
	v_fma_f64 v[75:76], v[75:76], v[77:78], v[75:76]
	v_fma_f64 v[77:78], -v[73:74], v[75:76], 1.0
	v_fma_f64 v[75:76], v[75:76], v[77:78], v[75:76]
	v_mul_f64 v[77:78], v[79:80], v[75:76]
	v_fma_f64 v[73:74], -v[73:74], v[77:78], v[79:80]
	v_div_fmas_f64 v[73:74], v[73:74], v[75:76], v[77:78]
	v_div_fixup_f64 v[73:74], v[73:74], v[58:59], v[60:61]
	v_fma_f64 v[58:59], v[60:61], v[73:74], v[58:59]
	v_div_scale_f64 v[60:61], null, v[58:59], v[58:59], 1.0
	v_rcp_f64_e32 v[75:76], v[60:61]
	v_fma_f64 v[77:78], -v[60:61], v[75:76], 1.0
	v_fma_f64 v[75:76], v[75:76], v[77:78], v[75:76]
	v_fma_f64 v[77:78], -v[60:61], v[75:76], 1.0
	v_fma_f64 v[75:76], v[75:76], v[77:78], v[75:76]
	v_div_scale_f64 v[77:78], vcc_lo, 1.0, v[58:59], 1.0
	v_mul_f64 v[79:80], v[77:78], v[75:76]
	v_fma_f64 v[60:61], -v[60:61], v[79:80], v[77:78]
	v_div_fmas_f64 v[60:61], v[60:61], v[75:76], v[79:80]
	v_div_fixup_f64 v[58:59], v[60:61], v[58:59], 1.0
	v_mul_f64 v[60:61], v[73:74], -v[58:59]
.LBB26_114:
	s_or_b32 exec_lo, exec_lo, s1
.LBB26_115:
	s_or_b32 exec_lo, exec_lo, s0
	s_mov_b32 s0, exec_lo
	v_cmpx_ne_u32_e64 v72, v66
	s_xor_b32 s0, exec_lo, s0
	s_cbranch_execz .LBB26_121
; %bb.116:
	s_mov_b32 s1, exec_lo
	v_cmpx_eq_u32_e32 5, v72
	s_cbranch_execz .LBB26_120
; %bb.117:
	v_cmp_ne_u32_e32 vcc_lo, 5, v66
	s_xor_b32 s2, s16, -1
	s_and_b32 s3, s2, vcc_lo
	s_and_saveexec_b32 s2, s3
	s_cbranch_execz .LBB26_119
; %bb.118:
	v_ashrrev_i32_e32 v67, 31, v66
	v_lshlrev_b64 v[72:73], 2, v[66:67]
	v_add_co_u32 v72, vcc_lo, v64, v72
	v_add_co_ci_u32_e64 v73, null, v65, v73, vcc_lo
	s_clause 0x1
	global_load_dword v0, v[72:73], off
	global_load_dword v67, v[64:65], off offset:20
	s_waitcnt vmcnt(1)
	global_store_dword v[64:65], v0, off offset:20
	s_waitcnt vmcnt(0)
	global_store_dword v[72:73], v67, off
.LBB26_119:
	s_or_b32 exec_lo, exec_lo, s2
	v_mov_b32_e32 v72, v66
	v_mov_b32_e32 v0, v66
.LBB26_120:
	s_or_b32 exec_lo, exec_lo, s1
.LBB26_121:
	s_andn2_saveexec_b32 s0, s0
	s_cbranch_execz .LBB26_123
; %bb.122:
	v_mov_b32_e32 v72, 5
	ds_write2_b64 v1, v[38:39], v[40:41] offset0:12 offset1:13
	ds_write2_b64 v1, v[22:23], v[24:25] offset0:14 offset1:15
	;; [unrolled: 1-line block ×8, first 2 shown]
.LBB26_123:
	s_or_b32 exec_lo, exec_lo, s0
	s_mov_b32 s0, exec_lo
	s_waitcnt lgkmcnt(0)
	s_waitcnt_vscnt null, 0x0
	s_barrier
	buffer_gl0_inv
	v_cmpx_lt_i32_e32 5, v72
	s_cbranch_execz .LBB26_125
; %bb.124:
	v_mul_f64 v[66:67], v[58:59], v[32:33]
	v_mul_f64 v[32:33], v[60:61], v[32:33]
	v_fma_f64 v[66:67], v[60:61], v[30:31], v[66:67]
	v_fma_f64 v[30:31], v[58:59], v[30:31], -v[32:33]
	ds_read2_b64 v[58:61], v1 offset0:12 offset1:13
	s_waitcnt lgkmcnt(0)
	v_mul_f64 v[32:33], v[60:61], v[66:67]
	v_fma_f64 v[32:33], v[58:59], v[30:31], -v[32:33]
	v_mul_f64 v[58:59], v[58:59], v[66:67]
	v_add_f64 v[38:39], v[38:39], -v[32:33]
	v_fma_f64 v[58:59], v[60:61], v[30:31], v[58:59]
	v_add_f64 v[40:41], v[40:41], -v[58:59]
	ds_read2_b64 v[58:61], v1 offset0:14 offset1:15
	s_waitcnt lgkmcnt(0)
	v_mul_f64 v[32:33], v[60:61], v[66:67]
	v_fma_f64 v[32:33], v[58:59], v[30:31], -v[32:33]
	v_mul_f64 v[58:59], v[58:59], v[66:67]
	v_add_f64 v[22:23], v[22:23], -v[32:33]
	v_fma_f64 v[58:59], v[60:61], v[30:31], v[58:59]
	v_add_f64 v[24:25], v[24:25], -v[58:59]
	;; [unrolled: 8-line block ×7, first 2 shown]
	ds_read2_b64 v[58:61], v1 offset0:26 offset1:27
	s_waitcnt lgkmcnt(0)
	v_mul_f64 v[32:33], v[60:61], v[66:67]
	v_fma_f64 v[32:33], v[58:59], v[30:31], -v[32:33]
	v_mul_f64 v[58:59], v[58:59], v[66:67]
	v_add_f64 v[2:3], v[2:3], -v[32:33]
	v_fma_f64 v[58:59], v[60:61], v[30:31], v[58:59]
	v_mov_b32_e32 v32, v66
	v_mov_b32_e32 v33, v67
	v_add_f64 v[4:5], v[4:5], -v[58:59]
.LBB26_125:
	s_or_b32 exec_lo, exec_lo, s0
	v_lshl_add_u32 v58, v72, 4, v1
	s_barrier
	buffer_gl0_inv
	v_mov_b32_e32 v66, 6
	ds_write2_b64 v58, v[38:39], v[40:41] offset1:1
	s_waitcnt lgkmcnt(0)
	s_barrier
	buffer_gl0_inv
	ds_read2_b64 v[58:61], v1 offset0:12 offset1:13
	s_cmp_lt_i32 s18, 8
	s_cbranch_scc1 .LBB26_128
; %bb.126:
	v_add3_u32 v67, v68, 0, 0x70
	v_mov_b32_e32 v66, 6
	s_mov_b32 s1, 7
	s_inst_prefetch 0x1
	.p2align	6
.LBB26_127:                             ; =>This Inner Loop Header: Depth=1
	s_waitcnt lgkmcnt(0)
	v_cmp_gt_f64_e32 vcc_lo, 0, v[60:61]
	v_cmp_gt_f64_e64 s0, 0, v[58:59]
	ds_read2_b64 v[73:76], v67 offset1:1
	v_xor_b32_e32 v78, 0x80000000, v59
	v_xor_b32_e32 v80, 0x80000000, v61
	v_mov_b32_e32 v77, v58
	v_mov_b32_e32 v79, v60
	v_add_nc_u32_e32 v67, 16, v67
	s_waitcnt lgkmcnt(0)
	v_xor_b32_e32 v82, 0x80000000, v76
	v_cndmask_b32_e64 v78, v59, v78, s0
	v_cndmask_b32_e32 v80, v61, v80, vcc_lo
	v_cmp_gt_f64_e32 vcc_lo, 0, v[75:76]
	v_cmp_gt_f64_e64 s0, 0, v[73:74]
	v_mov_b32_e32 v81, v75
	v_add_f64 v[77:78], v[77:78], v[79:80]
	v_xor_b32_e32 v80, 0x80000000, v74
	v_mov_b32_e32 v79, v73
	v_cndmask_b32_e32 v82, v76, v82, vcc_lo
	v_cndmask_b32_e64 v80, v74, v80, s0
	v_add_f64 v[79:80], v[79:80], v[81:82]
	v_cmp_lt_f64_e32 vcc_lo, v[77:78], v[79:80]
	v_cndmask_b32_e32 v59, v59, v74, vcc_lo
	v_cndmask_b32_e32 v58, v58, v73, vcc_lo
	v_cndmask_b32_e32 v61, v61, v76, vcc_lo
	v_cndmask_b32_e32 v60, v60, v75, vcc_lo
	v_cndmask_b32_e64 v66, v66, s1, vcc_lo
	s_add_i32 s1, s1, 1
	s_cmp_lg_u32 s18, s1
	s_cbranch_scc1 .LBB26_127
.LBB26_128:
	s_inst_prefetch 0x2
	s_waitcnt lgkmcnt(0)
	v_cmp_eq_f64_e32 vcc_lo, 0, v[58:59]
	v_cmp_eq_f64_e64 s0, 0, v[60:61]
	s_and_b32 s0, vcc_lo, s0
	s_and_saveexec_b32 s1, s0
	s_xor_b32 s0, exec_lo, s1
; %bb.129:
	v_cmp_ne_u32_e32 vcc_lo, 0, v71
	v_cndmask_b32_e32 v71, 7, v71, vcc_lo
; %bb.130:
	s_andn2_saveexec_b32 s0, s0
	s_cbranch_execz .LBB26_136
; %bb.131:
	v_cmp_ngt_f64_e64 s1, |v[58:59]|, |v[60:61]|
	s_and_saveexec_b32 s2, s1
	s_xor_b32 s1, exec_lo, s2
	s_cbranch_execz .LBB26_133
; %bb.132:
	v_div_scale_f64 v[73:74], null, v[60:61], v[60:61], v[58:59]
	v_div_scale_f64 v[79:80], vcc_lo, v[58:59], v[60:61], v[58:59]
	v_rcp_f64_e32 v[75:76], v[73:74]
	v_fma_f64 v[77:78], -v[73:74], v[75:76], 1.0
	v_fma_f64 v[75:76], v[75:76], v[77:78], v[75:76]
	v_fma_f64 v[77:78], -v[73:74], v[75:76], 1.0
	v_fma_f64 v[75:76], v[75:76], v[77:78], v[75:76]
	v_mul_f64 v[77:78], v[79:80], v[75:76]
	v_fma_f64 v[73:74], -v[73:74], v[77:78], v[79:80]
	v_div_fmas_f64 v[73:74], v[73:74], v[75:76], v[77:78]
	v_div_fixup_f64 v[73:74], v[73:74], v[60:61], v[58:59]
	v_fma_f64 v[58:59], v[58:59], v[73:74], v[60:61]
	v_div_scale_f64 v[60:61], null, v[58:59], v[58:59], 1.0
	v_rcp_f64_e32 v[75:76], v[60:61]
	v_fma_f64 v[77:78], -v[60:61], v[75:76], 1.0
	v_fma_f64 v[75:76], v[75:76], v[77:78], v[75:76]
	v_fma_f64 v[77:78], -v[60:61], v[75:76], 1.0
	v_fma_f64 v[75:76], v[75:76], v[77:78], v[75:76]
	v_div_scale_f64 v[77:78], vcc_lo, 1.0, v[58:59], 1.0
	v_mul_f64 v[79:80], v[77:78], v[75:76]
	v_fma_f64 v[60:61], -v[60:61], v[79:80], v[77:78]
	v_div_fmas_f64 v[60:61], v[60:61], v[75:76], v[79:80]
	v_div_fixup_f64 v[60:61], v[60:61], v[58:59], 1.0
	v_mul_f64 v[58:59], v[73:74], v[60:61]
	v_xor_b32_e32 v61, 0x80000000, v61
.LBB26_133:
	s_andn2_saveexec_b32 s1, s1
	s_cbranch_execz .LBB26_135
; %bb.134:
	v_div_scale_f64 v[73:74], null, v[58:59], v[58:59], v[60:61]
	v_div_scale_f64 v[79:80], vcc_lo, v[60:61], v[58:59], v[60:61]
	v_rcp_f64_e32 v[75:76], v[73:74]
	v_fma_f64 v[77:78], -v[73:74], v[75:76], 1.0
	v_fma_f64 v[75:76], v[75:76], v[77:78], v[75:76]
	v_fma_f64 v[77:78], -v[73:74], v[75:76], 1.0
	v_fma_f64 v[75:76], v[75:76], v[77:78], v[75:76]
	v_mul_f64 v[77:78], v[79:80], v[75:76]
	v_fma_f64 v[73:74], -v[73:74], v[77:78], v[79:80]
	v_div_fmas_f64 v[73:74], v[73:74], v[75:76], v[77:78]
	v_div_fixup_f64 v[73:74], v[73:74], v[58:59], v[60:61]
	v_fma_f64 v[58:59], v[60:61], v[73:74], v[58:59]
	v_div_scale_f64 v[60:61], null, v[58:59], v[58:59], 1.0
	v_rcp_f64_e32 v[75:76], v[60:61]
	v_fma_f64 v[77:78], -v[60:61], v[75:76], 1.0
	v_fma_f64 v[75:76], v[75:76], v[77:78], v[75:76]
	v_fma_f64 v[77:78], -v[60:61], v[75:76], 1.0
	v_fma_f64 v[75:76], v[75:76], v[77:78], v[75:76]
	v_div_scale_f64 v[77:78], vcc_lo, 1.0, v[58:59], 1.0
	v_mul_f64 v[79:80], v[77:78], v[75:76]
	v_fma_f64 v[60:61], -v[60:61], v[79:80], v[77:78]
	v_div_fmas_f64 v[60:61], v[60:61], v[75:76], v[79:80]
	v_div_fixup_f64 v[58:59], v[60:61], v[58:59], 1.0
	v_mul_f64 v[60:61], v[73:74], -v[58:59]
.LBB26_135:
	s_or_b32 exec_lo, exec_lo, s1
.LBB26_136:
	s_or_b32 exec_lo, exec_lo, s0
	s_mov_b32 s0, exec_lo
	v_cmpx_ne_u32_e64 v72, v66
	s_xor_b32 s0, exec_lo, s0
	s_cbranch_execz .LBB26_142
; %bb.137:
	s_mov_b32 s1, exec_lo
	v_cmpx_eq_u32_e32 6, v72
	s_cbranch_execz .LBB26_141
; %bb.138:
	v_cmp_ne_u32_e32 vcc_lo, 6, v66
	s_xor_b32 s2, s16, -1
	s_and_b32 s3, s2, vcc_lo
	s_and_saveexec_b32 s2, s3
	s_cbranch_execz .LBB26_140
; %bb.139:
	v_ashrrev_i32_e32 v67, 31, v66
	v_lshlrev_b64 v[72:73], 2, v[66:67]
	v_add_co_u32 v72, vcc_lo, v64, v72
	v_add_co_ci_u32_e64 v73, null, v65, v73, vcc_lo
	s_clause 0x1
	global_load_dword v0, v[72:73], off
	global_load_dword v67, v[64:65], off offset:24
	s_waitcnt vmcnt(1)
	global_store_dword v[64:65], v0, off offset:24
	s_waitcnt vmcnt(0)
	global_store_dword v[72:73], v67, off
.LBB26_140:
	s_or_b32 exec_lo, exec_lo, s2
	v_mov_b32_e32 v72, v66
	v_mov_b32_e32 v0, v66
.LBB26_141:
	s_or_b32 exec_lo, exec_lo, s1
.LBB26_142:
	s_andn2_saveexec_b32 s0, s0
	s_cbranch_execz .LBB26_144
; %bb.143:
	v_mov_b32_e32 v72, 6
	ds_write2_b64 v1, v[22:23], v[24:25] offset0:14 offset1:15
	ds_write2_b64 v1, v[26:27], v[28:29] offset0:16 offset1:17
	;; [unrolled: 1-line block ×7, first 2 shown]
.LBB26_144:
	s_or_b32 exec_lo, exec_lo, s0
	s_mov_b32 s0, exec_lo
	s_waitcnt lgkmcnt(0)
	s_waitcnt_vscnt null, 0x0
	s_barrier
	buffer_gl0_inv
	v_cmpx_lt_i32_e32 6, v72
	s_cbranch_execz .LBB26_146
; %bb.145:
	v_mul_f64 v[66:67], v[58:59], v[40:41]
	v_mul_f64 v[40:41], v[60:61], v[40:41]
	v_fma_f64 v[66:67], v[60:61], v[38:39], v[66:67]
	v_fma_f64 v[38:39], v[58:59], v[38:39], -v[40:41]
	ds_read2_b64 v[58:61], v1 offset0:14 offset1:15
	s_waitcnt lgkmcnt(0)
	v_mul_f64 v[40:41], v[60:61], v[66:67]
	v_fma_f64 v[40:41], v[58:59], v[38:39], -v[40:41]
	v_mul_f64 v[58:59], v[58:59], v[66:67]
	v_add_f64 v[22:23], v[22:23], -v[40:41]
	v_fma_f64 v[58:59], v[60:61], v[38:39], v[58:59]
	v_add_f64 v[24:25], v[24:25], -v[58:59]
	ds_read2_b64 v[58:61], v1 offset0:16 offset1:17
	s_waitcnt lgkmcnt(0)
	v_mul_f64 v[40:41], v[60:61], v[66:67]
	v_fma_f64 v[40:41], v[58:59], v[38:39], -v[40:41]
	v_mul_f64 v[58:59], v[58:59], v[66:67]
	v_add_f64 v[26:27], v[26:27], -v[40:41]
	v_fma_f64 v[58:59], v[60:61], v[38:39], v[58:59]
	v_add_f64 v[28:29], v[28:29], -v[58:59]
	;; [unrolled: 8-line block ×6, first 2 shown]
	ds_read2_b64 v[58:61], v1 offset0:26 offset1:27
	s_waitcnt lgkmcnt(0)
	v_mul_f64 v[40:41], v[60:61], v[66:67]
	v_fma_f64 v[40:41], v[58:59], v[38:39], -v[40:41]
	v_mul_f64 v[58:59], v[58:59], v[66:67]
	v_add_f64 v[2:3], v[2:3], -v[40:41]
	v_fma_f64 v[58:59], v[60:61], v[38:39], v[58:59]
	v_mov_b32_e32 v40, v66
	v_mov_b32_e32 v41, v67
	v_add_f64 v[4:5], v[4:5], -v[58:59]
.LBB26_146:
	s_or_b32 exec_lo, exec_lo, s0
	v_lshl_add_u32 v58, v72, 4, v1
	s_barrier
	buffer_gl0_inv
	v_mov_b32_e32 v66, 7
	ds_write2_b64 v58, v[22:23], v[24:25] offset1:1
	s_waitcnt lgkmcnt(0)
	s_barrier
	buffer_gl0_inv
	ds_read2_b64 v[58:61], v1 offset0:14 offset1:15
	s_cmp_lt_i32 s18, 9
	s_cbranch_scc1 .LBB26_149
; %bb.147:
	v_add3_u32 v67, v68, 0, 0x80
	v_mov_b32_e32 v66, 7
	s_mov_b32 s1, 8
	s_inst_prefetch 0x1
	.p2align	6
.LBB26_148:                             ; =>This Inner Loop Header: Depth=1
	s_waitcnt lgkmcnt(0)
	v_cmp_gt_f64_e32 vcc_lo, 0, v[60:61]
	v_cmp_gt_f64_e64 s0, 0, v[58:59]
	ds_read2_b64 v[73:76], v67 offset1:1
	v_xor_b32_e32 v78, 0x80000000, v59
	v_xor_b32_e32 v80, 0x80000000, v61
	v_mov_b32_e32 v77, v58
	v_mov_b32_e32 v79, v60
	v_add_nc_u32_e32 v67, 16, v67
	s_waitcnt lgkmcnt(0)
	v_xor_b32_e32 v82, 0x80000000, v76
	v_cndmask_b32_e64 v78, v59, v78, s0
	v_cndmask_b32_e32 v80, v61, v80, vcc_lo
	v_cmp_gt_f64_e32 vcc_lo, 0, v[75:76]
	v_cmp_gt_f64_e64 s0, 0, v[73:74]
	v_mov_b32_e32 v81, v75
	v_add_f64 v[77:78], v[77:78], v[79:80]
	v_xor_b32_e32 v80, 0x80000000, v74
	v_mov_b32_e32 v79, v73
	v_cndmask_b32_e32 v82, v76, v82, vcc_lo
	v_cndmask_b32_e64 v80, v74, v80, s0
	v_add_f64 v[79:80], v[79:80], v[81:82]
	v_cmp_lt_f64_e32 vcc_lo, v[77:78], v[79:80]
	v_cndmask_b32_e32 v59, v59, v74, vcc_lo
	v_cndmask_b32_e32 v58, v58, v73, vcc_lo
	;; [unrolled: 1-line block ×4, first 2 shown]
	v_cndmask_b32_e64 v66, v66, s1, vcc_lo
	s_add_i32 s1, s1, 1
	s_cmp_lg_u32 s18, s1
	s_cbranch_scc1 .LBB26_148
.LBB26_149:
	s_inst_prefetch 0x2
	s_waitcnt lgkmcnt(0)
	v_cmp_eq_f64_e32 vcc_lo, 0, v[58:59]
	v_cmp_eq_f64_e64 s0, 0, v[60:61]
	s_and_b32 s0, vcc_lo, s0
	s_and_saveexec_b32 s1, s0
	s_xor_b32 s0, exec_lo, s1
; %bb.150:
	v_cmp_ne_u32_e32 vcc_lo, 0, v71
	v_cndmask_b32_e32 v71, 8, v71, vcc_lo
; %bb.151:
	s_andn2_saveexec_b32 s0, s0
	s_cbranch_execz .LBB26_157
; %bb.152:
	v_cmp_ngt_f64_e64 s1, |v[58:59]|, |v[60:61]|
	s_and_saveexec_b32 s2, s1
	s_xor_b32 s1, exec_lo, s2
	s_cbranch_execz .LBB26_154
; %bb.153:
	v_div_scale_f64 v[73:74], null, v[60:61], v[60:61], v[58:59]
	v_div_scale_f64 v[79:80], vcc_lo, v[58:59], v[60:61], v[58:59]
	v_rcp_f64_e32 v[75:76], v[73:74]
	v_fma_f64 v[77:78], -v[73:74], v[75:76], 1.0
	v_fma_f64 v[75:76], v[75:76], v[77:78], v[75:76]
	v_fma_f64 v[77:78], -v[73:74], v[75:76], 1.0
	v_fma_f64 v[75:76], v[75:76], v[77:78], v[75:76]
	v_mul_f64 v[77:78], v[79:80], v[75:76]
	v_fma_f64 v[73:74], -v[73:74], v[77:78], v[79:80]
	v_div_fmas_f64 v[73:74], v[73:74], v[75:76], v[77:78]
	v_div_fixup_f64 v[73:74], v[73:74], v[60:61], v[58:59]
	v_fma_f64 v[58:59], v[58:59], v[73:74], v[60:61]
	v_div_scale_f64 v[60:61], null, v[58:59], v[58:59], 1.0
	v_rcp_f64_e32 v[75:76], v[60:61]
	v_fma_f64 v[77:78], -v[60:61], v[75:76], 1.0
	v_fma_f64 v[75:76], v[75:76], v[77:78], v[75:76]
	v_fma_f64 v[77:78], -v[60:61], v[75:76], 1.0
	v_fma_f64 v[75:76], v[75:76], v[77:78], v[75:76]
	v_div_scale_f64 v[77:78], vcc_lo, 1.0, v[58:59], 1.0
	v_mul_f64 v[79:80], v[77:78], v[75:76]
	v_fma_f64 v[60:61], -v[60:61], v[79:80], v[77:78]
	v_div_fmas_f64 v[60:61], v[60:61], v[75:76], v[79:80]
	v_div_fixup_f64 v[60:61], v[60:61], v[58:59], 1.0
	v_mul_f64 v[58:59], v[73:74], v[60:61]
	v_xor_b32_e32 v61, 0x80000000, v61
.LBB26_154:
	s_andn2_saveexec_b32 s1, s1
	s_cbranch_execz .LBB26_156
; %bb.155:
	v_div_scale_f64 v[73:74], null, v[58:59], v[58:59], v[60:61]
	v_div_scale_f64 v[79:80], vcc_lo, v[60:61], v[58:59], v[60:61]
	v_rcp_f64_e32 v[75:76], v[73:74]
	v_fma_f64 v[77:78], -v[73:74], v[75:76], 1.0
	v_fma_f64 v[75:76], v[75:76], v[77:78], v[75:76]
	v_fma_f64 v[77:78], -v[73:74], v[75:76], 1.0
	v_fma_f64 v[75:76], v[75:76], v[77:78], v[75:76]
	v_mul_f64 v[77:78], v[79:80], v[75:76]
	v_fma_f64 v[73:74], -v[73:74], v[77:78], v[79:80]
	v_div_fmas_f64 v[73:74], v[73:74], v[75:76], v[77:78]
	v_div_fixup_f64 v[73:74], v[73:74], v[58:59], v[60:61]
	v_fma_f64 v[58:59], v[60:61], v[73:74], v[58:59]
	v_div_scale_f64 v[60:61], null, v[58:59], v[58:59], 1.0
	v_rcp_f64_e32 v[75:76], v[60:61]
	v_fma_f64 v[77:78], -v[60:61], v[75:76], 1.0
	v_fma_f64 v[75:76], v[75:76], v[77:78], v[75:76]
	v_fma_f64 v[77:78], -v[60:61], v[75:76], 1.0
	v_fma_f64 v[75:76], v[75:76], v[77:78], v[75:76]
	v_div_scale_f64 v[77:78], vcc_lo, 1.0, v[58:59], 1.0
	v_mul_f64 v[79:80], v[77:78], v[75:76]
	v_fma_f64 v[60:61], -v[60:61], v[79:80], v[77:78]
	v_div_fmas_f64 v[60:61], v[60:61], v[75:76], v[79:80]
	v_div_fixup_f64 v[58:59], v[60:61], v[58:59], 1.0
	v_mul_f64 v[60:61], v[73:74], -v[58:59]
.LBB26_156:
	s_or_b32 exec_lo, exec_lo, s1
.LBB26_157:
	s_or_b32 exec_lo, exec_lo, s0
	s_mov_b32 s0, exec_lo
	v_cmpx_ne_u32_e64 v72, v66
	s_xor_b32 s0, exec_lo, s0
	s_cbranch_execz .LBB26_163
; %bb.158:
	s_mov_b32 s1, exec_lo
	v_cmpx_eq_u32_e32 7, v72
	s_cbranch_execz .LBB26_162
; %bb.159:
	v_cmp_ne_u32_e32 vcc_lo, 7, v66
	s_xor_b32 s2, s16, -1
	s_and_b32 s3, s2, vcc_lo
	s_and_saveexec_b32 s2, s3
	s_cbranch_execz .LBB26_161
; %bb.160:
	v_ashrrev_i32_e32 v67, 31, v66
	v_lshlrev_b64 v[72:73], 2, v[66:67]
	v_add_co_u32 v72, vcc_lo, v64, v72
	v_add_co_ci_u32_e64 v73, null, v65, v73, vcc_lo
	s_clause 0x1
	global_load_dword v0, v[72:73], off
	global_load_dword v67, v[64:65], off offset:28
	s_waitcnt vmcnt(1)
	global_store_dword v[64:65], v0, off offset:28
	s_waitcnt vmcnt(0)
	global_store_dword v[72:73], v67, off
.LBB26_161:
	s_or_b32 exec_lo, exec_lo, s2
	v_mov_b32_e32 v72, v66
	v_mov_b32_e32 v0, v66
.LBB26_162:
	s_or_b32 exec_lo, exec_lo, s1
.LBB26_163:
	s_andn2_saveexec_b32 s0, s0
	s_cbranch_execz .LBB26_165
; %bb.164:
	v_mov_b32_e32 v72, 7
	ds_write2_b64 v1, v[26:27], v[28:29] offset0:16 offset1:17
	ds_write2_b64 v1, v[14:15], v[16:17] offset0:18 offset1:19
	;; [unrolled: 1-line block ×6, first 2 shown]
.LBB26_165:
	s_or_b32 exec_lo, exec_lo, s0
	s_mov_b32 s0, exec_lo
	s_waitcnt lgkmcnt(0)
	s_waitcnt_vscnt null, 0x0
	s_barrier
	buffer_gl0_inv
	v_cmpx_lt_i32_e32 7, v72
	s_cbranch_execz .LBB26_167
; %bb.166:
	v_mul_f64 v[66:67], v[58:59], v[24:25]
	v_mul_f64 v[24:25], v[60:61], v[24:25]
	v_fma_f64 v[66:67], v[60:61], v[22:23], v[66:67]
	v_fma_f64 v[22:23], v[58:59], v[22:23], -v[24:25]
	ds_read2_b64 v[58:61], v1 offset0:16 offset1:17
	s_waitcnt lgkmcnt(0)
	v_mul_f64 v[24:25], v[60:61], v[66:67]
	v_fma_f64 v[24:25], v[58:59], v[22:23], -v[24:25]
	v_mul_f64 v[58:59], v[58:59], v[66:67]
	v_add_f64 v[26:27], v[26:27], -v[24:25]
	v_fma_f64 v[58:59], v[60:61], v[22:23], v[58:59]
	v_add_f64 v[28:29], v[28:29], -v[58:59]
	ds_read2_b64 v[58:61], v1 offset0:18 offset1:19
	s_waitcnt lgkmcnt(0)
	v_mul_f64 v[24:25], v[60:61], v[66:67]
	v_fma_f64 v[24:25], v[58:59], v[22:23], -v[24:25]
	v_mul_f64 v[58:59], v[58:59], v[66:67]
	v_add_f64 v[14:15], v[14:15], -v[24:25]
	v_fma_f64 v[58:59], v[60:61], v[22:23], v[58:59]
	v_add_f64 v[16:17], v[16:17], -v[58:59]
	;; [unrolled: 8-line block ×5, first 2 shown]
	ds_read2_b64 v[58:61], v1 offset0:26 offset1:27
	s_waitcnt lgkmcnt(0)
	v_mul_f64 v[24:25], v[60:61], v[66:67]
	v_fma_f64 v[24:25], v[58:59], v[22:23], -v[24:25]
	v_mul_f64 v[58:59], v[58:59], v[66:67]
	v_add_f64 v[2:3], v[2:3], -v[24:25]
	v_fma_f64 v[58:59], v[60:61], v[22:23], v[58:59]
	v_mov_b32_e32 v24, v66
	v_mov_b32_e32 v25, v67
	v_add_f64 v[4:5], v[4:5], -v[58:59]
.LBB26_167:
	s_or_b32 exec_lo, exec_lo, s0
	v_lshl_add_u32 v58, v72, 4, v1
	s_barrier
	buffer_gl0_inv
	v_mov_b32_e32 v66, 8
	ds_write2_b64 v58, v[26:27], v[28:29] offset1:1
	s_waitcnt lgkmcnt(0)
	s_barrier
	buffer_gl0_inv
	ds_read2_b64 v[58:61], v1 offset0:16 offset1:17
	s_cmp_lt_i32 s18, 10
	s_cbranch_scc1 .LBB26_170
; %bb.168:
	v_add3_u32 v67, v68, 0, 0x90
	v_mov_b32_e32 v66, 8
	s_mov_b32 s1, 9
	s_inst_prefetch 0x1
	.p2align	6
.LBB26_169:                             ; =>This Inner Loop Header: Depth=1
	s_waitcnt lgkmcnt(0)
	v_cmp_gt_f64_e32 vcc_lo, 0, v[60:61]
	v_cmp_gt_f64_e64 s0, 0, v[58:59]
	ds_read2_b64 v[73:76], v67 offset1:1
	v_xor_b32_e32 v78, 0x80000000, v59
	v_xor_b32_e32 v80, 0x80000000, v61
	v_mov_b32_e32 v77, v58
	v_mov_b32_e32 v79, v60
	v_add_nc_u32_e32 v67, 16, v67
	s_waitcnt lgkmcnt(0)
	v_xor_b32_e32 v82, 0x80000000, v76
	v_cndmask_b32_e64 v78, v59, v78, s0
	v_cndmask_b32_e32 v80, v61, v80, vcc_lo
	v_cmp_gt_f64_e32 vcc_lo, 0, v[75:76]
	v_cmp_gt_f64_e64 s0, 0, v[73:74]
	v_mov_b32_e32 v81, v75
	v_add_f64 v[77:78], v[77:78], v[79:80]
	v_xor_b32_e32 v80, 0x80000000, v74
	v_mov_b32_e32 v79, v73
	v_cndmask_b32_e32 v82, v76, v82, vcc_lo
	v_cndmask_b32_e64 v80, v74, v80, s0
	v_add_f64 v[79:80], v[79:80], v[81:82]
	v_cmp_lt_f64_e32 vcc_lo, v[77:78], v[79:80]
	v_cndmask_b32_e32 v59, v59, v74, vcc_lo
	v_cndmask_b32_e32 v58, v58, v73, vcc_lo
	;; [unrolled: 1-line block ×4, first 2 shown]
	v_cndmask_b32_e64 v66, v66, s1, vcc_lo
	s_add_i32 s1, s1, 1
	s_cmp_lg_u32 s18, s1
	s_cbranch_scc1 .LBB26_169
.LBB26_170:
	s_inst_prefetch 0x2
	s_waitcnt lgkmcnt(0)
	v_cmp_eq_f64_e32 vcc_lo, 0, v[58:59]
	v_cmp_eq_f64_e64 s0, 0, v[60:61]
	s_and_b32 s0, vcc_lo, s0
	s_and_saveexec_b32 s1, s0
	s_xor_b32 s0, exec_lo, s1
; %bb.171:
	v_cmp_ne_u32_e32 vcc_lo, 0, v71
	v_cndmask_b32_e32 v71, 9, v71, vcc_lo
; %bb.172:
	s_andn2_saveexec_b32 s0, s0
	s_cbranch_execz .LBB26_178
; %bb.173:
	v_cmp_ngt_f64_e64 s1, |v[58:59]|, |v[60:61]|
	s_and_saveexec_b32 s2, s1
	s_xor_b32 s1, exec_lo, s2
	s_cbranch_execz .LBB26_175
; %bb.174:
	v_div_scale_f64 v[73:74], null, v[60:61], v[60:61], v[58:59]
	v_div_scale_f64 v[79:80], vcc_lo, v[58:59], v[60:61], v[58:59]
	v_rcp_f64_e32 v[75:76], v[73:74]
	v_fma_f64 v[77:78], -v[73:74], v[75:76], 1.0
	v_fma_f64 v[75:76], v[75:76], v[77:78], v[75:76]
	v_fma_f64 v[77:78], -v[73:74], v[75:76], 1.0
	v_fma_f64 v[75:76], v[75:76], v[77:78], v[75:76]
	v_mul_f64 v[77:78], v[79:80], v[75:76]
	v_fma_f64 v[73:74], -v[73:74], v[77:78], v[79:80]
	v_div_fmas_f64 v[73:74], v[73:74], v[75:76], v[77:78]
	v_div_fixup_f64 v[73:74], v[73:74], v[60:61], v[58:59]
	v_fma_f64 v[58:59], v[58:59], v[73:74], v[60:61]
	v_div_scale_f64 v[60:61], null, v[58:59], v[58:59], 1.0
	v_rcp_f64_e32 v[75:76], v[60:61]
	v_fma_f64 v[77:78], -v[60:61], v[75:76], 1.0
	v_fma_f64 v[75:76], v[75:76], v[77:78], v[75:76]
	v_fma_f64 v[77:78], -v[60:61], v[75:76], 1.0
	v_fma_f64 v[75:76], v[75:76], v[77:78], v[75:76]
	v_div_scale_f64 v[77:78], vcc_lo, 1.0, v[58:59], 1.0
	v_mul_f64 v[79:80], v[77:78], v[75:76]
	v_fma_f64 v[60:61], -v[60:61], v[79:80], v[77:78]
	v_div_fmas_f64 v[60:61], v[60:61], v[75:76], v[79:80]
	v_div_fixup_f64 v[60:61], v[60:61], v[58:59], 1.0
	v_mul_f64 v[58:59], v[73:74], v[60:61]
	v_xor_b32_e32 v61, 0x80000000, v61
.LBB26_175:
	s_andn2_saveexec_b32 s1, s1
	s_cbranch_execz .LBB26_177
; %bb.176:
	v_div_scale_f64 v[73:74], null, v[58:59], v[58:59], v[60:61]
	v_div_scale_f64 v[79:80], vcc_lo, v[60:61], v[58:59], v[60:61]
	v_rcp_f64_e32 v[75:76], v[73:74]
	v_fma_f64 v[77:78], -v[73:74], v[75:76], 1.0
	v_fma_f64 v[75:76], v[75:76], v[77:78], v[75:76]
	v_fma_f64 v[77:78], -v[73:74], v[75:76], 1.0
	v_fma_f64 v[75:76], v[75:76], v[77:78], v[75:76]
	v_mul_f64 v[77:78], v[79:80], v[75:76]
	v_fma_f64 v[73:74], -v[73:74], v[77:78], v[79:80]
	v_div_fmas_f64 v[73:74], v[73:74], v[75:76], v[77:78]
	v_div_fixup_f64 v[73:74], v[73:74], v[58:59], v[60:61]
	v_fma_f64 v[58:59], v[60:61], v[73:74], v[58:59]
	v_div_scale_f64 v[60:61], null, v[58:59], v[58:59], 1.0
	v_rcp_f64_e32 v[75:76], v[60:61]
	v_fma_f64 v[77:78], -v[60:61], v[75:76], 1.0
	v_fma_f64 v[75:76], v[75:76], v[77:78], v[75:76]
	v_fma_f64 v[77:78], -v[60:61], v[75:76], 1.0
	v_fma_f64 v[75:76], v[75:76], v[77:78], v[75:76]
	v_div_scale_f64 v[77:78], vcc_lo, 1.0, v[58:59], 1.0
	v_mul_f64 v[79:80], v[77:78], v[75:76]
	v_fma_f64 v[60:61], -v[60:61], v[79:80], v[77:78]
	v_div_fmas_f64 v[60:61], v[60:61], v[75:76], v[79:80]
	v_div_fixup_f64 v[58:59], v[60:61], v[58:59], 1.0
	v_mul_f64 v[60:61], v[73:74], -v[58:59]
.LBB26_177:
	s_or_b32 exec_lo, exec_lo, s1
.LBB26_178:
	s_or_b32 exec_lo, exec_lo, s0
	s_mov_b32 s0, exec_lo
	v_cmpx_ne_u32_e64 v72, v66
	s_xor_b32 s0, exec_lo, s0
	s_cbranch_execz .LBB26_184
; %bb.179:
	s_mov_b32 s1, exec_lo
	v_cmpx_eq_u32_e32 8, v72
	s_cbranch_execz .LBB26_183
; %bb.180:
	v_cmp_ne_u32_e32 vcc_lo, 8, v66
	s_xor_b32 s2, s16, -1
	s_and_b32 s3, s2, vcc_lo
	s_and_saveexec_b32 s2, s3
	s_cbranch_execz .LBB26_182
; %bb.181:
	v_ashrrev_i32_e32 v67, 31, v66
	v_lshlrev_b64 v[72:73], 2, v[66:67]
	v_add_co_u32 v72, vcc_lo, v64, v72
	v_add_co_ci_u32_e64 v73, null, v65, v73, vcc_lo
	s_clause 0x1
	global_load_dword v0, v[72:73], off
	global_load_dword v67, v[64:65], off offset:32
	s_waitcnt vmcnt(1)
	global_store_dword v[64:65], v0, off offset:32
	s_waitcnt vmcnt(0)
	global_store_dword v[72:73], v67, off
.LBB26_182:
	s_or_b32 exec_lo, exec_lo, s2
	v_mov_b32_e32 v72, v66
	v_mov_b32_e32 v0, v66
.LBB26_183:
	s_or_b32 exec_lo, exec_lo, s1
.LBB26_184:
	s_andn2_saveexec_b32 s0, s0
	s_cbranch_execz .LBB26_186
; %bb.185:
	v_mov_b32_e32 v72, 8
	ds_write2_b64 v1, v[14:15], v[16:17] offset0:18 offset1:19
	ds_write2_b64 v1, v[10:11], v[12:13] offset0:20 offset1:21
	;; [unrolled: 1-line block ×5, first 2 shown]
.LBB26_186:
	s_or_b32 exec_lo, exec_lo, s0
	s_mov_b32 s0, exec_lo
	s_waitcnt lgkmcnt(0)
	s_waitcnt_vscnt null, 0x0
	s_barrier
	buffer_gl0_inv
	v_cmpx_lt_i32_e32 8, v72
	s_cbranch_execz .LBB26_188
; %bb.187:
	v_mul_f64 v[66:67], v[58:59], v[28:29]
	v_mul_f64 v[28:29], v[60:61], v[28:29]
	v_fma_f64 v[66:67], v[60:61], v[26:27], v[66:67]
	v_fma_f64 v[26:27], v[58:59], v[26:27], -v[28:29]
	ds_read2_b64 v[58:61], v1 offset0:18 offset1:19
	s_waitcnt lgkmcnt(0)
	v_mul_f64 v[28:29], v[60:61], v[66:67]
	v_fma_f64 v[28:29], v[58:59], v[26:27], -v[28:29]
	v_mul_f64 v[58:59], v[58:59], v[66:67]
	v_add_f64 v[14:15], v[14:15], -v[28:29]
	v_fma_f64 v[58:59], v[60:61], v[26:27], v[58:59]
	v_add_f64 v[16:17], v[16:17], -v[58:59]
	ds_read2_b64 v[58:61], v1 offset0:20 offset1:21
	s_waitcnt lgkmcnt(0)
	v_mul_f64 v[28:29], v[60:61], v[66:67]
	v_fma_f64 v[28:29], v[58:59], v[26:27], -v[28:29]
	v_mul_f64 v[58:59], v[58:59], v[66:67]
	v_add_f64 v[10:11], v[10:11], -v[28:29]
	v_fma_f64 v[58:59], v[60:61], v[26:27], v[58:59]
	v_add_f64 v[12:13], v[12:13], -v[58:59]
	;; [unrolled: 8-line block ×4, first 2 shown]
	ds_read2_b64 v[58:61], v1 offset0:26 offset1:27
	s_waitcnt lgkmcnt(0)
	v_mul_f64 v[28:29], v[60:61], v[66:67]
	v_fma_f64 v[28:29], v[58:59], v[26:27], -v[28:29]
	v_mul_f64 v[58:59], v[58:59], v[66:67]
	v_add_f64 v[2:3], v[2:3], -v[28:29]
	v_fma_f64 v[58:59], v[60:61], v[26:27], v[58:59]
	v_mov_b32_e32 v28, v66
	v_mov_b32_e32 v29, v67
	v_add_f64 v[4:5], v[4:5], -v[58:59]
.LBB26_188:
	s_or_b32 exec_lo, exec_lo, s0
	v_lshl_add_u32 v58, v72, 4, v1
	s_barrier
	buffer_gl0_inv
	v_mov_b32_e32 v66, 9
	ds_write2_b64 v58, v[14:15], v[16:17] offset1:1
	s_waitcnt lgkmcnt(0)
	s_barrier
	buffer_gl0_inv
	ds_read2_b64 v[58:61], v1 offset0:18 offset1:19
	s_cmp_lt_i32 s18, 11
	s_cbranch_scc1 .LBB26_191
; %bb.189:
	v_add3_u32 v67, v68, 0, 0xa0
	v_mov_b32_e32 v66, 9
	s_mov_b32 s1, 10
	s_inst_prefetch 0x1
	.p2align	6
.LBB26_190:                             ; =>This Inner Loop Header: Depth=1
	s_waitcnt lgkmcnt(0)
	v_cmp_gt_f64_e32 vcc_lo, 0, v[60:61]
	v_cmp_gt_f64_e64 s0, 0, v[58:59]
	ds_read2_b64 v[73:76], v67 offset1:1
	v_xor_b32_e32 v78, 0x80000000, v59
	v_xor_b32_e32 v80, 0x80000000, v61
	v_mov_b32_e32 v77, v58
	v_mov_b32_e32 v79, v60
	v_add_nc_u32_e32 v67, 16, v67
	s_waitcnt lgkmcnt(0)
	v_xor_b32_e32 v82, 0x80000000, v76
	v_cndmask_b32_e64 v78, v59, v78, s0
	v_cndmask_b32_e32 v80, v61, v80, vcc_lo
	v_cmp_gt_f64_e32 vcc_lo, 0, v[75:76]
	v_cmp_gt_f64_e64 s0, 0, v[73:74]
	v_mov_b32_e32 v81, v75
	v_add_f64 v[77:78], v[77:78], v[79:80]
	v_xor_b32_e32 v80, 0x80000000, v74
	v_mov_b32_e32 v79, v73
	v_cndmask_b32_e32 v82, v76, v82, vcc_lo
	v_cndmask_b32_e64 v80, v74, v80, s0
	v_add_f64 v[79:80], v[79:80], v[81:82]
	v_cmp_lt_f64_e32 vcc_lo, v[77:78], v[79:80]
	v_cndmask_b32_e32 v59, v59, v74, vcc_lo
	v_cndmask_b32_e32 v58, v58, v73, vcc_lo
	;; [unrolled: 1-line block ×4, first 2 shown]
	v_cndmask_b32_e64 v66, v66, s1, vcc_lo
	s_add_i32 s1, s1, 1
	s_cmp_lg_u32 s18, s1
	s_cbranch_scc1 .LBB26_190
.LBB26_191:
	s_inst_prefetch 0x2
	s_waitcnt lgkmcnt(0)
	v_cmp_eq_f64_e32 vcc_lo, 0, v[58:59]
	v_cmp_eq_f64_e64 s0, 0, v[60:61]
	s_and_b32 s0, vcc_lo, s0
	s_and_saveexec_b32 s1, s0
	s_xor_b32 s0, exec_lo, s1
; %bb.192:
	v_cmp_ne_u32_e32 vcc_lo, 0, v71
	v_cndmask_b32_e32 v71, 10, v71, vcc_lo
; %bb.193:
	s_andn2_saveexec_b32 s0, s0
	s_cbranch_execz .LBB26_199
; %bb.194:
	v_cmp_ngt_f64_e64 s1, |v[58:59]|, |v[60:61]|
	s_and_saveexec_b32 s2, s1
	s_xor_b32 s1, exec_lo, s2
	s_cbranch_execz .LBB26_196
; %bb.195:
	v_div_scale_f64 v[73:74], null, v[60:61], v[60:61], v[58:59]
	v_div_scale_f64 v[79:80], vcc_lo, v[58:59], v[60:61], v[58:59]
	v_rcp_f64_e32 v[75:76], v[73:74]
	v_fma_f64 v[77:78], -v[73:74], v[75:76], 1.0
	v_fma_f64 v[75:76], v[75:76], v[77:78], v[75:76]
	v_fma_f64 v[77:78], -v[73:74], v[75:76], 1.0
	v_fma_f64 v[75:76], v[75:76], v[77:78], v[75:76]
	v_mul_f64 v[77:78], v[79:80], v[75:76]
	v_fma_f64 v[73:74], -v[73:74], v[77:78], v[79:80]
	v_div_fmas_f64 v[73:74], v[73:74], v[75:76], v[77:78]
	v_div_fixup_f64 v[73:74], v[73:74], v[60:61], v[58:59]
	v_fma_f64 v[58:59], v[58:59], v[73:74], v[60:61]
	v_div_scale_f64 v[60:61], null, v[58:59], v[58:59], 1.0
	v_rcp_f64_e32 v[75:76], v[60:61]
	v_fma_f64 v[77:78], -v[60:61], v[75:76], 1.0
	v_fma_f64 v[75:76], v[75:76], v[77:78], v[75:76]
	v_fma_f64 v[77:78], -v[60:61], v[75:76], 1.0
	v_fma_f64 v[75:76], v[75:76], v[77:78], v[75:76]
	v_div_scale_f64 v[77:78], vcc_lo, 1.0, v[58:59], 1.0
	v_mul_f64 v[79:80], v[77:78], v[75:76]
	v_fma_f64 v[60:61], -v[60:61], v[79:80], v[77:78]
	v_div_fmas_f64 v[60:61], v[60:61], v[75:76], v[79:80]
	v_div_fixup_f64 v[60:61], v[60:61], v[58:59], 1.0
	v_mul_f64 v[58:59], v[73:74], v[60:61]
	v_xor_b32_e32 v61, 0x80000000, v61
.LBB26_196:
	s_andn2_saveexec_b32 s1, s1
	s_cbranch_execz .LBB26_198
; %bb.197:
	v_div_scale_f64 v[73:74], null, v[58:59], v[58:59], v[60:61]
	v_div_scale_f64 v[79:80], vcc_lo, v[60:61], v[58:59], v[60:61]
	v_rcp_f64_e32 v[75:76], v[73:74]
	v_fma_f64 v[77:78], -v[73:74], v[75:76], 1.0
	v_fma_f64 v[75:76], v[75:76], v[77:78], v[75:76]
	v_fma_f64 v[77:78], -v[73:74], v[75:76], 1.0
	v_fma_f64 v[75:76], v[75:76], v[77:78], v[75:76]
	v_mul_f64 v[77:78], v[79:80], v[75:76]
	v_fma_f64 v[73:74], -v[73:74], v[77:78], v[79:80]
	v_div_fmas_f64 v[73:74], v[73:74], v[75:76], v[77:78]
	v_div_fixup_f64 v[73:74], v[73:74], v[58:59], v[60:61]
	v_fma_f64 v[58:59], v[60:61], v[73:74], v[58:59]
	v_div_scale_f64 v[60:61], null, v[58:59], v[58:59], 1.0
	v_rcp_f64_e32 v[75:76], v[60:61]
	v_fma_f64 v[77:78], -v[60:61], v[75:76], 1.0
	v_fma_f64 v[75:76], v[75:76], v[77:78], v[75:76]
	v_fma_f64 v[77:78], -v[60:61], v[75:76], 1.0
	v_fma_f64 v[75:76], v[75:76], v[77:78], v[75:76]
	v_div_scale_f64 v[77:78], vcc_lo, 1.0, v[58:59], 1.0
	v_mul_f64 v[79:80], v[77:78], v[75:76]
	v_fma_f64 v[60:61], -v[60:61], v[79:80], v[77:78]
	v_div_fmas_f64 v[60:61], v[60:61], v[75:76], v[79:80]
	v_div_fixup_f64 v[58:59], v[60:61], v[58:59], 1.0
	v_mul_f64 v[60:61], v[73:74], -v[58:59]
.LBB26_198:
	s_or_b32 exec_lo, exec_lo, s1
.LBB26_199:
	s_or_b32 exec_lo, exec_lo, s0
	s_mov_b32 s0, exec_lo
	v_cmpx_ne_u32_e64 v72, v66
	s_xor_b32 s0, exec_lo, s0
	s_cbranch_execz .LBB26_205
; %bb.200:
	s_mov_b32 s1, exec_lo
	v_cmpx_eq_u32_e32 9, v72
	s_cbranch_execz .LBB26_204
; %bb.201:
	v_cmp_ne_u32_e32 vcc_lo, 9, v66
	s_xor_b32 s2, s16, -1
	s_and_b32 s3, s2, vcc_lo
	s_and_saveexec_b32 s2, s3
	s_cbranch_execz .LBB26_203
; %bb.202:
	v_ashrrev_i32_e32 v67, 31, v66
	v_lshlrev_b64 v[72:73], 2, v[66:67]
	v_add_co_u32 v72, vcc_lo, v64, v72
	v_add_co_ci_u32_e64 v73, null, v65, v73, vcc_lo
	s_clause 0x1
	global_load_dword v0, v[72:73], off
	global_load_dword v67, v[64:65], off offset:36
	s_waitcnt vmcnt(1)
	global_store_dword v[64:65], v0, off offset:36
	s_waitcnt vmcnt(0)
	global_store_dword v[72:73], v67, off
.LBB26_203:
	s_or_b32 exec_lo, exec_lo, s2
	v_mov_b32_e32 v72, v66
	v_mov_b32_e32 v0, v66
.LBB26_204:
	s_or_b32 exec_lo, exec_lo, s1
.LBB26_205:
	s_andn2_saveexec_b32 s0, s0
	s_cbranch_execz .LBB26_207
; %bb.206:
	v_mov_b32_e32 v72, 9
	ds_write2_b64 v1, v[10:11], v[12:13] offset0:20 offset1:21
	ds_write2_b64 v1, v[6:7], v[8:9] offset0:22 offset1:23
	;; [unrolled: 1-line block ×4, first 2 shown]
.LBB26_207:
	s_or_b32 exec_lo, exec_lo, s0
	s_mov_b32 s0, exec_lo
	s_waitcnt lgkmcnt(0)
	s_waitcnt_vscnt null, 0x0
	s_barrier
	buffer_gl0_inv
	v_cmpx_lt_i32_e32 9, v72
	s_cbranch_execz .LBB26_209
; %bb.208:
	v_mul_f64 v[66:67], v[58:59], v[16:17]
	v_mul_f64 v[16:17], v[60:61], v[16:17]
	v_fma_f64 v[66:67], v[60:61], v[14:15], v[66:67]
	v_fma_f64 v[14:15], v[58:59], v[14:15], -v[16:17]
	ds_read2_b64 v[58:61], v1 offset0:20 offset1:21
	s_waitcnt lgkmcnt(0)
	v_mul_f64 v[16:17], v[60:61], v[66:67]
	v_fma_f64 v[16:17], v[58:59], v[14:15], -v[16:17]
	v_mul_f64 v[58:59], v[58:59], v[66:67]
	v_add_f64 v[10:11], v[10:11], -v[16:17]
	v_fma_f64 v[58:59], v[60:61], v[14:15], v[58:59]
	v_add_f64 v[12:13], v[12:13], -v[58:59]
	ds_read2_b64 v[58:61], v1 offset0:22 offset1:23
	s_waitcnt lgkmcnt(0)
	v_mul_f64 v[16:17], v[60:61], v[66:67]
	v_fma_f64 v[16:17], v[58:59], v[14:15], -v[16:17]
	v_mul_f64 v[58:59], v[58:59], v[66:67]
	v_add_f64 v[6:7], v[6:7], -v[16:17]
	v_fma_f64 v[58:59], v[60:61], v[14:15], v[58:59]
	v_add_f64 v[8:9], v[8:9], -v[58:59]
	;; [unrolled: 8-line block ×3, first 2 shown]
	ds_read2_b64 v[58:61], v1 offset0:26 offset1:27
	s_waitcnt lgkmcnt(0)
	v_mul_f64 v[16:17], v[60:61], v[66:67]
	v_fma_f64 v[16:17], v[58:59], v[14:15], -v[16:17]
	v_mul_f64 v[58:59], v[58:59], v[66:67]
	v_add_f64 v[2:3], v[2:3], -v[16:17]
	v_fma_f64 v[58:59], v[60:61], v[14:15], v[58:59]
	v_mov_b32_e32 v16, v66
	v_mov_b32_e32 v17, v67
	v_add_f64 v[4:5], v[4:5], -v[58:59]
.LBB26_209:
	s_or_b32 exec_lo, exec_lo, s0
	v_lshl_add_u32 v58, v72, 4, v1
	s_barrier
	buffer_gl0_inv
	v_mov_b32_e32 v66, 10
	ds_write2_b64 v58, v[10:11], v[12:13] offset1:1
	s_waitcnt lgkmcnt(0)
	s_barrier
	buffer_gl0_inv
	ds_read2_b64 v[58:61], v1 offset0:20 offset1:21
	s_cmp_lt_i32 s18, 12
	s_cbranch_scc1 .LBB26_212
; %bb.210:
	v_add3_u32 v67, v68, 0, 0xb0
	v_mov_b32_e32 v66, 10
	s_mov_b32 s1, 11
	s_inst_prefetch 0x1
	.p2align	6
.LBB26_211:                             ; =>This Inner Loop Header: Depth=1
	s_waitcnt lgkmcnt(0)
	v_cmp_gt_f64_e32 vcc_lo, 0, v[60:61]
	v_cmp_gt_f64_e64 s0, 0, v[58:59]
	ds_read2_b64 v[73:76], v67 offset1:1
	v_xor_b32_e32 v78, 0x80000000, v59
	v_xor_b32_e32 v80, 0x80000000, v61
	v_mov_b32_e32 v77, v58
	v_mov_b32_e32 v79, v60
	v_add_nc_u32_e32 v67, 16, v67
	s_waitcnt lgkmcnt(0)
	v_xor_b32_e32 v82, 0x80000000, v76
	v_cndmask_b32_e64 v78, v59, v78, s0
	v_cndmask_b32_e32 v80, v61, v80, vcc_lo
	v_cmp_gt_f64_e32 vcc_lo, 0, v[75:76]
	v_cmp_gt_f64_e64 s0, 0, v[73:74]
	v_mov_b32_e32 v81, v75
	v_add_f64 v[77:78], v[77:78], v[79:80]
	v_xor_b32_e32 v80, 0x80000000, v74
	v_mov_b32_e32 v79, v73
	v_cndmask_b32_e32 v82, v76, v82, vcc_lo
	v_cndmask_b32_e64 v80, v74, v80, s0
	v_add_f64 v[79:80], v[79:80], v[81:82]
	v_cmp_lt_f64_e32 vcc_lo, v[77:78], v[79:80]
	v_cndmask_b32_e32 v59, v59, v74, vcc_lo
	v_cndmask_b32_e32 v58, v58, v73, vcc_lo
	;; [unrolled: 1-line block ×4, first 2 shown]
	v_cndmask_b32_e64 v66, v66, s1, vcc_lo
	s_add_i32 s1, s1, 1
	s_cmp_lg_u32 s18, s1
	s_cbranch_scc1 .LBB26_211
.LBB26_212:
	s_inst_prefetch 0x2
	s_waitcnt lgkmcnt(0)
	v_cmp_eq_f64_e32 vcc_lo, 0, v[58:59]
	v_cmp_eq_f64_e64 s0, 0, v[60:61]
	s_and_b32 s0, vcc_lo, s0
	s_and_saveexec_b32 s1, s0
	s_xor_b32 s0, exec_lo, s1
; %bb.213:
	v_cmp_ne_u32_e32 vcc_lo, 0, v71
	v_cndmask_b32_e32 v71, 11, v71, vcc_lo
; %bb.214:
	s_andn2_saveexec_b32 s0, s0
	s_cbranch_execz .LBB26_220
; %bb.215:
	v_cmp_ngt_f64_e64 s1, |v[58:59]|, |v[60:61]|
	s_and_saveexec_b32 s2, s1
	s_xor_b32 s1, exec_lo, s2
	s_cbranch_execz .LBB26_217
; %bb.216:
	v_div_scale_f64 v[73:74], null, v[60:61], v[60:61], v[58:59]
	v_div_scale_f64 v[79:80], vcc_lo, v[58:59], v[60:61], v[58:59]
	v_rcp_f64_e32 v[75:76], v[73:74]
	v_fma_f64 v[77:78], -v[73:74], v[75:76], 1.0
	v_fma_f64 v[75:76], v[75:76], v[77:78], v[75:76]
	v_fma_f64 v[77:78], -v[73:74], v[75:76], 1.0
	v_fma_f64 v[75:76], v[75:76], v[77:78], v[75:76]
	v_mul_f64 v[77:78], v[79:80], v[75:76]
	v_fma_f64 v[73:74], -v[73:74], v[77:78], v[79:80]
	v_div_fmas_f64 v[73:74], v[73:74], v[75:76], v[77:78]
	v_div_fixup_f64 v[73:74], v[73:74], v[60:61], v[58:59]
	v_fma_f64 v[58:59], v[58:59], v[73:74], v[60:61]
	v_div_scale_f64 v[60:61], null, v[58:59], v[58:59], 1.0
	v_rcp_f64_e32 v[75:76], v[60:61]
	v_fma_f64 v[77:78], -v[60:61], v[75:76], 1.0
	v_fma_f64 v[75:76], v[75:76], v[77:78], v[75:76]
	v_fma_f64 v[77:78], -v[60:61], v[75:76], 1.0
	v_fma_f64 v[75:76], v[75:76], v[77:78], v[75:76]
	v_div_scale_f64 v[77:78], vcc_lo, 1.0, v[58:59], 1.0
	v_mul_f64 v[79:80], v[77:78], v[75:76]
	v_fma_f64 v[60:61], -v[60:61], v[79:80], v[77:78]
	v_div_fmas_f64 v[60:61], v[60:61], v[75:76], v[79:80]
	v_div_fixup_f64 v[60:61], v[60:61], v[58:59], 1.0
	v_mul_f64 v[58:59], v[73:74], v[60:61]
	v_xor_b32_e32 v61, 0x80000000, v61
.LBB26_217:
	s_andn2_saveexec_b32 s1, s1
	s_cbranch_execz .LBB26_219
; %bb.218:
	v_div_scale_f64 v[73:74], null, v[58:59], v[58:59], v[60:61]
	v_div_scale_f64 v[79:80], vcc_lo, v[60:61], v[58:59], v[60:61]
	v_rcp_f64_e32 v[75:76], v[73:74]
	v_fma_f64 v[77:78], -v[73:74], v[75:76], 1.0
	v_fma_f64 v[75:76], v[75:76], v[77:78], v[75:76]
	v_fma_f64 v[77:78], -v[73:74], v[75:76], 1.0
	v_fma_f64 v[75:76], v[75:76], v[77:78], v[75:76]
	v_mul_f64 v[77:78], v[79:80], v[75:76]
	v_fma_f64 v[73:74], -v[73:74], v[77:78], v[79:80]
	v_div_fmas_f64 v[73:74], v[73:74], v[75:76], v[77:78]
	v_div_fixup_f64 v[73:74], v[73:74], v[58:59], v[60:61]
	v_fma_f64 v[58:59], v[60:61], v[73:74], v[58:59]
	v_div_scale_f64 v[60:61], null, v[58:59], v[58:59], 1.0
	v_rcp_f64_e32 v[75:76], v[60:61]
	v_fma_f64 v[77:78], -v[60:61], v[75:76], 1.0
	v_fma_f64 v[75:76], v[75:76], v[77:78], v[75:76]
	v_fma_f64 v[77:78], -v[60:61], v[75:76], 1.0
	v_fma_f64 v[75:76], v[75:76], v[77:78], v[75:76]
	v_div_scale_f64 v[77:78], vcc_lo, 1.0, v[58:59], 1.0
	v_mul_f64 v[79:80], v[77:78], v[75:76]
	v_fma_f64 v[60:61], -v[60:61], v[79:80], v[77:78]
	v_div_fmas_f64 v[60:61], v[60:61], v[75:76], v[79:80]
	v_div_fixup_f64 v[58:59], v[60:61], v[58:59], 1.0
	v_mul_f64 v[60:61], v[73:74], -v[58:59]
.LBB26_219:
	s_or_b32 exec_lo, exec_lo, s1
.LBB26_220:
	s_or_b32 exec_lo, exec_lo, s0
	s_mov_b32 s0, exec_lo
	v_cmpx_ne_u32_e64 v72, v66
	s_xor_b32 s0, exec_lo, s0
	s_cbranch_execz .LBB26_226
; %bb.221:
	s_mov_b32 s1, exec_lo
	v_cmpx_eq_u32_e32 10, v72
	s_cbranch_execz .LBB26_225
; %bb.222:
	v_cmp_ne_u32_e32 vcc_lo, 10, v66
	s_xor_b32 s2, s16, -1
	s_and_b32 s3, s2, vcc_lo
	s_and_saveexec_b32 s2, s3
	s_cbranch_execz .LBB26_224
; %bb.223:
	v_ashrrev_i32_e32 v67, 31, v66
	v_lshlrev_b64 v[72:73], 2, v[66:67]
	v_add_co_u32 v72, vcc_lo, v64, v72
	v_add_co_ci_u32_e64 v73, null, v65, v73, vcc_lo
	s_clause 0x1
	global_load_dword v0, v[72:73], off
	global_load_dword v67, v[64:65], off offset:40
	s_waitcnt vmcnt(1)
	global_store_dword v[64:65], v0, off offset:40
	s_waitcnt vmcnt(0)
	global_store_dword v[72:73], v67, off
.LBB26_224:
	s_or_b32 exec_lo, exec_lo, s2
	v_mov_b32_e32 v72, v66
	v_mov_b32_e32 v0, v66
.LBB26_225:
	s_or_b32 exec_lo, exec_lo, s1
.LBB26_226:
	s_andn2_saveexec_b32 s0, s0
	s_cbranch_execz .LBB26_228
; %bb.227:
	v_mov_b32_e32 v72, 10
	ds_write2_b64 v1, v[6:7], v[8:9] offset0:22 offset1:23
	ds_write2_b64 v1, v[18:19], v[20:21] offset0:24 offset1:25
	;; [unrolled: 1-line block ×3, first 2 shown]
.LBB26_228:
	s_or_b32 exec_lo, exec_lo, s0
	s_mov_b32 s0, exec_lo
	s_waitcnt lgkmcnt(0)
	s_waitcnt_vscnt null, 0x0
	s_barrier
	buffer_gl0_inv
	v_cmpx_lt_i32_e32 10, v72
	s_cbranch_execz .LBB26_230
; %bb.229:
	v_mul_f64 v[66:67], v[58:59], v[12:13]
	v_mul_f64 v[12:13], v[60:61], v[12:13]
	ds_read2_b64 v[73:76], v1 offset0:22 offset1:23
	ds_read2_b64 v[77:80], v1 offset0:24 offset1:25
	ds_read2_b64 v[81:84], v1 offset0:26 offset1:27
	v_fma_f64 v[60:61], v[60:61], v[10:11], v[66:67]
	v_fma_f64 v[10:11], v[58:59], v[10:11], -v[12:13]
	s_waitcnt lgkmcnt(2)
	v_mul_f64 v[12:13], v[75:76], v[60:61]
	v_mul_f64 v[58:59], v[73:74], v[60:61]
	s_waitcnt lgkmcnt(1)
	v_mul_f64 v[66:67], v[79:80], v[60:61]
	v_mul_f64 v[85:86], v[77:78], v[60:61]
	;; [unrolled: 3-line block ×3, first 2 shown]
	v_fma_f64 v[12:13], v[73:74], v[10:11], -v[12:13]
	v_fma_f64 v[58:59], v[75:76], v[10:11], v[58:59]
	v_fma_f64 v[66:67], v[77:78], v[10:11], -v[66:67]
	v_fma_f64 v[73:74], v[79:80], v[10:11], v[85:86]
	;; [unrolled: 2-line block ×3, first 2 shown]
	v_add_f64 v[6:7], v[6:7], -v[12:13]
	v_add_f64 v[8:9], v[8:9], -v[58:59]
	;; [unrolled: 1-line block ×6, first 2 shown]
	v_mov_b32_e32 v12, v60
	v_mov_b32_e32 v13, v61
.LBB26_230:
	s_or_b32 exec_lo, exec_lo, s0
	v_lshl_add_u32 v58, v72, 4, v1
	s_barrier
	buffer_gl0_inv
	v_mov_b32_e32 v66, 11
	ds_write2_b64 v58, v[6:7], v[8:9] offset1:1
	s_waitcnt lgkmcnt(0)
	s_barrier
	buffer_gl0_inv
	ds_read2_b64 v[58:61], v1 offset0:22 offset1:23
	s_cmp_lt_i32 s18, 13
	s_cbranch_scc1 .LBB26_233
; %bb.231:
	v_add3_u32 v67, v68, 0, 0xc0
	v_mov_b32_e32 v66, 11
	s_mov_b32 s1, 12
	s_inst_prefetch 0x1
	.p2align	6
.LBB26_232:                             ; =>This Inner Loop Header: Depth=1
	s_waitcnt lgkmcnt(0)
	v_cmp_gt_f64_e32 vcc_lo, 0, v[60:61]
	v_cmp_gt_f64_e64 s0, 0, v[58:59]
	ds_read2_b64 v[73:76], v67 offset1:1
	v_xor_b32_e32 v78, 0x80000000, v59
	v_xor_b32_e32 v80, 0x80000000, v61
	v_mov_b32_e32 v77, v58
	v_mov_b32_e32 v79, v60
	v_add_nc_u32_e32 v67, 16, v67
	s_waitcnt lgkmcnt(0)
	v_xor_b32_e32 v82, 0x80000000, v76
	v_cndmask_b32_e64 v78, v59, v78, s0
	v_cndmask_b32_e32 v80, v61, v80, vcc_lo
	v_cmp_gt_f64_e32 vcc_lo, 0, v[75:76]
	v_cmp_gt_f64_e64 s0, 0, v[73:74]
	v_mov_b32_e32 v81, v75
	v_add_f64 v[77:78], v[77:78], v[79:80]
	v_xor_b32_e32 v80, 0x80000000, v74
	v_mov_b32_e32 v79, v73
	v_cndmask_b32_e32 v82, v76, v82, vcc_lo
	v_cndmask_b32_e64 v80, v74, v80, s0
	v_add_f64 v[79:80], v[79:80], v[81:82]
	v_cmp_lt_f64_e32 vcc_lo, v[77:78], v[79:80]
	v_cndmask_b32_e32 v59, v59, v74, vcc_lo
	v_cndmask_b32_e32 v58, v58, v73, vcc_lo
	;; [unrolled: 1-line block ×4, first 2 shown]
	v_cndmask_b32_e64 v66, v66, s1, vcc_lo
	s_add_i32 s1, s1, 1
	s_cmp_lg_u32 s18, s1
	s_cbranch_scc1 .LBB26_232
.LBB26_233:
	s_inst_prefetch 0x2
	s_waitcnt lgkmcnt(0)
	v_cmp_eq_f64_e32 vcc_lo, 0, v[58:59]
	v_cmp_eq_f64_e64 s0, 0, v[60:61]
	s_and_b32 s0, vcc_lo, s0
	s_and_saveexec_b32 s1, s0
	s_xor_b32 s0, exec_lo, s1
; %bb.234:
	v_cmp_ne_u32_e32 vcc_lo, 0, v71
	v_cndmask_b32_e32 v71, 12, v71, vcc_lo
; %bb.235:
	s_andn2_saveexec_b32 s0, s0
	s_cbranch_execz .LBB26_241
; %bb.236:
	v_cmp_ngt_f64_e64 s1, |v[58:59]|, |v[60:61]|
	s_and_saveexec_b32 s2, s1
	s_xor_b32 s1, exec_lo, s2
	s_cbranch_execz .LBB26_238
; %bb.237:
	v_div_scale_f64 v[73:74], null, v[60:61], v[60:61], v[58:59]
	v_div_scale_f64 v[79:80], vcc_lo, v[58:59], v[60:61], v[58:59]
	v_rcp_f64_e32 v[75:76], v[73:74]
	v_fma_f64 v[77:78], -v[73:74], v[75:76], 1.0
	v_fma_f64 v[75:76], v[75:76], v[77:78], v[75:76]
	v_fma_f64 v[77:78], -v[73:74], v[75:76], 1.0
	v_fma_f64 v[75:76], v[75:76], v[77:78], v[75:76]
	v_mul_f64 v[77:78], v[79:80], v[75:76]
	v_fma_f64 v[73:74], -v[73:74], v[77:78], v[79:80]
	v_div_fmas_f64 v[73:74], v[73:74], v[75:76], v[77:78]
	v_div_fixup_f64 v[73:74], v[73:74], v[60:61], v[58:59]
	v_fma_f64 v[58:59], v[58:59], v[73:74], v[60:61]
	v_div_scale_f64 v[60:61], null, v[58:59], v[58:59], 1.0
	v_rcp_f64_e32 v[75:76], v[60:61]
	v_fma_f64 v[77:78], -v[60:61], v[75:76], 1.0
	v_fma_f64 v[75:76], v[75:76], v[77:78], v[75:76]
	v_fma_f64 v[77:78], -v[60:61], v[75:76], 1.0
	v_fma_f64 v[75:76], v[75:76], v[77:78], v[75:76]
	v_div_scale_f64 v[77:78], vcc_lo, 1.0, v[58:59], 1.0
	v_mul_f64 v[79:80], v[77:78], v[75:76]
	v_fma_f64 v[60:61], -v[60:61], v[79:80], v[77:78]
	v_div_fmas_f64 v[60:61], v[60:61], v[75:76], v[79:80]
	v_div_fixup_f64 v[60:61], v[60:61], v[58:59], 1.0
	v_mul_f64 v[58:59], v[73:74], v[60:61]
	v_xor_b32_e32 v61, 0x80000000, v61
.LBB26_238:
	s_andn2_saveexec_b32 s1, s1
	s_cbranch_execz .LBB26_240
; %bb.239:
	v_div_scale_f64 v[73:74], null, v[58:59], v[58:59], v[60:61]
	v_div_scale_f64 v[79:80], vcc_lo, v[60:61], v[58:59], v[60:61]
	v_rcp_f64_e32 v[75:76], v[73:74]
	v_fma_f64 v[77:78], -v[73:74], v[75:76], 1.0
	v_fma_f64 v[75:76], v[75:76], v[77:78], v[75:76]
	v_fma_f64 v[77:78], -v[73:74], v[75:76], 1.0
	v_fma_f64 v[75:76], v[75:76], v[77:78], v[75:76]
	v_mul_f64 v[77:78], v[79:80], v[75:76]
	v_fma_f64 v[73:74], -v[73:74], v[77:78], v[79:80]
	v_div_fmas_f64 v[73:74], v[73:74], v[75:76], v[77:78]
	v_div_fixup_f64 v[73:74], v[73:74], v[58:59], v[60:61]
	v_fma_f64 v[58:59], v[60:61], v[73:74], v[58:59]
	v_div_scale_f64 v[60:61], null, v[58:59], v[58:59], 1.0
	v_rcp_f64_e32 v[75:76], v[60:61]
	v_fma_f64 v[77:78], -v[60:61], v[75:76], 1.0
	v_fma_f64 v[75:76], v[75:76], v[77:78], v[75:76]
	v_fma_f64 v[77:78], -v[60:61], v[75:76], 1.0
	v_fma_f64 v[75:76], v[75:76], v[77:78], v[75:76]
	v_div_scale_f64 v[77:78], vcc_lo, 1.0, v[58:59], 1.0
	v_mul_f64 v[79:80], v[77:78], v[75:76]
	v_fma_f64 v[60:61], -v[60:61], v[79:80], v[77:78]
	v_div_fmas_f64 v[60:61], v[60:61], v[75:76], v[79:80]
	v_div_fixup_f64 v[58:59], v[60:61], v[58:59], 1.0
	v_mul_f64 v[60:61], v[73:74], -v[58:59]
.LBB26_240:
	s_or_b32 exec_lo, exec_lo, s1
.LBB26_241:
	s_or_b32 exec_lo, exec_lo, s0
	s_mov_b32 s0, exec_lo
	v_cmpx_ne_u32_e64 v72, v66
	s_xor_b32 s0, exec_lo, s0
	s_cbranch_execz .LBB26_247
; %bb.242:
	s_mov_b32 s1, exec_lo
	v_cmpx_eq_u32_e32 11, v72
	s_cbranch_execz .LBB26_246
; %bb.243:
	v_cmp_ne_u32_e32 vcc_lo, 11, v66
	s_xor_b32 s2, s16, -1
	s_and_b32 s3, s2, vcc_lo
	s_and_saveexec_b32 s2, s3
	s_cbranch_execz .LBB26_245
; %bb.244:
	v_ashrrev_i32_e32 v67, 31, v66
	v_lshlrev_b64 v[72:73], 2, v[66:67]
	v_add_co_u32 v72, vcc_lo, v64, v72
	v_add_co_ci_u32_e64 v73, null, v65, v73, vcc_lo
	s_clause 0x1
	global_load_dword v0, v[72:73], off
	global_load_dword v67, v[64:65], off offset:44
	s_waitcnt vmcnt(1)
	global_store_dword v[64:65], v0, off offset:44
	s_waitcnt vmcnt(0)
	global_store_dword v[72:73], v67, off
.LBB26_245:
	s_or_b32 exec_lo, exec_lo, s2
	v_mov_b32_e32 v72, v66
	v_mov_b32_e32 v0, v66
.LBB26_246:
	s_or_b32 exec_lo, exec_lo, s1
.LBB26_247:
	s_andn2_saveexec_b32 s0, s0
	s_cbranch_execz .LBB26_249
; %bb.248:
	v_mov_b32_e32 v72, 11
	ds_write2_b64 v1, v[18:19], v[20:21] offset0:24 offset1:25
	ds_write2_b64 v1, v[2:3], v[4:5] offset0:26 offset1:27
.LBB26_249:
	s_or_b32 exec_lo, exec_lo, s0
	s_mov_b32 s0, exec_lo
	s_waitcnt lgkmcnt(0)
	s_waitcnt_vscnt null, 0x0
	s_barrier
	buffer_gl0_inv
	v_cmpx_lt_i32_e32 11, v72
	s_cbranch_execz .LBB26_251
; %bb.250:
	v_mul_f64 v[66:67], v[58:59], v[8:9]
	v_mul_f64 v[8:9], v[60:61], v[8:9]
	ds_read2_b64 v[73:76], v1 offset0:24 offset1:25
	ds_read2_b64 v[77:80], v1 offset0:26 offset1:27
	v_fma_f64 v[60:61], v[60:61], v[6:7], v[66:67]
	v_fma_f64 v[6:7], v[58:59], v[6:7], -v[8:9]
	s_waitcnt lgkmcnt(1)
	v_mul_f64 v[8:9], v[75:76], v[60:61]
	v_mul_f64 v[58:59], v[73:74], v[60:61]
	s_waitcnt lgkmcnt(0)
	v_mul_f64 v[66:67], v[79:80], v[60:61]
	v_mul_f64 v[81:82], v[77:78], v[60:61]
	v_fma_f64 v[8:9], v[73:74], v[6:7], -v[8:9]
	v_fma_f64 v[58:59], v[75:76], v[6:7], v[58:59]
	v_fma_f64 v[66:67], v[77:78], v[6:7], -v[66:67]
	v_fma_f64 v[73:74], v[79:80], v[6:7], v[81:82]
	v_add_f64 v[18:19], v[18:19], -v[8:9]
	v_add_f64 v[20:21], v[20:21], -v[58:59]
	;; [unrolled: 1-line block ×4, first 2 shown]
	v_mov_b32_e32 v8, v60
	v_mov_b32_e32 v9, v61
.LBB26_251:
	s_or_b32 exec_lo, exec_lo, s0
	v_lshl_add_u32 v58, v72, 4, v1
	s_barrier
	buffer_gl0_inv
	v_mov_b32_e32 v66, 12
	ds_write2_b64 v58, v[18:19], v[20:21] offset1:1
	s_waitcnt lgkmcnt(0)
	s_barrier
	buffer_gl0_inv
	ds_read2_b64 v[58:61], v1 offset0:24 offset1:25
	s_cmp_lt_i32 s18, 14
	s_cbranch_scc1 .LBB26_254
; %bb.252:
	v_add3_u32 v67, v68, 0, 0xd0
	v_mov_b32_e32 v66, 12
	s_mov_b32 s1, 13
	s_inst_prefetch 0x1
	.p2align	6
.LBB26_253:                             ; =>This Inner Loop Header: Depth=1
	s_waitcnt lgkmcnt(0)
	v_cmp_gt_f64_e32 vcc_lo, 0, v[60:61]
	v_cmp_gt_f64_e64 s0, 0, v[58:59]
	ds_read2_b64 v[73:76], v67 offset1:1
	v_xor_b32_e32 v78, 0x80000000, v59
	v_xor_b32_e32 v80, 0x80000000, v61
	v_mov_b32_e32 v77, v58
	v_mov_b32_e32 v79, v60
	v_add_nc_u32_e32 v67, 16, v67
	s_waitcnt lgkmcnt(0)
	v_xor_b32_e32 v82, 0x80000000, v76
	v_cndmask_b32_e64 v78, v59, v78, s0
	v_cndmask_b32_e32 v80, v61, v80, vcc_lo
	v_cmp_gt_f64_e32 vcc_lo, 0, v[75:76]
	v_cmp_gt_f64_e64 s0, 0, v[73:74]
	v_mov_b32_e32 v81, v75
	v_add_f64 v[77:78], v[77:78], v[79:80]
	v_xor_b32_e32 v80, 0x80000000, v74
	v_mov_b32_e32 v79, v73
	v_cndmask_b32_e32 v82, v76, v82, vcc_lo
	v_cndmask_b32_e64 v80, v74, v80, s0
	v_add_f64 v[79:80], v[79:80], v[81:82]
	v_cmp_lt_f64_e32 vcc_lo, v[77:78], v[79:80]
	v_cndmask_b32_e32 v59, v59, v74, vcc_lo
	v_cndmask_b32_e32 v58, v58, v73, vcc_lo
	v_cndmask_b32_e32 v61, v61, v76, vcc_lo
	v_cndmask_b32_e32 v60, v60, v75, vcc_lo
	v_cndmask_b32_e64 v66, v66, s1, vcc_lo
	s_add_i32 s1, s1, 1
	s_cmp_lg_u32 s18, s1
	s_cbranch_scc1 .LBB26_253
.LBB26_254:
	s_inst_prefetch 0x2
	s_waitcnt lgkmcnt(0)
	v_cmp_eq_f64_e32 vcc_lo, 0, v[58:59]
	v_cmp_eq_f64_e64 s0, 0, v[60:61]
	s_and_b32 s0, vcc_lo, s0
	s_and_saveexec_b32 s1, s0
	s_xor_b32 s0, exec_lo, s1
; %bb.255:
	v_cmp_ne_u32_e32 vcc_lo, 0, v71
	v_cndmask_b32_e32 v71, 13, v71, vcc_lo
; %bb.256:
	s_andn2_saveexec_b32 s0, s0
	s_cbranch_execz .LBB26_262
; %bb.257:
	v_cmp_ngt_f64_e64 s1, |v[58:59]|, |v[60:61]|
	s_and_saveexec_b32 s2, s1
	s_xor_b32 s1, exec_lo, s2
	s_cbranch_execz .LBB26_259
; %bb.258:
	v_div_scale_f64 v[73:74], null, v[60:61], v[60:61], v[58:59]
	v_div_scale_f64 v[79:80], vcc_lo, v[58:59], v[60:61], v[58:59]
	v_rcp_f64_e32 v[75:76], v[73:74]
	v_fma_f64 v[77:78], -v[73:74], v[75:76], 1.0
	v_fma_f64 v[75:76], v[75:76], v[77:78], v[75:76]
	v_fma_f64 v[77:78], -v[73:74], v[75:76], 1.0
	v_fma_f64 v[75:76], v[75:76], v[77:78], v[75:76]
	v_mul_f64 v[77:78], v[79:80], v[75:76]
	v_fma_f64 v[73:74], -v[73:74], v[77:78], v[79:80]
	v_div_fmas_f64 v[73:74], v[73:74], v[75:76], v[77:78]
	v_div_fixup_f64 v[73:74], v[73:74], v[60:61], v[58:59]
	v_fma_f64 v[58:59], v[58:59], v[73:74], v[60:61]
	v_div_scale_f64 v[60:61], null, v[58:59], v[58:59], 1.0
	v_rcp_f64_e32 v[75:76], v[60:61]
	v_fma_f64 v[77:78], -v[60:61], v[75:76], 1.0
	v_fma_f64 v[75:76], v[75:76], v[77:78], v[75:76]
	v_fma_f64 v[77:78], -v[60:61], v[75:76], 1.0
	v_fma_f64 v[75:76], v[75:76], v[77:78], v[75:76]
	v_div_scale_f64 v[77:78], vcc_lo, 1.0, v[58:59], 1.0
	v_mul_f64 v[79:80], v[77:78], v[75:76]
	v_fma_f64 v[60:61], -v[60:61], v[79:80], v[77:78]
	v_div_fmas_f64 v[60:61], v[60:61], v[75:76], v[79:80]
	v_div_fixup_f64 v[60:61], v[60:61], v[58:59], 1.0
	v_mul_f64 v[58:59], v[73:74], v[60:61]
	v_xor_b32_e32 v61, 0x80000000, v61
.LBB26_259:
	s_andn2_saveexec_b32 s1, s1
	s_cbranch_execz .LBB26_261
; %bb.260:
	v_div_scale_f64 v[73:74], null, v[58:59], v[58:59], v[60:61]
	v_div_scale_f64 v[79:80], vcc_lo, v[60:61], v[58:59], v[60:61]
	v_rcp_f64_e32 v[75:76], v[73:74]
	v_fma_f64 v[77:78], -v[73:74], v[75:76], 1.0
	v_fma_f64 v[75:76], v[75:76], v[77:78], v[75:76]
	v_fma_f64 v[77:78], -v[73:74], v[75:76], 1.0
	v_fma_f64 v[75:76], v[75:76], v[77:78], v[75:76]
	v_mul_f64 v[77:78], v[79:80], v[75:76]
	v_fma_f64 v[73:74], -v[73:74], v[77:78], v[79:80]
	v_div_fmas_f64 v[73:74], v[73:74], v[75:76], v[77:78]
	v_div_fixup_f64 v[73:74], v[73:74], v[58:59], v[60:61]
	v_fma_f64 v[58:59], v[60:61], v[73:74], v[58:59]
	v_div_scale_f64 v[60:61], null, v[58:59], v[58:59], 1.0
	v_rcp_f64_e32 v[75:76], v[60:61]
	v_fma_f64 v[77:78], -v[60:61], v[75:76], 1.0
	v_fma_f64 v[75:76], v[75:76], v[77:78], v[75:76]
	v_fma_f64 v[77:78], -v[60:61], v[75:76], 1.0
	v_fma_f64 v[75:76], v[75:76], v[77:78], v[75:76]
	v_div_scale_f64 v[77:78], vcc_lo, 1.0, v[58:59], 1.0
	v_mul_f64 v[79:80], v[77:78], v[75:76]
	v_fma_f64 v[60:61], -v[60:61], v[79:80], v[77:78]
	v_div_fmas_f64 v[60:61], v[60:61], v[75:76], v[79:80]
	v_div_fixup_f64 v[58:59], v[60:61], v[58:59], 1.0
	v_mul_f64 v[60:61], v[73:74], -v[58:59]
.LBB26_261:
	s_or_b32 exec_lo, exec_lo, s1
.LBB26_262:
	s_or_b32 exec_lo, exec_lo, s0
	s_mov_b32 s0, exec_lo
	v_cmpx_ne_u32_e64 v72, v66
	s_xor_b32 s0, exec_lo, s0
	s_cbranch_execz .LBB26_268
; %bb.263:
	s_mov_b32 s1, exec_lo
	v_cmpx_eq_u32_e32 12, v72
	s_cbranch_execz .LBB26_267
; %bb.264:
	v_cmp_ne_u32_e32 vcc_lo, 12, v66
	s_xor_b32 s2, s16, -1
	s_and_b32 s3, s2, vcc_lo
	s_and_saveexec_b32 s2, s3
	s_cbranch_execz .LBB26_266
; %bb.265:
	v_ashrrev_i32_e32 v67, 31, v66
	v_lshlrev_b64 v[72:73], 2, v[66:67]
	v_add_co_u32 v72, vcc_lo, v64, v72
	v_add_co_ci_u32_e64 v73, null, v65, v73, vcc_lo
	s_clause 0x1
	global_load_dword v0, v[72:73], off
	global_load_dword v67, v[64:65], off offset:48
	s_waitcnt vmcnt(1)
	global_store_dword v[64:65], v0, off offset:48
	s_waitcnt vmcnt(0)
	global_store_dword v[72:73], v67, off
.LBB26_266:
	s_or_b32 exec_lo, exec_lo, s2
	v_mov_b32_e32 v72, v66
	v_mov_b32_e32 v0, v66
.LBB26_267:
	s_or_b32 exec_lo, exec_lo, s1
.LBB26_268:
	s_andn2_saveexec_b32 s0, s0
; %bb.269:
	v_mov_b32_e32 v72, 12
	ds_write2_b64 v1, v[2:3], v[4:5] offset0:26 offset1:27
; %bb.270:
	s_or_b32 exec_lo, exec_lo, s0
	s_mov_b32 s0, exec_lo
	s_waitcnt lgkmcnt(0)
	s_waitcnt_vscnt null, 0x0
	s_barrier
	buffer_gl0_inv
	v_cmpx_lt_i32_e32 12, v72
	s_cbranch_execz .LBB26_272
; %bb.271:
	v_mul_f64 v[66:67], v[58:59], v[20:21]
	v_mul_f64 v[20:21], v[60:61], v[20:21]
	ds_read2_b64 v[73:76], v1 offset0:26 offset1:27
	v_fma_f64 v[60:61], v[60:61], v[18:19], v[66:67]
	v_fma_f64 v[18:19], v[58:59], v[18:19], -v[20:21]
	s_waitcnt lgkmcnt(0)
	v_mul_f64 v[20:21], v[75:76], v[60:61]
	v_mul_f64 v[58:59], v[73:74], v[60:61]
	v_fma_f64 v[20:21], v[73:74], v[18:19], -v[20:21]
	v_fma_f64 v[58:59], v[75:76], v[18:19], v[58:59]
	v_add_f64 v[2:3], v[2:3], -v[20:21]
	v_add_f64 v[4:5], v[4:5], -v[58:59]
	v_mov_b32_e32 v20, v60
	v_mov_b32_e32 v21, v61
.LBB26_272:
	s_or_b32 exec_lo, exec_lo, s0
	v_lshl_add_u32 v58, v72, 4, v1
	s_barrier
	buffer_gl0_inv
	v_mov_b32_e32 v66, 13
	ds_write2_b64 v58, v[2:3], v[4:5] offset1:1
	s_waitcnt lgkmcnt(0)
	s_barrier
	buffer_gl0_inv
	ds_read2_b64 v[58:61], v1 offset0:26 offset1:27
	s_cmp_lt_i32 s18, 15
	s_cbranch_scc1 .LBB26_275
; %bb.273:
	v_add3_u32 v1, v68, 0, 0xe0
	v_mov_b32_e32 v66, 13
	s_mov_b32 s1, 14
	s_inst_prefetch 0x1
	.p2align	6
.LBB26_274:                             ; =>This Inner Loop Header: Depth=1
	s_waitcnt lgkmcnt(0)
	v_cmp_gt_f64_e32 vcc_lo, 0, v[60:61]
	v_cmp_gt_f64_e64 s0, 0, v[58:59]
	ds_read2_b64 v[73:76], v1 offset1:1
	v_xor_b32_e32 v68, 0x80000000, v59
	v_xor_b32_e32 v78, 0x80000000, v61
	v_mov_b32_e32 v67, v58
	v_mov_b32_e32 v77, v60
	v_add_nc_u32_e32 v1, 16, v1
	s_waitcnt lgkmcnt(0)
	v_xor_b32_e32 v80, 0x80000000, v76
	v_cndmask_b32_e64 v68, v59, v68, s0
	v_cndmask_b32_e32 v78, v61, v78, vcc_lo
	v_cmp_gt_f64_e32 vcc_lo, 0, v[75:76]
	v_cmp_gt_f64_e64 s0, 0, v[73:74]
	v_mov_b32_e32 v79, v75
	v_add_f64 v[67:68], v[67:68], v[77:78]
	v_xor_b32_e32 v78, 0x80000000, v74
	v_mov_b32_e32 v77, v73
	v_cndmask_b32_e32 v80, v76, v80, vcc_lo
	v_cndmask_b32_e64 v78, v74, v78, s0
	v_add_f64 v[77:78], v[77:78], v[79:80]
	v_cmp_lt_f64_e32 vcc_lo, v[67:68], v[77:78]
	v_cndmask_b32_e32 v59, v59, v74, vcc_lo
	v_cndmask_b32_e32 v58, v58, v73, vcc_lo
	;; [unrolled: 1-line block ×4, first 2 shown]
	v_cndmask_b32_e64 v66, v66, s1, vcc_lo
	s_add_i32 s1, s1, 1
	s_cmp_lg_u32 s18, s1
	s_cbranch_scc1 .LBB26_274
.LBB26_275:
	s_inst_prefetch 0x2
	s_waitcnt lgkmcnt(0)
	v_cmp_eq_f64_e32 vcc_lo, 0, v[58:59]
	v_cmp_eq_f64_e64 s0, 0, v[60:61]
	s_and_b32 s0, vcc_lo, s0
	s_and_saveexec_b32 s1, s0
	s_xor_b32 s0, exec_lo, s1
; %bb.276:
	v_cmp_ne_u32_e32 vcc_lo, 0, v71
	v_cndmask_b32_e32 v71, 14, v71, vcc_lo
; %bb.277:
	s_andn2_saveexec_b32 s0, s0
	s_cbranch_execz .LBB26_283
; %bb.278:
	v_cmp_ngt_f64_e64 s1, |v[58:59]|, |v[60:61]|
	s_and_saveexec_b32 s2, s1
	s_xor_b32 s1, exec_lo, s2
	s_cbranch_execz .LBB26_280
; %bb.279:
	v_div_scale_f64 v[67:68], null, v[60:61], v[60:61], v[58:59]
	v_div_scale_f64 v[77:78], vcc_lo, v[58:59], v[60:61], v[58:59]
	v_rcp_f64_e32 v[73:74], v[67:68]
	v_fma_f64 v[75:76], -v[67:68], v[73:74], 1.0
	v_fma_f64 v[73:74], v[73:74], v[75:76], v[73:74]
	v_fma_f64 v[75:76], -v[67:68], v[73:74], 1.0
	v_fma_f64 v[73:74], v[73:74], v[75:76], v[73:74]
	v_mul_f64 v[75:76], v[77:78], v[73:74]
	v_fma_f64 v[67:68], -v[67:68], v[75:76], v[77:78]
	v_div_fmas_f64 v[67:68], v[67:68], v[73:74], v[75:76]
	v_div_fixup_f64 v[67:68], v[67:68], v[60:61], v[58:59]
	v_fma_f64 v[58:59], v[58:59], v[67:68], v[60:61]
	v_div_scale_f64 v[60:61], null, v[58:59], v[58:59], 1.0
	v_rcp_f64_e32 v[73:74], v[60:61]
	v_fma_f64 v[75:76], -v[60:61], v[73:74], 1.0
	v_fma_f64 v[73:74], v[73:74], v[75:76], v[73:74]
	v_fma_f64 v[75:76], -v[60:61], v[73:74], 1.0
	v_fma_f64 v[73:74], v[73:74], v[75:76], v[73:74]
	v_div_scale_f64 v[75:76], vcc_lo, 1.0, v[58:59], 1.0
	v_mul_f64 v[77:78], v[75:76], v[73:74]
	v_fma_f64 v[60:61], -v[60:61], v[77:78], v[75:76]
	v_div_fmas_f64 v[60:61], v[60:61], v[73:74], v[77:78]
	v_div_fixup_f64 v[60:61], v[60:61], v[58:59], 1.0
	v_mul_f64 v[58:59], v[67:68], v[60:61]
	v_xor_b32_e32 v61, 0x80000000, v61
.LBB26_280:
	s_andn2_saveexec_b32 s1, s1
	s_cbranch_execz .LBB26_282
; %bb.281:
	v_div_scale_f64 v[67:68], null, v[58:59], v[58:59], v[60:61]
	v_div_scale_f64 v[77:78], vcc_lo, v[60:61], v[58:59], v[60:61]
	v_rcp_f64_e32 v[73:74], v[67:68]
	v_fma_f64 v[75:76], -v[67:68], v[73:74], 1.0
	v_fma_f64 v[73:74], v[73:74], v[75:76], v[73:74]
	v_fma_f64 v[75:76], -v[67:68], v[73:74], 1.0
	v_fma_f64 v[73:74], v[73:74], v[75:76], v[73:74]
	v_mul_f64 v[75:76], v[77:78], v[73:74]
	v_fma_f64 v[67:68], -v[67:68], v[75:76], v[77:78]
	v_div_fmas_f64 v[67:68], v[67:68], v[73:74], v[75:76]
	v_div_fixup_f64 v[67:68], v[67:68], v[58:59], v[60:61]
	v_fma_f64 v[58:59], v[60:61], v[67:68], v[58:59]
	v_div_scale_f64 v[60:61], null, v[58:59], v[58:59], 1.0
	v_rcp_f64_e32 v[73:74], v[60:61]
	v_fma_f64 v[75:76], -v[60:61], v[73:74], 1.0
	v_fma_f64 v[73:74], v[73:74], v[75:76], v[73:74]
	v_fma_f64 v[75:76], -v[60:61], v[73:74], 1.0
	v_fma_f64 v[73:74], v[73:74], v[75:76], v[73:74]
	v_div_scale_f64 v[75:76], vcc_lo, 1.0, v[58:59], 1.0
	v_mul_f64 v[77:78], v[75:76], v[73:74]
	v_fma_f64 v[60:61], -v[60:61], v[77:78], v[75:76]
	v_div_fmas_f64 v[60:61], v[60:61], v[73:74], v[77:78]
	v_div_fixup_f64 v[58:59], v[60:61], v[58:59], 1.0
	v_mul_f64 v[60:61], v[67:68], -v[58:59]
.LBB26_282:
	s_or_b32 exec_lo, exec_lo, s1
.LBB26_283:
	s_or_b32 exec_lo, exec_lo, s0
	v_mov_b32_e32 v67, 13
	s_mov_b32 s0, exec_lo
	v_cmpx_ne_u32_e64 v72, v66
	s_cbranch_execz .LBB26_289
; %bb.284:
	s_mov_b32 s1, exec_lo
	v_cmpx_eq_u32_e32 13, v72
	s_cbranch_execz .LBB26_288
; %bb.285:
	v_cmp_ne_u32_e32 vcc_lo, 13, v66
	s_xor_b32 s2, s16, -1
	s_and_b32 s3, s2, vcc_lo
	s_and_saveexec_b32 s2, s3
	s_cbranch_execz .LBB26_287
; %bb.286:
	v_ashrrev_i32_e32 v67, 31, v66
	v_lshlrev_b64 v[0:1], 2, v[66:67]
	v_add_co_u32 v0, vcc_lo, v64, v0
	v_add_co_ci_u32_e64 v1, null, v65, v1, vcc_lo
	s_clause 0x1
	global_load_dword v67, v[0:1], off
	global_load_dword v68, v[64:65], off offset:52
	s_waitcnt vmcnt(1)
	global_store_dword v[64:65], v67, off offset:52
	s_waitcnt vmcnt(0)
	global_store_dword v[0:1], v68, off
.LBB26_287:
	s_or_b32 exec_lo, exec_lo, s2
	v_mov_b32_e32 v72, v66
	v_mov_b32_e32 v0, v66
.LBB26_288:
	s_or_b32 exec_lo, exec_lo, s1
	v_mov_b32_e32 v67, v72
.LBB26_289:
	s_or_b32 exec_lo, exec_lo, s0
	s_mov_b32 s0, exec_lo
	s_waitcnt_vscnt null, 0x0
	s_barrier
	buffer_gl0_inv
	v_cmpx_lt_i32_e32 13, v67
	s_cbranch_execz .LBB26_291
; %bb.290:
	v_mul_f64 v[64:65], v[60:61], v[4:5]
	v_mul_f64 v[4:5], v[58:59], v[4:5]
	v_fma_f64 v[58:59], v[58:59], v[2:3], -v[64:65]
	v_fma_f64 v[4:5], v[60:61], v[2:3], v[4:5]
	v_mov_b32_e32 v2, v58
	v_mov_b32_e32 v3, v59
.LBB26_291:
	s_or_b32 exec_lo, exec_lo, s0
	v_ashrrev_i32_e32 v68, 31, v67
	s_mov_b32 s0, exec_lo
	s_barrier
	buffer_gl0_inv
	v_cmpx_gt_i32_e32 14, v67
	s_cbranch_execz .LBB26_293
; %bb.292:
	v_mul_lo_u32 v1, s15, v62
	v_mul_lo_u32 v60, s14, v63
	v_mad_u64_u32 v[58:59], null, s14, v62, 0
	s_lshl_b64 s[2:3], s[12:13], 2
	v_add3_u32 v0, v0, s17, 1
	v_add3_u32 v59, v59, v60, v1
	v_lshlrev_b64 v[58:59], 2, v[58:59]
	v_add_co_u32 v1, vcc_lo, s10, v58
	v_add_co_ci_u32_e64 v60, null, s11, v59, vcc_lo
	v_lshlrev_b64 v[58:59], 2, v[67:68]
	v_add_co_u32 v1, vcc_lo, v1, s2
	v_add_co_ci_u32_e64 v60, null, s3, v60, vcc_lo
	v_add_co_u32 v58, vcc_lo, v1, v58
	v_add_co_ci_u32_e64 v59, null, v60, v59, vcc_lo
	global_store_dword v[58:59], v0, off
.LBB26_293:
	s_or_b32 exec_lo, exec_lo, s0
	s_mov_b32 s1, exec_lo
	v_cmpx_eq_u32_e32 0, v67
	s_cbranch_execz .LBB26_296
; %bb.294:
	v_lshlrev_b64 v[0:1], 2, v[62:63]
	v_cmp_ne_u32_e64 s0, 0, v71
	v_add_co_u32 v0, vcc_lo, s4, v0
	v_add_co_ci_u32_e64 v1, null, s5, v1, vcc_lo
	global_load_dword v58, v[0:1], off
	s_waitcnt vmcnt(0)
	v_cmp_eq_u32_e32 vcc_lo, 0, v58
	s_and_b32 s0, vcc_lo, s0
	s_and_b32 exec_lo, exec_lo, s0
	s_cbranch_execz .LBB26_296
; %bb.295:
	v_add_nc_u32_e32 v58, s17, v71
	global_store_dword v[0:1], v58, off
.LBB26_296:
	s_or_b32 exec_lo, exec_lo, s1
	v_lshlrev_b64 v[58:59], 4, v[67:68]
	v_add3_u32 v0, s6, s6, v67
	v_add_nc_u32_e32 v60, s6, v0
	v_add_co_u32 v58, vcc_lo, v69, v58
	v_add_co_ci_u32_e64 v59, null, v70, v59, vcc_lo
	v_ashrrev_i32_e32 v1, 31, v0
	v_add_co_u32 v62, vcc_lo, v58, s8
	v_add_co_ci_u32_e64 v63, null, s9, v59, vcc_lo
	global_store_dwordx4 v[58:59], v[54:57], off
	v_ashrrev_i32_e32 v61, 31, v60
	v_lshlrev_b64 v[0:1], 4, v[0:1]
	global_store_dwordx4 v[62:63], v[50:53], off
	v_add_nc_u32_e32 v50, s6, v60
	v_lshlrev_b64 v[54:55], 4, v[60:61]
	v_add_co_u32 v0, vcc_lo, v69, v0
	v_add_nc_u32_e32 v52, s6, v50
	v_ashrrev_i32_e32 v51, 31, v50
	v_add_co_ci_u32_e64 v1, null, v70, v1, vcc_lo
	v_add_co_u32 v54, vcc_lo, v69, v54
	v_add_nc_u32_e32 v56, s6, v52
	v_ashrrev_i32_e32 v53, 31, v52
	v_add_co_ci_u32_e64 v55, null, v70, v55, vcc_lo
	v_lshlrev_b64 v[50:51], 4, v[50:51]
	v_ashrrev_i32_e32 v57, 31, v56
	global_store_dwordx4 v[0:1], v[46:49], off
	global_store_dwordx4 v[54:55], v[42:45], off
	v_lshlrev_b64 v[0:1], 4, v[52:53]
	v_add_nc_u32_e32 v46, s6, v56
	v_lshlrev_b64 v[44:45], 4, v[56:57]
	v_add_co_u32 v42, vcc_lo, v69, v50
	v_add_co_ci_u32_e64 v43, null, v70, v51, vcc_lo
	v_add_co_u32 v0, vcc_lo, v69, v0
	v_add_co_ci_u32_e64 v1, null, v70, v1, vcc_lo
	v_ashrrev_i32_e32 v47, 31, v46
	v_add_co_u32 v44, vcc_lo, v69, v44
	v_add_nc_u32_e32 v48, s6, v46
	v_add_co_ci_u32_e64 v45, null, v70, v45, vcc_lo
	global_store_dwordx4 v[42:43], v[34:37], off
	v_lshlrev_b64 v[34:35], 4, v[46:47]
	global_store_dwordx4 v[0:1], v[30:33], off
	global_store_dwordx4 v[44:45], v[38:41], off
	v_add_nc_u32_e32 v30, s6, v48
	v_ashrrev_i32_e32 v49, 31, v48
	v_add_co_u32 v32, vcc_lo, v69, v34
	v_add_nc_u32_e32 v34, s6, v30
	v_lshlrev_b64 v[0:1], 4, v[48:49]
	v_add_co_ci_u32_e64 v33, null, v70, v35, vcc_lo
	v_ashrrev_i32_e32 v31, 31, v30
	v_add_nc_u32_e32 v36, s6, v34
	v_ashrrev_i32_e32 v35, 31, v34
	v_add_co_u32 v0, vcc_lo, v69, v0
	v_add_co_ci_u32_e64 v1, null, v70, v1, vcc_lo
	global_store_dwordx4 v[32:33], v[22:25], off
	v_add_nc_u32_e32 v24, s6, v36
	v_ashrrev_i32_e32 v37, 31, v36
	global_store_dwordx4 v[0:1], v[26:29], off
	v_lshlrev_b64 v[22:23], 4, v[30:31]
	v_lshlrev_b64 v[0:1], 4, v[34:35]
	v_add_nc_u32_e32 v28, s6, v24
	v_ashrrev_i32_e32 v25, 31, v24
	v_lshlrev_b64 v[26:27], 4, v[36:37]
	v_add_co_u32 v22, vcc_lo, v69, v22
	v_ashrrev_i32_e32 v29, 31, v28
	v_lshlrev_b64 v[24:25], 4, v[24:25]
	v_add_co_ci_u32_e64 v23, null, v70, v23, vcc_lo
	v_add_co_u32 v0, vcc_lo, v69, v0
	v_lshlrev_b64 v[28:29], 4, v[28:29]
	v_add_co_ci_u32_e64 v1, null, v70, v1, vcc_lo
	v_add_co_u32 v26, vcc_lo, v69, v26
	v_add_co_ci_u32_e64 v27, null, v70, v27, vcc_lo
	v_add_co_u32 v24, vcc_lo, v69, v24
	;; [unrolled: 2-line block ×3, first 2 shown]
	v_add_co_ci_u32_e64 v29, null, v70, v29, vcc_lo
	global_store_dwordx4 v[22:23], v[14:17], off
	global_store_dwordx4 v[0:1], v[10:13], off
	;; [unrolled: 1-line block ×5, first 2 shown]
.LBB26_297:
	s_endpgm
	.section	.rodata,"a",@progbits
	.p2align	6, 0x0
	.amdhsa_kernel _ZN9rocsolver6v33100L18getf2_small_kernelILi14E19rocblas_complex_numIdEiiPS3_EEvT1_T3_lS5_lPS5_llPT2_S5_S5_S7_l
		.amdhsa_group_segment_fixed_size 0
		.amdhsa_private_segment_fixed_size 0
		.amdhsa_kernarg_size 352
		.amdhsa_user_sgpr_count 6
		.amdhsa_user_sgpr_private_segment_buffer 1
		.amdhsa_user_sgpr_dispatch_ptr 0
		.amdhsa_user_sgpr_queue_ptr 0
		.amdhsa_user_sgpr_kernarg_segment_ptr 1
		.amdhsa_user_sgpr_dispatch_id 0
		.amdhsa_user_sgpr_flat_scratch_init 0
		.amdhsa_user_sgpr_private_segment_size 0
		.amdhsa_wavefront_size32 1
		.amdhsa_uses_dynamic_stack 0
		.amdhsa_system_sgpr_private_segment_wavefront_offset 0
		.amdhsa_system_sgpr_workgroup_id_x 1
		.amdhsa_system_sgpr_workgroup_id_y 1
		.amdhsa_system_sgpr_workgroup_id_z 0
		.amdhsa_system_sgpr_workgroup_info 0
		.amdhsa_system_vgpr_workitem_id 1
		.amdhsa_next_free_vgpr 91
		.amdhsa_next_free_sgpr 19
		.amdhsa_reserve_vcc 1
		.amdhsa_reserve_flat_scratch 0
		.amdhsa_float_round_mode_32 0
		.amdhsa_float_round_mode_16_64 0
		.amdhsa_float_denorm_mode_32 3
		.amdhsa_float_denorm_mode_16_64 3
		.amdhsa_dx10_clamp 1
		.amdhsa_ieee_mode 1
		.amdhsa_fp16_overflow 0
		.amdhsa_workgroup_processor_mode 1
		.amdhsa_memory_ordered 1
		.amdhsa_forward_progress 1
		.amdhsa_shared_vgpr_count 0
		.amdhsa_exception_fp_ieee_invalid_op 0
		.amdhsa_exception_fp_denorm_src 0
		.amdhsa_exception_fp_ieee_div_zero 0
		.amdhsa_exception_fp_ieee_overflow 0
		.amdhsa_exception_fp_ieee_underflow 0
		.amdhsa_exception_fp_ieee_inexact 0
		.amdhsa_exception_int_div_zero 0
	.end_amdhsa_kernel
	.section	.text._ZN9rocsolver6v33100L18getf2_small_kernelILi14E19rocblas_complex_numIdEiiPS3_EEvT1_T3_lS5_lPS5_llPT2_S5_S5_S7_l,"axG",@progbits,_ZN9rocsolver6v33100L18getf2_small_kernelILi14E19rocblas_complex_numIdEiiPS3_EEvT1_T3_lS5_lPS5_llPT2_S5_S5_S7_l,comdat
.Lfunc_end26:
	.size	_ZN9rocsolver6v33100L18getf2_small_kernelILi14E19rocblas_complex_numIdEiiPS3_EEvT1_T3_lS5_lPS5_llPT2_S5_S5_S7_l, .Lfunc_end26-_ZN9rocsolver6v33100L18getf2_small_kernelILi14E19rocblas_complex_numIdEiiPS3_EEvT1_T3_lS5_lPS5_llPT2_S5_S5_S7_l
                                        ; -- End function
	.set _ZN9rocsolver6v33100L18getf2_small_kernelILi14E19rocblas_complex_numIdEiiPS3_EEvT1_T3_lS5_lPS5_llPT2_S5_S5_S7_l.num_vgpr, 91
	.set _ZN9rocsolver6v33100L18getf2_small_kernelILi14E19rocblas_complex_numIdEiiPS3_EEvT1_T3_lS5_lPS5_llPT2_S5_S5_S7_l.num_agpr, 0
	.set _ZN9rocsolver6v33100L18getf2_small_kernelILi14E19rocblas_complex_numIdEiiPS3_EEvT1_T3_lS5_lPS5_llPT2_S5_S5_S7_l.numbered_sgpr, 19
	.set _ZN9rocsolver6v33100L18getf2_small_kernelILi14E19rocblas_complex_numIdEiiPS3_EEvT1_T3_lS5_lPS5_llPT2_S5_S5_S7_l.num_named_barrier, 0
	.set _ZN9rocsolver6v33100L18getf2_small_kernelILi14E19rocblas_complex_numIdEiiPS3_EEvT1_T3_lS5_lPS5_llPT2_S5_S5_S7_l.private_seg_size, 0
	.set _ZN9rocsolver6v33100L18getf2_small_kernelILi14E19rocblas_complex_numIdEiiPS3_EEvT1_T3_lS5_lPS5_llPT2_S5_S5_S7_l.uses_vcc, 1
	.set _ZN9rocsolver6v33100L18getf2_small_kernelILi14E19rocblas_complex_numIdEiiPS3_EEvT1_T3_lS5_lPS5_llPT2_S5_S5_S7_l.uses_flat_scratch, 0
	.set _ZN9rocsolver6v33100L18getf2_small_kernelILi14E19rocblas_complex_numIdEiiPS3_EEvT1_T3_lS5_lPS5_llPT2_S5_S5_S7_l.has_dyn_sized_stack, 0
	.set _ZN9rocsolver6v33100L18getf2_small_kernelILi14E19rocblas_complex_numIdEiiPS3_EEvT1_T3_lS5_lPS5_llPT2_S5_S5_S7_l.has_recursion, 0
	.set _ZN9rocsolver6v33100L18getf2_small_kernelILi14E19rocblas_complex_numIdEiiPS3_EEvT1_T3_lS5_lPS5_llPT2_S5_S5_S7_l.has_indirect_call, 0
	.section	.AMDGPU.csdata,"",@progbits
; Kernel info:
; codeLenInByte = 21600
; TotalNumSgprs: 21
; NumVgprs: 91
; ScratchSize: 0
; MemoryBound: 0
; FloatMode: 240
; IeeeMode: 1
; LDSByteSize: 0 bytes/workgroup (compile time only)
; SGPRBlocks: 0
; VGPRBlocks: 11
; NumSGPRsForWavesPerEU: 21
; NumVGPRsForWavesPerEU: 91
; Occupancy: 10
; WaveLimiterHint : 0
; COMPUTE_PGM_RSRC2:SCRATCH_EN: 0
; COMPUTE_PGM_RSRC2:USER_SGPR: 6
; COMPUTE_PGM_RSRC2:TRAP_HANDLER: 0
; COMPUTE_PGM_RSRC2:TGID_X_EN: 1
; COMPUTE_PGM_RSRC2:TGID_Y_EN: 1
; COMPUTE_PGM_RSRC2:TGID_Z_EN: 0
; COMPUTE_PGM_RSRC2:TIDIG_COMP_CNT: 1
	.section	.text._ZN9rocsolver6v33100L23getf2_npvt_small_kernelILi14E19rocblas_complex_numIdEiiPS3_EEvT1_T3_lS5_lPT2_S5_S5_,"axG",@progbits,_ZN9rocsolver6v33100L23getf2_npvt_small_kernelILi14E19rocblas_complex_numIdEiiPS3_EEvT1_T3_lS5_lPT2_S5_S5_,comdat
	.globl	_ZN9rocsolver6v33100L23getf2_npvt_small_kernelILi14E19rocblas_complex_numIdEiiPS3_EEvT1_T3_lS5_lPT2_S5_S5_ ; -- Begin function _ZN9rocsolver6v33100L23getf2_npvt_small_kernelILi14E19rocblas_complex_numIdEiiPS3_EEvT1_T3_lS5_lPT2_S5_S5_
	.p2align	8
	.type	_ZN9rocsolver6v33100L23getf2_npvt_small_kernelILi14E19rocblas_complex_numIdEiiPS3_EEvT1_T3_lS5_lPT2_S5_S5_,@function
_ZN9rocsolver6v33100L23getf2_npvt_small_kernelILi14E19rocblas_complex_numIdEiiPS3_EEvT1_T3_lS5_lPT2_S5_S5_: ; @_ZN9rocsolver6v33100L23getf2_npvt_small_kernelILi14E19rocblas_complex_numIdEiiPS3_EEvT1_T3_lS5_lPT2_S5_S5_
; %bb.0:
	s_clause 0x1
	s_load_dword s0, s[4:5], 0x44
	s_load_dwordx2 s[12:13], s[4:5], 0x30
	s_waitcnt lgkmcnt(0)
	s_lshr_b32 s14, s0, 16
	s_mov_b32 s0, exec_lo
	v_mad_u64_u32 v[128:129], null, s7, s14, v[1:2]
	v_cmpx_gt_i32_e64 s12, v128
	s_cbranch_execz .LBB27_131
; %bb.1:
	s_clause 0x2
	s_load_dwordx4 s[8:11], s[4:5], 0x20
	s_load_dword s6, s[4:5], 0x18
	s_load_dwordx4 s[0:3], s[4:5], 0x8
	v_ashrrev_i32_e32 v129, 31, v128
	v_lshlrev_b32_e32 v12, 4, v0
	v_lshlrev_b32_e32 v58, 4, v1
	s_mulk_i32 s14, 0xe0
	v_mad_u32_u24 v144, 0xe0, v1, 0
	v_add3_u32 v1, 0, s14, v58
	s_waitcnt lgkmcnt(0)
	v_mul_lo_u32 v5, s9, v128
	v_mul_lo_u32 v7, s8, v129
	v_mad_u64_u32 v[2:3], null, s8, v128, 0
	v_add3_u32 v4, s6, s6, v0
	s_lshl_b64 s[2:3], s[2:3], 4
	s_ashr_i32 s7, s6, 31
	s_lshl_b64 s[4:5], s[6:7], 4
	v_add_nc_u32_e32 v6, s6, v4
	v_add3_u32 v3, v3, v7, v5
	v_ashrrev_i32_e32 v5, 31, v4
	v_add_nc_u32_e32 v8, s6, v6
	v_lshlrev_b64 v[2:3], 4, v[2:3]
	v_ashrrev_i32_e32 v7, 31, v6
	v_lshlrev_b64 v[4:5], 4, v[4:5]
	v_add_nc_u32_e32 v10, s6, v8
	v_ashrrev_i32_e32 v9, 31, v8
	v_add_co_u32 v2, vcc_lo, s0, v2
	v_add_co_ci_u32_e64 v3, null, s1, v3, vcc_lo
	v_lshlrev_b64 v[6:7], 4, v[6:7]
	v_add_co_u32 v26, vcc_lo, v2, s2
	v_add_co_ci_u32_e64 v27, null, s3, v3, vcc_lo
	v_add_nc_u32_e32 v20, s6, v10
	v_add_co_u32 v118, vcc_lo, v26, v12
	v_lshlrev_b64 v[18:19], 4, v[8:9]
	v_ashrrev_i32_e32 v11, 31, v10
	v_add_co_ci_u32_e64 v119, null, 0, v27, vcc_lo
	v_add_co_u32 v116, vcc_lo, v26, v4
	v_add_co_ci_u32_e64 v117, null, v27, v5, vcc_lo
	v_add_co_u32 v114, vcc_lo, v26, v6
	v_ashrrev_i32_e32 v21, 31, v20
	v_add_nc_u32_e32 v24, s6, v20
	v_add_co_ci_u32_e64 v115, null, v27, v7, vcc_lo
	v_add_co_u32 v120, vcc_lo, v118, s4
	v_lshlrev_b64 v[22:23], 4, v[10:11]
	v_add_co_ci_u32_e64 v121, null, s5, v119, vcc_lo
	v_add_co_u32 v122, vcc_lo, v26, v18
	v_add_co_ci_u32_e64 v123, null, v27, v19, vcc_lo
	v_lshlrev_b64 v[18:19], 4, v[20:21]
	v_ashrrev_i32_e32 v25, 31, v24
	v_add_nc_u32_e32 v20, s6, v24
	v_add_co_u32 v124, vcc_lo, v26, v22
	v_add_co_ci_u32_e64 v125, null, v27, v23, vcc_lo
	v_lshlrev_b64 v[22:23], 4, v[24:25]
	v_ashrrev_i32_e32 v21, 31, v20
	v_add_nc_u32_e32 v24, s6, v20
	;; [unrolled: 5-line block ×5, first 2 shown]
	v_add_co_u32 v134, vcc_lo, v26, v22
	v_add_co_ci_u32_e64 v135, null, v27, v23, vcc_lo
	v_lshlrev_b64 v[22:23], 4, v[24:25]
	v_add_nc_u32_e32 v24, s6, v20
	v_ashrrev_i32_e32 v21, 31, v20
	v_add_co_u32 v140, vcc_lo, v26, v18
	v_add_co_ci_u32_e64 v141, null, v27, v19, vcc_lo
	v_ashrrev_i32_e32 v25, 31, v24
	v_lshlrev_b64 v[18:19], 4, v[20:21]
	v_add_co_u32 v136, vcc_lo, v26, v22
	v_add_co_ci_u32_e64 v137, null, v27, v23, vcc_lo
	v_lshlrev_b64 v[20:21], 4, v[24:25]
	v_add_co_u32 v138, vcc_lo, v26, v18
	v_add_co_ci_u32_e64 v139, null, v27, v19, vcc_lo
	s_clause 0x3
	global_load_dwordx4 v[6:9], v[116:117], off
	global_load_dwordx4 v[2:5], v[114:115], off
	;; [unrolled: 1-line block ×4, first 2 shown]
	v_add_co_u32 v142, vcc_lo, v26, v20
	v_add_co_ci_u32_e64 v143, null, v27, v21, vcc_lo
	s_clause 0x9
	global_load_dwordx4 v[54:57], v[122:123], off
	global_load_dwordx4 v[50:53], v[124:125], off
	;; [unrolled: 1-line block ×10, first 2 shown]
	v_cmp_ne_u32_e64 s1, 0, v0
	v_cmp_eq_u32_e64 s0, 0, v0
	s_and_saveexec_b32 s3, s0
	s_cbranch_execz .LBB27_8
; %bb.2:
	s_waitcnt vmcnt(11)
	ds_write2_b64 v1, v[14:15], v[16:17] offset1:1
	s_waitcnt vmcnt(10)
	ds_write2_b64 v144, v[10:11], v[12:13] offset0:2 offset1:3
	ds_write2_b64 v144, v[6:7], v[8:9] offset0:4 offset1:5
	;; [unrolled: 1-line block ×3, first 2 shown]
	s_waitcnt vmcnt(9)
	ds_write2_b64 v144, v[54:55], v[56:57] offset0:8 offset1:9
	s_waitcnt vmcnt(8)
	ds_write2_b64 v144, v[50:51], v[52:53] offset0:10 offset1:11
	;; [unrolled: 2-line block ×10, first 2 shown]
	ds_read2_b64 v[58:61], v1 offset1:1
	s_waitcnt lgkmcnt(0)
	v_cmp_neq_f64_e32 vcc_lo, 0, v[58:59]
	v_cmp_neq_f64_e64 s2, 0, v[60:61]
	s_or_b32 s2, vcc_lo, s2
	s_and_b32 exec_lo, exec_lo, s2
	s_cbranch_execz .LBB27_8
; %bb.3:
	v_cmp_ngt_f64_e64 s2, |v[58:59]|, |v[60:61]|
                                        ; implicit-def: $vgpr62_vgpr63
	s_and_saveexec_b32 s4, s2
	s_xor_b32 s2, exec_lo, s4
                                        ; implicit-def: $vgpr64_vgpr65
	s_cbranch_execz .LBB27_5
; %bb.4:
	v_div_scale_f64 v[62:63], null, v[60:61], v[60:61], v[58:59]
	v_div_scale_f64 v[68:69], vcc_lo, v[58:59], v[60:61], v[58:59]
	v_rcp_f64_e32 v[64:65], v[62:63]
	v_fma_f64 v[66:67], -v[62:63], v[64:65], 1.0
	v_fma_f64 v[64:65], v[64:65], v[66:67], v[64:65]
	v_fma_f64 v[66:67], -v[62:63], v[64:65], 1.0
	v_fma_f64 v[64:65], v[64:65], v[66:67], v[64:65]
	v_mul_f64 v[66:67], v[68:69], v[64:65]
	v_fma_f64 v[62:63], -v[62:63], v[66:67], v[68:69]
	v_div_fmas_f64 v[62:63], v[62:63], v[64:65], v[66:67]
	v_div_fixup_f64 v[62:63], v[62:63], v[60:61], v[58:59]
	v_fma_f64 v[58:59], v[58:59], v[62:63], v[60:61]
	v_div_scale_f64 v[60:61], null, v[58:59], v[58:59], 1.0
	v_rcp_f64_e32 v[64:65], v[60:61]
	v_fma_f64 v[66:67], -v[60:61], v[64:65], 1.0
	v_fma_f64 v[64:65], v[64:65], v[66:67], v[64:65]
	v_fma_f64 v[66:67], -v[60:61], v[64:65], 1.0
	v_fma_f64 v[64:65], v[64:65], v[66:67], v[64:65]
	v_div_scale_f64 v[66:67], vcc_lo, 1.0, v[58:59], 1.0
	v_mul_f64 v[68:69], v[66:67], v[64:65]
	v_fma_f64 v[60:61], -v[60:61], v[68:69], v[66:67]
	v_div_fmas_f64 v[60:61], v[60:61], v[64:65], v[68:69]
	v_div_fixup_f64 v[64:65], v[60:61], v[58:59], 1.0
                                        ; implicit-def: $vgpr58_vgpr59
	v_mul_f64 v[62:63], v[62:63], v[64:65]
	v_xor_b32_e32 v65, 0x80000000, v65
.LBB27_5:
	s_andn2_saveexec_b32 s2, s2
	s_cbranch_execz .LBB27_7
; %bb.6:
	v_div_scale_f64 v[62:63], null, v[58:59], v[58:59], v[60:61]
	v_div_scale_f64 v[68:69], vcc_lo, v[60:61], v[58:59], v[60:61]
	v_rcp_f64_e32 v[64:65], v[62:63]
	v_fma_f64 v[66:67], -v[62:63], v[64:65], 1.0
	v_fma_f64 v[64:65], v[64:65], v[66:67], v[64:65]
	v_fma_f64 v[66:67], -v[62:63], v[64:65], 1.0
	v_fma_f64 v[64:65], v[64:65], v[66:67], v[64:65]
	v_mul_f64 v[66:67], v[68:69], v[64:65]
	v_fma_f64 v[62:63], -v[62:63], v[66:67], v[68:69]
	v_div_fmas_f64 v[62:63], v[62:63], v[64:65], v[66:67]
	v_div_fixup_f64 v[64:65], v[62:63], v[58:59], v[60:61]
	v_fma_f64 v[58:59], v[60:61], v[64:65], v[58:59]
	v_div_scale_f64 v[60:61], null, v[58:59], v[58:59], 1.0
	v_rcp_f64_e32 v[62:63], v[60:61]
	v_fma_f64 v[66:67], -v[60:61], v[62:63], 1.0
	v_fma_f64 v[62:63], v[62:63], v[66:67], v[62:63]
	v_fma_f64 v[66:67], -v[60:61], v[62:63], 1.0
	v_fma_f64 v[62:63], v[62:63], v[66:67], v[62:63]
	v_div_scale_f64 v[66:67], vcc_lo, 1.0, v[58:59], 1.0
	v_mul_f64 v[68:69], v[66:67], v[62:63]
	v_fma_f64 v[60:61], -v[60:61], v[68:69], v[66:67]
	v_div_fmas_f64 v[60:61], v[60:61], v[62:63], v[68:69]
	v_div_fixup_f64 v[62:63], v[60:61], v[58:59], 1.0
	v_mul_f64 v[64:65], v[64:65], -v[62:63]
.LBB27_7:
	s_or_b32 exec_lo, exec_lo, s2
	ds_write2_b64 v1, v[62:63], v[64:65] offset1:1
.LBB27_8:
	s_or_b32 exec_lo, exec_lo, s3
	s_waitcnt vmcnt(0) lgkmcnt(0)
	s_barrier
	buffer_gl0_inv
	ds_read2_b64 v[58:61], v1 offset1:1
	s_and_saveexec_b32 s2, s1
	s_cbranch_execz .LBB27_10
; %bb.9:
	s_waitcnt lgkmcnt(0)
	v_mul_f64 v[62:63], v[58:59], v[16:17]
	v_mul_f64 v[16:17], v[60:61], v[16:17]
	v_fma_f64 v[145:146], v[60:61], v[14:15], v[62:63]
	ds_read2_b64 v[62:65], v144 offset0:2 offset1:3
	ds_read2_b64 v[66:69], v144 offset0:4 offset1:5
	;; [unrolled: 1-line block ×13, first 2 shown]
	v_fma_f64 v[14:15], v[58:59], v[14:15], -v[16:17]
	s_waitcnt lgkmcnt(12)
	v_mul_f64 v[16:17], v[64:65], v[145:146]
	v_mul_f64 v[147:148], v[62:63], v[145:146]
	s_waitcnt lgkmcnt(11)
	v_mul_f64 v[149:150], v[68:69], v[145:146]
	v_mul_f64 v[151:152], v[66:67], v[145:146]
	;; [unrolled: 3-line block ×13, first 2 shown]
	v_fma_f64 v[16:17], v[62:63], v[14:15], -v[16:17]
	v_fma_f64 v[62:63], v[64:65], v[14:15], v[147:148]
	v_fma_f64 v[64:65], v[66:67], v[14:15], -v[149:150]
	v_fma_f64 v[66:67], v[68:69], v[14:15], v[151:152]
	;; [unrolled: 2-line block ×13, first 2 shown]
	v_add_f64 v[10:11], v[10:11], -v[16:17]
	v_add_f64 v[12:13], v[12:13], -v[62:63]
	;; [unrolled: 1-line block ×26, first 2 shown]
	v_mov_b32_e32 v16, v145
	v_mov_b32_e32 v17, v146
.LBB27_10:
	s_or_b32 exec_lo, exec_lo, s2
	s_mov_b32 s2, exec_lo
	s_waitcnt lgkmcnt(0)
	s_barrier
	buffer_gl0_inv
	v_cmpx_eq_u32_e32 1, v0
	s_cbranch_execz .LBB27_17
; %bb.11:
	ds_write2_b64 v1, v[10:11], v[12:13] offset1:1
	ds_write2_b64 v144, v[6:7], v[8:9] offset0:4 offset1:5
	ds_write2_b64 v144, v[2:3], v[4:5] offset0:6 offset1:7
	;; [unrolled: 1-line block ×12, first 2 shown]
	ds_read2_b64 v[62:65], v1 offset1:1
	s_waitcnt lgkmcnt(0)
	v_cmp_neq_f64_e32 vcc_lo, 0, v[62:63]
	v_cmp_neq_f64_e64 s1, 0, v[64:65]
	s_or_b32 s1, vcc_lo, s1
	s_and_b32 exec_lo, exec_lo, s1
	s_cbranch_execz .LBB27_17
; %bb.12:
	v_cmp_ngt_f64_e64 s1, |v[62:63]|, |v[64:65]|
                                        ; implicit-def: $vgpr66_vgpr67
	s_and_saveexec_b32 s3, s1
	s_xor_b32 s1, exec_lo, s3
                                        ; implicit-def: $vgpr68_vgpr69
	s_cbranch_execz .LBB27_14
; %bb.13:
	v_div_scale_f64 v[66:67], null, v[64:65], v[64:65], v[62:63]
	v_div_scale_f64 v[72:73], vcc_lo, v[62:63], v[64:65], v[62:63]
	v_rcp_f64_e32 v[68:69], v[66:67]
	v_fma_f64 v[70:71], -v[66:67], v[68:69], 1.0
	v_fma_f64 v[68:69], v[68:69], v[70:71], v[68:69]
	v_fma_f64 v[70:71], -v[66:67], v[68:69], 1.0
	v_fma_f64 v[68:69], v[68:69], v[70:71], v[68:69]
	v_mul_f64 v[70:71], v[72:73], v[68:69]
	v_fma_f64 v[66:67], -v[66:67], v[70:71], v[72:73]
	v_div_fmas_f64 v[66:67], v[66:67], v[68:69], v[70:71]
	v_div_fixup_f64 v[66:67], v[66:67], v[64:65], v[62:63]
	v_fma_f64 v[62:63], v[62:63], v[66:67], v[64:65]
	v_div_scale_f64 v[64:65], null, v[62:63], v[62:63], 1.0
	v_rcp_f64_e32 v[68:69], v[64:65]
	v_fma_f64 v[70:71], -v[64:65], v[68:69], 1.0
	v_fma_f64 v[68:69], v[68:69], v[70:71], v[68:69]
	v_fma_f64 v[70:71], -v[64:65], v[68:69], 1.0
	v_fma_f64 v[68:69], v[68:69], v[70:71], v[68:69]
	v_div_scale_f64 v[70:71], vcc_lo, 1.0, v[62:63], 1.0
	v_mul_f64 v[72:73], v[70:71], v[68:69]
	v_fma_f64 v[64:65], -v[64:65], v[72:73], v[70:71]
	v_div_fmas_f64 v[64:65], v[64:65], v[68:69], v[72:73]
	v_div_fixup_f64 v[68:69], v[64:65], v[62:63], 1.0
                                        ; implicit-def: $vgpr62_vgpr63
	v_mul_f64 v[66:67], v[66:67], v[68:69]
	v_xor_b32_e32 v69, 0x80000000, v69
.LBB27_14:
	s_andn2_saveexec_b32 s1, s1
	s_cbranch_execz .LBB27_16
; %bb.15:
	v_div_scale_f64 v[66:67], null, v[62:63], v[62:63], v[64:65]
	v_div_scale_f64 v[72:73], vcc_lo, v[64:65], v[62:63], v[64:65]
	v_rcp_f64_e32 v[68:69], v[66:67]
	v_fma_f64 v[70:71], -v[66:67], v[68:69], 1.0
	v_fma_f64 v[68:69], v[68:69], v[70:71], v[68:69]
	v_fma_f64 v[70:71], -v[66:67], v[68:69], 1.0
	v_fma_f64 v[68:69], v[68:69], v[70:71], v[68:69]
	v_mul_f64 v[70:71], v[72:73], v[68:69]
	v_fma_f64 v[66:67], -v[66:67], v[70:71], v[72:73]
	v_div_fmas_f64 v[66:67], v[66:67], v[68:69], v[70:71]
	v_div_fixup_f64 v[68:69], v[66:67], v[62:63], v[64:65]
	v_fma_f64 v[62:63], v[64:65], v[68:69], v[62:63]
	v_div_scale_f64 v[64:65], null, v[62:63], v[62:63], 1.0
	v_rcp_f64_e32 v[66:67], v[64:65]
	v_fma_f64 v[70:71], -v[64:65], v[66:67], 1.0
	v_fma_f64 v[66:67], v[66:67], v[70:71], v[66:67]
	v_fma_f64 v[70:71], -v[64:65], v[66:67], 1.0
	v_fma_f64 v[66:67], v[66:67], v[70:71], v[66:67]
	v_div_scale_f64 v[70:71], vcc_lo, 1.0, v[62:63], 1.0
	v_mul_f64 v[72:73], v[70:71], v[66:67]
	v_fma_f64 v[64:65], -v[64:65], v[72:73], v[70:71]
	v_div_fmas_f64 v[64:65], v[64:65], v[66:67], v[72:73]
	v_div_fixup_f64 v[66:67], v[64:65], v[62:63], 1.0
	v_mul_f64 v[68:69], v[68:69], -v[66:67]
.LBB27_16:
	s_or_b32 exec_lo, exec_lo, s1
	ds_write2_b64 v1, v[66:67], v[68:69] offset1:1
.LBB27_17:
	s_or_b32 exec_lo, exec_lo, s2
	s_waitcnt lgkmcnt(0)
	s_barrier
	buffer_gl0_inv
	ds_read2_b64 v[62:65], v1 offset1:1
	s_mov_b32 s1, exec_lo
	v_cmpx_lt_u32_e32 1, v0
	s_cbranch_execz .LBB27_19
; %bb.18:
	s_waitcnt lgkmcnt(0)
	v_mul_f64 v[66:67], v[62:63], v[12:13]
	v_mul_f64 v[12:13], v[64:65], v[12:13]
	v_fma_f64 v[145:146], v[64:65], v[10:11], v[66:67]
	ds_read2_b64 v[66:69], v144 offset0:4 offset1:5
	ds_read2_b64 v[70:73], v144 offset0:6 offset1:7
	;; [unrolled: 1-line block ×12, first 2 shown]
	v_fma_f64 v[10:11], v[62:63], v[10:11], -v[12:13]
	s_waitcnt lgkmcnt(11)
	v_mul_f64 v[12:13], v[68:69], v[145:146]
	v_mul_f64 v[147:148], v[66:67], v[145:146]
	s_waitcnt lgkmcnt(10)
	v_mul_f64 v[149:150], v[72:73], v[145:146]
	v_mul_f64 v[151:152], v[70:71], v[145:146]
	s_waitcnt lgkmcnt(9)
	v_mul_f64 v[153:154], v[76:77], v[145:146]
	v_mul_f64 v[155:156], v[74:75], v[145:146]
	s_waitcnt lgkmcnt(8)
	v_mul_f64 v[157:158], v[80:81], v[145:146]
	v_mul_f64 v[159:160], v[78:79], v[145:146]
	s_waitcnt lgkmcnt(7)
	v_mul_f64 v[161:162], v[84:85], v[145:146]
	v_mul_f64 v[163:164], v[82:83], v[145:146]
	s_waitcnt lgkmcnt(6)
	v_mul_f64 v[165:166], v[88:89], v[145:146]
	v_mul_f64 v[167:168], v[86:87], v[145:146]
	s_waitcnt lgkmcnt(5)
	v_mul_f64 v[169:170], v[92:93], v[145:146]
	v_mul_f64 v[171:172], v[90:91], v[145:146]
	s_waitcnt lgkmcnt(4)
	v_mul_f64 v[173:174], v[96:97], v[145:146]
	v_mul_f64 v[175:176], v[94:95], v[145:146]
	s_waitcnt lgkmcnt(3)
	v_mul_f64 v[177:178], v[100:101], v[145:146]
	v_mul_f64 v[179:180], v[98:99], v[145:146]
	s_waitcnt lgkmcnt(2)
	v_mul_f64 v[181:182], v[104:105], v[145:146]
	v_mul_f64 v[183:184], v[102:103], v[145:146]
	s_waitcnt lgkmcnt(1)
	v_mul_f64 v[185:186], v[108:109], v[145:146]
	v_mul_f64 v[187:188], v[106:107], v[145:146]
	s_waitcnt lgkmcnt(0)
	v_mul_f64 v[189:190], v[112:113], v[145:146]
	v_mul_f64 v[191:192], v[110:111], v[145:146]
	v_fma_f64 v[12:13], v[66:67], v[10:11], -v[12:13]
	v_fma_f64 v[66:67], v[68:69], v[10:11], v[147:148]
	v_fma_f64 v[68:69], v[70:71], v[10:11], -v[149:150]
	v_fma_f64 v[70:71], v[72:73], v[10:11], v[151:152]
	;; [unrolled: 2-line block ×12, first 2 shown]
	v_add_f64 v[6:7], v[6:7], -v[12:13]
	v_add_f64 v[8:9], v[8:9], -v[66:67]
	v_add_f64 v[2:3], v[2:3], -v[68:69]
	v_add_f64 v[4:5], v[4:5], -v[70:71]
	v_add_f64 v[54:55], v[54:55], -v[72:73]
	v_add_f64 v[56:57], v[56:57], -v[74:75]
	v_add_f64 v[50:51], v[50:51], -v[76:77]
	v_add_f64 v[52:53], v[52:53], -v[78:79]
	v_add_f64 v[46:47], v[46:47], -v[80:81]
	v_add_f64 v[48:49], v[48:49], -v[82:83]
	v_add_f64 v[42:43], v[42:43], -v[84:85]
	v_add_f64 v[44:45], v[44:45], -v[86:87]
	v_add_f64 v[38:39], v[38:39], -v[88:89]
	v_add_f64 v[40:41], v[40:41], -v[90:91]
	v_add_f64 v[34:35], v[34:35], -v[92:93]
	v_add_f64 v[36:37], v[36:37], -v[94:95]
	v_add_f64 v[30:31], v[30:31], -v[96:97]
	v_add_f64 v[32:33], v[32:33], -v[98:99]
	v_add_f64 v[26:27], v[26:27], -v[100:101]
	v_add_f64 v[28:29], v[28:29], -v[102:103]
	v_add_f64 v[22:23], v[22:23], -v[104:105]
	v_add_f64 v[24:25], v[24:25], -v[106:107]
	v_add_f64 v[18:19], v[18:19], -v[108:109]
	v_add_f64 v[20:21], v[20:21], -v[110:111]
	v_mov_b32_e32 v12, v145
	v_mov_b32_e32 v13, v146
.LBB27_19:
	s_or_b32 exec_lo, exec_lo, s1
	s_mov_b32 s2, exec_lo
	s_waitcnt lgkmcnt(0)
	s_barrier
	buffer_gl0_inv
	v_cmpx_eq_u32_e32 2, v0
	s_cbranch_execz .LBB27_26
; %bb.20:
	ds_write2_b64 v1, v[6:7], v[8:9] offset1:1
	ds_write2_b64 v144, v[2:3], v[4:5] offset0:6 offset1:7
	ds_write2_b64 v144, v[54:55], v[56:57] offset0:8 offset1:9
	;; [unrolled: 1-line block ×11, first 2 shown]
	ds_read2_b64 v[66:69], v1 offset1:1
	s_waitcnt lgkmcnt(0)
	v_cmp_neq_f64_e32 vcc_lo, 0, v[66:67]
	v_cmp_neq_f64_e64 s1, 0, v[68:69]
	s_or_b32 s1, vcc_lo, s1
	s_and_b32 exec_lo, exec_lo, s1
	s_cbranch_execz .LBB27_26
; %bb.21:
	v_cmp_ngt_f64_e64 s1, |v[66:67]|, |v[68:69]|
                                        ; implicit-def: $vgpr70_vgpr71
	s_and_saveexec_b32 s3, s1
	s_xor_b32 s1, exec_lo, s3
                                        ; implicit-def: $vgpr72_vgpr73
	s_cbranch_execz .LBB27_23
; %bb.22:
	v_div_scale_f64 v[70:71], null, v[68:69], v[68:69], v[66:67]
	v_div_scale_f64 v[76:77], vcc_lo, v[66:67], v[68:69], v[66:67]
	v_rcp_f64_e32 v[72:73], v[70:71]
	v_fma_f64 v[74:75], -v[70:71], v[72:73], 1.0
	v_fma_f64 v[72:73], v[72:73], v[74:75], v[72:73]
	v_fma_f64 v[74:75], -v[70:71], v[72:73], 1.0
	v_fma_f64 v[72:73], v[72:73], v[74:75], v[72:73]
	v_mul_f64 v[74:75], v[76:77], v[72:73]
	v_fma_f64 v[70:71], -v[70:71], v[74:75], v[76:77]
	v_div_fmas_f64 v[70:71], v[70:71], v[72:73], v[74:75]
	v_div_fixup_f64 v[70:71], v[70:71], v[68:69], v[66:67]
	v_fma_f64 v[66:67], v[66:67], v[70:71], v[68:69]
	v_div_scale_f64 v[68:69], null, v[66:67], v[66:67], 1.0
	v_rcp_f64_e32 v[72:73], v[68:69]
	v_fma_f64 v[74:75], -v[68:69], v[72:73], 1.0
	v_fma_f64 v[72:73], v[72:73], v[74:75], v[72:73]
	v_fma_f64 v[74:75], -v[68:69], v[72:73], 1.0
	v_fma_f64 v[72:73], v[72:73], v[74:75], v[72:73]
	v_div_scale_f64 v[74:75], vcc_lo, 1.0, v[66:67], 1.0
	v_mul_f64 v[76:77], v[74:75], v[72:73]
	v_fma_f64 v[68:69], -v[68:69], v[76:77], v[74:75]
	v_div_fmas_f64 v[68:69], v[68:69], v[72:73], v[76:77]
	v_div_fixup_f64 v[72:73], v[68:69], v[66:67], 1.0
                                        ; implicit-def: $vgpr66_vgpr67
	v_mul_f64 v[70:71], v[70:71], v[72:73]
	v_xor_b32_e32 v73, 0x80000000, v73
.LBB27_23:
	s_andn2_saveexec_b32 s1, s1
	s_cbranch_execz .LBB27_25
; %bb.24:
	v_div_scale_f64 v[70:71], null, v[66:67], v[66:67], v[68:69]
	v_div_scale_f64 v[76:77], vcc_lo, v[68:69], v[66:67], v[68:69]
	v_rcp_f64_e32 v[72:73], v[70:71]
	v_fma_f64 v[74:75], -v[70:71], v[72:73], 1.0
	v_fma_f64 v[72:73], v[72:73], v[74:75], v[72:73]
	v_fma_f64 v[74:75], -v[70:71], v[72:73], 1.0
	v_fma_f64 v[72:73], v[72:73], v[74:75], v[72:73]
	v_mul_f64 v[74:75], v[76:77], v[72:73]
	v_fma_f64 v[70:71], -v[70:71], v[74:75], v[76:77]
	v_div_fmas_f64 v[70:71], v[70:71], v[72:73], v[74:75]
	v_div_fixup_f64 v[72:73], v[70:71], v[66:67], v[68:69]
	v_fma_f64 v[66:67], v[68:69], v[72:73], v[66:67]
	v_div_scale_f64 v[68:69], null, v[66:67], v[66:67], 1.0
	v_rcp_f64_e32 v[70:71], v[68:69]
	v_fma_f64 v[74:75], -v[68:69], v[70:71], 1.0
	v_fma_f64 v[70:71], v[70:71], v[74:75], v[70:71]
	v_fma_f64 v[74:75], -v[68:69], v[70:71], 1.0
	v_fma_f64 v[70:71], v[70:71], v[74:75], v[70:71]
	v_div_scale_f64 v[74:75], vcc_lo, 1.0, v[66:67], 1.0
	v_mul_f64 v[76:77], v[74:75], v[70:71]
	v_fma_f64 v[68:69], -v[68:69], v[76:77], v[74:75]
	v_div_fmas_f64 v[68:69], v[68:69], v[70:71], v[76:77]
	v_div_fixup_f64 v[70:71], v[68:69], v[66:67], 1.0
	v_mul_f64 v[72:73], v[72:73], -v[70:71]
.LBB27_25:
	s_or_b32 exec_lo, exec_lo, s1
	ds_write2_b64 v1, v[70:71], v[72:73] offset1:1
.LBB27_26:
	s_or_b32 exec_lo, exec_lo, s2
	s_waitcnt lgkmcnt(0)
	s_barrier
	buffer_gl0_inv
	ds_read2_b64 v[66:69], v1 offset1:1
	s_mov_b32 s1, exec_lo
	v_cmpx_lt_u32_e32 2, v0
	s_cbranch_execz .LBB27_28
; %bb.27:
	s_waitcnt lgkmcnt(0)
	v_mul_f64 v[70:71], v[66:67], v[8:9]
	v_mul_f64 v[8:9], v[68:69], v[8:9]
	v_fma_f64 v[145:146], v[68:69], v[6:7], v[70:71]
	ds_read2_b64 v[70:73], v144 offset0:6 offset1:7
	ds_read2_b64 v[74:77], v144 offset0:8 offset1:9
	ds_read2_b64 v[78:81], v144 offset0:10 offset1:11
	ds_read2_b64 v[82:85], v144 offset0:12 offset1:13
	ds_read2_b64 v[86:89], v144 offset0:14 offset1:15
	ds_read2_b64 v[90:93], v144 offset0:16 offset1:17
	ds_read2_b64 v[94:97], v144 offset0:18 offset1:19
	ds_read2_b64 v[98:101], v144 offset0:20 offset1:21
	ds_read2_b64 v[102:105], v144 offset0:22 offset1:23
	ds_read2_b64 v[106:109], v144 offset0:24 offset1:25
	ds_read2_b64 v[110:113], v144 offset0:26 offset1:27
	v_fma_f64 v[6:7], v[66:67], v[6:7], -v[8:9]
	s_waitcnt lgkmcnt(10)
	v_mul_f64 v[8:9], v[72:73], v[145:146]
	v_mul_f64 v[147:148], v[70:71], v[145:146]
	s_waitcnt lgkmcnt(9)
	v_mul_f64 v[149:150], v[76:77], v[145:146]
	v_mul_f64 v[151:152], v[74:75], v[145:146]
	;; [unrolled: 3-line block ×11, first 2 shown]
	v_fma_f64 v[8:9], v[70:71], v[6:7], -v[8:9]
	v_fma_f64 v[70:71], v[72:73], v[6:7], v[147:148]
	v_fma_f64 v[72:73], v[74:75], v[6:7], -v[149:150]
	v_fma_f64 v[74:75], v[76:77], v[6:7], v[151:152]
	;; [unrolled: 2-line block ×11, first 2 shown]
	v_add_f64 v[2:3], v[2:3], -v[8:9]
	v_add_f64 v[4:5], v[4:5], -v[70:71]
	;; [unrolled: 1-line block ×22, first 2 shown]
	v_mov_b32_e32 v8, v145
	v_mov_b32_e32 v9, v146
.LBB27_28:
	s_or_b32 exec_lo, exec_lo, s1
	s_mov_b32 s2, exec_lo
	s_waitcnt lgkmcnt(0)
	s_barrier
	buffer_gl0_inv
	v_cmpx_eq_u32_e32 3, v0
	s_cbranch_execz .LBB27_35
; %bb.29:
	ds_write2_b64 v1, v[2:3], v[4:5] offset1:1
	ds_write2_b64 v144, v[54:55], v[56:57] offset0:8 offset1:9
	ds_write2_b64 v144, v[50:51], v[52:53] offset0:10 offset1:11
	;; [unrolled: 1-line block ×10, first 2 shown]
	ds_read2_b64 v[70:73], v1 offset1:1
	s_waitcnt lgkmcnt(0)
	v_cmp_neq_f64_e32 vcc_lo, 0, v[70:71]
	v_cmp_neq_f64_e64 s1, 0, v[72:73]
	s_or_b32 s1, vcc_lo, s1
	s_and_b32 exec_lo, exec_lo, s1
	s_cbranch_execz .LBB27_35
; %bb.30:
	v_cmp_ngt_f64_e64 s1, |v[70:71]|, |v[72:73]|
                                        ; implicit-def: $vgpr74_vgpr75
	s_and_saveexec_b32 s3, s1
	s_xor_b32 s1, exec_lo, s3
                                        ; implicit-def: $vgpr76_vgpr77
	s_cbranch_execz .LBB27_32
; %bb.31:
	v_div_scale_f64 v[74:75], null, v[72:73], v[72:73], v[70:71]
	v_div_scale_f64 v[80:81], vcc_lo, v[70:71], v[72:73], v[70:71]
	v_rcp_f64_e32 v[76:77], v[74:75]
	v_fma_f64 v[78:79], -v[74:75], v[76:77], 1.0
	v_fma_f64 v[76:77], v[76:77], v[78:79], v[76:77]
	v_fma_f64 v[78:79], -v[74:75], v[76:77], 1.0
	v_fma_f64 v[76:77], v[76:77], v[78:79], v[76:77]
	v_mul_f64 v[78:79], v[80:81], v[76:77]
	v_fma_f64 v[74:75], -v[74:75], v[78:79], v[80:81]
	v_div_fmas_f64 v[74:75], v[74:75], v[76:77], v[78:79]
	v_div_fixup_f64 v[74:75], v[74:75], v[72:73], v[70:71]
	v_fma_f64 v[70:71], v[70:71], v[74:75], v[72:73]
	v_div_scale_f64 v[72:73], null, v[70:71], v[70:71], 1.0
	v_rcp_f64_e32 v[76:77], v[72:73]
	v_fma_f64 v[78:79], -v[72:73], v[76:77], 1.0
	v_fma_f64 v[76:77], v[76:77], v[78:79], v[76:77]
	v_fma_f64 v[78:79], -v[72:73], v[76:77], 1.0
	v_fma_f64 v[76:77], v[76:77], v[78:79], v[76:77]
	v_div_scale_f64 v[78:79], vcc_lo, 1.0, v[70:71], 1.0
	v_mul_f64 v[80:81], v[78:79], v[76:77]
	v_fma_f64 v[72:73], -v[72:73], v[80:81], v[78:79]
	v_div_fmas_f64 v[72:73], v[72:73], v[76:77], v[80:81]
	v_div_fixup_f64 v[76:77], v[72:73], v[70:71], 1.0
                                        ; implicit-def: $vgpr70_vgpr71
	v_mul_f64 v[74:75], v[74:75], v[76:77]
	v_xor_b32_e32 v77, 0x80000000, v77
.LBB27_32:
	s_andn2_saveexec_b32 s1, s1
	s_cbranch_execz .LBB27_34
; %bb.33:
	v_div_scale_f64 v[74:75], null, v[70:71], v[70:71], v[72:73]
	v_div_scale_f64 v[80:81], vcc_lo, v[72:73], v[70:71], v[72:73]
	v_rcp_f64_e32 v[76:77], v[74:75]
	v_fma_f64 v[78:79], -v[74:75], v[76:77], 1.0
	v_fma_f64 v[76:77], v[76:77], v[78:79], v[76:77]
	v_fma_f64 v[78:79], -v[74:75], v[76:77], 1.0
	v_fma_f64 v[76:77], v[76:77], v[78:79], v[76:77]
	v_mul_f64 v[78:79], v[80:81], v[76:77]
	v_fma_f64 v[74:75], -v[74:75], v[78:79], v[80:81]
	v_div_fmas_f64 v[74:75], v[74:75], v[76:77], v[78:79]
	v_div_fixup_f64 v[76:77], v[74:75], v[70:71], v[72:73]
	v_fma_f64 v[70:71], v[72:73], v[76:77], v[70:71]
	v_div_scale_f64 v[72:73], null, v[70:71], v[70:71], 1.0
	v_rcp_f64_e32 v[74:75], v[72:73]
	v_fma_f64 v[78:79], -v[72:73], v[74:75], 1.0
	v_fma_f64 v[74:75], v[74:75], v[78:79], v[74:75]
	v_fma_f64 v[78:79], -v[72:73], v[74:75], 1.0
	v_fma_f64 v[74:75], v[74:75], v[78:79], v[74:75]
	v_div_scale_f64 v[78:79], vcc_lo, 1.0, v[70:71], 1.0
	v_mul_f64 v[80:81], v[78:79], v[74:75]
	v_fma_f64 v[72:73], -v[72:73], v[80:81], v[78:79]
	v_div_fmas_f64 v[72:73], v[72:73], v[74:75], v[80:81]
	v_div_fixup_f64 v[74:75], v[72:73], v[70:71], 1.0
	v_mul_f64 v[76:77], v[76:77], -v[74:75]
.LBB27_34:
	s_or_b32 exec_lo, exec_lo, s1
	ds_write2_b64 v1, v[74:75], v[76:77] offset1:1
.LBB27_35:
	s_or_b32 exec_lo, exec_lo, s2
	s_waitcnt lgkmcnt(0)
	s_barrier
	buffer_gl0_inv
	ds_read2_b64 v[70:73], v1 offset1:1
	s_mov_b32 s1, exec_lo
	v_cmpx_lt_u32_e32 3, v0
	s_cbranch_execz .LBB27_37
; %bb.36:
	s_waitcnt lgkmcnt(0)
	v_mul_f64 v[74:75], v[70:71], v[4:5]
	v_mul_f64 v[4:5], v[72:73], v[4:5]
	v_fma_f64 v[145:146], v[72:73], v[2:3], v[74:75]
	ds_read2_b64 v[74:77], v144 offset0:8 offset1:9
	ds_read2_b64 v[78:81], v144 offset0:10 offset1:11
	;; [unrolled: 1-line block ×10, first 2 shown]
	v_fma_f64 v[2:3], v[70:71], v[2:3], -v[4:5]
	s_waitcnt lgkmcnt(9)
	v_mul_f64 v[4:5], v[76:77], v[145:146]
	v_mul_f64 v[147:148], v[74:75], v[145:146]
	s_waitcnt lgkmcnt(8)
	v_mul_f64 v[149:150], v[80:81], v[145:146]
	v_mul_f64 v[151:152], v[78:79], v[145:146]
	;; [unrolled: 3-line block ×10, first 2 shown]
	v_fma_f64 v[4:5], v[74:75], v[2:3], -v[4:5]
	v_fma_f64 v[74:75], v[76:77], v[2:3], v[147:148]
	v_fma_f64 v[76:77], v[78:79], v[2:3], -v[149:150]
	v_fma_f64 v[78:79], v[80:81], v[2:3], v[151:152]
	;; [unrolled: 2-line block ×10, first 2 shown]
	v_add_f64 v[54:55], v[54:55], -v[4:5]
	v_add_f64 v[56:57], v[56:57], -v[74:75]
	;; [unrolled: 1-line block ×20, first 2 shown]
	v_mov_b32_e32 v4, v145
	v_mov_b32_e32 v5, v146
.LBB27_37:
	s_or_b32 exec_lo, exec_lo, s1
	s_mov_b32 s2, exec_lo
	s_waitcnt lgkmcnt(0)
	s_barrier
	buffer_gl0_inv
	v_cmpx_eq_u32_e32 4, v0
	s_cbranch_execz .LBB27_44
; %bb.38:
	ds_write2_b64 v1, v[54:55], v[56:57] offset1:1
	ds_write2_b64 v144, v[50:51], v[52:53] offset0:10 offset1:11
	ds_write2_b64 v144, v[46:47], v[48:49] offset0:12 offset1:13
	;; [unrolled: 1-line block ×9, first 2 shown]
	ds_read2_b64 v[74:77], v1 offset1:1
	s_waitcnt lgkmcnt(0)
	v_cmp_neq_f64_e32 vcc_lo, 0, v[74:75]
	v_cmp_neq_f64_e64 s1, 0, v[76:77]
	s_or_b32 s1, vcc_lo, s1
	s_and_b32 exec_lo, exec_lo, s1
	s_cbranch_execz .LBB27_44
; %bb.39:
	v_cmp_ngt_f64_e64 s1, |v[74:75]|, |v[76:77]|
                                        ; implicit-def: $vgpr78_vgpr79
	s_and_saveexec_b32 s3, s1
	s_xor_b32 s1, exec_lo, s3
                                        ; implicit-def: $vgpr80_vgpr81
	s_cbranch_execz .LBB27_41
; %bb.40:
	v_div_scale_f64 v[78:79], null, v[76:77], v[76:77], v[74:75]
	v_div_scale_f64 v[84:85], vcc_lo, v[74:75], v[76:77], v[74:75]
	v_rcp_f64_e32 v[80:81], v[78:79]
	v_fma_f64 v[82:83], -v[78:79], v[80:81], 1.0
	v_fma_f64 v[80:81], v[80:81], v[82:83], v[80:81]
	v_fma_f64 v[82:83], -v[78:79], v[80:81], 1.0
	v_fma_f64 v[80:81], v[80:81], v[82:83], v[80:81]
	v_mul_f64 v[82:83], v[84:85], v[80:81]
	v_fma_f64 v[78:79], -v[78:79], v[82:83], v[84:85]
	v_div_fmas_f64 v[78:79], v[78:79], v[80:81], v[82:83]
	v_div_fixup_f64 v[78:79], v[78:79], v[76:77], v[74:75]
	v_fma_f64 v[74:75], v[74:75], v[78:79], v[76:77]
	v_div_scale_f64 v[76:77], null, v[74:75], v[74:75], 1.0
	v_rcp_f64_e32 v[80:81], v[76:77]
	v_fma_f64 v[82:83], -v[76:77], v[80:81], 1.0
	v_fma_f64 v[80:81], v[80:81], v[82:83], v[80:81]
	v_fma_f64 v[82:83], -v[76:77], v[80:81], 1.0
	v_fma_f64 v[80:81], v[80:81], v[82:83], v[80:81]
	v_div_scale_f64 v[82:83], vcc_lo, 1.0, v[74:75], 1.0
	v_mul_f64 v[84:85], v[82:83], v[80:81]
	v_fma_f64 v[76:77], -v[76:77], v[84:85], v[82:83]
	v_div_fmas_f64 v[76:77], v[76:77], v[80:81], v[84:85]
	v_div_fixup_f64 v[80:81], v[76:77], v[74:75], 1.0
                                        ; implicit-def: $vgpr74_vgpr75
	v_mul_f64 v[78:79], v[78:79], v[80:81]
	v_xor_b32_e32 v81, 0x80000000, v81
.LBB27_41:
	s_andn2_saveexec_b32 s1, s1
	s_cbranch_execz .LBB27_43
; %bb.42:
	v_div_scale_f64 v[78:79], null, v[74:75], v[74:75], v[76:77]
	v_div_scale_f64 v[84:85], vcc_lo, v[76:77], v[74:75], v[76:77]
	v_rcp_f64_e32 v[80:81], v[78:79]
	v_fma_f64 v[82:83], -v[78:79], v[80:81], 1.0
	v_fma_f64 v[80:81], v[80:81], v[82:83], v[80:81]
	v_fma_f64 v[82:83], -v[78:79], v[80:81], 1.0
	v_fma_f64 v[80:81], v[80:81], v[82:83], v[80:81]
	v_mul_f64 v[82:83], v[84:85], v[80:81]
	v_fma_f64 v[78:79], -v[78:79], v[82:83], v[84:85]
	v_div_fmas_f64 v[78:79], v[78:79], v[80:81], v[82:83]
	v_div_fixup_f64 v[80:81], v[78:79], v[74:75], v[76:77]
	v_fma_f64 v[74:75], v[76:77], v[80:81], v[74:75]
	v_div_scale_f64 v[76:77], null, v[74:75], v[74:75], 1.0
	v_rcp_f64_e32 v[78:79], v[76:77]
	v_fma_f64 v[82:83], -v[76:77], v[78:79], 1.0
	v_fma_f64 v[78:79], v[78:79], v[82:83], v[78:79]
	v_fma_f64 v[82:83], -v[76:77], v[78:79], 1.0
	v_fma_f64 v[78:79], v[78:79], v[82:83], v[78:79]
	v_div_scale_f64 v[82:83], vcc_lo, 1.0, v[74:75], 1.0
	v_mul_f64 v[84:85], v[82:83], v[78:79]
	v_fma_f64 v[76:77], -v[76:77], v[84:85], v[82:83]
	v_div_fmas_f64 v[76:77], v[76:77], v[78:79], v[84:85]
	v_div_fixup_f64 v[78:79], v[76:77], v[74:75], 1.0
	v_mul_f64 v[80:81], v[80:81], -v[78:79]
.LBB27_43:
	s_or_b32 exec_lo, exec_lo, s1
	ds_write2_b64 v1, v[78:79], v[80:81] offset1:1
.LBB27_44:
	s_or_b32 exec_lo, exec_lo, s2
	s_waitcnt lgkmcnt(0)
	s_barrier
	buffer_gl0_inv
	ds_read2_b64 v[74:77], v1 offset1:1
	s_mov_b32 s1, exec_lo
	v_cmpx_lt_u32_e32 4, v0
	s_cbranch_execz .LBB27_46
; %bb.45:
	s_waitcnt lgkmcnt(0)
	v_mul_f64 v[78:79], v[74:75], v[56:57]
	v_mul_f64 v[56:57], v[76:77], v[56:57]
	v_fma_f64 v[145:146], v[76:77], v[54:55], v[78:79]
	ds_read2_b64 v[78:81], v144 offset0:10 offset1:11
	ds_read2_b64 v[82:85], v144 offset0:12 offset1:13
	;; [unrolled: 1-line block ×9, first 2 shown]
	v_fma_f64 v[54:55], v[74:75], v[54:55], -v[56:57]
	s_waitcnt lgkmcnt(8)
	v_mul_f64 v[56:57], v[80:81], v[145:146]
	v_mul_f64 v[147:148], v[78:79], v[145:146]
	s_waitcnt lgkmcnt(7)
	v_mul_f64 v[149:150], v[84:85], v[145:146]
	v_mul_f64 v[151:152], v[82:83], v[145:146]
	s_waitcnt lgkmcnt(6)
	v_mul_f64 v[153:154], v[88:89], v[145:146]
	v_mul_f64 v[155:156], v[86:87], v[145:146]
	s_waitcnt lgkmcnt(5)
	v_mul_f64 v[157:158], v[92:93], v[145:146]
	v_mul_f64 v[159:160], v[90:91], v[145:146]
	s_waitcnt lgkmcnt(4)
	v_mul_f64 v[161:162], v[96:97], v[145:146]
	v_mul_f64 v[163:164], v[94:95], v[145:146]
	s_waitcnt lgkmcnt(3)
	v_mul_f64 v[165:166], v[100:101], v[145:146]
	v_mul_f64 v[167:168], v[98:99], v[145:146]
	s_waitcnt lgkmcnt(2)
	v_mul_f64 v[169:170], v[104:105], v[145:146]
	v_mul_f64 v[171:172], v[102:103], v[145:146]
	s_waitcnt lgkmcnt(1)
	v_mul_f64 v[173:174], v[108:109], v[145:146]
	v_mul_f64 v[175:176], v[106:107], v[145:146]
	s_waitcnt lgkmcnt(0)
	v_mul_f64 v[177:178], v[112:113], v[145:146]
	v_mul_f64 v[179:180], v[110:111], v[145:146]
	v_fma_f64 v[56:57], v[78:79], v[54:55], -v[56:57]
	v_fma_f64 v[78:79], v[80:81], v[54:55], v[147:148]
	v_fma_f64 v[80:81], v[82:83], v[54:55], -v[149:150]
	v_fma_f64 v[82:83], v[84:85], v[54:55], v[151:152]
	;; [unrolled: 2-line block ×9, first 2 shown]
	v_add_f64 v[50:51], v[50:51], -v[56:57]
	v_add_f64 v[52:53], v[52:53], -v[78:79]
	;; [unrolled: 1-line block ×18, first 2 shown]
	v_mov_b32_e32 v56, v145
	v_mov_b32_e32 v57, v146
.LBB27_46:
	s_or_b32 exec_lo, exec_lo, s1
	s_mov_b32 s2, exec_lo
	s_waitcnt lgkmcnt(0)
	s_barrier
	buffer_gl0_inv
	v_cmpx_eq_u32_e32 5, v0
	s_cbranch_execz .LBB27_53
; %bb.47:
	ds_write2_b64 v1, v[50:51], v[52:53] offset1:1
	ds_write2_b64 v144, v[46:47], v[48:49] offset0:12 offset1:13
	ds_write2_b64 v144, v[42:43], v[44:45] offset0:14 offset1:15
	ds_write2_b64 v144, v[38:39], v[40:41] offset0:16 offset1:17
	ds_write2_b64 v144, v[34:35], v[36:37] offset0:18 offset1:19
	ds_write2_b64 v144, v[30:31], v[32:33] offset0:20 offset1:21
	ds_write2_b64 v144, v[26:27], v[28:29] offset0:22 offset1:23
	ds_write2_b64 v144, v[22:23], v[24:25] offset0:24 offset1:25
	ds_write2_b64 v144, v[18:19], v[20:21] offset0:26 offset1:27
	ds_read2_b64 v[78:81], v1 offset1:1
	s_waitcnt lgkmcnt(0)
	v_cmp_neq_f64_e32 vcc_lo, 0, v[78:79]
	v_cmp_neq_f64_e64 s1, 0, v[80:81]
	s_or_b32 s1, vcc_lo, s1
	s_and_b32 exec_lo, exec_lo, s1
	s_cbranch_execz .LBB27_53
; %bb.48:
	v_cmp_ngt_f64_e64 s1, |v[78:79]|, |v[80:81]|
                                        ; implicit-def: $vgpr82_vgpr83
	s_and_saveexec_b32 s3, s1
	s_xor_b32 s1, exec_lo, s3
                                        ; implicit-def: $vgpr84_vgpr85
	s_cbranch_execz .LBB27_50
; %bb.49:
	v_div_scale_f64 v[82:83], null, v[80:81], v[80:81], v[78:79]
	v_div_scale_f64 v[88:89], vcc_lo, v[78:79], v[80:81], v[78:79]
	v_rcp_f64_e32 v[84:85], v[82:83]
	v_fma_f64 v[86:87], -v[82:83], v[84:85], 1.0
	v_fma_f64 v[84:85], v[84:85], v[86:87], v[84:85]
	v_fma_f64 v[86:87], -v[82:83], v[84:85], 1.0
	v_fma_f64 v[84:85], v[84:85], v[86:87], v[84:85]
	v_mul_f64 v[86:87], v[88:89], v[84:85]
	v_fma_f64 v[82:83], -v[82:83], v[86:87], v[88:89]
	v_div_fmas_f64 v[82:83], v[82:83], v[84:85], v[86:87]
	v_div_fixup_f64 v[82:83], v[82:83], v[80:81], v[78:79]
	v_fma_f64 v[78:79], v[78:79], v[82:83], v[80:81]
	v_div_scale_f64 v[80:81], null, v[78:79], v[78:79], 1.0
	v_rcp_f64_e32 v[84:85], v[80:81]
	v_fma_f64 v[86:87], -v[80:81], v[84:85], 1.0
	v_fma_f64 v[84:85], v[84:85], v[86:87], v[84:85]
	v_fma_f64 v[86:87], -v[80:81], v[84:85], 1.0
	v_fma_f64 v[84:85], v[84:85], v[86:87], v[84:85]
	v_div_scale_f64 v[86:87], vcc_lo, 1.0, v[78:79], 1.0
	v_mul_f64 v[88:89], v[86:87], v[84:85]
	v_fma_f64 v[80:81], -v[80:81], v[88:89], v[86:87]
	v_div_fmas_f64 v[80:81], v[80:81], v[84:85], v[88:89]
	v_div_fixup_f64 v[84:85], v[80:81], v[78:79], 1.0
                                        ; implicit-def: $vgpr78_vgpr79
	v_mul_f64 v[82:83], v[82:83], v[84:85]
	v_xor_b32_e32 v85, 0x80000000, v85
.LBB27_50:
	s_andn2_saveexec_b32 s1, s1
	s_cbranch_execz .LBB27_52
; %bb.51:
	v_div_scale_f64 v[82:83], null, v[78:79], v[78:79], v[80:81]
	v_div_scale_f64 v[88:89], vcc_lo, v[80:81], v[78:79], v[80:81]
	v_rcp_f64_e32 v[84:85], v[82:83]
	v_fma_f64 v[86:87], -v[82:83], v[84:85], 1.0
	v_fma_f64 v[84:85], v[84:85], v[86:87], v[84:85]
	v_fma_f64 v[86:87], -v[82:83], v[84:85], 1.0
	v_fma_f64 v[84:85], v[84:85], v[86:87], v[84:85]
	v_mul_f64 v[86:87], v[88:89], v[84:85]
	v_fma_f64 v[82:83], -v[82:83], v[86:87], v[88:89]
	v_div_fmas_f64 v[82:83], v[82:83], v[84:85], v[86:87]
	v_div_fixup_f64 v[84:85], v[82:83], v[78:79], v[80:81]
	v_fma_f64 v[78:79], v[80:81], v[84:85], v[78:79]
	v_div_scale_f64 v[80:81], null, v[78:79], v[78:79], 1.0
	v_rcp_f64_e32 v[82:83], v[80:81]
	v_fma_f64 v[86:87], -v[80:81], v[82:83], 1.0
	v_fma_f64 v[82:83], v[82:83], v[86:87], v[82:83]
	v_fma_f64 v[86:87], -v[80:81], v[82:83], 1.0
	v_fma_f64 v[82:83], v[82:83], v[86:87], v[82:83]
	v_div_scale_f64 v[86:87], vcc_lo, 1.0, v[78:79], 1.0
	v_mul_f64 v[88:89], v[86:87], v[82:83]
	v_fma_f64 v[80:81], -v[80:81], v[88:89], v[86:87]
	v_div_fmas_f64 v[80:81], v[80:81], v[82:83], v[88:89]
	v_div_fixup_f64 v[82:83], v[80:81], v[78:79], 1.0
	v_mul_f64 v[84:85], v[84:85], -v[82:83]
.LBB27_52:
	s_or_b32 exec_lo, exec_lo, s1
	ds_write2_b64 v1, v[82:83], v[84:85] offset1:1
.LBB27_53:
	s_or_b32 exec_lo, exec_lo, s2
	s_waitcnt lgkmcnt(0)
	s_barrier
	buffer_gl0_inv
	ds_read2_b64 v[78:81], v1 offset1:1
	s_mov_b32 s1, exec_lo
	v_cmpx_lt_u32_e32 5, v0
	s_cbranch_execz .LBB27_55
; %bb.54:
	s_waitcnt lgkmcnt(0)
	v_mul_f64 v[82:83], v[78:79], v[52:53]
	v_mul_f64 v[52:53], v[80:81], v[52:53]
	v_fma_f64 v[145:146], v[80:81], v[50:51], v[82:83]
	ds_read2_b64 v[82:85], v144 offset0:12 offset1:13
	ds_read2_b64 v[86:89], v144 offset0:14 offset1:15
	;; [unrolled: 1-line block ×8, first 2 shown]
	v_fma_f64 v[50:51], v[78:79], v[50:51], -v[52:53]
	s_waitcnt lgkmcnt(7)
	v_mul_f64 v[52:53], v[84:85], v[145:146]
	v_mul_f64 v[147:148], v[82:83], v[145:146]
	s_waitcnt lgkmcnt(6)
	v_mul_f64 v[149:150], v[88:89], v[145:146]
	v_mul_f64 v[151:152], v[86:87], v[145:146]
	;; [unrolled: 3-line block ×8, first 2 shown]
	v_fma_f64 v[52:53], v[82:83], v[50:51], -v[52:53]
	v_fma_f64 v[82:83], v[84:85], v[50:51], v[147:148]
	v_fma_f64 v[84:85], v[86:87], v[50:51], -v[149:150]
	v_fma_f64 v[86:87], v[88:89], v[50:51], v[151:152]
	;; [unrolled: 2-line block ×8, first 2 shown]
	v_add_f64 v[46:47], v[46:47], -v[52:53]
	v_add_f64 v[48:49], v[48:49], -v[82:83]
	;; [unrolled: 1-line block ×16, first 2 shown]
	v_mov_b32_e32 v52, v145
	v_mov_b32_e32 v53, v146
.LBB27_55:
	s_or_b32 exec_lo, exec_lo, s1
	s_mov_b32 s2, exec_lo
	s_waitcnt lgkmcnt(0)
	s_barrier
	buffer_gl0_inv
	v_cmpx_eq_u32_e32 6, v0
	s_cbranch_execz .LBB27_62
; %bb.56:
	ds_write2_b64 v1, v[46:47], v[48:49] offset1:1
	ds_write2_b64 v144, v[42:43], v[44:45] offset0:14 offset1:15
	ds_write2_b64 v144, v[38:39], v[40:41] offset0:16 offset1:17
	;; [unrolled: 1-line block ×7, first 2 shown]
	ds_read2_b64 v[82:85], v1 offset1:1
	s_waitcnt lgkmcnt(0)
	v_cmp_neq_f64_e32 vcc_lo, 0, v[82:83]
	v_cmp_neq_f64_e64 s1, 0, v[84:85]
	s_or_b32 s1, vcc_lo, s1
	s_and_b32 exec_lo, exec_lo, s1
	s_cbranch_execz .LBB27_62
; %bb.57:
	v_cmp_ngt_f64_e64 s1, |v[82:83]|, |v[84:85]|
                                        ; implicit-def: $vgpr86_vgpr87
	s_and_saveexec_b32 s3, s1
	s_xor_b32 s1, exec_lo, s3
                                        ; implicit-def: $vgpr88_vgpr89
	s_cbranch_execz .LBB27_59
; %bb.58:
	v_div_scale_f64 v[86:87], null, v[84:85], v[84:85], v[82:83]
	v_div_scale_f64 v[92:93], vcc_lo, v[82:83], v[84:85], v[82:83]
	v_rcp_f64_e32 v[88:89], v[86:87]
	v_fma_f64 v[90:91], -v[86:87], v[88:89], 1.0
	v_fma_f64 v[88:89], v[88:89], v[90:91], v[88:89]
	v_fma_f64 v[90:91], -v[86:87], v[88:89], 1.0
	v_fma_f64 v[88:89], v[88:89], v[90:91], v[88:89]
	v_mul_f64 v[90:91], v[92:93], v[88:89]
	v_fma_f64 v[86:87], -v[86:87], v[90:91], v[92:93]
	v_div_fmas_f64 v[86:87], v[86:87], v[88:89], v[90:91]
	v_div_fixup_f64 v[86:87], v[86:87], v[84:85], v[82:83]
	v_fma_f64 v[82:83], v[82:83], v[86:87], v[84:85]
	v_div_scale_f64 v[84:85], null, v[82:83], v[82:83], 1.0
	v_rcp_f64_e32 v[88:89], v[84:85]
	v_fma_f64 v[90:91], -v[84:85], v[88:89], 1.0
	v_fma_f64 v[88:89], v[88:89], v[90:91], v[88:89]
	v_fma_f64 v[90:91], -v[84:85], v[88:89], 1.0
	v_fma_f64 v[88:89], v[88:89], v[90:91], v[88:89]
	v_div_scale_f64 v[90:91], vcc_lo, 1.0, v[82:83], 1.0
	v_mul_f64 v[92:93], v[90:91], v[88:89]
	v_fma_f64 v[84:85], -v[84:85], v[92:93], v[90:91]
	v_div_fmas_f64 v[84:85], v[84:85], v[88:89], v[92:93]
	v_div_fixup_f64 v[88:89], v[84:85], v[82:83], 1.0
                                        ; implicit-def: $vgpr82_vgpr83
	v_mul_f64 v[86:87], v[86:87], v[88:89]
	v_xor_b32_e32 v89, 0x80000000, v89
.LBB27_59:
	s_andn2_saveexec_b32 s1, s1
	s_cbranch_execz .LBB27_61
; %bb.60:
	v_div_scale_f64 v[86:87], null, v[82:83], v[82:83], v[84:85]
	v_div_scale_f64 v[92:93], vcc_lo, v[84:85], v[82:83], v[84:85]
	v_rcp_f64_e32 v[88:89], v[86:87]
	v_fma_f64 v[90:91], -v[86:87], v[88:89], 1.0
	v_fma_f64 v[88:89], v[88:89], v[90:91], v[88:89]
	v_fma_f64 v[90:91], -v[86:87], v[88:89], 1.0
	v_fma_f64 v[88:89], v[88:89], v[90:91], v[88:89]
	v_mul_f64 v[90:91], v[92:93], v[88:89]
	v_fma_f64 v[86:87], -v[86:87], v[90:91], v[92:93]
	v_div_fmas_f64 v[86:87], v[86:87], v[88:89], v[90:91]
	v_div_fixup_f64 v[88:89], v[86:87], v[82:83], v[84:85]
	v_fma_f64 v[82:83], v[84:85], v[88:89], v[82:83]
	v_div_scale_f64 v[84:85], null, v[82:83], v[82:83], 1.0
	v_rcp_f64_e32 v[86:87], v[84:85]
	v_fma_f64 v[90:91], -v[84:85], v[86:87], 1.0
	v_fma_f64 v[86:87], v[86:87], v[90:91], v[86:87]
	v_fma_f64 v[90:91], -v[84:85], v[86:87], 1.0
	v_fma_f64 v[86:87], v[86:87], v[90:91], v[86:87]
	v_div_scale_f64 v[90:91], vcc_lo, 1.0, v[82:83], 1.0
	v_mul_f64 v[92:93], v[90:91], v[86:87]
	v_fma_f64 v[84:85], -v[84:85], v[92:93], v[90:91]
	v_div_fmas_f64 v[84:85], v[84:85], v[86:87], v[92:93]
	v_div_fixup_f64 v[86:87], v[84:85], v[82:83], 1.0
	v_mul_f64 v[88:89], v[88:89], -v[86:87]
.LBB27_61:
	s_or_b32 exec_lo, exec_lo, s1
	ds_write2_b64 v1, v[86:87], v[88:89] offset1:1
.LBB27_62:
	s_or_b32 exec_lo, exec_lo, s2
	s_waitcnt lgkmcnt(0)
	s_barrier
	buffer_gl0_inv
	ds_read2_b64 v[82:85], v1 offset1:1
	s_mov_b32 s1, exec_lo
	v_cmpx_lt_u32_e32 6, v0
	s_cbranch_execz .LBB27_64
; %bb.63:
	s_waitcnt lgkmcnt(0)
	v_mul_f64 v[86:87], v[82:83], v[48:49]
	v_mul_f64 v[48:49], v[84:85], v[48:49]
	v_fma_f64 v[145:146], v[84:85], v[46:47], v[86:87]
	ds_read2_b64 v[86:89], v144 offset0:14 offset1:15
	ds_read2_b64 v[90:93], v144 offset0:16 offset1:17
	;; [unrolled: 1-line block ×7, first 2 shown]
	v_fma_f64 v[46:47], v[82:83], v[46:47], -v[48:49]
	s_waitcnt lgkmcnt(6)
	v_mul_f64 v[48:49], v[88:89], v[145:146]
	v_mul_f64 v[147:148], v[86:87], v[145:146]
	s_waitcnt lgkmcnt(5)
	v_mul_f64 v[149:150], v[92:93], v[145:146]
	v_mul_f64 v[151:152], v[90:91], v[145:146]
	;; [unrolled: 3-line block ×7, first 2 shown]
	v_fma_f64 v[48:49], v[86:87], v[46:47], -v[48:49]
	v_fma_f64 v[86:87], v[88:89], v[46:47], v[147:148]
	v_fma_f64 v[88:89], v[90:91], v[46:47], -v[149:150]
	v_fma_f64 v[90:91], v[92:93], v[46:47], v[151:152]
	;; [unrolled: 2-line block ×7, first 2 shown]
	v_add_f64 v[42:43], v[42:43], -v[48:49]
	v_add_f64 v[44:45], v[44:45], -v[86:87]
	;; [unrolled: 1-line block ×14, first 2 shown]
	v_mov_b32_e32 v48, v145
	v_mov_b32_e32 v49, v146
.LBB27_64:
	s_or_b32 exec_lo, exec_lo, s1
	s_mov_b32 s2, exec_lo
	s_waitcnt lgkmcnt(0)
	s_barrier
	buffer_gl0_inv
	v_cmpx_eq_u32_e32 7, v0
	s_cbranch_execz .LBB27_71
; %bb.65:
	ds_write2_b64 v1, v[42:43], v[44:45] offset1:1
	ds_write2_b64 v144, v[38:39], v[40:41] offset0:16 offset1:17
	ds_write2_b64 v144, v[34:35], v[36:37] offset0:18 offset1:19
	;; [unrolled: 1-line block ×6, first 2 shown]
	ds_read2_b64 v[86:89], v1 offset1:1
	s_waitcnt lgkmcnt(0)
	v_cmp_neq_f64_e32 vcc_lo, 0, v[86:87]
	v_cmp_neq_f64_e64 s1, 0, v[88:89]
	s_or_b32 s1, vcc_lo, s1
	s_and_b32 exec_lo, exec_lo, s1
	s_cbranch_execz .LBB27_71
; %bb.66:
	v_cmp_ngt_f64_e64 s1, |v[86:87]|, |v[88:89]|
                                        ; implicit-def: $vgpr90_vgpr91
	s_and_saveexec_b32 s3, s1
	s_xor_b32 s1, exec_lo, s3
                                        ; implicit-def: $vgpr92_vgpr93
	s_cbranch_execz .LBB27_68
; %bb.67:
	v_div_scale_f64 v[90:91], null, v[88:89], v[88:89], v[86:87]
	v_div_scale_f64 v[96:97], vcc_lo, v[86:87], v[88:89], v[86:87]
	v_rcp_f64_e32 v[92:93], v[90:91]
	v_fma_f64 v[94:95], -v[90:91], v[92:93], 1.0
	v_fma_f64 v[92:93], v[92:93], v[94:95], v[92:93]
	v_fma_f64 v[94:95], -v[90:91], v[92:93], 1.0
	v_fma_f64 v[92:93], v[92:93], v[94:95], v[92:93]
	v_mul_f64 v[94:95], v[96:97], v[92:93]
	v_fma_f64 v[90:91], -v[90:91], v[94:95], v[96:97]
	v_div_fmas_f64 v[90:91], v[90:91], v[92:93], v[94:95]
	v_div_fixup_f64 v[90:91], v[90:91], v[88:89], v[86:87]
	v_fma_f64 v[86:87], v[86:87], v[90:91], v[88:89]
	v_div_scale_f64 v[88:89], null, v[86:87], v[86:87], 1.0
	v_rcp_f64_e32 v[92:93], v[88:89]
	v_fma_f64 v[94:95], -v[88:89], v[92:93], 1.0
	v_fma_f64 v[92:93], v[92:93], v[94:95], v[92:93]
	v_fma_f64 v[94:95], -v[88:89], v[92:93], 1.0
	v_fma_f64 v[92:93], v[92:93], v[94:95], v[92:93]
	v_div_scale_f64 v[94:95], vcc_lo, 1.0, v[86:87], 1.0
	v_mul_f64 v[96:97], v[94:95], v[92:93]
	v_fma_f64 v[88:89], -v[88:89], v[96:97], v[94:95]
	v_div_fmas_f64 v[88:89], v[88:89], v[92:93], v[96:97]
	v_div_fixup_f64 v[92:93], v[88:89], v[86:87], 1.0
                                        ; implicit-def: $vgpr86_vgpr87
	v_mul_f64 v[90:91], v[90:91], v[92:93]
	v_xor_b32_e32 v93, 0x80000000, v93
.LBB27_68:
	s_andn2_saveexec_b32 s1, s1
	s_cbranch_execz .LBB27_70
; %bb.69:
	v_div_scale_f64 v[90:91], null, v[86:87], v[86:87], v[88:89]
	v_div_scale_f64 v[96:97], vcc_lo, v[88:89], v[86:87], v[88:89]
	v_rcp_f64_e32 v[92:93], v[90:91]
	v_fma_f64 v[94:95], -v[90:91], v[92:93], 1.0
	v_fma_f64 v[92:93], v[92:93], v[94:95], v[92:93]
	v_fma_f64 v[94:95], -v[90:91], v[92:93], 1.0
	v_fma_f64 v[92:93], v[92:93], v[94:95], v[92:93]
	v_mul_f64 v[94:95], v[96:97], v[92:93]
	v_fma_f64 v[90:91], -v[90:91], v[94:95], v[96:97]
	v_div_fmas_f64 v[90:91], v[90:91], v[92:93], v[94:95]
	v_div_fixup_f64 v[92:93], v[90:91], v[86:87], v[88:89]
	v_fma_f64 v[86:87], v[88:89], v[92:93], v[86:87]
	v_div_scale_f64 v[88:89], null, v[86:87], v[86:87], 1.0
	v_rcp_f64_e32 v[90:91], v[88:89]
	v_fma_f64 v[94:95], -v[88:89], v[90:91], 1.0
	v_fma_f64 v[90:91], v[90:91], v[94:95], v[90:91]
	v_fma_f64 v[94:95], -v[88:89], v[90:91], 1.0
	v_fma_f64 v[90:91], v[90:91], v[94:95], v[90:91]
	v_div_scale_f64 v[94:95], vcc_lo, 1.0, v[86:87], 1.0
	v_mul_f64 v[96:97], v[94:95], v[90:91]
	v_fma_f64 v[88:89], -v[88:89], v[96:97], v[94:95]
	v_div_fmas_f64 v[88:89], v[88:89], v[90:91], v[96:97]
	v_div_fixup_f64 v[90:91], v[88:89], v[86:87], 1.0
	v_mul_f64 v[92:93], v[92:93], -v[90:91]
.LBB27_70:
	s_or_b32 exec_lo, exec_lo, s1
	ds_write2_b64 v1, v[90:91], v[92:93] offset1:1
.LBB27_71:
	s_or_b32 exec_lo, exec_lo, s2
	s_waitcnt lgkmcnt(0)
	s_barrier
	buffer_gl0_inv
	ds_read2_b64 v[86:89], v1 offset1:1
	s_mov_b32 s1, exec_lo
	v_cmpx_lt_u32_e32 7, v0
	s_cbranch_execz .LBB27_73
; %bb.72:
	s_waitcnt lgkmcnt(0)
	v_mul_f64 v[90:91], v[86:87], v[44:45]
	v_mul_f64 v[44:45], v[88:89], v[44:45]
	v_fma_f64 v[145:146], v[88:89], v[42:43], v[90:91]
	ds_read2_b64 v[90:93], v144 offset0:16 offset1:17
	ds_read2_b64 v[94:97], v144 offset0:18 offset1:19
	;; [unrolled: 1-line block ×6, first 2 shown]
	v_fma_f64 v[42:43], v[86:87], v[42:43], -v[44:45]
	s_waitcnt lgkmcnt(5)
	v_mul_f64 v[44:45], v[92:93], v[145:146]
	v_mul_f64 v[147:148], v[90:91], v[145:146]
	s_waitcnt lgkmcnt(4)
	v_mul_f64 v[149:150], v[96:97], v[145:146]
	v_mul_f64 v[151:152], v[94:95], v[145:146]
	;; [unrolled: 3-line block ×6, first 2 shown]
	v_fma_f64 v[44:45], v[90:91], v[42:43], -v[44:45]
	v_fma_f64 v[90:91], v[92:93], v[42:43], v[147:148]
	v_fma_f64 v[92:93], v[94:95], v[42:43], -v[149:150]
	v_fma_f64 v[94:95], v[96:97], v[42:43], v[151:152]
	;; [unrolled: 2-line block ×6, first 2 shown]
	v_add_f64 v[38:39], v[38:39], -v[44:45]
	v_add_f64 v[40:41], v[40:41], -v[90:91]
	;; [unrolled: 1-line block ×12, first 2 shown]
	v_mov_b32_e32 v44, v145
	v_mov_b32_e32 v45, v146
.LBB27_73:
	s_or_b32 exec_lo, exec_lo, s1
	s_mov_b32 s2, exec_lo
	s_waitcnt lgkmcnt(0)
	s_barrier
	buffer_gl0_inv
	v_cmpx_eq_u32_e32 8, v0
	s_cbranch_execz .LBB27_80
; %bb.74:
	ds_write2_b64 v1, v[38:39], v[40:41] offset1:1
	ds_write2_b64 v144, v[34:35], v[36:37] offset0:18 offset1:19
	ds_write2_b64 v144, v[30:31], v[32:33] offset0:20 offset1:21
	;; [unrolled: 1-line block ×5, first 2 shown]
	ds_read2_b64 v[90:93], v1 offset1:1
	s_waitcnt lgkmcnt(0)
	v_cmp_neq_f64_e32 vcc_lo, 0, v[90:91]
	v_cmp_neq_f64_e64 s1, 0, v[92:93]
	s_or_b32 s1, vcc_lo, s1
	s_and_b32 exec_lo, exec_lo, s1
	s_cbranch_execz .LBB27_80
; %bb.75:
	v_cmp_ngt_f64_e64 s1, |v[90:91]|, |v[92:93]|
                                        ; implicit-def: $vgpr94_vgpr95
	s_and_saveexec_b32 s3, s1
	s_xor_b32 s1, exec_lo, s3
                                        ; implicit-def: $vgpr96_vgpr97
	s_cbranch_execz .LBB27_77
; %bb.76:
	v_div_scale_f64 v[94:95], null, v[92:93], v[92:93], v[90:91]
	v_div_scale_f64 v[100:101], vcc_lo, v[90:91], v[92:93], v[90:91]
	v_rcp_f64_e32 v[96:97], v[94:95]
	v_fma_f64 v[98:99], -v[94:95], v[96:97], 1.0
	v_fma_f64 v[96:97], v[96:97], v[98:99], v[96:97]
	v_fma_f64 v[98:99], -v[94:95], v[96:97], 1.0
	v_fma_f64 v[96:97], v[96:97], v[98:99], v[96:97]
	v_mul_f64 v[98:99], v[100:101], v[96:97]
	v_fma_f64 v[94:95], -v[94:95], v[98:99], v[100:101]
	v_div_fmas_f64 v[94:95], v[94:95], v[96:97], v[98:99]
	v_div_fixup_f64 v[94:95], v[94:95], v[92:93], v[90:91]
	v_fma_f64 v[90:91], v[90:91], v[94:95], v[92:93]
	v_div_scale_f64 v[92:93], null, v[90:91], v[90:91], 1.0
	v_rcp_f64_e32 v[96:97], v[92:93]
	v_fma_f64 v[98:99], -v[92:93], v[96:97], 1.0
	v_fma_f64 v[96:97], v[96:97], v[98:99], v[96:97]
	v_fma_f64 v[98:99], -v[92:93], v[96:97], 1.0
	v_fma_f64 v[96:97], v[96:97], v[98:99], v[96:97]
	v_div_scale_f64 v[98:99], vcc_lo, 1.0, v[90:91], 1.0
	v_mul_f64 v[100:101], v[98:99], v[96:97]
	v_fma_f64 v[92:93], -v[92:93], v[100:101], v[98:99]
	v_div_fmas_f64 v[92:93], v[92:93], v[96:97], v[100:101]
	v_div_fixup_f64 v[96:97], v[92:93], v[90:91], 1.0
                                        ; implicit-def: $vgpr90_vgpr91
	v_mul_f64 v[94:95], v[94:95], v[96:97]
	v_xor_b32_e32 v97, 0x80000000, v97
.LBB27_77:
	s_andn2_saveexec_b32 s1, s1
	s_cbranch_execz .LBB27_79
; %bb.78:
	v_div_scale_f64 v[94:95], null, v[90:91], v[90:91], v[92:93]
	v_div_scale_f64 v[100:101], vcc_lo, v[92:93], v[90:91], v[92:93]
	v_rcp_f64_e32 v[96:97], v[94:95]
	v_fma_f64 v[98:99], -v[94:95], v[96:97], 1.0
	v_fma_f64 v[96:97], v[96:97], v[98:99], v[96:97]
	v_fma_f64 v[98:99], -v[94:95], v[96:97], 1.0
	v_fma_f64 v[96:97], v[96:97], v[98:99], v[96:97]
	v_mul_f64 v[98:99], v[100:101], v[96:97]
	v_fma_f64 v[94:95], -v[94:95], v[98:99], v[100:101]
	v_div_fmas_f64 v[94:95], v[94:95], v[96:97], v[98:99]
	v_div_fixup_f64 v[96:97], v[94:95], v[90:91], v[92:93]
	v_fma_f64 v[90:91], v[92:93], v[96:97], v[90:91]
	v_div_scale_f64 v[92:93], null, v[90:91], v[90:91], 1.0
	v_rcp_f64_e32 v[94:95], v[92:93]
	v_fma_f64 v[98:99], -v[92:93], v[94:95], 1.0
	v_fma_f64 v[94:95], v[94:95], v[98:99], v[94:95]
	v_fma_f64 v[98:99], -v[92:93], v[94:95], 1.0
	v_fma_f64 v[94:95], v[94:95], v[98:99], v[94:95]
	v_div_scale_f64 v[98:99], vcc_lo, 1.0, v[90:91], 1.0
	v_mul_f64 v[100:101], v[98:99], v[94:95]
	v_fma_f64 v[92:93], -v[92:93], v[100:101], v[98:99]
	v_div_fmas_f64 v[92:93], v[92:93], v[94:95], v[100:101]
	v_div_fixup_f64 v[94:95], v[92:93], v[90:91], 1.0
	v_mul_f64 v[96:97], v[96:97], -v[94:95]
.LBB27_79:
	s_or_b32 exec_lo, exec_lo, s1
	ds_write2_b64 v1, v[94:95], v[96:97] offset1:1
.LBB27_80:
	s_or_b32 exec_lo, exec_lo, s2
	s_waitcnt lgkmcnt(0)
	s_barrier
	buffer_gl0_inv
	ds_read2_b64 v[90:93], v1 offset1:1
	s_mov_b32 s1, exec_lo
	v_cmpx_lt_u32_e32 8, v0
	s_cbranch_execz .LBB27_82
; %bb.81:
	s_waitcnt lgkmcnt(0)
	v_mul_f64 v[94:95], v[90:91], v[40:41]
	v_mul_f64 v[40:41], v[92:93], v[40:41]
	v_fma_f64 v[145:146], v[92:93], v[38:39], v[94:95]
	ds_read2_b64 v[94:97], v144 offset0:18 offset1:19
	ds_read2_b64 v[98:101], v144 offset0:20 offset1:21
	;; [unrolled: 1-line block ×5, first 2 shown]
	v_fma_f64 v[38:39], v[90:91], v[38:39], -v[40:41]
	s_waitcnt lgkmcnt(4)
	v_mul_f64 v[40:41], v[96:97], v[145:146]
	v_mul_f64 v[147:148], v[94:95], v[145:146]
	s_waitcnt lgkmcnt(3)
	v_mul_f64 v[149:150], v[100:101], v[145:146]
	v_mul_f64 v[151:152], v[98:99], v[145:146]
	;; [unrolled: 3-line block ×5, first 2 shown]
	v_fma_f64 v[40:41], v[94:95], v[38:39], -v[40:41]
	v_fma_f64 v[94:95], v[96:97], v[38:39], v[147:148]
	v_fma_f64 v[96:97], v[98:99], v[38:39], -v[149:150]
	v_fma_f64 v[98:99], v[100:101], v[38:39], v[151:152]
	;; [unrolled: 2-line block ×5, first 2 shown]
	v_add_f64 v[34:35], v[34:35], -v[40:41]
	v_add_f64 v[36:37], v[36:37], -v[94:95]
	;; [unrolled: 1-line block ×10, first 2 shown]
	v_mov_b32_e32 v40, v145
	v_mov_b32_e32 v41, v146
.LBB27_82:
	s_or_b32 exec_lo, exec_lo, s1
	s_mov_b32 s2, exec_lo
	s_waitcnt lgkmcnt(0)
	s_barrier
	buffer_gl0_inv
	v_cmpx_eq_u32_e32 9, v0
	s_cbranch_execz .LBB27_89
; %bb.83:
	ds_write2_b64 v1, v[34:35], v[36:37] offset1:1
	ds_write2_b64 v144, v[30:31], v[32:33] offset0:20 offset1:21
	ds_write2_b64 v144, v[26:27], v[28:29] offset0:22 offset1:23
	;; [unrolled: 1-line block ×4, first 2 shown]
	ds_read2_b64 v[94:97], v1 offset1:1
	s_waitcnt lgkmcnt(0)
	v_cmp_neq_f64_e32 vcc_lo, 0, v[94:95]
	v_cmp_neq_f64_e64 s1, 0, v[96:97]
	s_or_b32 s1, vcc_lo, s1
	s_and_b32 exec_lo, exec_lo, s1
	s_cbranch_execz .LBB27_89
; %bb.84:
	v_cmp_ngt_f64_e64 s1, |v[94:95]|, |v[96:97]|
                                        ; implicit-def: $vgpr98_vgpr99
	s_and_saveexec_b32 s3, s1
	s_xor_b32 s1, exec_lo, s3
                                        ; implicit-def: $vgpr100_vgpr101
	s_cbranch_execz .LBB27_86
; %bb.85:
	v_div_scale_f64 v[98:99], null, v[96:97], v[96:97], v[94:95]
	v_div_scale_f64 v[104:105], vcc_lo, v[94:95], v[96:97], v[94:95]
	v_rcp_f64_e32 v[100:101], v[98:99]
	v_fma_f64 v[102:103], -v[98:99], v[100:101], 1.0
	v_fma_f64 v[100:101], v[100:101], v[102:103], v[100:101]
	v_fma_f64 v[102:103], -v[98:99], v[100:101], 1.0
	v_fma_f64 v[100:101], v[100:101], v[102:103], v[100:101]
	v_mul_f64 v[102:103], v[104:105], v[100:101]
	v_fma_f64 v[98:99], -v[98:99], v[102:103], v[104:105]
	v_div_fmas_f64 v[98:99], v[98:99], v[100:101], v[102:103]
	v_div_fixup_f64 v[98:99], v[98:99], v[96:97], v[94:95]
	v_fma_f64 v[94:95], v[94:95], v[98:99], v[96:97]
	v_div_scale_f64 v[96:97], null, v[94:95], v[94:95], 1.0
	v_rcp_f64_e32 v[100:101], v[96:97]
	v_fma_f64 v[102:103], -v[96:97], v[100:101], 1.0
	v_fma_f64 v[100:101], v[100:101], v[102:103], v[100:101]
	v_fma_f64 v[102:103], -v[96:97], v[100:101], 1.0
	v_fma_f64 v[100:101], v[100:101], v[102:103], v[100:101]
	v_div_scale_f64 v[102:103], vcc_lo, 1.0, v[94:95], 1.0
	v_mul_f64 v[104:105], v[102:103], v[100:101]
	v_fma_f64 v[96:97], -v[96:97], v[104:105], v[102:103]
	v_div_fmas_f64 v[96:97], v[96:97], v[100:101], v[104:105]
	v_div_fixup_f64 v[100:101], v[96:97], v[94:95], 1.0
                                        ; implicit-def: $vgpr94_vgpr95
	v_mul_f64 v[98:99], v[98:99], v[100:101]
	v_xor_b32_e32 v101, 0x80000000, v101
.LBB27_86:
	s_andn2_saveexec_b32 s1, s1
	s_cbranch_execz .LBB27_88
; %bb.87:
	v_div_scale_f64 v[98:99], null, v[94:95], v[94:95], v[96:97]
	v_div_scale_f64 v[104:105], vcc_lo, v[96:97], v[94:95], v[96:97]
	v_rcp_f64_e32 v[100:101], v[98:99]
	v_fma_f64 v[102:103], -v[98:99], v[100:101], 1.0
	v_fma_f64 v[100:101], v[100:101], v[102:103], v[100:101]
	v_fma_f64 v[102:103], -v[98:99], v[100:101], 1.0
	v_fma_f64 v[100:101], v[100:101], v[102:103], v[100:101]
	v_mul_f64 v[102:103], v[104:105], v[100:101]
	v_fma_f64 v[98:99], -v[98:99], v[102:103], v[104:105]
	v_div_fmas_f64 v[98:99], v[98:99], v[100:101], v[102:103]
	v_div_fixup_f64 v[100:101], v[98:99], v[94:95], v[96:97]
	v_fma_f64 v[94:95], v[96:97], v[100:101], v[94:95]
	v_div_scale_f64 v[96:97], null, v[94:95], v[94:95], 1.0
	v_rcp_f64_e32 v[98:99], v[96:97]
	v_fma_f64 v[102:103], -v[96:97], v[98:99], 1.0
	v_fma_f64 v[98:99], v[98:99], v[102:103], v[98:99]
	v_fma_f64 v[102:103], -v[96:97], v[98:99], 1.0
	v_fma_f64 v[98:99], v[98:99], v[102:103], v[98:99]
	v_div_scale_f64 v[102:103], vcc_lo, 1.0, v[94:95], 1.0
	v_mul_f64 v[104:105], v[102:103], v[98:99]
	v_fma_f64 v[96:97], -v[96:97], v[104:105], v[102:103]
	v_div_fmas_f64 v[96:97], v[96:97], v[98:99], v[104:105]
	v_div_fixup_f64 v[98:99], v[96:97], v[94:95], 1.0
	v_mul_f64 v[100:101], v[100:101], -v[98:99]
.LBB27_88:
	s_or_b32 exec_lo, exec_lo, s1
	ds_write2_b64 v1, v[98:99], v[100:101] offset1:1
.LBB27_89:
	s_or_b32 exec_lo, exec_lo, s2
	s_waitcnt lgkmcnt(0)
	s_barrier
	buffer_gl0_inv
	ds_read2_b64 v[94:97], v1 offset1:1
	s_mov_b32 s1, exec_lo
	v_cmpx_lt_u32_e32 9, v0
	s_cbranch_execz .LBB27_91
; %bb.90:
	s_waitcnt lgkmcnt(0)
	v_mul_f64 v[98:99], v[94:95], v[36:37]
	v_mul_f64 v[36:37], v[96:97], v[36:37]
	v_fma_f64 v[145:146], v[96:97], v[34:35], v[98:99]
	ds_read2_b64 v[98:101], v144 offset0:20 offset1:21
	ds_read2_b64 v[102:105], v144 offset0:22 offset1:23
	;; [unrolled: 1-line block ×4, first 2 shown]
	v_fma_f64 v[34:35], v[94:95], v[34:35], -v[36:37]
	s_waitcnt lgkmcnt(3)
	v_mul_f64 v[36:37], v[100:101], v[145:146]
	v_mul_f64 v[147:148], v[98:99], v[145:146]
	s_waitcnt lgkmcnt(2)
	v_mul_f64 v[149:150], v[104:105], v[145:146]
	v_mul_f64 v[151:152], v[102:103], v[145:146]
	s_waitcnt lgkmcnt(1)
	v_mul_f64 v[153:154], v[108:109], v[145:146]
	v_mul_f64 v[155:156], v[106:107], v[145:146]
	s_waitcnt lgkmcnt(0)
	v_mul_f64 v[157:158], v[112:113], v[145:146]
	v_mul_f64 v[159:160], v[110:111], v[145:146]
	v_fma_f64 v[36:37], v[98:99], v[34:35], -v[36:37]
	v_fma_f64 v[98:99], v[100:101], v[34:35], v[147:148]
	v_fma_f64 v[100:101], v[102:103], v[34:35], -v[149:150]
	v_fma_f64 v[102:103], v[104:105], v[34:35], v[151:152]
	;; [unrolled: 2-line block ×4, first 2 shown]
	v_add_f64 v[30:31], v[30:31], -v[36:37]
	v_add_f64 v[32:33], v[32:33], -v[98:99]
	;; [unrolled: 1-line block ×8, first 2 shown]
	v_mov_b32_e32 v36, v145
	v_mov_b32_e32 v37, v146
.LBB27_91:
	s_or_b32 exec_lo, exec_lo, s1
	s_mov_b32 s2, exec_lo
	s_waitcnt lgkmcnt(0)
	s_barrier
	buffer_gl0_inv
	v_cmpx_eq_u32_e32 10, v0
	s_cbranch_execz .LBB27_98
; %bb.92:
	ds_write2_b64 v1, v[30:31], v[32:33] offset1:1
	ds_write2_b64 v144, v[26:27], v[28:29] offset0:22 offset1:23
	ds_write2_b64 v144, v[22:23], v[24:25] offset0:24 offset1:25
	;; [unrolled: 1-line block ×3, first 2 shown]
	ds_read2_b64 v[98:101], v1 offset1:1
	s_waitcnt lgkmcnt(0)
	v_cmp_neq_f64_e32 vcc_lo, 0, v[98:99]
	v_cmp_neq_f64_e64 s1, 0, v[100:101]
	s_or_b32 s1, vcc_lo, s1
	s_and_b32 exec_lo, exec_lo, s1
	s_cbranch_execz .LBB27_98
; %bb.93:
	v_cmp_ngt_f64_e64 s1, |v[98:99]|, |v[100:101]|
                                        ; implicit-def: $vgpr102_vgpr103
	s_and_saveexec_b32 s3, s1
	s_xor_b32 s1, exec_lo, s3
                                        ; implicit-def: $vgpr104_vgpr105
	s_cbranch_execz .LBB27_95
; %bb.94:
	v_div_scale_f64 v[102:103], null, v[100:101], v[100:101], v[98:99]
	v_div_scale_f64 v[108:109], vcc_lo, v[98:99], v[100:101], v[98:99]
	v_rcp_f64_e32 v[104:105], v[102:103]
	v_fma_f64 v[106:107], -v[102:103], v[104:105], 1.0
	v_fma_f64 v[104:105], v[104:105], v[106:107], v[104:105]
	v_fma_f64 v[106:107], -v[102:103], v[104:105], 1.0
	v_fma_f64 v[104:105], v[104:105], v[106:107], v[104:105]
	v_mul_f64 v[106:107], v[108:109], v[104:105]
	v_fma_f64 v[102:103], -v[102:103], v[106:107], v[108:109]
	v_div_fmas_f64 v[102:103], v[102:103], v[104:105], v[106:107]
	v_div_fixup_f64 v[102:103], v[102:103], v[100:101], v[98:99]
	v_fma_f64 v[98:99], v[98:99], v[102:103], v[100:101]
	v_div_scale_f64 v[100:101], null, v[98:99], v[98:99], 1.0
	v_rcp_f64_e32 v[104:105], v[100:101]
	v_fma_f64 v[106:107], -v[100:101], v[104:105], 1.0
	v_fma_f64 v[104:105], v[104:105], v[106:107], v[104:105]
	v_fma_f64 v[106:107], -v[100:101], v[104:105], 1.0
	v_fma_f64 v[104:105], v[104:105], v[106:107], v[104:105]
	v_div_scale_f64 v[106:107], vcc_lo, 1.0, v[98:99], 1.0
	v_mul_f64 v[108:109], v[106:107], v[104:105]
	v_fma_f64 v[100:101], -v[100:101], v[108:109], v[106:107]
	v_div_fmas_f64 v[100:101], v[100:101], v[104:105], v[108:109]
	v_div_fixup_f64 v[104:105], v[100:101], v[98:99], 1.0
                                        ; implicit-def: $vgpr98_vgpr99
	v_mul_f64 v[102:103], v[102:103], v[104:105]
	v_xor_b32_e32 v105, 0x80000000, v105
.LBB27_95:
	s_andn2_saveexec_b32 s1, s1
	s_cbranch_execz .LBB27_97
; %bb.96:
	v_div_scale_f64 v[102:103], null, v[98:99], v[98:99], v[100:101]
	v_div_scale_f64 v[108:109], vcc_lo, v[100:101], v[98:99], v[100:101]
	v_rcp_f64_e32 v[104:105], v[102:103]
	v_fma_f64 v[106:107], -v[102:103], v[104:105], 1.0
	v_fma_f64 v[104:105], v[104:105], v[106:107], v[104:105]
	v_fma_f64 v[106:107], -v[102:103], v[104:105], 1.0
	v_fma_f64 v[104:105], v[104:105], v[106:107], v[104:105]
	v_mul_f64 v[106:107], v[108:109], v[104:105]
	v_fma_f64 v[102:103], -v[102:103], v[106:107], v[108:109]
	v_div_fmas_f64 v[102:103], v[102:103], v[104:105], v[106:107]
	v_div_fixup_f64 v[104:105], v[102:103], v[98:99], v[100:101]
	v_fma_f64 v[98:99], v[100:101], v[104:105], v[98:99]
	v_div_scale_f64 v[100:101], null, v[98:99], v[98:99], 1.0
	v_rcp_f64_e32 v[102:103], v[100:101]
	v_fma_f64 v[106:107], -v[100:101], v[102:103], 1.0
	v_fma_f64 v[102:103], v[102:103], v[106:107], v[102:103]
	v_fma_f64 v[106:107], -v[100:101], v[102:103], 1.0
	v_fma_f64 v[102:103], v[102:103], v[106:107], v[102:103]
	v_div_scale_f64 v[106:107], vcc_lo, 1.0, v[98:99], 1.0
	v_mul_f64 v[108:109], v[106:107], v[102:103]
	v_fma_f64 v[100:101], -v[100:101], v[108:109], v[106:107]
	v_div_fmas_f64 v[100:101], v[100:101], v[102:103], v[108:109]
	v_div_fixup_f64 v[102:103], v[100:101], v[98:99], 1.0
	v_mul_f64 v[104:105], v[104:105], -v[102:103]
.LBB27_97:
	s_or_b32 exec_lo, exec_lo, s1
	ds_write2_b64 v1, v[102:103], v[104:105] offset1:1
.LBB27_98:
	s_or_b32 exec_lo, exec_lo, s2
	s_waitcnt lgkmcnt(0)
	s_barrier
	buffer_gl0_inv
	ds_read2_b64 v[98:101], v1 offset1:1
	s_mov_b32 s1, exec_lo
	v_cmpx_lt_u32_e32 10, v0
	s_cbranch_execz .LBB27_100
; %bb.99:
	s_waitcnt lgkmcnt(0)
	v_mul_f64 v[102:103], v[98:99], v[32:33]
	v_mul_f64 v[32:33], v[100:101], v[32:33]
	v_fma_f64 v[145:146], v[100:101], v[30:31], v[102:103]
	ds_read2_b64 v[102:105], v144 offset0:22 offset1:23
	ds_read2_b64 v[106:109], v144 offset0:24 offset1:25
	;; [unrolled: 1-line block ×3, first 2 shown]
	v_fma_f64 v[30:31], v[98:99], v[30:31], -v[32:33]
	s_waitcnt lgkmcnt(2)
	v_mul_f64 v[32:33], v[104:105], v[145:146]
	v_mul_f64 v[147:148], v[102:103], v[145:146]
	s_waitcnt lgkmcnt(1)
	v_mul_f64 v[149:150], v[108:109], v[145:146]
	v_mul_f64 v[151:152], v[106:107], v[145:146]
	;; [unrolled: 3-line block ×3, first 2 shown]
	v_fma_f64 v[32:33], v[102:103], v[30:31], -v[32:33]
	v_fma_f64 v[102:103], v[104:105], v[30:31], v[147:148]
	v_fma_f64 v[104:105], v[106:107], v[30:31], -v[149:150]
	v_fma_f64 v[106:107], v[108:109], v[30:31], v[151:152]
	;; [unrolled: 2-line block ×3, first 2 shown]
	v_add_f64 v[26:27], v[26:27], -v[32:33]
	v_add_f64 v[28:29], v[28:29], -v[102:103]
	;; [unrolled: 1-line block ×6, first 2 shown]
	v_mov_b32_e32 v32, v145
	v_mov_b32_e32 v33, v146
.LBB27_100:
	s_or_b32 exec_lo, exec_lo, s1
	s_mov_b32 s2, exec_lo
	s_waitcnt lgkmcnt(0)
	s_barrier
	buffer_gl0_inv
	v_cmpx_eq_u32_e32 11, v0
	s_cbranch_execz .LBB27_107
; %bb.101:
	ds_write2_b64 v1, v[26:27], v[28:29] offset1:1
	ds_write2_b64 v144, v[22:23], v[24:25] offset0:24 offset1:25
	ds_write2_b64 v144, v[18:19], v[20:21] offset0:26 offset1:27
	ds_read2_b64 v[102:105], v1 offset1:1
	s_waitcnt lgkmcnt(0)
	v_cmp_neq_f64_e32 vcc_lo, 0, v[102:103]
	v_cmp_neq_f64_e64 s1, 0, v[104:105]
	s_or_b32 s1, vcc_lo, s1
	s_and_b32 exec_lo, exec_lo, s1
	s_cbranch_execz .LBB27_107
; %bb.102:
	v_cmp_ngt_f64_e64 s1, |v[102:103]|, |v[104:105]|
                                        ; implicit-def: $vgpr106_vgpr107
	s_and_saveexec_b32 s3, s1
	s_xor_b32 s1, exec_lo, s3
                                        ; implicit-def: $vgpr108_vgpr109
	s_cbranch_execz .LBB27_104
; %bb.103:
	v_div_scale_f64 v[106:107], null, v[104:105], v[104:105], v[102:103]
	v_div_scale_f64 v[112:113], vcc_lo, v[102:103], v[104:105], v[102:103]
	v_rcp_f64_e32 v[108:109], v[106:107]
	v_fma_f64 v[110:111], -v[106:107], v[108:109], 1.0
	v_fma_f64 v[108:109], v[108:109], v[110:111], v[108:109]
	v_fma_f64 v[110:111], -v[106:107], v[108:109], 1.0
	v_fma_f64 v[108:109], v[108:109], v[110:111], v[108:109]
	v_mul_f64 v[110:111], v[112:113], v[108:109]
	v_fma_f64 v[106:107], -v[106:107], v[110:111], v[112:113]
	v_div_fmas_f64 v[106:107], v[106:107], v[108:109], v[110:111]
	v_div_fixup_f64 v[106:107], v[106:107], v[104:105], v[102:103]
	v_fma_f64 v[102:103], v[102:103], v[106:107], v[104:105]
	v_div_scale_f64 v[104:105], null, v[102:103], v[102:103], 1.0
	v_rcp_f64_e32 v[108:109], v[104:105]
	v_fma_f64 v[110:111], -v[104:105], v[108:109], 1.0
	v_fma_f64 v[108:109], v[108:109], v[110:111], v[108:109]
	v_fma_f64 v[110:111], -v[104:105], v[108:109], 1.0
	v_fma_f64 v[108:109], v[108:109], v[110:111], v[108:109]
	v_div_scale_f64 v[110:111], vcc_lo, 1.0, v[102:103], 1.0
	v_mul_f64 v[112:113], v[110:111], v[108:109]
	v_fma_f64 v[104:105], -v[104:105], v[112:113], v[110:111]
	v_div_fmas_f64 v[104:105], v[104:105], v[108:109], v[112:113]
	v_div_fixup_f64 v[108:109], v[104:105], v[102:103], 1.0
                                        ; implicit-def: $vgpr102_vgpr103
	v_mul_f64 v[106:107], v[106:107], v[108:109]
	v_xor_b32_e32 v109, 0x80000000, v109
.LBB27_104:
	s_andn2_saveexec_b32 s1, s1
	s_cbranch_execz .LBB27_106
; %bb.105:
	v_div_scale_f64 v[106:107], null, v[102:103], v[102:103], v[104:105]
	v_div_scale_f64 v[112:113], vcc_lo, v[104:105], v[102:103], v[104:105]
	v_rcp_f64_e32 v[108:109], v[106:107]
	v_fma_f64 v[110:111], -v[106:107], v[108:109], 1.0
	v_fma_f64 v[108:109], v[108:109], v[110:111], v[108:109]
	v_fma_f64 v[110:111], -v[106:107], v[108:109], 1.0
	v_fma_f64 v[108:109], v[108:109], v[110:111], v[108:109]
	v_mul_f64 v[110:111], v[112:113], v[108:109]
	v_fma_f64 v[106:107], -v[106:107], v[110:111], v[112:113]
	v_div_fmas_f64 v[106:107], v[106:107], v[108:109], v[110:111]
	v_div_fixup_f64 v[108:109], v[106:107], v[102:103], v[104:105]
	v_fma_f64 v[102:103], v[104:105], v[108:109], v[102:103]
	v_div_scale_f64 v[104:105], null, v[102:103], v[102:103], 1.0
	v_rcp_f64_e32 v[106:107], v[104:105]
	v_fma_f64 v[110:111], -v[104:105], v[106:107], 1.0
	v_fma_f64 v[106:107], v[106:107], v[110:111], v[106:107]
	v_fma_f64 v[110:111], -v[104:105], v[106:107], 1.0
	v_fma_f64 v[106:107], v[106:107], v[110:111], v[106:107]
	v_div_scale_f64 v[110:111], vcc_lo, 1.0, v[102:103], 1.0
	v_mul_f64 v[112:113], v[110:111], v[106:107]
	v_fma_f64 v[104:105], -v[104:105], v[112:113], v[110:111]
	v_div_fmas_f64 v[104:105], v[104:105], v[106:107], v[112:113]
	v_div_fixup_f64 v[106:107], v[104:105], v[102:103], 1.0
	v_mul_f64 v[108:109], v[108:109], -v[106:107]
.LBB27_106:
	s_or_b32 exec_lo, exec_lo, s1
	ds_write2_b64 v1, v[106:107], v[108:109] offset1:1
.LBB27_107:
	s_or_b32 exec_lo, exec_lo, s2
	s_waitcnt lgkmcnt(0)
	s_barrier
	buffer_gl0_inv
	ds_read2_b64 v[102:105], v1 offset1:1
	s_mov_b32 s1, exec_lo
	v_cmpx_lt_u32_e32 11, v0
	s_cbranch_execz .LBB27_109
; %bb.108:
	s_waitcnt lgkmcnt(0)
	v_mul_f64 v[106:107], v[102:103], v[28:29]
	v_mul_f64 v[28:29], v[104:105], v[28:29]
	v_fma_f64 v[145:146], v[104:105], v[26:27], v[106:107]
	ds_read2_b64 v[106:109], v144 offset0:24 offset1:25
	ds_read2_b64 v[110:113], v144 offset0:26 offset1:27
	v_fma_f64 v[26:27], v[102:103], v[26:27], -v[28:29]
	s_waitcnt lgkmcnt(1)
	v_mul_f64 v[28:29], v[108:109], v[145:146]
	v_mul_f64 v[147:148], v[106:107], v[145:146]
	s_waitcnt lgkmcnt(0)
	v_mul_f64 v[149:150], v[112:113], v[145:146]
	v_mul_f64 v[151:152], v[110:111], v[145:146]
	v_fma_f64 v[28:29], v[106:107], v[26:27], -v[28:29]
	v_fma_f64 v[106:107], v[108:109], v[26:27], v[147:148]
	v_fma_f64 v[108:109], v[110:111], v[26:27], -v[149:150]
	v_fma_f64 v[110:111], v[112:113], v[26:27], v[151:152]
	v_add_f64 v[22:23], v[22:23], -v[28:29]
	v_add_f64 v[24:25], v[24:25], -v[106:107]
	;; [unrolled: 1-line block ×4, first 2 shown]
	v_mov_b32_e32 v28, v145
	v_mov_b32_e32 v29, v146
.LBB27_109:
	s_or_b32 exec_lo, exec_lo, s1
	s_mov_b32 s2, exec_lo
	s_waitcnt lgkmcnt(0)
	s_barrier
	buffer_gl0_inv
	v_cmpx_eq_u32_e32 12, v0
	s_cbranch_execz .LBB27_116
; %bb.110:
	ds_write2_b64 v1, v[22:23], v[24:25] offset1:1
	ds_write2_b64 v144, v[18:19], v[20:21] offset0:26 offset1:27
	ds_read2_b64 v[106:109], v1 offset1:1
	s_waitcnt lgkmcnt(0)
	v_cmp_neq_f64_e32 vcc_lo, 0, v[106:107]
	v_cmp_neq_f64_e64 s1, 0, v[108:109]
	s_or_b32 s1, vcc_lo, s1
	s_and_b32 exec_lo, exec_lo, s1
	s_cbranch_execz .LBB27_116
; %bb.111:
	v_cmp_ngt_f64_e64 s1, |v[106:107]|, |v[108:109]|
                                        ; implicit-def: $vgpr110_vgpr111
	s_and_saveexec_b32 s3, s1
	s_xor_b32 s1, exec_lo, s3
                                        ; implicit-def: $vgpr112_vgpr113
	s_cbranch_execz .LBB27_113
; %bb.112:
	v_div_scale_f64 v[110:111], null, v[108:109], v[108:109], v[106:107]
	v_div_scale_f64 v[147:148], vcc_lo, v[106:107], v[108:109], v[106:107]
	v_rcp_f64_e32 v[112:113], v[110:111]
	v_fma_f64 v[145:146], -v[110:111], v[112:113], 1.0
	v_fma_f64 v[112:113], v[112:113], v[145:146], v[112:113]
	v_fma_f64 v[145:146], -v[110:111], v[112:113], 1.0
	v_fma_f64 v[112:113], v[112:113], v[145:146], v[112:113]
	v_mul_f64 v[145:146], v[147:148], v[112:113]
	v_fma_f64 v[110:111], -v[110:111], v[145:146], v[147:148]
	v_div_fmas_f64 v[110:111], v[110:111], v[112:113], v[145:146]
	v_div_fixup_f64 v[110:111], v[110:111], v[108:109], v[106:107]
	v_fma_f64 v[106:107], v[106:107], v[110:111], v[108:109]
	v_div_scale_f64 v[108:109], null, v[106:107], v[106:107], 1.0
	v_rcp_f64_e32 v[112:113], v[108:109]
	v_fma_f64 v[145:146], -v[108:109], v[112:113], 1.0
	v_fma_f64 v[112:113], v[112:113], v[145:146], v[112:113]
	v_fma_f64 v[145:146], -v[108:109], v[112:113], 1.0
	v_fma_f64 v[112:113], v[112:113], v[145:146], v[112:113]
	v_div_scale_f64 v[145:146], vcc_lo, 1.0, v[106:107], 1.0
	v_mul_f64 v[147:148], v[145:146], v[112:113]
	v_fma_f64 v[108:109], -v[108:109], v[147:148], v[145:146]
	v_div_fmas_f64 v[108:109], v[108:109], v[112:113], v[147:148]
	v_div_fixup_f64 v[112:113], v[108:109], v[106:107], 1.0
                                        ; implicit-def: $vgpr106_vgpr107
	v_mul_f64 v[110:111], v[110:111], v[112:113]
	v_xor_b32_e32 v113, 0x80000000, v113
.LBB27_113:
	s_andn2_saveexec_b32 s1, s1
	s_cbranch_execz .LBB27_115
; %bb.114:
	v_div_scale_f64 v[110:111], null, v[106:107], v[106:107], v[108:109]
	v_div_scale_f64 v[147:148], vcc_lo, v[108:109], v[106:107], v[108:109]
	v_rcp_f64_e32 v[112:113], v[110:111]
	v_fma_f64 v[145:146], -v[110:111], v[112:113], 1.0
	v_fma_f64 v[112:113], v[112:113], v[145:146], v[112:113]
	v_fma_f64 v[145:146], -v[110:111], v[112:113], 1.0
	v_fma_f64 v[112:113], v[112:113], v[145:146], v[112:113]
	v_mul_f64 v[145:146], v[147:148], v[112:113]
	v_fma_f64 v[110:111], -v[110:111], v[145:146], v[147:148]
	v_div_fmas_f64 v[110:111], v[110:111], v[112:113], v[145:146]
	v_div_fixup_f64 v[112:113], v[110:111], v[106:107], v[108:109]
	v_fma_f64 v[106:107], v[108:109], v[112:113], v[106:107]
	v_div_scale_f64 v[108:109], null, v[106:107], v[106:107], 1.0
	v_rcp_f64_e32 v[110:111], v[108:109]
	v_fma_f64 v[145:146], -v[108:109], v[110:111], 1.0
	v_fma_f64 v[110:111], v[110:111], v[145:146], v[110:111]
	v_fma_f64 v[145:146], -v[108:109], v[110:111], 1.0
	v_fma_f64 v[110:111], v[110:111], v[145:146], v[110:111]
	v_div_scale_f64 v[145:146], vcc_lo, 1.0, v[106:107], 1.0
	v_mul_f64 v[147:148], v[145:146], v[110:111]
	v_fma_f64 v[108:109], -v[108:109], v[147:148], v[145:146]
	v_div_fmas_f64 v[108:109], v[108:109], v[110:111], v[147:148]
	v_div_fixup_f64 v[110:111], v[108:109], v[106:107], 1.0
	v_mul_f64 v[112:113], v[112:113], -v[110:111]
.LBB27_115:
	s_or_b32 exec_lo, exec_lo, s1
	ds_write2_b64 v1, v[110:111], v[112:113] offset1:1
.LBB27_116:
	s_or_b32 exec_lo, exec_lo, s2
	s_waitcnt lgkmcnt(0)
	s_barrier
	buffer_gl0_inv
	ds_read2_b64 v[106:109], v1 offset1:1
	s_mov_b32 s1, exec_lo
	v_cmpx_lt_u32_e32 12, v0
	s_cbranch_execz .LBB27_118
; %bb.117:
	s_waitcnt lgkmcnt(0)
	v_mul_f64 v[110:111], v[106:107], v[24:25]
	v_mul_f64 v[24:25], v[108:109], v[24:25]
	v_fma_f64 v[145:146], v[108:109], v[22:23], v[110:111]
	ds_read2_b64 v[110:113], v144 offset0:26 offset1:27
	v_fma_f64 v[22:23], v[106:107], v[22:23], -v[24:25]
	s_waitcnt lgkmcnt(0)
	v_mul_f64 v[24:25], v[112:113], v[145:146]
	v_mul_f64 v[147:148], v[110:111], v[145:146]
	v_fma_f64 v[24:25], v[110:111], v[22:23], -v[24:25]
	v_fma_f64 v[110:111], v[112:113], v[22:23], v[147:148]
	v_add_f64 v[18:19], v[18:19], -v[24:25]
	v_add_f64 v[20:21], v[20:21], -v[110:111]
	v_mov_b32_e32 v24, v145
	v_mov_b32_e32 v25, v146
.LBB27_118:
	s_or_b32 exec_lo, exec_lo, s1
	s_mov_b32 s2, exec_lo
	s_waitcnt lgkmcnt(0)
	s_barrier
	buffer_gl0_inv
	v_cmpx_eq_u32_e32 13, v0
	s_cbranch_execz .LBB27_125
; %bb.119:
	v_cmp_neq_f64_e32 vcc_lo, 0, v[18:19]
	v_cmp_neq_f64_e64 s1, 0, v[20:21]
	ds_write2_b64 v1, v[18:19], v[20:21] offset1:1
	s_or_b32 s1, vcc_lo, s1
	s_and_b32 exec_lo, exec_lo, s1
	s_cbranch_execz .LBB27_125
; %bb.120:
	v_cmp_ngt_f64_e64 s1, |v[18:19]|, |v[20:21]|
                                        ; implicit-def: $vgpr110_vgpr111
	s_and_saveexec_b32 s3, s1
	s_xor_b32 s1, exec_lo, s3
                                        ; implicit-def: $vgpr112_vgpr113
	s_cbranch_execz .LBB27_122
; %bb.121:
	v_div_scale_f64 v[110:111], null, v[20:21], v[20:21], v[18:19]
	v_div_scale_f64 v[146:147], vcc_lo, v[18:19], v[20:21], v[18:19]
	v_rcp_f64_e32 v[112:113], v[110:111]
	v_fma_f64 v[144:145], -v[110:111], v[112:113], 1.0
	v_fma_f64 v[112:113], v[112:113], v[144:145], v[112:113]
	v_fma_f64 v[144:145], -v[110:111], v[112:113], 1.0
	v_fma_f64 v[112:113], v[112:113], v[144:145], v[112:113]
	v_mul_f64 v[144:145], v[146:147], v[112:113]
	v_fma_f64 v[110:111], -v[110:111], v[144:145], v[146:147]
	v_div_fmas_f64 v[110:111], v[110:111], v[112:113], v[144:145]
	v_div_fixup_f64 v[110:111], v[110:111], v[20:21], v[18:19]
	v_fma_f64 v[112:113], v[18:19], v[110:111], v[20:21]
	v_div_scale_f64 v[144:145], null, v[112:113], v[112:113], 1.0
	v_rcp_f64_e32 v[146:147], v[144:145]
	v_fma_f64 v[148:149], -v[144:145], v[146:147], 1.0
	v_fma_f64 v[146:147], v[146:147], v[148:149], v[146:147]
	v_fma_f64 v[148:149], -v[144:145], v[146:147], 1.0
	v_fma_f64 v[146:147], v[146:147], v[148:149], v[146:147]
	v_div_scale_f64 v[148:149], vcc_lo, 1.0, v[112:113], 1.0
	v_mul_f64 v[150:151], v[148:149], v[146:147]
	v_fma_f64 v[144:145], -v[144:145], v[150:151], v[148:149]
	v_div_fmas_f64 v[144:145], v[144:145], v[146:147], v[150:151]
	v_div_fixup_f64 v[112:113], v[144:145], v[112:113], 1.0
	v_mul_f64 v[110:111], v[110:111], v[112:113]
	v_xor_b32_e32 v113, 0x80000000, v113
.LBB27_122:
	s_andn2_saveexec_b32 s1, s1
	s_cbranch_execz .LBB27_124
; %bb.123:
	v_div_scale_f64 v[110:111], null, v[18:19], v[18:19], v[20:21]
	v_div_scale_f64 v[146:147], vcc_lo, v[20:21], v[18:19], v[20:21]
	v_rcp_f64_e32 v[112:113], v[110:111]
	v_fma_f64 v[144:145], -v[110:111], v[112:113], 1.0
	v_fma_f64 v[112:113], v[112:113], v[144:145], v[112:113]
	v_fma_f64 v[144:145], -v[110:111], v[112:113], 1.0
	v_fma_f64 v[112:113], v[112:113], v[144:145], v[112:113]
	v_mul_f64 v[144:145], v[146:147], v[112:113]
	v_fma_f64 v[110:111], -v[110:111], v[144:145], v[146:147]
	v_div_fmas_f64 v[110:111], v[110:111], v[112:113], v[144:145]
	v_div_fixup_f64 v[112:113], v[110:111], v[18:19], v[20:21]
	v_fma_f64 v[110:111], v[20:21], v[112:113], v[18:19]
	v_div_scale_f64 v[144:145], null, v[110:111], v[110:111], 1.0
	v_rcp_f64_e32 v[146:147], v[144:145]
	v_fma_f64 v[148:149], -v[144:145], v[146:147], 1.0
	v_fma_f64 v[146:147], v[146:147], v[148:149], v[146:147]
	v_fma_f64 v[148:149], -v[144:145], v[146:147], 1.0
	v_fma_f64 v[146:147], v[146:147], v[148:149], v[146:147]
	v_div_scale_f64 v[148:149], vcc_lo, 1.0, v[110:111], 1.0
	v_mul_f64 v[150:151], v[148:149], v[146:147]
	v_fma_f64 v[144:145], -v[144:145], v[150:151], v[148:149]
	v_div_fmas_f64 v[144:145], v[144:145], v[146:147], v[150:151]
	v_div_fixup_f64 v[110:111], v[144:145], v[110:111], 1.0
	v_mul_f64 v[112:113], v[112:113], -v[110:111]
.LBB27_124:
	s_or_b32 exec_lo, exec_lo, s1
	ds_write2_b64 v1, v[110:111], v[112:113] offset1:1
.LBB27_125:
	s_or_b32 exec_lo, exec_lo, s2
	s_waitcnt lgkmcnt(0)
	s_barrier
	buffer_gl0_inv
	ds_read2_b64 v[110:113], v1 offset1:1
	s_mov_b32 s1, exec_lo
	v_cmpx_lt_u32_e32 13, v0
	s_cbranch_execz .LBB27_127
; %bb.126:
	s_waitcnt lgkmcnt(0)
	v_mul_f64 v[0:1], v[112:113], v[20:21]
	v_mul_f64 v[20:21], v[110:111], v[20:21]
	v_fma_f64 v[0:1], v[110:111], v[18:19], -v[0:1]
	v_fma_f64 v[20:21], v[112:113], v[18:19], v[20:21]
	v_mov_b32_e32 v19, v1
	v_mov_b32_e32 v18, v0
.LBB27_127:
	s_or_b32 exec_lo, exec_lo, s1
	s_waitcnt lgkmcnt(0)
	s_barrier
	buffer_gl0_inv
	s_and_saveexec_b32 s6, s0
	s_cbranch_execz .LBB27_130
; %bb.128:
	v_lshlrev_b64 v[0:1], 2, v[128:129]
	v_cmp_eq_f64_e64 s0, 0, v[60:61]
	v_cmp_neq_f64_e64 s1, 0, v[62:63]
	v_cmp_neq_f64_e64 s2, 0, v[64:65]
	v_cmp_eq_f64_e64 s3, 0, v[66:67]
	v_cmp_eq_f64_e64 s4, 0, v[68:69]
	v_add_co_u32 v0, vcc_lo, s10, v0
	v_add_co_ci_u32_e64 v1, null, s11, v1, vcc_lo
	v_cmp_eq_f64_e32 vcc_lo, 0, v[58:59]
	v_cmp_eq_f64_e64 s5, 0, v[70:71]
	global_load_dword v128, v[0:1], off
	s_or_b32 s1, s1, s2
	v_cmp_eq_f64_e64 s2, 0, v[76:77]
	s_and_b32 s3, s3, s4
	v_cmp_eq_f64_e64 s4, 0, v[80:81]
	s_and_b32 s0, vcc_lo, s0
	v_cmp_eq_f64_e32 vcc_lo, 0, v[72:73]
	v_cndmask_b32_e64 v58, 0, 1, s0
	s_or_b32 s0, s1, s0
	v_cmp_eq_f64_e64 s1, 0, v[74:75]
	v_cndmask_b32_e64 v58, 2, v58, s0
	v_cmp_eq_u32_e64 s0, 0, v58
	s_and_b32 s0, s3, s0
	v_cmp_eq_f64_e64 s3, 0, v[78:79]
	v_cndmask_b32_e64 v58, v58, 3, s0
	s_and_b32 s5, s5, vcc_lo
	v_cmp_eq_u32_e64 s0, 0, v58
	s_and_b32 s1, s1, s2
	v_cmp_eq_f64_e64 s2, 0, v[88:89]
	s_and_b32 s0, s5, s0
	v_cmp_eq_f64_e64 s5, 0, v[84:85]
	v_cndmask_b32_e64 v58, v58, 4, s0
	v_cmp_eq_f64_e64 s0, 0, v[82:83]
	v_cmp_eq_u32_e32 vcc_lo, 0, v58
	s_and_b32 s3, s3, s4
	s_and_b32 s1, s1, vcc_lo
	v_cmp_eq_f64_e64 s4, 0, v[92:93]
	v_cndmask_b32_e64 v58, v58, 5, s1
	v_cmp_eq_f64_e64 s1, 0, v[86:87]
	v_cmp_eq_u32_e32 vcc_lo, 0, v58
	s_and_b32 s3, s3, vcc_lo
	s_and_b32 s0, s0, s5
	v_cndmask_b32_e64 v58, v58, 6, s3
	v_cmp_eq_f64_e64 s3, 0, v[90:91]
	v_cmp_eq_f64_e64 s5, 0, v[96:97]
	v_cmp_eq_u32_e32 vcc_lo, 0, v58
	s_and_b32 s0, s0, vcc_lo
	s_and_b32 s1, s1, s2
	v_cndmask_b32_e64 v58, v58, 7, s0
	v_cmp_eq_f64_e64 s0, 0, v[94:95]
	;; [unrolled: 6-line block ×6, first 2 shown]
	v_cmp_eq_u32_e32 vcc_lo, 0, v58
	s_and_b32 s3, s3, vcc_lo
	s_and_b32 s0, s0, s5
	v_cndmask_b32_e64 v58, v58, 12, s3
	v_cmp_eq_u32_e32 vcc_lo, 0, v58
	s_and_b32 s0, s0, vcc_lo
	v_cndmask_b32_e64 v58, v58, 13, s0
	s_and_b32 s0, s1, s2
	v_cmp_eq_u32_e32 vcc_lo, 0, v58
	s_and_b32 s0, s0, vcc_lo
	v_cndmask_b32_e64 v58, v58, 14, s0
	v_cmp_ne_u32_e64 s0, 0, v58
	s_waitcnt vmcnt(0)
	v_cmp_eq_u32_e32 vcc_lo, 0, v128
	s_and_b32 s0, vcc_lo, s0
	s_and_b32 exec_lo, exec_lo, s0
	s_cbranch_execz .LBB27_130
; %bb.129:
	v_add_nc_u32_e32 v58, s13, v58
	global_store_dword v[0:1], v58, off
.LBB27_130:
	s_or_b32 exec_lo, exec_lo, s6
	global_store_dwordx4 v[118:119], v[14:17], off
	global_store_dwordx4 v[120:121], v[10:13], off
	;; [unrolled: 1-line block ×14, first 2 shown]
.LBB27_131:
	s_endpgm
	.section	.rodata,"a",@progbits
	.p2align	6, 0x0
	.amdhsa_kernel _ZN9rocsolver6v33100L23getf2_npvt_small_kernelILi14E19rocblas_complex_numIdEiiPS3_EEvT1_T3_lS5_lPT2_S5_S5_
		.amdhsa_group_segment_fixed_size 0
		.amdhsa_private_segment_fixed_size 0
		.amdhsa_kernarg_size 312
		.amdhsa_user_sgpr_count 6
		.amdhsa_user_sgpr_private_segment_buffer 1
		.amdhsa_user_sgpr_dispatch_ptr 0
		.amdhsa_user_sgpr_queue_ptr 0
		.amdhsa_user_sgpr_kernarg_segment_ptr 1
		.amdhsa_user_sgpr_dispatch_id 0
		.amdhsa_user_sgpr_flat_scratch_init 0
		.amdhsa_user_sgpr_private_segment_size 0
		.amdhsa_wavefront_size32 1
		.amdhsa_uses_dynamic_stack 0
		.amdhsa_system_sgpr_private_segment_wavefront_offset 0
		.amdhsa_system_sgpr_workgroup_id_x 1
		.amdhsa_system_sgpr_workgroup_id_y 1
		.amdhsa_system_sgpr_workgroup_id_z 0
		.amdhsa_system_sgpr_workgroup_info 0
		.amdhsa_system_vgpr_workitem_id 1
		.amdhsa_next_free_vgpr 197
		.amdhsa_next_free_sgpr 15
		.amdhsa_reserve_vcc 1
		.amdhsa_reserve_flat_scratch 0
		.amdhsa_float_round_mode_32 0
		.amdhsa_float_round_mode_16_64 0
		.amdhsa_float_denorm_mode_32 3
		.amdhsa_float_denorm_mode_16_64 3
		.amdhsa_dx10_clamp 1
		.amdhsa_ieee_mode 1
		.amdhsa_fp16_overflow 0
		.amdhsa_workgroup_processor_mode 1
		.amdhsa_memory_ordered 1
		.amdhsa_forward_progress 1
		.amdhsa_shared_vgpr_count 0
		.amdhsa_exception_fp_ieee_invalid_op 0
		.amdhsa_exception_fp_denorm_src 0
		.amdhsa_exception_fp_ieee_div_zero 0
		.amdhsa_exception_fp_ieee_overflow 0
		.amdhsa_exception_fp_ieee_underflow 0
		.amdhsa_exception_fp_ieee_inexact 0
		.amdhsa_exception_int_div_zero 0
	.end_amdhsa_kernel
	.section	.text._ZN9rocsolver6v33100L23getf2_npvt_small_kernelILi14E19rocblas_complex_numIdEiiPS3_EEvT1_T3_lS5_lPT2_S5_S5_,"axG",@progbits,_ZN9rocsolver6v33100L23getf2_npvt_small_kernelILi14E19rocblas_complex_numIdEiiPS3_EEvT1_T3_lS5_lPT2_S5_S5_,comdat
.Lfunc_end27:
	.size	_ZN9rocsolver6v33100L23getf2_npvt_small_kernelILi14E19rocblas_complex_numIdEiiPS3_EEvT1_T3_lS5_lPT2_S5_S5_, .Lfunc_end27-_ZN9rocsolver6v33100L23getf2_npvt_small_kernelILi14E19rocblas_complex_numIdEiiPS3_EEvT1_T3_lS5_lPT2_S5_S5_
                                        ; -- End function
	.set _ZN9rocsolver6v33100L23getf2_npvt_small_kernelILi14E19rocblas_complex_numIdEiiPS3_EEvT1_T3_lS5_lPT2_S5_S5_.num_vgpr, 197
	.set _ZN9rocsolver6v33100L23getf2_npvt_small_kernelILi14E19rocblas_complex_numIdEiiPS3_EEvT1_T3_lS5_lPT2_S5_S5_.num_agpr, 0
	.set _ZN9rocsolver6v33100L23getf2_npvt_small_kernelILi14E19rocblas_complex_numIdEiiPS3_EEvT1_T3_lS5_lPT2_S5_S5_.numbered_sgpr, 15
	.set _ZN9rocsolver6v33100L23getf2_npvt_small_kernelILi14E19rocblas_complex_numIdEiiPS3_EEvT1_T3_lS5_lPT2_S5_S5_.num_named_barrier, 0
	.set _ZN9rocsolver6v33100L23getf2_npvt_small_kernelILi14E19rocblas_complex_numIdEiiPS3_EEvT1_T3_lS5_lPT2_S5_S5_.private_seg_size, 0
	.set _ZN9rocsolver6v33100L23getf2_npvt_small_kernelILi14E19rocblas_complex_numIdEiiPS3_EEvT1_T3_lS5_lPT2_S5_S5_.uses_vcc, 1
	.set _ZN9rocsolver6v33100L23getf2_npvt_small_kernelILi14E19rocblas_complex_numIdEiiPS3_EEvT1_T3_lS5_lPT2_S5_S5_.uses_flat_scratch, 0
	.set _ZN9rocsolver6v33100L23getf2_npvt_small_kernelILi14E19rocblas_complex_numIdEiiPS3_EEvT1_T3_lS5_lPT2_S5_S5_.has_dyn_sized_stack, 0
	.set _ZN9rocsolver6v33100L23getf2_npvt_small_kernelILi14E19rocblas_complex_numIdEiiPS3_EEvT1_T3_lS5_lPT2_S5_S5_.has_recursion, 0
	.set _ZN9rocsolver6v33100L23getf2_npvt_small_kernelILi14E19rocblas_complex_numIdEiiPS3_EEvT1_T3_lS5_lPT2_S5_S5_.has_indirect_call, 0
	.section	.AMDGPU.csdata,"",@progbits
; Kernel info:
; codeLenInByte = 15732
; TotalNumSgprs: 17
; NumVgprs: 197
; ScratchSize: 0
; MemoryBound: 1
; FloatMode: 240
; IeeeMode: 1
; LDSByteSize: 0 bytes/workgroup (compile time only)
; SGPRBlocks: 0
; VGPRBlocks: 24
; NumSGPRsForWavesPerEU: 17
; NumVGPRsForWavesPerEU: 197
; Occupancy: 4
; WaveLimiterHint : 0
; COMPUTE_PGM_RSRC2:SCRATCH_EN: 0
; COMPUTE_PGM_RSRC2:USER_SGPR: 6
; COMPUTE_PGM_RSRC2:TRAP_HANDLER: 0
; COMPUTE_PGM_RSRC2:TGID_X_EN: 1
; COMPUTE_PGM_RSRC2:TGID_Y_EN: 1
; COMPUTE_PGM_RSRC2:TGID_Z_EN: 0
; COMPUTE_PGM_RSRC2:TIDIG_COMP_CNT: 1
	.section	.text._ZN9rocsolver6v33100L18getf2_small_kernelILi15E19rocblas_complex_numIdEiiPS3_EEvT1_T3_lS5_lPS5_llPT2_S5_S5_S7_l,"axG",@progbits,_ZN9rocsolver6v33100L18getf2_small_kernelILi15E19rocblas_complex_numIdEiiPS3_EEvT1_T3_lS5_lPS5_llPT2_S5_S5_S7_l,comdat
	.globl	_ZN9rocsolver6v33100L18getf2_small_kernelILi15E19rocblas_complex_numIdEiiPS3_EEvT1_T3_lS5_lPS5_llPT2_S5_S5_S7_l ; -- Begin function _ZN9rocsolver6v33100L18getf2_small_kernelILi15E19rocblas_complex_numIdEiiPS3_EEvT1_T3_lS5_lPS5_llPT2_S5_S5_S7_l
	.p2align	8
	.type	_ZN9rocsolver6v33100L18getf2_small_kernelILi15E19rocblas_complex_numIdEiiPS3_EEvT1_T3_lS5_lPS5_llPT2_S5_S5_S7_l,@function
_ZN9rocsolver6v33100L18getf2_small_kernelILi15E19rocblas_complex_numIdEiiPS3_EEvT1_T3_lS5_lPS5_llPT2_S5_S5_S7_l: ; @_ZN9rocsolver6v33100L18getf2_small_kernelILi15E19rocblas_complex_numIdEiiPS3_EEvT1_T3_lS5_lPS5_llPT2_S5_S5_S7_l
; %bb.0:
	s_clause 0x1
	s_load_dword s0, s[4:5], 0x6c
	s_load_dwordx2 s[16:17], s[4:5], 0x48
	s_waitcnt lgkmcnt(0)
	s_lshr_b32 s0, s0, 16
	v_mad_u64_u32 v[66:67], null, s7, s0, v[1:2]
	s_mov_b32 s0, exec_lo
	v_cmpx_gt_i32_e64 s16, v66
	s_cbranch_execz .LBB28_318
; %bb.1:
	s_load_dwordx4 s[0:3], s[4:5], 0x50
	v_mov_b32_e32 v68, 0
	v_ashrrev_i32_e32 v67, 31, v66
	v_mov_b32_e32 v69, 0
	s_waitcnt lgkmcnt(0)
	s_cmp_eq_u64 s[0:1], 0
	s_cselect_b32 s16, -1, 0
	s_and_b32 vcc_lo, exec_lo, s16
	s_cbranch_vccnz .LBB28_3
; %bb.2:
	v_mul_lo_u32 v4, s3, v66
	v_mul_lo_u32 v5, s2, v67
	v_mad_u64_u32 v[2:3], null, s2, v66, 0
	v_add3_u32 v3, v3, v5, v4
	v_lshlrev_b64 v[2:3], 2, v[2:3]
	v_add_co_u32 v68, vcc_lo, s0, v2
	v_add_co_ci_u32_e64 v69, null, s1, v3, vcc_lo
.LBB28_3:
	s_clause 0x2
	s_load_dwordx8 s[8:15], s[4:5], 0x20
	s_load_dword s6, s[4:5], 0x18
	s_load_dwordx4 s[0:3], s[4:5], 0x8
	v_lshlrev_b32_e32 v70, 4, v0
	s_clause 0x1
	s_load_dword s18, s[4:5], 0x0
	s_load_dwordx2 s[4:5], s[4:5], 0x40
	s_waitcnt lgkmcnt(0)
	v_mul_lo_u32 v5, s9, v66
	v_mul_lo_u32 v7, s8, v67
	v_mad_u64_u32 v[2:3], null, s8, v66, 0
	v_add3_u32 v4, s6, s6, v0
	s_lshl_b64 s[2:3], s[2:3], 4
	s_ashr_i32 s7, s6, 31
	s_lshl_b64 s[8:9], s[6:7], 4
	v_add_nc_u32_e32 v6, s6, v4
	v_add3_u32 v3, v3, v7, v5
	v_ashrrev_i32_e32 v5, 31, v4
	v_add_nc_u32_e32 v8, s6, v6
	v_lshlrev_b64 v[2:3], 4, v[2:3]
	v_ashrrev_i32_e32 v7, 31, v6
	v_lshlrev_b64 v[4:5], 4, v[4:5]
	v_add_nc_u32_e32 v10, s6, v8
	v_ashrrev_i32_e32 v9, 31, v8
	v_add_co_u32 v12, vcc_lo, s0, v2
	v_add_co_ci_u32_e64 v3, null, s1, v3, vcc_lo
	v_add_nc_u32_e32 v2, s6, v10
	v_add_co_u32 v73, vcc_lo, v12, s2
	v_add_co_ci_u32_e64 v74, null, s3, v3, vcc_lo
	v_lshlrev_b64 v[6:7], 4, v[6:7]
	v_ashrrev_i32_e32 v11, 31, v10
	v_add_nc_u32_e32 v12, s6, v2
	v_add_co_u32 v14, vcc_lo, v73, v70
	v_lshlrev_b64 v[8:9], 4, v[8:9]
	v_add_co_ci_u32_e64 v15, null, 0, v74, vcc_lo
	v_add_co_u32 v4, vcc_lo, v73, v4
	v_lshlrev_b64 v[10:11], 4, v[10:11]
	v_add_co_ci_u32_e64 v5, null, v74, v5, vcc_lo
	v_add_co_u32 v6, vcc_lo, v73, v6
	v_add_nc_u32_e32 v16, s6, v12
	v_ashrrev_i32_e32 v3, 31, v2
	v_add_co_ci_u32_e64 v7, null, v74, v7, vcc_lo
	v_add_co_u32 v8, vcc_lo, v73, v8
	v_ashrrev_i32_e32 v13, 31, v12
	v_add_co_ci_u32_e64 v9, null, v74, v9, vcc_lo
	v_add_co_u32 v10, vcc_lo, v73, v10
	s_clause 0x1
	global_load_dwordx4 v[50:53], v[4:5], off
	global_load_dwordx4 v[42:45], v[6:7], off
	v_add_nc_u32_e32 v6, s6, v16
	v_lshlrev_b64 v[2:3], 4, v[2:3]
	v_add_co_ci_u32_e64 v11, null, v74, v11, vcc_lo
	v_lshlrev_b64 v[4:5], 4, v[12:13]
	v_ashrrev_i32_e32 v17, 31, v16
	v_add_co_u32 v18, vcc_lo, v14, s8
	s_clause 0x1
	global_load_dwordx4 v[46:49], v[8:9], off
	global_load_dwordx4 v[30:33], v[10:11], off
	v_add_nc_u32_e32 v10, s6, v6
	v_add_co_ci_u32_e64 v19, null, s9, v15, vcc_lo
	v_add_co_u32 v2, vcc_lo, v73, v2
	v_ashrrev_i32_e32 v7, 31, v6
	v_add_co_ci_u32_e64 v3, null, v74, v3, vcc_lo
	v_lshlrev_b64 v[8:9], 4, v[16:17]
	v_add_co_u32 v4, vcc_lo, v73, v4
	v_add_nc_u32_e32 v12, s6, v10
	v_add_co_ci_u32_e64 v5, null, v74, v5, vcc_lo
	v_lshlrev_b64 v[6:7], 4, v[6:7]
	s_clause 0x1
	global_load_dwordx4 v[58:61], v[14:15], off
	global_load_dwordx4 v[54:57], v[18:19], off
	v_ashrrev_i32_e32 v11, 31, v10
	s_clause 0x1
	global_load_dwordx4 v[38:41], v[2:3], off
	global_load_dwordx4 v[34:37], v[4:5], off
	v_add_co_u32 v2, vcc_lo, v73, v8
	v_ashrrev_i32_e32 v13, 31, v12
	v_add_nc_u32_e32 v8, s6, v12
	v_add_co_ci_u32_e64 v3, null, v74, v9, vcc_lo
	v_add_co_u32 v6, vcc_lo, v73, v6
	v_lshlrev_b64 v[4:5], 4, v[10:11]
	v_lshlrev_b64 v[10:11], 4, v[12:13]
	v_add_nc_u32_e32 v12, s6, v8
	v_add_co_ci_u32_e64 v7, null, v74, v7, vcc_lo
	s_clause 0x1
	global_load_dwordx4 v[26:29], v[2:3], off
	global_load_dwordx4 v[22:25], v[6:7], off
	v_add_nc_u32_e32 v6, s6, v12
	v_ashrrev_i32_e32 v9, 31, v8
	v_ashrrev_i32_e32 v13, 31, v12
	v_add_co_u32 v2, vcc_lo, v73, v4
	v_ashrrev_i32_e32 v7, 31, v6
	v_add_co_ci_u32_e64 v3, null, v74, v5, vcc_lo
	v_lshlrev_b64 v[4:5], 4, v[8:9]
	v_add_co_u32 v8, vcc_lo, v73, v10
	v_add_co_ci_u32_e64 v9, null, v74, v11, vcc_lo
	v_lshlrev_b64 v[10:11], 4, v[12:13]
	v_lshlrev_b64 v[6:7], 4, v[6:7]
	v_add_co_u32 v4, vcc_lo, v73, v4
	v_add_co_ci_u32_e64 v5, null, v74, v5, vcc_lo
	v_add_co_u32 v62, vcc_lo, v73, v10
	v_add_co_ci_u32_e64 v63, null, v74, v11, vcc_lo
	;; [unrolled: 2-line block ×3, first 2 shown]
	s_clause 0x4
	global_load_dwordx4 v[18:21], v[2:3], off
	global_load_dwordx4 v[14:17], v[8:9], off
	;; [unrolled: 1-line block ×5, first 2 shown]
	s_max_i32 s0, s18, 15
	s_cmp_lt_i32 s18, 2
	v_mul_lo_u32 v71, s0, v1
	v_lshl_add_u32 v1, v71, 4, 0
	v_lshlrev_b32_e32 v72, 4, v71
	v_add_nc_u32_e32 v62, v1, v70
	v_mov_b32_e32 v70, 0
	s_waitcnt vmcnt(10)
	ds_write2_b64 v62, v[58:59], v[60:61] offset1:1
	s_waitcnt vmcnt(0) lgkmcnt(0)
	s_barrier
	buffer_gl0_inv
	ds_read2_b64 v[62:65], v1 offset1:1
	s_cbranch_scc1 .LBB28_6
; %bb.4:
	v_add3_u32 v71, v72, 0, 16
	v_mov_b32_e32 v70, 0
	s_mov_b32 s3, 1
	s_inst_prefetch 0x1
	.p2align	6
.LBB28_5:                               ; =>This Inner Loop Header: Depth=1
	ds_read2_b64 v[75:78], v71 offset1:1
	s_waitcnt lgkmcnt(1)
	v_cmp_gt_f64_e32 vcc_lo, 0, v[62:63]
	v_cmp_gt_f64_e64 s0, 0, v[64:65]
	v_xor_b32_e32 v80, 0x80000000, v63
	v_xor_b32_e32 v82, 0x80000000, v65
	v_mov_b32_e32 v79, v62
	v_mov_b32_e32 v81, v64
	v_add_nc_u32_e32 v71, 16, v71
	s_waitcnt lgkmcnt(0)
	v_cmp_gt_f64_e64 s1, 0, v[75:76]
	v_cmp_gt_f64_e64 s2, 0, v[77:78]
	v_xor_b32_e32 v84, 0x80000000, v76
	v_xor_b32_e32 v86, 0x80000000, v78
	v_mov_b32_e32 v83, v75
	v_mov_b32_e32 v85, v77
	v_cndmask_b32_e32 v80, v63, v80, vcc_lo
	v_cndmask_b32_e64 v82, v65, v82, s0
	v_add_f64 v[79:80], v[79:80], v[81:82]
	v_cndmask_b32_e64 v84, v76, v84, s1
	v_cndmask_b32_e64 v86, v78, v86, s2
	v_add_f64 v[81:82], v[83:84], v[85:86]
	v_cmp_lt_f64_e32 vcc_lo, v[79:80], v[81:82]
	v_cndmask_b32_e32 v63, v63, v76, vcc_lo
	v_cndmask_b32_e32 v62, v62, v75, vcc_lo
	;; [unrolled: 1-line block ×4, first 2 shown]
	v_cndmask_b32_e64 v70, v70, s3, vcc_lo
	s_add_i32 s3, s3, 1
	s_cmp_eq_u32 s18, s3
	s_cbranch_scc0 .LBB28_5
.LBB28_6:
	s_inst_prefetch 0x2
	s_waitcnt lgkmcnt(0)
	v_cmp_neq_f64_e32 vcc_lo, 0, v[62:63]
	v_cmp_neq_f64_e64 s0, 0, v[64:65]
	v_mov_b32_e32 v75, 1
	v_mov_b32_e32 v77, 1
	s_or_b32 s1, vcc_lo, s0
	s_and_saveexec_b32 s0, s1
	s_cbranch_execz .LBB28_12
; %bb.7:
	v_cmp_ngt_f64_e64 s1, |v[62:63]|, |v[64:65]|
	s_and_saveexec_b32 s2, s1
	s_xor_b32 s1, exec_lo, s2
	s_cbranch_execz .LBB28_9
; %bb.8:
	v_div_scale_f64 v[75:76], null, v[64:65], v[64:65], v[62:63]
	v_div_scale_f64 v[81:82], vcc_lo, v[62:63], v[64:65], v[62:63]
	v_rcp_f64_e32 v[77:78], v[75:76]
	v_fma_f64 v[79:80], -v[75:76], v[77:78], 1.0
	v_fma_f64 v[77:78], v[77:78], v[79:80], v[77:78]
	v_fma_f64 v[79:80], -v[75:76], v[77:78], 1.0
	v_fma_f64 v[77:78], v[77:78], v[79:80], v[77:78]
	v_mul_f64 v[79:80], v[81:82], v[77:78]
	v_fma_f64 v[75:76], -v[75:76], v[79:80], v[81:82]
	v_div_fmas_f64 v[75:76], v[75:76], v[77:78], v[79:80]
	v_div_fixup_f64 v[75:76], v[75:76], v[64:65], v[62:63]
	v_fma_f64 v[62:63], v[62:63], v[75:76], v[64:65]
	v_div_scale_f64 v[64:65], null, v[62:63], v[62:63], 1.0
	v_rcp_f64_e32 v[77:78], v[64:65]
	v_fma_f64 v[79:80], -v[64:65], v[77:78], 1.0
	v_fma_f64 v[77:78], v[77:78], v[79:80], v[77:78]
	v_fma_f64 v[79:80], -v[64:65], v[77:78], 1.0
	v_fma_f64 v[77:78], v[77:78], v[79:80], v[77:78]
	v_div_scale_f64 v[79:80], vcc_lo, 1.0, v[62:63], 1.0
	v_mul_f64 v[81:82], v[79:80], v[77:78]
	v_fma_f64 v[64:65], -v[64:65], v[81:82], v[79:80]
	v_div_fmas_f64 v[64:65], v[64:65], v[77:78], v[81:82]
	v_div_fixup_f64 v[64:65], v[64:65], v[62:63], 1.0
	v_mul_f64 v[62:63], v[75:76], v[64:65]
	v_xor_b32_e32 v65, 0x80000000, v65
.LBB28_9:
	s_andn2_saveexec_b32 s1, s1
	s_cbranch_execz .LBB28_11
; %bb.10:
	v_div_scale_f64 v[75:76], null, v[62:63], v[62:63], v[64:65]
	v_div_scale_f64 v[81:82], vcc_lo, v[64:65], v[62:63], v[64:65]
	v_rcp_f64_e32 v[77:78], v[75:76]
	v_fma_f64 v[79:80], -v[75:76], v[77:78], 1.0
	v_fma_f64 v[77:78], v[77:78], v[79:80], v[77:78]
	v_fma_f64 v[79:80], -v[75:76], v[77:78], 1.0
	v_fma_f64 v[77:78], v[77:78], v[79:80], v[77:78]
	v_mul_f64 v[79:80], v[81:82], v[77:78]
	v_fma_f64 v[75:76], -v[75:76], v[79:80], v[81:82]
	v_div_fmas_f64 v[75:76], v[75:76], v[77:78], v[79:80]
	v_div_fixup_f64 v[75:76], v[75:76], v[62:63], v[64:65]
	v_fma_f64 v[62:63], v[64:65], v[75:76], v[62:63]
	v_div_scale_f64 v[64:65], null, v[62:63], v[62:63], 1.0
	v_rcp_f64_e32 v[77:78], v[64:65]
	v_fma_f64 v[79:80], -v[64:65], v[77:78], 1.0
	v_fma_f64 v[77:78], v[77:78], v[79:80], v[77:78]
	v_fma_f64 v[79:80], -v[64:65], v[77:78], 1.0
	v_fma_f64 v[77:78], v[77:78], v[79:80], v[77:78]
	v_div_scale_f64 v[79:80], vcc_lo, 1.0, v[62:63], 1.0
	v_mul_f64 v[81:82], v[79:80], v[77:78]
	v_fma_f64 v[64:65], -v[64:65], v[81:82], v[79:80]
	v_div_fmas_f64 v[64:65], v[64:65], v[77:78], v[81:82]
	v_div_fixup_f64 v[62:63], v[64:65], v[62:63], 1.0
	v_mul_f64 v[64:65], v[75:76], -v[62:63]
.LBB28_11:
	s_or_b32 exec_lo, exec_lo, s1
	v_mov_b32_e32 v77, 0
	v_mov_b32_e32 v75, 2
.LBB28_12:
	s_or_b32 exec_lo, exec_lo, s0
	s_mov_b32 s0, exec_lo
	v_cmpx_ne_u32_e64 v0, v70
	s_xor_b32 s0, exec_lo, s0
	s_cbranch_execz .LBB28_18
; %bb.13:
	s_mov_b32 s1, exec_lo
	v_cmpx_eq_u32_e32 0, v0
	s_cbranch_execz .LBB28_17
; %bb.14:
	v_cmp_ne_u32_e32 vcc_lo, 0, v70
	s_xor_b32 s2, s16, -1
	s_and_b32 s3, s2, vcc_lo
	s_and_saveexec_b32 s2, s3
	s_cbranch_execz .LBB28_16
; %bb.15:
	v_ashrrev_i32_e32 v71, 31, v70
	v_lshlrev_b64 v[78:79], 2, v[70:71]
	v_add_co_u32 v78, vcc_lo, v68, v78
	v_add_co_ci_u32_e64 v79, null, v69, v79, vcc_lo
	s_clause 0x1
	global_load_dword v0, v[78:79], off
	global_load_dword v71, v[68:69], off
	s_waitcnt vmcnt(1)
	global_store_dword v[68:69], v0, off
	s_waitcnt vmcnt(0)
	global_store_dword v[78:79], v71, off
.LBB28_16:
	s_or_b32 exec_lo, exec_lo, s2
	v_mov_b32_e32 v0, v70
.LBB28_17:
	s_or_b32 exec_lo, exec_lo, s1
.LBB28_18:
	s_or_saveexec_b32 s0, s0
	v_mov_b32_e32 v76, v0
	s_xor_b32 exec_lo, exec_lo, s0
	s_cbranch_execz .LBB28_20
; %bb.19:
	v_mov_b32_e32 v76, 0
	ds_write2_b64 v1, v[54:55], v[56:57] offset0:2 offset1:3
	ds_write2_b64 v1, v[50:51], v[52:53] offset0:4 offset1:5
	;; [unrolled: 1-line block ×14, first 2 shown]
.LBB28_20:
	s_or_b32 exec_lo, exec_lo, s0
	s_mov_b32 s0, exec_lo
	s_waitcnt lgkmcnt(0)
	s_waitcnt_vscnt null, 0x0
	s_barrier
	buffer_gl0_inv
	v_cmpx_lt_i32_e32 0, v76
	s_cbranch_execz .LBB28_22
; %bb.21:
	v_mul_f64 v[70:71], v[62:63], v[60:61]
	v_mul_f64 v[60:61], v[64:65], v[60:61]
	v_fma_f64 v[70:71], v[64:65], v[58:59], v[70:71]
	v_fma_f64 v[58:59], v[62:63], v[58:59], -v[60:61]
	ds_read2_b64 v[60:63], v1 offset0:2 offset1:3
	s_waitcnt lgkmcnt(0)
	v_mul_f64 v[64:65], v[62:63], v[70:71]
	v_fma_f64 v[64:65], v[60:61], v[58:59], -v[64:65]
	v_mul_f64 v[60:61], v[60:61], v[70:71]
	v_add_f64 v[54:55], v[54:55], -v[64:65]
	v_fma_f64 v[60:61], v[62:63], v[58:59], v[60:61]
	v_add_f64 v[56:57], v[56:57], -v[60:61]
	ds_read2_b64 v[60:63], v1 offset0:4 offset1:5
	s_waitcnt lgkmcnt(0)
	v_mul_f64 v[64:65], v[62:63], v[70:71]
	v_fma_f64 v[64:65], v[60:61], v[58:59], -v[64:65]
	v_mul_f64 v[60:61], v[60:61], v[70:71]
	v_add_f64 v[50:51], v[50:51], -v[64:65]
	v_fma_f64 v[60:61], v[62:63], v[58:59], v[60:61]
	v_add_f64 v[52:53], v[52:53], -v[60:61]
	;; [unrolled: 8-line block ×14, first 2 shown]
	v_mov_b32_e32 v60, v70
	v_mov_b32_e32 v61, v71
.LBB28_22:
	s_or_b32 exec_lo, exec_lo, s0
	v_lshl_add_u32 v62, v76, 4, v1
	s_barrier
	buffer_gl0_inv
	v_mov_b32_e32 v70, 1
	ds_write2_b64 v62, v[54:55], v[56:57] offset1:1
	s_waitcnt lgkmcnt(0)
	s_barrier
	buffer_gl0_inv
	ds_read2_b64 v[62:65], v1 offset0:2 offset1:3
	s_cmp_lt_i32 s18, 3
	s_cbranch_scc1 .LBB28_25
; %bb.23:
	v_add3_u32 v71, v72, 0, 32
	v_mov_b32_e32 v70, 1
	s_mov_b32 s1, 2
	s_inst_prefetch 0x1
	.p2align	6
.LBB28_24:                              ; =>This Inner Loop Header: Depth=1
	s_waitcnt lgkmcnt(0)
	v_cmp_gt_f64_e32 vcc_lo, 0, v[64:65]
	v_cmp_gt_f64_e64 s0, 0, v[62:63]
	ds_read2_b64 v[78:81], v71 offset1:1
	v_xor_b32_e32 v83, 0x80000000, v63
	v_xor_b32_e32 v85, 0x80000000, v65
	v_mov_b32_e32 v82, v62
	v_mov_b32_e32 v84, v64
	v_add_nc_u32_e32 v71, 16, v71
	s_waitcnt lgkmcnt(0)
	v_xor_b32_e32 v87, 0x80000000, v81
	v_cndmask_b32_e64 v83, v63, v83, s0
	v_cndmask_b32_e32 v85, v65, v85, vcc_lo
	v_cmp_gt_f64_e32 vcc_lo, 0, v[80:81]
	v_cmp_gt_f64_e64 s0, 0, v[78:79]
	v_mov_b32_e32 v86, v80
	v_add_f64 v[82:83], v[82:83], v[84:85]
	v_xor_b32_e32 v85, 0x80000000, v79
	v_mov_b32_e32 v84, v78
	v_cndmask_b32_e32 v87, v81, v87, vcc_lo
	v_cndmask_b32_e64 v85, v79, v85, s0
	v_add_f64 v[84:85], v[84:85], v[86:87]
	v_cmp_lt_f64_e32 vcc_lo, v[82:83], v[84:85]
	v_cndmask_b32_e32 v63, v63, v79, vcc_lo
	v_cndmask_b32_e32 v62, v62, v78, vcc_lo
	;; [unrolled: 1-line block ×4, first 2 shown]
	v_cndmask_b32_e64 v70, v70, s1, vcc_lo
	s_add_i32 s1, s1, 1
	s_cmp_lg_u32 s18, s1
	s_cbranch_scc1 .LBB28_24
.LBB28_25:
	s_inst_prefetch 0x2
	s_waitcnt lgkmcnt(0)
	v_cmp_neq_f64_e32 vcc_lo, 0, v[62:63]
	v_cmp_neq_f64_e64 s0, 0, v[64:65]
	s_or_b32 s1, vcc_lo, s0
	s_and_saveexec_b32 s0, s1
	s_cbranch_execz .LBB28_31
; %bb.26:
	v_cmp_ngt_f64_e64 s1, |v[62:63]|, |v[64:65]|
	s_and_saveexec_b32 s2, s1
	s_xor_b32 s1, exec_lo, s2
	s_cbranch_execz .LBB28_28
; %bb.27:
	v_div_scale_f64 v[78:79], null, v[64:65], v[64:65], v[62:63]
	v_div_scale_f64 v[84:85], vcc_lo, v[62:63], v[64:65], v[62:63]
	v_rcp_f64_e32 v[80:81], v[78:79]
	v_fma_f64 v[82:83], -v[78:79], v[80:81], 1.0
	v_fma_f64 v[80:81], v[80:81], v[82:83], v[80:81]
	v_fma_f64 v[82:83], -v[78:79], v[80:81], 1.0
	v_fma_f64 v[80:81], v[80:81], v[82:83], v[80:81]
	v_mul_f64 v[82:83], v[84:85], v[80:81]
	v_fma_f64 v[78:79], -v[78:79], v[82:83], v[84:85]
	v_div_fmas_f64 v[78:79], v[78:79], v[80:81], v[82:83]
	v_div_fixup_f64 v[78:79], v[78:79], v[64:65], v[62:63]
	v_fma_f64 v[62:63], v[62:63], v[78:79], v[64:65]
	v_div_scale_f64 v[64:65], null, v[62:63], v[62:63], 1.0
	v_rcp_f64_e32 v[80:81], v[64:65]
	v_fma_f64 v[82:83], -v[64:65], v[80:81], 1.0
	v_fma_f64 v[80:81], v[80:81], v[82:83], v[80:81]
	v_fma_f64 v[82:83], -v[64:65], v[80:81], 1.0
	v_fma_f64 v[80:81], v[80:81], v[82:83], v[80:81]
	v_div_scale_f64 v[82:83], vcc_lo, 1.0, v[62:63], 1.0
	v_mul_f64 v[84:85], v[82:83], v[80:81]
	v_fma_f64 v[64:65], -v[64:65], v[84:85], v[82:83]
	v_div_fmas_f64 v[64:65], v[64:65], v[80:81], v[84:85]
	v_div_fixup_f64 v[64:65], v[64:65], v[62:63], 1.0
	v_mul_f64 v[62:63], v[78:79], v[64:65]
	v_xor_b32_e32 v65, 0x80000000, v65
.LBB28_28:
	s_andn2_saveexec_b32 s1, s1
	s_cbranch_execz .LBB28_30
; %bb.29:
	v_div_scale_f64 v[78:79], null, v[62:63], v[62:63], v[64:65]
	v_div_scale_f64 v[84:85], vcc_lo, v[64:65], v[62:63], v[64:65]
	v_rcp_f64_e32 v[80:81], v[78:79]
	v_fma_f64 v[82:83], -v[78:79], v[80:81], 1.0
	v_fma_f64 v[80:81], v[80:81], v[82:83], v[80:81]
	v_fma_f64 v[82:83], -v[78:79], v[80:81], 1.0
	v_fma_f64 v[80:81], v[80:81], v[82:83], v[80:81]
	v_mul_f64 v[82:83], v[84:85], v[80:81]
	v_fma_f64 v[78:79], -v[78:79], v[82:83], v[84:85]
	v_div_fmas_f64 v[78:79], v[78:79], v[80:81], v[82:83]
	v_div_fixup_f64 v[78:79], v[78:79], v[62:63], v[64:65]
	v_fma_f64 v[62:63], v[64:65], v[78:79], v[62:63]
	v_div_scale_f64 v[64:65], null, v[62:63], v[62:63], 1.0
	v_rcp_f64_e32 v[80:81], v[64:65]
	v_fma_f64 v[82:83], -v[64:65], v[80:81], 1.0
	v_fma_f64 v[80:81], v[80:81], v[82:83], v[80:81]
	v_fma_f64 v[82:83], -v[64:65], v[80:81], 1.0
	v_fma_f64 v[80:81], v[80:81], v[82:83], v[80:81]
	v_div_scale_f64 v[82:83], vcc_lo, 1.0, v[62:63], 1.0
	v_mul_f64 v[84:85], v[82:83], v[80:81]
	v_fma_f64 v[64:65], -v[64:65], v[84:85], v[82:83]
	v_div_fmas_f64 v[64:65], v[64:65], v[80:81], v[84:85]
	v_div_fixup_f64 v[62:63], v[64:65], v[62:63], 1.0
	v_mul_f64 v[64:65], v[78:79], -v[62:63]
.LBB28_30:
	s_or_b32 exec_lo, exec_lo, s1
	v_mov_b32_e32 v75, v77
.LBB28_31:
	s_or_b32 exec_lo, exec_lo, s0
	s_mov_b32 s0, exec_lo
	v_cmpx_ne_u32_e64 v76, v70
	s_xor_b32 s0, exec_lo, s0
	s_cbranch_execz .LBB28_37
; %bb.32:
	s_mov_b32 s1, exec_lo
	v_cmpx_eq_u32_e32 1, v76
	s_cbranch_execz .LBB28_36
; %bb.33:
	v_cmp_ne_u32_e32 vcc_lo, 1, v70
	s_xor_b32 s2, s16, -1
	s_and_b32 s3, s2, vcc_lo
	s_and_saveexec_b32 s2, s3
	s_cbranch_execz .LBB28_35
; %bb.34:
	v_ashrrev_i32_e32 v71, 31, v70
	v_lshlrev_b64 v[76:77], 2, v[70:71]
	v_add_co_u32 v76, vcc_lo, v68, v76
	v_add_co_ci_u32_e64 v77, null, v69, v77, vcc_lo
	s_clause 0x1
	global_load_dword v0, v[76:77], off
	global_load_dword v71, v[68:69], off offset:4
	s_waitcnt vmcnt(1)
	global_store_dword v[68:69], v0, off offset:4
	s_waitcnt vmcnt(0)
	global_store_dword v[76:77], v71, off
.LBB28_35:
	s_or_b32 exec_lo, exec_lo, s2
	v_mov_b32_e32 v76, v70
	v_mov_b32_e32 v0, v70
.LBB28_36:
	s_or_b32 exec_lo, exec_lo, s1
.LBB28_37:
	s_andn2_saveexec_b32 s0, s0
	s_cbranch_execz .LBB28_39
; %bb.38:
	v_mov_b32_e32 v76, 1
	ds_write2_b64 v1, v[50:51], v[52:53] offset0:4 offset1:5
	ds_write2_b64 v1, v[42:43], v[44:45] offset0:6 offset1:7
	;; [unrolled: 1-line block ×13, first 2 shown]
.LBB28_39:
	s_or_b32 exec_lo, exec_lo, s0
	s_mov_b32 s0, exec_lo
	s_waitcnt lgkmcnt(0)
	s_waitcnt_vscnt null, 0x0
	s_barrier
	buffer_gl0_inv
	v_cmpx_lt_i32_e32 1, v76
	s_cbranch_execz .LBB28_41
; %bb.40:
	v_mul_f64 v[70:71], v[62:63], v[56:57]
	v_mul_f64 v[56:57], v[64:65], v[56:57]
	v_fma_f64 v[70:71], v[64:65], v[54:55], v[70:71]
	v_fma_f64 v[54:55], v[62:63], v[54:55], -v[56:57]
	ds_read2_b64 v[62:65], v1 offset0:4 offset1:5
	s_waitcnt lgkmcnt(0)
	v_mul_f64 v[56:57], v[64:65], v[70:71]
	v_fma_f64 v[56:57], v[62:63], v[54:55], -v[56:57]
	v_mul_f64 v[62:63], v[62:63], v[70:71]
	v_add_f64 v[50:51], v[50:51], -v[56:57]
	v_fma_f64 v[62:63], v[64:65], v[54:55], v[62:63]
	v_add_f64 v[52:53], v[52:53], -v[62:63]
	ds_read2_b64 v[62:65], v1 offset0:6 offset1:7
	s_waitcnt lgkmcnt(0)
	v_mul_f64 v[56:57], v[64:65], v[70:71]
	v_fma_f64 v[56:57], v[62:63], v[54:55], -v[56:57]
	v_mul_f64 v[62:63], v[62:63], v[70:71]
	v_add_f64 v[42:43], v[42:43], -v[56:57]
	v_fma_f64 v[62:63], v[64:65], v[54:55], v[62:63]
	v_add_f64 v[44:45], v[44:45], -v[62:63]
	ds_read2_b64 v[62:65], v1 offset0:8 offset1:9
	s_waitcnt lgkmcnt(0)
	v_mul_f64 v[56:57], v[64:65], v[70:71]
	v_fma_f64 v[56:57], v[62:63], v[54:55], -v[56:57]
	v_mul_f64 v[62:63], v[62:63], v[70:71]
	v_add_f64 v[46:47], v[46:47], -v[56:57]
	v_fma_f64 v[62:63], v[64:65], v[54:55], v[62:63]
	v_add_f64 v[48:49], v[48:49], -v[62:63]
	ds_read2_b64 v[62:65], v1 offset0:10 offset1:11
	s_waitcnt lgkmcnt(0)
	v_mul_f64 v[56:57], v[64:65], v[70:71]
	v_fma_f64 v[56:57], v[62:63], v[54:55], -v[56:57]
	v_mul_f64 v[62:63], v[62:63], v[70:71]
	v_add_f64 v[30:31], v[30:31], -v[56:57]
	v_fma_f64 v[62:63], v[64:65], v[54:55], v[62:63]
	v_add_f64 v[32:33], v[32:33], -v[62:63]
	ds_read2_b64 v[62:65], v1 offset0:12 offset1:13
	s_waitcnt lgkmcnt(0)
	v_mul_f64 v[56:57], v[64:65], v[70:71]
	v_fma_f64 v[56:57], v[62:63], v[54:55], -v[56:57]
	v_mul_f64 v[62:63], v[62:63], v[70:71]
	v_add_f64 v[38:39], v[38:39], -v[56:57]
	v_fma_f64 v[62:63], v[64:65], v[54:55], v[62:63]
	v_add_f64 v[40:41], v[40:41], -v[62:63]
	ds_read2_b64 v[62:65], v1 offset0:14 offset1:15
	s_waitcnt lgkmcnt(0)
	v_mul_f64 v[56:57], v[64:65], v[70:71]
	v_fma_f64 v[56:57], v[62:63], v[54:55], -v[56:57]
	v_mul_f64 v[62:63], v[62:63], v[70:71]
	v_add_f64 v[34:35], v[34:35], -v[56:57]
	v_fma_f64 v[62:63], v[64:65], v[54:55], v[62:63]
	v_add_f64 v[36:37], v[36:37], -v[62:63]
	ds_read2_b64 v[62:65], v1 offset0:16 offset1:17
	s_waitcnt lgkmcnt(0)
	v_mul_f64 v[56:57], v[64:65], v[70:71]
	v_fma_f64 v[56:57], v[62:63], v[54:55], -v[56:57]
	v_mul_f64 v[62:63], v[62:63], v[70:71]
	v_add_f64 v[26:27], v[26:27], -v[56:57]
	v_fma_f64 v[62:63], v[64:65], v[54:55], v[62:63]
	v_add_f64 v[28:29], v[28:29], -v[62:63]
	ds_read2_b64 v[62:65], v1 offset0:18 offset1:19
	s_waitcnt lgkmcnt(0)
	v_mul_f64 v[56:57], v[64:65], v[70:71]
	v_fma_f64 v[56:57], v[62:63], v[54:55], -v[56:57]
	v_mul_f64 v[62:63], v[62:63], v[70:71]
	v_add_f64 v[22:23], v[22:23], -v[56:57]
	v_fma_f64 v[62:63], v[64:65], v[54:55], v[62:63]
	v_add_f64 v[24:25], v[24:25], -v[62:63]
	ds_read2_b64 v[62:65], v1 offset0:20 offset1:21
	s_waitcnt lgkmcnt(0)
	v_mul_f64 v[56:57], v[64:65], v[70:71]
	v_fma_f64 v[56:57], v[62:63], v[54:55], -v[56:57]
	v_mul_f64 v[62:63], v[62:63], v[70:71]
	v_add_f64 v[18:19], v[18:19], -v[56:57]
	v_fma_f64 v[62:63], v[64:65], v[54:55], v[62:63]
	v_add_f64 v[20:21], v[20:21], -v[62:63]
	ds_read2_b64 v[62:65], v1 offset0:22 offset1:23
	s_waitcnt lgkmcnt(0)
	v_mul_f64 v[56:57], v[64:65], v[70:71]
	v_fma_f64 v[56:57], v[62:63], v[54:55], -v[56:57]
	v_mul_f64 v[62:63], v[62:63], v[70:71]
	v_add_f64 v[14:15], v[14:15], -v[56:57]
	v_fma_f64 v[62:63], v[64:65], v[54:55], v[62:63]
	v_add_f64 v[16:17], v[16:17], -v[62:63]
	ds_read2_b64 v[62:65], v1 offset0:24 offset1:25
	s_waitcnt lgkmcnt(0)
	v_mul_f64 v[56:57], v[64:65], v[70:71]
	v_fma_f64 v[56:57], v[62:63], v[54:55], -v[56:57]
	v_mul_f64 v[62:63], v[62:63], v[70:71]
	v_add_f64 v[10:11], v[10:11], -v[56:57]
	v_fma_f64 v[62:63], v[64:65], v[54:55], v[62:63]
	v_add_f64 v[12:13], v[12:13], -v[62:63]
	ds_read2_b64 v[62:65], v1 offset0:26 offset1:27
	s_waitcnt lgkmcnt(0)
	v_mul_f64 v[56:57], v[64:65], v[70:71]
	v_fma_f64 v[56:57], v[62:63], v[54:55], -v[56:57]
	v_mul_f64 v[62:63], v[62:63], v[70:71]
	v_add_f64 v[6:7], v[6:7], -v[56:57]
	v_fma_f64 v[62:63], v[64:65], v[54:55], v[62:63]
	v_add_f64 v[8:9], v[8:9], -v[62:63]
	ds_read2_b64 v[62:65], v1 offset0:28 offset1:29
	s_waitcnt lgkmcnt(0)
	v_mul_f64 v[56:57], v[64:65], v[70:71]
	v_fma_f64 v[56:57], v[62:63], v[54:55], -v[56:57]
	v_mul_f64 v[62:63], v[62:63], v[70:71]
	v_add_f64 v[2:3], v[2:3], -v[56:57]
	v_fma_f64 v[62:63], v[64:65], v[54:55], v[62:63]
	v_mov_b32_e32 v56, v70
	v_mov_b32_e32 v57, v71
	v_add_f64 v[4:5], v[4:5], -v[62:63]
.LBB28_41:
	s_or_b32 exec_lo, exec_lo, s0
	v_lshl_add_u32 v62, v76, 4, v1
	s_barrier
	buffer_gl0_inv
	v_mov_b32_e32 v70, 2
	ds_write2_b64 v62, v[50:51], v[52:53] offset1:1
	s_waitcnt lgkmcnt(0)
	s_barrier
	buffer_gl0_inv
	ds_read2_b64 v[62:65], v1 offset0:4 offset1:5
	s_cmp_lt_i32 s18, 4
	s_cbranch_scc1 .LBB28_44
; %bb.42:
	v_add3_u32 v71, v72, 0, 48
	v_mov_b32_e32 v70, 2
	s_mov_b32 s1, 3
	s_inst_prefetch 0x1
	.p2align	6
.LBB28_43:                              ; =>This Inner Loop Header: Depth=1
	s_waitcnt lgkmcnt(0)
	v_cmp_gt_f64_e32 vcc_lo, 0, v[64:65]
	v_cmp_gt_f64_e64 s0, 0, v[62:63]
	ds_read2_b64 v[77:80], v71 offset1:1
	v_xor_b32_e32 v82, 0x80000000, v63
	v_xor_b32_e32 v84, 0x80000000, v65
	v_mov_b32_e32 v81, v62
	v_mov_b32_e32 v83, v64
	v_add_nc_u32_e32 v71, 16, v71
	s_waitcnt lgkmcnt(0)
	v_xor_b32_e32 v86, 0x80000000, v80
	v_cndmask_b32_e64 v82, v63, v82, s0
	v_cndmask_b32_e32 v84, v65, v84, vcc_lo
	v_cmp_gt_f64_e32 vcc_lo, 0, v[79:80]
	v_cmp_gt_f64_e64 s0, 0, v[77:78]
	v_mov_b32_e32 v85, v79
	v_add_f64 v[81:82], v[81:82], v[83:84]
	v_xor_b32_e32 v84, 0x80000000, v78
	v_mov_b32_e32 v83, v77
	v_cndmask_b32_e32 v86, v80, v86, vcc_lo
	v_cndmask_b32_e64 v84, v78, v84, s0
	v_add_f64 v[83:84], v[83:84], v[85:86]
	v_cmp_lt_f64_e32 vcc_lo, v[81:82], v[83:84]
	v_cndmask_b32_e32 v63, v63, v78, vcc_lo
	v_cndmask_b32_e32 v62, v62, v77, vcc_lo
	;; [unrolled: 1-line block ×4, first 2 shown]
	v_cndmask_b32_e64 v70, v70, s1, vcc_lo
	s_add_i32 s1, s1, 1
	s_cmp_lg_u32 s18, s1
	s_cbranch_scc1 .LBB28_43
.LBB28_44:
	s_inst_prefetch 0x2
	s_waitcnt lgkmcnt(0)
	v_cmp_eq_f64_e32 vcc_lo, 0, v[62:63]
	v_cmp_eq_f64_e64 s0, 0, v[64:65]
	s_and_b32 s0, vcc_lo, s0
	s_and_saveexec_b32 s1, s0
	s_xor_b32 s0, exec_lo, s1
; %bb.45:
	v_cmp_ne_u32_e32 vcc_lo, 0, v75
	v_cndmask_b32_e32 v75, 3, v75, vcc_lo
; %bb.46:
	s_andn2_saveexec_b32 s0, s0
	s_cbranch_execz .LBB28_52
; %bb.47:
	v_cmp_ngt_f64_e64 s1, |v[62:63]|, |v[64:65]|
	s_and_saveexec_b32 s2, s1
	s_xor_b32 s1, exec_lo, s2
	s_cbranch_execz .LBB28_49
; %bb.48:
	v_div_scale_f64 v[77:78], null, v[64:65], v[64:65], v[62:63]
	v_div_scale_f64 v[83:84], vcc_lo, v[62:63], v[64:65], v[62:63]
	v_rcp_f64_e32 v[79:80], v[77:78]
	v_fma_f64 v[81:82], -v[77:78], v[79:80], 1.0
	v_fma_f64 v[79:80], v[79:80], v[81:82], v[79:80]
	v_fma_f64 v[81:82], -v[77:78], v[79:80], 1.0
	v_fma_f64 v[79:80], v[79:80], v[81:82], v[79:80]
	v_mul_f64 v[81:82], v[83:84], v[79:80]
	v_fma_f64 v[77:78], -v[77:78], v[81:82], v[83:84]
	v_div_fmas_f64 v[77:78], v[77:78], v[79:80], v[81:82]
	v_div_fixup_f64 v[77:78], v[77:78], v[64:65], v[62:63]
	v_fma_f64 v[62:63], v[62:63], v[77:78], v[64:65]
	v_div_scale_f64 v[64:65], null, v[62:63], v[62:63], 1.0
	v_rcp_f64_e32 v[79:80], v[64:65]
	v_fma_f64 v[81:82], -v[64:65], v[79:80], 1.0
	v_fma_f64 v[79:80], v[79:80], v[81:82], v[79:80]
	v_fma_f64 v[81:82], -v[64:65], v[79:80], 1.0
	v_fma_f64 v[79:80], v[79:80], v[81:82], v[79:80]
	v_div_scale_f64 v[81:82], vcc_lo, 1.0, v[62:63], 1.0
	v_mul_f64 v[83:84], v[81:82], v[79:80]
	v_fma_f64 v[64:65], -v[64:65], v[83:84], v[81:82]
	v_div_fmas_f64 v[64:65], v[64:65], v[79:80], v[83:84]
	v_div_fixup_f64 v[64:65], v[64:65], v[62:63], 1.0
	v_mul_f64 v[62:63], v[77:78], v[64:65]
	v_xor_b32_e32 v65, 0x80000000, v65
.LBB28_49:
	s_andn2_saveexec_b32 s1, s1
	s_cbranch_execz .LBB28_51
; %bb.50:
	v_div_scale_f64 v[77:78], null, v[62:63], v[62:63], v[64:65]
	v_div_scale_f64 v[83:84], vcc_lo, v[64:65], v[62:63], v[64:65]
	v_rcp_f64_e32 v[79:80], v[77:78]
	v_fma_f64 v[81:82], -v[77:78], v[79:80], 1.0
	v_fma_f64 v[79:80], v[79:80], v[81:82], v[79:80]
	v_fma_f64 v[81:82], -v[77:78], v[79:80], 1.0
	v_fma_f64 v[79:80], v[79:80], v[81:82], v[79:80]
	v_mul_f64 v[81:82], v[83:84], v[79:80]
	v_fma_f64 v[77:78], -v[77:78], v[81:82], v[83:84]
	v_div_fmas_f64 v[77:78], v[77:78], v[79:80], v[81:82]
	v_div_fixup_f64 v[77:78], v[77:78], v[62:63], v[64:65]
	v_fma_f64 v[62:63], v[64:65], v[77:78], v[62:63]
	v_div_scale_f64 v[64:65], null, v[62:63], v[62:63], 1.0
	v_rcp_f64_e32 v[79:80], v[64:65]
	v_fma_f64 v[81:82], -v[64:65], v[79:80], 1.0
	v_fma_f64 v[79:80], v[79:80], v[81:82], v[79:80]
	v_fma_f64 v[81:82], -v[64:65], v[79:80], 1.0
	v_fma_f64 v[79:80], v[79:80], v[81:82], v[79:80]
	v_div_scale_f64 v[81:82], vcc_lo, 1.0, v[62:63], 1.0
	v_mul_f64 v[83:84], v[81:82], v[79:80]
	v_fma_f64 v[64:65], -v[64:65], v[83:84], v[81:82]
	v_div_fmas_f64 v[64:65], v[64:65], v[79:80], v[83:84]
	v_div_fixup_f64 v[62:63], v[64:65], v[62:63], 1.0
	v_mul_f64 v[64:65], v[77:78], -v[62:63]
.LBB28_51:
	s_or_b32 exec_lo, exec_lo, s1
.LBB28_52:
	s_or_b32 exec_lo, exec_lo, s0
	s_mov_b32 s0, exec_lo
	v_cmpx_ne_u32_e64 v76, v70
	s_xor_b32 s0, exec_lo, s0
	s_cbranch_execz .LBB28_58
; %bb.53:
	s_mov_b32 s1, exec_lo
	v_cmpx_eq_u32_e32 2, v76
	s_cbranch_execz .LBB28_57
; %bb.54:
	v_cmp_ne_u32_e32 vcc_lo, 2, v70
	s_xor_b32 s2, s16, -1
	s_and_b32 s3, s2, vcc_lo
	s_and_saveexec_b32 s2, s3
	s_cbranch_execz .LBB28_56
; %bb.55:
	v_ashrrev_i32_e32 v71, 31, v70
	v_lshlrev_b64 v[76:77], 2, v[70:71]
	v_add_co_u32 v76, vcc_lo, v68, v76
	v_add_co_ci_u32_e64 v77, null, v69, v77, vcc_lo
	s_clause 0x1
	global_load_dword v0, v[76:77], off
	global_load_dword v71, v[68:69], off offset:8
	s_waitcnt vmcnt(1)
	global_store_dword v[68:69], v0, off offset:8
	s_waitcnt vmcnt(0)
	global_store_dword v[76:77], v71, off
.LBB28_56:
	s_or_b32 exec_lo, exec_lo, s2
	v_mov_b32_e32 v76, v70
	v_mov_b32_e32 v0, v70
.LBB28_57:
	s_or_b32 exec_lo, exec_lo, s1
.LBB28_58:
	s_andn2_saveexec_b32 s0, s0
	s_cbranch_execz .LBB28_60
; %bb.59:
	v_mov_b32_e32 v76, 2
	ds_write2_b64 v1, v[42:43], v[44:45] offset0:6 offset1:7
	ds_write2_b64 v1, v[46:47], v[48:49] offset0:8 offset1:9
	;; [unrolled: 1-line block ×12, first 2 shown]
.LBB28_60:
	s_or_b32 exec_lo, exec_lo, s0
	s_mov_b32 s0, exec_lo
	s_waitcnt lgkmcnt(0)
	s_waitcnt_vscnt null, 0x0
	s_barrier
	buffer_gl0_inv
	v_cmpx_lt_i32_e32 2, v76
	s_cbranch_execz .LBB28_62
; %bb.61:
	v_mul_f64 v[70:71], v[62:63], v[52:53]
	v_mul_f64 v[52:53], v[64:65], v[52:53]
	v_fma_f64 v[70:71], v[64:65], v[50:51], v[70:71]
	v_fma_f64 v[50:51], v[62:63], v[50:51], -v[52:53]
	ds_read2_b64 v[62:65], v1 offset0:6 offset1:7
	s_waitcnt lgkmcnt(0)
	v_mul_f64 v[52:53], v[64:65], v[70:71]
	v_fma_f64 v[52:53], v[62:63], v[50:51], -v[52:53]
	v_mul_f64 v[62:63], v[62:63], v[70:71]
	v_add_f64 v[42:43], v[42:43], -v[52:53]
	v_fma_f64 v[62:63], v[64:65], v[50:51], v[62:63]
	v_add_f64 v[44:45], v[44:45], -v[62:63]
	ds_read2_b64 v[62:65], v1 offset0:8 offset1:9
	s_waitcnt lgkmcnt(0)
	v_mul_f64 v[52:53], v[64:65], v[70:71]
	v_fma_f64 v[52:53], v[62:63], v[50:51], -v[52:53]
	v_mul_f64 v[62:63], v[62:63], v[70:71]
	v_add_f64 v[46:47], v[46:47], -v[52:53]
	v_fma_f64 v[62:63], v[64:65], v[50:51], v[62:63]
	v_add_f64 v[48:49], v[48:49], -v[62:63]
	;; [unrolled: 8-line block ×11, first 2 shown]
	ds_read2_b64 v[62:65], v1 offset0:28 offset1:29
	s_waitcnt lgkmcnt(0)
	v_mul_f64 v[52:53], v[64:65], v[70:71]
	v_fma_f64 v[52:53], v[62:63], v[50:51], -v[52:53]
	v_mul_f64 v[62:63], v[62:63], v[70:71]
	v_add_f64 v[2:3], v[2:3], -v[52:53]
	v_fma_f64 v[62:63], v[64:65], v[50:51], v[62:63]
	v_mov_b32_e32 v52, v70
	v_mov_b32_e32 v53, v71
	v_add_f64 v[4:5], v[4:5], -v[62:63]
.LBB28_62:
	s_or_b32 exec_lo, exec_lo, s0
	v_lshl_add_u32 v62, v76, 4, v1
	s_barrier
	buffer_gl0_inv
	v_mov_b32_e32 v70, 3
	ds_write2_b64 v62, v[42:43], v[44:45] offset1:1
	s_waitcnt lgkmcnt(0)
	s_barrier
	buffer_gl0_inv
	ds_read2_b64 v[62:65], v1 offset0:6 offset1:7
	s_cmp_lt_i32 s18, 5
	s_mov_b32 s1, 4
	s_cbranch_scc1 .LBB28_65
; %bb.63:
	v_add3_u32 v71, v72, 0, 64
	v_mov_b32_e32 v70, 3
	s_inst_prefetch 0x1
	.p2align	6
.LBB28_64:                              ; =>This Inner Loop Header: Depth=1
	s_waitcnt lgkmcnt(0)
	v_cmp_gt_f64_e32 vcc_lo, 0, v[64:65]
	v_cmp_gt_f64_e64 s0, 0, v[62:63]
	ds_read2_b64 v[77:80], v71 offset1:1
	v_xor_b32_e32 v82, 0x80000000, v63
	v_xor_b32_e32 v84, 0x80000000, v65
	v_mov_b32_e32 v81, v62
	v_mov_b32_e32 v83, v64
	v_add_nc_u32_e32 v71, 16, v71
	s_waitcnt lgkmcnt(0)
	v_xor_b32_e32 v86, 0x80000000, v80
	v_cndmask_b32_e64 v82, v63, v82, s0
	v_cndmask_b32_e32 v84, v65, v84, vcc_lo
	v_cmp_gt_f64_e32 vcc_lo, 0, v[79:80]
	v_cmp_gt_f64_e64 s0, 0, v[77:78]
	v_mov_b32_e32 v85, v79
	v_add_f64 v[81:82], v[81:82], v[83:84]
	v_xor_b32_e32 v84, 0x80000000, v78
	v_mov_b32_e32 v83, v77
	v_cndmask_b32_e32 v86, v80, v86, vcc_lo
	v_cndmask_b32_e64 v84, v78, v84, s0
	v_add_f64 v[83:84], v[83:84], v[85:86]
	v_cmp_lt_f64_e32 vcc_lo, v[81:82], v[83:84]
	v_cndmask_b32_e32 v63, v63, v78, vcc_lo
	v_cndmask_b32_e32 v62, v62, v77, vcc_lo
	;; [unrolled: 1-line block ×4, first 2 shown]
	v_cndmask_b32_e64 v70, v70, s1, vcc_lo
	s_add_i32 s1, s1, 1
	s_cmp_lg_u32 s18, s1
	s_cbranch_scc1 .LBB28_64
.LBB28_65:
	s_inst_prefetch 0x2
	s_waitcnt lgkmcnt(0)
	v_cmp_eq_f64_e32 vcc_lo, 0, v[62:63]
	v_cmp_eq_f64_e64 s0, 0, v[64:65]
	s_and_b32 s0, vcc_lo, s0
	s_and_saveexec_b32 s1, s0
	s_xor_b32 s0, exec_lo, s1
; %bb.66:
	v_cmp_ne_u32_e32 vcc_lo, 0, v75
	v_cndmask_b32_e32 v75, 4, v75, vcc_lo
; %bb.67:
	s_andn2_saveexec_b32 s0, s0
	s_cbranch_execz .LBB28_73
; %bb.68:
	v_cmp_ngt_f64_e64 s1, |v[62:63]|, |v[64:65]|
	s_and_saveexec_b32 s2, s1
	s_xor_b32 s1, exec_lo, s2
	s_cbranch_execz .LBB28_70
; %bb.69:
	v_div_scale_f64 v[77:78], null, v[64:65], v[64:65], v[62:63]
	v_div_scale_f64 v[83:84], vcc_lo, v[62:63], v[64:65], v[62:63]
	v_rcp_f64_e32 v[79:80], v[77:78]
	v_fma_f64 v[81:82], -v[77:78], v[79:80], 1.0
	v_fma_f64 v[79:80], v[79:80], v[81:82], v[79:80]
	v_fma_f64 v[81:82], -v[77:78], v[79:80], 1.0
	v_fma_f64 v[79:80], v[79:80], v[81:82], v[79:80]
	v_mul_f64 v[81:82], v[83:84], v[79:80]
	v_fma_f64 v[77:78], -v[77:78], v[81:82], v[83:84]
	v_div_fmas_f64 v[77:78], v[77:78], v[79:80], v[81:82]
	v_div_fixup_f64 v[77:78], v[77:78], v[64:65], v[62:63]
	v_fma_f64 v[62:63], v[62:63], v[77:78], v[64:65]
	v_div_scale_f64 v[64:65], null, v[62:63], v[62:63], 1.0
	v_rcp_f64_e32 v[79:80], v[64:65]
	v_fma_f64 v[81:82], -v[64:65], v[79:80], 1.0
	v_fma_f64 v[79:80], v[79:80], v[81:82], v[79:80]
	v_fma_f64 v[81:82], -v[64:65], v[79:80], 1.0
	v_fma_f64 v[79:80], v[79:80], v[81:82], v[79:80]
	v_div_scale_f64 v[81:82], vcc_lo, 1.0, v[62:63], 1.0
	v_mul_f64 v[83:84], v[81:82], v[79:80]
	v_fma_f64 v[64:65], -v[64:65], v[83:84], v[81:82]
	v_div_fmas_f64 v[64:65], v[64:65], v[79:80], v[83:84]
	v_div_fixup_f64 v[64:65], v[64:65], v[62:63], 1.0
	v_mul_f64 v[62:63], v[77:78], v[64:65]
	v_xor_b32_e32 v65, 0x80000000, v65
.LBB28_70:
	s_andn2_saveexec_b32 s1, s1
	s_cbranch_execz .LBB28_72
; %bb.71:
	v_div_scale_f64 v[77:78], null, v[62:63], v[62:63], v[64:65]
	v_div_scale_f64 v[83:84], vcc_lo, v[64:65], v[62:63], v[64:65]
	v_rcp_f64_e32 v[79:80], v[77:78]
	v_fma_f64 v[81:82], -v[77:78], v[79:80], 1.0
	v_fma_f64 v[79:80], v[79:80], v[81:82], v[79:80]
	v_fma_f64 v[81:82], -v[77:78], v[79:80], 1.0
	v_fma_f64 v[79:80], v[79:80], v[81:82], v[79:80]
	v_mul_f64 v[81:82], v[83:84], v[79:80]
	v_fma_f64 v[77:78], -v[77:78], v[81:82], v[83:84]
	v_div_fmas_f64 v[77:78], v[77:78], v[79:80], v[81:82]
	v_div_fixup_f64 v[77:78], v[77:78], v[62:63], v[64:65]
	v_fma_f64 v[62:63], v[64:65], v[77:78], v[62:63]
	v_div_scale_f64 v[64:65], null, v[62:63], v[62:63], 1.0
	v_rcp_f64_e32 v[79:80], v[64:65]
	v_fma_f64 v[81:82], -v[64:65], v[79:80], 1.0
	v_fma_f64 v[79:80], v[79:80], v[81:82], v[79:80]
	v_fma_f64 v[81:82], -v[64:65], v[79:80], 1.0
	v_fma_f64 v[79:80], v[79:80], v[81:82], v[79:80]
	v_div_scale_f64 v[81:82], vcc_lo, 1.0, v[62:63], 1.0
	v_mul_f64 v[83:84], v[81:82], v[79:80]
	v_fma_f64 v[64:65], -v[64:65], v[83:84], v[81:82]
	v_div_fmas_f64 v[64:65], v[64:65], v[79:80], v[83:84]
	v_div_fixup_f64 v[62:63], v[64:65], v[62:63], 1.0
	v_mul_f64 v[64:65], v[77:78], -v[62:63]
.LBB28_72:
	s_or_b32 exec_lo, exec_lo, s1
.LBB28_73:
	s_or_b32 exec_lo, exec_lo, s0
	s_mov_b32 s0, exec_lo
	v_cmpx_ne_u32_e64 v76, v70
	s_xor_b32 s0, exec_lo, s0
	s_cbranch_execz .LBB28_79
; %bb.74:
	s_mov_b32 s1, exec_lo
	v_cmpx_eq_u32_e32 3, v76
	s_cbranch_execz .LBB28_78
; %bb.75:
	v_cmp_ne_u32_e32 vcc_lo, 3, v70
	s_xor_b32 s2, s16, -1
	s_and_b32 s3, s2, vcc_lo
	s_and_saveexec_b32 s2, s3
	s_cbranch_execz .LBB28_77
; %bb.76:
	v_ashrrev_i32_e32 v71, 31, v70
	v_lshlrev_b64 v[76:77], 2, v[70:71]
	v_add_co_u32 v76, vcc_lo, v68, v76
	v_add_co_ci_u32_e64 v77, null, v69, v77, vcc_lo
	s_clause 0x1
	global_load_dword v0, v[76:77], off
	global_load_dword v71, v[68:69], off offset:12
	s_waitcnt vmcnt(1)
	global_store_dword v[68:69], v0, off offset:12
	s_waitcnt vmcnt(0)
	global_store_dword v[76:77], v71, off
.LBB28_77:
	s_or_b32 exec_lo, exec_lo, s2
	v_mov_b32_e32 v76, v70
	v_mov_b32_e32 v0, v70
.LBB28_78:
	s_or_b32 exec_lo, exec_lo, s1
.LBB28_79:
	s_andn2_saveexec_b32 s0, s0
	s_cbranch_execz .LBB28_81
; %bb.80:
	v_mov_b32_e32 v76, 3
	ds_write2_b64 v1, v[46:47], v[48:49] offset0:8 offset1:9
	ds_write2_b64 v1, v[30:31], v[32:33] offset0:10 offset1:11
	;; [unrolled: 1-line block ×11, first 2 shown]
.LBB28_81:
	s_or_b32 exec_lo, exec_lo, s0
	s_mov_b32 s0, exec_lo
	s_waitcnt lgkmcnt(0)
	s_waitcnt_vscnt null, 0x0
	s_barrier
	buffer_gl0_inv
	v_cmpx_lt_i32_e32 3, v76
	s_cbranch_execz .LBB28_83
; %bb.82:
	v_mul_f64 v[70:71], v[62:63], v[44:45]
	v_mul_f64 v[44:45], v[64:65], v[44:45]
	v_fma_f64 v[70:71], v[64:65], v[42:43], v[70:71]
	v_fma_f64 v[42:43], v[62:63], v[42:43], -v[44:45]
	ds_read2_b64 v[62:65], v1 offset0:8 offset1:9
	s_waitcnt lgkmcnt(0)
	v_mul_f64 v[44:45], v[64:65], v[70:71]
	v_fma_f64 v[44:45], v[62:63], v[42:43], -v[44:45]
	v_mul_f64 v[62:63], v[62:63], v[70:71]
	v_add_f64 v[46:47], v[46:47], -v[44:45]
	v_fma_f64 v[62:63], v[64:65], v[42:43], v[62:63]
	v_add_f64 v[48:49], v[48:49], -v[62:63]
	ds_read2_b64 v[62:65], v1 offset0:10 offset1:11
	s_waitcnt lgkmcnt(0)
	v_mul_f64 v[44:45], v[64:65], v[70:71]
	v_fma_f64 v[44:45], v[62:63], v[42:43], -v[44:45]
	v_mul_f64 v[62:63], v[62:63], v[70:71]
	v_add_f64 v[30:31], v[30:31], -v[44:45]
	v_fma_f64 v[62:63], v[64:65], v[42:43], v[62:63]
	v_add_f64 v[32:33], v[32:33], -v[62:63]
	;; [unrolled: 8-line block ×10, first 2 shown]
	ds_read2_b64 v[62:65], v1 offset0:28 offset1:29
	s_waitcnt lgkmcnt(0)
	v_mul_f64 v[44:45], v[64:65], v[70:71]
	v_fma_f64 v[44:45], v[62:63], v[42:43], -v[44:45]
	v_mul_f64 v[62:63], v[62:63], v[70:71]
	v_add_f64 v[2:3], v[2:3], -v[44:45]
	v_fma_f64 v[62:63], v[64:65], v[42:43], v[62:63]
	v_mov_b32_e32 v44, v70
	v_mov_b32_e32 v45, v71
	v_add_f64 v[4:5], v[4:5], -v[62:63]
.LBB28_83:
	s_or_b32 exec_lo, exec_lo, s0
	v_lshl_add_u32 v62, v76, 4, v1
	s_barrier
	buffer_gl0_inv
	v_mov_b32_e32 v70, 4
	ds_write2_b64 v62, v[46:47], v[48:49] offset1:1
	s_waitcnt lgkmcnt(0)
	s_barrier
	buffer_gl0_inv
	ds_read2_b64 v[62:65], v1 offset0:8 offset1:9
	s_cmp_lt_i32 s18, 6
	s_cbranch_scc1 .LBB28_86
; %bb.84:
	v_mov_b32_e32 v70, 4
	v_add3_u32 v71, v72, 0, 0x50
	s_mov_b32 s1, 5
	s_inst_prefetch 0x1
	.p2align	6
.LBB28_85:                              ; =>This Inner Loop Header: Depth=1
	s_waitcnt lgkmcnt(0)
	v_cmp_gt_f64_e32 vcc_lo, 0, v[64:65]
	v_cmp_gt_f64_e64 s0, 0, v[62:63]
	ds_read2_b64 v[77:80], v71 offset1:1
	v_xor_b32_e32 v82, 0x80000000, v63
	v_xor_b32_e32 v84, 0x80000000, v65
	v_mov_b32_e32 v81, v62
	v_mov_b32_e32 v83, v64
	v_add_nc_u32_e32 v71, 16, v71
	s_waitcnt lgkmcnt(0)
	v_xor_b32_e32 v86, 0x80000000, v80
	v_cndmask_b32_e64 v82, v63, v82, s0
	v_cndmask_b32_e32 v84, v65, v84, vcc_lo
	v_cmp_gt_f64_e32 vcc_lo, 0, v[79:80]
	v_cmp_gt_f64_e64 s0, 0, v[77:78]
	v_mov_b32_e32 v85, v79
	v_add_f64 v[81:82], v[81:82], v[83:84]
	v_xor_b32_e32 v84, 0x80000000, v78
	v_mov_b32_e32 v83, v77
	v_cndmask_b32_e32 v86, v80, v86, vcc_lo
	v_cndmask_b32_e64 v84, v78, v84, s0
	v_add_f64 v[83:84], v[83:84], v[85:86]
	v_cmp_lt_f64_e32 vcc_lo, v[81:82], v[83:84]
	v_cndmask_b32_e32 v63, v63, v78, vcc_lo
	v_cndmask_b32_e32 v62, v62, v77, vcc_lo
	;; [unrolled: 1-line block ×4, first 2 shown]
	v_cndmask_b32_e64 v70, v70, s1, vcc_lo
	s_add_i32 s1, s1, 1
	s_cmp_lg_u32 s18, s1
	s_cbranch_scc1 .LBB28_85
.LBB28_86:
	s_inst_prefetch 0x2
	s_waitcnt lgkmcnt(0)
	v_cmp_eq_f64_e32 vcc_lo, 0, v[62:63]
	v_cmp_eq_f64_e64 s0, 0, v[64:65]
	s_and_b32 s0, vcc_lo, s0
	s_and_saveexec_b32 s1, s0
	s_xor_b32 s0, exec_lo, s1
; %bb.87:
	v_cmp_ne_u32_e32 vcc_lo, 0, v75
	v_cndmask_b32_e32 v75, 5, v75, vcc_lo
; %bb.88:
	s_andn2_saveexec_b32 s0, s0
	s_cbranch_execz .LBB28_94
; %bb.89:
	v_cmp_ngt_f64_e64 s1, |v[62:63]|, |v[64:65]|
	s_and_saveexec_b32 s2, s1
	s_xor_b32 s1, exec_lo, s2
	s_cbranch_execz .LBB28_91
; %bb.90:
	v_div_scale_f64 v[77:78], null, v[64:65], v[64:65], v[62:63]
	v_div_scale_f64 v[83:84], vcc_lo, v[62:63], v[64:65], v[62:63]
	v_rcp_f64_e32 v[79:80], v[77:78]
	v_fma_f64 v[81:82], -v[77:78], v[79:80], 1.0
	v_fma_f64 v[79:80], v[79:80], v[81:82], v[79:80]
	v_fma_f64 v[81:82], -v[77:78], v[79:80], 1.0
	v_fma_f64 v[79:80], v[79:80], v[81:82], v[79:80]
	v_mul_f64 v[81:82], v[83:84], v[79:80]
	v_fma_f64 v[77:78], -v[77:78], v[81:82], v[83:84]
	v_div_fmas_f64 v[77:78], v[77:78], v[79:80], v[81:82]
	v_div_fixup_f64 v[77:78], v[77:78], v[64:65], v[62:63]
	v_fma_f64 v[62:63], v[62:63], v[77:78], v[64:65]
	v_div_scale_f64 v[64:65], null, v[62:63], v[62:63], 1.0
	v_rcp_f64_e32 v[79:80], v[64:65]
	v_fma_f64 v[81:82], -v[64:65], v[79:80], 1.0
	v_fma_f64 v[79:80], v[79:80], v[81:82], v[79:80]
	v_fma_f64 v[81:82], -v[64:65], v[79:80], 1.0
	v_fma_f64 v[79:80], v[79:80], v[81:82], v[79:80]
	v_div_scale_f64 v[81:82], vcc_lo, 1.0, v[62:63], 1.0
	v_mul_f64 v[83:84], v[81:82], v[79:80]
	v_fma_f64 v[64:65], -v[64:65], v[83:84], v[81:82]
	v_div_fmas_f64 v[64:65], v[64:65], v[79:80], v[83:84]
	v_div_fixup_f64 v[64:65], v[64:65], v[62:63], 1.0
	v_mul_f64 v[62:63], v[77:78], v[64:65]
	v_xor_b32_e32 v65, 0x80000000, v65
.LBB28_91:
	s_andn2_saveexec_b32 s1, s1
	s_cbranch_execz .LBB28_93
; %bb.92:
	v_div_scale_f64 v[77:78], null, v[62:63], v[62:63], v[64:65]
	v_div_scale_f64 v[83:84], vcc_lo, v[64:65], v[62:63], v[64:65]
	v_rcp_f64_e32 v[79:80], v[77:78]
	v_fma_f64 v[81:82], -v[77:78], v[79:80], 1.0
	v_fma_f64 v[79:80], v[79:80], v[81:82], v[79:80]
	v_fma_f64 v[81:82], -v[77:78], v[79:80], 1.0
	v_fma_f64 v[79:80], v[79:80], v[81:82], v[79:80]
	v_mul_f64 v[81:82], v[83:84], v[79:80]
	v_fma_f64 v[77:78], -v[77:78], v[81:82], v[83:84]
	v_div_fmas_f64 v[77:78], v[77:78], v[79:80], v[81:82]
	v_div_fixup_f64 v[77:78], v[77:78], v[62:63], v[64:65]
	v_fma_f64 v[62:63], v[64:65], v[77:78], v[62:63]
	v_div_scale_f64 v[64:65], null, v[62:63], v[62:63], 1.0
	v_rcp_f64_e32 v[79:80], v[64:65]
	v_fma_f64 v[81:82], -v[64:65], v[79:80], 1.0
	v_fma_f64 v[79:80], v[79:80], v[81:82], v[79:80]
	v_fma_f64 v[81:82], -v[64:65], v[79:80], 1.0
	v_fma_f64 v[79:80], v[79:80], v[81:82], v[79:80]
	v_div_scale_f64 v[81:82], vcc_lo, 1.0, v[62:63], 1.0
	v_mul_f64 v[83:84], v[81:82], v[79:80]
	v_fma_f64 v[64:65], -v[64:65], v[83:84], v[81:82]
	v_div_fmas_f64 v[64:65], v[64:65], v[79:80], v[83:84]
	v_div_fixup_f64 v[62:63], v[64:65], v[62:63], 1.0
	v_mul_f64 v[64:65], v[77:78], -v[62:63]
.LBB28_93:
	s_or_b32 exec_lo, exec_lo, s1
.LBB28_94:
	s_or_b32 exec_lo, exec_lo, s0
	s_mov_b32 s0, exec_lo
	v_cmpx_ne_u32_e64 v76, v70
	s_xor_b32 s0, exec_lo, s0
	s_cbranch_execz .LBB28_100
; %bb.95:
	s_mov_b32 s1, exec_lo
	v_cmpx_eq_u32_e32 4, v76
	s_cbranch_execz .LBB28_99
; %bb.96:
	v_cmp_ne_u32_e32 vcc_lo, 4, v70
	s_xor_b32 s2, s16, -1
	s_and_b32 s3, s2, vcc_lo
	s_and_saveexec_b32 s2, s3
	s_cbranch_execz .LBB28_98
; %bb.97:
	v_ashrrev_i32_e32 v71, 31, v70
	v_lshlrev_b64 v[76:77], 2, v[70:71]
	v_add_co_u32 v76, vcc_lo, v68, v76
	v_add_co_ci_u32_e64 v77, null, v69, v77, vcc_lo
	s_clause 0x1
	global_load_dword v0, v[76:77], off
	global_load_dword v71, v[68:69], off offset:16
	s_waitcnt vmcnt(1)
	global_store_dword v[68:69], v0, off offset:16
	s_waitcnt vmcnt(0)
	global_store_dword v[76:77], v71, off
.LBB28_98:
	s_or_b32 exec_lo, exec_lo, s2
	v_mov_b32_e32 v76, v70
	v_mov_b32_e32 v0, v70
.LBB28_99:
	s_or_b32 exec_lo, exec_lo, s1
.LBB28_100:
	s_andn2_saveexec_b32 s0, s0
	s_cbranch_execz .LBB28_102
; %bb.101:
	v_mov_b32_e32 v76, 4
	ds_write2_b64 v1, v[30:31], v[32:33] offset0:10 offset1:11
	ds_write2_b64 v1, v[38:39], v[40:41] offset0:12 offset1:13
	;; [unrolled: 1-line block ×10, first 2 shown]
.LBB28_102:
	s_or_b32 exec_lo, exec_lo, s0
	s_mov_b32 s0, exec_lo
	s_waitcnt lgkmcnt(0)
	s_waitcnt_vscnt null, 0x0
	s_barrier
	buffer_gl0_inv
	v_cmpx_lt_i32_e32 4, v76
	s_cbranch_execz .LBB28_104
; %bb.103:
	v_mul_f64 v[70:71], v[62:63], v[48:49]
	v_mul_f64 v[48:49], v[64:65], v[48:49]
	v_fma_f64 v[70:71], v[64:65], v[46:47], v[70:71]
	v_fma_f64 v[46:47], v[62:63], v[46:47], -v[48:49]
	ds_read2_b64 v[62:65], v1 offset0:10 offset1:11
	s_waitcnt lgkmcnt(0)
	v_mul_f64 v[48:49], v[64:65], v[70:71]
	v_fma_f64 v[48:49], v[62:63], v[46:47], -v[48:49]
	v_mul_f64 v[62:63], v[62:63], v[70:71]
	v_add_f64 v[30:31], v[30:31], -v[48:49]
	v_fma_f64 v[62:63], v[64:65], v[46:47], v[62:63]
	v_add_f64 v[32:33], v[32:33], -v[62:63]
	ds_read2_b64 v[62:65], v1 offset0:12 offset1:13
	s_waitcnt lgkmcnt(0)
	v_mul_f64 v[48:49], v[64:65], v[70:71]
	v_fma_f64 v[48:49], v[62:63], v[46:47], -v[48:49]
	v_mul_f64 v[62:63], v[62:63], v[70:71]
	v_add_f64 v[38:39], v[38:39], -v[48:49]
	v_fma_f64 v[62:63], v[64:65], v[46:47], v[62:63]
	v_add_f64 v[40:41], v[40:41], -v[62:63]
	;; [unrolled: 8-line block ×9, first 2 shown]
	ds_read2_b64 v[62:65], v1 offset0:28 offset1:29
	s_waitcnt lgkmcnt(0)
	v_mul_f64 v[48:49], v[64:65], v[70:71]
	v_fma_f64 v[48:49], v[62:63], v[46:47], -v[48:49]
	v_mul_f64 v[62:63], v[62:63], v[70:71]
	v_add_f64 v[2:3], v[2:3], -v[48:49]
	v_fma_f64 v[62:63], v[64:65], v[46:47], v[62:63]
	v_mov_b32_e32 v48, v70
	v_mov_b32_e32 v49, v71
	v_add_f64 v[4:5], v[4:5], -v[62:63]
.LBB28_104:
	s_or_b32 exec_lo, exec_lo, s0
	v_lshl_add_u32 v62, v76, 4, v1
	s_barrier
	buffer_gl0_inv
	v_mov_b32_e32 v70, 5
	ds_write2_b64 v62, v[30:31], v[32:33] offset1:1
	s_waitcnt lgkmcnt(0)
	s_barrier
	buffer_gl0_inv
	ds_read2_b64 v[62:65], v1 offset0:10 offset1:11
	s_cmp_lt_i32 s18, 7
	s_cbranch_scc1 .LBB28_107
; %bb.105:
	v_add3_u32 v71, v72, 0, 0x60
	v_mov_b32_e32 v70, 5
	s_mov_b32 s1, 6
	s_inst_prefetch 0x1
	.p2align	6
.LBB28_106:                             ; =>This Inner Loop Header: Depth=1
	s_waitcnt lgkmcnt(0)
	v_cmp_gt_f64_e32 vcc_lo, 0, v[64:65]
	v_cmp_gt_f64_e64 s0, 0, v[62:63]
	ds_read2_b64 v[77:80], v71 offset1:1
	v_xor_b32_e32 v82, 0x80000000, v63
	v_xor_b32_e32 v84, 0x80000000, v65
	v_mov_b32_e32 v81, v62
	v_mov_b32_e32 v83, v64
	v_add_nc_u32_e32 v71, 16, v71
	s_waitcnt lgkmcnt(0)
	v_xor_b32_e32 v86, 0x80000000, v80
	v_cndmask_b32_e64 v82, v63, v82, s0
	v_cndmask_b32_e32 v84, v65, v84, vcc_lo
	v_cmp_gt_f64_e32 vcc_lo, 0, v[79:80]
	v_cmp_gt_f64_e64 s0, 0, v[77:78]
	v_mov_b32_e32 v85, v79
	v_add_f64 v[81:82], v[81:82], v[83:84]
	v_xor_b32_e32 v84, 0x80000000, v78
	v_mov_b32_e32 v83, v77
	v_cndmask_b32_e32 v86, v80, v86, vcc_lo
	v_cndmask_b32_e64 v84, v78, v84, s0
	v_add_f64 v[83:84], v[83:84], v[85:86]
	v_cmp_lt_f64_e32 vcc_lo, v[81:82], v[83:84]
	v_cndmask_b32_e32 v63, v63, v78, vcc_lo
	v_cndmask_b32_e32 v62, v62, v77, vcc_lo
	;; [unrolled: 1-line block ×4, first 2 shown]
	v_cndmask_b32_e64 v70, v70, s1, vcc_lo
	s_add_i32 s1, s1, 1
	s_cmp_lg_u32 s18, s1
	s_cbranch_scc1 .LBB28_106
.LBB28_107:
	s_inst_prefetch 0x2
	s_waitcnt lgkmcnt(0)
	v_cmp_eq_f64_e32 vcc_lo, 0, v[62:63]
	v_cmp_eq_f64_e64 s0, 0, v[64:65]
	s_and_b32 s0, vcc_lo, s0
	s_and_saveexec_b32 s1, s0
	s_xor_b32 s0, exec_lo, s1
; %bb.108:
	v_cmp_ne_u32_e32 vcc_lo, 0, v75
	v_cndmask_b32_e32 v75, 6, v75, vcc_lo
; %bb.109:
	s_andn2_saveexec_b32 s0, s0
	s_cbranch_execz .LBB28_115
; %bb.110:
	v_cmp_ngt_f64_e64 s1, |v[62:63]|, |v[64:65]|
	s_and_saveexec_b32 s2, s1
	s_xor_b32 s1, exec_lo, s2
	s_cbranch_execz .LBB28_112
; %bb.111:
	v_div_scale_f64 v[77:78], null, v[64:65], v[64:65], v[62:63]
	v_div_scale_f64 v[83:84], vcc_lo, v[62:63], v[64:65], v[62:63]
	v_rcp_f64_e32 v[79:80], v[77:78]
	v_fma_f64 v[81:82], -v[77:78], v[79:80], 1.0
	v_fma_f64 v[79:80], v[79:80], v[81:82], v[79:80]
	v_fma_f64 v[81:82], -v[77:78], v[79:80], 1.0
	v_fma_f64 v[79:80], v[79:80], v[81:82], v[79:80]
	v_mul_f64 v[81:82], v[83:84], v[79:80]
	v_fma_f64 v[77:78], -v[77:78], v[81:82], v[83:84]
	v_div_fmas_f64 v[77:78], v[77:78], v[79:80], v[81:82]
	v_div_fixup_f64 v[77:78], v[77:78], v[64:65], v[62:63]
	v_fma_f64 v[62:63], v[62:63], v[77:78], v[64:65]
	v_div_scale_f64 v[64:65], null, v[62:63], v[62:63], 1.0
	v_rcp_f64_e32 v[79:80], v[64:65]
	v_fma_f64 v[81:82], -v[64:65], v[79:80], 1.0
	v_fma_f64 v[79:80], v[79:80], v[81:82], v[79:80]
	v_fma_f64 v[81:82], -v[64:65], v[79:80], 1.0
	v_fma_f64 v[79:80], v[79:80], v[81:82], v[79:80]
	v_div_scale_f64 v[81:82], vcc_lo, 1.0, v[62:63], 1.0
	v_mul_f64 v[83:84], v[81:82], v[79:80]
	v_fma_f64 v[64:65], -v[64:65], v[83:84], v[81:82]
	v_div_fmas_f64 v[64:65], v[64:65], v[79:80], v[83:84]
	v_div_fixup_f64 v[64:65], v[64:65], v[62:63], 1.0
	v_mul_f64 v[62:63], v[77:78], v[64:65]
	v_xor_b32_e32 v65, 0x80000000, v65
.LBB28_112:
	s_andn2_saveexec_b32 s1, s1
	s_cbranch_execz .LBB28_114
; %bb.113:
	v_div_scale_f64 v[77:78], null, v[62:63], v[62:63], v[64:65]
	v_div_scale_f64 v[83:84], vcc_lo, v[64:65], v[62:63], v[64:65]
	v_rcp_f64_e32 v[79:80], v[77:78]
	v_fma_f64 v[81:82], -v[77:78], v[79:80], 1.0
	v_fma_f64 v[79:80], v[79:80], v[81:82], v[79:80]
	v_fma_f64 v[81:82], -v[77:78], v[79:80], 1.0
	v_fma_f64 v[79:80], v[79:80], v[81:82], v[79:80]
	v_mul_f64 v[81:82], v[83:84], v[79:80]
	v_fma_f64 v[77:78], -v[77:78], v[81:82], v[83:84]
	v_div_fmas_f64 v[77:78], v[77:78], v[79:80], v[81:82]
	v_div_fixup_f64 v[77:78], v[77:78], v[62:63], v[64:65]
	v_fma_f64 v[62:63], v[64:65], v[77:78], v[62:63]
	v_div_scale_f64 v[64:65], null, v[62:63], v[62:63], 1.0
	v_rcp_f64_e32 v[79:80], v[64:65]
	v_fma_f64 v[81:82], -v[64:65], v[79:80], 1.0
	v_fma_f64 v[79:80], v[79:80], v[81:82], v[79:80]
	v_fma_f64 v[81:82], -v[64:65], v[79:80], 1.0
	v_fma_f64 v[79:80], v[79:80], v[81:82], v[79:80]
	v_div_scale_f64 v[81:82], vcc_lo, 1.0, v[62:63], 1.0
	v_mul_f64 v[83:84], v[81:82], v[79:80]
	v_fma_f64 v[64:65], -v[64:65], v[83:84], v[81:82]
	v_div_fmas_f64 v[64:65], v[64:65], v[79:80], v[83:84]
	v_div_fixup_f64 v[62:63], v[64:65], v[62:63], 1.0
	v_mul_f64 v[64:65], v[77:78], -v[62:63]
.LBB28_114:
	s_or_b32 exec_lo, exec_lo, s1
.LBB28_115:
	s_or_b32 exec_lo, exec_lo, s0
	s_mov_b32 s0, exec_lo
	v_cmpx_ne_u32_e64 v76, v70
	s_xor_b32 s0, exec_lo, s0
	s_cbranch_execz .LBB28_121
; %bb.116:
	s_mov_b32 s1, exec_lo
	v_cmpx_eq_u32_e32 5, v76
	s_cbranch_execz .LBB28_120
; %bb.117:
	v_cmp_ne_u32_e32 vcc_lo, 5, v70
	s_xor_b32 s2, s16, -1
	s_and_b32 s3, s2, vcc_lo
	s_and_saveexec_b32 s2, s3
	s_cbranch_execz .LBB28_119
; %bb.118:
	v_ashrrev_i32_e32 v71, 31, v70
	v_lshlrev_b64 v[76:77], 2, v[70:71]
	v_add_co_u32 v76, vcc_lo, v68, v76
	v_add_co_ci_u32_e64 v77, null, v69, v77, vcc_lo
	s_clause 0x1
	global_load_dword v0, v[76:77], off
	global_load_dword v71, v[68:69], off offset:20
	s_waitcnt vmcnt(1)
	global_store_dword v[68:69], v0, off offset:20
	s_waitcnt vmcnt(0)
	global_store_dword v[76:77], v71, off
.LBB28_119:
	s_or_b32 exec_lo, exec_lo, s2
	v_mov_b32_e32 v76, v70
	v_mov_b32_e32 v0, v70
.LBB28_120:
	s_or_b32 exec_lo, exec_lo, s1
.LBB28_121:
	s_andn2_saveexec_b32 s0, s0
	s_cbranch_execz .LBB28_123
; %bb.122:
	v_mov_b32_e32 v76, 5
	ds_write2_b64 v1, v[38:39], v[40:41] offset0:12 offset1:13
	ds_write2_b64 v1, v[34:35], v[36:37] offset0:14 offset1:15
	;; [unrolled: 1-line block ×9, first 2 shown]
.LBB28_123:
	s_or_b32 exec_lo, exec_lo, s0
	s_mov_b32 s0, exec_lo
	s_waitcnt lgkmcnt(0)
	s_waitcnt_vscnt null, 0x0
	s_barrier
	buffer_gl0_inv
	v_cmpx_lt_i32_e32 5, v76
	s_cbranch_execz .LBB28_125
; %bb.124:
	v_mul_f64 v[70:71], v[62:63], v[32:33]
	v_mul_f64 v[32:33], v[64:65], v[32:33]
	v_fma_f64 v[70:71], v[64:65], v[30:31], v[70:71]
	v_fma_f64 v[30:31], v[62:63], v[30:31], -v[32:33]
	ds_read2_b64 v[62:65], v1 offset0:12 offset1:13
	s_waitcnt lgkmcnt(0)
	v_mul_f64 v[32:33], v[64:65], v[70:71]
	v_fma_f64 v[32:33], v[62:63], v[30:31], -v[32:33]
	v_mul_f64 v[62:63], v[62:63], v[70:71]
	v_add_f64 v[38:39], v[38:39], -v[32:33]
	v_fma_f64 v[62:63], v[64:65], v[30:31], v[62:63]
	v_add_f64 v[40:41], v[40:41], -v[62:63]
	ds_read2_b64 v[62:65], v1 offset0:14 offset1:15
	s_waitcnt lgkmcnt(0)
	v_mul_f64 v[32:33], v[64:65], v[70:71]
	v_fma_f64 v[32:33], v[62:63], v[30:31], -v[32:33]
	v_mul_f64 v[62:63], v[62:63], v[70:71]
	v_add_f64 v[34:35], v[34:35], -v[32:33]
	v_fma_f64 v[62:63], v[64:65], v[30:31], v[62:63]
	v_add_f64 v[36:37], v[36:37], -v[62:63]
	;; [unrolled: 8-line block ×8, first 2 shown]
	ds_read2_b64 v[62:65], v1 offset0:28 offset1:29
	s_waitcnt lgkmcnt(0)
	v_mul_f64 v[32:33], v[64:65], v[70:71]
	v_fma_f64 v[32:33], v[62:63], v[30:31], -v[32:33]
	v_mul_f64 v[62:63], v[62:63], v[70:71]
	v_add_f64 v[2:3], v[2:3], -v[32:33]
	v_fma_f64 v[62:63], v[64:65], v[30:31], v[62:63]
	v_mov_b32_e32 v32, v70
	v_mov_b32_e32 v33, v71
	v_add_f64 v[4:5], v[4:5], -v[62:63]
.LBB28_125:
	s_or_b32 exec_lo, exec_lo, s0
	v_lshl_add_u32 v62, v76, 4, v1
	s_barrier
	buffer_gl0_inv
	v_mov_b32_e32 v70, 6
	ds_write2_b64 v62, v[38:39], v[40:41] offset1:1
	s_waitcnt lgkmcnt(0)
	s_barrier
	buffer_gl0_inv
	ds_read2_b64 v[62:65], v1 offset0:12 offset1:13
	s_cmp_lt_i32 s18, 8
	s_cbranch_scc1 .LBB28_128
; %bb.126:
	v_add3_u32 v71, v72, 0, 0x70
	v_mov_b32_e32 v70, 6
	s_mov_b32 s1, 7
	s_inst_prefetch 0x1
	.p2align	6
.LBB28_127:                             ; =>This Inner Loop Header: Depth=1
	s_waitcnt lgkmcnt(0)
	v_cmp_gt_f64_e32 vcc_lo, 0, v[64:65]
	v_cmp_gt_f64_e64 s0, 0, v[62:63]
	ds_read2_b64 v[77:80], v71 offset1:1
	v_xor_b32_e32 v82, 0x80000000, v63
	v_xor_b32_e32 v84, 0x80000000, v65
	v_mov_b32_e32 v81, v62
	v_mov_b32_e32 v83, v64
	v_add_nc_u32_e32 v71, 16, v71
	s_waitcnt lgkmcnt(0)
	v_xor_b32_e32 v86, 0x80000000, v80
	v_cndmask_b32_e64 v82, v63, v82, s0
	v_cndmask_b32_e32 v84, v65, v84, vcc_lo
	v_cmp_gt_f64_e32 vcc_lo, 0, v[79:80]
	v_cmp_gt_f64_e64 s0, 0, v[77:78]
	v_mov_b32_e32 v85, v79
	v_add_f64 v[81:82], v[81:82], v[83:84]
	v_xor_b32_e32 v84, 0x80000000, v78
	v_mov_b32_e32 v83, v77
	v_cndmask_b32_e32 v86, v80, v86, vcc_lo
	v_cndmask_b32_e64 v84, v78, v84, s0
	v_add_f64 v[83:84], v[83:84], v[85:86]
	v_cmp_lt_f64_e32 vcc_lo, v[81:82], v[83:84]
	v_cndmask_b32_e32 v63, v63, v78, vcc_lo
	v_cndmask_b32_e32 v62, v62, v77, vcc_lo
	;; [unrolled: 1-line block ×4, first 2 shown]
	v_cndmask_b32_e64 v70, v70, s1, vcc_lo
	s_add_i32 s1, s1, 1
	s_cmp_lg_u32 s18, s1
	s_cbranch_scc1 .LBB28_127
.LBB28_128:
	s_inst_prefetch 0x2
	s_waitcnt lgkmcnt(0)
	v_cmp_eq_f64_e32 vcc_lo, 0, v[62:63]
	v_cmp_eq_f64_e64 s0, 0, v[64:65]
	s_and_b32 s0, vcc_lo, s0
	s_and_saveexec_b32 s1, s0
	s_xor_b32 s0, exec_lo, s1
; %bb.129:
	v_cmp_ne_u32_e32 vcc_lo, 0, v75
	v_cndmask_b32_e32 v75, 7, v75, vcc_lo
; %bb.130:
	s_andn2_saveexec_b32 s0, s0
	s_cbranch_execz .LBB28_136
; %bb.131:
	v_cmp_ngt_f64_e64 s1, |v[62:63]|, |v[64:65]|
	s_and_saveexec_b32 s2, s1
	s_xor_b32 s1, exec_lo, s2
	s_cbranch_execz .LBB28_133
; %bb.132:
	v_div_scale_f64 v[77:78], null, v[64:65], v[64:65], v[62:63]
	v_div_scale_f64 v[83:84], vcc_lo, v[62:63], v[64:65], v[62:63]
	v_rcp_f64_e32 v[79:80], v[77:78]
	v_fma_f64 v[81:82], -v[77:78], v[79:80], 1.0
	v_fma_f64 v[79:80], v[79:80], v[81:82], v[79:80]
	v_fma_f64 v[81:82], -v[77:78], v[79:80], 1.0
	v_fma_f64 v[79:80], v[79:80], v[81:82], v[79:80]
	v_mul_f64 v[81:82], v[83:84], v[79:80]
	v_fma_f64 v[77:78], -v[77:78], v[81:82], v[83:84]
	v_div_fmas_f64 v[77:78], v[77:78], v[79:80], v[81:82]
	v_div_fixup_f64 v[77:78], v[77:78], v[64:65], v[62:63]
	v_fma_f64 v[62:63], v[62:63], v[77:78], v[64:65]
	v_div_scale_f64 v[64:65], null, v[62:63], v[62:63], 1.0
	v_rcp_f64_e32 v[79:80], v[64:65]
	v_fma_f64 v[81:82], -v[64:65], v[79:80], 1.0
	v_fma_f64 v[79:80], v[79:80], v[81:82], v[79:80]
	v_fma_f64 v[81:82], -v[64:65], v[79:80], 1.0
	v_fma_f64 v[79:80], v[79:80], v[81:82], v[79:80]
	v_div_scale_f64 v[81:82], vcc_lo, 1.0, v[62:63], 1.0
	v_mul_f64 v[83:84], v[81:82], v[79:80]
	v_fma_f64 v[64:65], -v[64:65], v[83:84], v[81:82]
	v_div_fmas_f64 v[64:65], v[64:65], v[79:80], v[83:84]
	v_div_fixup_f64 v[64:65], v[64:65], v[62:63], 1.0
	v_mul_f64 v[62:63], v[77:78], v[64:65]
	v_xor_b32_e32 v65, 0x80000000, v65
.LBB28_133:
	s_andn2_saveexec_b32 s1, s1
	s_cbranch_execz .LBB28_135
; %bb.134:
	v_div_scale_f64 v[77:78], null, v[62:63], v[62:63], v[64:65]
	v_div_scale_f64 v[83:84], vcc_lo, v[64:65], v[62:63], v[64:65]
	v_rcp_f64_e32 v[79:80], v[77:78]
	v_fma_f64 v[81:82], -v[77:78], v[79:80], 1.0
	v_fma_f64 v[79:80], v[79:80], v[81:82], v[79:80]
	v_fma_f64 v[81:82], -v[77:78], v[79:80], 1.0
	v_fma_f64 v[79:80], v[79:80], v[81:82], v[79:80]
	v_mul_f64 v[81:82], v[83:84], v[79:80]
	v_fma_f64 v[77:78], -v[77:78], v[81:82], v[83:84]
	v_div_fmas_f64 v[77:78], v[77:78], v[79:80], v[81:82]
	v_div_fixup_f64 v[77:78], v[77:78], v[62:63], v[64:65]
	v_fma_f64 v[62:63], v[64:65], v[77:78], v[62:63]
	v_div_scale_f64 v[64:65], null, v[62:63], v[62:63], 1.0
	v_rcp_f64_e32 v[79:80], v[64:65]
	v_fma_f64 v[81:82], -v[64:65], v[79:80], 1.0
	v_fma_f64 v[79:80], v[79:80], v[81:82], v[79:80]
	v_fma_f64 v[81:82], -v[64:65], v[79:80], 1.0
	v_fma_f64 v[79:80], v[79:80], v[81:82], v[79:80]
	v_div_scale_f64 v[81:82], vcc_lo, 1.0, v[62:63], 1.0
	v_mul_f64 v[83:84], v[81:82], v[79:80]
	v_fma_f64 v[64:65], -v[64:65], v[83:84], v[81:82]
	v_div_fmas_f64 v[64:65], v[64:65], v[79:80], v[83:84]
	v_div_fixup_f64 v[62:63], v[64:65], v[62:63], 1.0
	v_mul_f64 v[64:65], v[77:78], -v[62:63]
.LBB28_135:
	s_or_b32 exec_lo, exec_lo, s1
.LBB28_136:
	s_or_b32 exec_lo, exec_lo, s0
	s_mov_b32 s0, exec_lo
	v_cmpx_ne_u32_e64 v76, v70
	s_xor_b32 s0, exec_lo, s0
	s_cbranch_execz .LBB28_142
; %bb.137:
	s_mov_b32 s1, exec_lo
	v_cmpx_eq_u32_e32 6, v76
	s_cbranch_execz .LBB28_141
; %bb.138:
	v_cmp_ne_u32_e32 vcc_lo, 6, v70
	s_xor_b32 s2, s16, -1
	s_and_b32 s3, s2, vcc_lo
	s_and_saveexec_b32 s2, s3
	s_cbranch_execz .LBB28_140
; %bb.139:
	v_ashrrev_i32_e32 v71, 31, v70
	v_lshlrev_b64 v[76:77], 2, v[70:71]
	v_add_co_u32 v76, vcc_lo, v68, v76
	v_add_co_ci_u32_e64 v77, null, v69, v77, vcc_lo
	s_clause 0x1
	global_load_dword v0, v[76:77], off
	global_load_dword v71, v[68:69], off offset:24
	s_waitcnt vmcnt(1)
	global_store_dword v[68:69], v0, off offset:24
	s_waitcnt vmcnt(0)
	global_store_dword v[76:77], v71, off
.LBB28_140:
	s_or_b32 exec_lo, exec_lo, s2
	v_mov_b32_e32 v76, v70
	v_mov_b32_e32 v0, v70
.LBB28_141:
	s_or_b32 exec_lo, exec_lo, s1
.LBB28_142:
	s_andn2_saveexec_b32 s0, s0
	s_cbranch_execz .LBB28_144
; %bb.143:
	v_mov_b32_e32 v76, 6
	ds_write2_b64 v1, v[34:35], v[36:37] offset0:14 offset1:15
	ds_write2_b64 v1, v[26:27], v[28:29] offset0:16 offset1:17
	;; [unrolled: 1-line block ×8, first 2 shown]
.LBB28_144:
	s_or_b32 exec_lo, exec_lo, s0
	s_mov_b32 s0, exec_lo
	s_waitcnt lgkmcnt(0)
	s_waitcnt_vscnt null, 0x0
	s_barrier
	buffer_gl0_inv
	v_cmpx_lt_i32_e32 6, v76
	s_cbranch_execz .LBB28_146
; %bb.145:
	v_mul_f64 v[70:71], v[62:63], v[40:41]
	v_mul_f64 v[40:41], v[64:65], v[40:41]
	v_fma_f64 v[70:71], v[64:65], v[38:39], v[70:71]
	v_fma_f64 v[38:39], v[62:63], v[38:39], -v[40:41]
	ds_read2_b64 v[62:65], v1 offset0:14 offset1:15
	s_waitcnt lgkmcnt(0)
	v_mul_f64 v[40:41], v[64:65], v[70:71]
	v_fma_f64 v[40:41], v[62:63], v[38:39], -v[40:41]
	v_mul_f64 v[62:63], v[62:63], v[70:71]
	v_add_f64 v[34:35], v[34:35], -v[40:41]
	v_fma_f64 v[62:63], v[64:65], v[38:39], v[62:63]
	v_add_f64 v[36:37], v[36:37], -v[62:63]
	ds_read2_b64 v[62:65], v1 offset0:16 offset1:17
	s_waitcnt lgkmcnt(0)
	v_mul_f64 v[40:41], v[64:65], v[70:71]
	v_fma_f64 v[40:41], v[62:63], v[38:39], -v[40:41]
	v_mul_f64 v[62:63], v[62:63], v[70:71]
	v_add_f64 v[26:27], v[26:27], -v[40:41]
	v_fma_f64 v[62:63], v[64:65], v[38:39], v[62:63]
	v_add_f64 v[28:29], v[28:29], -v[62:63]
	;; [unrolled: 8-line block ×7, first 2 shown]
	ds_read2_b64 v[62:65], v1 offset0:28 offset1:29
	s_waitcnt lgkmcnt(0)
	v_mul_f64 v[40:41], v[64:65], v[70:71]
	v_fma_f64 v[40:41], v[62:63], v[38:39], -v[40:41]
	v_mul_f64 v[62:63], v[62:63], v[70:71]
	v_add_f64 v[2:3], v[2:3], -v[40:41]
	v_fma_f64 v[62:63], v[64:65], v[38:39], v[62:63]
	v_mov_b32_e32 v40, v70
	v_mov_b32_e32 v41, v71
	v_add_f64 v[4:5], v[4:5], -v[62:63]
.LBB28_146:
	s_or_b32 exec_lo, exec_lo, s0
	v_lshl_add_u32 v62, v76, 4, v1
	s_barrier
	buffer_gl0_inv
	v_mov_b32_e32 v70, 7
	ds_write2_b64 v62, v[34:35], v[36:37] offset1:1
	s_waitcnt lgkmcnt(0)
	s_barrier
	buffer_gl0_inv
	ds_read2_b64 v[62:65], v1 offset0:14 offset1:15
	s_cmp_lt_i32 s18, 9
	s_cbranch_scc1 .LBB28_149
; %bb.147:
	v_add3_u32 v71, v72, 0, 0x80
	v_mov_b32_e32 v70, 7
	s_mov_b32 s1, 8
	s_inst_prefetch 0x1
	.p2align	6
.LBB28_148:                             ; =>This Inner Loop Header: Depth=1
	s_waitcnt lgkmcnt(0)
	v_cmp_gt_f64_e32 vcc_lo, 0, v[64:65]
	v_cmp_gt_f64_e64 s0, 0, v[62:63]
	ds_read2_b64 v[77:80], v71 offset1:1
	v_xor_b32_e32 v82, 0x80000000, v63
	v_xor_b32_e32 v84, 0x80000000, v65
	v_mov_b32_e32 v81, v62
	v_mov_b32_e32 v83, v64
	v_add_nc_u32_e32 v71, 16, v71
	s_waitcnt lgkmcnt(0)
	v_xor_b32_e32 v86, 0x80000000, v80
	v_cndmask_b32_e64 v82, v63, v82, s0
	v_cndmask_b32_e32 v84, v65, v84, vcc_lo
	v_cmp_gt_f64_e32 vcc_lo, 0, v[79:80]
	v_cmp_gt_f64_e64 s0, 0, v[77:78]
	v_mov_b32_e32 v85, v79
	v_add_f64 v[81:82], v[81:82], v[83:84]
	v_xor_b32_e32 v84, 0x80000000, v78
	v_mov_b32_e32 v83, v77
	v_cndmask_b32_e32 v86, v80, v86, vcc_lo
	v_cndmask_b32_e64 v84, v78, v84, s0
	v_add_f64 v[83:84], v[83:84], v[85:86]
	v_cmp_lt_f64_e32 vcc_lo, v[81:82], v[83:84]
	v_cndmask_b32_e32 v63, v63, v78, vcc_lo
	v_cndmask_b32_e32 v62, v62, v77, vcc_lo
	;; [unrolled: 1-line block ×4, first 2 shown]
	v_cndmask_b32_e64 v70, v70, s1, vcc_lo
	s_add_i32 s1, s1, 1
	s_cmp_lg_u32 s18, s1
	s_cbranch_scc1 .LBB28_148
.LBB28_149:
	s_inst_prefetch 0x2
	s_waitcnt lgkmcnt(0)
	v_cmp_eq_f64_e32 vcc_lo, 0, v[62:63]
	v_cmp_eq_f64_e64 s0, 0, v[64:65]
	s_and_b32 s0, vcc_lo, s0
	s_and_saveexec_b32 s1, s0
	s_xor_b32 s0, exec_lo, s1
; %bb.150:
	v_cmp_ne_u32_e32 vcc_lo, 0, v75
	v_cndmask_b32_e32 v75, 8, v75, vcc_lo
; %bb.151:
	s_andn2_saveexec_b32 s0, s0
	s_cbranch_execz .LBB28_157
; %bb.152:
	v_cmp_ngt_f64_e64 s1, |v[62:63]|, |v[64:65]|
	s_and_saveexec_b32 s2, s1
	s_xor_b32 s1, exec_lo, s2
	s_cbranch_execz .LBB28_154
; %bb.153:
	v_div_scale_f64 v[77:78], null, v[64:65], v[64:65], v[62:63]
	v_div_scale_f64 v[83:84], vcc_lo, v[62:63], v[64:65], v[62:63]
	v_rcp_f64_e32 v[79:80], v[77:78]
	v_fma_f64 v[81:82], -v[77:78], v[79:80], 1.0
	v_fma_f64 v[79:80], v[79:80], v[81:82], v[79:80]
	v_fma_f64 v[81:82], -v[77:78], v[79:80], 1.0
	v_fma_f64 v[79:80], v[79:80], v[81:82], v[79:80]
	v_mul_f64 v[81:82], v[83:84], v[79:80]
	v_fma_f64 v[77:78], -v[77:78], v[81:82], v[83:84]
	v_div_fmas_f64 v[77:78], v[77:78], v[79:80], v[81:82]
	v_div_fixup_f64 v[77:78], v[77:78], v[64:65], v[62:63]
	v_fma_f64 v[62:63], v[62:63], v[77:78], v[64:65]
	v_div_scale_f64 v[64:65], null, v[62:63], v[62:63], 1.0
	v_rcp_f64_e32 v[79:80], v[64:65]
	v_fma_f64 v[81:82], -v[64:65], v[79:80], 1.0
	v_fma_f64 v[79:80], v[79:80], v[81:82], v[79:80]
	v_fma_f64 v[81:82], -v[64:65], v[79:80], 1.0
	v_fma_f64 v[79:80], v[79:80], v[81:82], v[79:80]
	v_div_scale_f64 v[81:82], vcc_lo, 1.0, v[62:63], 1.0
	v_mul_f64 v[83:84], v[81:82], v[79:80]
	v_fma_f64 v[64:65], -v[64:65], v[83:84], v[81:82]
	v_div_fmas_f64 v[64:65], v[64:65], v[79:80], v[83:84]
	v_div_fixup_f64 v[64:65], v[64:65], v[62:63], 1.0
	v_mul_f64 v[62:63], v[77:78], v[64:65]
	v_xor_b32_e32 v65, 0x80000000, v65
.LBB28_154:
	s_andn2_saveexec_b32 s1, s1
	s_cbranch_execz .LBB28_156
; %bb.155:
	v_div_scale_f64 v[77:78], null, v[62:63], v[62:63], v[64:65]
	v_div_scale_f64 v[83:84], vcc_lo, v[64:65], v[62:63], v[64:65]
	v_rcp_f64_e32 v[79:80], v[77:78]
	v_fma_f64 v[81:82], -v[77:78], v[79:80], 1.0
	v_fma_f64 v[79:80], v[79:80], v[81:82], v[79:80]
	v_fma_f64 v[81:82], -v[77:78], v[79:80], 1.0
	v_fma_f64 v[79:80], v[79:80], v[81:82], v[79:80]
	v_mul_f64 v[81:82], v[83:84], v[79:80]
	v_fma_f64 v[77:78], -v[77:78], v[81:82], v[83:84]
	v_div_fmas_f64 v[77:78], v[77:78], v[79:80], v[81:82]
	v_div_fixup_f64 v[77:78], v[77:78], v[62:63], v[64:65]
	v_fma_f64 v[62:63], v[64:65], v[77:78], v[62:63]
	v_div_scale_f64 v[64:65], null, v[62:63], v[62:63], 1.0
	v_rcp_f64_e32 v[79:80], v[64:65]
	v_fma_f64 v[81:82], -v[64:65], v[79:80], 1.0
	v_fma_f64 v[79:80], v[79:80], v[81:82], v[79:80]
	v_fma_f64 v[81:82], -v[64:65], v[79:80], 1.0
	v_fma_f64 v[79:80], v[79:80], v[81:82], v[79:80]
	v_div_scale_f64 v[81:82], vcc_lo, 1.0, v[62:63], 1.0
	v_mul_f64 v[83:84], v[81:82], v[79:80]
	v_fma_f64 v[64:65], -v[64:65], v[83:84], v[81:82]
	v_div_fmas_f64 v[64:65], v[64:65], v[79:80], v[83:84]
	v_div_fixup_f64 v[62:63], v[64:65], v[62:63], 1.0
	v_mul_f64 v[64:65], v[77:78], -v[62:63]
.LBB28_156:
	s_or_b32 exec_lo, exec_lo, s1
.LBB28_157:
	s_or_b32 exec_lo, exec_lo, s0
	s_mov_b32 s0, exec_lo
	v_cmpx_ne_u32_e64 v76, v70
	s_xor_b32 s0, exec_lo, s0
	s_cbranch_execz .LBB28_163
; %bb.158:
	s_mov_b32 s1, exec_lo
	v_cmpx_eq_u32_e32 7, v76
	s_cbranch_execz .LBB28_162
; %bb.159:
	v_cmp_ne_u32_e32 vcc_lo, 7, v70
	s_xor_b32 s2, s16, -1
	s_and_b32 s3, s2, vcc_lo
	s_and_saveexec_b32 s2, s3
	s_cbranch_execz .LBB28_161
; %bb.160:
	v_ashrrev_i32_e32 v71, 31, v70
	v_lshlrev_b64 v[76:77], 2, v[70:71]
	v_add_co_u32 v76, vcc_lo, v68, v76
	v_add_co_ci_u32_e64 v77, null, v69, v77, vcc_lo
	s_clause 0x1
	global_load_dword v0, v[76:77], off
	global_load_dword v71, v[68:69], off offset:28
	s_waitcnt vmcnt(1)
	global_store_dword v[68:69], v0, off offset:28
	s_waitcnt vmcnt(0)
	global_store_dword v[76:77], v71, off
.LBB28_161:
	s_or_b32 exec_lo, exec_lo, s2
	v_mov_b32_e32 v76, v70
	v_mov_b32_e32 v0, v70
.LBB28_162:
	s_or_b32 exec_lo, exec_lo, s1
.LBB28_163:
	s_andn2_saveexec_b32 s0, s0
	s_cbranch_execz .LBB28_165
; %bb.164:
	v_mov_b32_e32 v76, 7
	ds_write2_b64 v1, v[26:27], v[28:29] offset0:16 offset1:17
	ds_write2_b64 v1, v[22:23], v[24:25] offset0:18 offset1:19
	;; [unrolled: 1-line block ×7, first 2 shown]
.LBB28_165:
	s_or_b32 exec_lo, exec_lo, s0
	s_mov_b32 s0, exec_lo
	s_waitcnt lgkmcnt(0)
	s_waitcnt_vscnt null, 0x0
	s_barrier
	buffer_gl0_inv
	v_cmpx_lt_i32_e32 7, v76
	s_cbranch_execz .LBB28_167
; %bb.166:
	v_mul_f64 v[70:71], v[62:63], v[36:37]
	v_mul_f64 v[36:37], v[64:65], v[36:37]
	v_fma_f64 v[70:71], v[64:65], v[34:35], v[70:71]
	v_fma_f64 v[34:35], v[62:63], v[34:35], -v[36:37]
	ds_read2_b64 v[62:65], v1 offset0:16 offset1:17
	s_waitcnt lgkmcnt(0)
	v_mul_f64 v[36:37], v[64:65], v[70:71]
	v_fma_f64 v[36:37], v[62:63], v[34:35], -v[36:37]
	v_mul_f64 v[62:63], v[62:63], v[70:71]
	v_add_f64 v[26:27], v[26:27], -v[36:37]
	v_fma_f64 v[62:63], v[64:65], v[34:35], v[62:63]
	v_add_f64 v[28:29], v[28:29], -v[62:63]
	ds_read2_b64 v[62:65], v1 offset0:18 offset1:19
	s_waitcnt lgkmcnt(0)
	v_mul_f64 v[36:37], v[64:65], v[70:71]
	v_fma_f64 v[36:37], v[62:63], v[34:35], -v[36:37]
	v_mul_f64 v[62:63], v[62:63], v[70:71]
	v_add_f64 v[22:23], v[22:23], -v[36:37]
	v_fma_f64 v[62:63], v[64:65], v[34:35], v[62:63]
	v_add_f64 v[24:25], v[24:25], -v[62:63]
	ds_read2_b64 v[62:65], v1 offset0:20 offset1:21
	s_waitcnt lgkmcnt(0)
	v_mul_f64 v[36:37], v[64:65], v[70:71]
	v_fma_f64 v[36:37], v[62:63], v[34:35], -v[36:37]
	v_mul_f64 v[62:63], v[62:63], v[70:71]
	v_add_f64 v[18:19], v[18:19], -v[36:37]
	v_fma_f64 v[62:63], v[64:65], v[34:35], v[62:63]
	v_add_f64 v[20:21], v[20:21], -v[62:63]
	ds_read2_b64 v[62:65], v1 offset0:22 offset1:23
	s_waitcnt lgkmcnt(0)
	v_mul_f64 v[36:37], v[64:65], v[70:71]
	v_fma_f64 v[36:37], v[62:63], v[34:35], -v[36:37]
	v_mul_f64 v[62:63], v[62:63], v[70:71]
	v_add_f64 v[14:15], v[14:15], -v[36:37]
	v_fma_f64 v[62:63], v[64:65], v[34:35], v[62:63]
	v_add_f64 v[16:17], v[16:17], -v[62:63]
	ds_read2_b64 v[62:65], v1 offset0:24 offset1:25
	s_waitcnt lgkmcnt(0)
	v_mul_f64 v[36:37], v[64:65], v[70:71]
	v_fma_f64 v[36:37], v[62:63], v[34:35], -v[36:37]
	v_mul_f64 v[62:63], v[62:63], v[70:71]
	v_add_f64 v[10:11], v[10:11], -v[36:37]
	v_fma_f64 v[62:63], v[64:65], v[34:35], v[62:63]
	v_add_f64 v[12:13], v[12:13], -v[62:63]
	ds_read2_b64 v[62:65], v1 offset0:26 offset1:27
	s_waitcnt lgkmcnt(0)
	v_mul_f64 v[36:37], v[64:65], v[70:71]
	v_fma_f64 v[36:37], v[62:63], v[34:35], -v[36:37]
	v_mul_f64 v[62:63], v[62:63], v[70:71]
	v_add_f64 v[6:7], v[6:7], -v[36:37]
	v_fma_f64 v[62:63], v[64:65], v[34:35], v[62:63]
	v_add_f64 v[8:9], v[8:9], -v[62:63]
	ds_read2_b64 v[62:65], v1 offset0:28 offset1:29
	s_waitcnt lgkmcnt(0)
	v_mul_f64 v[36:37], v[64:65], v[70:71]
	v_fma_f64 v[36:37], v[62:63], v[34:35], -v[36:37]
	v_mul_f64 v[62:63], v[62:63], v[70:71]
	v_add_f64 v[2:3], v[2:3], -v[36:37]
	v_fma_f64 v[62:63], v[64:65], v[34:35], v[62:63]
	v_mov_b32_e32 v36, v70
	v_mov_b32_e32 v37, v71
	v_add_f64 v[4:5], v[4:5], -v[62:63]
.LBB28_167:
	s_or_b32 exec_lo, exec_lo, s0
	v_lshl_add_u32 v62, v76, 4, v1
	s_barrier
	buffer_gl0_inv
	v_mov_b32_e32 v70, 8
	ds_write2_b64 v62, v[26:27], v[28:29] offset1:1
	s_waitcnt lgkmcnt(0)
	s_barrier
	buffer_gl0_inv
	ds_read2_b64 v[62:65], v1 offset0:16 offset1:17
	s_cmp_lt_i32 s18, 10
	s_cbranch_scc1 .LBB28_170
; %bb.168:
	v_add3_u32 v71, v72, 0, 0x90
	v_mov_b32_e32 v70, 8
	s_mov_b32 s1, 9
	s_inst_prefetch 0x1
	.p2align	6
.LBB28_169:                             ; =>This Inner Loop Header: Depth=1
	s_waitcnt lgkmcnt(0)
	v_cmp_gt_f64_e32 vcc_lo, 0, v[64:65]
	v_cmp_gt_f64_e64 s0, 0, v[62:63]
	ds_read2_b64 v[77:80], v71 offset1:1
	v_xor_b32_e32 v82, 0x80000000, v63
	v_xor_b32_e32 v84, 0x80000000, v65
	v_mov_b32_e32 v81, v62
	v_mov_b32_e32 v83, v64
	v_add_nc_u32_e32 v71, 16, v71
	s_waitcnt lgkmcnt(0)
	v_xor_b32_e32 v86, 0x80000000, v80
	v_cndmask_b32_e64 v82, v63, v82, s0
	v_cndmask_b32_e32 v84, v65, v84, vcc_lo
	v_cmp_gt_f64_e32 vcc_lo, 0, v[79:80]
	v_cmp_gt_f64_e64 s0, 0, v[77:78]
	v_mov_b32_e32 v85, v79
	v_add_f64 v[81:82], v[81:82], v[83:84]
	v_xor_b32_e32 v84, 0x80000000, v78
	v_mov_b32_e32 v83, v77
	v_cndmask_b32_e32 v86, v80, v86, vcc_lo
	v_cndmask_b32_e64 v84, v78, v84, s0
	v_add_f64 v[83:84], v[83:84], v[85:86]
	v_cmp_lt_f64_e32 vcc_lo, v[81:82], v[83:84]
	v_cndmask_b32_e32 v63, v63, v78, vcc_lo
	v_cndmask_b32_e32 v62, v62, v77, vcc_lo
	;; [unrolled: 1-line block ×4, first 2 shown]
	v_cndmask_b32_e64 v70, v70, s1, vcc_lo
	s_add_i32 s1, s1, 1
	s_cmp_lg_u32 s18, s1
	s_cbranch_scc1 .LBB28_169
.LBB28_170:
	s_inst_prefetch 0x2
	s_waitcnt lgkmcnt(0)
	v_cmp_eq_f64_e32 vcc_lo, 0, v[62:63]
	v_cmp_eq_f64_e64 s0, 0, v[64:65]
	s_and_b32 s0, vcc_lo, s0
	s_and_saveexec_b32 s1, s0
	s_xor_b32 s0, exec_lo, s1
; %bb.171:
	v_cmp_ne_u32_e32 vcc_lo, 0, v75
	v_cndmask_b32_e32 v75, 9, v75, vcc_lo
; %bb.172:
	s_andn2_saveexec_b32 s0, s0
	s_cbranch_execz .LBB28_178
; %bb.173:
	v_cmp_ngt_f64_e64 s1, |v[62:63]|, |v[64:65]|
	s_and_saveexec_b32 s2, s1
	s_xor_b32 s1, exec_lo, s2
	s_cbranch_execz .LBB28_175
; %bb.174:
	v_div_scale_f64 v[77:78], null, v[64:65], v[64:65], v[62:63]
	v_div_scale_f64 v[83:84], vcc_lo, v[62:63], v[64:65], v[62:63]
	v_rcp_f64_e32 v[79:80], v[77:78]
	v_fma_f64 v[81:82], -v[77:78], v[79:80], 1.0
	v_fma_f64 v[79:80], v[79:80], v[81:82], v[79:80]
	v_fma_f64 v[81:82], -v[77:78], v[79:80], 1.0
	v_fma_f64 v[79:80], v[79:80], v[81:82], v[79:80]
	v_mul_f64 v[81:82], v[83:84], v[79:80]
	v_fma_f64 v[77:78], -v[77:78], v[81:82], v[83:84]
	v_div_fmas_f64 v[77:78], v[77:78], v[79:80], v[81:82]
	v_div_fixup_f64 v[77:78], v[77:78], v[64:65], v[62:63]
	v_fma_f64 v[62:63], v[62:63], v[77:78], v[64:65]
	v_div_scale_f64 v[64:65], null, v[62:63], v[62:63], 1.0
	v_rcp_f64_e32 v[79:80], v[64:65]
	v_fma_f64 v[81:82], -v[64:65], v[79:80], 1.0
	v_fma_f64 v[79:80], v[79:80], v[81:82], v[79:80]
	v_fma_f64 v[81:82], -v[64:65], v[79:80], 1.0
	v_fma_f64 v[79:80], v[79:80], v[81:82], v[79:80]
	v_div_scale_f64 v[81:82], vcc_lo, 1.0, v[62:63], 1.0
	v_mul_f64 v[83:84], v[81:82], v[79:80]
	v_fma_f64 v[64:65], -v[64:65], v[83:84], v[81:82]
	v_div_fmas_f64 v[64:65], v[64:65], v[79:80], v[83:84]
	v_div_fixup_f64 v[64:65], v[64:65], v[62:63], 1.0
	v_mul_f64 v[62:63], v[77:78], v[64:65]
	v_xor_b32_e32 v65, 0x80000000, v65
.LBB28_175:
	s_andn2_saveexec_b32 s1, s1
	s_cbranch_execz .LBB28_177
; %bb.176:
	v_div_scale_f64 v[77:78], null, v[62:63], v[62:63], v[64:65]
	v_div_scale_f64 v[83:84], vcc_lo, v[64:65], v[62:63], v[64:65]
	v_rcp_f64_e32 v[79:80], v[77:78]
	v_fma_f64 v[81:82], -v[77:78], v[79:80], 1.0
	v_fma_f64 v[79:80], v[79:80], v[81:82], v[79:80]
	v_fma_f64 v[81:82], -v[77:78], v[79:80], 1.0
	v_fma_f64 v[79:80], v[79:80], v[81:82], v[79:80]
	v_mul_f64 v[81:82], v[83:84], v[79:80]
	v_fma_f64 v[77:78], -v[77:78], v[81:82], v[83:84]
	v_div_fmas_f64 v[77:78], v[77:78], v[79:80], v[81:82]
	v_div_fixup_f64 v[77:78], v[77:78], v[62:63], v[64:65]
	v_fma_f64 v[62:63], v[64:65], v[77:78], v[62:63]
	v_div_scale_f64 v[64:65], null, v[62:63], v[62:63], 1.0
	v_rcp_f64_e32 v[79:80], v[64:65]
	v_fma_f64 v[81:82], -v[64:65], v[79:80], 1.0
	v_fma_f64 v[79:80], v[79:80], v[81:82], v[79:80]
	v_fma_f64 v[81:82], -v[64:65], v[79:80], 1.0
	v_fma_f64 v[79:80], v[79:80], v[81:82], v[79:80]
	v_div_scale_f64 v[81:82], vcc_lo, 1.0, v[62:63], 1.0
	v_mul_f64 v[83:84], v[81:82], v[79:80]
	v_fma_f64 v[64:65], -v[64:65], v[83:84], v[81:82]
	v_div_fmas_f64 v[64:65], v[64:65], v[79:80], v[83:84]
	v_div_fixup_f64 v[62:63], v[64:65], v[62:63], 1.0
	v_mul_f64 v[64:65], v[77:78], -v[62:63]
.LBB28_177:
	s_or_b32 exec_lo, exec_lo, s1
.LBB28_178:
	s_or_b32 exec_lo, exec_lo, s0
	s_mov_b32 s0, exec_lo
	v_cmpx_ne_u32_e64 v76, v70
	s_xor_b32 s0, exec_lo, s0
	s_cbranch_execz .LBB28_184
; %bb.179:
	s_mov_b32 s1, exec_lo
	v_cmpx_eq_u32_e32 8, v76
	s_cbranch_execz .LBB28_183
; %bb.180:
	v_cmp_ne_u32_e32 vcc_lo, 8, v70
	s_xor_b32 s2, s16, -1
	s_and_b32 s3, s2, vcc_lo
	s_and_saveexec_b32 s2, s3
	s_cbranch_execz .LBB28_182
; %bb.181:
	v_ashrrev_i32_e32 v71, 31, v70
	v_lshlrev_b64 v[76:77], 2, v[70:71]
	v_add_co_u32 v76, vcc_lo, v68, v76
	v_add_co_ci_u32_e64 v77, null, v69, v77, vcc_lo
	s_clause 0x1
	global_load_dword v0, v[76:77], off
	global_load_dword v71, v[68:69], off offset:32
	s_waitcnt vmcnt(1)
	global_store_dword v[68:69], v0, off offset:32
	s_waitcnt vmcnt(0)
	global_store_dword v[76:77], v71, off
.LBB28_182:
	s_or_b32 exec_lo, exec_lo, s2
	v_mov_b32_e32 v76, v70
	v_mov_b32_e32 v0, v70
.LBB28_183:
	s_or_b32 exec_lo, exec_lo, s1
.LBB28_184:
	s_andn2_saveexec_b32 s0, s0
	s_cbranch_execz .LBB28_186
; %bb.185:
	v_mov_b32_e32 v76, 8
	ds_write2_b64 v1, v[22:23], v[24:25] offset0:18 offset1:19
	ds_write2_b64 v1, v[18:19], v[20:21] offset0:20 offset1:21
	;; [unrolled: 1-line block ×6, first 2 shown]
.LBB28_186:
	s_or_b32 exec_lo, exec_lo, s0
	s_mov_b32 s0, exec_lo
	s_waitcnt lgkmcnt(0)
	s_waitcnt_vscnt null, 0x0
	s_barrier
	buffer_gl0_inv
	v_cmpx_lt_i32_e32 8, v76
	s_cbranch_execz .LBB28_188
; %bb.187:
	v_mul_f64 v[70:71], v[62:63], v[28:29]
	v_mul_f64 v[28:29], v[64:65], v[28:29]
	v_fma_f64 v[70:71], v[64:65], v[26:27], v[70:71]
	v_fma_f64 v[26:27], v[62:63], v[26:27], -v[28:29]
	ds_read2_b64 v[62:65], v1 offset0:18 offset1:19
	s_waitcnt lgkmcnt(0)
	v_mul_f64 v[28:29], v[64:65], v[70:71]
	v_fma_f64 v[28:29], v[62:63], v[26:27], -v[28:29]
	v_mul_f64 v[62:63], v[62:63], v[70:71]
	v_add_f64 v[22:23], v[22:23], -v[28:29]
	v_fma_f64 v[62:63], v[64:65], v[26:27], v[62:63]
	v_add_f64 v[24:25], v[24:25], -v[62:63]
	ds_read2_b64 v[62:65], v1 offset0:20 offset1:21
	s_waitcnt lgkmcnt(0)
	v_mul_f64 v[28:29], v[64:65], v[70:71]
	v_fma_f64 v[28:29], v[62:63], v[26:27], -v[28:29]
	v_mul_f64 v[62:63], v[62:63], v[70:71]
	v_add_f64 v[18:19], v[18:19], -v[28:29]
	v_fma_f64 v[62:63], v[64:65], v[26:27], v[62:63]
	v_add_f64 v[20:21], v[20:21], -v[62:63]
	;; [unrolled: 8-line block ×5, first 2 shown]
	ds_read2_b64 v[62:65], v1 offset0:28 offset1:29
	s_waitcnt lgkmcnt(0)
	v_mul_f64 v[28:29], v[64:65], v[70:71]
	v_fma_f64 v[28:29], v[62:63], v[26:27], -v[28:29]
	v_mul_f64 v[62:63], v[62:63], v[70:71]
	v_add_f64 v[2:3], v[2:3], -v[28:29]
	v_fma_f64 v[62:63], v[64:65], v[26:27], v[62:63]
	v_mov_b32_e32 v28, v70
	v_mov_b32_e32 v29, v71
	v_add_f64 v[4:5], v[4:5], -v[62:63]
.LBB28_188:
	s_or_b32 exec_lo, exec_lo, s0
	v_lshl_add_u32 v62, v76, 4, v1
	s_barrier
	buffer_gl0_inv
	v_mov_b32_e32 v70, 9
	ds_write2_b64 v62, v[22:23], v[24:25] offset1:1
	s_waitcnt lgkmcnt(0)
	s_barrier
	buffer_gl0_inv
	ds_read2_b64 v[62:65], v1 offset0:18 offset1:19
	s_cmp_lt_i32 s18, 11
	s_cbranch_scc1 .LBB28_191
; %bb.189:
	v_add3_u32 v71, v72, 0, 0xa0
	v_mov_b32_e32 v70, 9
	s_mov_b32 s1, 10
	s_inst_prefetch 0x1
	.p2align	6
.LBB28_190:                             ; =>This Inner Loop Header: Depth=1
	s_waitcnt lgkmcnt(0)
	v_cmp_gt_f64_e32 vcc_lo, 0, v[64:65]
	v_cmp_gt_f64_e64 s0, 0, v[62:63]
	ds_read2_b64 v[77:80], v71 offset1:1
	v_xor_b32_e32 v82, 0x80000000, v63
	v_xor_b32_e32 v84, 0x80000000, v65
	v_mov_b32_e32 v81, v62
	v_mov_b32_e32 v83, v64
	v_add_nc_u32_e32 v71, 16, v71
	s_waitcnt lgkmcnt(0)
	v_xor_b32_e32 v86, 0x80000000, v80
	v_cndmask_b32_e64 v82, v63, v82, s0
	v_cndmask_b32_e32 v84, v65, v84, vcc_lo
	v_cmp_gt_f64_e32 vcc_lo, 0, v[79:80]
	v_cmp_gt_f64_e64 s0, 0, v[77:78]
	v_mov_b32_e32 v85, v79
	v_add_f64 v[81:82], v[81:82], v[83:84]
	v_xor_b32_e32 v84, 0x80000000, v78
	v_mov_b32_e32 v83, v77
	v_cndmask_b32_e32 v86, v80, v86, vcc_lo
	v_cndmask_b32_e64 v84, v78, v84, s0
	v_add_f64 v[83:84], v[83:84], v[85:86]
	v_cmp_lt_f64_e32 vcc_lo, v[81:82], v[83:84]
	v_cndmask_b32_e32 v63, v63, v78, vcc_lo
	v_cndmask_b32_e32 v62, v62, v77, vcc_lo
	;; [unrolled: 1-line block ×4, first 2 shown]
	v_cndmask_b32_e64 v70, v70, s1, vcc_lo
	s_add_i32 s1, s1, 1
	s_cmp_lg_u32 s18, s1
	s_cbranch_scc1 .LBB28_190
.LBB28_191:
	s_inst_prefetch 0x2
	s_waitcnt lgkmcnt(0)
	v_cmp_eq_f64_e32 vcc_lo, 0, v[62:63]
	v_cmp_eq_f64_e64 s0, 0, v[64:65]
	s_and_b32 s0, vcc_lo, s0
	s_and_saveexec_b32 s1, s0
	s_xor_b32 s0, exec_lo, s1
; %bb.192:
	v_cmp_ne_u32_e32 vcc_lo, 0, v75
	v_cndmask_b32_e32 v75, 10, v75, vcc_lo
; %bb.193:
	s_andn2_saveexec_b32 s0, s0
	s_cbranch_execz .LBB28_199
; %bb.194:
	v_cmp_ngt_f64_e64 s1, |v[62:63]|, |v[64:65]|
	s_and_saveexec_b32 s2, s1
	s_xor_b32 s1, exec_lo, s2
	s_cbranch_execz .LBB28_196
; %bb.195:
	v_div_scale_f64 v[77:78], null, v[64:65], v[64:65], v[62:63]
	v_div_scale_f64 v[83:84], vcc_lo, v[62:63], v[64:65], v[62:63]
	v_rcp_f64_e32 v[79:80], v[77:78]
	v_fma_f64 v[81:82], -v[77:78], v[79:80], 1.0
	v_fma_f64 v[79:80], v[79:80], v[81:82], v[79:80]
	v_fma_f64 v[81:82], -v[77:78], v[79:80], 1.0
	v_fma_f64 v[79:80], v[79:80], v[81:82], v[79:80]
	v_mul_f64 v[81:82], v[83:84], v[79:80]
	v_fma_f64 v[77:78], -v[77:78], v[81:82], v[83:84]
	v_div_fmas_f64 v[77:78], v[77:78], v[79:80], v[81:82]
	v_div_fixup_f64 v[77:78], v[77:78], v[64:65], v[62:63]
	v_fma_f64 v[62:63], v[62:63], v[77:78], v[64:65]
	v_div_scale_f64 v[64:65], null, v[62:63], v[62:63], 1.0
	v_rcp_f64_e32 v[79:80], v[64:65]
	v_fma_f64 v[81:82], -v[64:65], v[79:80], 1.0
	v_fma_f64 v[79:80], v[79:80], v[81:82], v[79:80]
	v_fma_f64 v[81:82], -v[64:65], v[79:80], 1.0
	v_fma_f64 v[79:80], v[79:80], v[81:82], v[79:80]
	v_div_scale_f64 v[81:82], vcc_lo, 1.0, v[62:63], 1.0
	v_mul_f64 v[83:84], v[81:82], v[79:80]
	v_fma_f64 v[64:65], -v[64:65], v[83:84], v[81:82]
	v_div_fmas_f64 v[64:65], v[64:65], v[79:80], v[83:84]
	v_div_fixup_f64 v[64:65], v[64:65], v[62:63], 1.0
	v_mul_f64 v[62:63], v[77:78], v[64:65]
	v_xor_b32_e32 v65, 0x80000000, v65
.LBB28_196:
	s_andn2_saveexec_b32 s1, s1
	s_cbranch_execz .LBB28_198
; %bb.197:
	v_div_scale_f64 v[77:78], null, v[62:63], v[62:63], v[64:65]
	v_div_scale_f64 v[83:84], vcc_lo, v[64:65], v[62:63], v[64:65]
	v_rcp_f64_e32 v[79:80], v[77:78]
	v_fma_f64 v[81:82], -v[77:78], v[79:80], 1.0
	v_fma_f64 v[79:80], v[79:80], v[81:82], v[79:80]
	v_fma_f64 v[81:82], -v[77:78], v[79:80], 1.0
	v_fma_f64 v[79:80], v[79:80], v[81:82], v[79:80]
	v_mul_f64 v[81:82], v[83:84], v[79:80]
	v_fma_f64 v[77:78], -v[77:78], v[81:82], v[83:84]
	v_div_fmas_f64 v[77:78], v[77:78], v[79:80], v[81:82]
	v_div_fixup_f64 v[77:78], v[77:78], v[62:63], v[64:65]
	v_fma_f64 v[62:63], v[64:65], v[77:78], v[62:63]
	v_div_scale_f64 v[64:65], null, v[62:63], v[62:63], 1.0
	v_rcp_f64_e32 v[79:80], v[64:65]
	v_fma_f64 v[81:82], -v[64:65], v[79:80], 1.0
	v_fma_f64 v[79:80], v[79:80], v[81:82], v[79:80]
	v_fma_f64 v[81:82], -v[64:65], v[79:80], 1.0
	v_fma_f64 v[79:80], v[79:80], v[81:82], v[79:80]
	v_div_scale_f64 v[81:82], vcc_lo, 1.0, v[62:63], 1.0
	v_mul_f64 v[83:84], v[81:82], v[79:80]
	v_fma_f64 v[64:65], -v[64:65], v[83:84], v[81:82]
	v_div_fmas_f64 v[64:65], v[64:65], v[79:80], v[83:84]
	v_div_fixup_f64 v[62:63], v[64:65], v[62:63], 1.0
	v_mul_f64 v[64:65], v[77:78], -v[62:63]
.LBB28_198:
	s_or_b32 exec_lo, exec_lo, s1
.LBB28_199:
	s_or_b32 exec_lo, exec_lo, s0
	s_mov_b32 s0, exec_lo
	v_cmpx_ne_u32_e64 v76, v70
	s_xor_b32 s0, exec_lo, s0
	s_cbranch_execz .LBB28_205
; %bb.200:
	s_mov_b32 s1, exec_lo
	v_cmpx_eq_u32_e32 9, v76
	s_cbranch_execz .LBB28_204
; %bb.201:
	v_cmp_ne_u32_e32 vcc_lo, 9, v70
	s_xor_b32 s2, s16, -1
	s_and_b32 s3, s2, vcc_lo
	s_and_saveexec_b32 s2, s3
	s_cbranch_execz .LBB28_203
; %bb.202:
	v_ashrrev_i32_e32 v71, 31, v70
	v_lshlrev_b64 v[76:77], 2, v[70:71]
	v_add_co_u32 v76, vcc_lo, v68, v76
	v_add_co_ci_u32_e64 v77, null, v69, v77, vcc_lo
	s_clause 0x1
	global_load_dword v0, v[76:77], off
	global_load_dword v71, v[68:69], off offset:36
	s_waitcnt vmcnt(1)
	global_store_dword v[68:69], v0, off offset:36
	s_waitcnt vmcnt(0)
	global_store_dword v[76:77], v71, off
.LBB28_203:
	s_or_b32 exec_lo, exec_lo, s2
	v_mov_b32_e32 v76, v70
	v_mov_b32_e32 v0, v70
.LBB28_204:
	s_or_b32 exec_lo, exec_lo, s1
.LBB28_205:
	s_andn2_saveexec_b32 s0, s0
	s_cbranch_execz .LBB28_207
; %bb.206:
	v_mov_b32_e32 v76, 9
	ds_write2_b64 v1, v[18:19], v[20:21] offset0:20 offset1:21
	ds_write2_b64 v1, v[14:15], v[16:17] offset0:22 offset1:23
	;; [unrolled: 1-line block ×5, first 2 shown]
.LBB28_207:
	s_or_b32 exec_lo, exec_lo, s0
	s_mov_b32 s0, exec_lo
	s_waitcnt lgkmcnt(0)
	s_waitcnt_vscnt null, 0x0
	s_barrier
	buffer_gl0_inv
	v_cmpx_lt_i32_e32 9, v76
	s_cbranch_execz .LBB28_209
; %bb.208:
	v_mul_f64 v[70:71], v[62:63], v[24:25]
	v_mul_f64 v[24:25], v[64:65], v[24:25]
	v_fma_f64 v[70:71], v[64:65], v[22:23], v[70:71]
	v_fma_f64 v[22:23], v[62:63], v[22:23], -v[24:25]
	ds_read2_b64 v[62:65], v1 offset0:20 offset1:21
	s_waitcnt lgkmcnt(0)
	v_mul_f64 v[24:25], v[64:65], v[70:71]
	v_fma_f64 v[24:25], v[62:63], v[22:23], -v[24:25]
	v_mul_f64 v[62:63], v[62:63], v[70:71]
	v_add_f64 v[18:19], v[18:19], -v[24:25]
	v_fma_f64 v[62:63], v[64:65], v[22:23], v[62:63]
	v_add_f64 v[20:21], v[20:21], -v[62:63]
	ds_read2_b64 v[62:65], v1 offset0:22 offset1:23
	s_waitcnt lgkmcnt(0)
	v_mul_f64 v[24:25], v[64:65], v[70:71]
	v_fma_f64 v[24:25], v[62:63], v[22:23], -v[24:25]
	v_mul_f64 v[62:63], v[62:63], v[70:71]
	v_add_f64 v[14:15], v[14:15], -v[24:25]
	v_fma_f64 v[62:63], v[64:65], v[22:23], v[62:63]
	v_add_f64 v[16:17], v[16:17], -v[62:63]
	;; [unrolled: 8-line block ×4, first 2 shown]
	ds_read2_b64 v[62:65], v1 offset0:28 offset1:29
	s_waitcnt lgkmcnt(0)
	v_mul_f64 v[24:25], v[64:65], v[70:71]
	v_fma_f64 v[24:25], v[62:63], v[22:23], -v[24:25]
	v_mul_f64 v[62:63], v[62:63], v[70:71]
	v_add_f64 v[2:3], v[2:3], -v[24:25]
	v_fma_f64 v[62:63], v[64:65], v[22:23], v[62:63]
	v_mov_b32_e32 v24, v70
	v_mov_b32_e32 v25, v71
	v_add_f64 v[4:5], v[4:5], -v[62:63]
.LBB28_209:
	s_or_b32 exec_lo, exec_lo, s0
	v_lshl_add_u32 v62, v76, 4, v1
	s_barrier
	buffer_gl0_inv
	v_mov_b32_e32 v70, 10
	ds_write2_b64 v62, v[18:19], v[20:21] offset1:1
	s_waitcnt lgkmcnt(0)
	s_barrier
	buffer_gl0_inv
	ds_read2_b64 v[62:65], v1 offset0:20 offset1:21
	s_cmp_lt_i32 s18, 12
	s_cbranch_scc1 .LBB28_212
; %bb.210:
	v_add3_u32 v71, v72, 0, 0xb0
	v_mov_b32_e32 v70, 10
	s_mov_b32 s1, 11
	s_inst_prefetch 0x1
	.p2align	6
.LBB28_211:                             ; =>This Inner Loop Header: Depth=1
	s_waitcnt lgkmcnt(0)
	v_cmp_gt_f64_e32 vcc_lo, 0, v[64:65]
	v_cmp_gt_f64_e64 s0, 0, v[62:63]
	ds_read2_b64 v[77:80], v71 offset1:1
	v_xor_b32_e32 v82, 0x80000000, v63
	v_xor_b32_e32 v84, 0x80000000, v65
	v_mov_b32_e32 v81, v62
	v_mov_b32_e32 v83, v64
	v_add_nc_u32_e32 v71, 16, v71
	s_waitcnt lgkmcnt(0)
	v_xor_b32_e32 v86, 0x80000000, v80
	v_cndmask_b32_e64 v82, v63, v82, s0
	v_cndmask_b32_e32 v84, v65, v84, vcc_lo
	v_cmp_gt_f64_e32 vcc_lo, 0, v[79:80]
	v_cmp_gt_f64_e64 s0, 0, v[77:78]
	v_mov_b32_e32 v85, v79
	v_add_f64 v[81:82], v[81:82], v[83:84]
	v_xor_b32_e32 v84, 0x80000000, v78
	v_mov_b32_e32 v83, v77
	v_cndmask_b32_e32 v86, v80, v86, vcc_lo
	v_cndmask_b32_e64 v84, v78, v84, s0
	v_add_f64 v[83:84], v[83:84], v[85:86]
	v_cmp_lt_f64_e32 vcc_lo, v[81:82], v[83:84]
	v_cndmask_b32_e32 v63, v63, v78, vcc_lo
	v_cndmask_b32_e32 v62, v62, v77, vcc_lo
	;; [unrolled: 1-line block ×4, first 2 shown]
	v_cndmask_b32_e64 v70, v70, s1, vcc_lo
	s_add_i32 s1, s1, 1
	s_cmp_lg_u32 s18, s1
	s_cbranch_scc1 .LBB28_211
.LBB28_212:
	s_inst_prefetch 0x2
	s_waitcnt lgkmcnt(0)
	v_cmp_eq_f64_e32 vcc_lo, 0, v[62:63]
	v_cmp_eq_f64_e64 s0, 0, v[64:65]
	s_and_b32 s0, vcc_lo, s0
	s_and_saveexec_b32 s1, s0
	s_xor_b32 s0, exec_lo, s1
; %bb.213:
	v_cmp_ne_u32_e32 vcc_lo, 0, v75
	v_cndmask_b32_e32 v75, 11, v75, vcc_lo
; %bb.214:
	s_andn2_saveexec_b32 s0, s0
	s_cbranch_execz .LBB28_220
; %bb.215:
	v_cmp_ngt_f64_e64 s1, |v[62:63]|, |v[64:65]|
	s_and_saveexec_b32 s2, s1
	s_xor_b32 s1, exec_lo, s2
	s_cbranch_execz .LBB28_217
; %bb.216:
	v_div_scale_f64 v[77:78], null, v[64:65], v[64:65], v[62:63]
	v_div_scale_f64 v[83:84], vcc_lo, v[62:63], v[64:65], v[62:63]
	v_rcp_f64_e32 v[79:80], v[77:78]
	v_fma_f64 v[81:82], -v[77:78], v[79:80], 1.0
	v_fma_f64 v[79:80], v[79:80], v[81:82], v[79:80]
	v_fma_f64 v[81:82], -v[77:78], v[79:80], 1.0
	v_fma_f64 v[79:80], v[79:80], v[81:82], v[79:80]
	v_mul_f64 v[81:82], v[83:84], v[79:80]
	v_fma_f64 v[77:78], -v[77:78], v[81:82], v[83:84]
	v_div_fmas_f64 v[77:78], v[77:78], v[79:80], v[81:82]
	v_div_fixup_f64 v[77:78], v[77:78], v[64:65], v[62:63]
	v_fma_f64 v[62:63], v[62:63], v[77:78], v[64:65]
	v_div_scale_f64 v[64:65], null, v[62:63], v[62:63], 1.0
	v_rcp_f64_e32 v[79:80], v[64:65]
	v_fma_f64 v[81:82], -v[64:65], v[79:80], 1.0
	v_fma_f64 v[79:80], v[79:80], v[81:82], v[79:80]
	v_fma_f64 v[81:82], -v[64:65], v[79:80], 1.0
	v_fma_f64 v[79:80], v[79:80], v[81:82], v[79:80]
	v_div_scale_f64 v[81:82], vcc_lo, 1.0, v[62:63], 1.0
	v_mul_f64 v[83:84], v[81:82], v[79:80]
	v_fma_f64 v[64:65], -v[64:65], v[83:84], v[81:82]
	v_div_fmas_f64 v[64:65], v[64:65], v[79:80], v[83:84]
	v_div_fixup_f64 v[64:65], v[64:65], v[62:63], 1.0
	v_mul_f64 v[62:63], v[77:78], v[64:65]
	v_xor_b32_e32 v65, 0x80000000, v65
.LBB28_217:
	s_andn2_saveexec_b32 s1, s1
	s_cbranch_execz .LBB28_219
; %bb.218:
	v_div_scale_f64 v[77:78], null, v[62:63], v[62:63], v[64:65]
	v_div_scale_f64 v[83:84], vcc_lo, v[64:65], v[62:63], v[64:65]
	v_rcp_f64_e32 v[79:80], v[77:78]
	v_fma_f64 v[81:82], -v[77:78], v[79:80], 1.0
	v_fma_f64 v[79:80], v[79:80], v[81:82], v[79:80]
	v_fma_f64 v[81:82], -v[77:78], v[79:80], 1.0
	v_fma_f64 v[79:80], v[79:80], v[81:82], v[79:80]
	v_mul_f64 v[81:82], v[83:84], v[79:80]
	v_fma_f64 v[77:78], -v[77:78], v[81:82], v[83:84]
	v_div_fmas_f64 v[77:78], v[77:78], v[79:80], v[81:82]
	v_div_fixup_f64 v[77:78], v[77:78], v[62:63], v[64:65]
	v_fma_f64 v[62:63], v[64:65], v[77:78], v[62:63]
	v_div_scale_f64 v[64:65], null, v[62:63], v[62:63], 1.0
	v_rcp_f64_e32 v[79:80], v[64:65]
	v_fma_f64 v[81:82], -v[64:65], v[79:80], 1.0
	v_fma_f64 v[79:80], v[79:80], v[81:82], v[79:80]
	v_fma_f64 v[81:82], -v[64:65], v[79:80], 1.0
	v_fma_f64 v[79:80], v[79:80], v[81:82], v[79:80]
	v_div_scale_f64 v[81:82], vcc_lo, 1.0, v[62:63], 1.0
	v_mul_f64 v[83:84], v[81:82], v[79:80]
	v_fma_f64 v[64:65], -v[64:65], v[83:84], v[81:82]
	v_div_fmas_f64 v[64:65], v[64:65], v[79:80], v[83:84]
	v_div_fixup_f64 v[62:63], v[64:65], v[62:63], 1.0
	v_mul_f64 v[64:65], v[77:78], -v[62:63]
.LBB28_219:
	s_or_b32 exec_lo, exec_lo, s1
.LBB28_220:
	s_or_b32 exec_lo, exec_lo, s0
	s_mov_b32 s0, exec_lo
	v_cmpx_ne_u32_e64 v76, v70
	s_xor_b32 s0, exec_lo, s0
	s_cbranch_execz .LBB28_226
; %bb.221:
	s_mov_b32 s1, exec_lo
	v_cmpx_eq_u32_e32 10, v76
	s_cbranch_execz .LBB28_225
; %bb.222:
	v_cmp_ne_u32_e32 vcc_lo, 10, v70
	s_xor_b32 s2, s16, -1
	s_and_b32 s3, s2, vcc_lo
	s_and_saveexec_b32 s2, s3
	s_cbranch_execz .LBB28_224
; %bb.223:
	v_ashrrev_i32_e32 v71, 31, v70
	v_lshlrev_b64 v[76:77], 2, v[70:71]
	v_add_co_u32 v76, vcc_lo, v68, v76
	v_add_co_ci_u32_e64 v77, null, v69, v77, vcc_lo
	s_clause 0x1
	global_load_dword v0, v[76:77], off
	global_load_dword v71, v[68:69], off offset:40
	s_waitcnt vmcnt(1)
	global_store_dword v[68:69], v0, off offset:40
	s_waitcnt vmcnt(0)
	global_store_dword v[76:77], v71, off
.LBB28_224:
	s_or_b32 exec_lo, exec_lo, s2
	v_mov_b32_e32 v76, v70
	v_mov_b32_e32 v0, v70
.LBB28_225:
	s_or_b32 exec_lo, exec_lo, s1
.LBB28_226:
	s_andn2_saveexec_b32 s0, s0
	s_cbranch_execz .LBB28_228
; %bb.227:
	v_mov_b32_e32 v76, 10
	ds_write2_b64 v1, v[14:15], v[16:17] offset0:22 offset1:23
	ds_write2_b64 v1, v[10:11], v[12:13] offset0:24 offset1:25
	;; [unrolled: 1-line block ×4, first 2 shown]
.LBB28_228:
	s_or_b32 exec_lo, exec_lo, s0
	s_mov_b32 s0, exec_lo
	s_waitcnt lgkmcnt(0)
	s_waitcnt_vscnt null, 0x0
	s_barrier
	buffer_gl0_inv
	v_cmpx_lt_i32_e32 10, v76
	s_cbranch_execz .LBB28_230
; %bb.229:
	v_mul_f64 v[70:71], v[62:63], v[20:21]
	v_mul_f64 v[20:21], v[64:65], v[20:21]
	v_fma_f64 v[70:71], v[64:65], v[18:19], v[70:71]
	v_fma_f64 v[18:19], v[62:63], v[18:19], -v[20:21]
	ds_read2_b64 v[62:65], v1 offset0:22 offset1:23
	s_waitcnt lgkmcnt(0)
	v_mul_f64 v[20:21], v[64:65], v[70:71]
	v_fma_f64 v[20:21], v[62:63], v[18:19], -v[20:21]
	v_mul_f64 v[62:63], v[62:63], v[70:71]
	v_add_f64 v[14:15], v[14:15], -v[20:21]
	v_fma_f64 v[62:63], v[64:65], v[18:19], v[62:63]
	v_add_f64 v[16:17], v[16:17], -v[62:63]
	ds_read2_b64 v[62:65], v1 offset0:24 offset1:25
	s_waitcnt lgkmcnt(0)
	v_mul_f64 v[20:21], v[64:65], v[70:71]
	v_fma_f64 v[20:21], v[62:63], v[18:19], -v[20:21]
	v_mul_f64 v[62:63], v[62:63], v[70:71]
	v_add_f64 v[10:11], v[10:11], -v[20:21]
	v_fma_f64 v[62:63], v[64:65], v[18:19], v[62:63]
	v_add_f64 v[12:13], v[12:13], -v[62:63]
	;; [unrolled: 8-line block ×3, first 2 shown]
	ds_read2_b64 v[62:65], v1 offset0:28 offset1:29
	s_waitcnt lgkmcnt(0)
	v_mul_f64 v[20:21], v[64:65], v[70:71]
	v_fma_f64 v[20:21], v[62:63], v[18:19], -v[20:21]
	v_mul_f64 v[62:63], v[62:63], v[70:71]
	v_add_f64 v[2:3], v[2:3], -v[20:21]
	v_fma_f64 v[62:63], v[64:65], v[18:19], v[62:63]
	v_mov_b32_e32 v20, v70
	v_mov_b32_e32 v21, v71
	v_add_f64 v[4:5], v[4:5], -v[62:63]
.LBB28_230:
	s_or_b32 exec_lo, exec_lo, s0
	v_lshl_add_u32 v62, v76, 4, v1
	s_barrier
	buffer_gl0_inv
	v_mov_b32_e32 v70, 11
	ds_write2_b64 v62, v[14:15], v[16:17] offset1:1
	s_waitcnt lgkmcnt(0)
	s_barrier
	buffer_gl0_inv
	ds_read2_b64 v[62:65], v1 offset0:22 offset1:23
	s_cmp_lt_i32 s18, 13
	s_cbranch_scc1 .LBB28_233
; %bb.231:
	v_add3_u32 v71, v72, 0, 0xc0
	v_mov_b32_e32 v70, 11
	s_mov_b32 s1, 12
	s_inst_prefetch 0x1
	.p2align	6
.LBB28_232:                             ; =>This Inner Loop Header: Depth=1
	s_waitcnt lgkmcnt(0)
	v_cmp_gt_f64_e32 vcc_lo, 0, v[64:65]
	v_cmp_gt_f64_e64 s0, 0, v[62:63]
	ds_read2_b64 v[77:80], v71 offset1:1
	v_xor_b32_e32 v82, 0x80000000, v63
	v_xor_b32_e32 v84, 0x80000000, v65
	v_mov_b32_e32 v81, v62
	v_mov_b32_e32 v83, v64
	v_add_nc_u32_e32 v71, 16, v71
	s_waitcnt lgkmcnt(0)
	v_xor_b32_e32 v86, 0x80000000, v80
	v_cndmask_b32_e64 v82, v63, v82, s0
	v_cndmask_b32_e32 v84, v65, v84, vcc_lo
	v_cmp_gt_f64_e32 vcc_lo, 0, v[79:80]
	v_cmp_gt_f64_e64 s0, 0, v[77:78]
	v_mov_b32_e32 v85, v79
	v_add_f64 v[81:82], v[81:82], v[83:84]
	v_xor_b32_e32 v84, 0x80000000, v78
	v_mov_b32_e32 v83, v77
	v_cndmask_b32_e32 v86, v80, v86, vcc_lo
	v_cndmask_b32_e64 v84, v78, v84, s0
	v_add_f64 v[83:84], v[83:84], v[85:86]
	v_cmp_lt_f64_e32 vcc_lo, v[81:82], v[83:84]
	v_cndmask_b32_e32 v63, v63, v78, vcc_lo
	v_cndmask_b32_e32 v62, v62, v77, vcc_lo
	;; [unrolled: 1-line block ×4, first 2 shown]
	v_cndmask_b32_e64 v70, v70, s1, vcc_lo
	s_add_i32 s1, s1, 1
	s_cmp_lg_u32 s18, s1
	s_cbranch_scc1 .LBB28_232
.LBB28_233:
	s_inst_prefetch 0x2
	s_waitcnt lgkmcnt(0)
	v_cmp_eq_f64_e32 vcc_lo, 0, v[62:63]
	v_cmp_eq_f64_e64 s0, 0, v[64:65]
	s_and_b32 s0, vcc_lo, s0
	s_and_saveexec_b32 s1, s0
	s_xor_b32 s0, exec_lo, s1
; %bb.234:
	v_cmp_ne_u32_e32 vcc_lo, 0, v75
	v_cndmask_b32_e32 v75, 12, v75, vcc_lo
; %bb.235:
	s_andn2_saveexec_b32 s0, s0
	s_cbranch_execz .LBB28_241
; %bb.236:
	v_cmp_ngt_f64_e64 s1, |v[62:63]|, |v[64:65]|
	s_and_saveexec_b32 s2, s1
	s_xor_b32 s1, exec_lo, s2
	s_cbranch_execz .LBB28_238
; %bb.237:
	v_div_scale_f64 v[77:78], null, v[64:65], v[64:65], v[62:63]
	v_div_scale_f64 v[83:84], vcc_lo, v[62:63], v[64:65], v[62:63]
	v_rcp_f64_e32 v[79:80], v[77:78]
	v_fma_f64 v[81:82], -v[77:78], v[79:80], 1.0
	v_fma_f64 v[79:80], v[79:80], v[81:82], v[79:80]
	v_fma_f64 v[81:82], -v[77:78], v[79:80], 1.0
	v_fma_f64 v[79:80], v[79:80], v[81:82], v[79:80]
	v_mul_f64 v[81:82], v[83:84], v[79:80]
	v_fma_f64 v[77:78], -v[77:78], v[81:82], v[83:84]
	v_div_fmas_f64 v[77:78], v[77:78], v[79:80], v[81:82]
	v_div_fixup_f64 v[77:78], v[77:78], v[64:65], v[62:63]
	v_fma_f64 v[62:63], v[62:63], v[77:78], v[64:65]
	v_div_scale_f64 v[64:65], null, v[62:63], v[62:63], 1.0
	v_rcp_f64_e32 v[79:80], v[64:65]
	v_fma_f64 v[81:82], -v[64:65], v[79:80], 1.0
	v_fma_f64 v[79:80], v[79:80], v[81:82], v[79:80]
	v_fma_f64 v[81:82], -v[64:65], v[79:80], 1.0
	v_fma_f64 v[79:80], v[79:80], v[81:82], v[79:80]
	v_div_scale_f64 v[81:82], vcc_lo, 1.0, v[62:63], 1.0
	v_mul_f64 v[83:84], v[81:82], v[79:80]
	v_fma_f64 v[64:65], -v[64:65], v[83:84], v[81:82]
	v_div_fmas_f64 v[64:65], v[64:65], v[79:80], v[83:84]
	v_div_fixup_f64 v[64:65], v[64:65], v[62:63], 1.0
	v_mul_f64 v[62:63], v[77:78], v[64:65]
	v_xor_b32_e32 v65, 0x80000000, v65
.LBB28_238:
	s_andn2_saveexec_b32 s1, s1
	s_cbranch_execz .LBB28_240
; %bb.239:
	v_div_scale_f64 v[77:78], null, v[62:63], v[62:63], v[64:65]
	v_div_scale_f64 v[83:84], vcc_lo, v[64:65], v[62:63], v[64:65]
	v_rcp_f64_e32 v[79:80], v[77:78]
	v_fma_f64 v[81:82], -v[77:78], v[79:80], 1.0
	v_fma_f64 v[79:80], v[79:80], v[81:82], v[79:80]
	v_fma_f64 v[81:82], -v[77:78], v[79:80], 1.0
	v_fma_f64 v[79:80], v[79:80], v[81:82], v[79:80]
	v_mul_f64 v[81:82], v[83:84], v[79:80]
	v_fma_f64 v[77:78], -v[77:78], v[81:82], v[83:84]
	v_div_fmas_f64 v[77:78], v[77:78], v[79:80], v[81:82]
	v_div_fixup_f64 v[77:78], v[77:78], v[62:63], v[64:65]
	v_fma_f64 v[62:63], v[64:65], v[77:78], v[62:63]
	v_div_scale_f64 v[64:65], null, v[62:63], v[62:63], 1.0
	v_rcp_f64_e32 v[79:80], v[64:65]
	v_fma_f64 v[81:82], -v[64:65], v[79:80], 1.0
	v_fma_f64 v[79:80], v[79:80], v[81:82], v[79:80]
	v_fma_f64 v[81:82], -v[64:65], v[79:80], 1.0
	v_fma_f64 v[79:80], v[79:80], v[81:82], v[79:80]
	v_div_scale_f64 v[81:82], vcc_lo, 1.0, v[62:63], 1.0
	v_mul_f64 v[83:84], v[81:82], v[79:80]
	v_fma_f64 v[64:65], -v[64:65], v[83:84], v[81:82]
	v_div_fmas_f64 v[64:65], v[64:65], v[79:80], v[83:84]
	v_div_fixup_f64 v[62:63], v[64:65], v[62:63], 1.0
	v_mul_f64 v[64:65], v[77:78], -v[62:63]
.LBB28_240:
	s_or_b32 exec_lo, exec_lo, s1
.LBB28_241:
	s_or_b32 exec_lo, exec_lo, s0
	s_mov_b32 s0, exec_lo
	v_cmpx_ne_u32_e64 v76, v70
	s_xor_b32 s0, exec_lo, s0
	s_cbranch_execz .LBB28_247
; %bb.242:
	s_mov_b32 s1, exec_lo
	v_cmpx_eq_u32_e32 11, v76
	s_cbranch_execz .LBB28_246
; %bb.243:
	v_cmp_ne_u32_e32 vcc_lo, 11, v70
	s_xor_b32 s2, s16, -1
	s_and_b32 s3, s2, vcc_lo
	s_and_saveexec_b32 s2, s3
	s_cbranch_execz .LBB28_245
; %bb.244:
	v_ashrrev_i32_e32 v71, 31, v70
	v_lshlrev_b64 v[76:77], 2, v[70:71]
	v_add_co_u32 v76, vcc_lo, v68, v76
	v_add_co_ci_u32_e64 v77, null, v69, v77, vcc_lo
	s_clause 0x1
	global_load_dword v0, v[76:77], off
	global_load_dword v71, v[68:69], off offset:44
	s_waitcnt vmcnt(1)
	global_store_dword v[68:69], v0, off offset:44
	s_waitcnt vmcnt(0)
	global_store_dword v[76:77], v71, off
.LBB28_245:
	s_or_b32 exec_lo, exec_lo, s2
	v_mov_b32_e32 v76, v70
	v_mov_b32_e32 v0, v70
.LBB28_246:
	s_or_b32 exec_lo, exec_lo, s1
.LBB28_247:
	s_andn2_saveexec_b32 s0, s0
	s_cbranch_execz .LBB28_249
; %bb.248:
	v_mov_b32_e32 v76, 11
	ds_write2_b64 v1, v[10:11], v[12:13] offset0:24 offset1:25
	ds_write2_b64 v1, v[6:7], v[8:9] offset0:26 offset1:27
	;; [unrolled: 1-line block ×3, first 2 shown]
.LBB28_249:
	s_or_b32 exec_lo, exec_lo, s0
	s_mov_b32 s0, exec_lo
	s_waitcnt lgkmcnt(0)
	s_waitcnt_vscnt null, 0x0
	s_barrier
	buffer_gl0_inv
	v_cmpx_lt_i32_e32 11, v76
	s_cbranch_execz .LBB28_251
; %bb.250:
	v_mul_f64 v[70:71], v[62:63], v[16:17]
	v_mul_f64 v[16:17], v[64:65], v[16:17]
	v_fma_f64 v[70:71], v[64:65], v[14:15], v[70:71]
	v_fma_f64 v[14:15], v[62:63], v[14:15], -v[16:17]
	ds_read2_b64 v[62:65], v1 offset0:24 offset1:25
	s_waitcnt lgkmcnt(0)
	v_mul_f64 v[16:17], v[64:65], v[70:71]
	v_fma_f64 v[16:17], v[62:63], v[14:15], -v[16:17]
	v_mul_f64 v[62:63], v[62:63], v[70:71]
	v_add_f64 v[10:11], v[10:11], -v[16:17]
	v_fma_f64 v[62:63], v[64:65], v[14:15], v[62:63]
	v_add_f64 v[12:13], v[12:13], -v[62:63]
	ds_read2_b64 v[62:65], v1 offset0:26 offset1:27
	s_waitcnt lgkmcnt(0)
	v_mul_f64 v[16:17], v[64:65], v[70:71]
	v_fma_f64 v[16:17], v[62:63], v[14:15], -v[16:17]
	v_mul_f64 v[62:63], v[62:63], v[70:71]
	v_add_f64 v[6:7], v[6:7], -v[16:17]
	v_fma_f64 v[62:63], v[64:65], v[14:15], v[62:63]
	v_add_f64 v[8:9], v[8:9], -v[62:63]
	ds_read2_b64 v[62:65], v1 offset0:28 offset1:29
	s_waitcnt lgkmcnt(0)
	v_mul_f64 v[16:17], v[64:65], v[70:71]
	v_fma_f64 v[16:17], v[62:63], v[14:15], -v[16:17]
	v_mul_f64 v[62:63], v[62:63], v[70:71]
	v_add_f64 v[2:3], v[2:3], -v[16:17]
	v_fma_f64 v[62:63], v[64:65], v[14:15], v[62:63]
	v_mov_b32_e32 v16, v70
	v_mov_b32_e32 v17, v71
	v_add_f64 v[4:5], v[4:5], -v[62:63]
.LBB28_251:
	s_or_b32 exec_lo, exec_lo, s0
	v_lshl_add_u32 v62, v76, 4, v1
	s_barrier
	buffer_gl0_inv
	v_mov_b32_e32 v70, 12
	ds_write2_b64 v62, v[10:11], v[12:13] offset1:1
	s_waitcnt lgkmcnt(0)
	s_barrier
	buffer_gl0_inv
	ds_read2_b64 v[62:65], v1 offset0:24 offset1:25
	s_cmp_lt_i32 s18, 14
	s_cbranch_scc1 .LBB28_254
; %bb.252:
	v_add3_u32 v71, v72, 0, 0xd0
	v_mov_b32_e32 v70, 12
	s_mov_b32 s1, 13
	s_inst_prefetch 0x1
	.p2align	6
.LBB28_253:                             ; =>This Inner Loop Header: Depth=1
	s_waitcnt lgkmcnt(0)
	v_cmp_gt_f64_e32 vcc_lo, 0, v[64:65]
	v_cmp_gt_f64_e64 s0, 0, v[62:63]
	ds_read2_b64 v[77:80], v71 offset1:1
	v_xor_b32_e32 v82, 0x80000000, v63
	v_xor_b32_e32 v84, 0x80000000, v65
	v_mov_b32_e32 v81, v62
	v_mov_b32_e32 v83, v64
	v_add_nc_u32_e32 v71, 16, v71
	s_waitcnt lgkmcnt(0)
	v_xor_b32_e32 v86, 0x80000000, v80
	v_cndmask_b32_e64 v82, v63, v82, s0
	v_cndmask_b32_e32 v84, v65, v84, vcc_lo
	v_cmp_gt_f64_e32 vcc_lo, 0, v[79:80]
	v_cmp_gt_f64_e64 s0, 0, v[77:78]
	v_mov_b32_e32 v85, v79
	v_add_f64 v[81:82], v[81:82], v[83:84]
	v_xor_b32_e32 v84, 0x80000000, v78
	v_mov_b32_e32 v83, v77
	v_cndmask_b32_e32 v86, v80, v86, vcc_lo
	v_cndmask_b32_e64 v84, v78, v84, s0
	v_add_f64 v[83:84], v[83:84], v[85:86]
	v_cmp_lt_f64_e32 vcc_lo, v[81:82], v[83:84]
	v_cndmask_b32_e32 v63, v63, v78, vcc_lo
	v_cndmask_b32_e32 v62, v62, v77, vcc_lo
	v_cndmask_b32_e32 v65, v65, v80, vcc_lo
	v_cndmask_b32_e32 v64, v64, v79, vcc_lo
	v_cndmask_b32_e64 v70, v70, s1, vcc_lo
	s_add_i32 s1, s1, 1
	s_cmp_lg_u32 s18, s1
	s_cbranch_scc1 .LBB28_253
.LBB28_254:
	s_inst_prefetch 0x2
	s_waitcnt lgkmcnt(0)
	v_cmp_eq_f64_e32 vcc_lo, 0, v[62:63]
	v_cmp_eq_f64_e64 s0, 0, v[64:65]
	s_and_b32 s0, vcc_lo, s0
	s_and_saveexec_b32 s1, s0
	s_xor_b32 s0, exec_lo, s1
; %bb.255:
	v_cmp_ne_u32_e32 vcc_lo, 0, v75
	v_cndmask_b32_e32 v75, 13, v75, vcc_lo
; %bb.256:
	s_andn2_saveexec_b32 s0, s0
	s_cbranch_execz .LBB28_262
; %bb.257:
	v_cmp_ngt_f64_e64 s1, |v[62:63]|, |v[64:65]|
	s_and_saveexec_b32 s2, s1
	s_xor_b32 s1, exec_lo, s2
	s_cbranch_execz .LBB28_259
; %bb.258:
	v_div_scale_f64 v[77:78], null, v[64:65], v[64:65], v[62:63]
	v_div_scale_f64 v[83:84], vcc_lo, v[62:63], v[64:65], v[62:63]
	v_rcp_f64_e32 v[79:80], v[77:78]
	v_fma_f64 v[81:82], -v[77:78], v[79:80], 1.0
	v_fma_f64 v[79:80], v[79:80], v[81:82], v[79:80]
	v_fma_f64 v[81:82], -v[77:78], v[79:80], 1.0
	v_fma_f64 v[79:80], v[79:80], v[81:82], v[79:80]
	v_mul_f64 v[81:82], v[83:84], v[79:80]
	v_fma_f64 v[77:78], -v[77:78], v[81:82], v[83:84]
	v_div_fmas_f64 v[77:78], v[77:78], v[79:80], v[81:82]
	v_div_fixup_f64 v[77:78], v[77:78], v[64:65], v[62:63]
	v_fma_f64 v[62:63], v[62:63], v[77:78], v[64:65]
	v_div_scale_f64 v[64:65], null, v[62:63], v[62:63], 1.0
	v_rcp_f64_e32 v[79:80], v[64:65]
	v_fma_f64 v[81:82], -v[64:65], v[79:80], 1.0
	v_fma_f64 v[79:80], v[79:80], v[81:82], v[79:80]
	v_fma_f64 v[81:82], -v[64:65], v[79:80], 1.0
	v_fma_f64 v[79:80], v[79:80], v[81:82], v[79:80]
	v_div_scale_f64 v[81:82], vcc_lo, 1.0, v[62:63], 1.0
	v_mul_f64 v[83:84], v[81:82], v[79:80]
	v_fma_f64 v[64:65], -v[64:65], v[83:84], v[81:82]
	v_div_fmas_f64 v[64:65], v[64:65], v[79:80], v[83:84]
	v_div_fixup_f64 v[64:65], v[64:65], v[62:63], 1.0
	v_mul_f64 v[62:63], v[77:78], v[64:65]
	v_xor_b32_e32 v65, 0x80000000, v65
.LBB28_259:
	s_andn2_saveexec_b32 s1, s1
	s_cbranch_execz .LBB28_261
; %bb.260:
	v_div_scale_f64 v[77:78], null, v[62:63], v[62:63], v[64:65]
	v_div_scale_f64 v[83:84], vcc_lo, v[64:65], v[62:63], v[64:65]
	v_rcp_f64_e32 v[79:80], v[77:78]
	v_fma_f64 v[81:82], -v[77:78], v[79:80], 1.0
	v_fma_f64 v[79:80], v[79:80], v[81:82], v[79:80]
	v_fma_f64 v[81:82], -v[77:78], v[79:80], 1.0
	v_fma_f64 v[79:80], v[79:80], v[81:82], v[79:80]
	v_mul_f64 v[81:82], v[83:84], v[79:80]
	v_fma_f64 v[77:78], -v[77:78], v[81:82], v[83:84]
	v_div_fmas_f64 v[77:78], v[77:78], v[79:80], v[81:82]
	v_div_fixup_f64 v[77:78], v[77:78], v[62:63], v[64:65]
	v_fma_f64 v[62:63], v[64:65], v[77:78], v[62:63]
	v_div_scale_f64 v[64:65], null, v[62:63], v[62:63], 1.0
	v_rcp_f64_e32 v[79:80], v[64:65]
	v_fma_f64 v[81:82], -v[64:65], v[79:80], 1.0
	v_fma_f64 v[79:80], v[79:80], v[81:82], v[79:80]
	v_fma_f64 v[81:82], -v[64:65], v[79:80], 1.0
	v_fma_f64 v[79:80], v[79:80], v[81:82], v[79:80]
	v_div_scale_f64 v[81:82], vcc_lo, 1.0, v[62:63], 1.0
	v_mul_f64 v[83:84], v[81:82], v[79:80]
	v_fma_f64 v[64:65], -v[64:65], v[83:84], v[81:82]
	v_div_fmas_f64 v[64:65], v[64:65], v[79:80], v[83:84]
	v_div_fixup_f64 v[62:63], v[64:65], v[62:63], 1.0
	v_mul_f64 v[64:65], v[77:78], -v[62:63]
.LBB28_261:
	s_or_b32 exec_lo, exec_lo, s1
.LBB28_262:
	s_or_b32 exec_lo, exec_lo, s0
	s_mov_b32 s0, exec_lo
	v_cmpx_ne_u32_e64 v76, v70
	s_xor_b32 s0, exec_lo, s0
	s_cbranch_execz .LBB28_268
; %bb.263:
	s_mov_b32 s1, exec_lo
	v_cmpx_eq_u32_e32 12, v76
	s_cbranch_execz .LBB28_267
; %bb.264:
	v_cmp_ne_u32_e32 vcc_lo, 12, v70
	s_xor_b32 s2, s16, -1
	s_and_b32 s3, s2, vcc_lo
	s_and_saveexec_b32 s2, s3
	s_cbranch_execz .LBB28_266
; %bb.265:
	v_ashrrev_i32_e32 v71, 31, v70
	v_lshlrev_b64 v[76:77], 2, v[70:71]
	v_add_co_u32 v76, vcc_lo, v68, v76
	v_add_co_ci_u32_e64 v77, null, v69, v77, vcc_lo
	s_clause 0x1
	global_load_dword v0, v[76:77], off
	global_load_dword v71, v[68:69], off offset:48
	s_waitcnt vmcnt(1)
	global_store_dword v[68:69], v0, off offset:48
	s_waitcnt vmcnt(0)
	global_store_dword v[76:77], v71, off
.LBB28_266:
	s_or_b32 exec_lo, exec_lo, s2
	v_mov_b32_e32 v76, v70
	v_mov_b32_e32 v0, v70
.LBB28_267:
	s_or_b32 exec_lo, exec_lo, s1
.LBB28_268:
	s_andn2_saveexec_b32 s0, s0
	s_cbranch_execz .LBB28_270
; %bb.269:
	v_mov_b32_e32 v76, 12
	ds_write2_b64 v1, v[6:7], v[8:9] offset0:26 offset1:27
	ds_write2_b64 v1, v[2:3], v[4:5] offset0:28 offset1:29
.LBB28_270:
	s_or_b32 exec_lo, exec_lo, s0
	s_mov_b32 s0, exec_lo
	s_waitcnt lgkmcnt(0)
	s_waitcnt_vscnt null, 0x0
	s_barrier
	buffer_gl0_inv
	v_cmpx_lt_i32_e32 12, v76
	s_cbranch_execz .LBB28_272
; %bb.271:
	v_mul_f64 v[70:71], v[62:63], v[12:13]
	v_mul_f64 v[12:13], v[64:65], v[12:13]
	ds_read2_b64 v[77:80], v1 offset0:26 offset1:27
	ds_read2_b64 v[81:84], v1 offset0:28 offset1:29
	v_fma_f64 v[64:65], v[64:65], v[10:11], v[70:71]
	v_fma_f64 v[10:11], v[62:63], v[10:11], -v[12:13]
	s_waitcnt lgkmcnt(1)
	v_mul_f64 v[12:13], v[79:80], v[64:65]
	v_mul_f64 v[62:63], v[77:78], v[64:65]
	s_waitcnt lgkmcnt(0)
	v_mul_f64 v[70:71], v[83:84], v[64:65]
	v_mul_f64 v[85:86], v[81:82], v[64:65]
	v_fma_f64 v[12:13], v[77:78], v[10:11], -v[12:13]
	v_fma_f64 v[62:63], v[79:80], v[10:11], v[62:63]
	v_fma_f64 v[70:71], v[81:82], v[10:11], -v[70:71]
	v_fma_f64 v[77:78], v[83:84], v[10:11], v[85:86]
	v_add_f64 v[6:7], v[6:7], -v[12:13]
	v_add_f64 v[8:9], v[8:9], -v[62:63]
	;; [unrolled: 1-line block ×4, first 2 shown]
	v_mov_b32_e32 v12, v64
	v_mov_b32_e32 v13, v65
.LBB28_272:
	s_or_b32 exec_lo, exec_lo, s0
	v_lshl_add_u32 v62, v76, 4, v1
	s_barrier
	buffer_gl0_inv
	v_mov_b32_e32 v70, 13
	ds_write2_b64 v62, v[6:7], v[8:9] offset1:1
	s_waitcnt lgkmcnt(0)
	s_barrier
	buffer_gl0_inv
	ds_read2_b64 v[62:65], v1 offset0:26 offset1:27
	s_cmp_lt_i32 s18, 15
	s_cbranch_scc1 .LBB28_275
; %bb.273:
	v_add3_u32 v71, v72, 0, 0xe0
	v_mov_b32_e32 v70, 13
	s_mov_b32 s1, 14
	s_inst_prefetch 0x1
	.p2align	6
.LBB28_274:                             ; =>This Inner Loop Header: Depth=1
	s_waitcnt lgkmcnt(0)
	v_cmp_gt_f64_e32 vcc_lo, 0, v[64:65]
	v_cmp_gt_f64_e64 s0, 0, v[62:63]
	ds_read2_b64 v[77:80], v71 offset1:1
	v_xor_b32_e32 v82, 0x80000000, v63
	v_xor_b32_e32 v84, 0x80000000, v65
	v_mov_b32_e32 v81, v62
	v_mov_b32_e32 v83, v64
	v_add_nc_u32_e32 v71, 16, v71
	s_waitcnt lgkmcnt(0)
	v_xor_b32_e32 v86, 0x80000000, v80
	v_cndmask_b32_e64 v82, v63, v82, s0
	v_cndmask_b32_e32 v84, v65, v84, vcc_lo
	v_cmp_gt_f64_e32 vcc_lo, 0, v[79:80]
	v_cmp_gt_f64_e64 s0, 0, v[77:78]
	v_mov_b32_e32 v85, v79
	v_add_f64 v[81:82], v[81:82], v[83:84]
	v_xor_b32_e32 v84, 0x80000000, v78
	v_mov_b32_e32 v83, v77
	v_cndmask_b32_e32 v86, v80, v86, vcc_lo
	v_cndmask_b32_e64 v84, v78, v84, s0
	v_add_f64 v[83:84], v[83:84], v[85:86]
	v_cmp_lt_f64_e32 vcc_lo, v[81:82], v[83:84]
	v_cndmask_b32_e32 v63, v63, v78, vcc_lo
	v_cndmask_b32_e32 v62, v62, v77, vcc_lo
	v_cndmask_b32_e32 v65, v65, v80, vcc_lo
	v_cndmask_b32_e32 v64, v64, v79, vcc_lo
	v_cndmask_b32_e64 v70, v70, s1, vcc_lo
	s_add_i32 s1, s1, 1
	s_cmp_lg_u32 s18, s1
	s_cbranch_scc1 .LBB28_274
.LBB28_275:
	s_inst_prefetch 0x2
	s_waitcnt lgkmcnt(0)
	v_cmp_eq_f64_e32 vcc_lo, 0, v[62:63]
	v_cmp_eq_f64_e64 s0, 0, v[64:65]
	s_and_b32 s0, vcc_lo, s0
	s_and_saveexec_b32 s1, s0
	s_xor_b32 s0, exec_lo, s1
; %bb.276:
	v_cmp_ne_u32_e32 vcc_lo, 0, v75
	v_cndmask_b32_e32 v75, 14, v75, vcc_lo
; %bb.277:
	s_andn2_saveexec_b32 s0, s0
	s_cbranch_execz .LBB28_283
; %bb.278:
	v_cmp_ngt_f64_e64 s1, |v[62:63]|, |v[64:65]|
	s_and_saveexec_b32 s2, s1
	s_xor_b32 s1, exec_lo, s2
	s_cbranch_execz .LBB28_280
; %bb.279:
	v_div_scale_f64 v[77:78], null, v[64:65], v[64:65], v[62:63]
	v_div_scale_f64 v[83:84], vcc_lo, v[62:63], v[64:65], v[62:63]
	v_rcp_f64_e32 v[79:80], v[77:78]
	v_fma_f64 v[81:82], -v[77:78], v[79:80], 1.0
	v_fma_f64 v[79:80], v[79:80], v[81:82], v[79:80]
	v_fma_f64 v[81:82], -v[77:78], v[79:80], 1.0
	v_fma_f64 v[79:80], v[79:80], v[81:82], v[79:80]
	v_mul_f64 v[81:82], v[83:84], v[79:80]
	v_fma_f64 v[77:78], -v[77:78], v[81:82], v[83:84]
	v_div_fmas_f64 v[77:78], v[77:78], v[79:80], v[81:82]
	v_div_fixup_f64 v[77:78], v[77:78], v[64:65], v[62:63]
	v_fma_f64 v[62:63], v[62:63], v[77:78], v[64:65]
	v_div_scale_f64 v[64:65], null, v[62:63], v[62:63], 1.0
	v_rcp_f64_e32 v[79:80], v[64:65]
	v_fma_f64 v[81:82], -v[64:65], v[79:80], 1.0
	v_fma_f64 v[79:80], v[79:80], v[81:82], v[79:80]
	v_fma_f64 v[81:82], -v[64:65], v[79:80], 1.0
	v_fma_f64 v[79:80], v[79:80], v[81:82], v[79:80]
	v_div_scale_f64 v[81:82], vcc_lo, 1.0, v[62:63], 1.0
	v_mul_f64 v[83:84], v[81:82], v[79:80]
	v_fma_f64 v[64:65], -v[64:65], v[83:84], v[81:82]
	v_div_fmas_f64 v[64:65], v[64:65], v[79:80], v[83:84]
	v_div_fixup_f64 v[64:65], v[64:65], v[62:63], 1.0
	v_mul_f64 v[62:63], v[77:78], v[64:65]
	v_xor_b32_e32 v65, 0x80000000, v65
.LBB28_280:
	s_andn2_saveexec_b32 s1, s1
	s_cbranch_execz .LBB28_282
; %bb.281:
	v_div_scale_f64 v[77:78], null, v[62:63], v[62:63], v[64:65]
	v_div_scale_f64 v[83:84], vcc_lo, v[64:65], v[62:63], v[64:65]
	v_rcp_f64_e32 v[79:80], v[77:78]
	v_fma_f64 v[81:82], -v[77:78], v[79:80], 1.0
	v_fma_f64 v[79:80], v[79:80], v[81:82], v[79:80]
	v_fma_f64 v[81:82], -v[77:78], v[79:80], 1.0
	v_fma_f64 v[79:80], v[79:80], v[81:82], v[79:80]
	v_mul_f64 v[81:82], v[83:84], v[79:80]
	v_fma_f64 v[77:78], -v[77:78], v[81:82], v[83:84]
	v_div_fmas_f64 v[77:78], v[77:78], v[79:80], v[81:82]
	v_div_fixup_f64 v[77:78], v[77:78], v[62:63], v[64:65]
	v_fma_f64 v[62:63], v[64:65], v[77:78], v[62:63]
	v_div_scale_f64 v[64:65], null, v[62:63], v[62:63], 1.0
	v_rcp_f64_e32 v[79:80], v[64:65]
	v_fma_f64 v[81:82], -v[64:65], v[79:80], 1.0
	v_fma_f64 v[79:80], v[79:80], v[81:82], v[79:80]
	v_fma_f64 v[81:82], -v[64:65], v[79:80], 1.0
	v_fma_f64 v[79:80], v[79:80], v[81:82], v[79:80]
	v_div_scale_f64 v[81:82], vcc_lo, 1.0, v[62:63], 1.0
	v_mul_f64 v[83:84], v[81:82], v[79:80]
	v_fma_f64 v[64:65], -v[64:65], v[83:84], v[81:82]
	v_div_fmas_f64 v[64:65], v[64:65], v[79:80], v[83:84]
	v_div_fixup_f64 v[62:63], v[64:65], v[62:63], 1.0
	v_mul_f64 v[64:65], v[77:78], -v[62:63]
.LBB28_282:
	s_or_b32 exec_lo, exec_lo, s1
.LBB28_283:
	s_or_b32 exec_lo, exec_lo, s0
	s_mov_b32 s0, exec_lo
	v_cmpx_ne_u32_e64 v76, v70
	s_xor_b32 s0, exec_lo, s0
	s_cbranch_execz .LBB28_289
; %bb.284:
	s_mov_b32 s1, exec_lo
	v_cmpx_eq_u32_e32 13, v76
	s_cbranch_execz .LBB28_288
; %bb.285:
	v_cmp_ne_u32_e32 vcc_lo, 13, v70
	s_xor_b32 s2, s16, -1
	s_and_b32 s3, s2, vcc_lo
	s_and_saveexec_b32 s2, s3
	s_cbranch_execz .LBB28_287
; %bb.286:
	v_ashrrev_i32_e32 v71, 31, v70
	v_lshlrev_b64 v[76:77], 2, v[70:71]
	v_add_co_u32 v76, vcc_lo, v68, v76
	v_add_co_ci_u32_e64 v77, null, v69, v77, vcc_lo
	s_clause 0x1
	global_load_dword v0, v[76:77], off
	global_load_dword v71, v[68:69], off offset:52
	s_waitcnt vmcnt(1)
	global_store_dword v[68:69], v0, off offset:52
	s_waitcnt vmcnt(0)
	global_store_dword v[76:77], v71, off
.LBB28_287:
	s_or_b32 exec_lo, exec_lo, s2
	v_mov_b32_e32 v76, v70
	v_mov_b32_e32 v0, v70
.LBB28_288:
	s_or_b32 exec_lo, exec_lo, s1
.LBB28_289:
	s_andn2_saveexec_b32 s0, s0
; %bb.290:
	v_mov_b32_e32 v76, 13
	ds_write2_b64 v1, v[2:3], v[4:5] offset0:28 offset1:29
; %bb.291:
	s_or_b32 exec_lo, exec_lo, s0
	s_mov_b32 s0, exec_lo
	s_waitcnt lgkmcnt(0)
	s_waitcnt_vscnt null, 0x0
	s_barrier
	buffer_gl0_inv
	v_cmpx_lt_i32_e32 13, v76
	s_cbranch_execz .LBB28_293
; %bb.292:
	v_mul_f64 v[70:71], v[62:63], v[8:9]
	v_mul_f64 v[8:9], v[64:65], v[8:9]
	ds_read2_b64 v[77:80], v1 offset0:28 offset1:29
	v_fma_f64 v[64:65], v[64:65], v[6:7], v[70:71]
	v_fma_f64 v[6:7], v[62:63], v[6:7], -v[8:9]
	s_waitcnt lgkmcnt(0)
	v_mul_f64 v[8:9], v[79:80], v[64:65]
	v_mul_f64 v[62:63], v[77:78], v[64:65]
	v_fma_f64 v[8:9], v[77:78], v[6:7], -v[8:9]
	v_fma_f64 v[62:63], v[79:80], v[6:7], v[62:63]
	v_add_f64 v[2:3], v[2:3], -v[8:9]
	v_add_f64 v[4:5], v[4:5], -v[62:63]
	v_mov_b32_e32 v8, v64
	v_mov_b32_e32 v9, v65
.LBB28_293:
	s_or_b32 exec_lo, exec_lo, s0
	v_lshl_add_u32 v62, v76, 4, v1
	s_barrier
	buffer_gl0_inv
	v_mov_b32_e32 v70, 14
	ds_write2_b64 v62, v[2:3], v[4:5] offset1:1
	s_waitcnt lgkmcnt(0)
	s_barrier
	buffer_gl0_inv
	ds_read2_b64 v[62:65], v1 offset0:28 offset1:29
	s_cmp_lt_i32 s18, 16
	s_cbranch_scc1 .LBB28_296
; %bb.294:
	v_add3_u32 v1, v72, 0, 0xf0
	v_mov_b32_e32 v70, 14
	s_mov_b32 s1, 15
	s_inst_prefetch 0x1
	.p2align	6
.LBB28_295:                             ; =>This Inner Loop Header: Depth=1
	s_waitcnt lgkmcnt(0)
	v_cmp_gt_f64_e32 vcc_lo, 0, v[64:65]
	v_cmp_gt_f64_e64 s0, 0, v[62:63]
	ds_read2_b64 v[77:80], v1 offset1:1
	v_xor_b32_e32 v72, 0x80000000, v63
	v_xor_b32_e32 v82, 0x80000000, v65
	v_mov_b32_e32 v71, v62
	v_mov_b32_e32 v81, v64
	v_add_nc_u32_e32 v1, 16, v1
	s_waitcnt lgkmcnt(0)
	v_xor_b32_e32 v84, 0x80000000, v80
	v_cndmask_b32_e64 v72, v63, v72, s0
	v_cndmask_b32_e32 v82, v65, v82, vcc_lo
	v_cmp_gt_f64_e32 vcc_lo, 0, v[79:80]
	v_cmp_gt_f64_e64 s0, 0, v[77:78]
	v_mov_b32_e32 v83, v79
	v_add_f64 v[71:72], v[71:72], v[81:82]
	v_xor_b32_e32 v82, 0x80000000, v78
	v_mov_b32_e32 v81, v77
	v_cndmask_b32_e32 v84, v80, v84, vcc_lo
	v_cndmask_b32_e64 v82, v78, v82, s0
	v_add_f64 v[81:82], v[81:82], v[83:84]
	v_cmp_lt_f64_e32 vcc_lo, v[71:72], v[81:82]
	v_cndmask_b32_e32 v63, v63, v78, vcc_lo
	v_cndmask_b32_e32 v62, v62, v77, vcc_lo
	;; [unrolled: 1-line block ×4, first 2 shown]
	v_cndmask_b32_e64 v70, v70, s1, vcc_lo
	s_add_i32 s1, s1, 1
	s_cmp_lg_u32 s18, s1
	s_cbranch_scc1 .LBB28_295
.LBB28_296:
	s_inst_prefetch 0x2
	s_waitcnt lgkmcnt(0)
	v_cmp_eq_f64_e32 vcc_lo, 0, v[62:63]
	v_cmp_eq_f64_e64 s0, 0, v[64:65]
	s_and_b32 s0, vcc_lo, s0
	s_and_saveexec_b32 s1, s0
	s_xor_b32 s0, exec_lo, s1
; %bb.297:
	v_cmp_ne_u32_e32 vcc_lo, 0, v75
	v_cndmask_b32_e32 v75, 15, v75, vcc_lo
; %bb.298:
	s_andn2_saveexec_b32 s0, s0
	s_cbranch_execz .LBB28_304
; %bb.299:
	v_cmp_ngt_f64_e64 s1, |v[62:63]|, |v[64:65]|
	s_and_saveexec_b32 s2, s1
	s_xor_b32 s1, exec_lo, s2
	s_cbranch_execz .LBB28_301
; %bb.300:
	v_div_scale_f64 v[71:72], null, v[64:65], v[64:65], v[62:63]
	v_div_scale_f64 v[81:82], vcc_lo, v[62:63], v[64:65], v[62:63]
	v_rcp_f64_e32 v[77:78], v[71:72]
	v_fma_f64 v[79:80], -v[71:72], v[77:78], 1.0
	v_fma_f64 v[77:78], v[77:78], v[79:80], v[77:78]
	v_fma_f64 v[79:80], -v[71:72], v[77:78], 1.0
	v_fma_f64 v[77:78], v[77:78], v[79:80], v[77:78]
	v_mul_f64 v[79:80], v[81:82], v[77:78]
	v_fma_f64 v[71:72], -v[71:72], v[79:80], v[81:82]
	v_div_fmas_f64 v[71:72], v[71:72], v[77:78], v[79:80]
	v_div_fixup_f64 v[71:72], v[71:72], v[64:65], v[62:63]
	v_fma_f64 v[62:63], v[62:63], v[71:72], v[64:65]
	v_div_scale_f64 v[64:65], null, v[62:63], v[62:63], 1.0
	v_rcp_f64_e32 v[77:78], v[64:65]
	v_fma_f64 v[79:80], -v[64:65], v[77:78], 1.0
	v_fma_f64 v[77:78], v[77:78], v[79:80], v[77:78]
	v_fma_f64 v[79:80], -v[64:65], v[77:78], 1.0
	v_fma_f64 v[77:78], v[77:78], v[79:80], v[77:78]
	v_div_scale_f64 v[79:80], vcc_lo, 1.0, v[62:63], 1.0
	v_mul_f64 v[81:82], v[79:80], v[77:78]
	v_fma_f64 v[64:65], -v[64:65], v[81:82], v[79:80]
	v_div_fmas_f64 v[64:65], v[64:65], v[77:78], v[81:82]
	v_div_fixup_f64 v[64:65], v[64:65], v[62:63], 1.0
	v_mul_f64 v[62:63], v[71:72], v[64:65]
	v_xor_b32_e32 v65, 0x80000000, v65
.LBB28_301:
	s_andn2_saveexec_b32 s1, s1
	s_cbranch_execz .LBB28_303
; %bb.302:
	v_div_scale_f64 v[71:72], null, v[62:63], v[62:63], v[64:65]
	v_div_scale_f64 v[81:82], vcc_lo, v[64:65], v[62:63], v[64:65]
	v_rcp_f64_e32 v[77:78], v[71:72]
	v_fma_f64 v[79:80], -v[71:72], v[77:78], 1.0
	v_fma_f64 v[77:78], v[77:78], v[79:80], v[77:78]
	v_fma_f64 v[79:80], -v[71:72], v[77:78], 1.0
	v_fma_f64 v[77:78], v[77:78], v[79:80], v[77:78]
	v_mul_f64 v[79:80], v[81:82], v[77:78]
	v_fma_f64 v[71:72], -v[71:72], v[79:80], v[81:82]
	v_div_fmas_f64 v[71:72], v[71:72], v[77:78], v[79:80]
	v_div_fixup_f64 v[71:72], v[71:72], v[62:63], v[64:65]
	v_fma_f64 v[62:63], v[64:65], v[71:72], v[62:63]
	v_div_scale_f64 v[64:65], null, v[62:63], v[62:63], 1.0
	v_rcp_f64_e32 v[77:78], v[64:65]
	v_fma_f64 v[79:80], -v[64:65], v[77:78], 1.0
	v_fma_f64 v[77:78], v[77:78], v[79:80], v[77:78]
	v_fma_f64 v[79:80], -v[64:65], v[77:78], 1.0
	v_fma_f64 v[77:78], v[77:78], v[79:80], v[77:78]
	v_div_scale_f64 v[79:80], vcc_lo, 1.0, v[62:63], 1.0
	v_mul_f64 v[81:82], v[79:80], v[77:78]
	v_fma_f64 v[64:65], -v[64:65], v[81:82], v[79:80]
	v_div_fmas_f64 v[64:65], v[64:65], v[77:78], v[81:82]
	v_div_fixup_f64 v[62:63], v[64:65], v[62:63], 1.0
	v_mul_f64 v[64:65], v[71:72], -v[62:63]
.LBB28_303:
	s_or_b32 exec_lo, exec_lo, s1
.LBB28_304:
	s_or_b32 exec_lo, exec_lo, s0
	v_mov_b32_e32 v71, 14
	s_mov_b32 s0, exec_lo
	v_cmpx_ne_u32_e64 v76, v70
	s_cbranch_execz .LBB28_310
; %bb.305:
	s_mov_b32 s1, exec_lo
	v_cmpx_eq_u32_e32 14, v76
	s_cbranch_execz .LBB28_309
; %bb.306:
	v_cmp_ne_u32_e32 vcc_lo, 14, v70
	s_xor_b32 s2, s16, -1
	s_and_b32 s3, s2, vcc_lo
	s_and_saveexec_b32 s2, s3
	s_cbranch_execz .LBB28_308
; %bb.307:
	v_ashrrev_i32_e32 v71, 31, v70
	v_lshlrev_b64 v[0:1], 2, v[70:71]
	v_add_co_u32 v0, vcc_lo, v68, v0
	v_add_co_ci_u32_e64 v1, null, v69, v1, vcc_lo
	s_clause 0x1
	global_load_dword v71, v[0:1], off
	global_load_dword v72, v[68:69], off offset:56
	s_waitcnt vmcnt(1)
	global_store_dword v[68:69], v71, off offset:56
	s_waitcnt vmcnt(0)
	global_store_dword v[0:1], v72, off
.LBB28_308:
	s_or_b32 exec_lo, exec_lo, s2
	v_mov_b32_e32 v76, v70
	v_mov_b32_e32 v0, v70
.LBB28_309:
	s_or_b32 exec_lo, exec_lo, s1
	v_mov_b32_e32 v71, v76
.LBB28_310:
	s_or_b32 exec_lo, exec_lo, s0
	s_mov_b32 s0, exec_lo
	s_waitcnt_vscnt null, 0x0
	s_barrier
	buffer_gl0_inv
	v_cmpx_lt_i32_e32 14, v71
	s_cbranch_execz .LBB28_312
; %bb.311:
	v_mul_f64 v[68:69], v[64:65], v[4:5]
	v_mul_f64 v[4:5], v[62:63], v[4:5]
	v_fma_f64 v[62:63], v[62:63], v[2:3], -v[68:69]
	v_fma_f64 v[4:5], v[64:65], v[2:3], v[4:5]
	v_mov_b32_e32 v2, v62
	v_mov_b32_e32 v3, v63
.LBB28_312:
	s_or_b32 exec_lo, exec_lo, s0
	v_ashrrev_i32_e32 v72, 31, v71
	s_mov_b32 s0, exec_lo
	s_barrier
	buffer_gl0_inv
	v_cmpx_gt_i32_e32 15, v71
	s_cbranch_execz .LBB28_314
; %bb.313:
	v_mul_lo_u32 v1, s15, v66
	v_mul_lo_u32 v64, s14, v67
	v_mad_u64_u32 v[62:63], null, s14, v66, 0
	s_lshl_b64 s[2:3], s[12:13], 2
	v_add3_u32 v0, v0, s17, 1
	v_add3_u32 v63, v63, v64, v1
	v_lshlrev_b64 v[62:63], 2, v[62:63]
	v_add_co_u32 v1, vcc_lo, s10, v62
	v_add_co_ci_u32_e64 v64, null, s11, v63, vcc_lo
	v_lshlrev_b64 v[62:63], 2, v[71:72]
	v_add_co_u32 v1, vcc_lo, v1, s2
	v_add_co_ci_u32_e64 v64, null, s3, v64, vcc_lo
	v_add_co_u32 v62, vcc_lo, v1, v62
	v_add_co_ci_u32_e64 v63, null, v64, v63, vcc_lo
	global_store_dword v[62:63], v0, off
.LBB28_314:
	s_or_b32 exec_lo, exec_lo, s0
	s_mov_b32 s1, exec_lo
	v_cmpx_eq_u32_e32 0, v71
	s_cbranch_execz .LBB28_317
; %bb.315:
	v_lshlrev_b64 v[0:1], 2, v[66:67]
	v_cmp_ne_u32_e64 s0, 0, v75
	v_add_co_u32 v0, vcc_lo, s4, v0
	v_add_co_ci_u32_e64 v1, null, s5, v1, vcc_lo
	global_load_dword v62, v[0:1], off
	s_waitcnt vmcnt(0)
	v_cmp_eq_u32_e32 vcc_lo, 0, v62
	s_and_b32 s0, vcc_lo, s0
	s_and_b32 exec_lo, exec_lo, s0
	s_cbranch_execz .LBB28_317
; %bb.316:
	v_add_nc_u32_e32 v62, s17, v75
	global_store_dword v[0:1], v62, off
.LBB28_317:
	s_or_b32 exec_lo, exec_lo, s1
	v_add3_u32 v0, s6, s6, v71
	v_lshlrev_b64 v[62:63], 4, v[71:72]
	v_ashrrev_i32_e32 v1, 31, v0
	v_add_nc_u32_e32 v64, s6, v0
	v_add_co_u32 v62, vcc_lo, v73, v62
	v_add_co_ci_u32_e64 v63, null, v74, v63, vcc_lo
	v_lshlrev_b64 v[0:1], 4, v[0:1]
	v_add_co_u32 v68, vcc_lo, v62, s8
	v_add_co_ci_u32_e64 v69, null, s9, v63, vcc_lo
	v_add_nc_u32_e32 v66, s6, v64
	v_add_co_u32 v0, vcc_lo, v73, v0
	v_add_co_ci_u32_e64 v1, null, v74, v1, vcc_lo
	v_ashrrev_i32_e32 v65, 31, v64
	v_ashrrev_i32_e32 v67, 31, v66
	global_store_dwordx4 v[62:63], v[58:61], off
	global_store_dwordx4 v[68:69], v[54:57], off
	;; [unrolled: 1-line block ×3, first 2 shown]
	v_add_nc_u32_e32 v50, s6, v66
	v_lshlrev_b64 v[58:59], 4, v[64:65]
	v_lshlrev_b64 v[0:1], 4, v[66:67]
	v_add_nc_u32_e32 v54, s6, v50
	v_ashrrev_i32_e32 v51, 31, v50
	v_add_co_u32 v52, vcc_lo, v73, v58
	v_add_co_ci_u32_e64 v53, null, v74, v59, vcc_lo
	v_add_nc_u32_e32 v56, s6, v54
	v_add_co_u32 v0, vcc_lo, v73, v0
	v_add_co_ci_u32_e64 v1, null, v74, v1, vcc_lo
	v_ashrrev_i32_e32 v55, 31, v54
	v_ashrrev_i32_e32 v57, 31, v56
	v_lshlrev_b64 v[50:51], 4, v[50:51]
	global_store_dwordx4 v[52:53], v[42:45], off
	global_store_dwordx4 v[0:1], v[46:49], off
	v_add_nc_u32_e32 v46, s6, v56
	v_lshlrev_b64 v[0:1], 4, v[54:55]
	v_lshlrev_b64 v[44:45], 4, v[56:57]
	v_add_co_u32 v42, vcc_lo, v73, v50
	v_add_nc_u32_e32 v48, s6, v46
	v_add_co_ci_u32_e64 v43, null, v74, v51, vcc_lo
	v_add_co_u32 v0, vcc_lo, v73, v0
	v_ashrrev_i32_e32 v47, 31, v46
	v_add_co_ci_u32_e64 v1, null, v74, v1, vcc_lo
	v_add_co_u32 v44, vcc_lo, v73, v44
	v_ashrrev_i32_e32 v49, 31, v48
	v_add_co_ci_u32_e64 v45, null, v74, v45, vcc_lo
	global_store_dwordx4 v[42:43], v[30:33], off
	v_lshlrev_b64 v[30:31], 4, v[46:47]
	v_add_nc_u32_e32 v32, s6, v48
	global_store_dwordx4 v[0:1], v[38:41], off
	global_store_dwordx4 v[44:45], v[34:37], off
	v_lshlrev_b64 v[0:1], 4, v[48:49]
	v_add_nc_u32_e32 v34, s6, v32
	v_add_co_u32 v30, vcc_lo, v73, v30
	v_add_co_ci_u32_e64 v31, null, v74, v31, vcc_lo
	v_add_co_u32 v0, vcc_lo, v73, v0
	v_add_co_ci_u32_e64 v1, null, v74, v1, vcc_lo
	v_add_nc_u32_e32 v36, s6, v34
	v_ashrrev_i32_e32 v33, 31, v32
	global_store_dwordx4 v[30:31], v[26:29], off
	global_store_dwordx4 v[0:1], v[22:25], off
	v_ashrrev_i32_e32 v35, 31, v34
	v_add_nc_u32_e32 v22, s6, v36
	v_lshlrev_b64 v[26:27], 4, v[32:33]
	v_ashrrev_i32_e32 v37, 31, v36
	v_lshlrev_b64 v[0:1], 4, v[34:35]
	v_add_nc_u32_e32 v28, s6, v22
	v_ashrrev_i32_e32 v23, 31, v22
	v_add_co_u32 v24, vcc_lo, v73, v26
	v_add_co_ci_u32_e64 v25, null, v74, v27, vcc_lo
	v_ashrrev_i32_e32 v29, 31, v28
	v_lshlrev_b64 v[26:27], 4, v[36:37]
	v_lshlrev_b64 v[22:23], 4, v[22:23]
	v_add_co_u32 v0, vcc_lo, v73, v0
	v_lshlrev_b64 v[28:29], 4, v[28:29]
	v_add_co_ci_u32_e64 v1, null, v74, v1, vcc_lo
	v_add_co_u32 v26, vcc_lo, v73, v26
	v_add_co_ci_u32_e64 v27, null, v74, v27, vcc_lo
	v_add_co_u32 v22, vcc_lo, v73, v22
	v_add_co_ci_u32_e64 v23, null, v74, v23, vcc_lo
	v_add_co_u32 v28, vcc_lo, v73, v28
	v_add_co_ci_u32_e64 v29, null, v74, v29, vcc_lo
	global_store_dwordx4 v[24:25], v[18:21], off
	global_store_dwordx4 v[0:1], v[14:17], off
	;; [unrolled: 1-line block ×5, first 2 shown]
.LBB28_318:
	s_endpgm
	.section	.rodata,"a",@progbits
	.p2align	6, 0x0
	.amdhsa_kernel _ZN9rocsolver6v33100L18getf2_small_kernelILi15E19rocblas_complex_numIdEiiPS3_EEvT1_T3_lS5_lPS5_llPT2_S5_S5_S7_l
		.amdhsa_group_segment_fixed_size 0
		.amdhsa_private_segment_fixed_size 0
		.amdhsa_kernarg_size 352
		.amdhsa_user_sgpr_count 6
		.amdhsa_user_sgpr_private_segment_buffer 1
		.amdhsa_user_sgpr_dispatch_ptr 0
		.amdhsa_user_sgpr_queue_ptr 0
		.amdhsa_user_sgpr_kernarg_segment_ptr 1
		.amdhsa_user_sgpr_dispatch_id 0
		.amdhsa_user_sgpr_flat_scratch_init 0
		.amdhsa_user_sgpr_private_segment_size 0
		.amdhsa_wavefront_size32 1
		.amdhsa_uses_dynamic_stack 0
		.amdhsa_system_sgpr_private_segment_wavefront_offset 0
		.amdhsa_system_sgpr_workgroup_id_x 1
		.amdhsa_system_sgpr_workgroup_id_y 1
		.amdhsa_system_sgpr_workgroup_id_z 0
		.amdhsa_system_sgpr_workgroup_info 0
		.amdhsa_system_vgpr_workitem_id 1
		.amdhsa_next_free_vgpr 88
		.amdhsa_next_free_sgpr 19
		.amdhsa_reserve_vcc 1
		.amdhsa_reserve_flat_scratch 0
		.amdhsa_float_round_mode_32 0
		.amdhsa_float_round_mode_16_64 0
		.amdhsa_float_denorm_mode_32 3
		.amdhsa_float_denorm_mode_16_64 3
		.amdhsa_dx10_clamp 1
		.amdhsa_ieee_mode 1
		.amdhsa_fp16_overflow 0
		.amdhsa_workgroup_processor_mode 1
		.amdhsa_memory_ordered 1
		.amdhsa_forward_progress 1
		.amdhsa_shared_vgpr_count 0
		.amdhsa_exception_fp_ieee_invalid_op 0
		.amdhsa_exception_fp_denorm_src 0
		.amdhsa_exception_fp_ieee_div_zero 0
		.amdhsa_exception_fp_ieee_overflow 0
		.amdhsa_exception_fp_ieee_underflow 0
		.amdhsa_exception_fp_ieee_inexact 0
		.amdhsa_exception_int_div_zero 0
	.end_amdhsa_kernel
	.section	.text._ZN9rocsolver6v33100L18getf2_small_kernelILi15E19rocblas_complex_numIdEiiPS3_EEvT1_T3_lS5_lPS5_llPT2_S5_S5_S7_l,"axG",@progbits,_ZN9rocsolver6v33100L18getf2_small_kernelILi15E19rocblas_complex_numIdEiiPS3_EEvT1_T3_lS5_lPS5_llPT2_S5_S5_S7_l,comdat
.Lfunc_end28:
	.size	_ZN9rocsolver6v33100L18getf2_small_kernelILi15E19rocblas_complex_numIdEiiPS3_EEvT1_T3_lS5_lPS5_llPT2_S5_S5_S7_l, .Lfunc_end28-_ZN9rocsolver6v33100L18getf2_small_kernelILi15E19rocblas_complex_numIdEiiPS3_EEvT1_T3_lS5_lPS5_llPT2_S5_S5_S7_l
                                        ; -- End function
	.set _ZN9rocsolver6v33100L18getf2_small_kernelILi15E19rocblas_complex_numIdEiiPS3_EEvT1_T3_lS5_lPS5_llPT2_S5_S5_S7_l.num_vgpr, 88
	.set _ZN9rocsolver6v33100L18getf2_small_kernelILi15E19rocblas_complex_numIdEiiPS3_EEvT1_T3_lS5_lPS5_llPT2_S5_S5_S7_l.num_agpr, 0
	.set _ZN9rocsolver6v33100L18getf2_small_kernelILi15E19rocblas_complex_numIdEiiPS3_EEvT1_T3_lS5_lPS5_llPT2_S5_S5_S7_l.numbered_sgpr, 19
	.set _ZN9rocsolver6v33100L18getf2_small_kernelILi15E19rocblas_complex_numIdEiiPS3_EEvT1_T3_lS5_lPS5_llPT2_S5_S5_S7_l.num_named_barrier, 0
	.set _ZN9rocsolver6v33100L18getf2_small_kernelILi15E19rocblas_complex_numIdEiiPS3_EEvT1_T3_lS5_lPS5_llPT2_S5_S5_S7_l.private_seg_size, 0
	.set _ZN9rocsolver6v33100L18getf2_small_kernelILi15E19rocblas_complex_numIdEiiPS3_EEvT1_T3_lS5_lPS5_llPT2_S5_S5_S7_l.uses_vcc, 1
	.set _ZN9rocsolver6v33100L18getf2_small_kernelILi15E19rocblas_complex_numIdEiiPS3_EEvT1_T3_lS5_lPS5_llPT2_S5_S5_S7_l.uses_flat_scratch, 0
	.set _ZN9rocsolver6v33100L18getf2_small_kernelILi15E19rocblas_complex_numIdEiiPS3_EEvT1_T3_lS5_lPS5_llPT2_S5_S5_S7_l.has_dyn_sized_stack, 0
	.set _ZN9rocsolver6v33100L18getf2_small_kernelILi15E19rocblas_complex_numIdEiiPS3_EEvT1_T3_lS5_lPS5_llPT2_S5_S5_S7_l.has_recursion, 0
	.set _ZN9rocsolver6v33100L18getf2_small_kernelILi15E19rocblas_complex_numIdEiiPS3_EEvT1_T3_lS5_lPS5_llPT2_S5_S5_S7_l.has_indirect_call, 0
	.section	.AMDGPU.csdata,"",@progbits
; Kernel info:
; codeLenInByte = 23624
; TotalNumSgprs: 21
; NumVgprs: 88
; ScratchSize: 0
; MemoryBound: 0
; FloatMode: 240
; IeeeMode: 1
; LDSByteSize: 0 bytes/workgroup (compile time only)
; SGPRBlocks: 0
; VGPRBlocks: 10
; NumSGPRsForWavesPerEU: 21
; NumVGPRsForWavesPerEU: 88
; Occupancy: 10
; WaveLimiterHint : 0
; COMPUTE_PGM_RSRC2:SCRATCH_EN: 0
; COMPUTE_PGM_RSRC2:USER_SGPR: 6
; COMPUTE_PGM_RSRC2:TRAP_HANDLER: 0
; COMPUTE_PGM_RSRC2:TGID_X_EN: 1
; COMPUTE_PGM_RSRC2:TGID_Y_EN: 1
; COMPUTE_PGM_RSRC2:TGID_Z_EN: 0
; COMPUTE_PGM_RSRC2:TIDIG_COMP_CNT: 1
	.section	.text._ZN9rocsolver6v33100L23getf2_npvt_small_kernelILi15E19rocblas_complex_numIdEiiPS3_EEvT1_T3_lS5_lPT2_S5_S5_,"axG",@progbits,_ZN9rocsolver6v33100L23getf2_npvt_small_kernelILi15E19rocblas_complex_numIdEiiPS3_EEvT1_T3_lS5_lPT2_S5_S5_,comdat
	.globl	_ZN9rocsolver6v33100L23getf2_npvt_small_kernelILi15E19rocblas_complex_numIdEiiPS3_EEvT1_T3_lS5_lPT2_S5_S5_ ; -- Begin function _ZN9rocsolver6v33100L23getf2_npvt_small_kernelILi15E19rocblas_complex_numIdEiiPS3_EEvT1_T3_lS5_lPT2_S5_S5_
	.p2align	8
	.type	_ZN9rocsolver6v33100L23getf2_npvt_small_kernelILi15E19rocblas_complex_numIdEiiPS3_EEvT1_T3_lS5_lPT2_S5_S5_,@function
_ZN9rocsolver6v33100L23getf2_npvt_small_kernelILi15E19rocblas_complex_numIdEiiPS3_EEvT1_T3_lS5_lPT2_S5_S5_: ; @_ZN9rocsolver6v33100L23getf2_npvt_small_kernelILi15E19rocblas_complex_numIdEiiPS3_EEvT1_T3_lS5_lPT2_S5_S5_
; %bb.0:
	s_clause 0x1
	s_load_dword s0, s[4:5], 0x44
	s_load_dwordx2 s[12:13], s[4:5], 0x30
	s_waitcnt lgkmcnt(0)
	s_lshr_b32 s14, s0, 16
	s_mov_b32 s0, exec_lo
	v_mad_u64_u32 v[138:139], null, s7, s14, v[1:2]
	v_cmpx_gt_i32_e64 s12, v138
	s_cbranch_execz .LBB29_140
; %bb.1:
	s_clause 0x2
	s_load_dwordx4 s[8:11], s[4:5], 0x20
	s_load_dword s6, s[4:5], 0x18
	s_load_dwordx4 s[0:3], s[4:5], 0x8
	v_ashrrev_i32_e32 v139, 31, v138
	v_lshlrev_b32_e32 v12, 4, v0
	v_lshlrev_b32_e32 v62, 4, v1
	s_mulk_i32 s14, 0xf0
	v_mad_u32_u24 v154, 0xf0, v1, 0
	v_add3_u32 v1, 0, s14, v62
	s_waitcnt lgkmcnt(0)
	v_mul_lo_u32 v5, s9, v138
	v_mul_lo_u32 v7, s8, v139
	v_mad_u64_u32 v[2:3], null, s8, v138, 0
	v_add3_u32 v4, s6, s6, v0
	s_lshl_b64 s[2:3], s[2:3], 4
	s_ashr_i32 s7, s6, 31
	s_lshl_b64 s[4:5], s[6:7], 4
	v_add_nc_u32_e32 v6, s6, v4
	v_add3_u32 v3, v3, v7, v5
	v_ashrrev_i32_e32 v5, 31, v4
	v_add_nc_u32_e32 v8, s6, v6
	v_lshlrev_b64 v[2:3], 4, v[2:3]
	v_ashrrev_i32_e32 v7, 31, v6
	v_lshlrev_b64 v[4:5], 4, v[4:5]
	v_add_nc_u32_e32 v10, s6, v8
	v_ashrrev_i32_e32 v9, 31, v8
	v_add_co_u32 v2, vcc_lo, s0, v2
	v_add_co_ci_u32_e64 v3, null, s1, v3, vcc_lo
	v_lshlrev_b64 v[6:7], 4, v[6:7]
	v_add_co_u32 v26, vcc_lo, v2, s2
	v_add_co_ci_u32_e64 v27, null, s3, v3, vcc_lo
	v_add_nc_u32_e32 v20, s6, v10
	v_add_co_u32 v126, vcc_lo, v26, v12
	v_lshlrev_b64 v[18:19], 4, v[8:9]
	v_ashrrev_i32_e32 v11, 31, v10
	v_add_co_ci_u32_e64 v127, null, 0, v27, vcc_lo
	v_add_co_u32 v124, vcc_lo, v26, v4
	v_add_co_ci_u32_e64 v125, null, v27, v5, vcc_lo
	v_add_co_u32 v122, vcc_lo, v26, v6
	v_ashrrev_i32_e32 v21, 31, v20
	v_add_nc_u32_e32 v24, s6, v20
	v_add_co_ci_u32_e64 v123, null, v27, v7, vcc_lo
	v_add_co_u32 v128, vcc_lo, v126, s4
	v_lshlrev_b64 v[22:23], 4, v[10:11]
	v_add_co_ci_u32_e64 v129, null, s5, v127, vcc_lo
	v_add_co_u32 v130, vcc_lo, v26, v18
	v_add_co_ci_u32_e64 v131, null, v27, v19, vcc_lo
	v_lshlrev_b64 v[18:19], 4, v[20:21]
	v_ashrrev_i32_e32 v25, 31, v24
	v_add_nc_u32_e32 v20, s6, v24
	v_add_co_u32 v132, vcc_lo, v26, v22
	v_add_co_ci_u32_e64 v133, null, v27, v23, vcc_lo
	v_lshlrev_b64 v[22:23], 4, v[24:25]
	v_ashrrev_i32_e32 v21, 31, v20
	v_add_nc_u32_e32 v24, s6, v20
	;; [unrolled: 5-line block ×6, first 2 shown]
	v_add_co_u32 v144, vcc_lo, v26, v18
	v_add_co_ci_u32_e64 v145, null, v27, v19, vcc_lo
	v_lshlrev_b64 v[18:19], 4, v[20:21]
	v_add_nc_u32_e32 v20, s6, v24
	v_ashrrev_i32_e32 v25, 31, v24
	v_add_co_u32 v150, vcc_lo, v26, v22
	v_add_co_ci_u32_e64 v151, null, v27, v23, vcc_lo
	v_ashrrev_i32_e32 v21, 31, v20
	v_lshlrev_b64 v[22:23], 4, v[24:25]
	v_add_co_u32 v146, vcc_lo, v26, v18
	v_add_co_ci_u32_e64 v147, null, v27, v19, vcc_lo
	v_lshlrev_b64 v[18:19], 4, v[20:21]
	v_add_co_u32 v148, vcc_lo, v26, v22
	v_add_co_ci_u32_e64 v149, null, v27, v23, vcc_lo
	s_clause 0x3
	global_load_dwordx4 v[6:9], v[124:125], off
	global_load_dwordx4 v[2:5], v[122:123], off
	;; [unrolled: 1-line block ×4, first 2 shown]
	v_add_co_u32 v152, vcc_lo, v26, v18
	v_add_co_ci_u32_e64 v153, null, v27, v19, vcc_lo
	s_clause 0xa
	global_load_dwordx4 v[58:61], v[130:131], off
	global_load_dwordx4 v[54:57], v[132:133], off
	;; [unrolled: 1-line block ×11, first 2 shown]
	v_cmp_ne_u32_e64 s1, 0, v0
	v_cmp_eq_u32_e64 s0, 0, v0
	s_and_saveexec_b32 s3, s0
	s_cbranch_execz .LBB29_8
; %bb.2:
	s_waitcnt vmcnt(12)
	ds_write2_b64 v1, v[14:15], v[16:17] offset1:1
	s_waitcnt vmcnt(11)
	ds_write2_b64 v154, v[10:11], v[12:13] offset0:2 offset1:3
	ds_write2_b64 v154, v[6:7], v[8:9] offset0:4 offset1:5
	;; [unrolled: 1-line block ×3, first 2 shown]
	s_waitcnt vmcnt(10)
	ds_write2_b64 v154, v[58:59], v[60:61] offset0:8 offset1:9
	s_waitcnt vmcnt(9)
	ds_write2_b64 v154, v[54:55], v[56:57] offset0:10 offset1:11
	s_waitcnt vmcnt(8)
	ds_write2_b64 v154, v[50:51], v[52:53] offset0:12 offset1:13
	s_waitcnt vmcnt(7)
	ds_write2_b64 v154, v[46:47], v[48:49] offset0:14 offset1:15
	s_waitcnt vmcnt(6)
	ds_write2_b64 v154, v[42:43], v[44:45] offset0:16 offset1:17
	s_waitcnt vmcnt(5)
	ds_write2_b64 v154, v[38:39], v[40:41] offset0:18 offset1:19
	s_waitcnt vmcnt(4)
	ds_write2_b64 v154, v[34:35], v[36:37] offset0:20 offset1:21
	s_waitcnt vmcnt(3)
	ds_write2_b64 v154, v[30:31], v[32:33] offset0:22 offset1:23
	s_waitcnt vmcnt(2)
	ds_write2_b64 v154, v[26:27], v[28:29] offset0:24 offset1:25
	s_waitcnt vmcnt(1)
	ds_write2_b64 v154, v[22:23], v[24:25] offset0:26 offset1:27
	s_waitcnt vmcnt(0)
	ds_write2_b64 v154, v[18:19], v[20:21] offset0:28 offset1:29
	ds_read2_b64 v[62:65], v1 offset1:1
	s_waitcnt lgkmcnt(0)
	v_cmp_neq_f64_e32 vcc_lo, 0, v[62:63]
	v_cmp_neq_f64_e64 s2, 0, v[64:65]
	s_or_b32 s2, vcc_lo, s2
	s_and_b32 exec_lo, exec_lo, s2
	s_cbranch_execz .LBB29_8
; %bb.3:
	v_cmp_ngt_f64_e64 s2, |v[62:63]|, |v[64:65]|
                                        ; implicit-def: $vgpr66_vgpr67
	s_and_saveexec_b32 s4, s2
	s_xor_b32 s2, exec_lo, s4
                                        ; implicit-def: $vgpr68_vgpr69
	s_cbranch_execz .LBB29_5
; %bb.4:
	v_div_scale_f64 v[66:67], null, v[64:65], v[64:65], v[62:63]
	v_div_scale_f64 v[72:73], vcc_lo, v[62:63], v[64:65], v[62:63]
	v_rcp_f64_e32 v[68:69], v[66:67]
	v_fma_f64 v[70:71], -v[66:67], v[68:69], 1.0
	v_fma_f64 v[68:69], v[68:69], v[70:71], v[68:69]
	v_fma_f64 v[70:71], -v[66:67], v[68:69], 1.0
	v_fma_f64 v[68:69], v[68:69], v[70:71], v[68:69]
	v_mul_f64 v[70:71], v[72:73], v[68:69]
	v_fma_f64 v[66:67], -v[66:67], v[70:71], v[72:73]
	v_div_fmas_f64 v[66:67], v[66:67], v[68:69], v[70:71]
	v_div_fixup_f64 v[66:67], v[66:67], v[64:65], v[62:63]
	v_fma_f64 v[62:63], v[62:63], v[66:67], v[64:65]
	v_div_scale_f64 v[64:65], null, v[62:63], v[62:63], 1.0
	v_rcp_f64_e32 v[68:69], v[64:65]
	v_fma_f64 v[70:71], -v[64:65], v[68:69], 1.0
	v_fma_f64 v[68:69], v[68:69], v[70:71], v[68:69]
	v_fma_f64 v[70:71], -v[64:65], v[68:69], 1.0
	v_fma_f64 v[68:69], v[68:69], v[70:71], v[68:69]
	v_div_scale_f64 v[70:71], vcc_lo, 1.0, v[62:63], 1.0
	v_mul_f64 v[72:73], v[70:71], v[68:69]
	v_fma_f64 v[64:65], -v[64:65], v[72:73], v[70:71]
	v_div_fmas_f64 v[64:65], v[64:65], v[68:69], v[72:73]
	v_div_fixup_f64 v[68:69], v[64:65], v[62:63], 1.0
                                        ; implicit-def: $vgpr62_vgpr63
	v_mul_f64 v[66:67], v[66:67], v[68:69]
	v_xor_b32_e32 v69, 0x80000000, v69
.LBB29_5:
	s_andn2_saveexec_b32 s2, s2
	s_cbranch_execz .LBB29_7
; %bb.6:
	v_div_scale_f64 v[66:67], null, v[62:63], v[62:63], v[64:65]
	v_div_scale_f64 v[72:73], vcc_lo, v[64:65], v[62:63], v[64:65]
	v_rcp_f64_e32 v[68:69], v[66:67]
	v_fma_f64 v[70:71], -v[66:67], v[68:69], 1.0
	v_fma_f64 v[68:69], v[68:69], v[70:71], v[68:69]
	v_fma_f64 v[70:71], -v[66:67], v[68:69], 1.0
	v_fma_f64 v[68:69], v[68:69], v[70:71], v[68:69]
	v_mul_f64 v[70:71], v[72:73], v[68:69]
	v_fma_f64 v[66:67], -v[66:67], v[70:71], v[72:73]
	v_div_fmas_f64 v[66:67], v[66:67], v[68:69], v[70:71]
	v_div_fixup_f64 v[68:69], v[66:67], v[62:63], v[64:65]
	v_fma_f64 v[62:63], v[64:65], v[68:69], v[62:63]
	v_div_scale_f64 v[64:65], null, v[62:63], v[62:63], 1.0
	v_rcp_f64_e32 v[66:67], v[64:65]
	v_fma_f64 v[70:71], -v[64:65], v[66:67], 1.0
	v_fma_f64 v[66:67], v[66:67], v[70:71], v[66:67]
	v_fma_f64 v[70:71], -v[64:65], v[66:67], 1.0
	v_fma_f64 v[66:67], v[66:67], v[70:71], v[66:67]
	v_div_scale_f64 v[70:71], vcc_lo, 1.0, v[62:63], 1.0
	v_mul_f64 v[72:73], v[70:71], v[66:67]
	v_fma_f64 v[64:65], -v[64:65], v[72:73], v[70:71]
	v_div_fmas_f64 v[64:65], v[64:65], v[66:67], v[72:73]
	v_div_fixup_f64 v[66:67], v[64:65], v[62:63], 1.0
	v_mul_f64 v[68:69], v[68:69], -v[66:67]
.LBB29_7:
	s_or_b32 exec_lo, exec_lo, s2
	ds_write2_b64 v1, v[66:67], v[68:69] offset1:1
.LBB29_8:
	s_or_b32 exec_lo, exec_lo, s3
	s_waitcnt vmcnt(0) lgkmcnt(0)
	s_barrier
	buffer_gl0_inv
	ds_read2_b64 v[62:65], v1 offset1:1
	s_and_saveexec_b32 s2, s1
	s_cbranch_execz .LBB29_10
; %bb.9:
	s_waitcnt lgkmcnt(0)
	v_mul_f64 v[66:67], v[62:63], v[16:17]
	v_mul_f64 v[16:17], v[64:65], v[16:17]
	v_fma_f64 v[155:156], v[64:65], v[14:15], v[66:67]
	ds_read2_b64 v[66:69], v154 offset0:2 offset1:3
	ds_read2_b64 v[70:73], v154 offset0:4 offset1:5
	ds_read2_b64 v[74:77], v154 offset0:6 offset1:7
	ds_read2_b64 v[78:81], v154 offset0:8 offset1:9
	ds_read2_b64 v[82:85], v154 offset0:10 offset1:11
	ds_read2_b64 v[86:89], v154 offset0:12 offset1:13
	ds_read2_b64 v[90:93], v154 offset0:14 offset1:15
	ds_read2_b64 v[94:97], v154 offset0:16 offset1:17
	ds_read2_b64 v[98:101], v154 offset0:18 offset1:19
	ds_read2_b64 v[102:105], v154 offset0:20 offset1:21
	ds_read2_b64 v[106:109], v154 offset0:22 offset1:23
	ds_read2_b64 v[110:113], v154 offset0:24 offset1:25
	ds_read2_b64 v[114:117], v154 offset0:26 offset1:27
	ds_read2_b64 v[118:121], v154 offset0:28 offset1:29
	v_fma_f64 v[14:15], v[62:63], v[14:15], -v[16:17]
	s_waitcnt lgkmcnt(13)
	v_mul_f64 v[16:17], v[68:69], v[155:156]
	v_mul_f64 v[157:158], v[66:67], v[155:156]
	s_waitcnt lgkmcnt(12)
	v_mul_f64 v[159:160], v[72:73], v[155:156]
	v_mul_f64 v[161:162], v[70:71], v[155:156]
	s_waitcnt lgkmcnt(11)
	v_mul_f64 v[163:164], v[76:77], v[155:156]
	v_mul_f64 v[165:166], v[74:75], v[155:156]
	s_waitcnt lgkmcnt(10)
	v_mul_f64 v[167:168], v[80:81], v[155:156]
	v_mul_f64 v[169:170], v[78:79], v[155:156]
	s_waitcnt lgkmcnt(9)
	v_mul_f64 v[171:172], v[84:85], v[155:156]
	v_mul_f64 v[173:174], v[82:83], v[155:156]
	s_waitcnt lgkmcnt(8)
	v_mul_f64 v[175:176], v[88:89], v[155:156]
	v_mul_f64 v[177:178], v[86:87], v[155:156]
	s_waitcnt lgkmcnt(7)
	v_mul_f64 v[179:180], v[92:93], v[155:156]
	v_mul_f64 v[181:182], v[90:91], v[155:156]
	s_waitcnt lgkmcnt(6)
	v_mul_f64 v[183:184], v[96:97], v[155:156]
	v_mul_f64 v[185:186], v[94:95], v[155:156]
	s_waitcnt lgkmcnt(5)
	v_mul_f64 v[187:188], v[100:101], v[155:156]
	v_mul_f64 v[189:190], v[98:99], v[155:156]
	s_waitcnt lgkmcnt(4)
	v_mul_f64 v[191:192], v[104:105], v[155:156]
	v_mul_f64 v[193:194], v[102:103], v[155:156]
	s_waitcnt lgkmcnt(3)
	v_mul_f64 v[195:196], v[108:109], v[155:156]
	v_mul_f64 v[197:198], v[106:107], v[155:156]
	s_waitcnt lgkmcnt(2)
	v_mul_f64 v[199:200], v[112:113], v[155:156]
	v_mul_f64 v[201:202], v[110:111], v[155:156]
	s_waitcnt lgkmcnt(1)
	v_mul_f64 v[203:204], v[116:117], v[155:156]
	v_mul_f64 v[205:206], v[114:115], v[155:156]
	s_waitcnt lgkmcnt(0)
	v_mul_f64 v[207:208], v[120:121], v[155:156]
	v_mul_f64 v[209:210], v[118:119], v[155:156]
	v_fma_f64 v[16:17], v[66:67], v[14:15], -v[16:17]
	v_fma_f64 v[66:67], v[68:69], v[14:15], v[157:158]
	v_fma_f64 v[68:69], v[70:71], v[14:15], -v[159:160]
	v_fma_f64 v[70:71], v[72:73], v[14:15], v[161:162]
	;; [unrolled: 2-line block ×14, first 2 shown]
	v_add_f64 v[10:11], v[10:11], -v[16:17]
	v_add_f64 v[12:13], v[12:13], -v[66:67]
	;; [unrolled: 1-line block ×28, first 2 shown]
	v_mov_b32_e32 v16, v155
	v_mov_b32_e32 v17, v156
.LBB29_10:
	s_or_b32 exec_lo, exec_lo, s2
	s_mov_b32 s2, exec_lo
	s_waitcnt lgkmcnt(0)
	s_barrier
	buffer_gl0_inv
	v_cmpx_eq_u32_e32 1, v0
	s_cbranch_execz .LBB29_17
; %bb.11:
	ds_write2_b64 v1, v[10:11], v[12:13] offset1:1
	ds_write2_b64 v154, v[6:7], v[8:9] offset0:4 offset1:5
	ds_write2_b64 v154, v[2:3], v[4:5] offset0:6 offset1:7
	;; [unrolled: 1-line block ×13, first 2 shown]
	ds_read2_b64 v[66:69], v1 offset1:1
	s_waitcnt lgkmcnt(0)
	v_cmp_neq_f64_e32 vcc_lo, 0, v[66:67]
	v_cmp_neq_f64_e64 s1, 0, v[68:69]
	s_or_b32 s1, vcc_lo, s1
	s_and_b32 exec_lo, exec_lo, s1
	s_cbranch_execz .LBB29_17
; %bb.12:
	v_cmp_ngt_f64_e64 s1, |v[66:67]|, |v[68:69]|
                                        ; implicit-def: $vgpr70_vgpr71
	s_and_saveexec_b32 s3, s1
	s_xor_b32 s1, exec_lo, s3
                                        ; implicit-def: $vgpr72_vgpr73
	s_cbranch_execz .LBB29_14
; %bb.13:
	v_div_scale_f64 v[70:71], null, v[68:69], v[68:69], v[66:67]
	v_div_scale_f64 v[76:77], vcc_lo, v[66:67], v[68:69], v[66:67]
	v_rcp_f64_e32 v[72:73], v[70:71]
	v_fma_f64 v[74:75], -v[70:71], v[72:73], 1.0
	v_fma_f64 v[72:73], v[72:73], v[74:75], v[72:73]
	v_fma_f64 v[74:75], -v[70:71], v[72:73], 1.0
	v_fma_f64 v[72:73], v[72:73], v[74:75], v[72:73]
	v_mul_f64 v[74:75], v[76:77], v[72:73]
	v_fma_f64 v[70:71], -v[70:71], v[74:75], v[76:77]
	v_div_fmas_f64 v[70:71], v[70:71], v[72:73], v[74:75]
	v_div_fixup_f64 v[70:71], v[70:71], v[68:69], v[66:67]
	v_fma_f64 v[66:67], v[66:67], v[70:71], v[68:69]
	v_div_scale_f64 v[68:69], null, v[66:67], v[66:67], 1.0
	v_rcp_f64_e32 v[72:73], v[68:69]
	v_fma_f64 v[74:75], -v[68:69], v[72:73], 1.0
	v_fma_f64 v[72:73], v[72:73], v[74:75], v[72:73]
	v_fma_f64 v[74:75], -v[68:69], v[72:73], 1.0
	v_fma_f64 v[72:73], v[72:73], v[74:75], v[72:73]
	v_div_scale_f64 v[74:75], vcc_lo, 1.0, v[66:67], 1.0
	v_mul_f64 v[76:77], v[74:75], v[72:73]
	v_fma_f64 v[68:69], -v[68:69], v[76:77], v[74:75]
	v_div_fmas_f64 v[68:69], v[68:69], v[72:73], v[76:77]
	v_div_fixup_f64 v[72:73], v[68:69], v[66:67], 1.0
                                        ; implicit-def: $vgpr66_vgpr67
	v_mul_f64 v[70:71], v[70:71], v[72:73]
	v_xor_b32_e32 v73, 0x80000000, v73
.LBB29_14:
	s_andn2_saveexec_b32 s1, s1
	s_cbranch_execz .LBB29_16
; %bb.15:
	v_div_scale_f64 v[70:71], null, v[66:67], v[66:67], v[68:69]
	v_div_scale_f64 v[76:77], vcc_lo, v[68:69], v[66:67], v[68:69]
	v_rcp_f64_e32 v[72:73], v[70:71]
	v_fma_f64 v[74:75], -v[70:71], v[72:73], 1.0
	v_fma_f64 v[72:73], v[72:73], v[74:75], v[72:73]
	v_fma_f64 v[74:75], -v[70:71], v[72:73], 1.0
	v_fma_f64 v[72:73], v[72:73], v[74:75], v[72:73]
	v_mul_f64 v[74:75], v[76:77], v[72:73]
	v_fma_f64 v[70:71], -v[70:71], v[74:75], v[76:77]
	v_div_fmas_f64 v[70:71], v[70:71], v[72:73], v[74:75]
	v_div_fixup_f64 v[72:73], v[70:71], v[66:67], v[68:69]
	v_fma_f64 v[66:67], v[68:69], v[72:73], v[66:67]
	v_div_scale_f64 v[68:69], null, v[66:67], v[66:67], 1.0
	v_rcp_f64_e32 v[70:71], v[68:69]
	v_fma_f64 v[74:75], -v[68:69], v[70:71], 1.0
	v_fma_f64 v[70:71], v[70:71], v[74:75], v[70:71]
	v_fma_f64 v[74:75], -v[68:69], v[70:71], 1.0
	v_fma_f64 v[70:71], v[70:71], v[74:75], v[70:71]
	v_div_scale_f64 v[74:75], vcc_lo, 1.0, v[66:67], 1.0
	v_mul_f64 v[76:77], v[74:75], v[70:71]
	v_fma_f64 v[68:69], -v[68:69], v[76:77], v[74:75]
	v_div_fmas_f64 v[68:69], v[68:69], v[70:71], v[76:77]
	v_div_fixup_f64 v[70:71], v[68:69], v[66:67], 1.0
	v_mul_f64 v[72:73], v[72:73], -v[70:71]
.LBB29_16:
	s_or_b32 exec_lo, exec_lo, s1
	ds_write2_b64 v1, v[70:71], v[72:73] offset1:1
.LBB29_17:
	s_or_b32 exec_lo, exec_lo, s2
	s_waitcnt lgkmcnt(0)
	s_barrier
	buffer_gl0_inv
	ds_read2_b64 v[66:69], v1 offset1:1
	s_mov_b32 s1, exec_lo
	v_cmpx_lt_u32_e32 1, v0
	s_cbranch_execz .LBB29_19
; %bb.18:
	s_waitcnt lgkmcnt(0)
	v_mul_f64 v[70:71], v[66:67], v[12:13]
	v_mul_f64 v[12:13], v[68:69], v[12:13]
	v_fma_f64 v[155:156], v[68:69], v[10:11], v[70:71]
	ds_read2_b64 v[70:73], v154 offset0:4 offset1:5
	ds_read2_b64 v[74:77], v154 offset0:6 offset1:7
	ds_read2_b64 v[78:81], v154 offset0:8 offset1:9
	ds_read2_b64 v[82:85], v154 offset0:10 offset1:11
	ds_read2_b64 v[86:89], v154 offset0:12 offset1:13
	ds_read2_b64 v[90:93], v154 offset0:14 offset1:15
	ds_read2_b64 v[94:97], v154 offset0:16 offset1:17
	ds_read2_b64 v[98:101], v154 offset0:18 offset1:19
	ds_read2_b64 v[102:105], v154 offset0:20 offset1:21
	ds_read2_b64 v[106:109], v154 offset0:22 offset1:23
	ds_read2_b64 v[110:113], v154 offset0:24 offset1:25
	ds_read2_b64 v[114:117], v154 offset0:26 offset1:27
	ds_read2_b64 v[118:121], v154 offset0:28 offset1:29
	v_fma_f64 v[10:11], v[66:67], v[10:11], -v[12:13]
	s_waitcnt lgkmcnt(12)
	v_mul_f64 v[12:13], v[72:73], v[155:156]
	v_mul_f64 v[157:158], v[70:71], v[155:156]
	s_waitcnt lgkmcnt(11)
	v_mul_f64 v[159:160], v[76:77], v[155:156]
	v_mul_f64 v[161:162], v[74:75], v[155:156]
	;; [unrolled: 3-line block ×13, first 2 shown]
	v_fma_f64 v[12:13], v[70:71], v[10:11], -v[12:13]
	v_fma_f64 v[70:71], v[72:73], v[10:11], v[157:158]
	v_fma_f64 v[72:73], v[74:75], v[10:11], -v[159:160]
	v_fma_f64 v[74:75], v[76:77], v[10:11], v[161:162]
	;; [unrolled: 2-line block ×13, first 2 shown]
	v_add_f64 v[6:7], v[6:7], -v[12:13]
	v_add_f64 v[8:9], v[8:9], -v[70:71]
	;; [unrolled: 1-line block ×26, first 2 shown]
	v_mov_b32_e32 v12, v155
	v_mov_b32_e32 v13, v156
.LBB29_19:
	s_or_b32 exec_lo, exec_lo, s1
	s_mov_b32 s2, exec_lo
	s_waitcnt lgkmcnt(0)
	s_barrier
	buffer_gl0_inv
	v_cmpx_eq_u32_e32 2, v0
	s_cbranch_execz .LBB29_26
; %bb.20:
	ds_write2_b64 v1, v[6:7], v[8:9] offset1:1
	ds_write2_b64 v154, v[2:3], v[4:5] offset0:6 offset1:7
	ds_write2_b64 v154, v[58:59], v[60:61] offset0:8 offset1:9
	;; [unrolled: 1-line block ×12, first 2 shown]
	ds_read2_b64 v[70:73], v1 offset1:1
	s_waitcnt lgkmcnt(0)
	v_cmp_neq_f64_e32 vcc_lo, 0, v[70:71]
	v_cmp_neq_f64_e64 s1, 0, v[72:73]
	s_or_b32 s1, vcc_lo, s1
	s_and_b32 exec_lo, exec_lo, s1
	s_cbranch_execz .LBB29_26
; %bb.21:
	v_cmp_ngt_f64_e64 s1, |v[70:71]|, |v[72:73]|
                                        ; implicit-def: $vgpr74_vgpr75
	s_and_saveexec_b32 s3, s1
	s_xor_b32 s1, exec_lo, s3
                                        ; implicit-def: $vgpr76_vgpr77
	s_cbranch_execz .LBB29_23
; %bb.22:
	v_div_scale_f64 v[74:75], null, v[72:73], v[72:73], v[70:71]
	v_div_scale_f64 v[80:81], vcc_lo, v[70:71], v[72:73], v[70:71]
	v_rcp_f64_e32 v[76:77], v[74:75]
	v_fma_f64 v[78:79], -v[74:75], v[76:77], 1.0
	v_fma_f64 v[76:77], v[76:77], v[78:79], v[76:77]
	v_fma_f64 v[78:79], -v[74:75], v[76:77], 1.0
	v_fma_f64 v[76:77], v[76:77], v[78:79], v[76:77]
	v_mul_f64 v[78:79], v[80:81], v[76:77]
	v_fma_f64 v[74:75], -v[74:75], v[78:79], v[80:81]
	v_div_fmas_f64 v[74:75], v[74:75], v[76:77], v[78:79]
	v_div_fixup_f64 v[74:75], v[74:75], v[72:73], v[70:71]
	v_fma_f64 v[70:71], v[70:71], v[74:75], v[72:73]
	v_div_scale_f64 v[72:73], null, v[70:71], v[70:71], 1.0
	v_rcp_f64_e32 v[76:77], v[72:73]
	v_fma_f64 v[78:79], -v[72:73], v[76:77], 1.0
	v_fma_f64 v[76:77], v[76:77], v[78:79], v[76:77]
	v_fma_f64 v[78:79], -v[72:73], v[76:77], 1.0
	v_fma_f64 v[76:77], v[76:77], v[78:79], v[76:77]
	v_div_scale_f64 v[78:79], vcc_lo, 1.0, v[70:71], 1.0
	v_mul_f64 v[80:81], v[78:79], v[76:77]
	v_fma_f64 v[72:73], -v[72:73], v[80:81], v[78:79]
	v_div_fmas_f64 v[72:73], v[72:73], v[76:77], v[80:81]
	v_div_fixup_f64 v[76:77], v[72:73], v[70:71], 1.0
                                        ; implicit-def: $vgpr70_vgpr71
	v_mul_f64 v[74:75], v[74:75], v[76:77]
	v_xor_b32_e32 v77, 0x80000000, v77
.LBB29_23:
	s_andn2_saveexec_b32 s1, s1
	s_cbranch_execz .LBB29_25
; %bb.24:
	v_div_scale_f64 v[74:75], null, v[70:71], v[70:71], v[72:73]
	v_div_scale_f64 v[80:81], vcc_lo, v[72:73], v[70:71], v[72:73]
	v_rcp_f64_e32 v[76:77], v[74:75]
	v_fma_f64 v[78:79], -v[74:75], v[76:77], 1.0
	v_fma_f64 v[76:77], v[76:77], v[78:79], v[76:77]
	v_fma_f64 v[78:79], -v[74:75], v[76:77], 1.0
	v_fma_f64 v[76:77], v[76:77], v[78:79], v[76:77]
	v_mul_f64 v[78:79], v[80:81], v[76:77]
	v_fma_f64 v[74:75], -v[74:75], v[78:79], v[80:81]
	v_div_fmas_f64 v[74:75], v[74:75], v[76:77], v[78:79]
	v_div_fixup_f64 v[76:77], v[74:75], v[70:71], v[72:73]
	v_fma_f64 v[70:71], v[72:73], v[76:77], v[70:71]
	v_div_scale_f64 v[72:73], null, v[70:71], v[70:71], 1.0
	v_rcp_f64_e32 v[74:75], v[72:73]
	v_fma_f64 v[78:79], -v[72:73], v[74:75], 1.0
	v_fma_f64 v[74:75], v[74:75], v[78:79], v[74:75]
	v_fma_f64 v[78:79], -v[72:73], v[74:75], 1.0
	v_fma_f64 v[74:75], v[74:75], v[78:79], v[74:75]
	v_div_scale_f64 v[78:79], vcc_lo, 1.0, v[70:71], 1.0
	v_mul_f64 v[80:81], v[78:79], v[74:75]
	v_fma_f64 v[72:73], -v[72:73], v[80:81], v[78:79]
	v_div_fmas_f64 v[72:73], v[72:73], v[74:75], v[80:81]
	v_div_fixup_f64 v[74:75], v[72:73], v[70:71], 1.0
	v_mul_f64 v[76:77], v[76:77], -v[74:75]
.LBB29_25:
	s_or_b32 exec_lo, exec_lo, s1
	ds_write2_b64 v1, v[74:75], v[76:77] offset1:1
.LBB29_26:
	s_or_b32 exec_lo, exec_lo, s2
	s_waitcnt lgkmcnt(0)
	s_barrier
	buffer_gl0_inv
	ds_read2_b64 v[70:73], v1 offset1:1
	s_mov_b32 s1, exec_lo
	v_cmpx_lt_u32_e32 2, v0
	s_cbranch_execz .LBB29_28
; %bb.27:
	s_waitcnt lgkmcnt(0)
	v_mul_f64 v[74:75], v[70:71], v[8:9]
	v_mul_f64 v[8:9], v[72:73], v[8:9]
	v_fma_f64 v[155:156], v[72:73], v[6:7], v[74:75]
	ds_read2_b64 v[74:77], v154 offset0:6 offset1:7
	ds_read2_b64 v[78:81], v154 offset0:8 offset1:9
	;; [unrolled: 1-line block ×12, first 2 shown]
	v_fma_f64 v[6:7], v[70:71], v[6:7], -v[8:9]
	s_waitcnt lgkmcnt(11)
	v_mul_f64 v[8:9], v[76:77], v[155:156]
	v_mul_f64 v[157:158], v[74:75], v[155:156]
	s_waitcnt lgkmcnt(10)
	v_mul_f64 v[159:160], v[80:81], v[155:156]
	v_mul_f64 v[161:162], v[78:79], v[155:156]
	;; [unrolled: 3-line block ×12, first 2 shown]
	v_fma_f64 v[8:9], v[74:75], v[6:7], -v[8:9]
	v_fma_f64 v[74:75], v[76:77], v[6:7], v[157:158]
	v_fma_f64 v[76:77], v[78:79], v[6:7], -v[159:160]
	v_fma_f64 v[78:79], v[80:81], v[6:7], v[161:162]
	;; [unrolled: 2-line block ×12, first 2 shown]
	v_add_f64 v[2:3], v[2:3], -v[8:9]
	v_add_f64 v[4:5], v[4:5], -v[74:75]
	;; [unrolled: 1-line block ×24, first 2 shown]
	v_mov_b32_e32 v8, v155
	v_mov_b32_e32 v9, v156
.LBB29_28:
	s_or_b32 exec_lo, exec_lo, s1
	s_mov_b32 s2, exec_lo
	s_waitcnt lgkmcnt(0)
	s_barrier
	buffer_gl0_inv
	v_cmpx_eq_u32_e32 3, v0
	s_cbranch_execz .LBB29_35
; %bb.29:
	ds_write2_b64 v1, v[2:3], v[4:5] offset1:1
	ds_write2_b64 v154, v[58:59], v[60:61] offset0:8 offset1:9
	ds_write2_b64 v154, v[54:55], v[56:57] offset0:10 offset1:11
	;; [unrolled: 1-line block ×11, first 2 shown]
	ds_read2_b64 v[74:77], v1 offset1:1
	s_waitcnt lgkmcnt(0)
	v_cmp_neq_f64_e32 vcc_lo, 0, v[74:75]
	v_cmp_neq_f64_e64 s1, 0, v[76:77]
	s_or_b32 s1, vcc_lo, s1
	s_and_b32 exec_lo, exec_lo, s1
	s_cbranch_execz .LBB29_35
; %bb.30:
	v_cmp_ngt_f64_e64 s1, |v[74:75]|, |v[76:77]|
                                        ; implicit-def: $vgpr78_vgpr79
	s_and_saveexec_b32 s3, s1
	s_xor_b32 s1, exec_lo, s3
                                        ; implicit-def: $vgpr80_vgpr81
	s_cbranch_execz .LBB29_32
; %bb.31:
	v_div_scale_f64 v[78:79], null, v[76:77], v[76:77], v[74:75]
	v_div_scale_f64 v[84:85], vcc_lo, v[74:75], v[76:77], v[74:75]
	v_rcp_f64_e32 v[80:81], v[78:79]
	v_fma_f64 v[82:83], -v[78:79], v[80:81], 1.0
	v_fma_f64 v[80:81], v[80:81], v[82:83], v[80:81]
	v_fma_f64 v[82:83], -v[78:79], v[80:81], 1.0
	v_fma_f64 v[80:81], v[80:81], v[82:83], v[80:81]
	v_mul_f64 v[82:83], v[84:85], v[80:81]
	v_fma_f64 v[78:79], -v[78:79], v[82:83], v[84:85]
	v_div_fmas_f64 v[78:79], v[78:79], v[80:81], v[82:83]
	v_div_fixup_f64 v[78:79], v[78:79], v[76:77], v[74:75]
	v_fma_f64 v[74:75], v[74:75], v[78:79], v[76:77]
	v_div_scale_f64 v[76:77], null, v[74:75], v[74:75], 1.0
	v_rcp_f64_e32 v[80:81], v[76:77]
	v_fma_f64 v[82:83], -v[76:77], v[80:81], 1.0
	v_fma_f64 v[80:81], v[80:81], v[82:83], v[80:81]
	v_fma_f64 v[82:83], -v[76:77], v[80:81], 1.0
	v_fma_f64 v[80:81], v[80:81], v[82:83], v[80:81]
	v_div_scale_f64 v[82:83], vcc_lo, 1.0, v[74:75], 1.0
	v_mul_f64 v[84:85], v[82:83], v[80:81]
	v_fma_f64 v[76:77], -v[76:77], v[84:85], v[82:83]
	v_div_fmas_f64 v[76:77], v[76:77], v[80:81], v[84:85]
	v_div_fixup_f64 v[80:81], v[76:77], v[74:75], 1.0
                                        ; implicit-def: $vgpr74_vgpr75
	v_mul_f64 v[78:79], v[78:79], v[80:81]
	v_xor_b32_e32 v81, 0x80000000, v81
.LBB29_32:
	s_andn2_saveexec_b32 s1, s1
	s_cbranch_execz .LBB29_34
; %bb.33:
	v_div_scale_f64 v[78:79], null, v[74:75], v[74:75], v[76:77]
	v_div_scale_f64 v[84:85], vcc_lo, v[76:77], v[74:75], v[76:77]
	v_rcp_f64_e32 v[80:81], v[78:79]
	v_fma_f64 v[82:83], -v[78:79], v[80:81], 1.0
	v_fma_f64 v[80:81], v[80:81], v[82:83], v[80:81]
	v_fma_f64 v[82:83], -v[78:79], v[80:81], 1.0
	v_fma_f64 v[80:81], v[80:81], v[82:83], v[80:81]
	v_mul_f64 v[82:83], v[84:85], v[80:81]
	v_fma_f64 v[78:79], -v[78:79], v[82:83], v[84:85]
	v_div_fmas_f64 v[78:79], v[78:79], v[80:81], v[82:83]
	v_div_fixup_f64 v[80:81], v[78:79], v[74:75], v[76:77]
	v_fma_f64 v[74:75], v[76:77], v[80:81], v[74:75]
	v_div_scale_f64 v[76:77], null, v[74:75], v[74:75], 1.0
	v_rcp_f64_e32 v[78:79], v[76:77]
	v_fma_f64 v[82:83], -v[76:77], v[78:79], 1.0
	v_fma_f64 v[78:79], v[78:79], v[82:83], v[78:79]
	v_fma_f64 v[82:83], -v[76:77], v[78:79], 1.0
	v_fma_f64 v[78:79], v[78:79], v[82:83], v[78:79]
	v_div_scale_f64 v[82:83], vcc_lo, 1.0, v[74:75], 1.0
	v_mul_f64 v[84:85], v[82:83], v[78:79]
	v_fma_f64 v[76:77], -v[76:77], v[84:85], v[82:83]
	v_div_fmas_f64 v[76:77], v[76:77], v[78:79], v[84:85]
	v_div_fixup_f64 v[78:79], v[76:77], v[74:75], 1.0
	v_mul_f64 v[80:81], v[80:81], -v[78:79]
.LBB29_34:
	s_or_b32 exec_lo, exec_lo, s1
	ds_write2_b64 v1, v[78:79], v[80:81] offset1:1
.LBB29_35:
	s_or_b32 exec_lo, exec_lo, s2
	s_waitcnt lgkmcnt(0)
	s_barrier
	buffer_gl0_inv
	ds_read2_b64 v[74:77], v1 offset1:1
	s_mov_b32 s1, exec_lo
	v_cmpx_lt_u32_e32 3, v0
	s_cbranch_execz .LBB29_37
; %bb.36:
	s_waitcnt lgkmcnt(0)
	v_mul_f64 v[78:79], v[74:75], v[4:5]
	v_mul_f64 v[4:5], v[76:77], v[4:5]
	v_fma_f64 v[155:156], v[76:77], v[2:3], v[78:79]
	ds_read2_b64 v[78:81], v154 offset0:8 offset1:9
	ds_read2_b64 v[82:85], v154 offset0:10 offset1:11
	;; [unrolled: 1-line block ×11, first 2 shown]
	v_fma_f64 v[2:3], v[74:75], v[2:3], -v[4:5]
	s_waitcnt lgkmcnt(10)
	v_mul_f64 v[4:5], v[80:81], v[155:156]
	v_mul_f64 v[157:158], v[78:79], v[155:156]
	s_waitcnt lgkmcnt(9)
	v_mul_f64 v[159:160], v[84:85], v[155:156]
	v_mul_f64 v[161:162], v[82:83], v[155:156]
	;; [unrolled: 3-line block ×11, first 2 shown]
	v_fma_f64 v[4:5], v[78:79], v[2:3], -v[4:5]
	v_fma_f64 v[78:79], v[80:81], v[2:3], v[157:158]
	v_fma_f64 v[80:81], v[82:83], v[2:3], -v[159:160]
	v_fma_f64 v[82:83], v[84:85], v[2:3], v[161:162]
	;; [unrolled: 2-line block ×11, first 2 shown]
	v_add_f64 v[58:59], v[58:59], -v[4:5]
	v_add_f64 v[60:61], v[60:61], -v[78:79]
	;; [unrolled: 1-line block ×22, first 2 shown]
	v_mov_b32_e32 v4, v155
	v_mov_b32_e32 v5, v156
.LBB29_37:
	s_or_b32 exec_lo, exec_lo, s1
	s_mov_b32 s2, exec_lo
	s_waitcnt lgkmcnt(0)
	s_barrier
	buffer_gl0_inv
	v_cmpx_eq_u32_e32 4, v0
	s_cbranch_execz .LBB29_44
; %bb.38:
	ds_write2_b64 v1, v[58:59], v[60:61] offset1:1
	ds_write2_b64 v154, v[54:55], v[56:57] offset0:10 offset1:11
	ds_write2_b64 v154, v[50:51], v[52:53] offset0:12 offset1:13
	;; [unrolled: 1-line block ×10, first 2 shown]
	ds_read2_b64 v[78:81], v1 offset1:1
	s_waitcnt lgkmcnt(0)
	v_cmp_neq_f64_e32 vcc_lo, 0, v[78:79]
	v_cmp_neq_f64_e64 s1, 0, v[80:81]
	s_or_b32 s1, vcc_lo, s1
	s_and_b32 exec_lo, exec_lo, s1
	s_cbranch_execz .LBB29_44
; %bb.39:
	v_cmp_ngt_f64_e64 s1, |v[78:79]|, |v[80:81]|
                                        ; implicit-def: $vgpr82_vgpr83
	s_and_saveexec_b32 s3, s1
	s_xor_b32 s1, exec_lo, s3
                                        ; implicit-def: $vgpr84_vgpr85
	s_cbranch_execz .LBB29_41
; %bb.40:
	v_div_scale_f64 v[82:83], null, v[80:81], v[80:81], v[78:79]
	v_div_scale_f64 v[88:89], vcc_lo, v[78:79], v[80:81], v[78:79]
	v_rcp_f64_e32 v[84:85], v[82:83]
	v_fma_f64 v[86:87], -v[82:83], v[84:85], 1.0
	v_fma_f64 v[84:85], v[84:85], v[86:87], v[84:85]
	v_fma_f64 v[86:87], -v[82:83], v[84:85], 1.0
	v_fma_f64 v[84:85], v[84:85], v[86:87], v[84:85]
	v_mul_f64 v[86:87], v[88:89], v[84:85]
	v_fma_f64 v[82:83], -v[82:83], v[86:87], v[88:89]
	v_div_fmas_f64 v[82:83], v[82:83], v[84:85], v[86:87]
	v_div_fixup_f64 v[82:83], v[82:83], v[80:81], v[78:79]
	v_fma_f64 v[78:79], v[78:79], v[82:83], v[80:81]
	v_div_scale_f64 v[80:81], null, v[78:79], v[78:79], 1.0
	v_rcp_f64_e32 v[84:85], v[80:81]
	v_fma_f64 v[86:87], -v[80:81], v[84:85], 1.0
	v_fma_f64 v[84:85], v[84:85], v[86:87], v[84:85]
	v_fma_f64 v[86:87], -v[80:81], v[84:85], 1.0
	v_fma_f64 v[84:85], v[84:85], v[86:87], v[84:85]
	v_div_scale_f64 v[86:87], vcc_lo, 1.0, v[78:79], 1.0
	v_mul_f64 v[88:89], v[86:87], v[84:85]
	v_fma_f64 v[80:81], -v[80:81], v[88:89], v[86:87]
	v_div_fmas_f64 v[80:81], v[80:81], v[84:85], v[88:89]
	v_div_fixup_f64 v[84:85], v[80:81], v[78:79], 1.0
                                        ; implicit-def: $vgpr78_vgpr79
	v_mul_f64 v[82:83], v[82:83], v[84:85]
	v_xor_b32_e32 v85, 0x80000000, v85
.LBB29_41:
	s_andn2_saveexec_b32 s1, s1
	s_cbranch_execz .LBB29_43
; %bb.42:
	v_div_scale_f64 v[82:83], null, v[78:79], v[78:79], v[80:81]
	v_div_scale_f64 v[88:89], vcc_lo, v[80:81], v[78:79], v[80:81]
	v_rcp_f64_e32 v[84:85], v[82:83]
	v_fma_f64 v[86:87], -v[82:83], v[84:85], 1.0
	v_fma_f64 v[84:85], v[84:85], v[86:87], v[84:85]
	v_fma_f64 v[86:87], -v[82:83], v[84:85], 1.0
	v_fma_f64 v[84:85], v[84:85], v[86:87], v[84:85]
	v_mul_f64 v[86:87], v[88:89], v[84:85]
	v_fma_f64 v[82:83], -v[82:83], v[86:87], v[88:89]
	v_div_fmas_f64 v[82:83], v[82:83], v[84:85], v[86:87]
	v_div_fixup_f64 v[84:85], v[82:83], v[78:79], v[80:81]
	v_fma_f64 v[78:79], v[80:81], v[84:85], v[78:79]
	v_div_scale_f64 v[80:81], null, v[78:79], v[78:79], 1.0
	v_rcp_f64_e32 v[82:83], v[80:81]
	v_fma_f64 v[86:87], -v[80:81], v[82:83], 1.0
	v_fma_f64 v[82:83], v[82:83], v[86:87], v[82:83]
	v_fma_f64 v[86:87], -v[80:81], v[82:83], 1.0
	v_fma_f64 v[82:83], v[82:83], v[86:87], v[82:83]
	v_div_scale_f64 v[86:87], vcc_lo, 1.0, v[78:79], 1.0
	v_mul_f64 v[88:89], v[86:87], v[82:83]
	v_fma_f64 v[80:81], -v[80:81], v[88:89], v[86:87]
	v_div_fmas_f64 v[80:81], v[80:81], v[82:83], v[88:89]
	v_div_fixup_f64 v[82:83], v[80:81], v[78:79], 1.0
	v_mul_f64 v[84:85], v[84:85], -v[82:83]
.LBB29_43:
	s_or_b32 exec_lo, exec_lo, s1
	ds_write2_b64 v1, v[82:83], v[84:85] offset1:1
.LBB29_44:
	s_or_b32 exec_lo, exec_lo, s2
	s_waitcnt lgkmcnt(0)
	s_barrier
	buffer_gl0_inv
	ds_read2_b64 v[78:81], v1 offset1:1
	s_mov_b32 s1, exec_lo
	v_cmpx_lt_u32_e32 4, v0
	s_cbranch_execz .LBB29_46
; %bb.45:
	s_waitcnt lgkmcnt(0)
	v_mul_f64 v[82:83], v[78:79], v[60:61]
	v_mul_f64 v[60:61], v[80:81], v[60:61]
	v_fma_f64 v[155:156], v[80:81], v[58:59], v[82:83]
	ds_read2_b64 v[82:85], v154 offset0:10 offset1:11
	ds_read2_b64 v[86:89], v154 offset0:12 offset1:13
	ds_read2_b64 v[90:93], v154 offset0:14 offset1:15
	ds_read2_b64 v[94:97], v154 offset0:16 offset1:17
	ds_read2_b64 v[98:101], v154 offset0:18 offset1:19
	ds_read2_b64 v[102:105], v154 offset0:20 offset1:21
	ds_read2_b64 v[106:109], v154 offset0:22 offset1:23
	ds_read2_b64 v[110:113], v154 offset0:24 offset1:25
	ds_read2_b64 v[114:117], v154 offset0:26 offset1:27
	ds_read2_b64 v[118:121], v154 offset0:28 offset1:29
	v_fma_f64 v[58:59], v[78:79], v[58:59], -v[60:61]
	s_waitcnt lgkmcnt(9)
	v_mul_f64 v[60:61], v[84:85], v[155:156]
	v_mul_f64 v[157:158], v[82:83], v[155:156]
	s_waitcnt lgkmcnt(8)
	v_mul_f64 v[159:160], v[88:89], v[155:156]
	v_mul_f64 v[161:162], v[86:87], v[155:156]
	;; [unrolled: 3-line block ×10, first 2 shown]
	v_fma_f64 v[60:61], v[82:83], v[58:59], -v[60:61]
	v_fma_f64 v[82:83], v[84:85], v[58:59], v[157:158]
	v_fma_f64 v[84:85], v[86:87], v[58:59], -v[159:160]
	v_fma_f64 v[86:87], v[88:89], v[58:59], v[161:162]
	;; [unrolled: 2-line block ×10, first 2 shown]
	v_add_f64 v[54:55], v[54:55], -v[60:61]
	v_add_f64 v[56:57], v[56:57], -v[82:83]
	;; [unrolled: 1-line block ×20, first 2 shown]
	v_mov_b32_e32 v60, v155
	v_mov_b32_e32 v61, v156
.LBB29_46:
	s_or_b32 exec_lo, exec_lo, s1
	s_mov_b32 s2, exec_lo
	s_waitcnt lgkmcnt(0)
	s_barrier
	buffer_gl0_inv
	v_cmpx_eq_u32_e32 5, v0
	s_cbranch_execz .LBB29_53
; %bb.47:
	ds_write2_b64 v1, v[54:55], v[56:57] offset1:1
	ds_write2_b64 v154, v[50:51], v[52:53] offset0:12 offset1:13
	ds_write2_b64 v154, v[46:47], v[48:49] offset0:14 offset1:15
	;; [unrolled: 1-line block ×9, first 2 shown]
	ds_read2_b64 v[82:85], v1 offset1:1
	s_waitcnt lgkmcnt(0)
	v_cmp_neq_f64_e32 vcc_lo, 0, v[82:83]
	v_cmp_neq_f64_e64 s1, 0, v[84:85]
	s_or_b32 s1, vcc_lo, s1
	s_and_b32 exec_lo, exec_lo, s1
	s_cbranch_execz .LBB29_53
; %bb.48:
	v_cmp_ngt_f64_e64 s1, |v[82:83]|, |v[84:85]|
                                        ; implicit-def: $vgpr86_vgpr87
	s_and_saveexec_b32 s3, s1
	s_xor_b32 s1, exec_lo, s3
                                        ; implicit-def: $vgpr88_vgpr89
	s_cbranch_execz .LBB29_50
; %bb.49:
	v_div_scale_f64 v[86:87], null, v[84:85], v[84:85], v[82:83]
	v_div_scale_f64 v[92:93], vcc_lo, v[82:83], v[84:85], v[82:83]
	v_rcp_f64_e32 v[88:89], v[86:87]
	v_fma_f64 v[90:91], -v[86:87], v[88:89], 1.0
	v_fma_f64 v[88:89], v[88:89], v[90:91], v[88:89]
	v_fma_f64 v[90:91], -v[86:87], v[88:89], 1.0
	v_fma_f64 v[88:89], v[88:89], v[90:91], v[88:89]
	v_mul_f64 v[90:91], v[92:93], v[88:89]
	v_fma_f64 v[86:87], -v[86:87], v[90:91], v[92:93]
	v_div_fmas_f64 v[86:87], v[86:87], v[88:89], v[90:91]
	v_div_fixup_f64 v[86:87], v[86:87], v[84:85], v[82:83]
	v_fma_f64 v[82:83], v[82:83], v[86:87], v[84:85]
	v_div_scale_f64 v[84:85], null, v[82:83], v[82:83], 1.0
	v_rcp_f64_e32 v[88:89], v[84:85]
	v_fma_f64 v[90:91], -v[84:85], v[88:89], 1.0
	v_fma_f64 v[88:89], v[88:89], v[90:91], v[88:89]
	v_fma_f64 v[90:91], -v[84:85], v[88:89], 1.0
	v_fma_f64 v[88:89], v[88:89], v[90:91], v[88:89]
	v_div_scale_f64 v[90:91], vcc_lo, 1.0, v[82:83], 1.0
	v_mul_f64 v[92:93], v[90:91], v[88:89]
	v_fma_f64 v[84:85], -v[84:85], v[92:93], v[90:91]
	v_div_fmas_f64 v[84:85], v[84:85], v[88:89], v[92:93]
	v_div_fixup_f64 v[88:89], v[84:85], v[82:83], 1.0
                                        ; implicit-def: $vgpr82_vgpr83
	v_mul_f64 v[86:87], v[86:87], v[88:89]
	v_xor_b32_e32 v89, 0x80000000, v89
.LBB29_50:
	s_andn2_saveexec_b32 s1, s1
	s_cbranch_execz .LBB29_52
; %bb.51:
	v_div_scale_f64 v[86:87], null, v[82:83], v[82:83], v[84:85]
	v_div_scale_f64 v[92:93], vcc_lo, v[84:85], v[82:83], v[84:85]
	v_rcp_f64_e32 v[88:89], v[86:87]
	v_fma_f64 v[90:91], -v[86:87], v[88:89], 1.0
	v_fma_f64 v[88:89], v[88:89], v[90:91], v[88:89]
	v_fma_f64 v[90:91], -v[86:87], v[88:89], 1.0
	v_fma_f64 v[88:89], v[88:89], v[90:91], v[88:89]
	v_mul_f64 v[90:91], v[92:93], v[88:89]
	v_fma_f64 v[86:87], -v[86:87], v[90:91], v[92:93]
	v_div_fmas_f64 v[86:87], v[86:87], v[88:89], v[90:91]
	v_div_fixup_f64 v[88:89], v[86:87], v[82:83], v[84:85]
	v_fma_f64 v[82:83], v[84:85], v[88:89], v[82:83]
	v_div_scale_f64 v[84:85], null, v[82:83], v[82:83], 1.0
	v_rcp_f64_e32 v[86:87], v[84:85]
	v_fma_f64 v[90:91], -v[84:85], v[86:87], 1.0
	v_fma_f64 v[86:87], v[86:87], v[90:91], v[86:87]
	v_fma_f64 v[90:91], -v[84:85], v[86:87], 1.0
	v_fma_f64 v[86:87], v[86:87], v[90:91], v[86:87]
	v_div_scale_f64 v[90:91], vcc_lo, 1.0, v[82:83], 1.0
	v_mul_f64 v[92:93], v[90:91], v[86:87]
	v_fma_f64 v[84:85], -v[84:85], v[92:93], v[90:91]
	v_div_fmas_f64 v[84:85], v[84:85], v[86:87], v[92:93]
	v_div_fixup_f64 v[86:87], v[84:85], v[82:83], 1.0
	v_mul_f64 v[88:89], v[88:89], -v[86:87]
.LBB29_52:
	s_or_b32 exec_lo, exec_lo, s1
	ds_write2_b64 v1, v[86:87], v[88:89] offset1:1
.LBB29_53:
	s_or_b32 exec_lo, exec_lo, s2
	s_waitcnt lgkmcnt(0)
	s_barrier
	buffer_gl0_inv
	ds_read2_b64 v[82:85], v1 offset1:1
	s_mov_b32 s1, exec_lo
	v_cmpx_lt_u32_e32 5, v0
	s_cbranch_execz .LBB29_55
; %bb.54:
	s_waitcnt lgkmcnt(0)
	v_mul_f64 v[86:87], v[82:83], v[56:57]
	v_mul_f64 v[56:57], v[84:85], v[56:57]
	v_fma_f64 v[155:156], v[84:85], v[54:55], v[86:87]
	ds_read2_b64 v[86:89], v154 offset0:12 offset1:13
	ds_read2_b64 v[90:93], v154 offset0:14 offset1:15
	;; [unrolled: 1-line block ×9, first 2 shown]
	v_fma_f64 v[54:55], v[82:83], v[54:55], -v[56:57]
	s_waitcnt lgkmcnt(8)
	v_mul_f64 v[56:57], v[88:89], v[155:156]
	v_mul_f64 v[157:158], v[86:87], v[155:156]
	s_waitcnt lgkmcnt(7)
	v_mul_f64 v[159:160], v[92:93], v[155:156]
	v_mul_f64 v[161:162], v[90:91], v[155:156]
	;; [unrolled: 3-line block ×9, first 2 shown]
	v_fma_f64 v[56:57], v[86:87], v[54:55], -v[56:57]
	v_fma_f64 v[86:87], v[88:89], v[54:55], v[157:158]
	v_fma_f64 v[88:89], v[90:91], v[54:55], -v[159:160]
	v_fma_f64 v[90:91], v[92:93], v[54:55], v[161:162]
	;; [unrolled: 2-line block ×9, first 2 shown]
	v_add_f64 v[50:51], v[50:51], -v[56:57]
	v_add_f64 v[52:53], v[52:53], -v[86:87]
	;; [unrolled: 1-line block ×18, first 2 shown]
	v_mov_b32_e32 v56, v155
	v_mov_b32_e32 v57, v156
.LBB29_55:
	s_or_b32 exec_lo, exec_lo, s1
	s_mov_b32 s2, exec_lo
	s_waitcnt lgkmcnt(0)
	s_barrier
	buffer_gl0_inv
	v_cmpx_eq_u32_e32 6, v0
	s_cbranch_execz .LBB29_62
; %bb.56:
	ds_write2_b64 v1, v[50:51], v[52:53] offset1:1
	ds_write2_b64 v154, v[46:47], v[48:49] offset0:14 offset1:15
	ds_write2_b64 v154, v[42:43], v[44:45] offset0:16 offset1:17
	ds_write2_b64 v154, v[38:39], v[40:41] offset0:18 offset1:19
	ds_write2_b64 v154, v[34:35], v[36:37] offset0:20 offset1:21
	ds_write2_b64 v154, v[30:31], v[32:33] offset0:22 offset1:23
	ds_write2_b64 v154, v[26:27], v[28:29] offset0:24 offset1:25
	ds_write2_b64 v154, v[22:23], v[24:25] offset0:26 offset1:27
	ds_write2_b64 v154, v[18:19], v[20:21] offset0:28 offset1:29
	ds_read2_b64 v[86:89], v1 offset1:1
	s_waitcnt lgkmcnt(0)
	v_cmp_neq_f64_e32 vcc_lo, 0, v[86:87]
	v_cmp_neq_f64_e64 s1, 0, v[88:89]
	s_or_b32 s1, vcc_lo, s1
	s_and_b32 exec_lo, exec_lo, s1
	s_cbranch_execz .LBB29_62
; %bb.57:
	v_cmp_ngt_f64_e64 s1, |v[86:87]|, |v[88:89]|
                                        ; implicit-def: $vgpr90_vgpr91
	s_and_saveexec_b32 s3, s1
	s_xor_b32 s1, exec_lo, s3
                                        ; implicit-def: $vgpr92_vgpr93
	s_cbranch_execz .LBB29_59
; %bb.58:
	v_div_scale_f64 v[90:91], null, v[88:89], v[88:89], v[86:87]
	v_div_scale_f64 v[96:97], vcc_lo, v[86:87], v[88:89], v[86:87]
	v_rcp_f64_e32 v[92:93], v[90:91]
	v_fma_f64 v[94:95], -v[90:91], v[92:93], 1.0
	v_fma_f64 v[92:93], v[92:93], v[94:95], v[92:93]
	v_fma_f64 v[94:95], -v[90:91], v[92:93], 1.0
	v_fma_f64 v[92:93], v[92:93], v[94:95], v[92:93]
	v_mul_f64 v[94:95], v[96:97], v[92:93]
	v_fma_f64 v[90:91], -v[90:91], v[94:95], v[96:97]
	v_div_fmas_f64 v[90:91], v[90:91], v[92:93], v[94:95]
	v_div_fixup_f64 v[90:91], v[90:91], v[88:89], v[86:87]
	v_fma_f64 v[86:87], v[86:87], v[90:91], v[88:89]
	v_div_scale_f64 v[88:89], null, v[86:87], v[86:87], 1.0
	v_rcp_f64_e32 v[92:93], v[88:89]
	v_fma_f64 v[94:95], -v[88:89], v[92:93], 1.0
	v_fma_f64 v[92:93], v[92:93], v[94:95], v[92:93]
	v_fma_f64 v[94:95], -v[88:89], v[92:93], 1.0
	v_fma_f64 v[92:93], v[92:93], v[94:95], v[92:93]
	v_div_scale_f64 v[94:95], vcc_lo, 1.0, v[86:87], 1.0
	v_mul_f64 v[96:97], v[94:95], v[92:93]
	v_fma_f64 v[88:89], -v[88:89], v[96:97], v[94:95]
	v_div_fmas_f64 v[88:89], v[88:89], v[92:93], v[96:97]
	v_div_fixup_f64 v[92:93], v[88:89], v[86:87], 1.0
                                        ; implicit-def: $vgpr86_vgpr87
	v_mul_f64 v[90:91], v[90:91], v[92:93]
	v_xor_b32_e32 v93, 0x80000000, v93
.LBB29_59:
	s_andn2_saveexec_b32 s1, s1
	s_cbranch_execz .LBB29_61
; %bb.60:
	v_div_scale_f64 v[90:91], null, v[86:87], v[86:87], v[88:89]
	v_div_scale_f64 v[96:97], vcc_lo, v[88:89], v[86:87], v[88:89]
	v_rcp_f64_e32 v[92:93], v[90:91]
	v_fma_f64 v[94:95], -v[90:91], v[92:93], 1.0
	v_fma_f64 v[92:93], v[92:93], v[94:95], v[92:93]
	v_fma_f64 v[94:95], -v[90:91], v[92:93], 1.0
	v_fma_f64 v[92:93], v[92:93], v[94:95], v[92:93]
	v_mul_f64 v[94:95], v[96:97], v[92:93]
	v_fma_f64 v[90:91], -v[90:91], v[94:95], v[96:97]
	v_div_fmas_f64 v[90:91], v[90:91], v[92:93], v[94:95]
	v_div_fixup_f64 v[92:93], v[90:91], v[86:87], v[88:89]
	v_fma_f64 v[86:87], v[88:89], v[92:93], v[86:87]
	v_div_scale_f64 v[88:89], null, v[86:87], v[86:87], 1.0
	v_rcp_f64_e32 v[90:91], v[88:89]
	v_fma_f64 v[94:95], -v[88:89], v[90:91], 1.0
	v_fma_f64 v[90:91], v[90:91], v[94:95], v[90:91]
	v_fma_f64 v[94:95], -v[88:89], v[90:91], 1.0
	v_fma_f64 v[90:91], v[90:91], v[94:95], v[90:91]
	v_div_scale_f64 v[94:95], vcc_lo, 1.0, v[86:87], 1.0
	v_mul_f64 v[96:97], v[94:95], v[90:91]
	v_fma_f64 v[88:89], -v[88:89], v[96:97], v[94:95]
	v_div_fmas_f64 v[88:89], v[88:89], v[90:91], v[96:97]
	v_div_fixup_f64 v[90:91], v[88:89], v[86:87], 1.0
	v_mul_f64 v[92:93], v[92:93], -v[90:91]
.LBB29_61:
	s_or_b32 exec_lo, exec_lo, s1
	ds_write2_b64 v1, v[90:91], v[92:93] offset1:1
.LBB29_62:
	s_or_b32 exec_lo, exec_lo, s2
	s_waitcnt lgkmcnt(0)
	s_barrier
	buffer_gl0_inv
	ds_read2_b64 v[86:89], v1 offset1:1
	s_mov_b32 s1, exec_lo
	v_cmpx_lt_u32_e32 6, v0
	s_cbranch_execz .LBB29_64
; %bb.63:
	s_waitcnt lgkmcnt(0)
	v_mul_f64 v[90:91], v[86:87], v[52:53]
	v_mul_f64 v[52:53], v[88:89], v[52:53]
	v_fma_f64 v[155:156], v[88:89], v[50:51], v[90:91]
	ds_read2_b64 v[90:93], v154 offset0:14 offset1:15
	ds_read2_b64 v[94:97], v154 offset0:16 offset1:17
	;; [unrolled: 1-line block ×8, first 2 shown]
	v_fma_f64 v[50:51], v[86:87], v[50:51], -v[52:53]
	s_waitcnt lgkmcnt(7)
	v_mul_f64 v[52:53], v[92:93], v[155:156]
	v_mul_f64 v[157:158], v[90:91], v[155:156]
	s_waitcnt lgkmcnt(6)
	v_mul_f64 v[159:160], v[96:97], v[155:156]
	v_mul_f64 v[161:162], v[94:95], v[155:156]
	;; [unrolled: 3-line block ×8, first 2 shown]
	v_fma_f64 v[52:53], v[90:91], v[50:51], -v[52:53]
	v_fma_f64 v[90:91], v[92:93], v[50:51], v[157:158]
	v_fma_f64 v[92:93], v[94:95], v[50:51], -v[159:160]
	v_fma_f64 v[94:95], v[96:97], v[50:51], v[161:162]
	;; [unrolled: 2-line block ×8, first 2 shown]
	v_add_f64 v[46:47], v[46:47], -v[52:53]
	v_add_f64 v[48:49], v[48:49], -v[90:91]
	;; [unrolled: 1-line block ×16, first 2 shown]
	v_mov_b32_e32 v52, v155
	v_mov_b32_e32 v53, v156
.LBB29_64:
	s_or_b32 exec_lo, exec_lo, s1
	s_mov_b32 s2, exec_lo
	s_waitcnt lgkmcnt(0)
	s_barrier
	buffer_gl0_inv
	v_cmpx_eq_u32_e32 7, v0
	s_cbranch_execz .LBB29_71
; %bb.65:
	ds_write2_b64 v1, v[46:47], v[48:49] offset1:1
	ds_write2_b64 v154, v[42:43], v[44:45] offset0:16 offset1:17
	ds_write2_b64 v154, v[38:39], v[40:41] offset0:18 offset1:19
	;; [unrolled: 1-line block ×7, first 2 shown]
	ds_read2_b64 v[90:93], v1 offset1:1
	s_waitcnt lgkmcnt(0)
	v_cmp_neq_f64_e32 vcc_lo, 0, v[90:91]
	v_cmp_neq_f64_e64 s1, 0, v[92:93]
	s_or_b32 s1, vcc_lo, s1
	s_and_b32 exec_lo, exec_lo, s1
	s_cbranch_execz .LBB29_71
; %bb.66:
	v_cmp_ngt_f64_e64 s1, |v[90:91]|, |v[92:93]|
                                        ; implicit-def: $vgpr94_vgpr95
	s_and_saveexec_b32 s3, s1
	s_xor_b32 s1, exec_lo, s3
                                        ; implicit-def: $vgpr96_vgpr97
	s_cbranch_execz .LBB29_68
; %bb.67:
	v_div_scale_f64 v[94:95], null, v[92:93], v[92:93], v[90:91]
	v_div_scale_f64 v[100:101], vcc_lo, v[90:91], v[92:93], v[90:91]
	v_rcp_f64_e32 v[96:97], v[94:95]
	v_fma_f64 v[98:99], -v[94:95], v[96:97], 1.0
	v_fma_f64 v[96:97], v[96:97], v[98:99], v[96:97]
	v_fma_f64 v[98:99], -v[94:95], v[96:97], 1.0
	v_fma_f64 v[96:97], v[96:97], v[98:99], v[96:97]
	v_mul_f64 v[98:99], v[100:101], v[96:97]
	v_fma_f64 v[94:95], -v[94:95], v[98:99], v[100:101]
	v_div_fmas_f64 v[94:95], v[94:95], v[96:97], v[98:99]
	v_div_fixup_f64 v[94:95], v[94:95], v[92:93], v[90:91]
	v_fma_f64 v[90:91], v[90:91], v[94:95], v[92:93]
	v_div_scale_f64 v[92:93], null, v[90:91], v[90:91], 1.0
	v_rcp_f64_e32 v[96:97], v[92:93]
	v_fma_f64 v[98:99], -v[92:93], v[96:97], 1.0
	v_fma_f64 v[96:97], v[96:97], v[98:99], v[96:97]
	v_fma_f64 v[98:99], -v[92:93], v[96:97], 1.0
	v_fma_f64 v[96:97], v[96:97], v[98:99], v[96:97]
	v_div_scale_f64 v[98:99], vcc_lo, 1.0, v[90:91], 1.0
	v_mul_f64 v[100:101], v[98:99], v[96:97]
	v_fma_f64 v[92:93], -v[92:93], v[100:101], v[98:99]
	v_div_fmas_f64 v[92:93], v[92:93], v[96:97], v[100:101]
	v_div_fixup_f64 v[96:97], v[92:93], v[90:91], 1.0
                                        ; implicit-def: $vgpr90_vgpr91
	v_mul_f64 v[94:95], v[94:95], v[96:97]
	v_xor_b32_e32 v97, 0x80000000, v97
.LBB29_68:
	s_andn2_saveexec_b32 s1, s1
	s_cbranch_execz .LBB29_70
; %bb.69:
	v_div_scale_f64 v[94:95], null, v[90:91], v[90:91], v[92:93]
	v_div_scale_f64 v[100:101], vcc_lo, v[92:93], v[90:91], v[92:93]
	v_rcp_f64_e32 v[96:97], v[94:95]
	v_fma_f64 v[98:99], -v[94:95], v[96:97], 1.0
	v_fma_f64 v[96:97], v[96:97], v[98:99], v[96:97]
	v_fma_f64 v[98:99], -v[94:95], v[96:97], 1.0
	v_fma_f64 v[96:97], v[96:97], v[98:99], v[96:97]
	v_mul_f64 v[98:99], v[100:101], v[96:97]
	v_fma_f64 v[94:95], -v[94:95], v[98:99], v[100:101]
	v_div_fmas_f64 v[94:95], v[94:95], v[96:97], v[98:99]
	v_div_fixup_f64 v[96:97], v[94:95], v[90:91], v[92:93]
	v_fma_f64 v[90:91], v[92:93], v[96:97], v[90:91]
	v_div_scale_f64 v[92:93], null, v[90:91], v[90:91], 1.0
	v_rcp_f64_e32 v[94:95], v[92:93]
	v_fma_f64 v[98:99], -v[92:93], v[94:95], 1.0
	v_fma_f64 v[94:95], v[94:95], v[98:99], v[94:95]
	v_fma_f64 v[98:99], -v[92:93], v[94:95], 1.0
	v_fma_f64 v[94:95], v[94:95], v[98:99], v[94:95]
	v_div_scale_f64 v[98:99], vcc_lo, 1.0, v[90:91], 1.0
	v_mul_f64 v[100:101], v[98:99], v[94:95]
	v_fma_f64 v[92:93], -v[92:93], v[100:101], v[98:99]
	v_div_fmas_f64 v[92:93], v[92:93], v[94:95], v[100:101]
	v_div_fixup_f64 v[94:95], v[92:93], v[90:91], 1.0
	v_mul_f64 v[96:97], v[96:97], -v[94:95]
.LBB29_70:
	s_or_b32 exec_lo, exec_lo, s1
	ds_write2_b64 v1, v[94:95], v[96:97] offset1:1
.LBB29_71:
	s_or_b32 exec_lo, exec_lo, s2
	s_waitcnt lgkmcnt(0)
	s_barrier
	buffer_gl0_inv
	ds_read2_b64 v[90:93], v1 offset1:1
	s_mov_b32 s1, exec_lo
	v_cmpx_lt_u32_e32 7, v0
	s_cbranch_execz .LBB29_73
; %bb.72:
	s_waitcnt lgkmcnt(0)
	v_mul_f64 v[94:95], v[90:91], v[48:49]
	v_mul_f64 v[48:49], v[92:93], v[48:49]
	v_fma_f64 v[155:156], v[92:93], v[46:47], v[94:95]
	ds_read2_b64 v[94:97], v154 offset0:16 offset1:17
	ds_read2_b64 v[98:101], v154 offset0:18 offset1:19
	;; [unrolled: 1-line block ×7, first 2 shown]
	v_fma_f64 v[46:47], v[90:91], v[46:47], -v[48:49]
	s_waitcnt lgkmcnt(6)
	v_mul_f64 v[48:49], v[96:97], v[155:156]
	v_mul_f64 v[157:158], v[94:95], v[155:156]
	s_waitcnt lgkmcnt(5)
	v_mul_f64 v[159:160], v[100:101], v[155:156]
	v_mul_f64 v[161:162], v[98:99], v[155:156]
	;; [unrolled: 3-line block ×7, first 2 shown]
	v_fma_f64 v[48:49], v[94:95], v[46:47], -v[48:49]
	v_fma_f64 v[94:95], v[96:97], v[46:47], v[157:158]
	v_fma_f64 v[96:97], v[98:99], v[46:47], -v[159:160]
	v_fma_f64 v[98:99], v[100:101], v[46:47], v[161:162]
	;; [unrolled: 2-line block ×7, first 2 shown]
	v_add_f64 v[42:43], v[42:43], -v[48:49]
	v_add_f64 v[44:45], v[44:45], -v[94:95]
	;; [unrolled: 1-line block ×14, first 2 shown]
	v_mov_b32_e32 v48, v155
	v_mov_b32_e32 v49, v156
.LBB29_73:
	s_or_b32 exec_lo, exec_lo, s1
	s_mov_b32 s2, exec_lo
	s_waitcnt lgkmcnt(0)
	s_barrier
	buffer_gl0_inv
	v_cmpx_eq_u32_e32 8, v0
	s_cbranch_execz .LBB29_80
; %bb.74:
	ds_write2_b64 v1, v[42:43], v[44:45] offset1:1
	ds_write2_b64 v154, v[38:39], v[40:41] offset0:18 offset1:19
	ds_write2_b64 v154, v[34:35], v[36:37] offset0:20 offset1:21
	;; [unrolled: 1-line block ×6, first 2 shown]
	ds_read2_b64 v[94:97], v1 offset1:1
	s_waitcnt lgkmcnt(0)
	v_cmp_neq_f64_e32 vcc_lo, 0, v[94:95]
	v_cmp_neq_f64_e64 s1, 0, v[96:97]
	s_or_b32 s1, vcc_lo, s1
	s_and_b32 exec_lo, exec_lo, s1
	s_cbranch_execz .LBB29_80
; %bb.75:
	v_cmp_ngt_f64_e64 s1, |v[94:95]|, |v[96:97]|
                                        ; implicit-def: $vgpr98_vgpr99
	s_and_saveexec_b32 s3, s1
	s_xor_b32 s1, exec_lo, s3
                                        ; implicit-def: $vgpr100_vgpr101
	s_cbranch_execz .LBB29_77
; %bb.76:
	v_div_scale_f64 v[98:99], null, v[96:97], v[96:97], v[94:95]
	v_div_scale_f64 v[104:105], vcc_lo, v[94:95], v[96:97], v[94:95]
	v_rcp_f64_e32 v[100:101], v[98:99]
	v_fma_f64 v[102:103], -v[98:99], v[100:101], 1.0
	v_fma_f64 v[100:101], v[100:101], v[102:103], v[100:101]
	v_fma_f64 v[102:103], -v[98:99], v[100:101], 1.0
	v_fma_f64 v[100:101], v[100:101], v[102:103], v[100:101]
	v_mul_f64 v[102:103], v[104:105], v[100:101]
	v_fma_f64 v[98:99], -v[98:99], v[102:103], v[104:105]
	v_div_fmas_f64 v[98:99], v[98:99], v[100:101], v[102:103]
	v_div_fixup_f64 v[98:99], v[98:99], v[96:97], v[94:95]
	v_fma_f64 v[94:95], v[94:95], v[98:99], v[96:97]
	v_div_scale_f64 v[96:97], null, v[94:95], v[94:95], 1.0
	v_rcp_f64_e32 v[100:101], v[96:97]
	v_fma_f64 v[102:103], -v[96:97], v[100:101], 1.0
	v_fma_f64 v[100:101], v[100:101], v[102:103], v[100:101]
	v_fma_f64 v[102:103], -v[96:97], v[100:101], 1.0
	v_fma_f64 v[100:101], v[100:101], v[102:103], v[100:101]
	v_div_scale_f64 v[102:103], vcc_lo, 1.0, v[94:95], 1.0
	v_mul_f64 v[104:105], v[102:103], v[100:101]
	v_fma_f64 v[96:97], -v[96:97], v[104:105], v[102:103]
	v_div_fmas_f64 v[96:97], v[96:97], v[100:101], v[104:105]
	v_div_fixup_f64 v[100:101], v[96:97], v[94:95], 1.0
                                        ; implicit-def: $vgpr94_vgpr95
	v_mul_f64 v[98:99], v[98:99], v[100:101]
	v_xor_b32_e32 v101, 0x80000000, v101
.LBB29_77:
	s_andn2_saveexec_b32 s1, s1
	s_cbranch_execz .LBB29_79
; %bb.78:
	v_div_scale_f64 v[98:99], null, v[94:95], v[94:95], v[96:97]
	v_div_scale_f64 v[104:105], vcc_lo, v[96:97], v[94:95], v[96:97]
	v_rcp_f64_e32 v[100:101], v[98:99]
	v_fma_f64 v[102:103], -v[98:99], v[100:101], 1.0
	v_fma_f64 v[100:101], v[100:101], v[102:103], v[100:101]
	v_fma_f64 v[102:103], -v[98:99], v[100:101], 1.0
	v_fma_f64 v[100:101], v[100:101], v[102:103], v[100:101]
	v_mul_f64 v[102:103], v[104:105], v[100:101]
	v_fma_f64 v[98:99], -v[98:99], v[102:103], v[104:105]
	v_div_fmas_f64 v[98:99], v[98:99], v[100:101], v[102:103]
	v_div_fixup_f64 v[100:101], v[98:99], v[94:95], v[96:97]
	v_fma_f64 v[94:95], v[96:97], v[100:101], v[94:95]
	v_div_scale_f64 v[96:97], null, v[94:95], v[94:95], 1.0
	v_rcp_f64_e32 v[98:99], v[96:97]
	v_fma_f64 v[102:103], -v[96:97], v[98:99], 1.0
	v_fma_f64 v[98:99], v[98:99], v[102:103], v[98:99]
	v_fma_f64 v[102:103], -v[96:97], v[98:99], 1.0
	v_fma_f64 v[98:99], v[98:99], v[102:103], v[98:99]
	v_div_scale_f64 v[102:103], vcc_lo, 1.0, v[94:95], 1.0
	v_mul_f64 v[104:105], v[102:103], v[98:99]
	v_fma_f64 v[96:97], -v[96:97], v[104:105], v[102:103]
	v_div_fmas_f64 v[96:97], v[96:97], v[98:99], v[104:105]
	v_div_fixup_f64 v[98:99], v[96:97], v[94:95], 1.0
	v_mul_f64 v[100:101], v[100:101], -v[98:99]
.LBB29_79:
	s_or_b32 exec_lo, exec_lo, s1
	ds_write2_b64 v1, v[98:99], v[100:101] offset1:1
.LBB29_80:
	s_or_b32 exec_lo, exec_lo, s2
	s_waitcnt lgkmcnt(0)
	s_barrier
	buffer_gl0_inv
	ds_read2_b64 v[94:97], v1 offset1:1
	s_mov_b32 s1, exec_lo
	v_cmpx_lt_u32_e32 8, v0
	s_cbranch_execz .LBB29_82
; %bb.81:
	s_waitcnt lgkmcnt(0)
	v_mul_f64 v[98:99], v[94:95], v[44:45]
	v_mul_f64 v[44:45], v[96:97], v[44:45]
	v_fma_f64 v[155:156], v[96:97], v[42:43], v[98:99]
	ds_read2_b64 v[98:101], v154 offset0:18 offset1:19
	ds_read2_b64 v[102:105], v154 offset0:20 offset1:21
	;; [unrolled: 1-line block ×6, first 2 shown]
	v_fma_f64 v[42:43], v[94:95], v[42:43], -v[44:45]
	s_waitcnt lgkmcnt(5)
	v_mul_f64 v[44:45], v[100:101], v[155:156]
	v_mul_f64 v[157:158], v[98:99], v[155:156]
	s_waitcnt lgkmcnt(4)
	v_mul_f64 v[159:160], v[104:105], v[155:156]
	v_mul_f64 v[161:162], v[102:103], v[155:156]
	;; [unrolled: 3-line block ×6, first 2 shown]
	v_fma_f64 v[44:45], v[98:99], v[42:43], -v[44:45]
	v_fma_f64 v[98:99], v[100:101], v[42:43], v[157:158]
	v_fma_f64 v[100:101], v[102:103], v[42:43], -v[159:160]
	v_fma_f64 v[102:103], v[104:105], v[42:43], v[161:162]
	;; [unrolled: 2-line block ×6, first 2 shown]
	v_add_f64 v[38:39], v[38:39], -v[44:45]
	v_add_f64 v[40:41], v[40:41], -v[98:99]
	;; [unrolled: 1-line block ×12, first 2 shown]
	v_mov_b32_e32 v44, v155
	v_mov_b32_e32 v45, v156
.LBB29_82:
	s_or_b32 exec_lo, exec_lo, s1
	s_mov_b32 s2, exec_lo
	s_waitcnt lgkmcnt(0)
	s_barrier
	buffer_gl0_inv
	v_cmpx_eq_u32_e32 9, v0
	s_cbranch_execz .LBB29_89
; %bb.83:
	ds_write2_b64 v1, v[38:39], v[40:41] offset1:1
	ds_write2_b64 v154, v[34:35], v[36:37] offset0:20 offset1:21
	ds_write2_b64 v154, v[30:31], v[32:33] offset0:22 offset1:23
	;; [unrolled: 1-line block ×5, first 2 shown]
	ds_read2_b64 v[98:101], v1 offset1:1
	s_waitcnt lgkmcnt(0)
	v_cmp_neq_f64_e32 vcc_lo, 0, v[98:99]
	v_cmp_neq_f64_e64 s1, 0, v[100:101]
	s_or_b32 s1, vcc_lo, s1
	s_and_b32 exec_lo, exec_lo, s1
	s_cbranch_execz .LBB29_89
; %bb.84:
	v_cmp_ngt_f64_e64 s1, |v[98:99]|, |v[100:101]|
                                        ; implicit-def: $vgpr102_vgpr103
	s_and_saveexec_b32 s3, s1
	s_xor_b32 s1, exec_lo, s3
                                        ; implicit-def: $vgpr104_vgpr105
	s_cbranch_execz .LBB29_86
; %bb.85:
	v_div_scale_f64 v[102:103], null, v[100:101], v[100:101], v[98:99]
	v_div_scale_f64 v[108:109], vcc_lo, v[98:99], v[100:101], v[98:99]
	v_rcp_f64_e32 v[104:105], v[102:103]
	v_fma_f64 v[106:107], -v[102:103], v[104:105], 1.0
	v_fma_f64 v[104:105], v[104:105], v[106:107], v[104:105]
	v_fma_f64 v[106:107], -v[102:103], v[104:105], 1.0
	v_fma_f64 v[104:105], v[104:105], v[106:107], v[104:105]
	v_mul_f64 v[106:107], v[108:109], v[104:105]
	v_fma_f64 v[102:103], -v[102:103], v[106:107], v[108:109]
	v_div_fmas_f64 v[102:103], v[102:103], v[104:105], v[106:107]
	v_div_fixup_f64 v[102:103], v[102:103], v[100:101], v[98:99]
	v_fma_f64 v[98:99], v[98:99], v[102:103], v[100:101]
	v_div_scale_f64 v[100:101], null, v[98:99], v[98:99], 1.0
	v_rcp_f64_e32 v[104:105], v[100:101]
	v_fma_f64 v[106:107], -v[100:101], v[104:105], 1.0
	v_fma_f64 v[104:105], v[104:105], v[106:107], v[104:105]
	v_fma_f64 v[106:107], -v[100:101], v[104:105], 1.0
	v_fma_f64 v[104:105], v[104:105], v[106:107], v[104:105]
	v_div_scale_f64 v[106:107], vcc_lo, 1.0, v[98:99], 1.0
	v_mul_f64 v[108:109], v[106:107], v[104:105]
	v_fma_f64 v[100:101], -v[100:101], v[108:109], v[106:107]
	v_div_fmas_f64 v[100:101], v[100:101], v[104:105], v[108:109]
	v_div_fixup_f64 v[104:105], v[100:101], v[98:99], 1.0
                                        ; implicit-def: $vgpr98_vgpr99
	v_mul_f64 v[102:103], v[102:103], v[104:105]
	v_xor_b32_e32 v105, 0x80000000, v105
.LBB29_86:
	s_andn2_saveexec_b32 s1, s1
	s_cbranch_execz .LBB29_88
; %bb.87:
	v_div_scale_f64 v[102:103], null, v[98:99], v[98:99], v[100:101]
	v_div_scale_f64 v[108:109], vcc_lo, v[100:101], v[98:99], v[100:101]
	v_rcp_f64_e32 v[104:105], v[102:103]
	v_fma_f64 v[106:107], -v[102:103], v[104:105], 1.0
	v_fma_f64 v[104:105], v[104:105], v[106:107], v[104:105]
	v_fma_f64 v[106:107], -v[102:103], v[104:105], 1.0
	v_fma_f64 v[104:105], v[104:105], v[106:107], v[104:105]
	v_mul_f64 v[106:107], v[108:109], v[104:105]
	v_fma_f64 v[102:103], -v[102:103], v[106:107], v[108:109]
	v_div_fmas_f64 v[102:103], v[102:103], v[104:105], v[106:107]
	v_div_fixup_f64 v[104:105], v[102:103], v[98:99], v[100:101]
	v_fma_f64 v[98:99], v[100:101], v[104:105], v[98:99]
	v_div_scale_f64 v[100:101], null, v[98:99], v[98:99], 1.0
	v_rcp_f64_e32 v[102:103], v[100:101]
	v_fma_f64 v[106:107], -v[100:101], v[102:103], 1.0
	v_fma_f64 v[102:103], v[102:103], v[106:107], v[102:103]
	v_fma_f64 v[106:107], -v[100:101], v[102:103], 1.0
	v_fma_f64 v[102:103], v[102:103], v[106:107], v[102:103]
	v_div_scale_f64 v[106:107], vcc_lo, 1.0, v[98:99], 1.0
	v_mul_f64 v[108:109], v[106:107], v[102:103]
	v_fma_f64 v[100:101], -v[100:101], v[108:109], v[106:107]
	v_div_fmas_f64 v[100:101], v[100:101], v[102:103], v[108:109]
	v_div_fixup_f64 v[102:103], v[100:101], v[98:99], 1.0
	v_mul_f64 v[104:105], v[104:105], -v[102:103]
.LBB29_88:
	s_or_b32 exec_lo, exec_lo, s1
	ds_write2_b64 v1, v[102:103], v[104:105] offset1:1
.LBB29_89:
	s_or_b32 exec_lo, exec_lo, s2
	s_waitcnt lgkmcnt(0)
	s_barrier
	buffer_gl0_inv
	ds_read2_b64 v[98:101], v1 offset1:1
	s_mov_b32 s1, exec_lo
	v_cmpx_lt_u32_e32 9, v0
	s_cbranch_execz .LBB29_91
; %bb.90:
	s_waitcnt lgkmcnt(0)
	v_mul_f64 v[102:103], v[98:99], v[40:41]
	v_mul_f64 v[40:41], v[100:101], v[40:41]
	v_fma_f64 v[155:156], v[100:101], v[38:39], v[102:103]
	ds_read2_b64 v[102:105], v154 offset0:20 offset1:21
	ds_read2_b64 v[106:109], v154 offset0:22 offset1:23
	;; [unrolled: 1-line block ×5, first 2 shown]
	v_fma_f64 v[38:39], v[98:99], v[38:39], -v[40:41]
	s_waitcnt lgkmcnt(4)
	v_mul_f64 v[40:41], v[104:105], v[155:156]
	v_mul_f64 v[157:158], v[102:103], v[155:156]
	s_waitcnt lgkmcnt(3)
	v_mul_f64 v[159:160], v[108:109], v[155:156]
	v_mul_f64 v[161:162], v[106:107], v[155:156]
	s_waitcnt lgkmcnt(2)
	v_mul_f64 v[163:164], v[112:113], v[155:156]
	v_mul_f64 v[165:166], v[110:111], v[155:156]
	s_waitcnt lgkmcnt(1)
	v_mul_f64 v[167:168], v[116:117], v[155:156]
	v_mul_f64 v[169:170], v[114:115], v[155:156]
	s_waitcnt lgkmcnt(0)
	v_mul_f64 v[171:172], v[120:121], v[155:156]
	v_mul_f64 v[173:174], v[118:119], v[155:156]
	v_fma_f64 v[40:41], v[102:103], v[38:39], -v[40:41]
	v_fma_f64 v[102:103], v[104:105], v[38:39], v[157:158]
	v_fma_f64 v[104:105], v[106:107], v[38:39], -v[159:160]
	v_fma_f64 v[106:107], v[108:109], v[38:39], v[161:162]
	;; [unrolled: 2-line block ×5, first 2 shown]
	v_add_f64 v[34:35], v[34:35], -v[40:41]
	v_add_f64 v[36:37], v[36:37], -v[102:103]
	v_add_f64 v[30:31], v[30:31], -v[104:105]
	v_add_f64 v[32:33], v[32:33], -v[106:107]
	v_add_f64 v[26:27], v[26:27], -v[108:109]
	v_add_f64 v[28:29], v[28:29], -v[110:111]
	v_add_f64 v[22:23], v[22:23], -v[112:113]
	v_add_f64 v[24:25], v[24:25], -v[114:115]
	v_add_f64 v[18:19], v[18:19], -v[116:117]
	v_add_f64 v[20:21], v[20:21], -v[118:119]
	v_mov_b32_e32 v40, v155
	v_mov_b32_e32 v41, v156
.LBB29_91:
	s_or_b32 exec_lo, exec_lo, s1
	s_mov_b32 s2, exec_lo
	s_waitcnt lgkmcnt(0)
	s_barrier
	buffer_gl0_inv
	v_cmpx_eq_u32_e32 10, v0
	s_cbranch_execz .LBB29_98
; %bb.92:
	ds_write2_b64 v1, v[34:35], v[36:37] offset1:1
	ds_write2_b64 v154, v[30:31], v[32:33] offset0:22 offset1:23
	ds_write2_b64 v154, v[26:27], v[28:29] offset0:24 offset1:25
	;; [unrolled: 1-line block ×4, first 2 shown]
	ds_read2_b64 v[102:105], v1 offset1:1
	s_waitcnt lgkmcnt(0)
	v_cmp_neq_f64_e32 vcc_lo, 0, v[102:103]
	v_cmp_neq_f64_e64 s1, 0, v[104:105]
	s_or_b32 s1, vcc_lo, s1
	s_and_b32 exec_lo, exec_lo, s1
	s_cbranch_execz .LBB29_98
; %bb.93:
	v_cmp_ngt_f64_e64 s1, |v[102:103]|, |v[104:105]|
                                        ; implicit-def: $vgpr106_vgpr107
	s_and_saveexec_b32 s3, s1
	s_xor_b32 s1, exec_lo, s3
                                        ; implicit-def: $vgpr108_vgpr109
	s_cbranch_execz .LBB29_95
; %bb.94:
	v_div_scale_f64 v[106:107], null, v[104:105], v[104:105], v[102:103]
	v_div_scale_f64 v[112:113], vcc_lo, v[102:103], v[104:105], v[102:103]
	v_rcp_f64_e32 v[108:109], v[106:107]
	v_fma_f64 v[110:111], -v[106:107], v[108:109], 1.0
	v_fma_f64 v[108:109], v[108:109], v[110:111], v[108:109]
	v_fma_f64 v[110:111], -v[106:107], v[108:109], 1.0
	v_fma_f64 v[108:109], v[108:109], v[110:111], v[108:109]
	v_mul_f64 v[110:111], v[112:113], v[108:109]
	v_fma_f64 v[106:107], -v[106:107], v[110:111], v[112:113]
	v_div_fmas_f64 v[106:107], v[106:107], v[108:109], v[110:111]
	v_div_fixup_f64 v[106:107], v[106:107], v[104:105], v[102:103]
	v_fma_f64 v[102:103], v[102:103], v[106:107], v[104:105]
	v_div_scale_f64 v[104:105], null, v[102:103], v[102:103], 1.0
	v_rcp_f64_e32 v[108:109], v[104:105]
	v_fma_f64 v[110:111], -v[104:105], v[108:109], 1.0
	v_fma_f64 v[108:109], v[108:109], v[110:111], v[108:109]
	v_fma_f64 v[110:111], -v[104:105], v[108:109], 1.0
	v_fma_f64 v[108:109], v[108:109], v[110:111], v[108:109]
	v_div_scale_f64 v[110:111], vcc_lo, 1.0, v[102:103], 1.0
	v_mul_f64 v[112:113], v[110:111], v[108:109]
	v_fma_f64 v[104:105], -v[104:105], v[112:113], v[110:111]
	v_div_fmas_f64 v[104:105], v[104:105], v[108:109], v[112:113]
	v_div_fixup_f64 v[108:109], v[104:105], v[102:103], 1.0
                                        ; implicit-def: $vgpr102_vgpr103
	v_mul_f64 v[106:107], v[106:107], v[108:109]
	v_xor_b32_e32 v109, 0x80000000, v109
.LBB29_95:
	s_andn2_saveexec_b32 s1, s1
	s_cbranch_execz .LBB29_97
; %bb.96:
	v_div_scale_f64 v[106:107], null, v[102:103], v[102:103], v[104:105]
	v_div_scale_f64 v[112:113], vcc_lo, v[104:105], v[102:103], v[104:105]
	v_rcp_f64_e32 v[108:109], v[106:107]
	v_fma_f64 v[110:111], -v[106:107], v[108:109], 1.0
	v_fma_f64 v[108:109], v[108:109], v[110:111], v[108:109]
	v_fma_f64 v[110:111], -v[106:107], v[108:109], 1.0
	v_fma_f64 v[108:109], v[108:109], v[110:111], v[108:109]
	v_mul_f64 v[110:111], v[112:113], v[108:109]
	v_fma_f64 v[106:107], -v[106:107], v[110:111], v[112:113]
	v_div_fmas_f64 v[106:107], v[106:107], v[108:109], v[110:111]
	v_div_fixup_f64 v[108:109], v[106:107], v[102:103], v[104:105]
	v_fma_f64 v[102:103], v[104:105], v[108:109], v[102:103]
	v_div_scale_f64 v[104:105], null, v[102:103], v[102:103], 1.0
	v_rcp_f64_e32 v[106:107], v[104:105]
	v_fma_f64 v[110:111], -v[104:105], v[106:107], 1.0
	v_fma_f64 v[106:107], v[106:107], v[110:111], v[106:107]
	v_fma_f64 v[110:111], -v[104:105], v[106:107], 1.0
	v_fma_f64 v[106:107], v[106:107], v[110:111], v[106:107]
	v_div_scale_f64 v[110:111], vcc_lo, 1.0, v[102:103], 1.0
	v_mul_f64 v[112:113], v[110:111], v[106:107]
	v_fma_f64 v[104:105], -v[104:105], v[112:113], v[110:111]
	v_div_fmas_f64 v[104:105], v[104:105], v[106:107], v[112:113]
	v_div_fixup_f64 v[106:107], v[104:105], v[102:103], 1.0
	v_mul_f64 v[108:109], v[108:109], -v[106:107]
.LBB29_97:
	s_or_b32 exec_lo, exec_lo, s1
	ds_write2_b64 v1, v[106:107], v[108:109] offset1:1
.LBB29_98:
	s_or_b32 exec_lo, exec_lo, s2
	s_waitcnt lgkmcnt(0)
	s_barrier
	buffer_gl0_inv
	ds_read2_b64 v[102:105], v1 offset1:1
	s_mov_b32 s1, exec_lo
	v_cmpx_lt_u32_e32 10, v0
	s_cbranch_execz .LBB29_100
; %bb.99:
	s_waitcnt lgkmcnt(0)
	v_mul_f64 v[106:107], v[102:103], v[36:37]
	v_mul_f64 v[36:37], v[104:105], v[36:37]
	v_fma_f64 v[155:156], v[104:105], v[34:35], v[106:107]
	ds_read2_b64 v[106:109], v154 offset0:22 offset1:23
	ds_read2_b64 v[110:113], v154 offset0:24 offset1:25
	;; [unrolled: 1-line block ×4, first 2 shown]
	v_fma_f64 v[34:35], v[102:103], v[34:35], -v[36:37]
	s_waitcnt lgkmcnt(3)
	v_mul_f64 v[36:37], v[108:109], v[155:156]
	v_mul_f64 v[157:158], v[106:107], v[155:156]
	s_waitcnt lgkmcnt(2)
	v_mul_f64 v[159:160], v[112:113], v[155:156]
	v_mul_f64 v[161:162], v[110:111], v[155:156]
	;; [unrolled: 3-line block ×4, first 2 shown]
	v_fma_f64 v[36:37], v[106:107], v[34:35], -v[36:37]
	v_fma_f64 v[106:107], v[108:109], v[34:35], v[157:158]
	v_fma_f64 v[108:109], v[110:111], v[34:35], -v[159:160]
	v_fma_f64 v[110:111], v[112:113], v[34:35], v[161:162]
	;; [unrolled: 2-line block ×4, first 2 shown]
	v_add_f64 v[30:31], v[30:31], -v[36:37]
	v_add_f64 v[32:33], v[32:33], -v[106:107]
	;; [unrolled: 1-line block ×8, first 2 shown]
	v_mov_b32_e32 v36, v155
	v_mov_b32_e32 v37, v156
.LBB29_100:
	s_or_b32 exec_lo, exec_lo, s1
	s_mov_b32 s2, exec_lo
	s_waitcnt lgkmcnt(0)
	s_barrier
	buffer_gl0_inv
	v_cmpx_eq_u32_e32 11, v0
	s_cbranch_execz .LBB29_107
; %bb.101:
	ds_write2_b64 v1, v[30:31], v[32:33] offset1:1
	ds_write2_b64 v154, v[26:27], v[28:29] offset0:24 offset1:25
	ds_write2_b64 v154, v[22:23], v[24:25] offset0:26 offset1:27
	;; [unrolled: 1-line block ×3, first 2 shown]
	ds_read2_b64 v[106:109], v1 offset1:1
	s_waitcnt lgkmcnt(0)
	v_cmp_neq_f64_e32 vcc_lo, 0, v[106:107]
	v_cmp_neq_f64_e64 s1, 0, v[108:109]
	s_or_b32 s1, vcc_lo, s1
	s_and_b32 exec_lo, exec_lo, s1
	s_cbranch_execz .LBB29_107
; %bb.102:
	v_cmp_ngt_f64_e64 s1, |v[106:107]|, |v[108:109]|
                                        ; implicit-def: $vgpr110_vgpr111
	s_and_saveexec_b32 s3, s1
	s_xor_b32 s1, exec_lo, s3
                                        ; implicit-def: $vgpr112_vgpr113
	s_cbranch_execz .LBB29_104
; %bb.103:
	v_div_scale_f64 v[110:111], null, v[108:109], v[108:109], v[106:107]
	v_div_scale_f64 v[116:117], vcc_lo, v[106:107], v[108:109], v[106:107]
	v_rcp_f64_e32 v[112:113], v[110:111]
	v_fma_f64 v[114:115], -v[110:111], v[112:113], 1.0
	v_fma_f64 v[112:113], v[112:113], v[114:115], v[112:113]
	v_fma_f64 v[114:115], -v[110:111], v[112:113], 1.0
	v_fma_f64 v[112:113], v[112:113], v[114:115], v[112:113]
	v_mul_f64 v[114:115], v[116:117], v[112:113]
	v_fma_f64 v[110:111], -v[110:111], v[114:115], v[116:117]
	v_div_fmas_f64 v[110:111], v[110:111], v[112:113], v[114:115]
	v_div_fixup_f64 v[110:111], v[110:111], v[108:109], v[106:107]
	v_fma_f64 v[106:107], v[106:107], v[110:111], v[108:109]
	v_div_scale_f64 v[108:109], null, v[106:107], v[106:107], 1.0
	v_rcp_f64_e32 v[112:113], v[108:109]
	v_fma_f64 v[114:115], -v[108:109], v[112:113], 1.0
	v_fma_f64 v[112:113], v[112:113], v[114:115], v[112:113]
	v_fma_f64 v[114:115], -v[108:109], v[112:113], 1.0
	v_fma_f64 v[112:113], v[112:113], v[114:115], v[112:113]
	v_div_scale_f64 v[114:115], vcc_lo, 1.0, v[106:107], 1.0
	v_mul_f64 v[116:117], v[114:115], v[112:113]
	v_fma_f64 v[108:109], -v[108:109], v[116:117], v[114:115]
	v_div_fmas_f64 v[108:109], v[108:109], v[112:113], v[116:117]
	v_div_fixup_f64 v[112:113], v[108:109], v[106:107], 1.0
                                        ; implicit-def: $vgpr106_vgpr107
	v_mul_f64 v[110:111], v[110:111], v[112:113]
	v_xor_b32_e32 v113, 0x80000000, v113
.LBB29_104:
	s_andn2_saveexec_b32 s1, s1
	s_cbranch_execz .LBB29_106
; %bb.105:
	v_div_scale_f64 v[110:111], null, v[106:107], v[106:107], v[108:109]
	v_div_scale_f64 v[116:117], vcc_lo, v[108:109], v[106:107], v[108:109]
	v_rcp_f64_e32 v[112:113], v[110:111]
	v_fma_f64 v[114:115], -v[110:111], v[112:113], 1.0
	v_fma_f64 v[112:113], v[112:113], v[114:115], v[112:113]
	v_fma_f64 v[114:115], -v[110:111], v[112:113], 1.0
	v_fma_f64 v[112:113], v[112:113], v[114:115], v[112:113]
	v_mul_f64 v[114:115], v[116:117], v[112:113]
	v_fma_f64 v[110:111], -v[110:111], v[114:115], v[116:117]
	v_div_fmas_f64 v[110:111], v[110:111], v[112:113], v[114:115]
	v_div_fixup_f64 v[112:113], v[110:111], v[106:107], v[108:109]
	v_fma_f64 v[106:107], v[108:109], v[112:113], v[106:107]
	v_div_scale_f64 v[108:109], null, v[106:107], v[106:107], 1.0
	v_rcp_f64_e32 v[110:111], v[108:109]
	v_fma_f64 v[114:115], -v[108:109], v[110:111], 1.0
	v_fma_f64 v[110:111], v[110:111], v[114:115], v[110:111]
	v_fma_f64 v[114:115], -v[108:109], v[110:111], 1.0
	v_fma_f64 v[110:111], v[110:111], v[114:115], v[110:111]
	v_div_scale_f64 v[114:115], vcc_lo, 1.0, v[106:107], 1.0
	v_mul_f64 v[116:117], v[114:115], v[110:111]
	v_fma_f64 v[108:109], -v[108:109], v[116:117], v[114:115]
	v_div_fmas_f64 v[108:109], v[108:109], v[110:111], v[116:117]
	v_div_fixup_f64 v[110:111], v[108:109], v[106:107], 1.0
	v_mul_f64 v[112:113], v[112:113], -v[110:111]
.LBB29_106:
	s_or_b32 exec_lo, exec_lo, s1
	ds_write2_b64 v1, v[110:111], v[112:113] offset1:1
.LBB29_107:
	s_or_b32 exec_lo, exec_lo, s2
	s_waitcnt lgkmcnt(0)
	s_barrier
	buffer_gl0_inv
	ds_read2_b64 v[106:109], v1 offset1:1
	s_mov_b32 s1, exec_lo
	v_cmpx_lt_u32_e32 11, v0
	s_cbranch_execz .LBB29_109
; %bb.108:
	s_waitcnt lgkmcnt(0)
	v_mul_f64 v[110:111], v[106:107], v[32:33]
	v_mul_f64 v[32:33], v[108:109], v[32:33]
	v_fma_f64 v[155:156], v[108:109], v[30:31], v[110:111]
	ds_read2_b64 v[110:113], v154 offset0:24 offset1:25
	ds_read2_b64 v[114:117], v154 offset0:26 offset1:27
	;; [unrolled: 1-line block ×3, first 2 shown]
	v_fma_f64 v[30:31], v[106:107], v[30:31], -v[32:33]
	s_waitcnt lgkmcnt(2)
	v_mul_f64 v[32:33], v[112:113], v[155:156]
	v_mul_f64 v[157:158], v[110:111], v[155:156]
	s_waitcnt lgkmcnt(1)
	v_mul_f64 v[159:160], v[116:117], v[155:156]
	v_mul_f64 v[161:162], v[114:115], v[155:156]
	;; [unrolled: 3-line block ×3, first 2 shown]
	v_fma_f64 v[32:33], v[110:111], v[30:31], -v[32:33]
	v_fma_f64 v[110:111], v[112:113], v[30:31], v[157:158]
	v_fma_f64 v[112:113], v[114:115], v[30:31], -v[159:160]
	v_fma_f64 v[114:115], v[116:117], v[30:31], v[161:162]
	;; [unrolled: 2-line block ×3, first 2 shown]
	v_add_f64 v[26:27], v[26:27], -v[32:33]
	v_add_f64 v[28:29], v[28:29], -v[110:111]
	v_add_f64 v[22:23], v[22:23], -v[112:113]
	v_add_f64 v[24:25], v[24:25], -v[114:115]
	v_add_f64 v[18:19], v[18:19], -v[116:117]
	v_add_f64 v[20:21], v[20:21], -v[118:119]
	v_mov_b32_e32 v32, v155
	v_mov_b32_e32 v33, v156
.LBB29_109:
	s_or_b32 exec_lo, exec_lo, s1
	s_mov_b32 s2, exec_lo
	s_waitcnt lgkmcnt(0)
	s_barrier
	buffer_gl0_inv
	v_cmpx_eq_u32_e32 12, v0
	s_cbranch_execz .LBB29_116
; %bb.110:
	ds_write2_b64 v1, v[26:27], v[28:29] offset1:1
	ds_write2_b64 v154, v[22:23], v[24:25] offset0:26 offset1:27
	ds_write2_b64 v154, v[18:19], v[20:21] offset0:28 offset1:29
	ds_read2_b64 v[110:113], v1 offset1:1
	s_waitcnt lgkmcnt(0)
	v_cmp_neq_f64_e32 vcc_lo, 0, v[110:111]
	v_cmp_neq_f64_e64 s1, 0, v[112:113]
	s_or_b32 s1, vcc_lo, s1
	s_and_b32 exec_lo, exec_lo, s1
	s_cbranch_execz .LBB29_116
; %bb.111:
	v_cmp_ngt_f64_e64 s1, |v[110:111]|, |v[112:113]|
                                        ; implicit-def: $vgpr114_vgpr115
	s_and_saveexec_b32 s3, s1
	s_xor_b32 s1, exec_lo, s3
                                        ; implicit-def: $vgpr116_vgpr117
	s_cbranch_execz .LBB29_113
; %bb.112:
	v_div_scale_f64 v[114:115], null, v[112:113], v[112:113], v[110:111]
	v_div_scale_f64 v[120:121], vcc_lo, v[110:111], v[112:113], v[110:111]
	v_rcp_f64_e32 v[116:117], v[114:115]
	v_fma_f64 v[118:119], -v[114:115], v[116:117], 1.0
	v_fma_f64 v[116:117], v[116:117], v[118:119], v[116:117]
	v_fma_f64 v[118:119], -v[114:115], v[116:117], 1.0
	v_fma_f64 v[116:117], v[116:117], v[118:119], v[116:117]
	v_mul_f64 v[118:119], v[120:121], v[116:117]
	v_fma_f64 v[114:115], -v[114:115], v[118:119], v[120:121]
	v_div_fmas_f64 v[114:115], v[114:115], v[116:117], v[118:119]
	v_div_fixup_f64 v[114:115], v[114:115], v[112:113], v[110:111]
	v_fma_f64 v[110:111], v[110:111], v[114:115], v[112:113]
	v_div_scale_f64 v[112:113], null, v[110:111], v[110:111], 1.0
	v_rcp_f64_e32 v[116:117], v[112:113]
	v_fma_f64 v[118:119], -v[112:113], v[116:117], 1.0
	v_fma_f64 v[116:117], v[116:117], v[118:119], v[116:117]
	v_fma_f64 v[118:119], -v[112:113], v[116:117], 1.0
	v_fma_f64 v[116:117], v[116:117], v[118:119], v[116:117]
	v_div_scale_f64 v[118:119], vcc_lo, 1.0, v[110:111], 1.0
	v_mul_f64 v[120:121], v[118:119], v[116:117]
	v_fma_f64 v[112:113], -v[112:113], v[120:121], v[118:119]
	v_div_fmas_f64 v[112:113], v[112:113], v[116:117], v[120:121]
	v_div_fixup_f64 v[116:117], v[112:113], v[110:111], 1.0
                                        ; implicit-def: $vgpr110_vgpr111
	v_mul_f64 v[114:115], v[114:115], v[116:117]
	v_xor_b32_e32 v117, 0x80000000, v117
.LBB29_113:
	s_andn2_saveexec_b32 s1, s1
	s_cbranch_execz .LBB29_115
; %bb.114:
	v_div_scale_f64 v[114:115], null, v[110:111], v[110:111], v[112:113]
	v_div_scale_f64 v[120:121], vcc_lo, v[112:113], v[110:111], v[112:113]
	v_rcp_f64_e32 v[116:117], v[114:115]
	v_fma_f64 v[118:119], -v[114:115], v[116:117], 1.0
	v_fma_f64 v[116:117], v[116:117], v[118:119], v[116:117]
	v_fma_f64 v[118:119], -v[114:115], v[116:117], 1.0
	v_fma_f64 v[116:117], v[116:117], v[118:119], v[116:117]
	v_mul_f64 v[118:119], v[120:121], v[116:117]
	v_fma_f64 v[114:115], -v[114:115], v[118:119], v[120:121]
	v_div_fmas_f64 v[114:115], v[114:115], v[116:117], v[118:119]
	v_div_fixup_f64 v[116:117], v[114:115], v[110:111], v[112:113]
	v_fma_f64 v[110:111], v[112:113], v[116:117], v[110:111]
	v_div_scale_f64 v[112:113], null, v[110:111], v[110:111], 1.0
	v_rcp_f64_e32 v[114:115], v[112:113]
	v_fma_f64 v[118:119], -v[112:113], v[114:115], 1.0
	v_fma_f64 v[114:115], v[114:115], v[118:119], v[114:115]
	v_fma_f64 v[118:119], -v[112:113], v[114:115], 1.0
	v_fma_f64 v[114:115], v[114:115], v[118:119], v[114:115]
	v_div_scale_f64 v[118:119], vcc_lo, 1.0, v[110:111], 1.0
	v_mul_f64 v[120:121], v[118:119], v[114:115]
	v_fma_f64 v[112:113], -v[112:113], v[120:121], v[118:119]
	v_div_fmas_f64 v[112:113], v[112:113], v[114:115], v[120:121]
	v_div_fixup_f64 v[114:115], v[112:113], v[110:111], 1.0
	v_mul_f64 v[116:117], v[116:117], -v[114:115]
.LBB29_115:
	s_or_b32 exec_lo, exec_lo, s1
	ds_write2_b64 v1, v[114:115], v[116:117] offset1:1
.LBB29_116:
	s_or_b32 exec_lo, exec_lo, s2
	s_waitcnt lgkmcnt(0)
	s_barrier
	buffer_gl0_inv
	ds_read2_b64 v[110:113], v1 offset1:1
	s_mov_b32 s1, exec_lo
	v_cmpx_lt_u32_e32 12, v0
	s_cbranch_execz .LBB29_118
; %bb.117:
	s_waitcnt lgkmcnt(0)
	v_mul_f64 v[114:115], v[110:111], v[28:29]
	v_mul_f64 v[28:29], v[112:113], v[28:29]
	v_fma_f64 v[155:156], v[112:113], v[26:27], v[114:115]
	ds_read2_b64 v[114:117], v154 offset0:26 offset1:27
	ds_read2_b64 v[118:121], v154 offset0:28 offset1:29
	v_fma_f64 v[26:27], v[110:111], v[26:27], -v[28:29]
	s_waitcnt lgkmcnt(1)
	v_mul_f64 v[28:29], v[116:117], v[155:156]
	v_mul_f64 v[157:158], v[114:115], v[155:156]
	s_waitcnt lgkmcnt(0)
	v_mul_f64 v[159:160], v[120:121], v[155:156]
	v_mul_f64 v[161:162], v[118:119], v[155:156]
	v_fma_f64 v[28:29], v[114:115], v[26:27], -v[28:29]
	v_fma_f64 v[114:115], v[116:117], v[26:27], v[157:158]
	v_fma_f64 v[116:117], v[118:119], v[26:27], -v[159:160]
	v_fma_f64 v[118:119], v[120:121], v[26:27], v[161:162]
	v_add_f64 v[22:23], v[22:23], -v[28:29]
	v_add_f64 v[24:25], v[24:25], -v[114:115]
	;; [unrolled: 1-line block ×4, first 2 shown]
	v_mov_b32_e32 v28, v155
	v_mov_b32_e32 v29, v156
.LBB29_118:
	s_or_b32 exec_lo, exec_lo, s1
	s_mov_b32 s2, exec_lo
	s_waitcnt lgkmcnt(0)
	s_barrier
	buffer_gl0_inv
	v_cmpx_eq_u32_e32 13, v0
	s_cbranch_execz .LBB29_125
; %bb.119:
	ds_write2_b64 v1, v[22:23], v[24:25] offset1:1
	ds_write2_b64 v154, v[18:19], v[20:21] offset0:28 offset1:29
	ds_read2_b64 v[114:117], v1 offset1:1
	s_waitcnt lgkmcnt(0)
	v_cmp_neq_f64_e32 vcc_lo, 0, v[114:115]
	v_cmp_neq_f64_e64 s1, 0, v[116:117]
	s_or_b32 s1, vcc_lo, s1
	s_and_b32 exec_lo, exec_lo, s1
	s_cbranch_execz .LBB29_125
; %bb.120:
	v_cmp_ngt_f64_e64 s1, |v[114:115]|, |v[116:117]|
                                        ; implicit-def: $vgpr118_vgpr119
	s_and_saveexec_b32 s3, s1
	s_xor_b32 s1, exec_lo, s3
                                        ; implicit-def: $vgpr120_vgpr121
	s_cbranch_execz .LBB29_122
; %bb.121:
	v_div_scale_f64 v[118:119], null, v[116:117], v[116:117], v[114:115]
	v_div_scale_f64 v[157:158], vcc_lo, v[114:115], v[116:117], v[114:115]
	v_rcp_f64_e32 v[120:121], v[118:119]
	v_fma_f64 v[155:156], -v[118:119], v[120:121], 1.0
	v_fma_f64 v[120:121], v[120:121], v[155:156], v[120:121]
	v_fma_f64 v[155:156], -v[118:119], v[120:121], 1.0
	v_fma_f64 v[120:121], v[120:121], v[155:156], v[120:121]
	v_mul_f64 v[155:156], v[157:158], v[120:121]
	v_fma_f64 v[118:119], -v[118:119], v[155:156], v[157:158]
	v_div_fmas_f64 v[118:119], v[118:119], v[120:121], v[155:156]
	v_div_fixup_f64 v[118:119], v[118:119], v[116:117], v[114:115]
	v_fma_f64 v[114:115], v[114:115], v[118:119], v[116:117]
	v_div_scale_f64 v[116:117], null, v[114:115], v[114:115], 1.0
	v_rcp_f64_e32 v[120:121], v[116:117]
	v_fma_f64 v[155:156], -v[116:117], v[120:121], 1.0
	v_fma_f64 v[120:121], v[120:121], v[155:156], v[120:121]
	v_fma_f64 v[155:156], -v[116:117], v[120:121], 1.0
	v_fma_f64 v[120:121], v[120:121], v[155:156], v[120:121]
	v_div_scale_f64 v[155:156], vcc_lo, 1.0, v[114:115], 1.0
	v_mul_f64 v[157:158], v[155:156], v[120:121]
	v_fma_f64 v[116:117], -v[116:117], v[157:158], v[155:156]
	v_div_fmas_f64 v[116:117], v[116:117], v[120:121], v[157:158]
	v_div_fixup_f64 v[120:121], v[116:117], v[114:115], 1.0
                                        ; implicit-def: $vgpr114_vgpr115
	v_mul_f64 v[118:119], v[118:119], v[120:121]
	v_xor_b32_e32 v121, 0x80000000, v121
.LBB29_122:
	s_andn2_saveexec_b32 s1, s1
	s_cbranch_execz .LBB29_124
; %bb.123:
	v_div_scale_f64 v[118:119], null, v[114:115], v[114:115], v[116:117]
	v_div_scale_f64 v[157:158], vcc_lo, v[116:117], v[114:115], v[116:117]
	v_rcp_f64_e32 v[120:121], v[118:119]
	v_fma_f64 v[155:156], -v[118:119], v[120:121], 1.0
	v_fma_f64 v[120:121], v[120:121], v[155:156], v[120:121]
	v_fma_f64 v[155:156], -v[118:119], v[120:121], 1.0
	v_fma_f64 v[120:121], v[120:121], v[155:156], v[120:121]
	v_mul_f64 v[155:156], v[157:158], v[120:121]
	v_fma_f64 v[118:119], -v[118:119], v[155:156], v[157:158]
	v_div_fmas_f64 v[118:119], v[118:119], v[120:121], v[155:156]
	v_div_fixup_f64 v[120:121], v[118:119], v[114:115], v[116:117]
	v_fma_f64 v[114:115], v[116:117], v[120:121], v[114:115]
	v_div_scale_f64 v[116:117], null, v[114:115], v[114:115], 1.0
	v_rcp_f64_e32 v[118:119], v[116:117]
	v_fma_f64 v[155:156], -v[116:117], v[118:119], 1.0
	v_fma_f64 v[118:119], v[118:119], v[155:156], v[118:119]
	v_fma_f64 v[155:156], -v[116:117], v[118:119], 1.0
	v_fma_f64 v[118:119], v[118:119], v[155:156], v[118:119]
	v_div_scale_f64 v[155:156], vcc_lo, 1.0, v[114:115], 1.0
	v_mul_f64 v[157:158], v[155:156], v[118:119]
	v_fma_f64 v[116:117], -v[116:117], v[157:158], v[155:156]
	v_div_fmas_f64 v[116:117], v[116:117], v[118:119], v[157:158]
	v_div_fixup_f64 v[118:119], v[116:117], v[114:115], 1.0
	v_mul_f64 v[120:121], v[120:121], -v[118:119]
.LBB29_124:
	s_or_b32 exec_lo, exec_lo, s1
	ds_write2_b64 v1, v[118:119], v[120:121] offset1:1
.LBB29_125:
	s_or_b32 exec_lo, exec_lo, s2
	s_waitcnt lgkmcnt(0)
	s_barrier
	buffer_gl0_inv
	ds_read2_b64 v[114:117], v1 offset1:1
	s_mov_b32 s1, exec_lo
	v_cmpx_lt_u32_e32 13, v0
	s_cbranch_execz .LBB29_127
; %bb.126:
	s_waitcnt lgkmcnt(0)
	v_mul_f64 v[118:119], v[114:115], v[24:25]
	v_mul_f64 v[24:25], v[116:117], v[24:25]
	v_fma_f64 v[155:156], v[116:117], v[22:23], v[118:119]
	ds_read2_b64 v[118:121], v154 offset0:28 offset1:29
	v_fma_f64 v[22:23], v[114:115], v[22:23], -v[24:25]
	s_waitcnt lgkmcnt(0)
	v_mul_f64 v[24:25], v[120:121], v[155:156]
	v_mul_f64 v[157:158], v[118:119], v[155:156]
	v_fma_f64 v[24:25], v[118:119], v[22:23], -v[24:25]
	v_fma_f64 v[118:119], v[120:121], v[22:23], v[157:158]
	v_add_f64 v[18:19], v[18:19], -v[24:25]
	v_add_f64 v[20:21], v[20:21], -v[118:119]
	v_mov_b32_e32 v24, v155
	v_mov_b32_e32 v25, v156
.LBB29_127:
	s_or_b32 exec_lo, exec_lo, s1
	s_mov_b32 s2, exec_lo
	s_waitcnt lgkmcnt(0)
	s_barrier
	buffer_gl0_inv
	v_cmpx_eq_u32_e32 14, v0
	s_cbranch_execz .LBB29_134
; %bb.128:
	v_cmp_neq_f64_e32 vcc_lo, 0, v[18:19]
	v_cmp_neq_f64_e64 s1, 0, v[20:21]
	ds_write2_b64 v1, v[18:19], v[20:21] offset1:1
	s_or_b32 s1, vcc_lo, s1
	s_and_b32 exec_lo, exec_lo, s1
	s_cbranch_execz .LBB29_134
; %bb.129:
	v_cmp_ngt_f64_e64 s1, |v[18:19]|, |v[20:21]|
                                        ; implicit-def: $vgpr118_vgpr119
	s_and_saveexec_b32 s3, s1
	s_xor_b32 s1, exec_lo, s3
                                        ; implicit-def: $vgpr120_vgpr121
	s_cbranch_execz .LBB29_131
; %bb.130:
	v_div_scale_f64 v[118:119], null, v[20:21], v[20:21], v[18:19]
	v_div_scale_f64 v[156:157], vcc_lo, v[18:19], v[20:21], v[18:19]
	v_rcp_f64_e32 v[120:121], v[118:119]
	v_fma_f64 v[154:155], -v[118:119], v[120:121], 1.0
	v_fma_f64 v[120:121], v[120:121], v[154:155], v[120:121]
	v_fma_f64 v[154:155], -v[118:119], v[120:121], 1.0
	v_fma_f64 v[120:121], v[120:121], v[154:155], v[120:121]
	v_mul_f64 v[154:155], v[156:157], v[120:121]
	v_fma_f64 v[118:119], -v[118:119], v[154:155], v[156:157]
	v_div_fmas_f64 v[118:119], v[118:119], v[120:121], v[154:155]
	v_div_fixup_f64 v[118:119], v[118:119], v[20:21], v[18:19]
	v_fma_f64 v[120:121], v[18:19], v[118:119], v[20:21]
	v_div_scale_f64 v[154:155], null, v[120:121], v[120:121], 1.0
	v_rcp_f64_e32 v[156:157], v[154:155]
	v_fma_f64 v[158:159], -v[154:155], v[156:157], 1.0
	v_fma_f64 v[156:157], v[156:157], v[158:159], v[156:157]
	v_fma_f64 v[158:159], -v[154:155], v[156:157], 1.0
	v_fma_f64 v[156:157], v[156:157], v[158:159], v[156:157]
	v_div_scale_f64 v[158:159], vcc_lo, 1.0, v[120:121], 1.0
	v_mul_f64 v[160:161], v[158:159], v[156:157]
	v_fma_f64 v[154:155], -v[154:155], v[160:161], v[158:159]
	v_div_fmas_f64 v[154:155], v[154:155], v[156:157], v[160:161]
	v_div_fixup_f64 v[120:121], v[154:155], v[120:121], 1.0
	v_mul_f64 v[118:119], v[118:119], v[120:121]
	v_xor_b32_e32 v121, 0x80000000, v121
.LBB29_131:
	s_andn2_saveexec_b32 s1, s1
	s_cbranch_execz .LBB29_133
; %bb.132:
	v_div_scale_f64 v[118:119], null, v[18:19], v[18:19], v[20:21]
	v_div_scale_f64 v[156:157], vcc_lo, v[20:21], v[18:19], v[20:21]
	v_rcp_f64_e32 v[120:121], v[118:119]
	v_fma_f64 v[154:155], -v[118:119], v[120:121], 1.0
	v_fma_f64 v[120:121], v[120:121], v[154:155], v[120:121]
	v_fma_f64 v[154:155], -v[118:119], v[120:121], 1.0
	v_fma_f64 v[120:121], v[120:121], v[154:155], v[120:121]
	v_mul_f64 v[154:155], v[156:157], v[120:121]
	v_fma_f64 v[118:119], -v[118:119], v[154:155], v[156:157]
	v_div_fmas_f64 v[118:119], v[118:119], v[120:121], v[154:155]
	v_div_fixup_f64 v[120:121], v[118:119], v[18:19], v[20:21]
	v_fma_f64 v[118:119], v[20:21], v[120:121], v[18:19]
	v_div_scale_f64 v[154:155], null, v[118:119], v[118:119], 1.0
	v_rcp_f64_e32 v[156:157], v[154:155]
	v_fma_f64 v[158:159], -v[154:155], v[156:157], 1.0
	v_fma_f64 v[156:157], v[156:157], v[158:159], v[156:157]
	v_fma_f64 v[158:159], -v[154:155], v[156:157], 1.0
	v_fma_f64 v[156:157], v[156:157], v[158:159], v[156:157]
	v_div_scale_f64 v[158:159], vcc_lo, 1.0, v[118:119], 1.0
	v_mul_f64 v[160:161], v[158:159], v[156:157]
	v_fma_f64 v[154:155], -v[154:155], v[160:161], v[158:159]
	v_div_fmas_f64 v[154:155], v[154:155], v[156:157], v[160:161]
	v_div_fixup_f64 v[118:119], v[154:155], v[118:119], 1.0
	v_mul_f64 v[120:121], v[120:121], -v[118:119]
.LBB29_133:
	s_or_b32 exec_lo, exec_lo, s1
	ds_write2_b64 v1, v[118:119], v[120:121] offset1:1
.LBB29_134:
	s_or_b32 exec_lo, exec_lo, s2
	s_waitcnt lgkmcnt(0)
	s_barrier
	buffer_gl0_inv
	ds_read2_b64 v[118:121], v1 offset1:1
	s_mov_b32 s1, exec_lo
	v_cmpx_lt_u32_e32 14, v0
	s_cbranch_execz .LBB29_136
; %bb.135:
	s_waitcnt lgkmcnt(0)
	v_mul_f64 v[0:1], v[120:121], v[20:21]
	v_mul_f64 v[20:21], v[118:119], v[20:21]
	v_fma_f64 v[0:1], v[118:119], v[18:19], -v[0:1]
	v_fma_f64 v[20:21], v[120:121], v[18:19], v[20:21]
	v_mov_b32_e32 v19, v1
	v_mov_b32_e32 v18, v0
.LBB29_136:
	s_or_b32 exec_lo, exec_lo, s1
	s_waitcnt lgkmcnt(0)
	s_barrier
	buffer_gl0_inv
	s_and_saveexec_b32 s6, s0
	s_cbranch_execz .LBB29_139
; %bb.137:
	v_lshlrev_b64 v[0:1], 2, v[138:139]
	v_cmp_eq_f64_e64 s0, 0, v[64:65]
	v_cmp_neq_f64_e64 s1, 0, v[66:67]
	v_cmp_neq_f64_e64 s2, 0, v[68:69]
	v_cmp_eq_f64_e64 s3, 0, v[70:71]
	v_cmp_eq_f64_e64 s4, 0, v[72:73]
	v_add_co_u32 v0, vcc_lo, s10, v0
	v_add_co_ci_u32_e64 v1, null, s11, v1, vcc_lo
	v_cmp_eq_f64_e32 vcc_lo, 0, v[62:63]
	v_cmp_eq_f64_e64 s5, 0, v[74:75]
	global_load_dword v138, v[0:1], off
	s_or_b32 s1, s1, s2
	v_cmp_eq_f64_e64 s2, 0, v[80:81]
	s_and_b32 s3, s3, s4
	v_cmp_eq_f64_e64 s4, 0, v[84:85]
	s_and_b32 s0, vcc_lo, s0
	v_cmp_eq_f64_e32 vcc_lo, 0, v[76:77]
	v_cndmask_b32_e64 v62, 0, 1, s0
	s_or_b32 s0, s1, s0
	v_cmp_eq_f64_e64 s1, 0, v[78:79]
	v_cndmask_b32_e64 v62, 2, v62, s0
	v_cmp_eq_u32_e64 s0, 0, v62
	s_and_b32 s0, s3, s0
	v_cmp_eq_f64_e64 s3, 0, v[82:83]
	v_cndmask_b32_e64 v62, v62, 3, s0
	s_and_b32 s5, s5, vcc_lo
	v_cmp_eq_u32_e64 s0, 0, v62
	s_and_b32 s1, s1, s2
	v_cmp_eq_f64_e64 s2, 0, v[92:93]
	s_and_b32 s0, s5, s0
	v_cmp_eq_f64_e64 s5, 0, v[88:89]
	v_cndmask_b32_e64 v62, v62, 4, s0
	v_cmp_eq_f64_e64 s0, 0, v[86:87]
	v_cmp_eq_u32_e32 vcc_lo, 0, v62
	s_and_b32 s3, s3, s4
	s_and_b32 s1, s1, vcc_lo
	v_cmp_eq_f64_e64 s4, 0, v[96:97]
	v_cndmask_b32_e64 v62, v62, 5, s1
	v_cmp_eq_f64_e64 s1, 0, v[90:91]
	v_cmp_eq_u32_e32 vcc_lo, 0, v62
	s_and_b32 s3, s3, vcc_lo
	s_and_b32 s0, s0, s5
	v_cndmask_b32_e64 v62, v62, 6, s3
	v_cmp_eq_f64_e64 s3, 0, v[94:95]
	v_cmp_eq_f64_e64 s5, 0, v[100:101]
	v_cmp_eq_u32_e32 vcc_lo, 0, v62
	s_and_b32 s0, s0, vcc_lo
	s_and_b32 s1, s1, s2
	v_cndmask_b32_e64 v62, v62, 7, s0
	v_cmp_eq_f64_e64 s0, 0, v[98:99]
	;; [unrolled: 6-line block ×7, first 2 shown]
	v_cmp_eq_u32_e32 vcc_lo, 0, v62
	s_and_b32 s0, s0, vcc_lo
	v_cndmask_b32_e64 v62, v62, 13, s0
	s_and_b32 s0, s1, s2
	v_cmp_eq_u32_e32 vcc_lo, 0, v62
	s_and_b32 s0, s0, vcc_lo
	v_cndmask_b32_e64 v62, v62, 14, s0
	s_and_b32 s0, s3, s4
	v_cmp_eq_u32_e32 vcc_lo, 0, v62
	s_and_b32 s0, s0, vcc_lo
	v_cndmask_b32_e64 v62, v62, 15, s0
	v_cmp_ne_u32_e64 s0, 0, v62
	s_waitcnt vmcnt(0)
	v_cmp_eq_u32_e32 vcc_lo, 0, v138
	s_and_b32 s0, vcc_lo, s0
	s_and_b32 exec_lo, exec_lo, s0
	s_cbranch_execz .LBB29_139
; %bb.138:
	v_add_nc_u32_e32 v62, s13, v62
	global_store_dword v[0:1], v62, off
.LBB29_139:
	s_or_b32 exec_lo, exec_lo, s6
	global_store_dwordx4 v[126:127], v[14:17], off
	global_store_dwordx4 v[128:129], v[10:13], off
	global_store_dwordx4 v[124:125], v[6:9], off
	global_store_dwordx4 v[122:123], v[2:5], off
	global_store_dwordx4 v[130:131], v[58:61], off
	global_store_dwordx4 v[132:133], v[54:57], off
	global_store_dwordx4 v[134:135], v[50:53], off
	global_store_dwordx4 v[136:137], v[46:49], off
	global_store_dwordx4 v[140:141], v[42:45], off
	global_store_dwordx4 v[142:143], v[38:41], off
	global_store_dwordx4 v[144:145], v[34:37], off
	global_store_dwordx4 v[150:151], v[30:33], off
	global_store_dwordx4 v[146:147], v[26:29], off
	global_store_dwordx4 v[148:149], v[22:25], off
	global_store_dwordx4 v[152:153], v[18:21], off
.LBB29_140:
	s_endpgm
	.section	.rodata,"a",@progbits
	.p2align	6, 0x0
	.amdhsa_kernel _ZN9rocsolver6v33100L23getf2_npvt_small_kernelILi15E19rocblas_complex_numIdEiiPS3_EEvT1_T3_lS5_lPT2_S5_S5_
		.amdhsa_group_segment_fixed_size 0
		.amdhsa_private_segment_fixed_size 0
		.amdhsa_kernarg_size 312
		.amdhsa_user_sgpr_count 6
		.amdhsa_user_sgpr_private_segment_buffer 1
		.amdhsa_user_sgpr_dispatch_ptr 0
		.amdhsa_user_sgpr_queue_ptr 0
		.amdhsa_user_sgpr_kernarg_segment_ptr 1
		.amdhsa_user_sgpr_dispatch_id 0
		.amdhsa_user_sgpr_flat_scratch_init 0
		.amdhsa_user_sgpr_private_segment_size 0
		.amdhsa_wavefront_size32 1
		.amdhsa_uses_dynamic_stack 0
		.amdhsa_system_sgpr_private_segment_wavefront_offset 0
		.amdhsa_system_sgpr_workgroup_id_x 1
		.amdhsa_system_sgpr_workgroup_id_y 1
		.amdhsa_system_sgpr_workgroup_id_z 0
		.amdhsa_system_sgpr_workgroup_info 0
		.amdhsa_system_vgpr_workitem_id 1
		.amdhsa_next_free_vgpr 211
		.amdhsa_next_free_sgpr 15
		.amdhsa_reserve_vcc 1
		.amdhsa_reserve_flat_scratch 0
		.amdhsa_float_round_mode_32 0
		.amdhsa_float_round_mode_16_64 0
		.amdhsa_float_denorm_mode_32 3
		.amdhsa_float_denorm_mode_16_64 3
		.amdhsa_dx10_clamp 1
		.amdhsa_ieee_mode 1
		.amdhsa_fp16_overflow 0
		.amdhsa_workgroup_processor_mode 1
		.amdhsa_memory_ordered 1
		.amdhsa_forward_progress 1
		.amdhsa_shared_vgpr_count 0
		.amdhsa_exception_fp_ieee_invalid_op 0
		.amdhsa_exception_fp_denorm_src 0
		.amdhsa_exception_fp_ieee_div_zero 0
		.amdhsa_exception_fp_ieee_overflow 0
		.amdhsa_exception_fp_ieee_underflow 0
		.amdhsa_exception_fp_ieee_inexact 0
		.amdhsa_exception_int_div_zero 0
	.end_amdhsa_kernel
	.section	.text._ZN9rocsolver6v33100L23getf2_npvt_small_kernelILi15E19rocblas_complex_numIdEiiPS3_EEvT1_T3_lS5_lPT2_S5_S5_,"axG",@progbits,_ZN9rocsolver6v33100L23getf2_npvt_small_kernelILi15E19rocblas_complex_numIdEiiPS3_EEvT1_T3_lS5_lPT2_S5_S5_,comdat
.Lfunc_end29:
	.size	_ZN9rocsolver6v33100L23getf2_npvt_small_kernelILi15E19rocblas_complex_numIdEiiPS3_EEvT1_T3_lS5_lPT2_S5_S5_, .Lfunc_end29-_ZN9rocsolver6v33100L23getf2_npvt_small_kernelILi15E19rocblas_complex_numIdEiiPS3_EEvT1_T3_lS5_lPT2_S5_S5_
                                        ; -- End function
	.set _ZN9rocsolver6v33100L23getf2_npvt_small_kernelILi15E19rocblas_complex_numIdEiiPS3_EEvT1_T3_lS5_lPT2_S5_S5_.num_vgpr, 211
	.set _ZN9rocsolver6v33100L23getf2_npvt_small_kernelILi15E19rocblas_complex_numIdEiiPS3_EEvT1_T3_lS5_lPT2_S5_S5_.num_agpr, 0
	.set _ZN9rocsolver6v33100L23getf2_npvt_small_kernelILi15E19rocblas_complex_numIdEiiPS3_EEvT1_T3_lS5_lPT2_S5_S5_.numbered_sgpr, 15
	.set _ZN9rocsolver6v33100L23getf2_npvt_small_kernelILi15E19rocblas_complex_numIdEiiPS3_EEvT1_T3_lS5_lPT2_S5_S5_.num_named_barrier, 0
	.set _ZN9rocsolver6v33100L23getf2_npvt_small_kernelILi15E19rocblas_complex_numIdEiiPS3_EEvT1_T3_lS5_lPT2_S5_S5_.private_seg_size, 0
	.set _ZN9rocsolver6v33100L23getf2_npvt_small_kernelILi15E19rocblas_complex_numIdEiiPS3_EEvT1_T3_lS5_lPT2_S5_S5_.uses_vcc, 1
	.set _ZN9rocsolver6v33100L23getf2_npvt_small_kernelILi15E19rocblas_complex_numIdEiiPS3_EEvT1_T3_lS5_lPT2_S5_S5_.uses_flat_scratch, 0
	.set _ZN9rocsolver6v33100L23getf2_npvt_small_kernelILi15E19rocblas_complex_numIdEiiPS3_EEvT1_T3_lS5_lPT2_S5_S5_.has_dyn_sized_stack, 0
	.set _ZN9rocsolver6v33100L23getf2_npvt_small_kernelILi15E19rocblas_complex_numIdEiiPS3_EEvT1_T3_lS5_lPT2_S5_S5_.has_recursion, 0
	.set _ZN9rocsolver6v33100L23getf2_npvt_small_kernelILi15E19rocblas_complex_numIdEiiPS3_EEvT1_T3_lS5_lPT2_S5_S5_.has_indirect_call, 0
	.section	.AMDGPU.csdata,"",@progbits
; Kernel info:
; codeLenInByte = 17348
; TotalNumSgprs: 17
; NumVgprs: 211
; ScratchSize: 0
; MemoryBound: 1
; FloatMode: 240
; IeeeMode: 1
; LDSByteSize: 0 bytes/workgroup (compile time only)
; SGPRBlocks: 0
; VGPRBlocks: 26
; NumSGPRsForWavesPerEU: 17
; NumVGPRsForWavesPerEU: 211
; Occupancy: 4
; WaveLimiterHint : 0
; COMPUTE_PGM_RSRC2:SCRATCH_EN: 0
; COMPUTE_PGM_RSRC2:USER_SGPR: 6
; COMPUTE_PGM_RSRC2:TRAP_HANDLER: 0
; COMPUTE_PGM_RSRC2:TGID_X_EN: 1
; COMPUTE_PGM_RSRC2:TGID_Y_EN: 1
; COMPUTE_PGM_RSRC2:TGID_Z_EN: 0
; COMPUTE_PGM_RSRC2:TIDIG_COMP_CNT: 1
	.section	.text._ZN9rocsolver6v33100L18getf2_small_kernelILi16E19rocblas_complex_numIdEiiPS3_EEvT1_T3_lS5_lPS5_llPT2_S5_S5_S7_l,"axG",@progbits,_ZN9rocsolver6v33100L18getf2_small_kernelILi16E19rocblas_complex_numIdEiiPS3_EEvT1_T3_lS5_lPS5_llPT2_S5_S5_S7_l,comdat
	.globl	_ZN9rocsolver6v33100L18getf2_small_kernelILi16E19rocblas_complex_numIdEiiPS3_EEvT1_T3_lS5_lPS5_llPT2_S5_S5_S7_l ; -- Begin function _ZN9rocsolver6v33100L18getf2_small_kernelILi16E19rocblas_complex_numIdEiiPS3_EEvT1_T3_lS5_lPS5_llPT2_S5_S5_S7_l
	.p2align	8
	.type	_ZN9rocsolver6v33100L18getf2_small_kernelILi16E19rocblas_complex_numIdEiiPS3_EEvT1_T3_lS5_lPS5_llPT2_S5_S5_S7_l,@function
_ZN9rocsolver6v33100L18getf2_small_kernelILi16E19rocblas_complex_numIdEiiPS3_EEvT1_T3_lS5_lPS5_llPT2_S5_S5_S7_l: ; @_ZN9rocsolver6v33100L18getf2_small_kernelILi16E19rocblas_complex_numIdEiiPS3_EEvT1_T3_lS5_lPS5_llPT2_S5_S5_S7_l
; %bb.0:
	s_clause 0x1
	s_load_dword s0, s[4:5], 0x6c
	s_load_dwordx2 s[16:17], s[4:5], 0x48
	s_waitcnt lgkmcnt(0)
	s_lshr_b32 s0, s0, 16
	v_mad_u64_u32 v[70:71], null, s7, s0, v[1:2]
	s_mov_b32 s0, exec_lo
	v_cmpx_gt_i32_e64 s16, v70
	s_cbranch_execz .LBB30_339
; %bb.1:
	s_load_dwordx4 s[0:3], s[4:5], 0x50
	v_mov_b32_e32 v72, 0
	v_ashrrev_i32_e32 v71, 31, v70
	v_mov_b32_e32 v73, 0
	s_waitcnt lgkmcnt(0)
	s_cmp_eq_u64 s[0:1], 0
	s_cselect_b32 s16, -1, 0
	s_and_b32 vcc_lo, exec_lo, s16
	s_cbranch_vccnz .LBB30_3
; %bb.2:
	v_mul_lo_u32 v4, s3, v70
	v_mul_lo_u32 v5, s2, v71
	v_mad_u64_u32 v[2:3], null, s2, v70, 0
	v_add3_u32 v3, v3, v5, v4
	v_lshlrev_b64 v[2:3], 2, v[2:3]
	v_add_co_u32 v72, vcc_lo, s0, v2
	v_add_co_ci_u32_e64 v73, null, s1, v3, vcc_lo
.LBB30_3:
	s_clause 0x2
	s_load_dwordx8 s[8:15], s[4:5], 0x20
	s_load_dword s6, s[4:5], 0x18
	s_load_dwordx4 s[0:3], s[4:5], 0x8
	v_lshlrev_b32_e32 v74, 4, v0
	s_clause 0x1
	s_load_dword s18, s[4:5], 0x0
	s_load_dwordx2 s[4:5], s[4:5], 0x40
	s_waitcnt lgkmcnt(0)
	v_mul_lo_u32 v5, s9, v70
	v_mul_lo_u32 v7, s8, v71
	v_mad_u64_u32 v[2:3], null, s8, v70, 0
	v_add3_u32 v4, s6, s6, v0
	s_lshl_b64 s[2:3], s[2:3], 4
	s_ashr_i32 s7, s6, 31
	s_lshl_b64 s[8:9], s[6:7], 4
	v_add_nc_u32_e32 v6, s6, v4
	v_add3_u32 v3, v3, v7, v5
	v_ashrrev_i32_e32 v5, 31, v4
	v_add_nc_u32_e32 v8, s6, v6
	v_lshlrev_b64 v[2:3], 4, v[2:3]
	v_ashrrev_i32_e32 v7, 31, v6
	v_lshlrev_b64 v[4:5], 4, v[4:5]
	v_add_nc_u32_e32 v10, s6, v8
	v_ashrrev_i32_e32 v9, 31, v8
	v_add_co_u32 v12, vcc_lo, s0, v2
	v_add_co_ci_u32_e64 v3, null, s1, v3, vcc_lo
	v_add_nc_u32_e32 v2, s6, v10
	v_add_co_u32 v77, vcc_lo, v12, s2
	v_add_co_ci_u32_e64 v78, null, s3, v3, vcc_lo
	v_lshlrev_b64 v[6:7], 4, v[6:7]
	v_ashrrev_i32_e32 v11, 31, v10
	v_add_nc_u32_e32 v12, s6, v2
	v_add_co_u32 v14, vcc_lo, v77, v74
	v_lshlrev_b64 v[8:9], 4, v[8:9]
	v_add_co_ci_u32_e64 v15, null, 0, v78, vcc_lo
	v_add_co_u32 v4, vcc_lo, v77, v4
	v_lshlrev_b64 v[10:11], 4, v[10:11]
	v_add_co_ci_u32_e64 v5, null, v78, v5, vcc_lo
	v_add_co_u32 v6, vcc_lo, v77, v6
	v_add_nc_u32_e32 v16, s6, v12
	v_ashrrev_i32_e32 v3, 31, v2
	v_add_co_ci_u32_e64 v7, null, v78, v7, vcc_lo
	v_add_co_u32 v8, vcc_lo, v77, v8
	v_ashrrev_i32_e32 v13, 31, v12
	v_add_co_ci_u32_e64 v9, null, v78, v9, vcc_lo
	v_add_co_u32 v10, vcc_lo, v77, v10
	s_clause 0x1
	global_load_dwordx4 v[54:57], v[4:5], off
	global_load_dwordx4 v[50:53], v[6:7], off
	v_add_nc_u32_e32 v6, s6, v16
	v_lshlrev_b64 v[2:3], 4, v[2:3]
	v_add_co_ci_u32_e64 v11, null, v78, v11, vcc_lo
	v_lshlrev_b64 v[4:5], 4, v[12:13]
	v_ashrrev_i32_e32 v17, 31, v16
	v_add_co_u32 v18, vcc_lo, v14, s8
	s_clause 0x1
	global_load_dwordx4 v[42:45], v[8:9], off
	global_load_dwordx4 v[38:41], v[10:11], off
	v_add_nc_u32_e32 v10, s6, v6
	v_add_co_ci_u32_e64 v19, null, s9, v15, vcc_lo
	v_add_co_u32 v2, vcc_lo, v77, v2
	v_add_co_ci_u32_e64 v3, null, v78, v3, vcc_lo
	v_lshlrev_b64 v[8:9], 4, v[16:17]
	v_add_co_u32 v4, vcc_lo, v77, v4
	v_add_nc_u32_e32 v12, s6, v10
	v_add_co_ci_u32_e64 v5, null, v78, v5, vcc_lo
	s_clause 0x1
	global_load_dwordx4 v[62:65], v[14:15], off
	global_load_dwordx4 v[58:61], v[18:19], off
	v_ashrrev_i32_e32 v11, 31, v10
	s_clause 0x1
	global_load_dwordx4 v[34:37], v[2:3], off
	global_load_dwordx4 v[30:33], v[4:5], off
	v_add_co_u32 v2, vcc_lo, v77, v8
	v_ashrrev_i32_e32 v13, 31, v12
	v_add_nc_u32_e32 v8, s6, v12
	v_lshlrev_b64 v[4:5], 4, v[10:11]
	v_ashrrev_i32_e32 v7, 31, v6
	v_add_co_ci_u32_e64 v3, null, v78, v9, vcc_lo
	v_lshlrev_b64 v[10:11], 4, v[12:13]
	v_add_nc_u32_e32 v12, s6, v8
	v_lshlrev_b64 v[6:7], 4, v[6:7]
	v_ashrrev_i32_e32 v9, 31, v8
	s_max_i32 s0, s18, 16
	s_cmp_lt_i32 s18, 2
	v_add_nc_u32_e32 v14, s6, v12
	v_ashrrev_i32_e32 v13, 31, v12
	v_add_co_u32 v6, vcc_lo, v77, v6
	v_lshlrev_b64 v[8:9], 4, v[8:9]
	v_add_nc_u32_e32 v16, s6, v14
	v_ashrrev_i32_e32 v15, 31, v14
	v_add_co_ci_u32_e64 v7, null, v78, v7, vcc_lo
	v_add_co_u32 v4, vcc_lo, v77, v4
	v_ashrrev_i32_e32 v17, 31, v16
	v_lshlrev_b64 v[12:13], 4, v[12:13]
	v_add_co_ci_u32_e64 v5, null, v78, v5, vcc_lo
	v_add_co_u32 v10, vcc_lo, v77, v10
	v_lshlrev_b64 v[14:15], 4, v[14:15]
	v_add_co_ci_u32_e64 v11, null, v78, v11, vcc_lo
	v_add_co_u32 v8, vcc_lo, v77, v8
	;; [unrolled: 3-line block ×3, first 2 shown]
	v_add_co_ci_u32_e64 v13, null, v78, v13, vcc_lo
	v_add_co_u32 v66, vcc_lo, v77, v14
	v_add_co_ci_u32_e64 v67, null, v78, v15, vcc_lo
	v_add_co_u32 v68, vcc_lo, v77, v16
	v_add_co_ci_u32_e64 v69, null, v78, v17, vcc_lo
	s_clause 0x7
	global_load_dwordx4 v[46:49], v[2:3], off
	global_load_dwordx4 v[26:29], v[6:7], off
	;; [unrolled: 1-line block ×8, first 2 shown]
	v_mul_lo_u32 v75, s0, v1
	v_lshl_add_u32 v1, v75, 4, 0
	v_lshlrev_b32_e32 v76, 4, v75
	v_add_nc_u32_e32 v66, v1, v74
	v_mov_b32_e32 v74, 0
	s_waitcnt vmcnt(11)
	ds_write2_b64 v66, v[62:63], v[64:65] offset1:1
	s_waitcnt vmcnt(0) lgkmcnt(0)
	s_barrier
	buffer_gl0_inv
	ds_read2_b64 v[66:69], v1 offset1:1
	s_cbranch_scc1 .LBB30_6
; %bb.4:
	v_add3_u32 v75, v76, 0, 16
	v_mov_b32_e32 v74, 0
	s_mov_b32 s3, 1
	s_inst_prefetch 0x1
	.p2align	6
.LBB30_5:                               ; =>This Inner Loop Header: Depth=1
	ds_read2_b64 v[79:82], v75 offset1:1
	s_waitcnt lgkmcnt(1)
	v_cmp_gt_f64_e32 vcc_lo, 0, v[66:67]
	v_cmp_gt_f64_e64 s0, 0, v[68:69]
	v_xor_b32_e32 v84, 0x80000000, v67
	v_xor_b32_e32 v86, 0x80000000, v69
	v_mov_b32_e32 v83, v66
	v_mov_b32_e32 v85, v68
	v_add_nc_u32_e32 v75, 16, v75
	s_waitcnt lgkmcnt(0)
	v_cmp_gt_f64_e64 s1, 0, v[79:80]
	v_cmp_gt_f64_e64 s2, 0, v[81:82]
	v_xor_b32_e32 v88, 0x80000000, v80
	v_xor_b32_e32 v90, 0x80000000, v82
	v_mov_b32_e32 v87, v79
	v_mov_b32_e32 v89, v81
	v_cndmask_b32_e32 v84, v67, v84, vcc_lo
	v_cndmask_b32_e64 v86, v69, v86, s0
	v_add_f64 v[83:84], v[83:84], v[85:86]
	v_cndmask_b32_e64 v88, v80, v88, s1
	v_cndmask_b32_e64 v90, v82, v90, s2
	v_add_f64 v[85:86], v[87:88], v[89:90]
	v_cmp_lt_f64_e32 vcc_lo, v[83:84], v[85:86]
	v_cndmask_b32_e32 v67, v67, v80, vcc_lo
	v_cndmask_b32_e32 v66, v66, v79, vcc_lo
	;; [unrolled: 1-line block ×4, first 2 shown]
	v_cndmask_b32_e64 v74, v74, s3, vcc_lo
	s_add_i32 s3, s3, 1
	s_cmp_eq_u32 s18, s3
	s_cbranch_scc0 .LBB30_5
.LBB30_6:
	s_inst_prefetch 0x2
	s_waitcnt lgkmcnt(0)
	v_cmp_neq_f64_e32 vcc_lo, 0, v[66:67]
	v_cmp_neq_f64_e64 s0, 0, v[68:69]
	v_mov_b32_e32 v79, 1
	v_mov_b32_e32 v81, 1
	s_or_b32 s1, vcc_lo, s0
	s_and_saveexec_b32 s0, s1
	s_cbranch_execz .LBB30_12
; %bb.7:
	v_cmp_ngt_f64_e64 s1, |v[66:67]|, |v[68:69]|
	s_and_saveexec_b32 s2, s1
	s_xor_b32 s1, exec_lo, s2
	s_cbranch_execz .LBB30_9
; %bb.8:
	v_div_scale_f64 v[79:80], null, v[68:69], v[68:69], v[66:67]
	v_div_scale_f64 v[85:86], vcc_lo, v[66:67], v[68:69], v[66:67]
	v_rcp_f64_e32 v[81:82], v[79:80]
	v_fma_f64 v[83:84], -v[79:80], v[81:82], 1.0
	v_fma_f64 v[81:82], v[81:82], v[83:84], v[81:82]
	v_fma_f64 v[83:84], -v[79:80], v[81:82], 1.0
	v_fma_f64 v[81:82], v[81:82], v[83:84], v[81:82]
	v_mul_f64 v[83:84], v[85:86], v[81:82]
	v_fma_f64 v[79:80], -v[79:80], v[83:84], v[85:86]
	v_div_fmas_f64 v[79:80], v[79:80], v[81:82], v[83:84]
	v_div_fixup_f64 v[79:80], v[79:80], v[68:69], v[66:67]
	v_fma_f64 v[66:67], v[66:67], v[79:80], v[68:69]
	v_div_scale_f64 v[68:69], null, v[66:67], v[66:67], 1.0
	v_rcp_f64_e32 v[81:82], v[68:69]
	v_fma_f64 v[83:84], -v[68:69], v[81:82], 1.0
	v_fma_f64 v[81:82], v[81:82], v[83:84], v[81:82]
	v_fma_f64 v[83:84], -v[68:69], v[81:82], 1.0
	v_fma_f64 v[81:82], v[81:82], v[83:84], v[81:82]
	v_div_scale_f64 v[83:84], vcc_lo, 1.0, v[66:67], 1.0
	v_mul_f64 v[85:86], v[83:84], v[81:82]
	v_fma_f64 v[68:69], -v[68:69], v[85:86], v[83:84]
	v_div_fmas_f64 v[68:69], v[68:69], v[81:82], v[85:86]
	v_div_fixup_f64 v[68:69], v[68:69], v[66:67], 1.0
	v_mul_f64 v[66:67], v[79:80], v[68:69]
	v_xor_b32_e32 v69, 0x80000000, v69
.LBB30_9:
	s_andn2_saveexec_b32 s1, s1
	s_cbranch_execz .LBB30_11
; %bb.10:
	v_div_scale_f64 v[79:80], null, v[66:67], v[66:67], v[68:69]
	v_div_scale_f64 v[85:86], vcc_lo, v[68:69], v[66:67], v[68:69]
	v_rcp_f64_e32 v[81:82], v[79:80]
	v_fma_f64 v[83:84], -v[79:80], v[81:82], 1.0
	v_fma_f64 v[81:82], v[81:82], v[83:84], v[81:82]
	v_fma_f64 v[83:84], -v[79:80], v[81:82], 1.0
	v_fma_f64 v[81:82], v[81:82], v[83:84], v[81:82]
	v_mul_f64 v[83:84], v[85:86], v[81:82]
	v_fma_f64 v[79:80], -v[79:80], v[83:84], v[85:86]
	v_div_fmas_f64 v[79:80], v[79:80], v[81:82], v[83:84]
	v_div_fixup_f64 v[79:80], v[79:80], v[66:67], v[68:69]
	v_fma_f64 v[66:67], v[68:69], v[79:80], v[66:67]
	v_div_scale_f64 v[68:69], null, v[66:67], v[66:67], 1.0
	v_rcp_f64_e32 v[81:82], v[68:69]
	v_fma_f64 v[83:84], -v[68:69], v[81:82], 1.0
	v_fma_f64 v[81:82], v[81:82], v[83:84], v[81:82]
	v_fma_f64 v[83:84], -v[68:69], v[81:82], 1.0
	v_fma_f64 v[81:82], v[81:82], v[83:84], v[81:82]
	v_div_scale_f64 v[83:84], vcc_lo, 1.0, v[66:67], 1.0
	v_mul_f64 v[85:86], v[83:84], v[81:82]
	v_fma_f64 v[68:69], -v[68:69], v[85:86], v[83:84]
	v_div_fmas_f64 v[68:69], v[68:69], v[81:82], v[85:86]
	v_div_fixup_f64 v[66:67], v[68:69], v[66:67], 1.0
	v_mul_f64 v[68:69], v[79:80], -v[66:67]
.LBB30_11:
	s_or_b32 exec_lo, exec_lo, s1
	v_mov_b32_e32 v81, 0
	v_mov_b32_e32 v79, 2
.LBB30_12:
	s_or_b32 exec_lo, exec_lo, s0
	s_mov_b32 s0, exec_lo
	v_cmpx_ne_u32_e64 v0, v74
	s_xor_b32 s0, exec_lo, s0
	s_cbranch_execz .LBB30_18
; %bb.13:
	s_mov_b32 s1, exec_lo
	v_cmpx_eq_u32_e32 0, v0
	s_cbranch_execz .LBB30_17
; %bb.14:
	v_cmp_ne_u32_e32 vcc_lo, 0, v74
	s_xor_b32 s2, s16, -1
	s_and_b32 s3, s2, vcc_lo
	s_and_saveexec_b32 s2, s3
	s_cbranch_execz .LBB30_16
; %bb.15:
	v_ashrrev_i32_e32 v75, 31, v74
	v_lshlrev_b64 v[82:83], 2, v[74:75]
	v_add_co_u32 v82, vcc_lo, v72, v82
	v_add_co_ci_u32_e64 v83, null, v73, v83, vcc_lo
	s_clause 0x1
	global_load_dword v0, v[82:83], off
	global_load_dword v75, v[72:73], off
	s_waitcnt vmcnt(1)
	global_store_dword v[72:73], v0, off
	s_waitcnt vmcnt(0)
	global_store_dword v[82:83], v75, off
.LBB30_16:
	s_or_b32 exec_lo, exec_lo, s2
	v_mov_b32_e32 v0, v74
.LBB30_17:
	s_or_b32 exec_lo, exec_lo, s1
.LBB30_18:
	s_or_saveexec_b32 s0, s0
	v_mov_b32_e32 v80, v0
	s_xor_b32 exec_lo, exec_lo, s0
	s_cbranch_execz .LBB30_20
; %bb.19:
	v_mov_b32_e32 v80, 0
	ds_write2_b64 v1, v[58:59], v[60:61] offset0:2 offset1:3
	ds_write2_b64 v1, v[54:55], v[56:57] offset0:4 offset1:5
	;; [unrolled: 1-line block ×15, first 2 shown]
.LBB30_20:
	s_or_b32 exec_lo, exec_lo, s0
	s_mov_b32 s0, exec_lo
	s_waitcnt lgkmcnt(0)
	s_waitcnt_vscnt null, 0x0
	s_barrier
	buffer_gl0_inv
	v_cmpx_lt_i32_e32 0, v80
	s_cbranch_execz .LBB30_22
; %bb.21:
	v_mul_f64 v[74:75], v[66:67], v[64:65]
	v_mul_f64 v[64:65], v[68:69], v[64:65]
	v_fma_f64 v[74:75], v[68:69], v[62:63], v[74:75]
	v_fma_f64 v[62:63], v[66:67], v[62:63], -v[64:65]
	ds_read2_b64 v[64:67], v1 offset0:2 offset1:3
	s_waitcnt lgkmcnt(0)
	v_mul_f64 v[68:69], v[66:67], v[74:75]
	v_fma_f64 v[68:69], v[64:65], v[62:63], -v[68:69]
	v_mul_f64 v[64:65], v[64:65], v[74:75]
	v_add_f64 v[58:59], v[58:59], -v[68:69]
	v_fma_f64 v[64:65], v[66:67], v[62:63], v[64:65]
	v_add_f64 v[60:61], v[60:61], -v[64:65]
	ds_read2_b64 v[64:67], v1 offset0:4 offset1:5
	s_waitcnt lgkmcnt(0)
	v_mul_f64 v[68:69], v[66:67], v[74:75]
	v_fma_f64 v[68:69], v[64:65], v[62:63], -v[68:69]
	v_mul_f64 v[64:65], v[64:65], v[74:75]
	v_add_f64 v[54:55], v[54:55], -v[68:69]
	v_fma_f64 v[64:65], v[66:67], v[62:63], v[64:65]
	v_add_f64 v[56:57], v[56:57], -v[64:65]
	;; [unrolled: 8-line block ×15, first 2 shown]
	v_mov_b32_e32 v64, v74
	v_mov_b32_e32 v65, v75
.LBB30_22:
	s_or_b32 exec_lo, exec_lo, s0
	v_lshl_add_u32 v66, v80, 4, v1
	s_barrier
	buffer_gl0_inv
	v_mov_b32_e32 v74, 1
	ds_write2_b64 v66, v[58:59], v[60:61] offset1:1
	s_waitcnt lgkmcnt(0)
	s_barrier
	buffer_gl0_inv
	ds_read2_b64 v[66:69], v1 offset0:2 offset1:3
	s_cmp_lt_i32 s18, 3
	s_cbranch_scc1 .LBB30_25
; %bb.23:
	v_add3_u32 v75, v76, 0, 32
	v_mov_b32_e32 v74, 1
	s_mov_b32 s1, 2
	s_inst_prefetch 0x1
	.p2align	6
.LBB30_24:                              ; =>This Inner Loop Header: Depth=1
	s_waitcnt lgkmcnt(0)
	v_cmp_gt_f64_e32 vcc_lo, 0, v[68:69]
	v_cmp_gt_f64_e64 s0, 0, v[66:67]
	ds_read2_b64 v[82:85], v75 offset1:1
	v_xor_b32_e32 v87, 0x80000000, v67
	v_xor_b32_e32 v89, 0x80000000, v69
	v_mov_b32_e32 v86, v66
	v_mov_b32_e32 v88, v68
	v_add_nc_u32_e32 v75, 16, v75
	s_waitcnt lgkmcnt(0)
	v_xor_b32_e32 v91, 0x80000000, v85
	v_cndmask_b32_e64 v87, v67, v87, s0
	v_cndmask_b32_e32 v89, v69, v89, vcc_lo
	v_cmp_gt_f64_e32 vcc_lo, 0, v[84:85]
	v_cmp_gt_f64_e64 s0, 0, v[82:83]
	v_mov_b32_e32 v90, v84
	v_add_f64 v[86:87], v[86:87], v[88:89]
	v_xor_b32_e32 v89, 0x80000000, v83
	v_mov_b32_e32 v88, v82
	v_cndmask_b32_e32 v91, v85, v91, vcc_lo
	v_cndmask_b32_e64 v89, v83, v89, s0
	v_add_f64 v[88:89], v[88:89], v[90:91]
	v_cmp_lt_f64_e32 vcc_lo, v[86:87], v[88:89]
	v_cndmask_b32_e32 v67, v67, v83, vcc_lo
	v_cndmask_b32_e32 v66, v66, v82, vcc_lo
	;; [unrolled: 1-line block ×4, first 2 shown]
	v_cndmask_b32_e64 v74, v74, s1, vcc_lo
	s_add_i32 s1, s1, 1
	s_cmp_lg_u32 s18, s1
	s_cbranch_scc1 .LBB30_24
.LBB30_25:
	s_inst_prefetch 0x2
	s_waitcnt lgkmcnt(0)
	v_cmp_neq_f64_e32 vcc_lo, 0, v[66:67]
	v_cmp_neq_f64_e64 s0, 0, v[68:69]
	s_or_b32 s1, vcc_lo, s0
	s_and_saveexec_b32 s0, s1
	s_cbranch_execz .LBB30_31
; %bb.26:
	v_cmp_ngt_f64_e64 s1, |v[66:67]|, |v[68:69]|
	s_and_saveexec_b32 s2, s1
	s_xor_b32 s1, exec_lo, s2
	s_cbranch_execz .LBB30_28
; %bb.27:
	v_div_scale_f64 v[82:83], null, v[68:69], v[68:69], v[66:67]
	v_div_scale_f64 v[88:89], vcc_lo, v[66:67], v[68:69], v[66:67]
	v_rcp_f64_e32 v[84:85], v[82:83]
	v_fma_f64 v[86:87], -v[82:83], v[84:85], 1.0
	v_fma_f64 v[84:85], v[84:85], v[86:87], v[84:85]
	v_fma_f64 v[86:87], -v[82:83], v[84:85], 1.0
	v_fma_f64 v[84:85], v[84:85], v[86:87], v[84:85]
	v_mul_f64 v[86:87], v[88:89], v[84:85]
	v_fma_f64 v[82:83], -v[82:83], v[86:87], v[88:89]
	v_div_fmas_f64 v[82:83], v[82:83], v[84:85], v[86:87]
	v_div_fixup_f64 v[82:83], v[82:83], v[68:69], v[66:67]
	v_fma_f64 v[66:67], v[66:67], v[82:83], v[68:69]
	v_div_scale_f64 v[68:69], null, v[66:67], v[66:67], 1.0
	v_rcp_f64_e32 v[84:85], v[68:69]
	v_fma_f64 v[86:87], -v[68:69], v[84:85], 1.0
	v_fma_f64 v[84:85], v[84:85], v[86:87], v[84:85]
	v_fma_f64 v[86:87], -v[68:69], v[84:85], 1.0
	v_fma_f64 v[84:85], v[84:85], v[86:87], v[84:85]
	v_div_scale_f64 v[86:87], vcc_lo, 1.0, v[66:67], 1.0
	v_mul_f64 v[88:89], v[86:87], v[84:85]
	v_fma_f64 v[68:69], -v[68:69], v[88:89], v[86:87]
	v_div_fmas_f64 v[68:69], v[68:69], v[84:85], v[88:89]
	v_div_fixup_f64 v[68:69], v[68:69], v[66:67], 1.0
	v_mul_f64 v[66:67], v[82:83], v[68:69]
	v_xor_b32_e32 v69, 0x80000000, v69
.LBB30_28:
	s_andn2_saveexec_b32 s1, s1
	s_cbranch_execz .LBB30_30
; %bb.29:
	v_div_scale_f64 v[82:83], null, v[66:67], v[66:67], v[68:69]
	v_div_scale_f64 v[88:89], vcc_lo, v[68:69], v[66:67], v[68:69]
	v_rcp_f64_e32 v[84:85], v[82:83]
	v_fma_f64 v[86:87], -v[82:83], v[84:85], 1.0
	v_fma_f64 v[84:85], v[84:85], v[86:87], v[84:85]
	v_fma_f64 v[86:87], -v[82:83], v[84:85], 1.0
	v_fma_f64 v[84:85], v[84:85], v[86:87], v[84:85]
	v_mul_f64 v[86:87], v[88:89], v[84:85]
	v_fma_f64 v[82:83], -v[82:83], v[86:87], v[88:89]
	v_div_fmas_f64 v[82:83], v[82:83], v[84:85], v[86:87]
	v_div_fixup_f64 v[82:83], v[82:83], v[66:67], v[68:69]
	v_fma_f64 v[66:67], v[68:69], v[82:83], v[66:67]
	v_div_scale_f64 v[68:69], null, v[66:67], v[66:67], 1.0
	v_rcp_f64_e32 v[84:85], v[68:69]
	v_fma_f64 v[86:87], -v[68:69], v[84:85], 1.0
	v_fma_f64 v[84:85], v[84:85], v[86:87], v[84:85]
	v_fma_f64 v[86:87], -v[68:69], v[84:85], 1.0
	v_fma_f64 v[84:85], v[84:85], v[86:87], v[84:85]
	v_div_scale_f64 v[86:87], vcc_lo, 1.0, v[66:67], 1.0
	v_mul_f64 v[88:89], v[86:87], v[84:85]
	v_fma_f64 v[68:69], -v[68:69], v[88:89], v[86:87]
	v_div_fmas_f64 v[68:69], v[68:69], v[84:85], v[88:89]
	v_div_fixup_f64 v[66:67], v[68:69], v[66:67], 1.0
	v_mul_f64 v[68:69], v[82:83], -v[66:67]
.LBB30_30:
	s_or_b32 exec_lo, exec_lo, s1
	v_mov_b32_e32 v79, v81
.LBB30_31:
	s_or_b32 exec_lo, exec_lo, s0
	s_mov_b32 s0, exec_lo
	v_cmpx_ne_u32_e64 v80, v74
	s_xor_b32 s0, exec_lo, s0
	s_cbranch_execz .LBB30_37
; %bb.32:
	s_mov_b32 s1, exec_lo
	v_cmpx_eq_u32_e32 1, v80
	s_cbranch_execz .LBB30_36
; %bb.33:
	v_cmp_ne_u32_e32 vcc_lo, 1, v74
	s_xor_b32 s2, s16, -1
	s_and_b32 s3, s2, vcc_lo
	s_and_saveexec_b32 s2, s3
	s_cbranch_execz .LBB30_35
; %bb.34:
	v_ashrrev_i32_e32 v75, 31, v74
	v_lshlrev_b64 v[80:81], 2, v[74:75]
	v_add_co_u32 v80, vcc_lo, v72, v80
	v_add_co_ci_u32_e64 v81, null, v73, v81, vcc_lo
	s_clause 0x1
	global_load_dword v0, v[80:81], off
	global_load_dword v75, v[72:73], off offset:4
	s_waitcnt vmcnt(1)
	global_store_dword v[72:73], v0, off offset:4
	s_waitcnt vmcnt(0)
	global_store_dword v[80:81], v75, off
.LBB30_35:
	s_or_b32 exec_lo, exec_lo, s2
	v_mov_b32_e32 v80, v74
	v_mov_b32_e32 v0, v74
.LBB30_36:
	s_or_b32 exec_lo, exec_lo, s1
.LBB30_37:
	s_andn2_saveexec_b32 s0, s0
	s_cbranch_execz .LBB30_39
; %bb.38:
	v_mov_b32_e32 v80, 1
	ds_write2_b64 v1, v[54:55], v[56:57] offset0:4 offset1:5
	ds_write2_b64 v1, v[50:51], v[52:53] offset0:6 offset1:7
	;; [unrolled: 1-line block ×14, first 2 shown]
.LBB30_39:
	s_or_b32 exec_lo, exec_lo, s0
	s_mov_b32 s0, exec_lo
	s_waitcnt lgkmcnt(0)
	s_waitcnt_vscnt null, 0x0
	s_barrier
	buffer_gl0_inv
	v_cmpx_lt_i32_e32 1, v80
	s_cbranch_execz .LBB30_41
; %bb.40:
	v_mul_f64 v[74:75], v[66:67], v[60:61]
	v_mul_f64 v[60:61], v[68:69], v[60:61]
	v_fma_f64 v[74:75], v[68:69], v[58:59], v[74:75]
	v_fma_f64 v[58:59], v[66:67], v[58:59], -v[60:61]
	ds_read2_b64 v[66:69], v1 offset0:4 offset1:5
	s_waitcnt lgkmcnt(0)
	v_mul_f64 v[60:61], v[68:69], v[74:75]
	v_fma_f64 v[60:61], v[66:67], v[58:59], -v[60:61]
	v_mul_f64 v[66:67], v[66:67], v[74:75]
	v_add_f64 v[54:55], v[54:55], -v[60:61]
	v_fma_f64 v[66:67], v[68:69], v[58:59], v[66:67]
	v_add_f64 v[56:57], v[56:57], -v[66:67]
	ds_read2_b64 v[66:69], v1 offset0:6 offset1:7
	s_waitcnt lgkmcnt(0)
	v_mul_f64 v[60:61], v[68:69], v[74:75]
	v_fma_f64 v[60:61], v[66:67], v[58:59], -v[60:61]
	v_mul_f64 v[66:67], v[66:67], v[74:75]
	v_add_f64 v[50:51], v[50:51], -v[60:61]
	v_fma_f64 v[66:67], v[68:69], v[58:59], v[66:67]
	v_add_f64 v[52:53], v[52:53], -v[66:67]
	ds_read2_b64 v[66:69], v1 offset0:8 offset1:9
	s_waitcnt lgkmcnt(0)
	v_mul_f64 v[60:61], v[68:69], v[74:75]
	v_fma_f64 v[60:61], v[66:67], v[58:59], -v[60:61]
	v_mul_f64 v[66:67], v[66:67], v[74:75]
	v_add_f64 v[42:43], v[42:43], -v[60:61]
	v_fma_f64 v[66:67], v[68:69], v[58:59], v[66:67]
	v_add_f64 v[44:45], v[44:45], -v[66:67]
	ds_read2_b64 v[66:69], v1 offset0:10 offset1:11
	s_waitcnt lgkmcnt(0)
	v_mul_f64 v[60:61], v[68:69], v[74:75]
	v_fma_f64 v[60:61], v[66:67], v[58:59], -v[60:61]
	v_mul_f64 v[66:67], v[66:67], v[74:75]
	v_add_f64 v[38:39], v[38:39], -v[60:61]
	v_fma_f64 v[66:67], v[68:69], v[58:59], v[66:67]
	v_add_f64 v[40:41], v[40:41], -v[66:67]
	ds_read2_b64 v[66:69], v1 offset0:12 offset1:13
	s_waitcnt lgkmcnt(0)
	v_mul_f64 v[60:61], v[68:69], v[74:75]
	v_fma_f64 v[60:61], v[66:67], v[58:59], -v[60:61]
	v_mul_f64 v[66:67], v[66:67], v[74:75]
	v_add_f64 v[34:35], v[34:35], -v[60:61]
	v_fma_f64 v[66:67], v[68:69], v[58:59], v[66:67]
	v_add_f64 v[36:37], v[36:37], -v[66:67]
	ds_read2_b64 v[66:69], v1 offset0:14 offset1:15
	s_waitcnt lgkmcnt(0)
	v_mul_f64 v[60:61], v[68:69], v[74:75]
	v_fma_f64 v[60:61], v[66:67], v[58:59], -v[60:61]
	v_mul_f64 v[66:67], v[66:67], v[74:75]
	v_add_f64 v[30:31], v[30:31], -v[60:61]
	v_fma_f64 v[66:67], v[68:69], v[58:59], v[66:67]
	v_add_f64 v[32:33], v[32:33], -v[66:67]
	ds_read2_b64 v[66:69], v1 offset0:16 offset1:17
	s_waitcnt lgkmcnt(0)
	v_mul_f64 v[60:61], v[68:69], v[74:75]
	v_fma_f64 v[60:61], v[66:67], v[58:59], -v[60:61]
	v_mul_f64 v[66:67], v[66:67], v[74:75]
	v_add_f64 v[46:47], v[46:47], -v[60:61]
	v_fma_f64 v[66:67], v[68:69], v[58:59], v[66:67]
	v_add_f64 v[48:49], v[48:49], -v[66:67]
	ds_read2_b64 v[66:69], v1 offset0:18 offset1:19
	s_waitcnt lgkmcnt(0)
	v_mul_f64 v[60:61], v[68:69], v[74:75]
	v_fma_f64 v[60:61], v[66:67], v[58:59], -v[60:61]
	v_mul_f64 v[66:67], v[66:67], v[74:75]
	v_add_f64 v[26:27], v[26:27], -v[60:61]
	v_fma_f64 v[66:67], v[68:69], v[58:59], v[66:67]
	v_add_f64 v[28:29], v[28:29], -v[66:67]
	ds_read2_b64 v[66:69], v1 offset0:20 offset1:21
	s_waitcnt lgkmcnt(0)
	v_mul_f64 v[60:61], v[68:69], v[74:75]
	v_fma_f64 v[60:61], v[66:67], v[58:59], -v[60:61]
	v_mul_f64 v[66:67], v[66:67], v[74:75]
	v_add_f64 v[22:23], v[22:23], -v[60:61]
	v_fma_f64 v[66:67], v[68:69], v[58:59], v[66:67]
	v_add_f64 v[24:25], v[24:25], -v[66:67]
	ds_read2_b64 v[66:69], v1 offset0:22 offset1:23
	s_waitcnt lgkmcnt(0)
	v_mul_f64 v[60:61], v[68:69], v[74:75]
	v_fma_f64 v[60:61], v[66:67], v[58:59], -v[60:61]
	v_mul_f64 v[66:67], v[66:67], v[74:75]
	v_add_f64 v[18:19], v[18:19], -v[60:61]
	v_fma_f64 v[66:67], v[68:69], v[58:59], v[66:67]
	v_add_f64 v[20:21], v[20:21], -v[66:67]
	ds_read2_b64 v[66:69], v1 offset0:24 offset1:25
	s_waitcnt lgkmcnt(0)
	v_mul_f64 v[60:61], v[68:69], v[74:75]
	v_fma_f64 v[60:61], v[66:67], v[58:59], -v[60:61]
	v_mul_f64 v[66:67], v[66:67], v[74:75]
	v_add_f64 v[14:15], v[14:15], -v[60:61]
	v_fma_f64 v[66:67], v[68:69], v[58:59], v[66:67]
	v_add_f64 v[16:17], v[16:17], -v[66:67]
	ds_read2_b64 v[66:69], v1 offset0:26 offset1:27
	s_waitcnt lgkmcnt(0)
	v_mul_f64 v[60:61], v[68:69], v[74:75]
	v_fma_f64 v[60:61], v[66:67], v[58:59], -v[60:61]
	v_mul_f64 v[66:67], v[66:67], v[74:75]
	v_add_f64 v[10:11], v[10:11], -v[60:61]
	v_fma_f64 v[66:67], v[68:69], v[58:59], v[66:67]
	v_add_f64 v[12:13], v[12:13], -v[66:67]
	ds_read2_b64 v[66:69], v1 offset0:28 offset1:29
	s_waitcnt lgkmcnt(0)
	v_mul_f64 v[60:61], v[68:69], v[74:75]
	v_fma_f64 v[60:61], v[66:67], v[58:59], -v[60:61]
	v_mul_f64 v[66:67], v[66:67], v[74:75]
	v_add_f64 v[6:7], v[6:7], -v[60:61]
	v_fma_f64 v[66:67], v[68:69], v[58:59], v[66:67]
	v_add_f64 v[8:9], v[8:9], -v[66:67]
	ds_read2_b64 v[66:69], v1 offset0:30 offset1:31
	s_waitcnt lgkmcnt(0)
	v_mul_f64 v[60:61], v[68:69], v[74:75]
	v_fma_f64 v[60:61], v[66:67], v[58:59], -v[60:61]
	v_mul_f64 v[66:67], v[66:67], v[74:75]
	v_add_f64 v[2:3], v[2:3], -v[60:61]
	v_fma_f64 v[66:67], v[68:69], v[58:59], v[66:67]
	v_mov_b32_e32 v60, v74
	v_mov_b32_e32 v61, v75
	v_add_f64 v[4:5], v[4:5], -v[66:67]
.LBB30_41:
	s_or_b32 exec_lo, exec_lo, s0
	v_lshl_add_u32 v66, v80, 4, v1
	s_barrier
	buffer_gl0_inv
	v_mov_b32_e32 v74, 2
	ds_write2_b64 v66, v[54:55], v[56:57] offset1:1
	s_waitcnt lgkmcnt(0)
	s_barrier
	buffer_gl0_inv
	ds_read2_b64 v[66:69], v1 offset0:4 offset1:5
	s_cmp_lt_i32 s18, 4
	s_cbranch_scc1 .LBB30_44
; %bb.42:
	v_add3_u32 v75, v76, 0, 48
	v_mov_b32_e32 v74, 2
	s_mov_b32 s1, 3
	s_inst_prefetch 0x1
	.p2align	6
.LBB30_43:                              ; =>This Inner Loop Header: Depth=1
	s_waitcnt lgkmcnt(0)
	v_cmp_gt_f64_e32 vcc_lo, 0, v[68:69]
	v_cmp_gt_f64_e64 s0, 0, v[66:67]
	ds_read2_b64 v[81:84], v75 offset1:1
	v_xor_b32_e32 v86, 0x80000000, v67
	v_xor_b32_e32 v88, 0x80000000, v69
	v_mov_b32_e32 v85, v66
	v_mov_b32_e32 v87, v68
	v_add_nc_u32_e32 v75, 16, v75
	s_waitcnt lgkmcnt(0)
	v_xor_b32_e32 v90, 0x80000000, v84
	v_cndmask_b32_e64 v86, v67, v86, s0
	v_cndmask_b32_e32 v88, v69, v88, vcc_lo
	v_cmp_gt_f64_e32 vcc_lo, 0, v[83:84]
	v_cmp_gt_f64_e64 s0, 0, v[81:82]
	v_mov_b32_e32 v89, v83
	v_add_f64 v[85:86], v[85:86], v[87:88]
	v_xor_b32_e32 v88, 0x80000000, v82
	v_mov_b32_e32 v87, v81
	v_cndmask_b32_e32 v90, v84, v90, vcc_lo
	v_cndmask_b32_e64 v88, v82, v88, s0
	v_add_f64 v[87:88], v[87:88], v[89:90]
	v_cmp_lt_f64_e32 vcc_lo, v[85:86], v[87:88]
	v_cndmask_b32_e32 v67, v67, v82, vcc_lo
	v_cndmask_b32_e32 v66, v66, v81, vcc_lo
	;; [unrolled: 1-line block ×4, first 2 shown]
	v_cndmask_b32_e64 v74, v74, s1, vcc_lo
	s_add_i32 s1, s1, 1
	s_cmp_lg_u32 s18, s1
	s_cbranch_scc1 .LBB30_43
.LBB30_44:
	s_inst_prefetch 0x2
	s_waitcnt lgkmcnt(0)
	v_cmp_eq_f64_e32 vcc_lo, 0, v[66:67]
	v_cmp_eq_f64_e64 s0, 0, v[68:69]
	s_and_b32 s0, vcc_lo, s0
	s_and_saveexec_b32 s1, s0
	s_xor_b32 s0, exec_lo, s1
; %bb.45:
	v_cmp_ne_u32_e32 vcc_lo, 0, v79
	v_cndmask_b32_e32 v79, 3, v79, vcc_lo
; %bb.46:
	s_andn2_saveexec_b32 s0, s0
	s_cbranch_execz .LBB30_52
; %bb.47:
	v_cmp_ngt_f64_e64 s1, |v[66:67]|, |v[68:69]|
	s_and_saveexec_b32 s2, s1
	s_xor_b32 s1, exec_lo, s2
	s_cbranch_execz .LBB30_49
; %bb.48:
	v_div_scale_f64 v[81:82], null, v[68:69], v[68:69], v[66:67]
	v_div_scale_f64 v[87:88], vcc_lo, v[66:67], v[68:69], v[66:67]
	v_rcp_f64_e32 v[83:84], v[81:82]
	v_fma_f64 v[85:86], -v[81:82], v[83:84], 1.0
	v_fma_f64 v[83:84], v[83:84], v[85:86], v[83:84]
	v_fma_f64 v[85:86], -v[81:82], v[83:84], 1.0
	v_fma_f64 v[83:84], v[83:84], v[85:86], v[83:84]
	v_mul_f64 v[85:86], v[87:88], v[83:84]
	v_fma_f64 v[81:82], -v[81:82], v[85:86], v[87:88]
	v_div_fmas_f64 v[81:82], v[81:82], v[83:84], v[85:86]
	v_div_fixup_f64 v[81:82], v[81:82], v[68:69], v[66:67]
	v_fma_f64 v[66:67], v[66:67], v[81:82], v[68:69]
	v_div_scale_f64 v[68:69], null, v[66:67], v[66:67], 1.0
	v_rcp_f64_e32 v[83:84], v[68:69]
	v_fma_f64 v[85:86], -v[68:69], v[83:84], 1.0
	v_fma_f64 v[83:84], v[83:84], v[85:86], v[83:84]
	v_fma_f64 v[85:86], -v[68:69], v[83:84], 1.0
	v_fma_f64 v[83:84], v[83:84], v[85:86], v[83:84]
	v_div_scale_f64 v[85:86], vcc_lo, 1.0, v[66:67], 1.0
	v_mul_f64 v[87:88], v[85:86], v[83:84]
	v_fma_f64 v[68:69], -v[68:69], v[87:88], v[85:86]
	v_div_fmas_f64 v[68:69], v[68:69], v[83:84], v[87:88]
	v_div_fixup_f64 v[68:69], v[68:69], v[66:67], 1.0
	v_mul_f64 v[66:67], v[81:82], v[68:69]
	v_xor_b32_e32 v69, 0x80000000, v69
.LBB30_49:
	s_andn2_saveexec_b32 s1, s1
	s_cbranch_execz .LBB30_51
; %bb.50:
	v_div_scale_f64 v[81:82], null, v[66:67], v[66:67], v[68:69]
	v_div_scale_f64 v[87:88], vcc_lo, v[68:69], v[66:67], v[68:69]
	v_rcp_f64_e32 v[83:84], v[81:82]
	v_fma_f64 v[85:86], -v[81:82], v[83:84], 1.0
	v_fma_f64 v[83:84], v[83:84], v[85:86], v[83:84]
	v_fma_f64 v[85:86], -v[81:82], v[83:84], 1.0
	v_fma_f64 v[83:84], v[83:84], v[85:86], v[83:84]
	v_mul_f64 v[85:86], v[87:88], v[83:84]
	v_fma_f64 v[81:82], -v[81:82], v[85:86], v[87:88]
	v_div_fmas_f64 v[81:82], v[81:82], v[83:84], v[85:86]
	v_div_fixup_f64 v[81:82], v[81:82], v[66:67], v[68:69]
	v_fma_f64 v[66:67], v[68:69], v[81:82], v[66:67]
	v_div_scale_f64 v[68:69], null, v[66:67], v[66:67], 1.0
	v_rcp_f64_e32 v[83:84], v[68:69]
	v_fma_f64 v[85:86], -v[68:69], v[83:84], 1.0
	v_fma_f64 v[83:84], v[83:84], v[85:86], v[83:84]
	v_fma_f64 v[85:86], -v[68:69], v[83:84], 1.0
	v_fma_f64 v[83:84], v[83:84], v[85:86], v[83:84]
	v_div_scale_f64 v[85:86], vcc_lo, 1.0, v[66:67], 1.0
	v_mul_f64 v[87:88], v[85:86], v[83:84]
	v_fma_f64 v[68:69], -v[68:69], v[87:88], v[85:86]
	v_div_fmas_f64 v[68:69], v[68:69], v[83:84], v[87:88]
	v_div_fixup_f64 v[66:67], v[68:69], v[66:67], 1.0
	v_mul_f64 v[68:69], v[81:82], -v[66:67]
.LBB30_51:
	s_or_b32 exec_lo, exec_lo, s1
.LBB30_52:
	s_or_b32 exec_lo, exec_lo, s0
	s_mov_b32 s0, exec_lo
	v_cmpx_ne_u32_e64 v80, v74
	s_xor_b32 s0, exec_lo, s0
	s_cbranch_execz .LBB30_58
; %bb.53:
	s_mov_b32 s1, exec_lo
	v_cmpx_eq_u32_e32 2, v80
	s_cbranch_execz .LBB30_57
; %bb.54:
	v_cmp_ne_u32_e32 vcc_lo, 2, v74
	s_xor_b32 s2, s16, -1
	s_and_b32 s3, s2, vcc_lo
	s_and_saveexec_b32 s2, s3
	s_cbranch_execz .LBB30_56
; %bb.55:
	v_ashrrev_i32_e32 v75, 31, v74
	v_lshlrev_b64 v[80:81], 2, v[74:75]
	v_add_co_u32 v80, vcc_lo, v72, v80
	v_add_co_ci_u32_e64 v81, null, v73, v81, vcc_lo
	s_clause 0x1
	global_load_dword v0, v[80:81], off
	global_load_dword v75, v[72:73], off offset:8
	s_waitcnt vmcnt(1)
	global_store_dword v[72:73], v0, off offset:8
	s_waitcnt vmcnt(0)
	global_store_dword v[80:81], v75, off
.LBB30_56:
	s_or_b32 exec_lo, exec_lo, s2
	v_mov_b32_e32 v80, v74
	v_mov_b32_e32 v0, v74
.LBB30_57:
	s_or_b32 exec_lo, exec_lo, s1
.LBB30_58:
	s_andn2_saveexec_b32 s0, s0
	s_cbranch_execz .LBB30_60
; %bb.59:
	v_mov_b32_e32 v80, 2
	ds_write2_b64 v1, v[50:51], v[52:53] offset0:6 offset1:7
	ds_write2_b64 v1, v[42:43], v[44:45] offset0:8 offset1:9
	;; [unrolled: 1-line block ×13, first 2 shown]
.LBB30_60:
	s_or_b32 exec_lo, exec_lo, s0
	s_mov_b32 s0, exec_lo
	s_waitcnt lgkmcnt(0)
	s_waitcnt_vscnt null, 0x0
	s_barrier
	buffer_gl0_inv
	v_cmpx_lt_i32_e32 2, v80
	s_cbranch_execz .LBB30_62
; %bb.61:
	v_mul_f64 v[74:75], v[66:67], v[56:57]
	v_mul_f64 v[56:57], v[68:69], v[56:57]
	v_fma_f64 v[74:75], v[68:69], v[54:55], v[74:75]
	v_fma_f64 v[54:55], v[66:67], v[54:55], -v[56:57]
	ds_read2_b64 v[66:69], v1 offset0:6 offset1:7
	s_waitcnt lgkmcnt(0)
	v_mul_f64 v[56:57], v[68:69], v[74:75]
	v_fma_f64 v[56:57], v[66:67], v[54:55], -v[56:57]
	v_mul_f64 v[66:67], v[66:67], v[74:75]
	v_add_f64 v[50:51], v[50:51], -v[56:57]
	v_fma_f64 v[66:67], v[68:69], v[54:55], v[66:67]
	v_add_f64 v[52:53], v[52:53], -v[66:67]
	ds_read2_b64 v[66:69], v1 offset0:8 offset1:9
	s_waitcnt lgkmcnt(0)
	v_mul_f64 v[56:57], v[68:69], v[74:75]
	v_fma_f64 v[56:57], v[66:67], v[54:55], -v[56:57]
	v_mul_f64 v[66:67], v[66:67], v[74:75]
	v_add_f64 v[42:43], v[42:43], -v[56:57]
	v_fma_f64 v[66:67], v[68:69], v[54:55], v[66:67]
	v_add_f64 v[44:45], v[44:45], -v[66:67]
	;; [unrolled: 8-line block ×12, first 2 shown]
	ds_read2_b64 v[66:69], v1 offset0:30 offset1:31
	s_waitcnt lgkmcnt(0)
	v_mul_f64 v[56:57], v[68:69], v[74:75]
	v_fma_f64 v[56:57], v[66:67], v[54:55], -v[56:57]
	v_mul_f64 v[66:67], v[66:67], v[74:75]
	v_add_f64 v[2:3], v[2:3], -v[56:57]
	v_fma_f64 v[66:67], v[68:69], v[54:55], v[66:67]
	v_mov_b32_e32 v56, v74
	v_mov_b32_e32 v57, v75
	v_add_f64 v[4:5], v[4:5], -v[66:67]
.LBB30_62:
	s_or_b32 exec_lo, exec_lo, s0
	v_lshl_add_u32 v66, v80, 4, v1
	s_barrier
	buffer_gl0_inv
	v_mov_b32_e32 v74, 3
	ds_write2_b64 v66, v[50:51], v[52:53] offset1:1
	s_waitcnt lgkmcnt(0)
	s_barrier
	buffer_gl0_inv
	ds_read2_b64 v[66:69], v1 offset0:6 offset1:7
	s_cmp_lt_i32 s18, 5
	s_mov_b32 s1, 4
	s_cbranch_scc1 .LBB30_65
; %bb.63:
	v_add3_u32 v75, v76, 0, 64
	v_mov_b32_e32 v74, 3
	s_inst_prefetch 0x1
	.p2align	6
.LBB30_64:                              ; =>This Inner Loop Header: Depth=1
	s_waitcnt lgkmcnt(0)
	v_cmp_gt_f64_e32 vcc_lo, 0, v[68:69]
	v_cmp_gt_f64_e64 s0, 0, v[66:67]
	ds_read2_b64 v[81:84], v75 offset1:1
	v_xor_b32_e32 v86, 0x80000000, v67
	v_xor_b32_e32 v88, 0x80000000, v69
	v_mov_b32_e32 v85, v66
	v_mov_b32_e32 v87, v68
	v_add_nc_u32_e32 v75, 16, v75
	s_waitcnt lgkmcnt(0)
	v_xor_b32_e32 v90, 0x80000000, v84
	v_cndmask_b32_e64 v86, v67, v86, s0
	v_cndmask_b32_e32 v88, v69, v88, vcc_lo
	v_cmp_gt_f64_e32 vcc_lo, 0, v[83:84]
	v_cmp_gt_f64_e64 s0, 0, v[81:82]
	v_mov_b32_e32 v89, v83
	v_add_f64 v[85:86], v[85:86], v[87:88]
	v_xor_b32_e32 v88, 0x80000000, v82
	v_mov_b32_e32 v87, v81
	v_cndmask_b32_e32 v90, v84, v90, vcc_lo
	v_cndmask_b32_e64 v88, v82, v88, s0
	v_add_f64 v[87:88], v[87:88], v[89:90]
	v_cmp_lt_f64_e32 vcc_lo, v[85:86], v[87:88]
	v_cndmask_b32_e32 v67, v67, v82, vcc_lo
	v_cndmask_b32_e32 v66, v66, v81, vcc_lo
	;; [unrolled: 1-line block ×4, first 2 shown]
	v_cndmask_b32_e64 v74, v74, s1, vcc_lo
	s_add_i32 s1, s1, 1
	s_cmp_lg_u32 s18, s1
	s_cbranch_scc1 .LBB30_64
.LBB30_65:
	s_inst_prefetch 0x2
	s_waitcnt lgkmcnt(0)
	v_cmp_eq_f64_e32 vcc_lo, 0, v[66:67]
	v_cmp_eq_f64_e64 s0, 0, v[68:69]
	s_and_b32 s0, vcc_lo, s0
	s_and_saveexec_b32 s1, s0
	s_xor_b32 s0, exec_lo, s1
; %bb.66:
	v_cmp_ne_u32_e32 vcc_lo, 0, v79
	v_cndmask_b32_e32 v79, 4, v79, vcc_lo
; %bb.67:
	s_andn2_saveexec_b32 s0, s0
	s_cbranch_execz .LBB30_73
; %bb.68:
	v_cmp_ngt_f64_e64 s1, |v[66:67]|, |v[68:69]|
	s_and_saveexec_b32 s2, s1
	s_xor_b32 s1, exec_lo, s2
	s_cbranch_execz .LBB30_70
; %bb.69:
	v_div_scale_f64 v[81:82], null, v[68:69], v[68:69], v[66:67]
	v_div_scale_f64 v[87:88], vcc_lo, v[66:67], v[68:69], v[66:67]
	v_rcp_f64_e32 v[83:84], v[81:82]
	v_fma_f64 v[85:86], -v[81:82], v[83:84], 1.0
	v_fma_f64 v[83:84], v[83:84], v[85:86], v[83:84]
	v_fma_f64 v[85:86], -v[81:82], v[83:84], 1.0
	v_fma_f64 v[83:84], v[83:84], v[85:86], v[83:84]
	v_mul_f64 v[85:86], v[87:88], v[83:84]
	v_fma_f64 v[81:82], -v[81:82], v[85:86], v[87:88]
	v_div_fmas_f64 v[81:82], v[81:82], v[83:84], v[85:86]
	v_div_fixup_f64 v[81:82], v[81:82], v[68:69], v[66:67]
	v_fma_f64 v[66:67], v[66:67], v[81:82], v[68:69]
	v_div_scale_f64 v[68:69], null, v[66:67], v[66:67], 1.0
	v_rcp_f64_e32 v[83:84], v[68:69]
	v_fma_f64 v[85:86], -v[68:69], v[83:84], 1.0
	v_fma_f64 v[83:84], v[83:84], v[85:86], v[83:84]
	v_fma_f64 v[85:86], -v[68:69], v[83:84], 1.0
	v_fma_f64 v[83:84], v[83:84], v[85:86], v[83:84]
	v_div_scale_f64 v[85:86], vcc_lo, 1.0, v[66:67], 1.0
	v_mul_f64 v[87:88], v[85:86], v[83:84]
	v_fma_f64 v[68:69], -v[68:69], v[87:88], v[85:86]
	v_div_fmas_f64 v[68:69], v[68:69], v[83:84], v[87:88]
	v_div_fixup_f64 v[68:69], v[68:69], v[66:67], 1.0
	v_mul_f64 v[66:67], v[81:82], v[68:69]
	v_xor_b32_e32 v69, 0x80000000, v69
.LBB30_70:
	s_andn2_saveexec_b32 s1, s1
	s_cbranch_execz .LBB30_72
; %bb.71:
	v_div_scale_f64 v[81:82], null, v[66:67], v[66:67], v[68:69]
	v_div_scale_f64 v[87:88], vcc_lo, v[68:69], v[66:67], v[68:69]
	v_rcp_f64_e32 v[83:84], v[81:82]
	v_fma_f64 v[85:86], -v[81:82], v[83:84], 1.0
	v_fma_f64 v[83:84], v[83:84], v[85:86], v[83:84]
	v_fma_f64 v[85:86], -v[81:82], v[83:84], 1.0
	v_fma_f64 v[83:84], v[83:84], v[85:86], v[83:84]
	v_mul_f64 v[85:86], v[87:88], v[83:84]
	v_fma_f64 v[81:82], -v[81:82], v[85:86], v[87:88]
	v_div_fmas_f64 v[81:82], v[81:82], v[83:84], v[85:86]
	v_div_fixup_f64 v[81:82], v[81:82], v[66:67], v[68:69]
	v_fma_f64 v[66:67], v[68:69], v[81:82], v[66:67]
	v_div_scale_f64 v[68:69], null, v[66:67], v[66:67], 1.0
	v_rcp_f64_e32 v[83:84], v[68:69]
	v_fma_f64 v[85:86], -v[68:69], v[83:84], 1.0
	v_fma_f64 v[83:84], v[83:84], v[85:86], v[83:84]
	v_fma_f64 v[85:86], -v[68:69], v[83:84], 1.0
	v_fma_f64 v[83:84], v[83:84], v[85:86], v[83:84]
	v_div_scale_f64 v[85:86], vcc_lo, 1.0, v[66:67], 1.0
	v_mul_f64 v[87:88], v[85:86], v[83:84]
	v_fma_f64 v[68:69], -v[68:69], v[87:88], v[85:86]
	v_div_fmas_f64 v[68:69], v[68:69], v[83:84], v[87:88]
	v_div_fixup_f64 v[66:67], v[68:69], v[66:67], 1.0
	v_mul_f64 v[68:69], v[81:82], -v[66:67]
.LBB30_72:
	s_or_b32 exec_lo, exec_lo, s1
.LBB30_73:
	s_or_b32 exec_lo, exec_lo, s0
	s_mov_b32 s0, exec_lo
	v_cmpx_ne_u32_e64 v80, v74
	s_xor_b32 s0, exec_lo, s0
	s_cbranch_execz .LBB30_79
; %bb.74:
	s_mov_b32 s1, exec_lo
	v_cmpx_eq_u32_e32 3, v80
	s_cbranch_execz .LBB30_78
; %bb.75:
	v_cmp_ne_u32_e32 vcc_lo, 3, v74
	s_xor_b32 s2, s16, -1
	s_and_b32 s3, s2, vcc_lo
	s_and_saveexec_b32 s2, s3
	s_cbranch_execz .LBB30_77
; %bb.76:
	v_ashrrev_i32_e32 v75, 31, v74
	v_lshlrev_b64 v[80:81], 2, v[74:75]
	v_add_co_u32 v80, vcc_lo, v72, v80
	v_add_co_ci_u32_e64 v81, null, v73, v81, vcc_lo
	s_clause 0x1
	global_load_dword v0, v[80:81], off
	global_load_dword v75, v[72:73], off offset:12
	s_waitcnt vmcnt(1)
	global_store_dword v[72:73], v0, off offset:12
	s_waitcnt vmcnt(0)
	global_store_dword v[80:81], v75, off
.LBB30_77:
	s_or_b32 exec_lo, exec_lo, s2
	v_mov_b32_e32 v80, v74
	v_mov_b32_e32 v0, v74
.LBB30_78:
	s_or_b32 exec_lo, exec_lo, s1
.LBB30_79:
	s_andn2_saveexec_b32 s0, s0
	s_cbranch_execz .LBB30_81
; %bb.80:
	v_mov_b32_e32 v80, 3
	ds_write2_b64 v1, v[42:43], v[44:45] offset0:8 offset1:9
	ds_write2_b64 v1, v[38:39], v[40:41] offset0:10 offset1:11
	;; [unrolled: 1-line block ×12, first 2 shown]
.LBB30_81:
	s_or_b32 exec_lo, exec_lo, s0
	s_mov_b32 s0, exec_lo
	s_waitcnt lgkmcnt(0)
	s_waitcnt_vscnt null, 0x0
	s_barrier
	buffer_gl0_inv
	v_cmpx_lt_i32_e32 3, v80
	s_cbranch_execz .LBB30_83
; %bb.82:
	v_mul_f64 v[74:75], v[66:67], v[52:53]
	v_mul_f64 v[52:53], v[68:69], v[52:53]
	v_fma_f64 v[74:75], v[68:69], v[50:51], v[74:75]
	v_fma_f64 v[50:51], v[66:67], v[50:51], -v[52:53]
	ds_read2_b64 v[66:69], v1 offset0:8 offset1:9
	s_waitcnt lgkmcnt(0)
	v_mul_f64 v[52:53], v[68:69], v[74:75]
	v_fma_f64 v[52:53], v[66:67], v[50:51], -v[52:53]
	v_mul_f64 v[66:67], v[66:67], v[74:75]
	v_add_f64 v[42:43], v[42:43], -v[52:53]
	v_fma_f64 v[66:67], v[68:69], v[50:51], v[66:67]
	v_add_f64 v[44:45], v[44:45], -v[66:67]
	ds_read2_b64 v[66:69], v1 offset0:10 offset1:11
	s_waitcnt lgkmcnt(0)
	v_mul_f64 v[52:53], v[68:69], v[74:75]
	v_fma_f64 v[52:53], v[66:67], v[50:51], -v[52:53]
	v_mul_f64 v[66:67], v[66:67], v[74:75]
	v_add_f64 v[38:39], v[38:39], -v[52:53]
	v_fma_f64 v[66:67], v[68:69], v[50:51], v[66:67]
	v_add_f64 v[40:41], v[40:41], -v[66:67]
	;; [unrolled: 8-line block ×11, first 2 shown]
	ds_read2_b64 v[66:69], v1 offset0:30 offset1:31
	s_waitcnt lgkmcnt(0)
	v_mul_f64 v[52:53], v[68:69], v[74:75]
	v_fma_f64 v[52:53], v[66:67], v[50:51], -v[52:53]
	v_mul_f64 v[66:67], v[66:67], v[74:75]
	v_add_f64 v[2:3], v[2:3], -v[52:53]
	v_fma_f64 v[66:67], v[68:69], v[50:51], v[66:67]
	v_mov_b32_e32 v52, v74
	v_mov_b32_e32 v53, v75
	v_add_f64 v[4:5], v[4:5], -v[66:67]
.LBB30_83:
	s_or_b32 exec_lo, exec_lo, s0
	v_lshl_add_u32 v66, v80, 4, v1
	s_barrier
	buffer_gl0_inv
	v_mov_b32_e32 v74, 4
	ds_write2_b64 v66, v[42:43], v[44:45] offset1:1
	s_waitcnt lgkmcnt(0)
	s_barrier
	buffer_gl0_inv
	ds_read2_b64 v[66:69], v1 offset0:8 offset1:9
	s_cmp_lt_i32 s18, 6
	s_cbranch_scc1 .LBB30_86
; %bb.84:
	v_mov_b32_e32 v74, 4
	v_add3_u32 v75, v76, 0, 0x50
	s_mov_b32 s1, 5
	s_inst_prefetch 0x1
	.p2align	6
.LBB30_85:                              ; =>This Inner Loop Header: Depth=1
	s_waitcnt lgkmcnt(0)
	v_cmp_gt_f64_e32 vcc_lo, 0, v[68:69]
	v_cmp_gt_f64_e64 s0, 0, v[66:67]
	ds_read2_b64 v[81:84], v75 offset1:1
	v_xor_b32_e32 v86, 0x80000000, v67
	v_xor_b32_e32 v88, 0x80000000, v69
	v_mov_b32_e32 v85, v66
	v_mov_b32_e32 v87, v68
	v_add_nc_u32_e32 v75, 16, v75
	s_waitcnt lgkmcnt(0)
	v_xor_b32_e32 v90, 0x80000000, v84
	v_cndmask_b32_e64 v86, v67, v86, s0
	v_cndmask_b32_e32 v88, v69, v88, vcc_lo
	v_cmp_gt_f64_e32 vcc_lo, 0, v[83:84]
	v_cmp_gt_f64_e64 s0, 0, v[81:82]
	v_mov_b32_e32 v89, v83
	v_add_f64 v[85:86], v[85:86], v[87:88]
	v_xor_b32_e32 v88, 0x80000000, v82
	v_mov_b32_e32 v87, v81
	v_cndmask_b32_e32 v90, v84, v90, vcc_lo
	v_cndmask_b32_e64 v88, v82, v88, s0
	v_add_f64 v[87:88], v[87:88], v[89:90]
	v_cmp_lt_f64_e32 vcc_lo, v[85:86], v[87:88]
	v_cndmask_b32_e32 v67, v67, v82, vcc_lo
	v_cndmask_b32_e32 v66, v66, v81, vcc_lo
	;; [unrolled: 1-line block ×4, first 2 shown]
	v_cndmask_b32_e64 v74, v74, s1, vcc_lo
	s_add_i32 s1, s1, 1
	s_cmp_lg_u32 s18, s1
	s_cbranch_scc1 .LBB30_85
.LBB30_86:
	s_inst_prefetch 0x2
	s_waitcnt lgkmcnt(0)
	v_cmp_eq_f64_e32 vcc_lo, 0, v[66:67]
	v_cmp_eq_f64_e64 s0, 0, v[68:69]
	s_and_b32 s0, vcc_lo, s0
	s_and_saveexec_b32 s1, s0
	s_xor_b32 s0, exec_lo, s1
; %bb.87:
	v_cmp_ne_u32_e32 vcc_lo, 0, v79
	v_cndmask_b32_e32 v79, 5, v79, vcc_lo
; %bb.88:
	s_andn2_saveexec_b32 s0, s0
	s_cbranch_execz .LBB30_94
; %bb.89:
	v_cmp_ngt_f64_e64 s1, |v[66:67]|, |v[68:69]|
	s_and_saveexec_b32 s2, s1
	s_xor_b32 s1, exec_lo, s2
	s_cbranch_execz .LBB30_91
; %bb.90:
	v_div_scale_f64 v[81:82], null, v[68:69], v[68:69], v[66:67]
	v_div_scale_f64 v[87:88], vcc_lo, v[66:67], v[68:69], v[66:67]
	v_rcp_f64_e32 v[83:84], v[81:82]
	v_fma_f64 v[85:86], -v[81:82], v[83:84], 1.0
	v_fma_f64 v[83:84], v[83:84], v[85:86], v[83:84]
	v_fma_f64 v[85:86], -v[81:82], v[83:84], 1.0
	v_fma_f64 v[83:84], v[83:84], v[85:86], v[83:84]
	v_mul_f64 v[85:86], v[87:88], v[83:84]
	v_fma_f64 v[81:82], -v[81:82], v[85:86], v[87:88]
	v_div_fmas_f64 v[81:82], v[81:82], v[83:84], v[85:86]
	v_div_fixup_f64 v[81:82], v[81:82], v[68:69], v[66:67]
	v_fma_f64 v[66:67], v[66:67], v[81:82], v[68:69]
	v_div_scale_f64 v[68:69], null, v[66:67], v[66:67], 1.0
	v_rcp_f64_e32 v[83:84], v[68:69]
	v_fma_f64 v[85:86], -v[68:69], v[83:84], 1.0
	v_fma_f64 v[83:84], v[83:84], v[85:86], v[83:84]
	v_fma_f64 v[85:86], -v[68:69], v[83:84], 1.0
	v_fma_f64 v[83:84], v[83:84], v[85:86], v[83:84]
	v_div_scale_f64 v[85:86], vcc_lo, 1.0, v[66:67], 1.0
	v_mul_f64 v[87:88], v[85:86], v[83:84]
	v_fma_f64 v[68:69], -v[68:69], v[87:88], v[85:86]
	v_div_fmas_f64 v[68:69], v[68:69], v[83:84], v[87:88]
	v_div_fixup_f64 v[68:69], v[68:69], v[66:67], 1.0
	v_mul_f64 v[66:67], v[81:82], v[68:69]
	v_xor_b32_e32 v69, 0x80000000, v69
.LBB30_91:
	s_andn2_saveexec_b32 s1, s1
	s_cbranch_execz .LBB30_93
; %bb.92:
	v_div_scale_f64 v[81:82], null, v[66:67], v[66:67], v[68:69]
	v_div_scale_f64 v[87:88], vcc_lo, v[68:69], v[66:67], v[68:69]
	v_rcp_f64_e32 v[83:84], v[81:82]
	v_fma_f64 v[85:86], -v[81:82], v[83:84], 1.0
	v_fma_f64 v[83:84], v[83:84], v[85:86], v[83:84]
	v_fma_f64 v[85:86], -v[81:82], v[83:84], 1.0
	v_fma_f64 v[83:84], v[83:84], v[85:86], v[83:84]
	v_mul_f64 v[85:86], v[87:88], v[83:84]
	v_fma_f64 v[81:82], -v[81:82], v[85:86], v[87:88]
	v_div_fmas_f64 v[81:82], v[81:82], v[83:84], v[85:86]
	v_div_fixup_f64 v[81:82], v[81:82], v[66:67], v[68:69]
	v_fma_f64 v[66:67], v[68:69], v[81:82], v[66:67]
	v_div_scale_f64 v[68:69], null, v[66:67], v[66:67], 1.0
	v_rcp_f64_e32 v[83:84], v[68:69]
	v_fma_f64 v[85:86], -v[68:69], v[83:84], 1.0
	v_fma_f64 v[83:84], v[83:84], v[85:86], v[83:84]
	v_fma_f64 v[85:86], -v[68:69], v[83:84], 1.0
	v_fma_f64 v[83:84], v[83:84], v[85:86], v[83:84]
	v_div_scale_f64 v[85:86], vcc_lo, 1.0, v[66:67], 1.0
	v_mul_f64 v[87:88], v[85:86], v[83:84]
	v_fma_f64 v[68:69], -v[68:69], v[87:88], v[85:86]
	v_div_fmas_f64 v[68:69], v[68:69], v[83:84], v[87:88]
	v_div_fixup_f64 v[66:67], v[68:69], v[66:67], 1.0
	v_mul_f64 v[68:69], v[81:82], -v[66:67]
.LBB30_93:
	s_or_b32 exec_lo, exec_lo, s1
.LBB30_94:
	s_or_b32 exec_lo, exec_lo, s0
	s_mov_b32 s0, exec_lo
	v_cmpx_ne_u32_e64 v80, v74
	s_xor_b32 s0, exec_lo, s0
	s_cbranch_execz .LBB30_100
; %bb.95:
	s_mov_b32 s1, exec_lo
	v_cmpx_eq_u32_e32 4, v80
	s_cbranch_execz .LBB30_99
; %bb.96:
	v_cmp_ne_u32_e32 vcc_lo, 4, v74
	s_xor_b32 s2, s16, -1
	s_and_b32 s3, s2, vcc_lo
	s_and_saveexec_b32 s2, s3
	s_cbranch_execz .LBB30_98
; %bb.97:
	v_ashrrev_i32_e32 v75, 31, v74
	v_lshlrev_b64 v[80:81], 2, v[74:75]
	v_add_co_u32 v80, vcc_lo, v72, v80
	v_add_co_ci_u32_e64 v81, null, v73, v81, vcc_lo
	s_clause 0x1
	global_load_dword v0, v[80:81], off
	global_load_dword v75, v[72:73], off offset:16
	s_waitcnt vmcnt(1)
	global_store_dword v[72:73], v0, off offset:16
	s_waitcnt vmcnt(0)
	global_store_dword v[80:81], v75, off
.LBB30_98:
	s_or_b32 exec_lo, exec_lo, s2
	v_mov_b32_e32 v80, v74
	v_mov_b32_e32 v0, v74
.LBB30_99:
	s_or_b32 exec_lo, exec_lo, s1
.LBB30_100:
	s_andn2_saveexec_b32 s0, s0
	s_cbranch_execz .LBB30_102
; %bb.101:
	v_mov_b32_e32 v80, 4
	ds_write2_b64 v1, v[38:39], v[40:41] offset0:10 offset1:11
	ds_write2_b64 v1, v[34:35], v[36:37] offset0:12 offset1:13
	;; [unrolled: 1-line block ×11, first 2 shown]
.LBB30_102:
	s_or_b32 exec_lo, exec_lo, s0
	s_mov_b32 s0, exec_lo
	s_waitcnt lgkmcnt(0)
	s_waitcnt_vscnt null, 0x0
	s_barrier
	buffer_gl0_inv
	v_cmpx_lt_i32_e32 4, v80
	s_cbranch_execz .LBB30_104
; %bb.103:
	v_mul_f64 v[74:75], v[66:67], v[44:45]
	v_mul_f64 v[44:45], v[68:69], v[44:45]
	v_fma_f64 v[74:75], v[68:69], v[42:43], v[74:75]
	v_fma_f64 v[42:43], v[66:67], v[42:43], -v[44:45]
	ds_read2_b64 v[66:69], v1 offset0:10 offset1:11
	s_waitcnt lgkmcnt(0)
	v_mul_f64 v[44:45], v[68:69], v[74:75]
	v_fma_f64 v[44:45], v[66:67], v[42:43], -v[44:45]
	v_mul_f64 v[66:67], v[66:67], v[74:75]
	v_add_f64 v[38:39], v[38:39], -v[44:45]
	v_fma_f64 v[66:67], v[68:69], v[42:43], v[66:67]
	v_add_f64 v[40:41], v[40:41], -v[66:67]
	ds_read2_b64 v[66:69], v1 offset0:12 offset1:13
	s_waitcnt lgkmcnt(0)
	v_mul_f64 v[44:45], v[68:69], v[74:75]
	v_fma_f64 v[44:45], v[66:67], v[42:43], -v[44:45]
	v_mul_f64 v[66:67], v[66:67], v[74:75]
	v_add_f64 v[34:35], v[34:35], -v[44:45]
	v_fma_f64 v[66:67], v[68:69], v[42:43], v[66:67]
	v_add_f64 v[36:37], v[36:37], -v[66:67]
	;; [unrolled: 8-line block ×10, first 2 shown]
	ds_read2_b64 v[66:69], v1 offset0:30 offset1:31
	s_waitcnt lgkmcnt(0)
	v_mul_f64 v[44:45], v[68:69], v[74:75]
	v_fma_f64 v[44:45], v[66:67], v[42:43], -v[44:45]
	v_mul_f64 v[66:67], v[66:67], v[74:75]
	v_add_f64 v[2:3], v[2:3], -v[44:45]
	v_fma_f64 v[66:67], v[68:69], v[42:43], v[66:67]
	v_mov_b32_e32 v44, v74
	v_mov_b32_e32 v45, v75
	v_add_f64 v[4:5], v[4:5], -v[66:67]
.LBB30_104:
	s_or_b32 exec_lo, exec_lo, s0
	v_lshl_add_u32 v66, v80, 4, v1
	s_barrier
	buffer_gl0_inv
	v_mov_b32_e32 v74, 5
	ds_write2_b64 v66, v[38:39], v[40:41] offset1:1
	s_waitcnt lgkmcnt(0)
	s_barrier
	buffer_gl0_inv
	ds_read2_b64 v[66:69], v1 offset0:10 offset1:11
	s_cmp_lt_i32 s18, 7
	s_cbranch_scc1 .LBB30_107
; %bb.105:
	v_add3_u32 v75, v76, 0, 0x60
	v_mov_b32_e32 v74, 5
	s_mov_b32 s1, 6
	s_inst_prefetch 0x1
	.p2align	6
.LBB30_106:                             ; =>This Inner Loop Header: Depth=1
	s_waitcnt lgkmcnt(0)
	v_cmp_gt_f64_e32 vcc_lo, 0, v[68:69]
	v_cmp_gt_f64_e64 s0, 0, v[66:67]
	ds_read2_b64 v[81:84], v75 offset1:1
	v_xor_b32_e32 v86, 0x80000000, v67
	v_xor_b32_e32 v88, 0x80000000, v69
	v_mov_b32_e32 v85, v66
	v_mov_b32_e32 v87, v68
	v_add_nc_u32_e32 v75, 16, v75
	s_waitcnt lgkmcnt(0)
	v_xor_b32_e32 v90, 0x80000000, v84
	v_cndmask_b32_e64 v86, v67, v86, s0
	v_cndmask_b32_e32 v88, v69, v88, vcc_lo
	v_cmp_gt_f64_e32 vcc_lo, 0, v[83:84]
	v_cmp_gt_f64_e64 s0, 0, v[81:82]
	v_mov_b32_e32 v89, v83
	v_add_f64 v[85:86], v[85:86], v[87:88]
	v_xor_b32_e32 v88, 0x80000000, v82
	v_mov_b32_e32 v87, v81
	v_cndmask_b32_e32 v90, v84, v90, vcc_lo
	v_cndmask_b32_e64 v88, v82, v88, s0
	v_add_f64 v[87:88], v[87:88], v[89:90]
	v_cmp_lt_f64_e32 vcc_lo, v[85:86], v[87:88]
	v_cndmask_b32_e32 v67, v67, v82, vcc_lo
	v_cndmask_b32_e32 v66, v66, v81, vcc_lo
	v_cndmask_b32_e32 v69, v69, v84, vcc_lo
	v_cndmask_b32_e32 v68, v68, v83, vcc_lo
	v_cndmask_b32_e64 v74, v74, s1, vcc_lo
	s_add_i32 s1, s1, 1
	s_cmp_lg_u32 s18, s1
	s_cbranch_scc1 .LBB30_106
.LBB30_107:
	s_inst_prefetch 0x2
	s_waitcnt lgkmcnt(0)
	v_cmp_eq_f64_e32 vcc_lo, 0, v[66:67]
	v_cmp_eq_f64_e64 s0, 0, v[68:69]
	s_and_b32 s0, vcc_lo, s0
	s_and_saveexec_b32 s1, s0
	s_xor_b32 s0, exec_lo, s1
; %bb.108:
	v_cmp_ne_u32_e32 vcc_lo, 0, v79
	v_cndmask_b32_e32 v79, 6, v79, vcc_lo
; %bb.109:
	s_andn2_saveexec_b32 s0, s0
	s_cbranch_execz .LBB30_115
; %bb.110:
	v_cmp_ngt_f64_e64 s1, |v[66:67]|, |v[68:69]|
	s_and_saveexec_b32 s2, s1
	s_xor_b32 s1, exec_lo, s2
	s_cbranch_execz .LBB30_112
; %bb.111:
	v_div_scale_f64 v[81:82], null, v[68:69], v[68:69], v[66:67]
	v_div_scale_f64 v[87:88], vcc_lo, v[66:67], v[68:69], v[66:67]
	v_rcp_f64_e32 v[83:84], v[81:82]
	v_fma_f64 v[85:86], -v[81:82], v[83:84], 1.0
	v_fma_f64 v[83:84], v[83:84], v[85:86], v[83:84]
	v_fma_f64 v[85:86], -v[81:82], v[83:84], 1.0
	v_fma_f64 v[83:84], v[83:84], v[85:86], v[83:84]
	v_mul_f64 v[85:86], v[87:88], v[83:84]
	v_fma_f64 v[81:82], -v[81:82], v[85:86], v[87:88]
	v_div_fmas_f64 v[81:82], v[81:82], v[83:84], v[85:86]
	v_div_fixup_f64 v[81:82], v[81:82], v[68:69], v[66:67]
	v_fma_f64 v[66:67], v[66:67], v[81:82], v[68:69]
	v_div_scale_f64 v[68:69], null, v[66:67], v[66:67], 1.0
	v_rcp_f64_e32 v[83:84], v[68:69]
	v_fma_f64 v[85:86], -v[68:69], v[83:84], 1.0
	v_fma_f64 v[83:84], v[83:84], v[85:86], v[83:84]
	v_fma_f64 v[85:86], -v[68:69], v[83:84], 1.0
	v_fma_f64 v[83:84], v[83:84], v[85:86], v[83:84]
	v_div_scale_f64 v[85:86], vcc_lo, 1.0, v[66:67], 1.0
	v_mul_f64 v[87:88], v[85:86], v[83:84]
	v_fma_f64 v[68:69], -v[68:69], v[87:88], v[85:86]
	v_div_fmas_f64 v[68:69], v[68:69], v[83:84], v[87:88]
	v_div_fixup_f64 v[68:69], v[68:69], v[66:67], 1.0
	v_mul_f64 v[66:67], v[81:82], v[68:69]
	v_xor_b32_e32 v69, 0x80000000, v69
.LBB30_112:
	s_andn2_saveexec_b32 s1, s1
	s_cbranch_execz .LBB30_114
; %bb.113:
	v_div_scale_f64 v[81:82], null, v[66:67], v[66:67], v[68:69]
	v_div_scale_f64 v[87:88], vcc_lo, v[68:69], v[66:67], v[68:69]
	v_rcp_f64_e32 v[83:84], v[81:82]
	v_fma_f64 v[85:86], -v[81:82], v[83:84], 1.0
	v_fma_f64 v[83:84], v[83:84], v[85:86], v[83:84]
	v_fma_f64 v[85:86], -v[81:82], v[83:84], 1.0
	v_fma_f64 v[83:84], v[83:84], v[85:86], v[83:84]
	v_mul_f64 v[85:86], v[87:88], v[83:84]
	v_fma_f64 v[81:82], -v[81:82], v[85:86], v[87:88]
	v_div_fmas_f64 v[81:82], v[81:82], v[83:84], v[85:86]
	v_div_fixup_f64 v[81:82], v[81:82], v[66:67], v[68:69]
	v_fma_f64 v[66:67], v[68:69], v[81:82], v[66:67]
	v_div_scale_f64 v[68:69], null, v[66:67], v[66:67], 1.0
	v_rcp_f64_e32 v[83:84], v[68:69]
	v_fma_f64 v[85:86], -v[68:69], v[83:84], 1.0
	v_fma_f64 v[83:84], v[83:84], v[85:86], v[83:84]
	v_fma_f64 v[85:86], -v[68:69], v[83:84], 1.0
	v_fma_f64 v[83:84], v[83:84], v[85:86], v[83:84]
	v_div_scale_f64 v[85:86], vcc_lo, 1.0, v[66:67], 1.0
	v_mul_f64 v[87:88], v[85:86], v[83:84]
	v_fma_f64 v[68:69], -v[68:69], v[87:88], v[85:86]
	v_div_fmas_f64 v[68:69], v[68:69], v[83:84], v[87:88]
	v_div_fixup_f64 v[66:67], v[68:69], v[66:67], 1.0
	v_mul_f64 v[68:69], v[81:82], -v[66:67]
.LBB30_114:
	s_or_b32 exec_lo, exec_lo, s1
.LBB30_115:
	s_or_b32 exec_lo, exec_lo, s0
	s_mov_b32 s0, exec_lo
	v_cmpx_ne_u32_e64 v80, v74
	s_xor_b32 s0, exec_lo, s0
	s_cbranch_execz .LBB30_121
; %bb.116:
	s_mov_b32 s1, exec_lo
	v_cmpx_eq_u32_e32 5, v80
	s_cbranch_execz .LBB30_120
; %bb.117:
	v_cmp_ne_u32_e32 vcc_lo, 5, v74
	s_xor_b32 s2, s16, -1
	s_and_b32 s3, s2, vcc_lo
	s_and_saveexec_b32 s2, s3
	s_cbranch_execz .LBB30_119
; %bb.118:
	v_ashrrev_i32_e32 v75, 31, v74
	v_lshlrev_b64 v[80:81], 2, v[74:75]
	v_add_co_u32 v80, vcc_lo, v72, v80
	v_add_co_ci_u32_e64 v81, null, v73, v81, vcc_lo
	s_clause 0x1
	global_load_dword v0, v[80:81], off
	global_load_dword v75, v[72:73], off offset:20
	s_waitcnt vmcnt(1)
	global_store_dword v[72:73], v0, off offset:20
	s_waitcnt vmcnt(0)
	global_store_dword v[80:81], v75, off
.LBB30_119:
	s_or_b32 exec_lo, exec_lo, s2
	v_mov_b32_e32 v80, v74
	v_mov_b32_e32 v0, v74
.LBB30_120:
	s_or_b32 exec_lo, exec_lo, s1
.LBB30_121:
	s_andn2_saveexec_b32 s0, s0
	s_cbranch_execz .LBB30_123
; %bb.122:
	v_mov_b32_e32 v80, 5
	ds_write2_b64 v1, v[34:35], v[36:37] offset0:12 offset1:13
	ds_write2_b64 v1, v[30:31], v[32:33] offset0:14 offset1:15
	;; [unrolled: 1-line block ×10, first 2 shown]
.LBB30_123:
	s_or_b32 exec_lo, exec_lo, s0
	s_mov_b32 s0, exec_lo
	s_waitcnt lgkmcnt(0)
	s_waitcnt_vscnt null, 0x0
	s_barrier
	buffer_gl0_inv
	v_cmpx_lt_i32_e32 5, v80
	s_cbranch_execz .LBB30_125
; %bb.124:
	v_mul_f64 v[74:75], v[66:67], v[40:41]
	v_mul_f64 v[40:41], v[68:69], v[40:41]
	v_fma_f64 v[74:75], v[68:69], v[38:39], v[74:75]
	v_fma_f64 v[38:39], v[66:67], v[38:39], -v[40:41]
	ds_read2_b64 v[66:69], v1 offset0:12 offset1:13
	s_waitcnt lgkmcnt(0)
	v_mul_f64 v[40:41], v[68:69], v[74:75]
	v_fma_f64 v[40:41], v[66:67], v[38:39], -v[40:41]
	v_mul_f64 v[66:67], v[66:67], v[74:75]
	v_add_f64 v[34:35], v[34:35], -v[40:41]
	v_fma_f64 v[66:67], v[68:69], v[38:39], v[66:67]
	v_add_f64 v[36:37], v[36:37], -v[66:67]
	ds_read2_b64 v[66:69], v1 offset0:14 offset1:15
	s_waitcnt lgkmcnt(0)
	v_mul_f64 v[40:41], v[68:69], v[74:75]
	v_fma_f64 v[40:41], v[66:67], v[38:39], -v[40:41]
	v_mul_f64 v[66:67], v[66:67], v[74:75]
	v_add_f64 v[30:31], v[30:31], -v[40:41]
	v_fma_f64 v[66:67], v[68:69], v[38:39], v[66:67]
	v_add_f64 v[32:33], v[32:33], -v[66:67]
	;; [unrolled: 8-line block ×9, first 2 shown]
	ds_read2_b64 v[66:69], v1 offset0:30 offset1:31
	s_waitcnt lgkmcnt(0)
	v_mul_f64 v[40:41], v[68:69], v[74:75]
	v_fma_f64 v[40:41], v[66:67], v[38:39], -v[40:41]
	v_mul_f64 v[66:67], v[66:67], v[74:75]
	v_add_f64 v[2:3], v[2:3], -v[40:41]
	v_fma_f64 v[66:67], v[68:69], v[38:39], v[66:67]
	v_mov_b32_e32 v40, v74
	v_mov_b32_e32 v41, v75
	v_add_f64 v[4:5], v[4:5], -v[66:67]
.LBB30_125:
	s_or_b32 exec_lo, exec_lo, s0
	v_lshl_add_u32 v66, v80, 4, v1
	s_barrier
	buffer_gl0_inv
	v_mov_b32_e32 v74, 6
	ds_write2_b64 v66, v[34:35], v[36:37] offset1:1
	s_waitcnt lgkmcnt(0)
	s_barrier
	buffer_gl0_inv
	ds_read2_b64 v[66:69], v1 offset0:12 offset1:13
	s_cmp_lt_i32 s18, 8
	s_cbranch_scc1 .LBB30_128
; %bb.126:
	v_add3_u32 v75, v76, 0, 0x70
	v_mov_b32_e32 v74, 6
	s_mov_b32 s1, 7
	s_inst_prefetch 0x1
	.p2align	6
.LBB30_127:                             ; =>This Inner Loop Header: Depth=1
	s_waitcnt lgkmcnt(0)
	v_cmp_gt_f64_e32 vcc_lo, 0, v[68:69]
	v_cmp_gt_f64_e64 s0, 0, v[66:67]
	ds_read2_b64 v[81:84], v75 offset1:1
	v_xor_b32_e32 v86, 0x80000000, v67
	v_xor_b32_e32 v88, 0x80000000, v69
	v_mov_b32_e32 v85, v66
	v_mov_b32_e32 v87, v68
	v_add_nc_u32_e32 v75, 16, v75
	s_waitcnt lgkmcnt(0)
	v_xor_b32_e32 v90, 0x80000000, v84
	v_cndmask_b32_e64 v86, v67, v86, s0
	v_cndmask_b32_e32 v88, v69, v88, vcc_lo
	v_cmp_gt_f64_e32 vcc_lo, 0, v[83:84]
	v_cmp_gt_f64_e64 s0, 0, v[81:82]
	v_mov_b32_e32 v89, v83
	v_add_f64 v[85:86], v[85:86], v[87:88]
	v_xor_b32_e32 v88, 0x80000000, v82
	v_mov_b32_e32 v87, v81
	v_cndmask_b32_e32 v90, v84, v90, vcc_lo
	v_cndmask_b32_e64 v88, v82, v88, s0
	v_add_f64 v[87:88], v[87:88], v[89:90]
	v_cmp_lt_f64_e32 vcc_lo, v[85:86], v[87:88]
	v_cndmask_b32_e32 v67, v67, v82, vcc_lo
	v_cndmask_b32_e32 v66, v66, v81, vcc_lo
	;; [unrolled: 1-line block ×4, first 2 shown]
	v_cndmask_b32_e64 v74, v74, s1, vcc_lo
	s_add_i32 s1, s1, 1
	s_cmp_lg_u32 s18, s1
	s_cbranch_scc1 .LBB30_127
.LBB30_128:
	s_inst_prefetch 0x2
	s_waitcnt lgkmcnt(0)
	v_cmp_eq_f64_e32 vcc_lo, 0, v[66:67]
	v_cmp_eq_f64_e64 s0, 0, v[68:69]
	s_and_b32 s0, vcc_lo, s0
	s_and_saveexec_b32 s1, s0
	s_xor_b32 s0, exec_lo, s1
; %bb.129:
	v_cmp_ne_u32_e32 vcc_lo, 0, v79
	v_cndmask_b32_e32 v79, 7, v79, vcc_lo
; %bb.130:
	s_andn2_saveexec_b32 s0, s0
	s_cbranch_execz .LBB30_136
; %bb.131:
	v_cmp_ngt_f64_e64 s1, |v[66:67]|, |v[68:69]|
	s_and_saveexec_b32 s2, s1
	s_xor_b32 s1, exec_lo, s2
	s_cbranch_execz .LBB30_133
; %bb.132:
	v_div_scale_f64 v[81:82], null, v[68:69], v[68:69], v[66:67]
	v_div_scale_f64 v[87:88], vcc_lo, v[66:67], v[68:69], v[66:67]
	v_rcp_f64_e32 v[83:84], v[81:82]
	v_fma_f64 v[85:86], -v[81:82], v[83:84], 1.0
	v_fma_f64 v[83:84], v[83:84], v[85:86], v[83:84]
	v_fma_f64 v[85:86], -v[81:82], v[83:84], 1.0
	v_fma_f64 v[83:84], v[83:84], v[85:86], v[83:84]
	v_mul_f64 v[85:86], v[87:88], v[83:84]
	v_fma_f64 v[81:82], -v[81:82], v[85:86], v[87:88]
	v_div_fmas_f64 v[81:82], v[81:82], v[83:84], v[85:86]
	v_div_fixup_f64 v[81:82], v[81:82], v[68:69], v[66:67]
	v_fma_f64 v[66:67], v[66:67], v[81:82], v[68:69]
	v_div_scale_f64 v[68:69], null, v[66:67], v[66:67], 1.0
	v_rcp_f64_e32 v[83:84], v[68:69]
	v_fma_f64 v[85:86], -v[68:69], v[83:84], 1.0
	v_fma_f64 v[83:84], v[83:84], v[85:86], v[83:84]
	v_fma_f64 v[85:86], -v[68:69], v[83:84], 1.0
	v_fma_f64 v[83:84], v[83:84], v[85:86], v[83:84]
	v_div_scale_f64 v[85:86], vcc_lo, 1.0, v[66:67], 1.0
	v_mul_f64 v[87:88], v[85:86], v[83:84]
	v_fma_f64 v[68:69], -v[68:69], v[87:88], v[85:86]
	v_div_fmas_f64 v[68:69], v[68:69], v[83:84], v[87:88]
	v_div_fixup_f64 v[68:69], v[68:69], v[66:67], 1.0
	v_mul_f64 v[66:67], v[81:82], v[68:69]
	v_xor_b32_e32 v69, 0x80000000, v69
.LBB30_133:
	s_andn2_saveexec_b32 s1, s1
	s_cbranch_execz .LBB30_135
; %bb.134:
	v_div_scale_f64 v[81:82], null, v[66:67], v[66:67], v[68:69]
	v_div_scale_f64 v[87:88], vcc_lo, v[68:69], v[66:67], v[68:69]
	v_rcp_f64_e32 v[83:84], v[81:82]
	v_fma_f64 v[85:86], -v[81:82], v[83:84], 1.0
	v_fma_f64 v[83:84], v[83:84], v[85:86], v[83:84]
	v_fma_f64 v[85:86], -v[81:82], v[83:84], 1.0
	v_fma_f64 v[83:84], v[83:84], v[85:86], v[83:84]
	v_mul_f64 v[85:86], v[87:88], v[83:84]
	v_fma_f64 v[81:82], -v[81:82], v[85:86], v[87:88]
	v_div_fmas_f64 v[81:82], v[81:82], v[83:84], v[85:86]
	v_div_fixup_f64 v[81:82], v[81:82], v[66:67], v[68:69]
	v_fma_f64 v[66:67], v[68:69], v[81:82], v[66:67]
	v_div_scale_f64 v[68:69], null, v[66:67], v[66:67], 1.0
	v_rcp_f64_e32 v[83:84], v[68:69]
	v_fma_f64 v[85:86], -v[68:69], v[83:84], 1.0
	v_fma_f64 v[83:84], v[83:84], v[85:86], v[83:84]
	v_fma_f64 v[85:86], -v[68:69], v[83:84], 1.0
	v_fma_f64 v[83:84], v[83:84], v[85:86], v[83:84]
	v_div_scale_f64 v[85:86], vcc_lo, 1.0, v[66:67], 1.0
	v_mul_f64 v[87:88], v[85:86], v[83:84]
	v_fma_f64 v[68:69], -v[68:69], v[87:88], v[85:86]
	v_div_fmas_f64 v[68:69], v[68:69], v[83:84], v[87:88]
	v_div_fixup_f64 v[66:67], v[68:69], v[66:67], 1.0
	v_mul_f64 v[68:69], v[81:82], -v[66:67]
.LBB30_135:
	s_or_b32 exec_lo, exec_lo, s1
.LBB30_136:
	s_or_b32 exec_lo, exec_lo, s0
	s_mov_b32 s0, exec_lo
	v_cmpx_ne_u32_e64 v80, v74
	s_xor_b32 s0, exec_lo, s0
	s_cbranch_execz .LBB30_142
; %bb.137:
	s_mov_b32 s1, exec_lo
	v_cmpx_eq_u32_e32 6, v80
	s_cbranch_execz .LBB30_141
; %bb.138:
	v_cmp_ne_u32_e32 vcc_lo, 6, v74
	s_xor_b32 s2, s16, -1
	s_and_b32 s3, s2, vcc_lo
	s_and_saveexec_b32 s2, s3
	s_cbranch_execz .LBB30_140
; %bb.139:
	v_ashrrev_i32_e32 v75, 31, v74
	v_lshlrev_b64 v[80:81], 2, v[74:75]
	v_add_co_u32 v80, vcc_lo, v72, v80
	v_add_co_ci_u32_e64 v81, null, v73, v81, vcc_lo
	s_clause 0x1
	global_load_dword v0, v[80:81], off
	global_load_dword v75, v[72:73], off offset:24
	s_waitcnt vmcnt(1)
	global_store_dword v[72:73], v0, off offset:24
	s_waitcnt vmcnt(0)
	global_store_dword v[80:81], v75, off
.LBB30_140:
	s_or_b32 exec_lo, exec_lo, s2
	v_mov_b32_e32 v80, v74
	v_mov_b32_e32 v0, v74
.LBB30_141:
	s_or_b32 exec_lo, exec_lo, s1
.LBB30_142:
	s_andn2_saveexec_b32 s0, s0
	s_cbranch_execz .LBB30_144
; %bb.143:
	v_mov_b32_e32 v80, 6
	ds_write2_b64 v1, v[30:31], v[32:33] offset0:14 offset1:15
	ds_write2_b64 v1, v[46:47], v[48:49] offset0:16 offset1:17
	;; [unrolled: 1-line block ×9, first 2 shown]
.LBB30_144:
	s_or_b32 exec_lo, exec_lo, s0
	s_mov_b32 s0, exec_lo
	s_waitcnt lgkmcnt(0)
	s_waitcnt_vscnt null, 0x0
	s_barrier
	buffer_gl0_inv
	v_cmpx_lt_i32_e32 6, v80
	s_cbranch_execz .LBB30_146
; %bb.145:
	v_mul_f64 v[74:75], v[66:67], v[36:37]
	v_mul_f64 v[36:37], v[68:69], v[36:37]
	v_fma_f64 v[74:75], v[68:69], v[34:35], v[74:75]
	v_fma_f64 v[34:35], v[66:67], v[34:35], -v[36:37]
	ds_read2_b64 v[66:69], v1 offset0:14 offset1:15
	s_waitcnt lgkmcnt(0)
	v_mul_f64 v[36:37], v[68:69], v[74:75]
	v_fma_f64 v[36:37], v[66:67], v[34:35], -v[36:37]
	v_mul_f64 v[66:67], v[66:67], v[74:75]
	v_add_f64 v[30:31], v[30:31], -v[36:37]
	v_fma_f64 v[66:67], v[68:69], v[34:35], v[66:67]
	v_add_f64 v[32:33], v[32:33], -v[66:67]
	ds_read2_b64 v[66:69], v1 offset0:16 offset1:17
	s_waitcnt lgkmcnt(0)
	v_mul_f64 v[36:37], v[68:69], v[74:75]
	v_fma_f64 v[36:37], v[66:67], v[34:35], -v[36:37]
	v_mul_f64 v[66:67], v[66:67], v[74:75]
	v_add_f64 v[46:47], v[46:47], -v[36:37]
	v_fma_f64 v[66:67], v[68:69], v[34:35], v[66:67]
	v_add_f64 v[48:49], v[48:49], -v[66:67]
	;; [unrolled: 8-line block ×8, first 2 shown]
	ds_read2_b64 v[66:69], v1 offset0:30 offset1:31
	s_waitcnt lgkmcnt(0)
	v_mul_f64 v[36:37], v[68:69], v[74:75]
	v_fma_f64 v[36:37], v[66:67], v[34:35], -v[36:37]
	v_mul_f64 v[66:67], v[66:67], v[74:75]
	v_add_f64 v[2:3], v[2:3], -v[36:37]
	v_fma_f64 v[66:67], v[68:69], v[34:35], v[66:67]
	v_mov_b32_e32 v36, v74
	v_mov_b32_e32 v37, v75
	v_add_f64 v[4:5], v[4:5], -v[66:67]
.LBB30_146:
	s_or_b32 exec_lo, exec_lo, s0
	v_lshl_add_u32 v66, v80, 4, v1
	s_barrier
	buffer_gl0_inv
	v_mov_b32_e32 v74, 7
	ds_write2_b64 v66, v[30:31], v[32:33] offset1:1
	s_waitcnt lgkmcnt(0)
	s_barrier
	buffer_gl0_inv
	ds_read2_b64 v[66:69], v1 offset0:14 offset1:15
	s_cmp_lt_i32 s18, 9
	s_cbranch_scc1 .LBB30_149
; %bb.147:
	v_add3_u32 v75, v76, 0, 0x80
	v_mov_b32_e32 v74, 7
	s_mov_b32 s1, 8
	s_inst_prefetch 0x1
	.p2align	6
.LBB30_148:                             ; =>This Inner Loop Header: Depth=1
	s_waitcnt lgkmcnt(0)
	v_cmp_gt_f64_e32 vcc_lo, 0, v[68:69]
	v_cmp_gt_f64_e64 s0, 0, v[66:67]
	ds_read2_b64 v[81:84], v75 offset1:1
	v_xor_b32_e32 v86, 0x80000000, v67
	v_xor_b32_e32 v88, 0x80000000, v69
	v_mov_b32_e32 v85, v66
	v_mov_b32_e32 v87, v68
	v_add_nc_u32_e32 v75, 16, v75
	s_waitcnt lgkmcnt(0)
	v_xor_b32_e32 v90, 0x80000000, v84
	v_cndmask_b32_e64 v86, v67, v86, s0
	v_cndmask_b32_e32 v88, v69, v88, vcc_lo
	v_cmp_gt_f64_e32 vcc_lo, 0, v[83:84]
	v_cmp_gt_f64_e64 s0, 0, v[81:82]
	v_mov_b32_e32 v89, v83
	v_add_f64 v[85:86], v[85:86], v[87:88]
	v_xor_b32_e32 v88, 0x80000000, v82
	v_mov_b32_e32 v87, v81
	v_cndmask_b32_e32 v90, v84, v90, vcc_lo
	v_cndmask_b32_e64 v88, v82, v88, s0
	v_add_f64 v[87:88], v[87:88], v[89:90]
	v_cmp_lt_f64_e32 vcc_lo, v[85:86], v[87:88]
	v_cndmask_b32_e32 v67, v67, v82, vcc_lo
	v_cndmask_b32_e32 v66, v66, v81, vcc_lo
	;; [unrolled: 1-line block ×4, first 2 shown]
	v_cndmask_b32_e64 v74, v74, s1, vcc_lo
	s_add_i32 s1, s1, 1
	s_cmp_lg_u32 s18, s1
	s_cbranch_scc1 .LBB30_148
.LBB30_149:
	s_inst_prefetch 0x2
	s_waitcnt lgkmcnt(0)
	v_cmp_eq_f64_e32 vcc_lo, 0, v[66:67]
	v_cmp_eq_f64_e64 s0, 0, v[68:69]
	s_and_b32 s0, vcc_lo, s0
	s_and_saveexec_b32 s1, s0
	s_xor_b32 s0, exec_lo, s1
; %bb.150:
	v_cmp_ne_u32_e32 vcc_lo, 0, v79
	v_cndmask_b32_e32 v79, 8, v79, vcc_lo
; %bb.151:
	s_andn2_saveexec_b32 s0, s0
	s_cbranch_execz .LBB30_157
; %bb.152:
	v_cmp_ngt_f64_e64 s1, |v[66:67]|, |v[68:69]|
	s_and_saveexec_b32 s2, s1
	s_xor_b32 s1, exec_lo, s2
	s_cbranch_execz .LBB30_154
; %bb.153:
	v_div_scale_f64 v[81:82], null, v[68:69], v[68:69], v[66:67]
	v_div_scale_f64 v[87:88], vcc_lo, v[66:67], v[68:69], v[66:67]
	v_rcp_f64_e32 v[83:84], v[81:82]
	v_fma_f64 v[85:86], -v[81:82], v[83:84], 1.0
	v_fma_f64 v[83:84], v[83:84], v[85:86], v[83:84]
	v_fma_f64 v[85:86], -v[81:82], v[83:84], 1.0
	v_fma_f64 v[83:84], v[83:84], v[85:86], v[83:84]
	v_mul_f64 v[85:86], v[87:88], v[83:84]
	v_fma_f64 v[81:82], -v[81:82], v[85:86], v[87:88]
	v_div_fmas_f64 v[81:82], v[81:82], v[83:84], v[85:86]
	v_div_fixup_f64 v[81:82], v[81:82], v[68:69], v[66:67]
	v_fma_f64 v[66:67], v[66:67], v[81:82], v[68:69]
	v_div_scale_f64 v[68:69], null, v[66:67], v[66:67], 1.0
	v_rcp_f64_e32 v[83:84], v[68:69]
	v_fma_f64 v[85:86], -v[68:69], v[83:84], 1.0
	v_fma_f64 v[83:84], v[83:84], v[85:86], v[83:84]
	v_fma_f64 v[85:86], -v[68:69], v[83:84], 1.0
	v_fma_f64 v[83:84], v[83:84], v[85:86], v[83:84]
	v_div_scale_f64 v[85:86], vcc_lo, 1.0, v[66:67], 1.0
	v_mul_f64 v[87:88], v[85:86], v[83:84]
	v_fma_f64 v[68:69], -v[68:69], v[87:88], v[85:86]
	v_div_fmas_f64 v[68:69], v[68:69], v[83:84], v[87:88]
	v_div_fixup_f64 v[68:69], v[68:69], v[66:67], 1.0
	v_mul_f64 v[66:67], v[81:82], v[68:69]
	v_xor_b32_e32 v69, 0x80000000, v69
.LBB30_154:
	s_andn2_saveexec_b32 s1, s1
	s_cbranch_execz .LBB30_156
; %bb.155:
	v_div_scale_f64 v[81:82], null, v[66:67], v[66:67], v[68:69]
	v_div_scale_f64 v[87:88], vcc_lo, v[68:69], v[66:67], v[68:69]
	v_rcp_f64_e32 v[83:84], v[81:82]
	v_fma_f64 v[85:86], -v[81:82], v[83:84], 1.0
	v_fma_f64 v[83:84], v[83:84], v[85:86], v[83:84]
	v_fma_f64 v[85:86], -v[81:82], v[83:84], 1.0
	v_fma_f64 v[83:84], v[83:84], v[85:86], v[83:84]
	v_mul_f64 v[85:86], v[87:88], v[83:84]
	v_fma_f64 v[81:82], -v[81:82], v[85:86], v[87:88]
	v_div_fmas_f64 v[81:82], v[81:82], v[83:84], v[85:86]
	v_div_fixup_f64 v[81:82], v[81:82], v[66:67], v[68:69]
	v_fma_f64 v[66:67], v[68:69], v[81:82], v[66:67]
	v_div_scale_f64 v[68:69], null, v[66:67], v[66:67], 1.0
	v_rcp_f64_e32 v[83:84], v[68:69]
	v_fma_f64 v[85:86], -v[68:69], v[83:84], 1.0
	v_fma_f64 v[83:84], v[83:84], v[85:86], v[83:84]
	v_fma_f64 v[85:86], -v[68:69], v[83:84], 1.0
	v_fma_f64 v[83:84], v[83:84], v[85:86], v[83:84]
	v_div_scale_f64 v[85:86], vcc_lo, 1.0, v[66:67], 1.0
	v_mul_f64 v[87:88], v[85:86], v[83:84]
	v_fma_f64 v[68:69], -v[68:69], v[87:88], v[85:86]
	v_div_fmas_f64 v[68:69], v[68:69], v[83:84], v[87:88]
	v_div_fixup_f64 v[66:67], v[68:69], v[66:67], 1.0
	v_mul_f64 v[68:69], v[81:82], -v[66:67]
.LBB30_156:
	s_or_b32 exec_lo, exec_lo, s1
.LBB30_157:
	s_or_b32 exec_lo, exec_lo, s0
	s_mov_b32 s0, exec_lo
	v_cmpx_ne_u32_e64 v80, v74
	s_xor_b32 s0, exec_lo, s0
	s_cbranch_execz .LBB30_163
; %bb.158:
	s_mov_b32 s1, exec_lo
	v_cmpx_eq_u32_e32 7, v80
	s_cbranch_execz .LBB30_162
; %bb.159:
	v_cmp_ne_u32_e32 vcc_lo, 7, v74
	s_xor_b32 s2, s16, -1
	s_and_b32 s3, s2, vcc_lo
	s_and_saveexec_b32 s2, s3
	s_cbranch_execz .LBB30_161
; %bb.160:
	v_ashrrev_i32_e32 v75, 31, v74
	v_lshlrev_b64 v[80:81], 2, v[74:75]
	v_add_co_u32 v80, vcc_lo, v72, v80
	v_add_co_ci_u32_e64 v81, null, v73, v81, vcc_lo
	s_clause 0x1
	global_load_dword v0, v[80:81], off
	global_load_dword v75, v[72:73], off offset:28
	s_waitcnt vmcnt(1)
	global_store_dword v[72:73], v0, off offset:28
	s_waitcnt vmcnt(0)
	global_store_dword v[80:81], v75, off
.LBB30_161:
	s_or_b32 exec_lo, exec_lo, s2
	v_mov_b32_e32 v80, v74
	v_mov_b32_e32 v0, v74
.LBB30_162:
	s_or_b32 exec_lo, exec_lo, s1
.LBB30_163:
	s_andn2_saveexec_b32 s0, s0
	s_cbranch_execz .LBB30_165
; %bb.164:
	v_mov_b32_e32 v80, 7
	ds_write2_b64 v1, v[46:47], v[48:49] offset0:16 offset1:17
	ds_write2_b64 v1, v[26:27], v[28:29] offset0:18 offset1:19
	;; [unrolled: 1-line block ×8, first 2 shown]
.LBB30_165:
	s_or_b32 exec_lo, exec_lo, s0
	s_mov_b32 s0, exec_lo
	s_waitcnt lgkmcnt(0)
	s_waitcnt_vscnt null, 0x0
	s_barrier
	buffer_gl0_inv
	v_cmpx_lt_i32_e32 7, v80
	s_cbranch_execz .LBB30_167
; %bb.166:
	v_mul_f64 v[74:75], v[66:67], v[32:33]
	v_mul_f64 v[32:33], v[68:69], v[32:33]
	v_fma_f64 v[74:75], v[68:69], v[30:31], v[74:75]
	v_fma_f64 v[30:31], v[66:67], v[30:31], -v[32:33]
	ds_read2_b64 v[66:69], v1 offset0:16 offset1:17
	s_waitcnt lgkmcnt(0)
	v_mul_f64 v[32:33], v[68:69], v[74:75]
	v_fma_f64 v[32:33], v[66:67], v[30:31], -v[32:33]
	v_mul_f64 v[66:67], v[66:67], v[74:75]
	v_add_f64 v[46:47], v[46:47], -v[32:33]
	v_fma_f64 v[66:67], v[68:69], v[30:31], v[66:67]
	v_add_f64 v[48:49], v[48:49], -v[66:67]
	ds_read2_b64 v[66:69], v1 offset0:18 offset1:19
	s_waitcnt lgkmcnt(0)
	v_mul_f64 v[32:33], v[68:69], v[74:75]
	v_fma_f64 v[32:33], v[66:67], v[30:31], -v[32:33]
	v_mul_f64 v[66:67], v[66:67], v[74:75]
	v_add_f64 v[26:27], v[26:27], -v[32:33]
	v_fma_f64 v[66:67], v[68:69], v[30:31], v[66:67]
	v_add_f64 v[28:29], v[28:29], -v[66:67]
	;; [unrolled: 8-line block ×7, first 2 shown]
	ds_read2_b64 v[66:69], v1 offset0:30 offset1:31
	s_waitcnt lgkmcnt(0)
	v_mul_f64 v[32:33], v[68:69], v[74:75]
	v_fma_f64 v[32:33], v[66:67], v[30:31], -v[32:33]
	v_mul_f64 v[66:67], v[66:67], v[74:75]
	v_add_f64 v[2:3], v[2:3], -v[32:33]
	v_fma_f64 v[66:67], v[68:69], v[30:31], v[66:67]
	v_mov_b32_e32 v32, v74
	v_mov_b32_e32 v33, v75
	v_add_f64 v[4:5], v[4:5], -v[66:67]
.LBB30_167:
	s_or_b32 exec_lo, exec_lo, s0
	v_lshl_add_u32 v66, v80, 4, v1
	s_barrier
	buffer_gl0_inv
	v_mov_b32_e32 v74, 8
	ds_write2_b64 v66, v[46:47], v[48:49] offset1:1
	s_waitcnt lgkmcnt(0)
	s_barrier
	buffer_gl0_inv
	ds_read2_b64 v[66:69], v1 offset0:16 offset1:17
	s_cmp_lt_i32 s18, 10
	s_cbranch_scc1 .LBB30_170
; %bb.168:
	v_add3_u32 v75, v76, 0, 0x90
	v_mov_b32_e32 v74, 8
	s_mov_b32 s1, 9
	s_inst_prefetch 0x1
	.p2align	6
.LBB30_169:                             ; =>This Inner Loop Header: Depth=1
	s_waitcnt lgkmcnt(0)
	v_cmp_gt_f64_e32 vcc_lo, 0, v[68:69]
	v_cmp_gt_f64_e64 s0, 0, v[66:67]
	ds_read2_b64 v[81:84], v75 offset1:1
	v_xor_b32_e32 v86, 0x80000000, v67
	v_xor_b32_e32 v88, 0x80000000, v69
	v_mov_b32_e32 v85, v66
	v_mov_b32_e32 v87, v68
	v_add_nc_u32_e32 v75, 16, v75
	s_waitcnt lgkmcnt(0)
	v_xor_b32_e32 v90, 0x80000000, v84
	v_cndmask_b32_e64 v86, v67, v86, s0
	v_cndmask_b32_e32 v88, v69, v88, vcc_lo
	v_cmp_gt_f64_e32 vcc_lo, 0, v[83:84]
	v_cmp_gt_f64_e64 s0, 0, v[81:82]
	v_mov_b32_e32 v89, v83
	v_add_f64 v[85:86], v[85:86], v[87:88]
	v_xor_b32_e32 v88, 0x80000000, v82
	v_mov_b32_e32 v87, v81
	v_cndmask_b32_e32 v90, v84, v90, vcc_lo
	v_cndmask_b32_e64 v88, v82, v88, s0
	v_add_f64 v[87:88], v[87:88], v[89:90]
	v_cmp_lt_f64_e32 vcc_lo, v[85:86], v[87:88]
	v_cndmask_b32_e32 v67, v67, v82, vcc_lo
	v_cndmask_b32_e32 v66, v66, v81, vcc_lo
	v_cndmask_b32_e32 v69, v69, v84, vcc_lo
	v_cndmask_b32_e32 v68, v68, v83, vcc_lo
	v_cndmask_b32_e64 v74, v74, s1, vcc_lo
	s_add_i32 s1, s1, 1
	s_cmp_lg_u32 s18, s1
	s_cbranch_scc1 .LBB30_169
.LBB30_170:
	s_inst_prefetch 0x2
	s_waitcnt lgkmcnt(0)
	v_cmp_eq_f64_e32 vcc_lo, 0, v[66:67]
	v_cmp_eq_f64_e64 s0, 0, v[68:69]
	s_and_b32 s0, vcc_lo, s0
	s_and_saveexec_b32 s1, s0
	s_xor_b32 s0, exec_lo, s1
; %bb.171:
	v_cmp_ne_u32_e32 vcc_lo, 0, v79
	v_cndmask_b32_e32 v79, 9, v79, vcc_lo
; %bb.172:
	s_andn2_saveexec_b32 s0, s0
	s_cbranch_execz .LBB30_178
; %bb.173:
	v_cmp_ngt_f64_e64 s1, |v[66:67]|, |v[68:69]|
	s_and_saveexec_b32 s2, s1
	s_xor_b32 s1, exec_lo, s2
	s_cbranch_execz .LBB30_175
; %bb.174:
	v_div_scale_f64 v[81:82], null, v[68:69], v[68:69], v[66:67]
	v_div_scale_f64 v[87:88], vcc_lo, v[66:67], v[68:69], v[66:67]
	v_rcp_f64_e32 v[83:84], v[81:82]
	v_fma_f64 v[85:86], -v[81:82], v[83:84], 1.0
	v_fma_f64 v[83:84], v[83:84], v[85:86], v[83:84]
	v_fma_f64 v[85:86], -v[81:82], v[83:84], 1.0
	v_fma_f64 v[83:84], v[83:84], v[85:86], v[83:84]
	v_mul_f64 v[85:86], v[87:88], v[83:84]
	v_fma_f64 v[81:82], -v[81:82], v[85:86], v[87:88]
	v_div_fmas_f64 v[81:82], v[81:82], v[83:84], v[85:86]
	v_div_fixup_f64 v[81:82], v[81:82], v[68:69], v[66:67]
	v_fma_f64 v[66:67], v[66:67], v[81:82], v[68:69]
	v_div_scale_f64 v[68:69], null, v[66:67], v[66:67], 1.0
	v_rcp_f64_e32 v[83:84], v[68:69]
	v_fma_f64 v[85:86], -v[68:69], v[83:84], 1.0
	v_fma_f64 v[83:84], v[83:84], v[85:86], v[83:84]
	v_fma_f64 v[85:86], -v[68:69], v[83:84], 1.0
	v_fma_f64 v[83:84], v[83:84], v[85:86], v[83:84]
	v_div_scale_f64 v[85:86], vcc_lo, 1.0, v[66:67], 1.0
	v_mul_f64 v[87:88], v[85:86], v[83:84]
	v_fma_f64 v[68:69], -v[68:69], v[87:88], v[85:86]
	v_div_fmas_f64 v[68:69], v[68:69], v[83:84], v[87:88]
	v_div_fixup_f64 v[68:69], v[68:69], v[66:67], 1.0
	v_mul_f64 v[66:67], v[81:82], v[68:69]
	v_xor_b32_e32 v69, 0x80000000, v69
.LBB30_175:
	s_andn2_saveexec_b32 s1, s1
	s_cbranch_execz .LBB30_177
; %bb.176:
	v_div_scale_f64 v[81:82], null, v[66:67], v[66:67], v[68:69]
	v_div_scale_f64 v[87:88], vcc_lo, v[68:69], v[66:67], v[68:69]
	v_rcp_f64_e32 v[83:84], v[81:82]
	v_fma_f64 v[85:86], -v[81:82], v[83:84], 1.0
	v_fma_f64 v[83:84], v[83:84], v[85:86], v[83:84]
	v_fma_f64 v[85:86], -v[81:82], v[83:84], 1.0
	v_fma_f64 v[83:84], v[83:84], v[85:86], v[83:84]
	v_mul_f64 v[85:86], v[87:88], v[83:84]
	v_fma_f64 v[81:82], -v[81:82], v[85:86], v[87:88]
	v_div_fmas_f64 v[81:82], v[81:82], v[83:84], v[85:86]
	v_div_fixup_f64 v[81:82], v[81:82], v[66:67], v[68:69]
	v_fma_f64 v[66:67], v[68:69], v[81:82], v[66:67]
	v_div_scale_f64 v[68:69], null, v[66:67], v[66:67], 1.0
	v_rcp_f64_e32 v[83:84], v[68:69]
	v_fma_f64 v[85:86], -v[68:69], v[83:84], 1.0
	v_fma_f64 v[83:84], v[83:84], v[85:86], v[83:84]
	v_fma_f64 v[85:86], -v[68:69], v[83:84], 1.0
	v_fma_f64 v[83:84], v[83:84], v[85:86], v[83:84]
	v_div_scale_f64 v[85:86], vcc_lo, 1.0, v[66:67], 1.0
	v_mul_f64 v[87:88], v[85:86], v[83:84]
	v_fma_f64 v[68:69], -v[68:69], v[87:88], v[85:86]
	v_div_fmas_f64 v[68:69], v[68:69], v[83:84], v[87:88]
	v_div_fixup_f64 v[66:67], v[68:69], v[66:67], 1.0
	v_mul_f64 v[68:69], v[81:82], -v[66:67]
.LBB30_177:
	s_or_b32 exec_lo, exec_lo, s1
.LBB30_178:
	s_or_b32 exec_lo, exec_lo, s0
	s_mov_b32 s0, exec_lo
	v_cmpx_ne_u32_e64 v80, v74
	s_xor_b32 s0, exec_lo, s0
	s_cbranch_execz .LBB30_184
; %bb.179:
	s_mov_b32 s1, exec_lo
	v_cmpx_eq_u32_e32 8, v80
	s_cbranch_execz .LBB30_183
; %bb.180:
	v_cmp_ne_u32_e32 vcc_lo, 8, v74
	s_xor_b32 s2, s16, -1
	s_and_b32 s3, s2, vcc_lo
	s_and_saveexec_b32 s2, s3
	s_cbranch_execz .LBB30_182
; %bb.181:
	v_ashrrev_i32_e32 v75, 31, v74
	v_lshlrev_b64 v[80:81], 2, v[74:75]
	v_add_co_u32 v80, vcc_lo, v72, v80
	v_add_co_ci_u32_e64 v81, null, v73, v81, vcc_lo
	s_clause 0x1
	global_load_dword v0, v[80:81], off
	global_load_dword v75, v[72:73], off offset:32
	s_waitcnt vmcnt(1)
	global_store_dword v[72:73], v0, off offset:32
	s_waitcnt vmcnt(0)
	global_store_dword v[80:81], v75, off
.LBB30_182:
	s_or_b32 exec_lo, exec_lo, s2
	v_mov_b32_e32 v80, v74
	v_mov_b32_e32 v0, v74
.LBB30_183:
	s_or_b32 exec_lo, exec_lo, s1
.LBB30_184:
	s_andn2_saveexec_b32 s0, s0
	s_cbranch_execz .LBB30_186
; %bb.185:
	v_mov_b32_e32 v80, 8
	ds_write2_b64 v1, v[26:27], v[28:29] offset0:18 offset1:19
	ds_write2_b64 v1, v[22:23], v[24:25] offset0:20 offset1:21
	;; [unrolled: 1-line block ×7, first 2 shown]
.LBB30_186:
	s_or_b32 exec_lo, exec_lo, s0
	s_mov_b32 s0, exec_lo
	s_waitcnt lgkmcnt(0)
	s_waitcnt_vscnt null, 0x0
	s_barrier
	buffer_gl0_inv
	v_cmpx_lt_i32_e32 8, v80
	s_cbranch_execz .LBB30_188
; %bb.187:
	v_mul_f64 v[74:75], v[66:67], v[48:49]
	v_mul_f64 v[48:49], v[68:69], v[48:49]
	v_fma_f64 v[74:75], v[68:69], v[46:47], v[74:75]
	v_fma_f64 v[46:47], v[66:67], v[46:47], -v[48:49]
	ds_read2_b64 v[66:69], v1 offset0:18 offset1:19
	s_waitcnt lgkmcnt(0)
	v_mul_f64 v[48:49], v[68:69], v[74:75]
	v_fma_f64 v[48:49], v[66:67], v[46:47], -v[48:49]
	v_mul_f64 v[66:67], v[66:67], v[74:75]
	v_add_f64 v[26:27], v[26:27], -v[48:49]
	v_fma_f64 v[66:67], v[68:69], v[46:47], v[66:67]
	v_add_f64 v[28:29], v[28:29], -v[66:67]
	ds_read2_b64 v[66:69], v1 offset0:20 offset1:21
	s_waitcnt lgkmcnt(0)
	v_mul_f64 v[48:49], v[68:69], v[74:75]
	v_fma_f64 v[48:49], v[66:67], v[46:47], -v[48:49]
	v_mul_f64 v[66:67], v[66:67], v[74:75]
	v_add_f64 v[22:23], v[22:23], -v[48:49]
	v_fma_f64 v[66:67], v[68:69], v[46:47], v[66:67]
	v_add_f64 v[24:25], v[24:25], -v[66:67]
	;; [unrolled: 8-line block ×6, first 2 shown]
	ds_read2_b64 v[66:69], v1 offset0:30 offset1:31
	s_waitcnt lgkmcnt(0)
	v_mul_f64 v[48:49], v[68:69], v[74:75]
	v_fma_f64 v[48:49], v[66:67], v[46:47], -v[48:49]
	v_mul_f64 v[66:67], v[66:67], v[74:75]
	v_add_f64 v[2:3], v[2:3], -v[48:49]
	v_fma_f64 v[66:67], v[68:69], v[46:47], v[66:67]
	v_mov_b32_e32 v48, v74
	v_mov_b32_e32 v49, v75
	v_add_f64 v[4:5], v[4:5], -v[66:67]
.LBB30_188:
	s_or_b32 exec_lo, exec_lo, s0
	v_lshl_add_u32 v66, v80, 4, v1
	s_barrier
	buffer_gl0_inv
	v_mov_b32_e32 v74, 9
	ds_write2_b64 v66, v[26:27], v[28:29] offset1:1
	s_waitcnt lgkmcnt(0)
	s_barrier
	buffer_gl0_inv
	ds_read2_b64 v[66:69], v1 offset0:18 offset1:19
	s_cmp_lt_i32 s18, 11
	s_cbranch_scc1 .LBB30_191
; %bb.189:
	v_add3_u32 v75, v76, 0, 0xa0
	v_mov_b32_e32 v74, 9
	s_mov_b32 s1, 10
	s_inst_prefetch 0x1
	.p2align	6
.LBB30_190:                             ; =>This Inner Loop Header: Depth=1
	s_waitcnt lgkmcnt(0)
	v_cmp_gt_f64_e32 vcc_lo, 0, v[68:69]
	v_cmp_gt_f64_e64 s0, 0, v[66:67]
	ds_read2_b64 v[81:84], v75 offset1:1
	v_xor_b32_e32 v86, 0x80000000, v67
	v_xor_b32_e32 v88, 0x80000000, v69
	v_mov_b32_e32 v85, v66
	v_mov_b32_e32 v87, v68
	v_add_nc_u32_e32 v75, 16, v75
	s_waitcnt lgkmcnt(0)
	v_xor_b32_e32 v90, 0x80000000, v84
	v_cndmask_b32_e64 v86, v67, v86, s0
	v_cndmask_b32_e32 v88, v69, v88, vcc_lo
	v_cmp_gt_f64_e32 vcc_lo, 0, v[83:84]
	v_cmp_gt_f64_e64 s0, 0, v[81:82]
	v_mov_b32_e32 v89, v83
	v_add_f64 v[85:86], v[85:86], v[87:88]
	v_xor_b32_e32 v88, 0x80000000, v82
	v_mov_b32_e32 v87, v81
	v_cndmask_b32_e32 v90, v84, v90, vcc_lo
	v_cndmask_b32_e64 v88, v82, v88, s0
	v_add_f64 v[87:88], v[87:88], v[89:90]
	v_cmp_lt_f64_e32 vcc_lo, v[85:86], v[87:88]
	v_cndmask_b32_e32 v67, v67, v82, vcc_lo
	v_cndmask_b32_e32 v66, v66, v81, vcc_lo
	;; [unrolled: 1-line block ×4, first 2 shown]
	v_cndmask_b32_e64 v74, v74, s1, vcc_lo
	s_add_i32 s1, s1, 1
	s_cmp_lg_u32 s18, s1
	s_cbranch_scc1 .LBB30_190
.LBB30_191:
	s_inst_prefetch 0x2
	s_waitcnt lgkmcnt(0)
	v_cmp_eq_f64_e32 vcc_lo, 0, v[66:67]
	v_cmp_eq_f64_e64 s0, 0, v[68:69]
	s_and_b32 s0, vcc_lo, s0
	s_and_saveexec_b32 s1, s0
	s_xor_b32 s0, exec_lo, s1
; %bb.192:
	v_cmp_ne_u32_e32 vcc_lo, 0, v79
	v_cndmask_b32_e32 v79, 10, v79, vcc_lo
; %bb.193:
	s_andn2_saveexec_b32 s0, s0
	s_cbranch_execz .LBB30_199
; %bb.194:
	v_cmp_ngt_f64_e64 s1, |v[66:67]|, |v[68:69]|
	s_and_saveexec_b32 s2, s1
	s_xor_b32 s1, exec_lo, s2
	s_cbranch_execz .LBB30_196
; %bb.195:
	v_div_scale_f64 v[81:82], null, v[68:69], v[68:69], v[66:67]
	v_div_scale_f64 v[87:88], vcc_lo, v[66:67], v[68:69], v[66:67]
	v_rcp_f64_e32 v[83:84], v[81:82]
	v_fma_f64 v[85:86], -v[81:82], v[83:84], 1.0
	v_fma_f64 v[83:84], v[83:84], v[85:86], v[83:84]
	v_fma_f64 v[85:86], -v[81:82], v[83:84], 1.0
	v_fma_f64 v[83:84], v[83:84], v[85:86], v[83:84]
	v_mul_f64 v[85:86], v[87:88], v[83:84]
	v_fma_f64 v[81:82], -v[81:82], v[85:86], v[87:88]
	v_div_fmas_f64 v[81:82], v[81:82], v[83:84], v[85:86]
	v_div_fixup_f64 v[81:82], v[81:82], v[68:69], v[66:67]
	v_fma_f64 v[66:67], v[66:67], v[81:82], v[68:69]
	v_div_scale_f64 v[68:69], null, v[66:67], v[66:67], 1.0
	v_rcp_f64_e32 v[83:84], v[68:69]
	v_fma_f64 v[85:86], -v[68:69], v[83:84], 1.0
	v_fma_f64 v[83:84], v[83:84], v[85:86], v[83:84]
	v_fma_f64 v[85:86], -v[68:69], v[83:84], 1.0
	v_fma_f64 v[83:84], v[83:84], v[85:86], v[83:84]
	v_div_scale_f64 v[85:86], vcc_lo, 1.0, v[66:67], 1.0
	v_mul_f64 v[87:88], v[85:86], v[83:84]
	v_fma_f64 v[68:69], -v[68:69], v[87:88], v[85:86]
	v_div_fmas_f64 v[68:69], v[68:69], v[83:84], v[87:88]
	v_div_fixup_f64 v[68:69], v[68:69], v[66:67], 1.0
	v_mul_f64 v[66:67], v[81:82], v[68:69]
	v_xor_b32_e32 v69, 0x80000000, v69
.LBB30_196:
	s_andn2_saveexec_b32 s1, s1
	s_cbranch_execz .LBB30_198
; %bb.197:
	v_div_scale_f64 v[81:82], null, v[66:67], v[66:67], v[68:69]
	v_div_scale_f64 v[87:88], vcc_lo, v[68:69], v[66:67], v[68:69]
	v_rcp_f64_e32 v[83:84], v[81:82]
	v_fma_f64 v[85:86], -v[81:82], v[83:84], 1.0
	v_fma_f64 v[83:84], v[83:84], v[85:86], v[83:84]
	v_fma_f64 v[85:86], -v[81:82], v[83:84], 1.0
	v_fma_f64 v[83:84], v[83:84], v[85:86], v[83:84]
	v_mul_f64 v[85:86], v[87:88], v[83:84]
	v_fma_f64 v[81:82], -v[81:82], v[85:86], v[87:88]
	v_div_fmas_f64 v[81:82], v[81:82], v[83:84], v[85:86]
	v_div_fixup_f64 v[81:82], v[81:82], v[66:67], v[68:69]
	v_fma_f64 v[66:67], v[68:69], v[81:82], v[66:67]
	v_div_scale_f64 v[68:69], null, v[66:67], v[66:67], 1.0
	v_rcp_f64_e32 v[83:84], v[68:69]
	v_fma_f64 v[85:86], -v[68:69], v[83:84], 1.0
	v_fma_f64 v[83:84], v[83:84], v[85:86], v[83:84]
	v_fma_f64 v[85:86], -v[68:69], v[83:84], 1.0
	v_fma_f64 v[83:84], v[83:84], v[85:86], v[83:84]
	v_div_scale_f64 v[85:86], vcc_lo, 1.0, v[66:67], 1.0
	v_mul_f64 v[87:88], v[85:86], v[83:84]
	v_fma_f64 v[68:69], -v[68:69], v[87:88], v[85:86]
	v_div_fmas_f64 v[68:69], v[68:69], v[83:84], v[87:88]
	v_div_fixup_f64 v[66:67], v[68:69], v[66:67], 1.0
	v_mul_f64 v[68:69], v[81:82], -v[66:67]
.LBB30_198:
	s_or_b32 exec_lo, exec_lo, s1
.LBB30_199:
	s_or_b32 exec_lo, exec_lo, s0
	s_mov_b32 s0, exec_lo
	v_cmpx_ne_u32_e64 v80, v74
	s_xor_b32 s0, exec_lo, s0
	s_cbranch_execz .LBB30_205
; %bb.200:
	s_mov_b32 s1, exec_lo
	v_cmpx_eq_u32_e32 9, v80
	s_cbranch_execz .LBB30_204
; %bb.201:
	v_cmp_ne_u32_e32 vcc_lo, 9, v74
	s_xor_b32 s2, s16, -1
	s_and_b32 s3, s2, vcc_lo
	s_and_saveexec_b32 s2, s3
	s_cbranch_execz .LBB30_203
; %bb.202:
	v_ashrrev_i32_e32 v75, 31, v74
	v_lshlrev_b64 v[80:81], 2, v[74:75]
	v_add_co_u32 v80, vcc_lo, v72, v80
	v_add_co_ci_u32_e64 v81, null, v73, v81, vcc_lo
	s_clause 0x1
	global_load_dword v0, v[80:81], off
	global_load_dword v75, v[72:73], off offset:36
	s_waitcnt vmcnt(1)
	global_store_dword v[72:73], v0, off offset:36
	s_waitcnt vmcnt(0)
	global_store_dword v[80:81], v75, off
.LBB30_203:
	s_or_b32 exec_lo, exec_lo, s2
	v_mov_b32_e32 v80, v74
	v_mov_b32_e32 v0, v74
.LBB30_204:
	s_or_b32 exec_lo, exec_lo, s1
.LBB30_205:
	s_andn2_saveexec_b32 s0, s0
	s_cbranch_execz .LBB30_207
; %bb.206:
	v_mov_b32_e32 v80, 9
	ds_write2_b64 v1, v[22:23], v[24:25] offset0:20 offset1:21
	ds_write2_b64 v1, v[18:19], v[20:21] offset0:22 offset1:23
	;; [unrolled: 1-line block ×6, first 2 shown]
.LBB30_207:
	s_or_b32 exec_lo, exec_lo, s0
	s_mov_b32 s0, exec_lo
	s_waitcnt lgkmcnt(0)
	s_waitcnt_vscnt null, 0x0
	s_barrier
	buffer_gl0_inv
	v_cmpx_lt_i32_e32 9, v80
	s_cbranch_execz .LBB30_209
; %bb.208:
	v_mul_f64 v[74:75], v[66:67], v[28:29]
	v_mul_f64 v[28:29], v[68:69], v[28:29]
	v_fma_f64 v[74:75], v[68:69], v[26:27], v[74:75]
	v_fma_f64 v[26:27], v[66:67], v[26:27], -v[28:29]
	ds_read2_b64 v[66:69], v1 offset0:20 offset1:21
	s_waitcnt lgkmcnt(0)
	v_mul_f64 v[28:29], v[68:69], v[74:75]
	v_fma_f64 v[28:29], v[66:67], v[26:27], -v[28:29]
	v_mul_f64 v[66:67], v[66:67], v[74:75]
	v_add_f64 v[22:23], v[22:23], -v[28:29]
	v_fma_f64 v[66:67], v[68:69], v[26:27], v[66:67]
	v_add_f64 v[24:25], v[24:25], -v[66:67]
	ds_read2_b64 v[66:69], v1 offset0:22 offset1:23
	s_waitcnt lgkmcnt(0)
	v_mul_f64 v[28:29], v[68:69], v[74:75]
	v_fma_f64 v[28:29], v[66:67], v[26:27], -v[28:29]
	v_mul_f64 v[66:67], v[66:67], v[74:75]
	v_add_f64 v[18:19], v[18:19], -v[28:29]
	v_fma_f64 v[66:67], v[68:69], v[26:27], v[66:67]
	v_add_f64 v[20:21], v[20:21], -v[66:67]
	;; [unrolled: 8-line block ×5, first 2 shown]
	ds_read2_b64 v[66:69], v1 offset0:30 offset1:31
	s_waitcnt lgkmcnt(0)
	v_mul_f64 v[28:29], v[68:69], v[74:75]
	v_fma_f64 v[28:29], v[66:67], v[26:27], -v[28:29]
	v_mul_f64 v[66:67], v[66:67], v[74:75]
	v_add_f64 v[2:3], v[2:3], -v[28:29]
	v_fma_f64 v[66:67], v[68:69], v[26:27], v[66:67]
	v_mov_b32_e32 v28, v74
	v_mov_b32_e32 v29, v75
	v_add_f64 v[4:5], v[4:5], -v[66:67]
.LBB30_209:
	s_or_b32 exec_lo, exec_lo, s0
	v_lshl_add_u32 v66, v80, 4, v1
	s_barrier
	buffer_gl0_inv
	v_mov_b32_e32 v74, 10
	ds_write2_b64 v66, v[22:23], v[24:25] offset1:1
	s_waitcnt lgkmcnt(0)
	s_barrier
	buffer_gl0_inv
	ds_read2_b64 v[66:69], v1 offset0:20 offset1:21
	s_cmp_lt_i32 s18, 12
	s_cbranch_scc1 .LBB30_212
; %bb.210:
	v_add3_u32 v75, v76, 0, 0xb0
	v_mov_b32_e32 v74, 10
	s_mov_b32 s1, 11
	s_inst_prefetch 0x1
	.p2align	6
.LBB30_211:                             ; =>This Inner Loop Header: Depth=1
	s_waitcnt lgkmcnt(0)
	v_cmp_gt_f64_e32 vcc_lo, 0, v[68:69]
	v_cmp_gt_f64_e64 s0, 0, v[66:67]
	ds_read2_b64 v[81:84], v75 offset1:1
	v_xor_b32_e32 v86, 0x80000000, v67
	v_xor_b32_e32 v88, 0x80000000, v69
	v_mov_b32_e32 v85, v66
	v_mov_b32_e32 v87, v68
	v_add_nc_u32_e32 v75, 16, v75
	s_waitcnt lgkmcnt(0)
	v_xor_b32_e32 v90, 0x80000000, v84
	v_cndmask_b32_e64 v86, v67, v86, s0
	v_cndmask_b32_e32 v88, v69, v88, vcc_lo
	v_cmp_gt_f64_e32 vcc_lo, 0, v[83:84]
	v_cmp_gt_f64_e64 s0, 0, v[81:82]
	v_mov_b32_e32 v89, v83
	v_add_f64 v[85:86], v[85:86], v[87:88]
	v_xor_b32_e32 v88, 0x80000000, v82
	v_mov_b32_e32 v87, v81
	v_cndmask_b32_e32 v90, v84, v90, vcc_lo
	v_cndmask_b32_e64 v88, v82, v88, s0
	v_add_f64 v[87:88], v[87:88], v[89:90]
	v_cmp_lt_f64_e32 vcc_lo, v[85:86], v[87:88]
	v_cndmask_b32_e32 v67, v67, v82, vcc_lo
	v_cndmask_b32_e32 v66, v66, v81, vcc_lo
	;; [unrolled: 1-line block ×4, first 2 shown]
	v_cndmask_b32_e64 v74, v74, s1, vcc_lo
	s_add_i32 s1, s1, 1
	s_cmp_lg_u32 s18, s1
	s_cbranch_scc1 .LBB30_211
.LBB30_212:
	s_inst_prefetch 0x2
	s_waitcnt lgkmcnt(0)
	v_cmp_eq_f64_e32 vcc_lo, 0, v[66:67]
	v_cmp_eq_f64_e64 s0, 0, v[68:69]
	s_and_b32 s0, vcc_lo, s0
	s_and_saveexec_b32 s1, s0
	s_xor_b32 s0, exec_lo, s1
; %bb.213:
	v_cmp_ne_u32_e32 vcc_lo, 0, v79
	v_cndmask_b32_e32 v79, 11, v79, vcc_lo
; %bb.214:
	s_andn2_saveexec_b32 s0, s0
	s_cbranch_execz .LBB30_220
; %bb.215:
	v_cmp_ngt_f64_e64 s1, |v[66:67]|, |v[68:69]|
	s_and_saveexec_b32 s2, s1
	s_xor_b32 s1, exec_lo, s2
	s_cbranch_execz .LBB30_217
; %bb.216:
	v_div_scale_f64 v[81:82], null, v[68:69], v[68:69], v[66:67]
	v_div_scale_f64 v[87:88], vcc_lo, v[66:67], v[68:69], v[66:67]
	v_rcp_f64_e32 v[83:84], v[81:82]
	v_fma_f64 v[85:86], -v[81:82], v[83:84], 1.0
	v_fma_f64 v[83:84], v[83:84], v[85:86], v[83:84]
	v_fma_f64 v[85:86], -v[81:82], v[83:84], 1.0
	v_fma_f64 v[83:84], v[83:84], v[85:86], v[83:84]
	v_mul_f64 v[85:86], v[87:88], v[83:84]
	v_fma_f64 v[81:82], -v[81:82], v[85:86], v[87:88]
	v_div_fmas_f64 v[81:82], v[81:82], v[83:84], v[85:86]
	v_div_fixup_f64 v[81:82], v[81:82], v[68:69], v[66:67]
	v_fma_f64 v[66:67], v[66:67], v[81:82], v[68:69]
	v_div_scale_f64 v[68:69], null, v[66:67], v[66:67], 1.0
	v_rcp_f64_e32 v[83:84], v[68:69]
	v_fma_f64 v[85:86], -v[68:69], v[83:84], 1.0
	v_fma_f64 v[83:84], v[83:84], v[85:86], v[83:84]
	v_fma_f64 v[85:86], -v[68:69], v[83:84], 1.0
	v_fma_f64 v[83:84], v[83:84], v[85:86], v[83:84]
	v_div_scale_f64 v[85:86], vcc_lo, 1.0, v[66:67], 1.0
	v_mul_f64 v[87:88], v[85:86], v[83:84]
	v_fma_f64 v[68:69], -v[68:69], v[87:88], v[85:86]
	v_div_fmas_f64 v[68:69], v[68:69], v[83:84], v[87:88]
	v_div_fixup_f64 v[68:69], v[68:69], v[66:67], 1.0
	v_mul_f64 v[66:67], v[81:82], v[68:69]
	v_xor_b32_e32 v69, 0x80000000, v69
.LBB30_217:
	s_andn2_saveexec_b32 s1, s1
	s_cbranch_execz .LBB30_219
; %bb.218:
	v_div_scale_f64 v[81:82], null, v[66:67], v[66:67], v[68:69]
	v_div_scale_f64 v[87:88], vcc_lo, v[68:69], v[66:67], v[68:69]
	v_rcp_f64_e32 v[83:84], v[81:82]
	v_fma_f64 v[85:86], -v[81:82], v[83:84], 1.0
	v_fma_f64 v[83:84], v[83:84], v[85:86], v[83:84]
	v_fma_f64 v[85:86], -v[81:82], v[83:84], 1.0
	v_fma_f64 v[83:84], v[83:84], v[85:86], v[83:84]
	v_mul_f64 v[85:86], v[87:88], v[83:84]
	v_fma_f64 v[81:82], -v[81:82], v[85:86], v[87:88]
	v_div_fmas_f64 v[81:82], v[81:82], v[83:84], v[85:86]
	v_div_fixup_f64 v[81:82], v[81:82], v[66:67], v[68:69]
	v_fma_f64 v[66:67], v[68:69], v[81:82], v[66:67]
	v_div_scale_f64 v[68:69], null, v[66:67], v[66:67], 1.0
	v_rcp_f64_e32 v[83:84], v[68:69]
	v_fma_f64 v[85:86], -v[68:69], v[83:84], 1.0
	v_fma_f64 v[83:84], v[83:84], v[85:86], v[83:84]
	v_fma_f64 v[85:86], -v[68:69], v[83:84], 1.0
	v_fma_f64 v[83:84], v[83:84], v[85:86], v[83:84]
	v_div_scale_f64 v[85:86], vcc_lo, 1.0, v[66:67], 1.0
	v_mul_f64 v[87:88], v[85:86], v[83:84]
	v_fma_f64 v[68:69], -v[68:69], v[87:88], v[85:86]
	v_div_fmas_f64 v[68:69], v[68:69], v[83:84], v[87:88]
	v_div_fixup_f64 v[66:67], v[68:69], v[66:67], 1.0
	v_mul_f64 v[68:69], v[81:82], -v[66:67]
.LBB30_219:
	s_or_b32 exec_lo, exec_lo, s1
.LBB30_220:
	s_or_b32 exec_lo, exec_lo, s0
	s_mov_b32 s0, exec_lo
	v_cmpx_ne_u32_e64 v80, v74
	s_xor_b32 s0, exec_lo, s0
	s_cbranch_execz .LBB30_226
; %bb.221:
	s_mov_b32 s1, exec_lo
	v_cmpx_eq_u32_e32 10, v80
	s_cbranch_execz .LBB30_225
; %bb.222:
	v_cmp_ne_u32_e32 vcc_lo, 10, v74
	s_xor_b32 s2, s16, -1
	s_and_b32 s3, s2, vcc_lo
	s_and_saveexec_b32 s2, s3
	s_cbranch_execz .LBB30_224
; %bb.223:
	v_ashrrev_i32_e32 v75, 31, v74
	v_lshlrev_b64 v[80:81], 2, v[74:75]
	v_add_co_u32 v80, vcc_lo, v72, v80
	v_add_co_ci_u32_e64 v81, null, v73, v81, vcc_lo
	s_clause 0x1
	global_load_dword v0, v[80:81], off
	global_load_dword v75, v[72:73], off offset:40
	s_waitcnt vmcnt(1)
	global_store_dword v[72:73], v0, off offset:40
	s_waitcnt vmcnt(0)
	global_store_dword v[80:81], v75, off
.LBB30_224:
	s_or_b32 exec_lo, exec_lo, s2
	v_mov_b32_e32 v80, v74
	v_mov_b32_e32 v0, v74
.LBB30_225:
	s_or_b32 exec_lo, exec_lo, s1
.LBB30_226:
	s_andn2_saveexec_b32 s0, s0
	s_cbranch_execz .LBB30_228
; %bb.227:
	v_mov_b32_e32 v80, 10
	ds_write2_b64 v1, v[18:19], v[20:21] offset0:22 offset1:23
	ds_write2_b64 v1, v[14:15], v[16:17] offset0:24 offset1:25
	;; [unrolled: 1-line block ×5, first 2 shown]
.LBB30_228:
	s_or_b32 exec_lo, exec_lo, s0
	s_mov_b32 s0, exec_lo
	s_waitcnt lgkmcnt(0)
	s_waitcnt_vscnt null, 0x0
	s_barrier
	buffer_gl0_inv
	v_cmpx_lt_i32_e32 10, v80
	s_cbranch_execz .LBB30_230
; %bb.229:
	v_mul_f64 v[74:75], v[66:67], v[24:25]
	v_mul_f64 v[24:25], v[68:69], v[24:25]
	v_fma_f64 v[74:75], v[68:69], v[22:23], v[74:75]
	v_fma_f64 v[22:23], v[66:67], v[22:23], -v[24:25]
	ds_read2_b64 v[66:69], v1 offset0:22 offset1:23
	s_waitcnt lgkmcnt(0)
	v_mul_f64 v[24:25], v[68:69], v[74:75]
	v_fma_f64 v[24:25], v[66:67], v[22:23], -v[24:25]
	v_mul_f64 v[66:67], v[66:67], v[74:75]
	v_add_f64 v[18:19], v[18:19], -v[24:25]
	v_fma_f64 v[66:67], v[68:69], v[22:23], v[66:67]
	v_add_f64 v[20:21], v[20:21], -v[66:67]
	ds_read2_b64 v[66:69], v1 offset0:24 offset1:25
	s_waitcnt lgkmcnt(0)
	v_mul_f64 v[24:25], v[68:69], v[74:75]
	v_fma_f64 v[24:25], v[66:67], v[22:23], -v[24:25]
	v_mul_f64 v[66:67], v[66:67], v[74:75]
	v_add_f64 v[14:15], v[14:15], -v[24:25]
	v_fma_f64 v[66:67], v[68:69], v[22:23], v[66:67]
	v_add_f64 v[16:17], v[16:17], -v[66:67]
	;; [unrolled: 8-line block ×4, first 2 shown]
	ds_read2_b64 v[66:69], v1 offset0:30 offset1:31
	s_waitcnt lgkmcnt(0)
	v_mul_f64 v[24:25], v[68:69], v[74:75]
	v_fma_f64 v[24:25], v[66:67], v[22:23], -v[24:25]
	v_mul_f64 v[66:67], v[66:67], v[74:75]
	v_add_f64 v[2:3], v[2:3], -v[24:25]
	v_fma_f64 v[66:67], v[68:69], v[22:23], v[66:67]
	v_mov_b32_e32 v24, v74
	v_mov_b32_e32 v25, v75
	v_add_f64 v[4:5], v[4:5], -v[66:67]
.LBB30_230:
	s_or_b32 exec_lo, exec_lo, s0
	v_lshl_add_u32 v66, v80, 4, v1
	s_barrier
	buffer_gl0_inv
	v_mov_b32_e32 v74, 11
	ds_write2_b64 v66, v[18:19], v[20:21] offset1:1
	s_waitcnt lgkmcnt(0)
	s_barrier
	buffer_gl0_inv
	ds_read2_b64 v[66:69], v1 offset0:22 offset1:23
	s_cmp_lt_i32 s18, 13
	s_cbranch_scc1 .LBB30_233
; %bb.231:
	v_add3_u32 v75, v76, 0, 0xc0
	v_mov_b32_e32 v74, 11
	s_mov_b32 s1, 12
	s_inst_prefetch 0x1
	.p2align	6
.LBB30_232:                             ; =>This Inner Loop Header: Depth=1
	s_waitcnt lgkmcnt(0)
	v_cmp_gt_f64_e32 vcc_lo, 0, v[68:69]
	v_cmp_gt_f64_e64 s0, 0, v[66:67]
	ds_read2_b64 v[81:84], v75 offset1:1
	v_xor_b32_e32 v86, 0x80000000, v67
	v_xor_b32_e32 v88, 0x80000000, v69
	v_mov_b32_e32 v85, v66
	v_mov_b32_e32 v87, v68
	v_add_nc_u32_e32 v75, 16, v75
	s_waitcnt lgkmcnt(0)
	v_xor_b32_e32 v90, 0x80000000, v84
	v_cndmask_b32_e64 v86, v67, v86, s0
	v_cndmask_b32_e32 v88, v69, v88, vcc_lo
	v_cmp_gt_f64_e32 vcc_lo, 0, v[83:84]
	v_cmp_gt_f64_e64 s0, 0, v[81:82]
	v_mov_b32_e32 v89, v83
	v_add_f64 v[85:86], v[85:86], v[87:88]
	v_xor_b32_e32 v88, 0x80000000, v82
	v_mov_b32_e32 v87, v81
	v_cndmask_b32_e32 v90, v84, v90, vcc_lo
	v_cndmask_b32_e64 v88, v82, v88, s0
	v_add_f64 v[87:88], v[87:88], v[89:90]
	v_cmp_lt_f64_e32 vcc_lo, v[85:86], v[87:88]
	v_cndmask_b32_e32 v67, v67, v82, vcc_lo
	v_cndmask_b32_e32 v66, v66, v81, vcc_lo
	;; [unrolled: 1-line block ×4, first 2 shown]
	v_cndmask_b32_e64 v74, v74, s1, vcc_lo
	s_add_i32 s1, s1, 1
	s_cmp_lg_u32 s18, s1
	s_cbranch_scc1 .LBB30_232
.LBB30_233:
	s_inst_prefetch 0x2
	s_waitcnt lgkmcnt(0)
	v_cmp_eq_f64_e32 vcc_lo, 0, v[66:67]
	v_cmp_eq_f64_e64 s0, 0, v[68:69]
	s_and_b32 s0, vcc_lo, s0
	s_and_saveexec_b32 s1, s0
	s_xor_b32 s0, exec_lo, s1
; %bb.234:
	v_cmp_ne_u32_e32 vcc_lo, 0, v79
	v_cndmask_b32_e32 v79, 12, v79, vcc_lo
; %bb.235:
	s_andn2_saveexec_b32 s0, s0
	s_cbranch_execz .LBB30_241
; %bb.236:
	v_cmp_ngt_f64_e64 s1, |v[66:67]|, |v[68:69]|
	s_and_saveexec_b32 s2, s1
	s_xor_b32 s1, exec_lo, s2
	s_cbranch_execz .LBB30_238
; %bb.237:
	v_div_scale_f64 v[81:82], null, v[68:69], v[68:69], v[66:67]
	v_div_scale_f64 v[87:88], vcc_lo, v[66:67], v[68:69], v[66:67]
	v_rcp_f64_e32 v[83:84], v[81:82]
	v_fma_f64 v[85:86], -v[81:82], v[83:84], 1.0
	v_fma_f64 v[83:84], v[83:84], v[85:86], v[83:84]
	v_fma_f64 v[85:86], -v[81:82], v[83:84], 1.0
	v_fma_f64 v[83:84], v[83:84], v[85:86], v[83:84]
	v_mul_f64 v[85:86], v[87:88], v[83:84]
	v_fma_f64 v[81:82], -v[81:82], v[85:86], v[87:88]
	v_div_fmas_f64 v[81:82], v[81:82], v[83:84], v[85:86]
	v_div_fixup_f64 v[81:82], v[81:82], v[68:69], v[66:67]
	v_fma_f64 v[66:67], v[66:67], v[81:82], v[68:69]
	v_div_scale_f64 v[68:69], null, v[66:67], v[66:67], 1.0
	v_rcp_f64_e32 v[83:84], v[68:69]
	v_fma_f64 v[85:86], -v[68:69], v[83:84], 1.0
	v_fma_f64 v[83:84], v[83:84], v[85:86], v[83:84]
	v_fma_f64 v[85:86], -v[68:69], v[83:84], 1.0
	v_fma_f64 v[83:84], v[83:84], v[85:86], v[83:84]
	v_div_scale_f64 v[85:86], vcc_lo, 1.0, v[66:67], 1.0
	v_mul_f64 v[87:88], v[85:86], v[83:84]
	v_fma_f64 v[68:69], -v[68:69], v[87:88], v[85:86]
	v_div_fmas_f64 v[68:69], v[68:69], v[83:84], v[87:88]
	v_div_fixup_f64 v[68:69], v[68:69], v[66:67], 1.0
	v_mul_f64 v[66:67], v[81:82], v[68:69]
	v_xor_b32_e32 v69, 0x80000000, v69
.LBB30_238:
	s_andn2_saveexec_b32 s1, s1
	s_cbranch_execz .LBB30_240
; %bb.239:
	v_div_scale_f64 v[81:82], null, v[66:67], v[66:67], v[68:69]
	v_div_scale_f64 v[87:88], vcc_lo, v[68:69], v[66:67], v[68:69]
	v_rcp_f64_e32 v[83:84], v[81:82]
	v_fma_f64 v[85:86], -v[81:82], v[83:84], 1.0
	v_fma_f64 v[83:84], v[83:84], v[85:86], v[83:84]
	v_fma_f64 v[85:86], -v[81:82], v[83:84], 1.0
	v_fma_f64 v[83:84], v[83:84], v[85:86], v[83:84]
	v_mul_f64 v[85:86], v[87:88], v[83:84]
	v_fma_f64 v[81:82], -v[81:82], v[85:86], v[87:88]
	v_div_fmas_f64 v[81:82], v[81:82], v[83:84], v[85:86]
	v_div_fixup_f64 v[81:82], v[81:82], v[66:67], v[68:69]
	v_fma_f64 v[66:67], v[68:69], v[81:82], v[66:67]
	v_div_scale_f64 v[68:69], null, v[66:67], v[66:67], 1.0
	v_rcp_f64_e32 v[83:84], v[68:69]
	v_fma_f64 v[85:86], -v[68:69], v[83:84], 1.0
	v_fma_f64 v[83:84], v[83:84], v[85:86], v[83:84]
	v_fma_f64 v[85:86], -v[68:69], v[83:84], 1.0
	v_fma_f64 v[83:84], v[83:84], v[85:86], v[83:84]
	v_div_scale_f64 v[85:86], vcc_lo, 1.0, v[66:67], 1.0
	v_mul_f64 v[87:88], v[85:86], v[83:84]
	v_fma_f64 v[68:69], -v[68:69], v[87:88], v[85:86]
	v_div_fmas_f64 v[68:69], v[68:69], v[83:84], v[87:88]
	v_div_fixup_f64 v[66:67], v[68:69], v[66:67], 1.0
	v_mul_f64 v[68:69], v[81:82], -v[66:67]
.LBB30_240:
	s_or_b32 exec_lo, exec_lo, s1
.LBB30_241:
	s_or_b32 exec_lo, exec_lo, s0
	s_mov_b32 s0, exec_lo
	v_cmpx_ne_u32_e64 v80, v74
	s_xor_b32 s0, exec_lo, s0
	s_cbranch_execz .LBB30_247
; %bb.242:
	s_mov_b32 s1, exec_lo
	v_cmpx_eq_u32_e32 11, v80
	s_cbranch_execz .LBB30_246
; %bb.243:
	v_cmp_ne_u32_e32 vcc_lo, 11, v74
	s_xor_b32 s2, s16, -1
	s_and_b32 s3, s2, vcc_lo
	s_and_saveexec_b32 s2, s3
	s_cbranch_execz .LBB30_245
; %bb.244:
	v_ashrrev_i32_e32 v75, 31, v74
	v_lshlrev_b64 v[80:81], 2, v[74:75]
	v_add_co_u32 v80, vcc_lo, v72, v80
	v_add_co_ci_u32_e64 v81, null, v73, v81, vcc_lo
	s_clause 0x1
	global_load_dword v0, v[80:81], off
	global_load_dword v75, v[72:73], off offset:44
	s_waitcnt vmcnt(1)
	global_store_dword v[72:73], v0, off offset:44
	s_waitcnt vmcnt(0)
	global_store_dword v[80:81], v75, off
.LBB30_245:
	s_or_b32 exec_lo, exec_lo, s2
	v_mov_b32_e32 v80, v74
	v_mov_b32_e32 v0, v74
.LBB30_246:
	s_or_b32 exec_lo, exec_lo, s1
.LBB30_247:
	s_andn2_saveexec_b32 s0, s0
	s_cbranch_execz .LBB30_249
; %bb.248:
	v_mov_b32_e32 v80, 11
	ds_write2_b64 v1, v[14:15], v[16:17] offset0:24 offset1:25
	ds_write2_b64 v1, v[10:11], v[12:13] offset0:26 offset1:27
	;; [unrolled: 1-line block ×4, first 2 shown]
.LBB30_249:
	s_or_b32 exec_lo, exec_lo, s0
	s_mov_b32 s0, exec_lo
	s_waitcnt lgkmcnt(0)
	s_waitcnt_vscnt null, 0x0
	s_barrier
	buffer_gl0_inv
	v_cmpx_lt_i32_e32 11, v80
	s_cbranch_execz .LBB30_251
; %bb.250:
	v_mul_f64 v[74:75], v[66:67], v[20:21]
	v_mul_f64 v[20:21], v[68:69], v[20:21]
	v_fma_f64 v[74:75], v[68:69], v[18:19], v[74:75]
	v_fma_f64 v[18:19], v[66:67], v[18:19], -v[20:21]
	ds_read2_b64 v[66:69], v1 offset0:24 offset1:25
	s_waitcnt lgkmcnt(0)
	v_mul_f64 v[20:21], v[68:69], v[74:75]
	v_fma_f64 v[20:21], v[66:67], v[18:19], -v[20:21]
	v_mul_f64 v[66:67], v[66:67], v[74:75]
	v_add_f64 v[14:15], v[14:15], -v[20:21]
	v_fma_f64 v[66:67], v[68:69], v[18:19], v[66:67]
	v_add_f64 v[16:17], v[16:17], -v[66:67]
	ds_read2_b64 v[66:69], v1 offset0:26 offset1:27
	s_waitcnt lgkmcnt(0)
	v_mul_f64 v[20:21], v[68:69], v[74:75]
	v_fma_f64 v[20:21], v[66:67], v[18:19], -v[20:21]
	v_mul_f64 v[66:67], v[66:67], v[74:75]
	v_add_f64 v[10:11], v[10:11], -v[20:21]
	v_fma_f64 v[66:67], v[68:69], v[18:19], v[66:67]
	v_add_f64 v[12:13], v[12:13], -v[66:67]
	;; [unrolled: 8-line block ×3, first 2 shown]
	ds_read2_b64 v[66:69], v1 offset0:30 offset1:31
	s_waitcnt lgkmcnt(0)
	v_mul_f64 v[20:21], v[68:69], v[74:75]
	v_fma_f64 v[20:21], v[66:67], v[18:19], -v[20:21]
	v_mul_f64 v[66:67], v[66:67], v[74:75]
	v_add_f64 v[2:3], v[2:3], -v[20:21]
	v_fma_f64 v[66:67], v[68:69], v[18:19], v[66:67]
	v_mov_b32_e32 v20, v74
	v_mov_b32_e32 v21, v75
	v_add_f64 v[4:5], v[4:5], -v[66:67]
.LBB30_251:
	s_or_b32 exec_lo, exec_lo, s0
	v_lshl_add_u32 v66, v80, 4, v1
	s_barrier
	buffer_gl0_inv
	v_mov_b32_e32 v74, 12
	ds_write2_b64 v66, v[14:15], v[16:17] offset1:1
	s_waitcnt lgkmcnt(0)
	s_barrier
	buffer_gl0_inv
	ds_read2_b64 v[66:69], v1 offset0:24 offset1:25
	s_cmp_lt_i32 s18, 14
	s_cbranch_scc1 .LBB30_254
; %bb.252:
	v_add3_u32 v75, v76, 0, 0xd0
	v_mov_b32_e32 v74, 12
	s_mov_b32 s1, 13
	s_inst_prefetch 0x1
	.p2align	6
.LBB30_253:                             ; =>This Inner Loop Header: Depth=1
	s_waitcnt lgkmcnt(0)
	v_cmp_gt_f64_e32 vcc_lo, 0, v[68:69]
	v_cmp_gt_f64_e64 s0, 0, v[66:67]
	ds_read2_b64 v[81:84], v75 offset1:1
	v_xor_b32_e32 v86, 0x80000000, v67
	v_xor_b32_e32 v88, 0x80000000, v69
	v_mov_b32_e32 v85, v66
	v_mov_b32_e32 v87, v68
	v_add_nc_u32_e32 v75, 16, v75
	s_waitcnt lgkmcnt(0)
	v_xor_b32_e32 v90, 0x80000000, v84
	v_cndmask_b32_e64 v86, v67, v86, s0
	v_cndmask_b32_e32 v88, v69, v88, vcc_lo
	v_cmp_gt_f64_e32 vcc_lo, 0, v[83:84]
	v_cmp_gt_f64_e64 s0, 0, v[81:82]
	v_mov_b32_e32 v89, v83
	v_add_f64 v[85:86], v[85:86], v[87:88]
	v_xor_b32_e32 v88, 0x80000000, v82
	v_mov_b32_e32 v87, v81
	v_cndmask_b32_e32 v90, v84, v90, vcc_lo
	v_cndmask_b32_e64 v88, v82, v88, s0
	v_add_f64 v[87:88], v[87:88], v[89:90]
	v_cmp_lt_f64_e32 vcc_lo, v[85:86], v[87:88]
	v_cndmask_b32_e32 v67, v67, v82, vcc_lo
	v_cndmask_b32_e32 v66, v66, v81, vcc_lo
	;; [unrolled: 1-line block ×4, first 2 shown]
	v_cndmask_b32_e64 v74, v74, s1, vcc_lo
	s_add_i32 s1, s1, 1
	s_cmp_lg_u32 s18, s1
	s_cbranch_scc1 .LBB30_253
.LBB30_254:
	s_inst_prefetch 0x2
	s_waitcnt lgkmcnt(0)
	v_cmp_eq_f64_e32 vcc_lo, 0, v[66:67]
	v_cmp_eq_f64_e64 s0, 0, v[68:69]
	s_and_b32 s0, vcc_lo, s0
	s_and_saveexec_b32 s1, s0
	s_xor_b32 s0, exec_lo, s1
; %bb.255:
	v_cmp_ne_u32_e32 vcc_lo, 0, v79
	v_cndmask_b32_e32 v79, 13, v79, vcc_lo
; %bb.256:
	s_andn2_saveexec_b32 s0, s0
	s_cbranch_execz .LBB30_262
; %bb.257:
	v_cmp_ngt_f64_e64 s1, |v[66:67]|, |v[68:69]|
	s_and_saveexec_b32 s2, s1
	s_xor_b32 s1, exec_lo, s2
	s_cbranch_execz .LBB30_259
; %bb.258:
	v_div_scale_f64 v[81:82], null, v[68:69], v[68:69], v[66:67]
	v_div_scale_f64 v[87:88], vcc_lo, v[66:67], v[68:69], v[66:67]
	v_rcp_f64_e32 v[83:84], v[81:82]
	v_fma_f64 v[85:86], -v[81:82], v[83:84], 1.0
	v_fma_f64 v[83:84], v[83:84], v[85:86], v[83:84]
	v_fma_f64 v[85:86], -v[81:82], v[83:84], 1.0
	v_fma_f64 v[83:84], v[83:84], v[85:86], v[83:84]
	v_mul_f64 v[85:86], v[87:88], v[83:84]
	v_fma_f64 v[81:82], -v[81:82], v[85:86], v[87:88]
	v_div_fmas_f64 v[81:82], v[81:82], v[83:84], v[85:86]
	v_div_fixup_f64 v[81:82], v[81:82], v[68:69], v[66:67]
	v_fma_f64 v[66:67], v[66:67], v[81:82], v[68:69]
	v_div_scale_f64 v[68:69], null, v[66:67], v[66:67], 1.0
	v_rcp_f64_e32 v[83:84], v[68:69]
	v_fma_f64 v[85:86], -v[68:69], v[83:84], 1.0
	v_fma_f64 v[83:84], v[83:84], v[85:86], v[83:84]
	v_fma_f64 v[85:86], -v[68:69], v[83:84], 1.0
	v_fma_f64 v[83:84], v[83:84], v[85:86], v[83:84]
	v_div_scale_f64 v[85:86], vcc_lo, 1.0, v[66:67], 1.0
	v_mul_f64 v[87:88], v[85:86], v[83:84]
	v_fma_f64 v[68:69], -v[68:69], v[87:88], v[85:86]
	v_div_fmas_f64 v[68:69], v[68:69], v[83:84], v[87:88]
	v_div_fixup_f64 v[68:69], v[68:69], v[66:67], 1.0
	v_mul_f64 v[66:67], v[81:82], v[68:69]
	v_xor_b32_e32 v69, 0x80000000, v69
.LBB30_259:
	s_andn2_saveexec_b32 s1, s1
	s_cbranch_execz .LBB30_261
; %bb.260:
	v_div_scale_f64 v[81:82], null, v[66:67], v[66:67], v[68:69]
	v_div_scale_f64 v[87:88], vcc_lo, v[68:69], v[66:67], v[68:69]
	v_rcp_f64_e32 v[83:84], v[81:82]
	v_fma_f64 v[85:86], -v[81:82], v[83:84], 1.0
	v_fma_f64 v[83:84], v[83:84], v[85:86], v[83:84]
	v_fma_f64 v[85:86], -v[81:82], v[83:84], 1.0
	v_fma_f64 v[83:84], v[83:84], v[85:86], v[83:84]
	v_mul_f64 v[85:86], v[87:88], v[83:84]
	v_fma_f64 v[81:82], -v[81:82], v[85:86], v[87:88]
	v_div_fmas_f64 v[81:82], v[81:82], v[83:84], v[85:86]
	v_div_fixup_f64 v[81:82], v[81:82], v[66:67], v[68:69]
	v_fma_f64 v[66:67], v[68:69], v[81:82], v[66:67]
	v_div_scale_f64 v[68:69], null, v[66:67], v[66:67], 1.0
	v_rcp_f64_e32 v[83:84], v[68:69]
	v_fma_f64 v[85:86], -v[68:69], v[83:84], 1.0
	v_fma_f64 v[83:84], v[83:84], v[85:86], v[83:84]
	v_fma_f64 v[85:86], -v[68:69], v[83:84], 1.0
	v_fma_f64 v[83:84], v[83:84], v[85:86], v[83:84]
	v_div_scale_f64 v[85:86], vcc_lo, 1.0, v[66:67], 1.0
	v_mul_f64 v[87:88], v[85:86], v[83:84]
	v_fma_f64 v[68:69], -v[68:69], v[87:88], v[85:86]
	v_div_fmas_f64 v[68:69], v[68:69], v[83:84], v[87:88]
	v_div_fixup_f64 v[66:67], v[68:69], v[66:67], 1.0
	v_mul_f64 v[68:69], v[81:82], -v[66:67]
.LBB30_261:
	s_or_b32 exec_lo, exec_lo, s1
.LBB30_262:
	s_or_b32 exec_lo, exec_lo, s0
	s_mov_b32 s0, exec_lo
	v_cmpx_ne_u32_e64 v80, v74
	s_xor_b32 s0, exec_lo, s0
	s_cbranch_execz .LBB30_268
; %bb.263:
	s_mov_b32 s1, exec_lo
	v_cmpx_eq_u32_e32 12, v80
	s_cbranch_execz .LBB30_267
; %bb.264:
	v_cmp_ne_u32_e32 vcc_lo, 12, v74
	s_xor_b32 s2, s16, -1
	s_and_b32 s3, s2, vcc_lo
	s_and_saveexec_b32 s2, s3
	s_cbranch_execz .LBB30_266
; %bb.265:
	v_ashrrev_i32_e32 v75, 31, v74
	v_lshlrev_b64 v[80:81], 2, v[74:75]
	v_add_co_u32 v80, vcc_lo, v72, v80
	v_add_co_ci_u32_e64 v81, null, v73, v81, vcc_lo
	s_clause 0x1
	global_load_dword v0, v[80:81], off
	global_load_dword v75, v[72:73], off offset:48
	s_waitcnt vmcnt(1)
	global_store_dword v[72:73], v0, off offset:48
	s_waitcnt vmcnt(0)
	global_store_dword v[80:81], v75, off
.LBB30_266:
	s_or_b32 exec_lo, exec_lo, s2
	v_mov_b32_e32 v80, v74
	v_mov_b32_e32 v0, v74
.LBB30_267:
	s_or_b32 exec_lo, exec_lo, s1
.LBB30_268:
	s_andn2_saveexec_b32 s0, s0
	s_cbranch_execz .LBB30_270
; %bb.269:
	v_mov_b32_e32 v80, 12
	ds_write2_b64 v1, v[10:11], v[12:13] offset0:26 offset1:27
	ds_write2_b64 v1, v[6:7], v[8:9] offset0:28 offset1:29
	ds_write2_b64 v1, v[2:3], v[4:5] offset0:30 offset1:31
.LBB30_270:
	s_or_b32 exec_lo, exec_lo, s0
	s_mov_b32 s0, exec_lo
	s_waitcnt lgkmcnt(0)
	s_waitcnt_vscnt null, 0x0
	s_barrier
	buffer_gl0_inv
	v_cmpx_lt_i32_e32 12, v80
	s_cbranch_execz .LBB30_272
; %bb.271:
	v_mul_f64 v[74:75], v[66:67], v[16:17]
	v_mul_f64 v[16:17], v[68:69], v[16:17]
	v_fma_f64 v[74:75], v[68:69], v[14:15], v[74:75]
	v_fma_f64 v[14:15], v[66:67], v[14:15], -v[16:17]
	ds_read2_b64 v[66:69], v1 offset0:26 offset1:27
	s_waitcnt lgkmcnt(0)
	v_mul_f64 v[16:17], v[68:69], v[74:75]
	v_fma_f64 v[16:17], v[66:67], v[14:15], -v[16:17]
	v_mul_f64 v[66:67], v[66:67], v[74:75]
	v_add_f64 v[10:11], v[10:11], -v[16:17]
	v_fma_f64 v[66:67], v[68:69], v[14:15], v[66:67]
	v_add_f64 v[12:13], v[12:13], -v[66:67]
	ds_read2_b64 v[66:69], v1 offset0:28 offset1:29
	s_waitcnt lgkmcnt(0)
	v_mul_f64 v[16:17], v[68:69], v[74:75]
	v_fma_f64 v[16:17], v[66:67], v[14:15], -v[16:17]
	v_mul_f64 v[66:67], v[66:67], v[74:75]
	v_add_f64 v[6:7], v[6:7], -v[16:17]
	v_fma_f64 v[66:67], v[68:69], v[14:15], v[66:67]
	v_add_f64 v[8:9], v[8:9], -v[66:67]
	ds_read2_b64 v[66:69], v1 offset0:30 offset1:31
	s_waitcnt lgkmcnt(0)
	v_mul_f64 v[16:17], v[68:69], v[74:75]
	v_fma_f64 v[16:17], v[66:67], v[14:15], -v[16:17]
	v_mul_f64 v[66:67], v[66:67], v[74:75]
	v_add_f64 v[2:3], v[2:3], -v[16:17]
	v_fma_f64 v[66:67], v[68:69], v[14:15], v[66:67]
	v_mov_b32_e32 v16, v74
	v_mov_b32_e32 v17, v75
	v_add_f64 v[4:5], v[4:5], -v[66:67]
.LBB30_272:
	s_or_b32 exec_lo, exec_lo, s0
	v_lshl_add_u32 v66, v80, 4, v1
	s_barrier
	buffer_gl0_inv
	v_mov_b32_e32 v74, 13
	ds_write2_b64 v66, v[10:11], v[12:13] offset1:1
	s_waitcnt lgkmcnt(0)
	s_barrier
	buffer_gl0_inv
	ds_read2_b64 v[66:69], v1 offset0:26 offset1:27
	s_cmp_lt_i32 s18, 15
	s_cbranch_scc1 .LBB30_275
; %bb.273:
	v_add3_u32 v75, v76, 0, 0xe0
	v_mov_b32_e32 v74, 13
	s_mov_b32 s1, 14
	s_inst_prefetch 0x1
	.p2align	6
.LBB30_274:                             ; =>This Inner Loop Header: Depth=1
	s_waitcnt lgkmcnt(0)
	v_cmp_gt_f64_e32 vcc_lo, 0, v[68:69]
	v_cmp_gt_f64_e64 s0, 0, v[66:67]
	ds_read2_b64 v[81:84], v75 offset1:1
	v_xor_b32_e32 v86, 0x80000000, v67
	v_xor_b32_e32 v88, 0x80000000, v69
	v_mov_b32_e32 v85, v66
	v_mov_b32_e32 v87, v68
	v_add_nc_u32_e32 v75, 16, v75
	s_waitcnt lgkmcnt(0)
	v_xor_b32_e32 v90, 0x80000000, v84
	v_cndmask_b32_e64 v86, v67, v86, s0
	v_cndmask_b32_e32 v88, v69, v88, vcc_lo
	v_cmp_gt_f64_e32 vcc_lo, 0, v[83:84]
	v_cmp_gt_f64_e64 s0, 0, v[81:82]
	v_mov_b32_e32 v89, v83
	v_add_f64 v[85:86], v[85:86], v[87:88]
	v_xor_b32_e32 v88, 0x80000000, v82
	v_mov_b32_e32 v87, v81
	v_cndmask_b32_e32 v90, v84, v90, vcc_lo
	v_cndmask_b32_e64 v88, v82, v88, s0
	v_add_f64 v[87:88], v[87:88], v[89:90]
	v_cmp_lt_f64_e32 vcc_lo, v[85:86], v[87:88]
	v_cndmask_b32_e32 v67, v67, v82, vcc_lo
	v_cndmask_b32_e32 v66, v66, v81, vcc_lo
	v_cndmask_b32_e32 v69, v69, v84, vcc_lo
	v_cndmask_b32_e32 v68, v68, v83, vcc_lo
	v_cndmask_b32_e64 v74, v74, s1, vcc_lo
	s_add_i32 s1, s1, 1
	s_cmp_lg_u32 s18, s1
	s_cbranch_scc1 .LBB30_274
.LBB30_275:
	s_inst_prefetch 0x2
	s_waitcnt lgkmcnt(0)
	v_cmp_eq_f64_e32 vcc_lo, 0, v[66:67]
	v_cmp_eq_f64_e64 s0, 0, v[68:69]
	s_and_b32 s0, vcc_lo, s0
	s_and_saveexec_b32 s1, s0
	s_xor_b32 s0, exec_lo, s1
; %bb.276:
	v_cmp_ne_u32_e32 vcc_lo, 0, v79
	v_cndmask_b32_e32 v79, 14, v79, vcc_lo
; %bb.277:
	s_andn2_saveexec_b32 s0, s0
	s_cbranch_execz .LBB30_283
; %bb.278:
	v_cmp_ngt_f64_e64 s1, |v[66:67]|, |v[68:69]|
	s_and_saveexec_b32 s2, s1
	s_xor_b32 s1, exec_lo, s2
	s_cbranch_execz .LBB30_280
; %bb.279:
	v_div_scale_f64 v[81:82], null, v[68:69], v[68:69], v[66:67]
	v_div_scale_f64 v[87:88], vcc_lo, v[66:67], v[68:69], v[66:67]
	v_rcp_f64_e32 v[83:84], v[81:82]
	v_fma_f64 v[85:86], -v[81:82], v[83:84], 1.0
	v_fma_f64 v[83:84], v[83:84], v[85:86], v[83:84]
	v_fma_f64 v[85:86], -v[81:82], v[83:84], 1.0
	v_fma_f64 v[83:84], v[83:84], v[85:86], v[83:84]
	v_mul_f64 v[85:86], v[87:88], v[83:84]
	v_fma_f64 v[81:82], -v[81:82], v[85:86], v[87:88]
	v_div_fmas_f64 v[81:82], v[81:82], v[83:84], v[85:86]
	v_div_fixup_f64 v[81:82], v[81:82], v[68:69], v[66:67]
	v_fma_f64 v[66:67], v[66:67], v[81:82], v[68:69]
	v_div_scale_f64 v[68:69], null, v[66:67], v[66:67], 1.0
	v_rcp_f64_e32 v[83:84], v[68:69]
	v_fma_f64 v[85:86], -v[68:69], v[83:84], 1.0
	v_fma_f64 v[83:84], v[83:84], v[85:86], v[83:84]
	v_fma_f64 v[85:86], -v[68:69], v[83:84], 1.0
	v_fma_f64 v[83:84], v[83:84], v[85:86], v[83:84]
	v_div_scale_f64 v[85:86], vcc_lo, 1.0, v[66:67], 1.0
	v_mul_f64 v[87:88], v[85:86], v[83:84]
	v_fma_f64 v[68:69], -v[68:69], v[87:88], v[85:86]
	v_div_fmas_f64 v[68:69], v[68:69], v[83:84], v[87:88]
	v_div_fixup_f64 v[68:69], v[68:69], v[66:67], 1.0
	v_mul_f64 v[66:67], v[81:82], v[68:69]
	v_xor_b32_e32 v69, 0x80000000, v69
.LBB30_280:
	s_andn2_saveexec_b32 s1, s1
	s_cbranch_execz .LBB30_282
; %bb.281:
	v_div_scale_f64 v[81:82], null, v[66:67], v[66:67], v[68:69]
	v_div_scale_f64 v[87:88], vcc_lo, v[68:69], v[66:67], v[68:69]
	v_rcp_f64_e32 v[83:84], v[81:82]
	v_fma_f64 v[85:86], -v[81:82], v[83:84], 1.0
	v_fma_f64 v[83:84], v[83:84], v[85:86], v[83:84]
	v_fma_f64 v[85:86], -v[81:82], v[83:84], 1.0
	v_fma_f64 v[83:84], v[83:84], v[85:86], v[83:84]
	v_mul_f64 v[85:86], v[87:88], v[83:84]
	v_fma_f64 v[81:82], -v[81:82], v[85:86], v[87:88]
	v_div_fmas_f64 v[81:82], v[81:82], v[83:84], v[85:86]
	v_div_fixup_f64 v[81:82], v[81:82], v[66:67], v[68:69]
	v_fma_f64 v[66:67], v[68:69], v[81:82], v[66:67]
	v_div_scale_f64 v[68:69], null, v[66:67], v[66:67], 1.0
	v_rcp_f64_e32 v[83:84], v[68:69]
	v_fma_f64 v[85:86], -v[68:69], v[83:84], 1.0
	v_fma_f64 v[83:84], v[83:84], v[85:86], v[83:84]
	v_fma_f64 v[85:86], -v[68:69], v[83:84], 1.0
	v_fma_f64 v[83:84], v[83:84], v[85:86], v[83:84]
	v_div_scale_f64 v[85:86], vcc_lo, 1.0, v[66:67], 1.0
	v_mul_f64 v[87:88], v[85:86], v[83:84]
	v_fma_f64 v[68:69], -v[68:69], v[87:88], v[85:86]
	v_div_fmas_f64 v[68:69], v[68:69], v[83:84], v[87:88]
	v_div_fixup_f64 v[66:67], v[68:69], v[66:67], 1.0
	v_mul_f64 v[68:69], v[81:82], -v[66:67]
.LBB30_282:
	s_or_b32 exec_lo, exec_lo, s1
.LBB30_283:
	s_or_b32 exec_lo, exec_lo, s0
	s_mov_b32 s0, exec_lo
	v_cmpx_ne_u32_e64 v80, v74
	s_xor_b32 s0, exec_lo, s0
	s_cbranch_execz .LBB30_289
; %bb.284:
	s_mov_b32 s1, exec_lo
	v_cmpx_eq_u32_e32 13, v80
	s_cbranch_execz .LBB30_288
; %bb.285:
	v_cmp_ne_u32_e32 vcc_lo, 13, v74
	s_xor_b32 s2, s16, -1
	s_and_b32 s3, s2, vcc_lo
	s_and_saveexec_b32 s2, s3
	s_cbranch_execz .LBB30_287
; %bb.286:
	v_ashrrev_i32_e32 v75, 31, v74
	v_lshlrev_b64 v[80:81], 2, v[74:75]
	v_add_co_u32 v80, vcc_lo, v72, v80
	v_add_co_ci_u32_e64 v81, null, v73, v81, vcc_lo
	s_clause 0x1
	global_load_dword v0, v[80:81], off
	global_load_dword v75, v[72:73], off offset:52
	s_waitcnt vmcnt(1)
	global_store_dword v[72:73], v0, off offset:52
	s_waitcnt vmcnt(0)
	global_store_dword v[80:81], v75, off
.LBB30_287:
	s_or_b32 exec_lo, exec_lo, s2
	v_mov_b32_e32 v80, v74
	v_mov_b32_e32 v0, v74
.LBB30_288:
	s_or_b32 exec_lo, exec_lo, s1
.LBB30_289:
	s_andn2_saveexec_b32 s0, s0
	s_cbranch_execz .LBB30_291
; %bb.290:
	v_mov_b32_e32 v80, 13
	ds_write2_b64 v1, v[6:7], v[8:9] offset0:28 offset1:29
	ds_write2_b64 v1, v[2:3], v[4:5] offset0:30 offset1:31
.LBB30_291:
	s_or_b32 exec_lo, exec_lo, s0
	s_mov_b32 s0, exec_lo
	s_waitcnt lgkmcnt(0)
	s_waitcnt_vscnt null, 0x0
	s_barrier
	buffer_gl0_inv
	v_cmpx_lt_i32_e32 13, v80
	s_cbranch_execz .LBB30_293
; %bb.292:
	v_mul_f64 v[74:75], v[66:67], v[12:13]
	v_mul_f64 v[12:13], v[68:69], v[12:13]
	ds_read2_b64 v[81:84], v1 offset0:28 offset1:29
	ds_read2_b64 v[85:88], v1 offset0:30 offset1:31
	v_fma_f64 v[68:69], v[68:69], v[10:11], v[74:75]
	v_fma_f64 v[10:11], v[66:67], v[10:11], -v[12:13]
	s_waitcnt lgkmcnt(1)
	v_mul_f64 v[12:13], v[83:84], v[68:69]
	v_mul_f64 v[66:67], v[81:82], v[68:69]
	s_waitcnt lgkmcnt(0)
	v_mul_f64 v[74:75], v[87:88], v[68:69]
	v_mul_f64 v[89:90], v[85:86], v[68:69]
	v_fma_f64 v[12:13], v[81:82], v[10:11], -v[12:13]
	v_fma_f64 v[66:67], v[83:84], v[10:11], v[66:67]
	v_fma_f64 v[74:75], v[85:86], v[10:11], -v[74:75]
	v_fma_f64 v[81:82], v[87:88], v[10:11], v[89:90]
	v_add_f64 v[6:7], v[6:7], -v[12:13]
	v_add_f64 v[8:9], v[8:9], -v[66:67]
	;; [unrolled: 1-line block ×4, first 2 shown]
	v_mov_b32_e32 v12, v68
	v_mov_b32_e32 v13, v69
.LBB30_293:
	s_or_b32 exec_lo, exec_lo, s0
	v_lshl_add_u32 v66, v80, 4, v1
	s_barrier
	buffer_gl0_inv
	v_mov_b32_e32 v74, 14
	ds_write2_b64 v66, v[6:7], v[8:9] offset1:1
	s_waitcnt lgkmcnt(0)
	s_barrier
	buffer_gl0_inv
	ds_read2_b64 v[66:69], v1 offset0:28 offset1:29
	s_cmp_lt_i32 s18, 16
	s_cbranch_scc1 .LBB30_296
; %bb.294:
	v_add3_u32 v75, v76, 0, 0xf0
	v_mov_b32_e32 v74, 14
	s_mov_b32 s1, 15
	s_inst_prefetch 0x1
	.p2align	6
.LBB30_295:                             ; =>This Inner Loop Header: Depth=1
	s_waitcnt lgkmcnt(0)
	v_cmp_gt_f64_e32 vcc_lo, 0, v[68:69]
	v_cmp_gt_f64_e64 s0, 0, v[66:67]
	ds_read2_b64 v[81:84], v75 offset1:1
	v_xor_b32_e32 v86, 0x80000000, v67
	v_xor_b32_e32 v88, 0x80000000, v69
	v_mov_b32_e32 v85, v66
	v_mov_b32_e32 v87, v68
	v_add_nc_u32_e32 v75, 16, v75
	s_waitcnt lgkmcnt(0)
	v_xor_b32_e32 v90, 0x80000000, v84
	v_cndmask_b32_e64 v86, v67, v86, s0
	v_cndmask_b32_e32 v88, v69, v88, vcc_lo
	v_cmp_gt_f64_e32 vcc_lo, 0, v[83:84]
	v_cmp_gt_f64_e64 s0, 0, v[81:82]
	v_mov_b32_e32 v89, v83
	v_add_f64 v[85:86], v[85:86], v[87:88]
	v_xor_b32_e32 v88, 0x80000000, v82
	v_mov_b32_e32 v87, v81
	v_cndmask_b32_e32 v90, v84, v90, vcc_lo
	v_cndmask_b32_e64 v88, v82, v88, s0
	v_add_f64 v[87:88], v[87:88], v[89:90]
	v_cmp_lt_f64_e32 vcc_lo, v[85:86], v[87:88]
	v_cndmask_b32_e32 v67, v67, v82, vcc_lo
	v_cndmask_b32_e32 v66, v66, v81, vcc_lo
	;; [unrolled: 1-line block ×4, first 2 shown]
	v_cndmask_b32_e64 v74, v74, s1, vcc_lo
	s_add_i32 s1, s1, 1
	s_cmp_lg_u32 s18, s1
	s_cbranch_scc1 .LBB30_295
.LBB30_296:
	s_inst_prefetch 0x2
	s_waitcnt lgkmcnt(0)
	v_cmp_eq_f64_e32 vcc_lo, 0, v[66:67]
	v_cmp_eq_f64_e64 s0, 0, v[68:69]
	s_and_b32 s0, vcc_lo, s0
	s_and_saveexec_b32 s1, s0
	s_xor_b32 s0, exec_lo, s1
; %bb.297:
	v_cmp_ne_u32_e32 vcc_lo, 0, v79
	v_cndmask_b32_e32 v79, 15, v79, vcc_lo
; %bb.298:
	s_andn2_saveexec_b32 s0, s0
	s_cbranch_execz .LBB30_304
; %bb.299:
	v_cmp_ngt_f64_e64 s1, |v[66:67]|, |v[68:69]|
	s_and_saveexec_b32 s2, s1
	s_xor_b32 s1, exec_lo, s2
	s_cbranch_execz .LBB30_301
; %bb.300:
	v_div_scale_f64 v[81:82], null, v[68:69], v[68:69], v[66:67]
	v_div_scale_f64 v[87:88], vcc_lo, v[66:67], v[68:69], v[66:67]
	v_rcp_f64_e32 v[83:84], v[81:82]
	v_fma_f64 v[85:86], -v[81:82], v[83:84], 1.0
	v_fma_f64 v[83:84], v[83:84], v[85:86], v[83:84]
	v_fma_f64 v[85:86], -v[81:82], v[83:84], 1.0
	v_fma_f64 v[83:84], v[83:84], v[85:86], v[83:84]
	v_mul_f64 v[85:86], v[87:88], v[83:84]
	v_fma_f64 v[81:82], -v[81:82], v[85:86], v[87:88]
	v_div_fmas_f64 v[81:82], v[81:82], v[83:84], v[85:86]
	v_div_fixup_f64 v[81:82], v[81:82], v[68:69], v[66:67]
	v_fma_f64 v[66:67], v[66:67], v[81:82], v[68:69]
	v_div_scale_f64 v[68:69], null, v[66:67], v[66:67], 1.0
	v_rcp_f64_e32 v[83:84], v[68:69]
	v_fma_f64 v[85:86], -v[68:69], v[83:84], 1.0
	v_fma_f64 v[83:84], v[83:84], v[85:86], v[83:84]
	v_fma_f64 v[85:86], -v[68:69], v[83:84], 1.0
	v_fma_f64 v[83:84], v[83:84], v[85:86], v[83:84]
	v_div_scale_f64 v[85:86], vcc_lo, 1.0, v[66:67], 1.0
	v_mul_f64 v[87:88], v[85:86], v[83:84]
	v_fma_f64 v[68:69], -v[68:69], v[87:88], v[85:86]
	v_div_fmas_f64 v[68:69], v[68:69], v[83:84], v[87:88]
	v_div_fixup_f64 v[68:69], v[68:69], v[66:67], 1.0
	v_mul_f64 v[66:67], v[81:82], v[68:69]
	v_xor_b32_e32 v69, 0x80000000, v69
.LBB30_301:
	s_andn2_saveexec_b32 s1, s1
	s_cbranch_execz .LBB30_303
; %bb.302:
	v_div_scale_f64 v[81:82], null, v[66:67], v[66:67], v[68:69]
	v_div_scale_f64 v[87:88], vcc_lo, v[68:69], v[66:67], v[68:69]
	v_rcp_f64_e32 v[83:84], v[81:82]
	v_fma_f64 v[85:86], -v[81:82], v[83:84], 1.0
	v_fma_f64 v[83:84], v[83:84], v[85:86], v[83:84]
	v_fma_f64 v[85:86], -v[81:82], v[83:84], 1.0
	v_fma_f64 v[83:84], v[83:84], v[85:86], v[83:84]
	v_mul_f64 v[85:86], v[87:88], v[83:84]
	v_fma_f64 v[81:82], -v[81:82], v[85:86], v[87:88]
	v_div_fmas_f64 v[81:82], v[81:82], v[83:84], v[85:86]
	v_div_fixup_f64 v[81:82], v[81:82], v[66:67], v[68:69]
	v_fma_f64 v[66:67], v[68:69], v[81:82], v[66:67]
	v_div_scale_f64 v[68:69], null, v[66:67], v[66:67], 1.0
	v_rcp_f64_e32 v[83:84], v[68:69]
	v_fma_f64 v[85:86], -v[68:69], v[83:84], 1.0
	v_fma_f64 v[83:84], v[83:84], v[85:86], v[83:84]
	v_fma_f64 v[85:86], -v[68:69], v[83:84], 1.0
	v_fma_f64 v[83:84], v[83:84], v[85:86], v[83:84]
	v_div_scale_f64 v[85:86], vcc_lo, 1.0, v[66:67], 1.0
	v_mul_f64 v[87:88], v[85:86], v[83:84]
	v_fma_f64 v[68:69], -v[68:69], v[87:88], v[85:86]
	v_div_fmas_f64 v[68:69], v[68:69], v[83:84], v[87:88]
	v_div_fixup_f64 v[66:67], v[68:69], v[66:67], 1.0
	v_mul_f64 v[68:69], v[81:82], -v[66:67]
.LBB30_303:
	s_or_b32 exec_lo, exec_lo, s1
.LBB30_304:
	s_or_b32 exec_lo, exec_lo, s0
	s_mov_b32 s0, exec_lo
	v_cmpx_ne_u32_e64 v80, v74
	s_xor_b32 s0, exec_lo, s0
	s_cbranch_execz .LBB30_310
; %bb.305:
	s_mov_b32 s1, exec_lo
	v_cmpx_eq_u32_e32 14, v80
	s_cbranch_execz .LBB30_309
; %bb.306:
	v_cmp_ne_u32_e32 vcc_lo, 14, v74
	s_xor_b32 s2, s16, -1
	s_and_b32 s3, s2, vcc_lo
	s_and_saveexec_b32 s2, s3
	s_cbranch_execz .LBB30_308
; %bb.307:
	v_ashrrev_i32_e32 v75, 31, v74
	v_lshlrev_b64 v[80:81], 2, v[74:75]
	v_add_co_u32 v80, vcc_lo, v72, v80
	v_add_co_ci_u32_e64 v81, null, v73, v81, vcc_lo
	s_clause 0x1
	global_load_dword v0, v[80:81], off
	global_load_dword v75, v[72:73], off offset:56
	s_waitcnt vmcnt(1)
	global_store_dword v[72:73], v0, off offset:56
	s_waitcnt vmcnt(0)
	global_store_dword v[80:81], v75, off
.LBB30_308:
	s_or_b32 exec_lo, exec_lo, s2
	v_mov_b32_e32 v80, v74
	v_mov_b32_e32 v0, v74
.LBB30_309:
	s_or_b32 exec_lo, exec_lo, s1
.LBB30_310:
	s_andn2_saveexec_b32 s0, s0
; %bb.311:
	v_mov_b32_e32 v80, 14
	ds_write2_b64 v1, v[2:3], v[4:5] offset0:30 offset1:31
; %bb.312:
	s_or_b32 exec_lo, exec_lo, s0
	s_mov_b32 s0, exec_lo
	s_waitcnt lgkmcnt(0)
	s_waitcnt_vscnt null, 0x0
	s_barrier
	buffer_gl0_inv
	v_cmpx_lt_i32_e32 14, v80
	s_cbranch_execz .LBB30_314
; %bb.313:
	v_mul_f64 v[74:75], v[66:67], v[8:9]
	v_mul_f64 v[8:9], v[68:69], v[8:9]
	ds_read2_b64 v[81:84], v1 offset0:30 offset1:31
	v_fma_f64 v[68:69], v[68:69], v[6:7], v[74:75]
	v_fma_f64 v[6:7], v[66:67], v[6:7], -v[8:9]
	s_waitcnt lgkmcnt(0)
	v_mul_f64 v[8:9], v[83:84], v[68:69]
	v_mul_f64 v[66:67], v[81:82], v[68:69]
	v_fma_f64 v[8:9], v[81:82], v[6:7], -v[8:9]
	v_fma_f64 v[66:67], v[83:84], v[6:7], v[66:67]
	v_add_f64 v[2:3], v[2:3], -v[8:9]
	v_add_f64 v[4:5], v[4:5], -v[66:67]
	v_mov_b32_e32 v8, v68
	v_mov_b32_e32 v9, v69
.LBB30_314:
	s_or_b32 exec_lo, exec_lo, s0
	v_lshl_add_u32 v66, v80, 4, v1
	s_barrier
	buffer_gl0_inv
	v_mov_b32_e32 v74, 15
	ds_write2_b64 v66, v[2:3], v[4:5] offset1:1
	s_waitcnt lgkmcnt(0)
	s_barrier
	buffer_gl0_inv
	ds_read2_b64 v[66:69], v1 offset0:30 offset1:31
	s_cmp_lt_i32 s18, 17
	s_cbranch_scc1 .LBB30_317
; %bb.315:
	v_add3_u32 v1, v76, 0, 0x100
	v_mov_b32_e32 v74, 15
	s_mov_b32 s1, 16
	s_inst_prefetch 0x1
	.p2align	6
.LBB30_316:                             ; =>This Inner Loop Header: Depth=1
	s_waitcnt lgkmcnt(0)
	v_cmp_gt_f64_e32 vcc_lo, 0, v[68:69]
	v_cmp_gt_f64_e64 s0, 0, v[66:67]
	ds_read2_b64 v[81:84], v1 offset1:1
	v_xor_b32_e32 v76, 0x80000000, v67
	v_xor_b32_e32 v86, 0x80000000, v69
	v_mov_b32_e32 v75, v66
	v_mov_b32_e32 v85, v68
	v_add_nc_u32_e32 v1, 16, v1
	s_waitcnt lgkmcnt(0)
	v_xor_b32_e32 v88, 0x80000000, v84
	v_cndmask_b32_e64 v76, v67, v76, s0
	v_cndmask_b32_e32 v86, v69, v86, vcc_lo
	v_cmp_gt_f64_e32 vcc_lo, 0, v[83:84]
	v_cmp_gt_f64_e64 s0, 0, v[81:82]
	v_mov_b32_e32 v87, v83
	v_add_f64 v[75:76], v[75:76], v[85:86]
	v_xor_b32_e32 v86, 0x80000000, v82
	v_mov_b32_e32 v85, v81
	v_cndmask_b32_e32 v88, v84, v88, vcc_lo
	v_cndmask_b32_e64 v86, v82, v86, s0
	v_add_f64 v[85:86], v[85:86], v[87:88]
	v_cmp_lt_f64_e32 vcc_lo, v[75:76], v[85:86]
	v_cndmask_b32_e32 v67, v67, v82, vcc_lo
	v_cndmask_b32_e32 v66, v66, v81, vcc_lo
	;; [unrolled: 1-line block ×4, first 2 shown]
	v_cndmask_b32_e64 v74, v74, s1, vcc_lo
	s_add_i32 s1, s1, 1
	s_cmp_lg_u32 s18, s1
	s_cbranch_scc1 .LBB30_316
.LBB30_317:
	s_inst_prefetch 0x2
	s_waitcnt lgkmcnt(0)
	v_cmp_eq_f64_e32 vcc_lo, 0, v[66:67]
	v_cmp_eq_f64_e64 s0, 0, v[68:69]
	s_and_b32 s0, vcc_lo, s0
	s_and_saveexec_b32 s1, s0
	s_xor_b32 s0, exec_lo, s1
; %bb.318:
	v_cmp_ne_u32_e32 vcc_lo, 0, v79
	v_cndmask_b32_e32 v79, 16, v79, vcc_lo
; %bb.319:
	s_andn2_saveexec_b32 s0, s0
	s_cbranch_execz .LBB30_325
; %bb.320:
	v_cmp_ngt_f64_e64 s1, |v[66:67]|, |v[68:69]|
	s_and_saveexec_b32 s2, s1
	s_xor_b32 s1, exec_lo, s2
	s_cbranch_execz .LBB30_322
; %bb.321:
	v_div_scale_f64 v[75:76], null, v[68:69], v[68:69], v[66:67]
	v_div_scale_f64 v[85:86], vcc_lo, v[66:67], v[68:69], v[66:67]
	v_rcp_f64_e32 v[81:82], v[75:76]
	v_fma_f64 v[83:84], -v[75:76], v[81:82], 1.0
	v_fma_f64 v[81:82], v[81:82], v[83:84], v[81:82]
	v_fma_f64 v[83:84], -v[75:76], v[81:82], 1.0
	v_fma_f64 v[81:82], v[81:82], v[83:84], v[81:82]
	v_mul_f64 v[83:84], v[85:86], v[81:82]
	v_fma_f64 v[75:76], -v[75:76], v[83:84], v[85:86]
	v_div_fmas_f64 v[75:76], v[75:76], v[81:82], v[83:84]
	v_div_fixup_f64 v[75:76], v[75:76], v[68:69], v[66:67]
	v_fma_f64 v[66:67], v[66:67], v[75:76], v[68:69]
	v_div_scale_f64 v[68:69], null, v[66:67], v[66:67], 1.0
	v_rcp_f64_e32 v[81:82], v[68:69]
	v_fma_f64 v[83:84], -v[68:69], v[81:82], 1.0
	v_fma_f64 v[81:82], v[81:82], v[83:84], v[81:82]
	v_fma_f64 v[83:84], -v[68:69], v[81:82], 1.0
	v_fma_f64 v[81:82], v[81:82], v[83:84], v[81:82]
	v_div_scale_f64 v[83:84], vcc_lo, 1.0, v[66:67], 1.0
	v_mul_f64 v[85:86], v[83:84], v[81:82]
	v_fma_f64 v[68:69], -v[68:69], v[85:86], v[83:84]
	v_div_fmas_f64 v[68:69], v[68:69], v[81:82], v[85:86]
	v_div_fixup_f64 v[68:69], v[68:69], v[66:67], 1.0
	v_mul_f64 v[66:67], v[75:76], v[68:69]
	v_xor_b32_e32 v69, 0x80000000, v69
.LBB30_322:
	s_andn2_saveexec_b32 s1, s1
	s_cbranch_execz .LBB30_324
; %bb.323:
	v_div_scale_f64 v[75:76], null, v[66:67], v[66:67], v[68:69]
	v_div_scale_f64 v[85:86], vcc_lo, v[68:69], v[66:67], v[68:69]
	v_rcp_f64_e32 v[81:82], v[75:76]
	v_fma_f64 v[83:84], -v[75:76], v[81:82], 1.0
	v_fma_f64 v[81:82], v[81:82], v[83:84], v[81:82]
	v_fma_f64 v[83:84], -v[75:76], v[81:82], 1.0
	v_fma_f64 v[81:82], v[81:82], v[83:84], v[81:82]
	v_mul_f64 v[83:84], v[85:86], v[81:82]
	v_fma_f64 v[75:76], -v[75:76], v[83:84], v[85:86]
	v_div_fmas_f64 v[75:76], v[75:76], v[81:82], v[83:84]
	v_div_fixup_f64 v[75:76], v[75:76], v[66:67], v[68:69]
	v_fma_f64 v[66:67], v[68:69], v[75:76], v[66:67]
	v_div_scale_f64 v[68:69], null, v[66:67], v[66:67], 1.0
	v_rcp_f64_e32 v[81:82], v[68:69]
	v_fma_f64 v[83:84], -v[68:69], v[81:82], 1.0
	v_fma_f64 v[81:82], v[81:82], v[83:84], v[81:82]
	v_fma_f64 v[83:84], -v[68:69], v[81:82], 1.0
	v_fma_f64 v[81:82], v[81:82], v[83:84], v[81:82]
	v_div_scale_f64 v[83:84], vcc_lo, 1.0, v[66:67], 1.0
	v_mul_f64 v[85:86], v[83:84], v[81:82]
	v_fma_f64 v[68:69], -v[68:69], v[85:86], v[83:84]
	v_div_fmas_f64 v[68:69], v[68:69], v[81:82], v[85:86]
	v_div_fixup_f64 v[66:67], v[68:69], v[66:67], 1.0
	v_mul_f64 v[68:69], v[75:76], -v[66:67]
.LBB30_324:
	s_or_b32 exec_lo, exec_lo, s1
.LBB30_325:
	s_or_b32 exec_lo, exec_lo, s0
	v_mov_b32_e32 v75, 15
	s_mov_b32 s0, exec_lo
	v_cmpx_ne_u32_e64 v80, v74
	s_cbranch_execz .LBB30_331
; %bb.326:
	s_mov_b32 s1, exec_lo
	v_cmpx_eq_u32_e32 15, v80
	s_cbranch_execz .LBB30_330
; %bb.327:
	v_cmp_ne_u32_e32 vcc_lo, 15, v74
	s_xor_b32 s2, s16, -1
	s_and_b32 s3, s2, vcc_lo
	s_and_saveexec_b32 s2, s3
	s_cbranch_execz .LBB30_329
; %bb.328:
	v_ashrrev_i32_e32 v75, 31, v74
	v_lshlrev_b64 v[0:1], 2, v[74:75]
	v_add_co_u32 v0, vcc_lo, v72, v0
	v_add_co_ci_u32_e64 v1, null, v73, v1, vcc_lo
	s_clause 0x1
	global_load_dword v75, v[0:1], off
	global_load_dword v76, v[72:73], off offset:60
	s_waitcnt vmcnt(1)
	global_store_dword v[72:73], v75, off offset:60
	s_waitcnt vmcnt(0)
	global_store_dword v[0:1], v76, off
.LBB30_329:
	s_or_b32 exec_lo, exec_lo, s2
	v_mov_b32_e32 v80, v74
	v_mov_b32_e32 v0, v74
.LBB30_330:
	s_or_b32 exec_lo, exec_lo, s1
	v_mov_b32_e32 v75, v80
.LBB30_331:
	s_or_b32 exec_lo, exec_lo, s0
	s_mov_b32 s0, exec_lo
	s_waitcnt_vscnt null, 0x0
	s_barrier
	buffer_gl0_inv
	v_cmpx_lt_i32_e32 15, v75
	s_cbranch_execz .LBB30_333
; %bb.332:
	v_mul_f64 v[72:73], v[68:69], v[4:5]
	v_mul_f64 v[4:5], v[66:67], v[4:5]
	v_fma_f64 v[66:67], v[66:67], v[2:3], -v[72:73]
	v_fma_f64 v[4:5], v[68:69], v[2:3], v[4:5]
	v_mov_b32_e32 v2, v66
	v_mov_b32_e32 v3, v67
.LBB30_333:
	s_or_b32 exec_lo, exec_lo, s0
	v_ashrrev_i32_e32 v76, 31, v75
	s_mov_b32 s0, exec_lo
	s_barrier
	buffer_gl0_inv
	v_cmpx_gt_i32_e32 16, v75
	s_cbranch_execz .LBB30_335
; %bb.334:
	v_mul_lo_u32 v1, s15, v70
	v_mul_lo_u32 v68, s14, v71
	v_mad_u64_u32 v[66:67], null, s14, v70, 0
	s_lshl_b64 s[2:3], s[12:13], 2
	v_add3_u32 v0, v0, s17, 1
	v_add3_u32 v67, v67, v68, v1
	v_lshlrev_b64 v[66:67], 2, v[66:67]
	v_add_co_u32 v1, vcc_lo, s10, v66
	v_add_co_ci_u32_e64 v68, null, s11, v67, vcc_lo
	v_lshlrev_b64 v[66:67], 2, v[75:76]
	v_add_co_u32 v1, vcc_lo, v1, s2
	v_add_co_ci_u32_e64 v68, null, s3, v68, vcc_lo
	v_add_co_u32 v66, vcc_lo, v1, v66
	v_add_co_ci_u32_e64 v67, null, v68, v67, vcc_lo
	global_store_dword v[66:67], v0, off
.LBB30_335:
	s_or_b32 exec_lo, exec_lo, s0
	s_mov_b32 s1, exec_lo
	v_cmpx_eq_u32_e32 0, v75
	s_cbranch_execz .LBB30_338
; %bb.336:
	v_lshlrev_b64 v[0:1], 2, v[70:71]
	v_cmp_ne_u32_e64 s0, 0, v79
	v_add_co_u32 v0, vcc_lo, s4, v0
	v_add_co_ci_u32_e64 v1, null, s5, v1, vcc_lo
	global_load_dword v66, v[0:1], off
	s_waitcnt vmcnt(0)
	v_cmp_eq_u32_e32 vcc_lo, 0, v66
	s_and_b32 s0, vcc_lo, s0
	s_and_b32 exec_lo, exec_lo, s0
	s_cbranch_execz .LBB30_338
; %bb.337:
	v_add_nc_u32_e32 v66, s17, v79
	global_store_dword v[0:1], v66, off
.LBB30_338:
	s_or_b32 exec_lo, exec_lo, s1
	v_add3_u32 v0, s6, s6, v75
	v_lshlrev_b64 v[66:67], 4, v[75:76]
	v_add_nc_u32_e32 v68, s6, v0
	v_ashrrev_i32_e32 v1, 31, v0
	v_add_co_u32 v66, vcc_lo, v77, v66
	v_add_co_ci_u32_e64 v67, null, v78, v67, vcc_lo
	v_ashrrev_i32_e32 v69, 31, v68
	v_lshlrev_b64 v[0:1], 4, v[0:1]
	global_store_dwordx4 v[66:67], v[62:65], off
	v_add_co_u32 v62, vcc_lo, v66, s8
	v_lshlrev_b64 v[64:65], 4, v[68:69]
	v_add_nc_u32_e32 v66, s6, v68
	v_add_co_ci_u32_e64 v63, null, s9, v67, vcc_lo
	v_add_co_u32 v0, vcc_lo, v77, v0
	v_add_co_ci_u32_e64 v1, null, v78, v1, vcc_lo
	v_add_co_u32 v64, vcc_lo, v77, v64
	v_add_nc_u32_e32 v68, s6, v66
	v_add_co_ci_u32_e64 v65, null, v78, v65, vcc_lo
	v_ashrrev_i32_e32 v67, 31, v66
	global_store_dwordx4 v[62:63], v[58:61], off
	global_store_dwordx4 v[0:1], v[54:57], off
	global_store_dwordx4 v[64:65], v[50:53], off
	v_add_nc_u32_e32 v50, s6, v68
	v_ashrrev_i32_e32 v69, 31, v68
	v_lshlrev_b64 v[58:59], 4, v[66:67]
	v_add_nc_u32_e32 v54, s6, v50
	v_lshlrev_b64 v[0:1], 4, v[68:69]
	v_ashrrev_i32_e32 v51, 31, v50
	v_add_co_u32 v52, vcc_lo, v77, v58
	v_add_nc_u32_e32 v56, s6, v54
	v_add_co_ci_u32_e64 v53, null, v78, v59, vcc_lo
	v_add_co_u32 v0, vcc_lo, v77, v0
	v_ashrrev_i32_e32 v55, 31, v54
	v_add_co_ci_u32_e64 v1, null, v78, v1, vcc_lo
	v_ashrrev_i32_e32 v57, 31, v56
	v_lshlrev_b64 v[50:51], 4, v[50:51]
	global_store_dwordx4 v[52:53], v[42:45], off
	global_store_dwordx4 v[0:1], v[38:41], off
	v_lshlrev_b64 v[0:1], 4, v[54:55]
	v_add_nc_u32_e32 v42, s6, v56
	v_lshlrev_b64 v[40:41], 4, v[56:57]
	v_add_co_u32 v38, vcc_lo, v77, v50
	v_add_co_ci_u32_e64 v39, null, v78, v51, vcc_lo
	v_add_co_u32 v0, vcc_lo, v77, v0
	v_add_nc_u32_e32 v44, s6, v42
	v_add_co_ci_u32_e64 v1, null, v78, v1, vcc_lo
	v_ashrrev_i32_e32 v43, 31, v42
	v_add_co_u32 v40, vcc_lo, v77, v40
	v_add_co_ci_u32_e64 v41, null, v78, v41, vcc_lo
	v_ashrrev_i32_e32 v45, 31, v44
	global_store_dwordx4 v[38:39], v[34:37], off
	v_lshlrev_b64 v[34:35], 4, v[42:43]
	global_store_dwordx4 v[0:1], v[30:33], off
	global_store_dwordx4 v[40:41], v[46:49], off
	v_add_nc_u32_e32 v30, s6, v44
	v_lshlrev_b64 v[0:1], 4, v[44:45]
	v_add_co_u32 v32, vcc_lo, v77, v34
	v_add_nc_u32_e32 v34, s6, v30
	v_add_co_ci_u32_e64 v33, null, v78, v35, vcc_lo
	v_add_co_u32 v0, vcc_lo, v77, v0
	v_add_co_ci_u32_e64 v1, null, v78, v1, vcc_lo
	v_add_nc_u32_e32 v36, s6, v34
	v_ashrrev_i32_e32 v31, 31, v30
	global_store_dwordx4 v[32:33], v[26:29], off
	global_store_dwordx4 v[0:1], v[22:25], off
	v_ashrrev_i32_e32 v35, 31, v34
	v_add_nc_u32_e32 v22, s6, v36
	v_lshlrev_b64 v[26:27], 4, v[30:31]
	v_ashrrev_i32_e32 v37, 31, v36
	v_lshlrev_b64 v[0:1], 4, v[34:35]
	v_add_nc_u32_e32 v28, s6, v22
	v_ashrrev_i32_e32 v23, 31, v22
	v_add_co_u32 v24, vcc_lo, v77, v26
	v_add_co_ci_u32_e64 v25, null, v78, v27, vcc_lo
	v_ashrrev_i32_e32 v29, 31, v28
	v_lshlrev_b64 v[26:27], 4, v[36:37]
	v_lshlrev_b64 v[22:23], 4, v[22:23]
	v_add_co_u32 v0, vcc_lo, v77, v0
	v_lshlrev_b64 v[28:29], 4, v[28:29]
	v_add_co_ci_u32_e64 v1, null, v78, v1, vcc_lo
	v_add_co_u32 v26, vcc_lo, v77, v26
	v_add_co_ci_u32_e64 v27, null, v78, v27, vcc_lo
	v_add_co_u32 v22, vcc_lo, v77, v22
	;; [unrolled: 2-line block ×3, first 2 shown]
	v_add_co_ci_u32_e64 v29, null, v78, v29, vcc_lo
	global_store_dwordx4 v[24:25], v[18:21], off
	global_store_dwordx4 v[0:1], v[14:17], off
	;; [unrolled: 1-line block ×5, first 2 shown]
.LBB30_339:
	s_endpgm
	.section	.rodata,"a",@progbits
	.p2align	6, 0x0
	.amdhsa_kernel _ZN9rocsolver6v33100L18getf2_small_kernelILi16E19rocblas_complex_numIdEiiPS3_EEvT1_T3_lS5_lPS5_llPT2_S5_S5_S7_l
		.amdhsa_group_segment_fixed_size 0
		.amdhsa_private_segment_fixed_size 0
		.amdhsa_kernarg_size 352
		.amdhsa_user_sgpr_count 6
		.amdhsa_user_sgpr_private_segment_buffer 1
		.amdhsa_user_sgpr_dispatch_ptr 0
		.amdhsa_user_sgpr_queue_ptr 0
		.amdhsa_user_sgpr_kernarg_segment_ptr 1
		.amdhsa_user_sgpr_dispatch_id 0
		.amdhsa_user_sgpr_flat_scratch_init 0
		.amdhsa_user_sgpr_private_segment_size 0
		.amdhsa_wavefront_size32 1
		.amdhsa_uses_dynamic_stack 0
		.amdhsa_system_sgpr_private_segment_wavefront_offset 0
		.amdhsa_system_sgpr_workgroup_id_x 1
		.amdhsa_system_sgpr_workgroup_id_y 1
		.amdhsa_system_sgpr_workgroup_id_z 0
		.amdhsa_system_sgpr_workgroup_info 0
		.amdhsa_system_vgpr_workitem_id 1
		.amdhsa_next_free_vgpr 92
		.amdhsa_next_free_sgpr 19
		.amdhsa_reserve_vcc 1
		.amdhsa_reserve_flat_scratch 0
		.amdhsa_float_round_mode_32 0
		.amdhsa_float_round_mode_16_64 0
		.amdhsa_float_denorm_mode_32 3
		.amdhsa_float_denorm_mode_16_64 3
		.amdhsa_dx10_clamp 1
		.amdhsa_ieee_mode 1
		.amdhsa_fp16_overflow 0
		.amdhsa_workgroup_processor_mode 1
		.amdhsa_memory_ordered 1
		.amdhsa_forward_progress 1
		.amdhsa_shared_vgpr_count 0
		.amdhsa_exception_fp_ieee_invalid_op 0
		.amdhsa_exception_fp_denorm_src 0
		.amdhsa_exception_fp_ieee_div_zero 0
		.amdhsa_exception_fp_ieee_overflow 0
		.amdhsa_exception_fp_ieee_underflow 0
		.amdhsa_exception_fp_ieee_inexact 0
		.amdhsa_exception_int_div_zero 0
	.end_amdhsa_kernel
	.section	.text._ZN9rocsolver6v33100L18getf2_small_kernelILi16E19rocblas_complex_numIdEiiPS3_EEvT1_T3_lS5_lPS5_llPT2_S5_S5_S7_l,"axG",@progbits,_ZN9rocsolver6v33100L18getf2_small_kernelILi16E19rocblas_complex_numIdEiiPS3_EEvT1_T3_lS5_lPS5_llPT2_S5_S5_S7_l,comdat
.Lfunc_end30:
	.size	_ZN9rocsolver6v33100L18getf2_small_kernelILi16E19rocblas_complex_numIdEiiPS3_EEvT1_T3_lS5_lPS5_llPT2_S5_S5_S7_l, .Lfunc_end30-_ZN9rocsolver6v33100L18getf2_small_kernelILi16E19rocblas_complex_numIdEiiPS3_EEvT1_T3_lS5_lPS5_llPT2_S5_S5_S7_l
                                        ; -- End function
	.set _ZN9rocsolver6v33100L18getf2_small_kernelILi16E19rocblas_complex_numIdEiiPS3_EEvT1_T3_lS5_lPS5_llPT2_S5_S5_S7_l.num_vgpr, 92
	.set _ZN9rocsolver6v33100L18getf2_small_kernelILi16E19rocblas_complex_numIdEiiPS3_EEvT1_T3_lS5_lPS5_llPT2_S5_S5_S7_l.num_agpr, 0
	.set _ZN9rocsolver6v33100L18getf2_small_kernelILi16E19rocblas_complex_numIdEiiPS3_EEvT1_T3_lS5_lPS5_llPT2_S5_S5_S7_l.numbered_sgpr, 19
	.set _ZN9rocsolver6v33100L18getf2_small_kernelILi16E19rocblas_complex_numIdEiiPS3_EEvT1_T3_lS5_lPS5_llPT2_S5_S5_S7_l.num_named_barrier, 0
	.set _ZN9rocsolver6v33100L18getf2_small_kernelILi16E19rocblas_complex_numIdEiiPS3_EEvT1_T3_lS5_lPS5_llPT2_S5_S5_S7_l.private_seg_size, 0
	.set _ZN9rocsolver6v33100L18getf2_small_kernelILi16E19rocblas_complex_numIdEiiPS3_EEvT1_T3_lS5_lPS5_llPT2_S5_S5_S7_l.uses_vcc, 1
	.set _ZN9rocsolver6v33100L18getf2_small_kernelILi16E19rocblas_complex_numIdEiiPS3_EEvT1_T3_lS5_lPS5_llPT2_S5_S5_S7_l.uses_flat_scratch, 0
	.set _ZN9rocsolver6v33100L18getf2_small_kernelILi16E19rocblas_complex_numIdEiiPS3_EEvT1_T3_lS5_lPS5_llPT2_S5_S5_S7_l.has_dyn_sized_stack, 0
	.set _ZN9rocsolver6v33100L18getf2_small_kernelILi16E19rocblas_complex_numIdEiiPS3_EEvT1_T3_lS5_lPS5_llPT2_S5_S5_S7_l.has_recursion, 0
	.set _ZN9rocsolver6v33100L18getf2_small_kernelILi16E19rocblas_complex_numIdEiiPS3_EEvT1_T3_lS5_lPS5_llPT2_S5_S5_S7_l.has_indirect_call, 0
	.section	.AMDGPU.csdata,"",@progbits
; Kernel info:
; codeLenInByte = 25648
; TotalNumSgprs: 21
; NumVgprs: 92
; ScratchSize: 0
; MemoryBound: 0
; FloatMode: 240
; IeeeMode: 1
; LDSByteSize: 0 bytes/workgroup (compile time only)
; SGPRBlocks: 0
; VGPRBlocks: 11
; NumSGPRsForWavesPerEU: 21
; NumVGPRsForWavesPerEU: 92
; Occupancy: 10
; WaveLimiterHint : 0
; COMPUTE_PGM_RSRC2:SCRATCH_EN: 0
; COMPUTE_PGM_RSRC2:USER_SGPR: 6
; COMPUTE_PGM_RSRC2:TRAP_HANDLER: 0
; COMPUTE_PGM_RSRC2:TGID_X_EN: 1
; COMPUTE_PGM_RSRC2:TGID_Y_EN: 1
; COMPUTE_PGM_RSRC2:TGID_Z_EN: 0
; COMPUTE_PGM_RSRC2:TIDIG_COMP_CNT: 1
	.section	.text._ZN9rocsolver6v33100L23getf2_npvt_small_kernelILi16E19rocblas_complex_numIdEiiPS3_EEvT1_T3_lS5_lPT2_S5_S5_,"axG",@progbits,_ZN9rocsolver6v33100L23getf2_npvt_small_kernelILi16E19rocblas_complex_numIdEiiPS3_EEvT1_T3_lS5_lPT2_S5_S5_,comdat
	.globl	_ZN9rocsolver6v33100L23getf2_npvt_small_kernelILi16E19rocblas_complex_numIdEiiPS3_EEvT1_T3_lS5_lPT2_S5_S5_ ; -- Begin function _ZN9rocsolver6v33100L23getf2_npvt_small_kernelILi16E19rocblas_complex_numIdEiiPS3_EEvT1_T3_lS5_lPT2_S5_S5_
	.p2align	8
	.type	_ZN9rocsolver6v33100L23getf2_npvt_small_kernelILi16E19rocblas_complex_numIdEiiPS3_EEvT1_T3_lS5_lPT2_S5_S5_,@function
_ZN9rocsolver6v33100L23getf2_npvt_small_kernelILi16E19rocblas_complex_numIdEiiPS3_EEvT1_T3_lS5_lPT2_S5_S5_: ; @_ZN9rocsolver6v33100L23getf2_npvt_small_kernelILi16E19rocblas_complex_numIdEiiPS3_EEvT1_T3_lS5_lPT2_S5_S5_
; %bb.0:
	s_clause 0x1
	s_load_dword s0, s[4:5], 0x44
	s_load_dwordx2 s[12:13], s[4:5], 0x30
	s_waitcnt lgkmcnt(0)
	s_lshr_b32 s14, s0, 16
	s_mov_b32 s0, exec_lo
	v_mad_u64_u32 v[148:149], null, s7, s14, v[1:2]
	v_cmpx_gt_i32_e64 s12, v148
	s_cbranch_execz .LBB31_149
; %bb.1:
	s_clause 0x2
	s_load_dwordx4 s[8:11], s[4:5], 0x20
	s_load_dword s6, s[4:5], 0x18
	s_load_dwordx4 s[0:3], s[4:5], 0x8
	v_ashrrev_i32_e32 v149, 31, v148
	v_lshlrev_b32_e32 v12, 4, v0
	v_lshlrev_b32_e32 v66, 4, v1
	v_lshl_add_u32 v164, v1, 8, 0
	s_waitcnt lgkmcnt(0)
	v_mul_lo_u32 v5, s9, v148
	v_mul_lo_u32 v7, s8, v149
	v_mad_u64_u32 v[2:3], null, s8, v148, 0
	v_add3_u32 v4, s6, s6, v0
	s_lshl_b64 s[2:3], s[2:3], 4
	s_ashr_i32 s7, s6, 31
	s_lshl_b64 s[4:5], s[6:7], 4
	v_add_nc_u32_e32 v6, s6, v4
	v_add3_u32 v3, v3, v7, v5
	v_ashrrev_i32_e32 v5, 31, v4
	v_add_nc_u32_e32 v8, s6, v6
	v_lshlrev_b64 v[2:3], 4, v[2:3]
	v_ashrrev_i32_e32 v7, 31, v6
	v_lshlrev_b64 v[4:5], 4, v[4:5]
	v_add_nc_u32_e32 v10, s6, v8
	v_ashrrev_i32_e32 v9, 31, v8
	v_add_co_u32 v2, vcc_lo, s0, v2
	v_add_co_ci_u32_e64 v3, null, s1, v3, vcc_lo
	v_lshlrev_b64 v[6:7], 4, v[6:7]
	v_add_co_u32 v26, vcc_lo, v2, s2
	v_add_co_ci_u32_e64 v27, null, s3, v3, vcc_lo
	v_add_nc_u32_e32 v20, s6, v10
	v_add_co_u32 v134, vcc_lo, v26, v12
	v_lshlrev_b64 v[18:19], 4, v[8:9]
	v_ashrrev_i32_e32 v11, 31, v10
	v_add_co_ci_u32_e64 v135, null, 0, v27, vcc_lo
	v_add_co_u32 v132, vcc_lo, v26, v4
	v_add_co_ci_u32_e64 v133, null, v27, v5, vcc_lo
	v_add_co_u32 v130, vcc_lo, v26, v6
	v_ashrrev_i32_e32 v21, 31, v20
	v_add_nc_u32_e32 v24, s6, v20
	v_add_co_ci_u32_e64 v131, null, v27, v7, vcc_lo
	v_add_co_u32 v136, vcc_lo, v134, s4
	v_lshlrev_b64 v[22:23], 4, v[10:11]
	v_add_co_ci_u32_e64 v137, null, s5, v135, vcc_lo
	v_add_co_u32 v138, vcc_lo, v26, v18
	v_add_co_ci_u32_e64 v139, null, v27, v19, vcc_lo
	v_lshlrev_b64 v[18:19], 4, v[20:21]
	v_ashrrev_i32_e32 v25, 31, v24
	v_add_nc_u32_e32 v20, s6, v24
	v_add_co_u32 v140, vcc_lo, v26, v22
	v_add_co_ci_u32_e64 v141, null, v27, v23, vcc_lo
	v_lshlrev_b64 v[22:23], 4, v[24:25]
	v_ashrrev_i32_e32 v21, 31, v20
	v_add_nc_u32_e32 v24, s6, v20
	;; [unrolled: 5-line block ×7, first 2 shown]
	v_add_co_u32 v154, vcc_lo, v26, v22
	v_add_co_ci_u32_e64 v155, null, v27, v23, vcc_lo
	v_lshlrev_b64 v[22:23], 4, v[24:25]
	v_add_nc_u32_e32 v24, s6, v20
	v_ashrrev_i32_e32 v21, 31, v20
	v_add_co_u32 v160, vcc_lo, v26, v18
	v_add_co_ci_u32_e64 v161, null, v27, v19, vcc_lo
	v_ashrrev_i32_e32 v25, 31, v24
	v_lshlrev_b64 v[18:19], 4, v[20:21]
	v_add_co_u32 v156, vcc_lo, v26, v22
	v_add_co_ci_u32_e64 v157, null, v27, v23, vcc_lo
	v_lshlrev_b64 v[20:21], 4, v[24:25]
	v_add_co_u32 v158, vcc_lo, v26, v18
	v_add_co_ci_u32_e64 v159, null, v27, v19, vcc_lo
	s_clause 0x3
	global_load_dwordx4 v[6:9], v[132:133], off
	global_load_dwordx4 v[2:5], v[130:131], off
	;; [unrolled: 1-line block ×4, first 2 shown]
	v_add_co_u32 v162, vcc_lo, v26, v20
	v_add_co_ci_u32_e64 v163, null, v27, v21, vcc_lo
	s_clause 0xb
	global_load_dwordx4 v[62:65], v[138:139], off
	global_load_dwordx4 v[58:61], v[140:141], off
	;; [unrolled: 1-line block ×12, first 2 shown]
	s_lshl_b32 s0, s14, 8
	v_cmp_ne_u32_e64 s1, 0, v0
	v_add3_u32 v1, 0, s0, v66
	v_cmp_eq_u32_e64 s0, 0, v0
	s_and_saveexec_b32 s3, s0
	s_cbranch_execz .LBB31_8
; %bb.2:
	s_waitcnt vmcnt(13)
	ds_write2_b64 v1, v[14:15], v[16:17] offset1:1
	s_waitcnt vmcnt(12)
	ds_write2_b64 v164, v[10:11], v[12:13] offset0:2 offset1:3
	ds_write2_b64 v164, v[6:7], v[8:9] offset0:4 offset1:5
	;; [unrolled: 1-line block ×3, first 2 shown]
	s_waitcnt vmcnt(11)
	ds_write2_b64 v164, v[62:63], v[64:65] offset0:8 offset1:9
	s_waitcnt vmcnt(10)
	ds_write2_b64 v164, v[58:59], v[60:61] offset0:10 offset1:11
	;; [unrolled: 2-line block ×12, first 2 shown]
	ds_read2_b64 v[66:69], v1 offset1:1
	s_waitcnt lgkmcnt(0)
	v_cmp_neq_f64_e32 vcc_lo, 0, v[66:67]
	v_cmp_neq_f64_e64 s2, 0, v[68:69]
	s_or_b32 s2, vcc_lo, s2
	s_and_b32 exec_lo, exec_lo, s2
	s_cbranch_execz .LBB31_8
; %bb.3:
	v_cmp_ngt_f64_e64 s2, |v[66:67]|, |v[68:69]|
                                        ; implicit-def: $vgpr70_vgpr71
	s_and_saveexec_b32 s4, s2
	s_xor_b32 s2, exec_lo, s4
                                        ; implicit-def: $vgpr72_vgpr73
	s_cbranch_execz .LBB31_5
; %bb.4:
	v_div_scale_f64 v[70:71], null, v[68:69], v[68:69], v[66:67]
	v_div_scale_f64 v[76:77], vcc_lo, v[66:67], v[68:69], v[66:67]
	v_rcp_f64_e32 v[72:73], v[70:71]
	v_fma_f64 v[74:75], -v[70:71], v[72:73], 1.0
	v_fma_f64 v[72:73], v[72:73], v[74:75], v[72:73]
	v_fma_f64 v[74:75], -v[70:71], v[72:73], 1.0
	v_fma_f64 v[72:73], v[72:73], v[74:75], v[72:73]
	v_mul_f64 v[74:75], v[76:77], v[72:73]
	v_fma_f64 v[70:71], -v[70:71], v[74:75], v[76:77]
	v_div_fmas_f64 v[70:71], v[70:71], v[72:73], v[74:75]
	v_div_fixup_f64 v[70:71], v[70:71], v[68:69], v[66:67]
	v_fma_f64 v[66:67], v[66:67], v[70:71], v[68:69]
	v_div_scale_f64 v[68:69], null, v[66:67], v[66:67], 1.0
	v_rcp_f64_e32 v[72:73], v[68:69]
	v_fma_f64 v[74:75], -v[68:69], v[72:73], 1.0
	v_fma_f64 v[72:73], v[72:73], v[74:75], v[72:73]
	v_fma_f64 v[74:75], -v[68:69], v[72:73], 1.0
	v_fma_f64 v[72:73], v[72:73], v[74:75], v[72:73]
	v_div_scale_f64 v[74:75], vcc_lo, 1.0, v[66:67], 1.0
	v_mul_f64 v[76:77], v[74:75], v[72:73]
	v_fma_f64 v[68:69], -v[68:69], v[76:77], v[74:75]
	v_div_fmas_f64 v[68:69], v[68:69], v[72:73], v[76:77]
	v_div_fixup_f64 v[72:73], v[68:69], v[66:67], 1.0
                                        ; implicit-def: $vgpr66_vgpr67
	v_mul_f64 v[70:71], v[70:71], v[72:73]
	v_xor_b32_e32 v73, 0x80000000, v73
.LBB31_5:
	s_andn2_saveexec_b32 s2, s2
	s_cbranch_execz .LBB31_7
; %bb.6:
	v_div_scale_f64 v[70:71], null, v[66:67], v[66:67], v[68:69]
	v_div_scale_f64 v[76:77], vcc_lo, v[68:69], v[66:67], v[68:69]
	v_rcp_f64_e32 v[72:73], v[70:71]
	v_fma_f64 v[74:75], -v[70:71], v[72:73], 1.0
	v_fma_f64 v[72:73], v[72:73], v[74:75], v[72:73]
	v_fma_f64 v[74:75], -v[70:71], v[72:73], 1.0
	v_fma_f64 v[72:73], v[72:73], v[74:75], v[72:73]
	v_mul_f64 v[74:75], v[76:77], v[72:73]
	v_fma_f64 v[70:71], -v[70:71], v[74:75], v[76:77]
	v_div_fmas_f64 v[70:71], v[70:71], v[72:73], v[74:75]
	v_div_fixup_f64 v[72:73], v[70:71], v[66:67], v[68:69]
	v_fma_f64 v[66:67], v[68:69], v[72:73], v[66:67]
	v_div_scale_f64 v[68:69], null, v[66:67], v[66:67], 1.0
	v_rcp_f64_e32 v[70:71], v[68:69]
	v_fma_f64 v[74:75], -v[68:69], v[70:71], 1.0
	v_fma_f64 v[70:71], v[70:71], v[74:75], v[70:71]
	v_fma_f64 v[74:75], -v[68:69], v[70:71], 1.0
	v_fma_f64 v[70:71], v[70:71], v[74:75], v[70:71]
	v_div_scale_f64 v[74:75], vcc_lo, 1.0, v[66:67], 1.0
	v_mul_f64 v[76:77], v[74:75], v[70:71]
	v_fma_f64 v[68:69], -v[68:69], v[76:77], v[74:75]
	v_div_fmas_f64 v[68:69], v[68:69], v[70:71], v[76:77]
	v_div_fixup_f64 v[70:71], v[68:69], v[66:67], 1.0
	v_mul_f64 v[72:73], v[72:73], -v[70:71]
.LBB31_7:
	s_or_b32 exec_lo, exec_lo, s2
	ds_write2_b64 v1, v[70:71], v[72:73] offset1:1
.LBB31_8:
	s_or_b32 exec_lo, exec_lo, s3
	s_waitcnt vmcnt(0) lgkmcnt(0)
	s_barrier
	buffer_gl0_inv
	ds_read2_b64 v[66:69], v1 offset1:1
	s_and_saveexec_b32 s2, s1
	s_cbranch_execz .LBB31_10
; %bb.9:
	s_waitcnt lgkmcnt(0)
	v_mul_f64 v[70:71], v[66:67], v[16:17]
	v_mul_f64 v[16:17], v[68:69], v[16:17]
	v_fma_f64 v[165:166], v[68:69], v[14:15], v[70:71]
	ds_read2_b64 v[70:73], v164 offset0:2 offset1:3
	ds_read2_b64 v[74:77], v164 offset0:4 offset1:5
	;; [unrolled: 1-line block ×15, first 2 shown]
	v_fma_f64 v[14:15], v[66:67], v[14:15], -v[16:17]
	s_waitcnt lgkmcnt(14)
	v_mul_f64 v[16:17], v[72:73], v[165:166]
	v_mul_f64 v[167:168], v[70:71], v[165:166]
	s_waitcnt lgkmcnt(13)
	v_mul_f64 v[169:170], v[76:77], v[165:166]
	v_mul_f64 v[171:172], v[74:75], v[165:166]
	;; [unrolled: 3-line block ×15, first 2 shown]
	v_fma_f64 v[16:17], v[70:71], v[14:15], -v[16:17]
	v_fma_f64 v[70:71], v[72:73], v[14:15], v[167:168]
	v_fma_f64 v[72:73], v[74:75], v[14:15], -v[169:170]
	v_fma_f64 v[74:75], v[76:77], v[14:15], v[171:172]
	;; [unrolled: 2-line block ×15, first 2 shown]
	v_add_f64 v[10:11], v[10:11], -v[16:17]
	v_add_f64 v[12:13], v[12:13], -v[70:71]
	;; [unrolled: 1-line block ×30, first 2 shown]
	v_mov_b32_e32 v16, v165
	v_mov_b32_e32 v17, v166
.LBB31_10:
	s_or_b32 exec_lo, exec_lo, s2
	s_mov_b32 s2, exec_lo
	s_waitcnt lgkmcnt(0)
	s_barrier
	buffer_gl0_inv
	v_cmpx_eq_u32_e32 1, v0
	s_cbranch_execz .LBB31_17
; %bb.11:
	ds_write2_b64 v1, v[10:11], v[12:13] offset1:1
	ds_write2_b64 v164, v[6:7], v[8:9] offset0:4 offset1:5
	ds_write2_b64 v164, v[2:3], v[4:5] offset0:6 offset1:7
	ds_write2_b64 v164, v[62:63], v[64:65] offset0:8 offset1:9
	ds_write2_b64 v164, v[58:59], v[60:61] offset0:10 offset1:11
	ds_write2_b64 v164, v[54:55], v[56:57] offset0:12 offset1:13
	ds_write2_b64 v164, v[50:51], v[52:53] offset0:14 offset1:15
	ds_write2_b64 v164, v[46:47], v[48:49] offset0:16 offset1:17
	ds_write2_b64 v164, v[42:43], v[44:45] offset0:18 offset1:19
	ds_write2_b64 v164, v[38:39], v[40:41] offset0:20 offset1:21
	ds_write2_b64 v164, v[34:35], v[36:37] offset0:22 offset1:23
	ds_write2_b64 v164, v[30:31], v[32:33] offset0:24 offset1:25
	ds_write2_b64 v164, v[26:27], v[28:29] offset0:26 offset1:27
	ds_write2_b64 v164, v[22:23], v[24:25] offset0:28 offset1:29
	ds_write2_b64 v164, v[18:19], v[20:21] offset0:30 offset1:31
	ds_read2_b64 v[70:73], v1 offset1:1
	s_waitcnt lgkmcnt(0)
	v_cmp_neq_f64_e32 vcc_lo, 0, v[70:71]
	v_cmp_neq_f64_e64 s1, 0, v[72:73]
	s_or_b32 s1, vcc_lo, s1
	s_and_b32 exec_lo, exec_lo, s1
	s_cbranch_execz .LBB31_17
; %bb.12:
	v_cmp_ngt_f64_e64 s1, |v[70:71]|, |v[72:73]|
                                        ; implicit-def: $vgpr74_vgpr75
	s_and_saveexec_b32 s3, s1
	s_xor_b32 s1, exec_lo, s3
                                        ; implicit-def: $vgpr76_vgpr77
	s_cbranch_execz .LBB31_14
; %bb.13:
	v_div_scale_f64 v[74:75], null, v[72:73], v[72:73], v[70:71]
	v_div_scale_f64 v[80:81], vcc_lo, v[70:71], v[72:73], v[70:71]
	v_rcp_f64_e32 v[76:77], v[74:75]
	v_fma_f64 v[78:79], -v[74:75], v[76:77], 1.0
	v_fma_f64 v[76:77], v[76:77], v[78:79], v[76:77]
	v_fma_f64 v[78:79], -v[74:75], v[76:77], 1.0
	v_fma_f64 v[76:77], v[76:77], v[78:79], v[76:77]
	v_mul_f64 v[78:79], v[80:81], v[76:77]
	v_fma_f64 v[74:75], -v[74:75], v[78:79], v[80:81]
	v_div_fmas_f64 v[74:75], v[74:75], v[76:77], v[78:79]
	v_div_fixup_f64 v[74:75], v[74:75], v[72:73], v[70:71]
	v_fma_f64 v[70:71], v[70:71], v[74:75], v[72:73]
	v_div_scale_f64 v[72:73], null, v[70:71], v[70:71], 1.0
	v_rcp_f64_e32 v[76:77], v[72:73]
	v_fma_f64 v[78:79], -v[72:73], v[76:77], 1.0
	v_fma_f64 v[76:77], v[76:77], v[78:79], v[76:77]
	v_fma_f64 v[78:79], -v[72:73], v[76:77], 1.0
	v_fma_f64 v[76:77], v[76:77], v[78:79], v[76:77]
	v_div_scale_f64 v[78:79], vcc_lo, 1.0, v[70:71], 1.0
	v_mul_f64 v[80:81], v[78:79], v[76:77]
	v_fma_f64 v[72:73], -v[72:73], v[80:81], v[78:79]
	v_div_fmas_f64 v[72:73], v[72:73], v[76:77], v[80:81]
	v_div_fixup_f64 v[76:77], v[72:73], v[70:71], 1.0
                                        ; implicit-def: $vgpr70_vgpr71
	v_mul_f64 v[74:75], v[74:75], v[76:77]
	v_xor_b32_e32 v77, 0x80000000, v77
.LBB31_14:
	s_andn2_saveexec_b32 s1, s1
	s_cbranch_execz .LBB31_16
; %bb.15:
	v_div_scale_f64 v[74:75], null, v[70:71], v[70:71], v[72:73]
	v_div_scale_f64 v[80:81], vcc_lo, v[72:73], v[70:71], v[72:73]
	v_rcp_f64_e32 v[76:77], v[74:75]
	v_fma_f64 v[78:79], -v[74:75], v[76:77], 1.0
	v_fma_f64 v[76:77], v[76:77], v[78:79], v[76:77]
	v_fma_f64 v[78:79], -v[74:75], v[76:77], 1.0
	v_fma_f64 v[76:77], v[76:77], v[78:79], v[76:77]
	v_mul_f64 v[78:79], v[80:81], v[76:77]
	v_fma_f64 v[74:75], -v[74:75], v[78:79], v[80:81]
	v_div_fmas_f64 v[74:75], v[74:75], v[76:77], v[78:79]
	v_div_fixup_f64 v[76:77], v[74:75], v[70:71], v[72:73]
	v_fma_f64 v[70:71], v[72:73], v[76:77], v[70:71]
	v_div_scale_f64 v[72:73], null, v[70:71], v[70:71], 1.0
	v_rcp_f64_e32 v[74:75], v[72:73]
	v_fma_f64 v[78:79], -v[72:73], v[74:75], 1.0
	v_fma_f64 v[74:75], v[74:75], v[78:79], v[74:75]
	v_fma_f64 v[78:79], -v[72:73], v[74:75], 1.0
	v_fma_f64 v[74:75], v[74:75], v[78:79], v[74:75]
	v_div_scale_f64 v[78:79], vcc_lo, 1.0, v[70:71], 1.0
	v_mul_f64 v[80:81], v[78:79], v[74:75]
	v_fma_f64 v[72:73], -v[72:73], v[80:81], v[78:79]
	v_div_fmas_f64 v[72:73], v[72:73], v[74:75], v[80:81]
	v_div_fixup_f64 v[74:75], v[72:73], v[70:71], 1.0
	v_mul_f64 v[76:77], v[76:77], -v[74:75]
.LBB31_16:
	s_or_b32 exec_lo, exec_lo, s1
	ds_write2_b64 v1, v[74:75], v[76:77] offset1:1
.LBB31_17:
	s_or_b32 exec_lo, exec_lo, s2
	s_waitcnt lgkmcnt(0)
	s_barrier
	buffer_gl0_inv
	ds_read2_b64 v[70:73], v1 offset1:1
	s_mov_b32 s1, exec_lo
	v_cmpx_lt_u32_e32 1, v0
	s_cbranch_execz .LBB31_19
; %bb.18:
	s_waitcnt lgkmcnt(0)
	v_mul_f64 v[74:75], v[70:71], v[12:13]
	v_mul_f64 v[12:13], v[72:73], v[12:13]
	v_fma_f64 v[165:166], v[72:73], v[10:11], v[74:75]
	ds_read2_b64 v[74:77], v164 offset0:4 offset1:5
	ds_read2_b64 v[78:81], v164 offset0:6 offset1:7
	ds_read2_b64 v[82:85], v164 offset0:8 offset1:9
	ds_read2_b64 v[86:89], v164 offset0:10 offset1:11
	ds_read2_b64 v[90:93], v164 offset0:12 offset1:13
	ds_read2_b64 v[94:97], v164 offset0:14 offset1:15
	ds_read2_b64 v[98:101], v164 offset0:16 offset1:17
	ds_read2_b64 v[102:105], v164 offset0:18 offset1:19
	ds_read2_b64 v[106:109], v164 offset0:20 offset1:21
	ds_read2_b64 v[110:113], v164 offset0:22 offset1:23
	ds_read2_b64 v[114:117], v164 offset0:24 offset1:25
	ds_read2_b64 v[118:121], v164 offset0:26 offset1:27
	ds_read2_b64 v[122:125], v164 offset0:28 offset1:29
	ds_read2_b64 v[126:129], v164 offset0:30 offset1:31
	v_fma_f64 v[10:11], v[70:71], v[10:11], -v[12:13]
	s_waitcnt lgkmcnt(13)
	v_mul_f64 v[12:13], v[76:77], v[165:166]
	v_mul_f64 v[167:168], v[74:75], v[165:166]
	s_waitcnt lgkmcnt(12)
	v_mul_f64 v[169:170], v[80:81], v[165:166]
	v_mul_f64 v[171:172], v[78:79], v[165:166]
	s_waitcnt lgkmcnt(11)
	v_mul_f64 v[173:174], v[84:85], v[165:166]
	v_mul_f64 v[175:176], v[82:83], v[165:166]
	s_waitcnt lgkmcnt(10)
	v_mul_f64 v[177:178], v[88:89], v[165:166]
	v_mul_f64 v[179:180], v[86:87], v[165:166]
	s_waitcnt lgkmcnt(9)
	v_mul_f64 v[181:182], v[92:93], v[165:166]
	v_mul_f64 v[183:184], v[90:91], v[165:166]
	s_waitcnt lgkmcnt(8)
	v_mul_f64 v[185:186], v[96:97], v[165:166]
	v_mul_f64 v[187:188], v[94:95], v[165:166]
	s_waitcnt lgkmcnt(7)
	v_mul_f64 v[189:190], v[100:101], v[165:166]
	v_mul_f64 v[191:192], v[98:99], v[165:166]
	s_waitcnt lgkmcnt(6)
	v_mul_f64 v[193:194], v[104:105], v[165:166]
	v_mul_f64 v[195:196], v[102:103], v[165:166]
	s_waitcnt lgkmcnt(5)
	v_mul_f64 v[197:198], v[108:109], v[165:166]
	v_mul_f64 v[199:200], v[106:107], v[165:166]
	s_waitcnt lgkmcnt(4)
	v_mul_f64 v[201:202], v[112:113], v[165:166]
	v_mul_f64 v[203:204], v[110:111], v[165:166]
	s_waitcnt lgkmcnt(3)
	v_mul_f64 v[205:206], v[116:117], v[165:166]
	v_mul_f64 v[207:208], v[114:115], v[165:166]
	s_waitcnt lgkmcnt(2)
	v_mul_f64 v[209:210], v[120:121], v[165:166]
	v_mul_f64 v[211:212], v[118:119], v[165:166]
	s_waitcnt lgkmcnt(1)
	v_mul_f64 v[213:214], v[124:125], v[165:166]
	v_mul_f64 v[215:216], v[122:123], v[165:166]
	s_waitcnt lgkmcnt(0)
	v_mul_f64 v[217:218], v[128:129], v[165:166]
	v_mul_f64 v[219:220], v[126:127], v[165:166]
	v_fma_f64 v[12:13], v[74:75], v[10:11], -v[12:13]
	v_fma_f64 v[74:75], v[76:77], v[10:11], v[167:168]
	v_fma_f64 v[76:77], v[78:79], v[10:11], -v[169:170]
	v_fma_f64 v[78:79], v[80:81], v[10:11], v[171:172]
	;; [unrolled: 2-line block ×14, first 2 shown]
	v_add_f64 v[6:7], v[6:7], -v[12:13]
	v_add_f64 v[8:9], v[8:9], -v[74:75]
	v_add_f64 v[2:3], v[2:3], -v[76:77]
	v_add_f64 v[4:5], v[4:5], -v[78:79]
	v_add_f64 v[62:63], v[62:63], -v[80:81]
	v_add_f64 v[64:65], v[64:65], -v[82:83]
	v_add_f64 v[58:59], v[58:59], -v[84:85]
	v_add_f64 v[60:61], v[60:61], -v[86:87]
	v_add_f64 v[54:55], v[54:55], -v[88:89]
	v_add_f64 v[56:57], v[56:57], -v[90:91]
	v_add_f64 v[50:51], v[50:51], -v[92:93]
	v_add_f64 v[52:53], v[52:53], -v[94:95]
	v_add_f64 v[46:47], v[46:47], -v[96:97]
	v_add_f64 v[48:49], v[48:49], -v[98:99]
	v_add_f64 v[42:43], v[42:43], -v[100:101]
	v_add_f64 v[44:45], v[44:45], -v[102:103]
	v_add_f64 v[38:39], v[38:39], -v[104:105]
	v_add_f64 v[40:41], v[40:41], -v[106:107]
	v_add_f64 v[34:35], v[34:35], -v[108:109]
	v_add_f64 v[36:37], v[36:37], -v[110:111]
	v_add_f64 v[30:31], v[30:31], -v[112:113]
	v_add_f64 v[32:33], v[32:33], -v[114:115]
	v_add_f64 v[26:27], v[26:27], -v[116:117]
	v_add_f64 v[28:29], v[28:29], -v[118:119]
	v_add_f64 v[22:23], v[22:23], -v[120:121]
	v_add_f64 v[24:25], v[24:25], -v[122:123]
	v_add_f64 v[18:19], v[18:19], -v[124:125]
	v_add_f64 v[20:21], v[20:21], -v[126:127]
	v_mov_b32_e32 v12, v165
	v_mov_b32_e32 v13, v166
.LBB31_19:
	s_or_b32 exec_lo, exec_lo, s1
	s_mov_b32 s2, exec_lo
	s_waitcnt lgkmcnt(0)
	s_barrier
	buffer_gl0_inv
	v_cmpx_eq_u32_e32 2, v0
	s_cbranch_execz .LBB31_26
; %bb.20:
	ds_write2_b64 v1, v[6:7], v[8:9] offset1:1
	ds_write2_b64 v164, v[2:3], v[4:5] offset0:6 offset1:7
	ds_write2_b64 v164, v[62:63], v[64:65] offset0:8 offset1:9
	;; [unrolled: 1-line block ×13, first 2 shown]
	ds_read2_b64 v[74:77], v1 offset1:1
	s_waitcnt lgkmcnt(0)
	v_cmp_neq_f64_e32 vcc_lo, 0, v[74:75]
	v_cmp_neq_f64_e64 s1, 0, v[76:77]
	s_or_b32 s1, vcc_lo, s1
	s_and_b32 exec_lo, exec_lo, s1
	s_cbranch_execz .LBB31_26
; %bb.21:
	v_cmp_ngt_f64_e64 s1, |v[74:75]|, |v[76:77]|
                                        ; implicit-def: $vgpr78_vgpr79
	s_and_saveexec_b32 s3, s1
	s_xor_b32 s1, exec_lo, s3
                                        ; implicit-def: $vgpr80_vgpr81
	s_cbranch_execz .LBB31_23
; %bb.22:
	v_div_scale_f64 v[78:79], null, v[76:77], v[76:77], v[74:75]
	v_div_scale_f64 v[84:85], vcc_lo, v[74:75], v[76:77], v[74:75]
	v_rcp_f64_e32 v[80:81], v[78:79]
	v_fma_f64 v[82:83], -v[78:79], v[80:81], 1.0
	v_fma_f64 v[80:81], v[80:81], v[82:83], v[80:81]
	v_fma_f64 v[82:83], -v[78:79], v[80:81], 1.0
	v_fma_f64 v[80:81], v[80:81], v[82:83], v[80:81]
	v_mul_f64 v[82:83], v[84:85], v[80:81]
	v_fma_f64 v[78:79], -v[78:79], v[82:83], v[84:85]
	v_div_fmas_f64 v[78:79], v[78:79], v[80:81], v[82:83]
	v_div_fixup_f64 v[78:79], v[78:79], v[76:77], v[74:75]
	v_fma_f64 v[74:75], v[74:75], v[78:79], v[76:77]
	v_div_scale_f64 v[76:77], null, v[74:75], v[74:75], 1.0
	v_rcp_f64_e32 v[80:81], v[76:77]
	v_fma_f64 v[82:83], -v[76:77], v[80:81], 1.0
	v_fma_f64 v[80:81], v[80:81], v[82:83], v[80:81]
	v_fma_f64 v[82:83], -v[76:77], v[80:81], 1.0
	v_fma_f64 v[80:81], v[80:81], v[82:83], v[80:81]
	v_div_scale_f64 v[82:83], vcc_lo, 1.0, v[74:75], 1.0
	v_mul_f64 v[84:85], v[82:83], v[80:81]
	v_fma_f64 v[76:77], -v[76:77], v[84:85], v[82:83]
	v_div_fmas_f64 v[76:77], v[76:77], v[80:81], v[84:85]
	v_div_fixup_f64 v[80:81], v[76:77], v[74:75], 1.0
                                        ; implicit-def: $vgpr74_vgpr75
	v_mul_f64 v[78:79], v[78:79], v[80:81]
	v_xor_b32_e32 v81, 0x80000000, v81
.LBB31_23:
	s_andn2_saveexec_b32 s1, s1
	s_cbranch_execz .LBB31_25
; %bb.24:
	v_div_scale_f64 v[78:79], null, v[74:75], v[74:75], v[76:77]
	v_div_scale_f64 v[84:85], vcc_lo, v[76:77], v[74:75], v[76:77]
	v_rcp_f64_e32 v[80:81], v[78:79]
	v_fma_f64 v[82:83], -v[78:79], v[80:81], 1.0
	v_fma_f64 v[80:81], v[80:81], v[82:83], v[80:81]
	v_fma_f64 v[82:83], -v[78:79], v[80:81], 1.0
	v_fma_f64 v[80:81], v[80:81], v[82:83], v[80:81]
	v_mul_f64 v[82:83], v[84:85], v[80:81]
	v_fma_f64 v[78:79], -v[78:79], v[82:83], v[84:85]
	v_div_fmas_f64 v[78:79], v[78:79], v[80:81], v[82:83]
	v_div_fixup_f64 v[80:81], v[78:79], v[74:75], v[76:77]
	v_fma_f64 v[74:75], v[76:77], v[80:81], v[74:75]
	v_div_scale_f64 v[76:77], null, v[74:75], v[74:75], 1.0
	v_rcp_f64_e32 v[78:79], v[76:77]
	v_fma_f64 v[82:83], -v[76:77], v[78:79], 1.0
	v_fma_f64 v[78:79], v[78:79], v[82:83], v[78:79]
	v_fma_f64 v[82:83], -v[76:77], v[78:79], 1.0
	v_fma_f64 v[78:79], v[78:79], v[82:83], v[78:79]
	v_div_scale_f64 v[82:83], vcc_lo, 1.0, v[74:75], 1.0
	v_mul_f64 v[84:85], v[82:83], v[78:79]
	v_fma_f64 v[76:77], -v[76:77], v[84:85], v[82:83]
	v_div_fmas_f64 v[76:77], v[76:77], v[78:79], v[84:85]
	v_div_fixup_f64 v[78:79], v[76:77], v[74:75], 1.0
	v_mul_f64 v[80:81], v[80:81], -v[78:79]
.LBB31_25:
	s_or_b32 exec_lo, exec_lo, s1
	ds_write2_b64 v1, v[78:79], v[80:81] offset1:1
.LBB31_26:
	s_or_b32 exec_lo, exec_lo, s2
	s_waitcnt lgkmcnt(0)
	s_barrier
	buffer_gl0_inv
	ds_read2_b64 v[74:77], v1 offset1:1
	s_mov_b32 s1, exec_lo
	v_cmpx_lt_u32_e32 2, v0
	s_cbranch_execz .LBB31_28
; %bb.27:
	s_waitcnt lgkmcnt(0)
	v_mul_f64 v[78:79], v[74:75], v[8:9]
	v_mul_f64 v[8:9], v[76:77], v[8:9]
	v_fma_f64 v[165:166], v[76:77], v[6:7], v[78:79]
	ds_read2_b64 v[78:81], v164 offset0:6 offset1:7
	ds_read2_b64 v[82:85], v164 offset0:8 offset1:9
	;; [unrolled: 1-line block ×13, first 2 shown]
	v_fma_f64 v[6:7], v[74:75], v[6:7], -v[8:9]
	s_waitcnt lgkmcnt(12)
	v_mul_f64 v[8:9], v[80:81], v[165:166]
	v_mul_f64 v[167:168], v[78:79], v[165:166]
	s_waitcnt lgkmcnt(11)
	v_mul_f64 v[169:170], v[84:85], v[165:166]
	v_mul_f64 v[171:172], v[82:83], v[165:166]
	;; [unrolled: 3-line block ×13, first 2 shown]
	v_fma_f64 v[8:9], v[78:79], v[6:7], -v[8:9]
	v_fma_f64 v[78:79], v[80:81], v[6:7], v[167:168]
	v_fma_f64 v[80:81], v[82:83], v[6:7], -v[169:170]
	v_fma_f64 v[82:83], v[84:85], v[6:7], v[171:172]
	v_fma_f64 v[84:85], v[86:87], v[6:7], -v[173:174]
	v_fma_f64 v[86:87], v[88:89], v[6:7], v[175:176]
	v_fma_f64 v[88:89], v[90:91], v[6:7], -v[177:178]
	v_fma_f64 v[90:91], v[92:93], v[6:7], v[179:180]
	v_fma_f64 v[92:93], v[94:95], v[6:7], -v[181:182]
	v_fma_f64 v[94:95], v[96:97], v[6:7], v[183:184]
	v_fma_f64 v[96:97], v[98:99], v[6:7], -v[185:186]
	v_fma_f64 v[98:99], v[100:101], v[6:7], v[187:188]
	v_fma_f64 v[100:101], v[102:103], v[6:7], -v[189:190]
	v_fma_f64 v[102:103], v[104:105], v[6:7], v[191:192]
	v_fma_f64 v[104:105], v[106:107], v[6:7], -v[193:194]
	v_fma_f64 v[106:107], v[108:109], v[6:7], v[195:196]
	v_fma_f64 v[108:109], v[110:111], v[6:7], -v[197:198]
	v_fma_f64 v[110:111], v[112:113], v[6:7], v[199:200]
	v_fma_f64 v[112:113], v[114:115], v[6:7], -v[201:202]
	v_fma_f64 v[114:115], v[116:117], v[6:7], v[203:204]
	v_fma_f64 v[116:117], v[118:119], v[6:7], -v[205:206]
	v_fma_f64 v[118:119], v[120:121], v[6:7], v[207:208]
	v_fma_f64 v[120:121], v[122:123], v[6:7], -v[209:210]
	v_fma_f64 v[122:123], v[124:125], v[6:7], v[211:212]
	v_fma_f64 v[124:125], v[126:127], v[6:7], -v[213:214]
	v_fma_f64 v[126:127], v[128:129], v[6:7], v[215:216]
	v_add_f64 v[2:3], v[2:3], -v[8:9]
	v_add_f64 v[4:5], v[4:5], -v[78:79]
	;; [unrolled: 1-line block ×26, first 2 shown]
	v_mov_b32_e32 v8, v165
	v_mov_b32_e32 v9, v166
.LBB31_28:
	s_or_b32 exec_lo, exec_lo, s1
	s_mov_b32 s2, exec_lo
	s_waitcnt lgkmcnt(0)
	s_barrier
	buffer_gl0_inv
	v_cmpx_eq_u32_e32 3, v0
	s_cbranch_execz .LBB31_35
; %bb.29:
	ds_write2_b64 v1, v[2:3], v[4:5] offset1:1
	ds_write2_b64 v164, v[62:63], v[64:65] offset0:8 offset1:9
	ds_write2_b64 v164, v[58:59], v[60:61] offset0:10 offset1:11
	ds_write2_b64 v164, v[54:55], v[56:57] offset0:12 offset1:13
	ds_write2_b64 v164, v[50:51], v[52:53] offset0:14 offset1:15
	ds_write2_b64 v164, v[46:47], v[48:49] offset0:16 offset1:17
	ds_write2_b64 v164, v[42:43], v[44:45] offset0:18 offset1:19
	ds_write2_b64 v164, v[38:39], v[40:41] offset0:20 offset1:21
	ds_write2_b64 v164, v[34:35], v[36:37] offset0:22 offset1:23
	ds_write2_b64 v164, v[30:31], v[32:33] offset0:24 offset1:25
	ds_write2_b64 v164, v[26:27], v[28:29] offset0:26 offset1:27
	ds_write2_b64 v164, v[22:23], v[24:25] offset0:28 offset1:29
	ds_write2_b64 v164, v[18:19], v[20:21] offset0:30 offset1:31
	ds_read2_b64 v[78:81], v1 offset1:1
	s_waitcnt lgkmcnt(0)
	v_cmp_neq_f64_e32 vcc_lo, 0, v[78:79]
	v_cmp_neq_f64_e64 s1, 0, v[80:81]
	s_or_b32 s1, vcc_lo, s1
	s_and_b32 exec_lo, exec_lo, s1
	s_cbranch_execz .LBB31_35
; %bb.30:
	v_cmp_ngt_f64_e64 s1, |v[78:79]|, |v[80:81]|
                                        ; implicit-def: $vgpr82_vgpr83
	s_and_saveexec_b32 s3, s1
	s_xor_b32 s1, exec_lo, s3
                                        ; implicit-def: $vgpr84_vgpr85
	s_cbranch_execz .LBB31_32
; %bb.31:
	v_div_scale_f64 v[82:83], null, v[80:81], v[80:81], v[78:79]
	v_div_scale_f64 v[88:89], vcc_lo, v[78:79], v[80:81], v[78:79]
	v_rcp_f64_e32 v[84:85], v[82:83]
	v_fma_f64 v[86:87], -v[82:83], v[84:85], 1.0
	v_fma_f64 v[84:85], v[84:85], v[86:87], v[84:85]
	v_fma_f64 v[86:87], -v[82:83], v[84:85], 1.0
	v_fma_f64 v[84:85], v[84:85], v[86:87], v[84:85]
	v_mul_f64 v[86:87], v[88:89], v[84:85]
	v_fma_f64 v[82:83], -v[82:83], v[86:87], v[88:89]
	v_div_fmas_f64 v[82:83], v[82:83], v[84:85], v[86:87]
	v_div_fixup_f64 v[82:83], v[82:83], v[80:81], v[78:79]
	v_fma_f64 v[78:79], v[78:79], v[82:83], v[80:81]
	v_div_scale_f64 v[80:81], null, v[78:79], v[78:79], 1.0
	v_rcp_f64_e32 v[84:85], v[80:81]
	v_fma_f64 v[86:87], -v[80:81], v[84:85], 1.0
	v_fma_f64 v[84:85], v[84:85], v[86:87], v[84:85]
	v_fma_f64 v[86:87], -v[80:81], v[84:85], 1.0
	v_fma_f64 v[84:85], v[84:85], v[86:87], v[84:85]
	v_div_scale_f64 v[86:87], vcc_lo, 1.0, v[78:79], 1.0
	v_mul_f64 v[88:89], v[86:87], v[84:85]
	v_fma_f64 v[80:81], -v[80:81], v[88:89], v[86:87]
	v_div_fmas_f64 v[80:81], v[80:81], v[84:85], v[88:89]
	v_div_fixup_f64 v[84:85], v[80:81], v[78:79], 1.0
                                        ; implicit-def: $vgpr78_vgpr79
	v_mul_f64 v[82:83], v[82:83], v[84:85]
	v_xor_b32_e32 v85, 0x80000000, v85
.LBB31_32:
	s_andn2_saveexec_b32 s1, s1
	s_cbranch_execz .LBB31_34
; %bb.33:
	v_div_scale_f64 v[82:83], null, v[78:79], v[78:79], v[80:81]
	v_div_scale_f64 v[88:89], vcc_lo, v[80:81], v[78:79], v[80:81]
	v_rcp_f64_e32 v[84:85], v[82:83]
	v_fma_f64 v[86:87], -v[82:83], v[84:85], 1.0
	v_fma_f64 v[84:85], v[84:85], v[86:87], v[84:85]
	v_fma_f64 v[86:87], -v[82:83], v[84:85], 1.0
	v_fma_f64 v[84:85], v[84:85], v[86:87], v[84:85]
	v_mul_f64 v[86:87], v[88:89], v[84:85]
	v_fma_f64 v[82:83], -v[82:83], v[86:87], v[88:89]
	v_div_fmas_f64 v[82:83], v[82:83], v[84:85], v[86:87]
	v_div_fixup_f64 v[84:85], v[82:83], v[78:79], v[80:81]
	v_fma_f64 v[78:79], v[80:81], v[84:85], v[78:79]
	v_div_scale_f64 v[80:81], null, v[78:79], v[78:79], 1.0
	v_rcp_f64_e32 v[82:83], v[80:81]
	v_fma_f64 v[86:87], -v[80:81], v[82:83], 1.0
	v_fma_f64 v[82:83], v[82:83], v[86:87], v[82:83]
	v_fma_f64 v[86:87], -v[80:81], v[82:83], 1.0
	v_fma_f64 v[82:83], v[82:83], v[86:87], v[82:83]
	v_div_scale_f64 v[86:87], vcc_lo, 1.0, v[78:79], 1.0
	v_mul_f64 v[88:89], v[86:87], v[82:83]
	v_fma_f64 v[80:81], -v[80:81], v[88:89], v[86:87]
	v_div_fmas_f64 v[80:81], v[80:81], v[82:83], v[88:89]
	v_div_fixup_f64 v[82:83], v[80:81], v[78:79], 1.0
	v_mul_f64 v[84:85], v[84:85], -v[82:83]
.LBB31_34:
	s_or_b32 exec_lo, exec_lo, s1
	ds_write2_b64 v1, v[82:83], v[84:85] offset1:1
.LBB31_35:
	s_or_b32 exec_lo, exec_lo, s2
	s_waitcnt lgkmcnt(0)
	s_barrier
	buffer_gl0_inv
	ds_read2_b64 v[78:81], v1 offset1:1
	s_mov_b32 s1, exec_lo
	v_cmpx_lt_u32_e32 3, v0
	s_cbranch_execz .LBB31_37
; %bb.36:
	s_waitcnt lgkmcnt(0)
	v_mul_f64 v[82:83], v[78:79], v[4:5]
	v_mul_f64 v[4:5], v[80:81], v[4:5]
	v_fma_f64 v[165:166], v[80:81], v[2:3], v[82:83]
	ds_read2_b64 v[82:85], v164 offset0:8 offset1:9
	ds_read2_b64 v[86:89], v164 offset0:10 offset1:11
	;; [unrolled: 1-line block ×12, first 2 shown]
	v_fma_f64 v[2:3], v[78:79], v[2:3], -v[4:5]
	s_waitcnt lgkmcnt(11)
	v_mul_f64 v[4:5], v[84:85], v[165:166]
	v_mul_f64 v[167:168], v[82:83], v[165:166]
	s_waitcnt lgkmcnt(10)
	v_mul_f64 v[169:170], v[88:89], v[165:166]
	v_mul_f64 v[171:172], v[86:87], v[165:166]
	;; [unrolled: 3-line block ×12, first 2 shown]
	v_fma_f64 v[4:5], v[82:83], v[2:3], -v[4:5]
	v_fma_f64 v[82:83], v[84:85], v[2:3], v[167:168]
	v_fma_f64 v[84:85], v[86:87], v[2:3], -v[169:170]
	v_fma_f64 v[86:87], v[88:89], v[2:3], v[171:172]
	;; [unrolled: 2-line block ×12, first 2 shown]
	v_add_f64 v[62:63], v[62:63], -v[4:5]
	v_add_f64 v[64:65], v[64:65], -v[82:83]
	;; [unrolled: 1-line block ×24, first 2 shown]
	v_mov_b32_e32 v4, v165
	v_mov_b32_e32 v5, v166
.LBB31_37:
	s_or_b32 exec_lo, exec_lo, s1
	s_mov_b32 s2, exec_lo
	s_waitcnt lgkmcnt(0)
	s_barrier
	buffer_gl0_inv
	v_cmpx_eq_u32_e32 4, v0
	s_cbranch_execz .LBB31_44
; %bb.38:
	ds_write2_b64 v1, v[62:63], v[64:65] offset1:1
	ds_write2_b64 v164, v[58:59], v[60:61] offset0:10 offset1:11
	ds_write2_b64 v164, v[54:55], v[56:57] offset0:12 offset1:13
	;; [unrolled: 1-line block ×11, first 2 shown]
	ds_read2_b64 v[82:85], v1 offset1:1
	s_waitcnt lgkmcnt(0)
	v_cmp_neq_f64_e32 vcc_lo, 0, v[82:83]
	v_cmp_neq_f64_e64 s1, 0, v[84:85]
	s_or_b32 s1, vcc_lo, s1
	s_and_b32 exec_lo, exec_lo, s1
	s_cbranch_execz .LBB31_44
; %bb.39:
	v_cmp_ngt_f64_e64 s1, |v[82:83]|, |v[84:85]|
                                        ; implicit-def: $vgpr86_vgpr87
	s_and_saveexec_b32 s3, s1
	s_xor_b32 s1, exec_lo, s3
                                        ; implicit-def: $vgpr88_vgpr89
	s_cbranch_execz .LBB31_41
; %bb.40:
	v_div_scale_f64 v[86:87], null, v[84:85], v[84:85], v[82:83]
	v_div_scale_f64 v[92:93], vcc_lo, v[82:83], v[84:85], v[82:83]
	v_rcp_f64_e32 v[88:89], v[86:87]
	v_fma_f64 v[90:91], -v[86:87], v[88:89], 1.0
	v_fma_f64 v[88:89], v[88:89], v[90:91], v[88:89]
	v_fma_f64 v[90:91], -v[86:87], v[88:89], 1.0
	v_fma_f64 v[88:89], v[88:89], v[90:91], v[88:89]
	v_mul_f64 v[90:91], v[92:93], v[88:89]
	v_fma_f64 v[86:87], -v[86:87], v[90:91], v[92:93]
	v_div_fmas_f64 v[86:87], v[86:87], v[88:89], v[90:91]
	v_div_fixup_f64 v[86:87], v[86:87], v[84:85], v[82:83]
	v_fma_f64 v[82:83], v[82:83], v[86:87], v[84:85]
	v_div_scale_f64 v[84:85], null, v[82:83], v[82:83], 1.0
	v_rcp_f64_e32 v[88:89], v[84:85]
	v_fma_f64 v[90:91], -v[84:85], v[88:89], 1.0
	v_fma_f64 v[88:89], v[88:89], v[90:91], v[88:89]
	v_fma_f64 v[90:91], -v[84:85], v[88:89], 1.0
	v_fma_f64 v[88:89], v[88:89], v[90:91], v[88:89]
	v_div_scale_f64 v[90:91], vcc_lo, 1.0, v[82:83], 1.0
	v_mul_f64 v[92:93], v[90:91], v[88:89]
	v_fma_f64 v[84:85], -v[84:85], v[92:93], v[90:91]
	v_div_fmas_f64 v[84:85], v[84:85], v[88:89], v[92:93]
	v_div_fixup_f64 v[88:89], v[84:85], v[82:83], 1.0
                                        ; implicit-def: $vgpr82_vgpr83
	v_mul_f64 v[86:87], v[86:87], v[88:89]
	v_xor_b32_e32 v89, 0x80000000, v89
.LBB31_41:
	s_andn2_saveexec_b32 s1, s1
	s_cbranch_execz .LBB31_43
; %bb.42:
	v_div_scale_f64 v[86:87], null, v[82:83], v[82:83], v[84:85]
	v_div_scale_f64 v[92:93], vcc_lo, v[84:85], v[82:83], v[84:85]
	v_rcp_f64_e32 v[88:89], v[86:87]
	v_fma_f64 v[90:91], -v[86:87], v[88:89], 1.0
	v_fma_f64 v[88:89], v[88:89], v[90:91], v[88:89]
	v_fma_f64 v[90:91], -v[86:87], v[88:89], 1.0
	v_fma_f64 v[88:89], v[88:89], v[90:91], v[88:89]
	v_mul_f64 v[90:91], v[92:93], v[88:89]
	v_fma_f64 v[86:87], -v[86:87], v[90:91], v[92:93]
	v_div_fmas_f64 v[86:87], v[86:87], v[88:89], v[90:91]
	v_div_fixup_f64 v[88:89], v[86:87], v[82:83], v[84:85]
	v_fma_f64 v[82:83], v[84:85], v[88:89], v[82:83]
	v_div_scale_f64 v[84:85], null, v[82:83], v[82:83], 1.0
	v_rcp_f64_e32 v[86:87], v[84:85]
	v_fma_f64 v[90:91], -v[84:85], v[86:87], 1.0
	v_fma_f64 v[86:87], v[86:87], v[90:91], v[86:87]
	v_fma_f64 v[90:91], -v[84:85], v[86:87], 1.0
	v_fma_f64 v[86:87], v[86:87], v[90:91], v[86:87]
	v_div_scale_f64 v[90:91], vcc_lo, 1.0, v[82:83], 1.0
	v_mul_f64 v[92:93], v[90:91], v[86:87]
	v_fma_f64 v[84:85], -v[84:85], v[92:93], v[90:91]
	v_div_fmas_f64 v[84:85], v[84:85], v[86:87], v[92:93]
	v_div_fixup_f64 v[86:87], v[84:85], v[82:83], 1.0
	v_mul_f64 v[88:89], v[88:89], -v[86:87]
.LBB31_43:
	s_or_b32 exec_lo, exec_lo, s1
	ds_write2_b64 v1, v[86:87], v[88:89] offset1:1
.LBB31_44:
	s_or_b32 exec_lo, exec_lo, s2
	s_waitcnt lgkmcnt(0)
	s_barrier
	buffer_gl0_inv
	ds_read2_b64 v[82:85], v1 offset1:1
	s_mov_b32 s1, exec_lo
	v_cmpx_lt_u32_e32 4, v0
	s_cbranch_execz .LBB31_46
; %bb.45:
	s_waitcnt lgkmcnt(0)
	v_mul_f64 v[86:87], v[82:83], v[64:65]
	v_mul_f64 v[64:65], v[84:85], v[64:65]
	v_fma_f64 v[165:166], v[84:85], v[62:63], v[86:87]
	ds_read2_b64 v[86:89], v164 offset0:10 offset1:11
	ds_read2_b64 v[90:93], v164 offset0:12 offset1:13
	;; [unrolled: 1-line block ×11, first 2 shown]
	v_fma_f64 v[62:63], v[82:83], v[62:63], -v[64:65]
	s_waitcnt lgkmcnt(10)
	v_mul_f64 v[64:65], v[88:89], v[165:166]
	v_mul_f64 v[167:168], v[86:87], v[165:166]
	s_waitcnt lgkmcnt(9)
	v_mul_f64 v[169:170], v[92:93], v[165:166]
	v_mul_f64 v[171:172], v[90:91], v[165:166]
	;; [unrolled: 3-line block ×11, first 2 shown]
	v_fma_f64 v[64:65], v[86:87], v[62:63], -v[64:65]
	v_fma_f64 v[86:87], v[88:89], v[62:63], v[167:168]
	v_fma_f64 v[88:89], v[90:91], v[62:63], -v[169:170]
	v_fma_f64 v[90:91], v[92:93], v[62:63], v[171:172]
	;; [unrolled: 2-line block ×11, first 2 shown]
	v_add_f64 v[58:59], v[58:59], -v[64:65]
	v_add_f64 v[60:61], v[60:61], -v[86:87]
	;; [unrolled: 1-line block ×22, first 2 shown]
	v_mov_b32_e32 v64, v165
	v_mov_b32_e32 v65, v166
.LBB31_46:
	s_or_b32 exec_lo, exec_lo, s1
	s_mov_b32 s2, exec_lo
	s_waitcnt lgkmcnt(0)
	s_barrier
	buffer_gl0_inv
	v_cmpx_eq_u32_e32 5, v0
	s_cbranch_execz .LBB31_53
; %bb.47:
	ds_write2_b64 v1, v[58:59], v[60:61] offset1:1
	ds_write2_b64 v164, v[54:55], v[56:57] offset0:12 offset1:13
	ds_write2_b64 v164, v[50:51], v[52:53] offset0:14 offset1:15
	;; [unrolled: 1-line block ×10, first 2 shown]
	ds_read2_b64 v[86:89], v1 offset1:1
	s_waitcnt lgkmcnt(0)
	v_cmp_neq_f64_e32 vcc_lo, 0, v[86:87]
	v_cmp_neq_f64_e64 s1, 0, v[88:89]
	s_or_b32 s1, vcc_lo, s1
	s_and_b32 exec_lo, exec_lo, s1
	s_cbranch_execz .LBB31_53
; %bb.48:
	v_cmp_ngt_f64_e64 s1, |v[86:87]|, |v[88:89]|
                                        ; implicit-def: $vgpr90_vgpr91
	s_and_saveexec_b32 s3, s1
	s_xor_b32 s1, exec_lo, s3
                                        ; implicit-def: $vgpr92_vgpr93
	s_cbranch_execz .LBB31_50
; %bb.49:
	v_div_scale_f64 v[90:91], null, v[88:89], v[88:89], v[86:87]
	v_div_scale_f64 v[96:97], vcc_lo, v[86:87], v[88:89], v[86:87]
	v_rcp_f64_e32 v[92:93], v[90:91]
	v_fma_f64 v[94:95], -v[90:91], v[92:93], 1.0
	v_fma_f64 v[92:93], v[92:93], v[94:95], v[92:93]
	v_fma_f64 v[94:95], -v[90:91], v[92:93], 1.0
	v_fma_f64 v[92:93], v[92:93], v[94:95], v[92:93]
	v_mul_f64 v[94:95], v[96:97], v[92:93]
	v_fma_f64 v[90:91], -v[90:91], v[94:95], v[96:97]
	v_div_fmas_f64 v[90:91], v[90:91], v[92:93], v[94:95]
	v_div_fixup_f64 v[90:91], v[90:91], v[88:89], v[86:87]
	v_fma_f64 v[86:87], v[86:87], v[90:91], v[88:89]
	v_div_scale_f64 v[88:89], null, v[86:87], v[86:87], 1.0
	v_rcp_f64_e32 v[92:93], v[88:89]
	v_fma_f64 v[94:95], -v[88:89], v[92:93], 1.0
	v_fma_f64 v[92:93], v[92:93], v[94:95], v[92:93]
	v_fma_f64 v[94:95], -v[88:89], v[92:93], 1.0
	v_fma_f64 v[92:93], v[92:93], v[94:95], v[92:93]
	v_div_scale_f64 v[94:95], vcc_lo, 1.0, v[86:87], 1.0
	v_mul_f64 v[96:97], v[94:95], v[92:93]
	v_fma_f64 v[88:89], -v[88:89], v[96:97], v[94:95]
	v_div_fmas_f64 v[88:89], v[88:89], v[92:93], v[96:97]
	v_div_fixup_f64 v[92:93], v[88:89], v[86:87], 1.0
                                        ; implicit-def: $vgpr86_vgpr87
	v_mul_f64 v[90:91], v[90:91], v[92:93]
	v_xor_b32_e32 v93, 0x80000000, v93
.LBB31_50:
	s_andn2_saveexec_b32 s1, s1
	s_cbranch_execz .LBB31_52
; %bb.51:
	v_div_scale_f64 v[90:91], null, v[86:87], v[86:87], v[88:89]
	v_div_scale_f64 v[96:97], vcc_lo, v[88:89], v[86:87], v[88:89]
	v_rcp_f64_e32 v[92:93], v[90:91]
	v_fma_f64 v[94:95], -v[90:91], v[92:93], 1.0
	v_fma_f64 v[92:93], v[92:93], v[94:95], v[92:93]
	v_fma_f64 v[94:95], -v[90:91], v[92:93], 1.0
	v_fma_f64 v[92:93], v[92:93], v[94:95], v[92:93]
	v_mul_f64 v[94:95], v[96:97], v[92:93]
	v_fma_f64 v[90:91], -v[90:91], v[94:95], v[96:97]
	v_div_fmas_f64 v[90:91], v[90:91], v[92:93], v[94:95]
	v_div_fixup_f64 v[92:93], v[90:91], v[86:87], v[88:89]
	v_fma_f64 v[86:87], v[88:89], v[92:93], v[86:87]
	v_div_scale_f64 v[88:89], null, v[86:87], v[86:87], 1.0
	v_rcp_f64_e32 v[90:91], v[88:89]
	v_fma_f64 v[94:95], -v[88:89], v[90:91], 1.0
	v_fma_f64 v[90:91], v[90:91], v[94:95], v[90:91]
	v_fma_f64 v[94:95], -v[88:89], v[90:91], 1.0
	v_fma_f64 v[90:91], v[90:91], v[94:95], v[90:91]
	v_div_scale_f64 v[94:95], vcc_lo, 1.0, v[86:87], 1.0
	v_mul_f64 v[96:97], v[94:95], v[90:91]
	v_fma_f64 v[88:89], -v[88:89], v[96:97], v[94:95]
	v_div_fmas_f64 v[88:89], v[88:89], v[90:91], v[96:97]
	v_div_fixup_f64 v[90:91], v[88:89], v[86:87], 1.0
	v_mul_f64 v[92:93], v[92:93], -v[90:91]
.LBB31_52:
	s_or_b32 exec_lo, exec_lo, s1
	ds_write2_b64 v1, v[90:91], v[92:93] offset1:1
.LBB31_53:
	s_or_b32 exec_lo, exec_lo, s2
	s_waitcnt lgkmcnt(0)
	s_barrier
	buffer_gl0_inv
	ds_read2_b64 v[86:89], v1 offset1:1
	s_mov_b32 s1, exec_lo
	v_cmpx_lt_u32_e32 5, v0
	s_cbranch_execz .LBB31_55
; %bb.54:
	s_waitcnt lgkmcnt(0)
	v_mul_f64 v[90:91], v[86:87], v[60:61]
	v_mul_f64 v[60:61], v[88:89], v[60:61]
	v_fma_f64 v[165:166], v[88:89], v[58:59], v[90:91]
	ds_read2_b64 v[90:93], v164 offset0:12 offset1:13
	ds_read2_b64 v[94:97], v164 offset0:14 offset1:15
	;; [unrolled: 1-line block ×10, first 2 shown]
	v_fma_f64 v[58:59], v[86:87], v[58:59], -v[60:61]
	s_waitcnt lgkmcnt(9)
	v_mul_f64 v[60:61], v[92:93], v[165:166]
	v_mul_f64 v[167:168], v[90:91], v[165:166]
	s_waitcnt lgkmcnt(8)
	v_mul_f64 v[169:170], v[96:97], v[165:166]
	v_mul_f64 v[171:172], v[94:95], v[165:166]
	;; [unrolled: 3-line block ×10, first 2 shown]
	v_fma_f64 v[60:61], v[90:91], v[58:59], -v[60:61]
	v_fma_f64 v[90:91], v[92:93], v[58:59], v[167:168]
	v_fma_f64 v[92:93], v[94:95], v[58:59], -v[169:170]
	v_fma_f64 v[94:95], v[96:97], v[58:59], v[171:172]
	;; [unrolled: 2-line block ×10, first 2 shown]
	v_add_f64 v[54:55], v[54:55], -v[60:61]
	v_add_f64 v[56:57], v[56:57], -v[90:91]
	;; [unrolled: 1-line block ×20, first 2 shown]
	v_mov_b32_e32 v60, v165
	v_mov_b32_e32 v61, v166
.LBB31_55:
	s_or_b32 exec_lo, exec_lo, s1
	s_mov_b32 s2, exec_lo
	s_waitcnt lgkmcnt(0)
	s_barrier
	buffer_gl0_inv
	v_cmpx_eq_u32_e32 6, v0
	s_cbranch_execz .LBB31_62
; %bb.56:
	ds_write2_b64 v1, v[54:55], v[56:57] offset1:1
	ds_write2_b64 v164, v[50:51], v[52:53] offset0:14 offset1:15
	ds_write2_b64 v164, v[46:47], v[48:49] offset0:16 offset1:17
	;; [unrolled: 1-line block ×9, first 2 shown]
	ds_read2_b64 v[90:93], v1 offset1:1
	s_waitcnt lgkmcnt(0)
	v_cmp_neq_f64_e32 vcc_lo, 0, v[90:91]
	v_cmp_neq_f64_e64 s1, 0, v[92:93]
	s_or_b32 s1, vcc_lo, s1
	s_and_b32 exec_lo, exec_lo, s1
	s_cbranch_execz .LBB31_62
; %bb.57:
	v_cmp_ngt_f64_e64 s1, |v[90:91]|, |v[92:93]|
                                        ; implicit-def: $vgpr94_vgpr95
	s_and_saveexec_b32 s3, s1
	s_xor_b32 s1, exec_lo, s3
                                        ; implicit-def: $vgpr96_vgpr97
	s_cbranch_execz .LBB31_59
; %bb.58:
	v_div_scale_f64 v[94:95], null, v[92:93], v[92:93], v[90:91]
	v_div_scale_f64 v[100:101], vcc_lo, v[90:91], v[92:93], v[90:91]
	v_rcp_f64_e32 v[96:97], v[94:95]
	v_fma_f64 v[98:99], -v[94:95], v[96:97], 1.0
	v_fma_f64 v[96:97], v[96:97], v[98:99], v[96:97]
	v_fma_f64 v[98:99], -v[94:95], v[96:97], 1.0
	v_fma_f64 v[96:97], v[96:97], v[98:99], v[96:97]
	v_mul_f64 v[98:99], v[100:101], v[96:97]
	v_fma_f64 v[94:95], -v[94:95], v[98:99], v[100:101]
	v_div_fmas_f64 v[94:95], v[94:95], v[96:97], v[98:99]
	v_div_fixup_f64 v[94:95], v[94:95], v[92:93], v[90:91]
	v_fma_f64 v[90:91], v[90:91], v[94:95], v[92:93]
	v_div_scale_f64 v[92:93], null, v[90:91], v[90:91], 1.0
	v_rcp_f64_e32 v[96:97], v[92:93]
	v_fma_f64 v[98:99], -v[92:93], v[96:97], 1.0
	v_fma_f64 v[96:97], v[96:97], v[98:99], v[96:97]
	v_fma_f64 v[98:99], -v[92:93], v[96:97], 1.0
	v_fma_f64 v[96:97], v[96:97], v[98:99], v[96:97]
	v_div_scale_f64 v[98:99], vcc_lo, 1.0, v[90:91], 1.0
	v_mul_f64 v[100:101], v[98:99], v[96:97]
	v_fma_f64 v[92:93], -v[92:93], v[100:101], v[98:99]
	v_div_fmas_f64 v[92:93], v[92:93], v[96:97], v[100:101]
	v_div_fixup_f64 v[96:97], v[92:93], v[90:91], 1.0
                                        ; implicit-def: $vgpr90_vgpr91
	v_mul_f64 v[94:95], v[94:95], v[96:97]
	v_xor_b32_e32 v97, 0x80000000, v97
.LBB31_59:
	s_andn2_saveexec_b32 s1, s1
	s_cbranch_execz .LBB31_61
; %bb.60:
	v_div_scale_f64 v[94:95], null, v[90:91], v[90:91], v[92:93]
	v_div_scale_f64 v[100:101], vcc_lo, v[92:93], v[90:91], v[92:93]
	v_rcp_f64_e32 v[96:97], v[94:95]
	v_fma_f64 v[98:99], -v[94:95], v[96:97], 1.0
	v_fma_f64 v[96:97], v[96:97], v[98:99], v[96:97]
	v_fma_f64 v[98:99], -v[94:95], v[96:97], 1.0
	v_fma_f64 v[96:97], v[96:97], v[98:99], v[96:97]
	v_mul_f64 v[98:99], v[100:101], v[96:97]
	v_fma_f64 v[94:95], -v[94:95], v[98:99], v[100:101]
	v_div_fmas_f64 v[94:95], v[94:95], v[96:97], v[98:99]
	v_div_fixup_f64 v[96:97], v[94:95], v[90:91], v[92:93]
	v_fma_f64 v[90:91], v[92:93], v[96:97], v[90:91]
	v_div_scale_f64 v[92:93], null, v[90:91], v[90:91], 1.0
	v_rcp_f64_e32 v[94:95], v[92:93]
	v_fma_f64 v[98:99], -v[92:93], v[94:95], 1.0
	v_fma_f64 v[94:95], v[94:95], v[98:99], v[94:95]
	v_fma_f64 v[98:99], -v[92:93], v[94:95], 1.0
	v_fma_f64 v[94:95], v[94:95], v[98:99], v[94:95]
	v_div_scale_f64 v[98:99], vcc_lo, 1.0, v[90:91], 1.0
	v_mul_f64 v[100:101], v[98:99], v[94:95]
	v_fma_f64 v[92:93], -v[92:93], v[100:101], v[98:99]
	v_div_fmas_f64 v[92:93], v[92:93], v[94:95], v[100:101]
	v_div_fixup_f64 v[94:95], v[92:93], v[90:91], 1.0
	v_mul_f64 v[96:97], v[96:97], -v[94:95]
.LBB31_61:
	s_or_b32 exec_lo, exec_lo, s1
	ds_write2_b64 v1, v[94:95], v[96:97] offset1:1
.LBB31_62:
	s_or_b32 exec_lo, exec_lo, s2
	s_waitcnt lgkmcnt(0)
	s_barrier
	buffer_gl0_inv
	ds_read2_b64 v[90:93], v1 offset1:1
	s_mov_b32 s1, exec_lo
	v_cmpx_lt_u32_e32 6, v0
	s_cbranch_execz .LBB31_64
; %bb.63:
	s_waitcnt lgkmcnt(0)
	v_mul_f64 v[94:95], v[90:91], v[56:57]
	v_mul_f64 v[56:57], v[92:93], v[56:57]
	v_fma_f64 v[165:166], v[92:93], v[54:55], v[94:95]
	ds_read2_b64 v[94:97], v164 offset0:14 offset1:15
	ds_read2_b64 v[98:101], v164 offset0:16 offset1:17
	;; [unrolled: 1-line block ×9, first 2 shown]
	v_fma_f64 v[54:55], v[90:91], v[54:55], -v[56:57]
	s_waitcnt lgkmcnt(8)
	v_mul_f64 v[56:57], v[96:97], v[165:166]
	v_mul_f64 v[167:168], v[94:95], v[165:166]
	s_waitcnt lgkmcnt(7)
	v_mul_f64 v[169:170], v[100:101], v[165:166]
	v_mul_f64 v[171:172], v[98:99], v[165:166]
	;; [unrolled: 3-line block ×9, first 2 shown]
	v_fma_f64 v[56:57], v[94:95], v[54:55], -v[56:57]
	v_fma_f64 v[94:95], v[96:97], v[54:55], v[167:168]
	v_fma_f64 v[96:97], v[98:99], v[54:55], -v[169:170]
	v_fma_f64 v[98:99], v[100:101], v[54:55], v[171:172]
	v_fma_f64 v[100:101], v[102:103], v[54:55], -v[173:174]
	v_fma_f64 v[102:103], v[104:105], v[54:55], v[175:176]
	v_fma_f64 v[104:105], v[106:107], v[54:55], -v[177:178]
	v_fma_f64 v[106:107], v[108:109], v[54:55], v[179:180]
	v_fma_f64 v[108:109], v[110:111], v[54:55], -v[181:182]
	v_fma_f64 v[110:111], v[112:113], v[54:55], v[183:184]
	v_fma_f64 v[112:113], v[114:115], v[54:55], -v[185:186]
	v_fma_f64 v[114:115], v[116:117], v[54:55], v[187:188]
	v_fma_f64 v[116:117], v[118:119], v[54:55], -v[189:190]
	v_fma_f64 v[118:119], v[120:121], v[54:55], v[191:192]
	v_fma_f64 v[120:121], v[122:123], v[54:55], -v[193:194]
	v_fma_f64 v[122:123], v[124:125], v[54:55], v[195:196]
	v_fma_f64 v[124:125], v[126:127], v[54:55], -v[197:198]
	v_fma_f64 v[126:127], v[128:129], v[54:55], v[199:200]
	v_add_f64 v[50:51], v[50:51], -v[56:57]
	v_add_f64 v[52:53], v[52:53], -v[94:95]
	;; [unrolled: 1-line block ×18, first 2 shown]
	v_mov_b32_e32 v56, v165
	v_mov_b32_e32 v57, v166
.LBB31_64:
	s_or_b32 exec_lo, exec_lo, s1
	s_mov_b32 s2, exec_lo
	s_waitcnt lgkmcnt(0)
	s_barrier
	buffer_gl0_inv
	v_cmpx_eq_u32_e32 7, v0
	s_cbranch_execz .LBB31_71
; %bb.65:
	ds_write2_b64 v1, v[50:51], v[52:53] offset1:1
	ds_write2_b64 v164, v[46:47], v[48:49] offset0:16 offset1:17
	ds_write2_b64 v164, v[42:43], v[44:45] offset0:18 offset1:19
	;; [unrolled: 1-line block ×8, first 2 shown]
	ds_read2_b64 v[94:97], v1 offset1:1
	s_waitcnt lgkmcnt(0)
	v_cmp_neq_f64_e32 vcc_lo, 0, v[94:95]
	v_cmp_neq_f64_e64 s1, 0, v[96:97]
	s_or_b32 s1, vcc_lo, s1
	s_and_b32 exec_lo, exec_lo, s1
	s_cbranch_execz .LBB31_71
; %bb.66:
	v_cmp_ngt_f64_e64 s1, |v[94:95]|, |v[96:97]|
                                        ; implicit-def: $vgpr98_vgpr99
	s_and_saveexec_b32 s3, s1
	s_xor_b32 s1, exec_lo, s3
                                        ; implicit-def: $vgpr100_vgpr101
	s_cbranch_execz .LBB31_68
; %bb.67:
	v_div_scale_f64 v[98:99], null, v[96:97], v[96:97], v[94:95]
	v_div_scale_f64 v[104:105], vcc_lo, v[94:95], v[96:97], v[94:95]
	v_rcp_f64_e32 v[100:101], v[98:99]
	v_fma_f64 v[102:103], -v[98:99], v[100:101], 1.0
	v_fma_f64 v[100:101], v[100:101], v[102:103], v[100:101]
	v_fma_f64 v[102:103], -v[98:99], v[100:101], 1.0
	v_fma_f64 v[100:101], v[100:101], v[102:103], v[100:101]
	v_mul_f64 v[102:103], v[104:105], v[100:101]
	v_fma_f64 v[98:99], -v[98:99], v[102:103], v[104:105]
	v_div_fmas_f64 v[98:99], v[98:99], v[100:101], v[102:103]
	v_div_fixup_f64 v[98:99], v[98:99], v[96:97], v[94:95]
	v_fma_f64 v[94:95], v[94:95], v[98:99], v[96:97]
	v_div_scale_f64 v[96:97], null, v[94:95], v[94:95], 1.0
	v_rcp_f64_e32 v[100:101], v[96:97]
	v_fma_f64 v[102:103], -v[96:97], v[100:101], 1.0
	v_fma_f64 v[100:101], v[100:101], v[102:103], v[100:101]
	v_fma_f64 v[102:103], -v[96:97], v[100:101], 1.0
	v_fma_f64 v[100:101], v[100:101], v[102:103], v[100:101]
	v_div_scale_f64 v[102:103], vcc_lo, 1.0, v[94:95], 1.0
	v_mul_f64 v[104:105], v[102:103], v[100:101]
	v_fma_f64 v[96:97], -v[96:97], v[104:105], v[102:103]
	v_div_fmas_f64 v[96:97], v[96:97], v[100:101], v[104:105]
	v_div_fixup_f64 v[100:101], v[96:97], v[94:95], 1.0
                                        ; implicit-def: $vgpr94_vgpr95
	v_mul_f64 v[98:99], v[98:99], v[100:101]
	v_xor_b32_e32 v101, 0x80000000, v101
.LBB31_68:
	s_andn2_saveexec_b32 s1, s1
	s_cbranch_execz .LBB31_70
; %bb.69:
	v_div_scale_f64 v[98:99], null, v[94:95], v[94:95], v[96:97]
	v_div_scale_f64 v[104:105], vcc_lo, v[96:97], v[94:95], v[96:97]
	v_rcp_f64_e32 v[100:101], v[98:99]
	v_fma_f64 v[102:103], -v[98:99], v[100:101], 1.0
	v_fma_f64 v[100:101], v[100:101], v[102:103], v[100:101]
	v_fma_f64 v[102:103], -v[98:99], v[100:101], 1.0
	v_fma_f64 v[100:101], v[100:101], v[102:103], v[100:101]
	v_mul_f64 v[102:103], v[104:105], v[100:101]
	v_fma_f64 v[98:99], -v[98:99], v[102:103], v[104:105]
	v_div_fmas_f64 v[98:99], v[98:99], v[100:101], v[102:103]
	v_div_fixup_f64 v[100:101], v[98:99], v[94:95], v[96:97]
	v_fma_f64 v[94:95], v[96:97], v[100:101], v[94:95]
	v_div_scale_f64 v[96:97], null, v[94:95], v[94:95], 1.0
	v_rcp_f64_e32 v[98:99], v[96:97]
	v_fma_f64 v[102:103], -v[96:97], v[98:99], 1.0
	v_fma_f64 v[98:99], v[98:99], v[102:103], v[98:99]
	v_fma_f64 v[102:103], -v[96:97], v[98:99], 1.0
	v_fma_f64 v[98:99], v[98:99], v[102:103], v[98:99]
	v_div_scale_f64 v[102:103], vcc_lo, 1.0, v[94:95], 1.0
	v_mul_f64 v[104:105], v[102:103], v[98:99]
	v_fma_f64 v[96:97], -v[96:97], v[104:105], v[102:103]
	v_div_fmas_f64 v[96:97], v[96:97], v[98:99], v[104:105]
	v_div_fixup_f64 v[98:99], v[96:97], v[94:95], 1.0
	v_mul_f64 v[100:101], v[100:101], -v[98:99]
.LBB31_70:
	s_or_b32 exec_lo, exec_lo, s1
	ds_write2_b64 v1, v[98:99], v[100:101] offset1:1
.LBB31_71:
	s_or_b32 exec_lo, exec_lo, s2
	s_waitcnt lgkmcnt(0)
	s_barrier
	buffer_gl0_inv
	ds_read2_b64 v[94:97], v1 offset1:1
	s_mov_b32 s1, exec_lo
	v_cmpx_lt_u32_e32 7, v0
	s_cbranch_execz .LBB31_73
; %bb.72:
	s_waitcnt lgkmcnt(0)
	v_mul_f64 v[98:99], v[94:95], v[52:53]
	v_mul_f64 v[52:53], v[96:97], v[52:53]
	v_fma_f64 v[165:166], v[96:97], v[50:51], v[98:99]
	ds_read2_b64 v[98:101], v164 offset0:16 offset1:17
	ds_read2_b64 v[102:105], v164 offset0:18 offset1:19
	;; [unrolled: 1-line block ×8, first 2 shown]
	v_fma_f64 v[50:51], v[94:95], v[50:51], -v[52:53]
	s_waitcnt lgkmcnt(7)
	v_mul_f64 v[52:53], v[100:101], v[165:166]
	v_mul_f64 v[167:168], v[98:99], v[165:166]
	s_waitcnt lgkmcnt(6)
	v_mul_f64 v[169:170], v[104:105], v[165:166]
	v_mul_f64 v[171:172], v[102:103], v[165:166]
	;; [unrolled: 3-line block ×8, first 2 shown]
	v_fma_f64 v[52:53], v[98:99], v[50:51], -v[52:53]
	v_fma_f64 v[98:99], v[100:101], v[50:51], v[167:168]
	v_fma_f64 v[100:101], v[102:103], v[50:51], -v[169:170]
	v_fma_f64 v[102:103], v[104:105], v[50:51], v[171:172]
	;; [unrolled: 2-line block ×8, first 2 shown]
	v_add_f64 v[46:47], v[46:47], -v[52:53]
	v_add_f64 v[48:49], v[48:49], -v[98:99]
	;; [unrolled: 1-line block ×16, first 2 shown]
	v_mov_b32_e32 v52, v165
	v_mov_b32_e32 v53, v166
.LBB31_73:
	s_or_b32 exec_lo, exec_lo, s1
	s_mov_b32 s2, exec_lo
	s_waitcnt lgkmcnt(0)
	s_barrier
	buffer_gl0_inv
	v_cmpx_eq_u32_e32 8, v0
	s_cbranch_execz .LBB31_80
; %bb.74:
	ds_write2_b64 v1, v[46:47], v[48:49] offset1:1
	ds_write2_b64 v164, v[42:43], v[44:45] offset0:18 offset1:19
	ds_write2_b64 v164, v[38:39], v[40:41] offset0:20 offset1:21
	;; [unrolled: 1-line block ×7, first 2 shown]
	ds_read2_b64 v[98:101], v1 offset1:1
	s_waitcnt lgkmcnt(0)
	v_cmp_neq_f64_e32 vcc_lo, 0, v[98:99]
	v_cmp_neq_f64_e64 s1, 0, v[100:101]
	s_or_b32 s1, vcc_lo, s1
	s_and_b32 exec_lo, exec_lo, s1
	s_cbranch_execz .LBB31_80
; %bb.75:
	v_cmp_ngt_f64_e64 s1, |v[98:99]|, |v[100:101]|
                                        ; implicit-def: $vgpr102_vgpr103
	s_and_saveexec_b32 s3, s1
	s_xor_b32 s1, exec_lo, s3
                                        ; implicit-def: $vgpr104_vgpr105
	s_cbranch_execz .LBB31_77
; %bb.76:
	v_div_scale_f64 v[102:103], null, v[100:101], v[100:101], v[98:99]
	v_div_scale_f64 v[108:109], vcc_lo, v[98:99], v[100:101], v[98:99]
	v_rcp_f64_e32 v[104:105], v[102:103]
	v_fma_f64 v[106:107], -v[102:103], v[104:105], 1.0
	v_fma_f64 v[104:105], v[104:105], v[106:107], v[104:105]
	v_fma_f64 v[106:107], -v[102:103], v[104:105], 1.0
	v_fma_f64 v[104:105], v[104:105], v[106:107], v[104:105]
	v_mul_f64 v[106:107], v[108:109], v[104:105]
	v_fma_f64 v[102:103], -v[102:103], v[106:107], v[108:109]
	v_div_fmas_f64 v[102:103], v[102:103], v[104:105], v[106:107]
	v_div_fixup_f64 v[102:103], v[102:103], v[100:101], v[98:99]
	v_fma_f64 v[98:99], v[98:99], v[102:103], v[100:101]
	v_div_scale_f64 v[100:101], null, v[98:99], v[98:99], 1.0
	v_rcp_f64_e32 v[104:105], v[100:101]
	v_fma_f64 v[106:107], -v[100:101], v[104:105], 1.0
	v_fma_f64 v[104:105], v[104:105], v[106:107], v[104:105]
	v_fma_f64 v[106:107], -v[100:101], v[104:105], 1.0
	v_fma_f64 v[104:105], v[104:105], v[106:107], v[104:105]
	v_div_scale_f64 v[106:107], vcc_lo, 1.0, v[98:99], 1.0
	v_mul_f64 v[108:109], v[106:107], v[104:105]
	v_fma_f64 v[100:101], -v[100:101], v[108:109], v[106:107]
	v_div_fmas_f64 v[100:101], v[100:101], v[104:105], v[108:109]
	v_div_fixup_f64 v[104:105], v[100:101], v[98:99], 1.0
                                        ; implicit-def: $vgpr98_vgpr99
	v_mul_f64 v[102:103], v[102:103], v[104:105]
	v_xor_b32_e32 v105, 0x80000000, v105
.LBB31_77:
	s_andn2_saveexec_b32 s1, s1
	s_cbranch_execz .LBB31_79
; %bb.78:
	v_div_scale_f64 v[102:103], null, v[98:99], v[98:99], v[100:101]
	v_div_scale_f64 v[108:109], vcc_lo, v[100:101], v[98:99], v[100:101]
	v_rcp_f64_e32 v[104:105], v[102:103]
	v_fma_f64 v[106:107], -v[102:103], v[104:105], 1.0
	v_fma_f64 v[104:105], v[104:105], v[106:107], v[104:105]
	v_fma_f64 v[106:107], -v[102:103], v[104:105], 1.0
	v_fma_f64 v[104:105], v[104:105], v[106:107], v[104:105]
	v_mul_f64 v[106:107], v[108:109], v[104:105]
	v_fma_f64 v[102:103], -v[102:103], v[106:107], v[108:109]
	v_div_fmas_f64 v[102:103], v[102:103], v[104:105], v[106:107]
	v_div_fixup_f64 v[104:105], v[102:103], v[98:99], v[100:101]
	v_fma_f64 v[98:99], v[100:101], v[104:105], v[98:99]
	v_div_scale_f64 v[100:101], null, v[98:99], v[98:99], 1.0
	v_rcp_f64_e32 v[102:103], v[100:101]
	v_fma_f64 v[106:107], -v[100:101], v[102:103], 1.0
	v_fma_f64 v[102:103], v[102:103], v[106:107], v[102:103]
	v_fma_f64 v[106:107], -v[100:101], v[102:103], 1.0
	v_fma_f64 v[102:103], v[102:103], v[106:107], v[102:103]
	v_div_scale_f64 v[106:107], vcc_lo, 1.0, v[98:99], 1.0
	v_mul_f64 v[108:109], v[106:107], v[102:103]
	v_fma_f64 v[100:101], -v[100:101], v[108:109], v[106:107]
	v_div_fmas_f64 v[100:101], v[100:101], v[102:103], v[108:109]
	v_div_fixup_f64 v[102:103], v[100:101], v[98:99], 1.0
	v_mul_f64 v[104:105], v[104:105], -v[102:103]
.LBB31_79:
	s_or_b32 exec_lo, exec_lo, s1
	ds_write2_b64 v1, v[102:103], v[104:105] offset1:1
.LBB31_80:
	s_or_b32 exec_lo, exec_lo, s2
	s_waitcnt lgkmcnt(0)
	s_barrier
	buffer_gl0_inv
	ds_read2_b64 v[98:101], v1 offset1:1
	s_mov_b32 s1, exec_lo
	v_cmpx_lt_u32_e32 8, v0
	s_cbranch_execz .LBB31_82
; %bb.81:
	s_waitcnt lgkmcnt(0)
	v_mul_f64 v[102:103], v[98:99], v[48:49]
	v_mul_f64 v[48:49], v[100:101], v[48:49]
	v_fma_f64 v[165:166], v[100:101], v[46:47], v[102:103]
	ds_read2_b64 v[102:105], v164 offset0:18 offset1:19
	ds_read2_b64 v[106:109], v164 offset0:20 offset1:21
	;; [unrolled: 1-line block ×7, first 2 shown]
	v_fma_f64 v[46:47], v[98:99], v[46:47], -v[48:49]
	s_waitcnt lgkmcnt(6)
	v_mul_f64 v[48:49], v[104:105], v[165:166]
	v_mul_f64 v[167:168], v[102:103], v[165:166]
	s_waitcnt lgkmcnt(5)
	v_mul_f64 v[169:170], v[108:109], v[165:166]
	v_mul_f64 v[171:172], v[106:107], v[165:166]
	;; [unrolled: 3-line block ×7, first 2 shown]
	v_fma_f64 v[48:49], v[102:103], v[46:47], -v[48:49]
	v_fma_f64 v[102:103], v[104:105], v[46:47], v[167:168]
	v_fma_f64 v[104:105], v[106:107], v[46:47], -v[169:170]
	v_fma_f64 v[106:107], v[108:109], v[46:47], v[171:172]
	v_fma_f64 v[108:109], v[110:111], v[46:47], -v[173:174]
	v_fma_f64 v[110:111], v[112:113], v[46:47], v[175:176]
	v_fma_f64 v[112:113], v[114:115], v[46:47], -v[177:178]
	v_fma_f64 v[114:115], v[116:117], v[46:47], v[179:180]
	v_fma_f64 v[116:117], v[118:119], v[46:47], -v[181:182]
	v_fma_f64 v[118:119], v[120:121], v[46:47], v[183:184]
	v_fma_f64 v[120:121], v[122:123], v[46:47], -v[185:186]
	v_fma_f64 v[122:123], v[124:125], v[46:47], v[187:188]
	v_fma_f64 v[124:125], v[126:127], v[46:47], -v[189:190]
	v_fma_f64 v[126:127], v[128:129], v[46:47], v[191:192]
	v_add_f64 v[42:43], v[42:43], -v[48:49]
	v_add_f64 v[44:45], v[44:45], -v[102:103]
	;; [unrolled: 1-line block ×14, first 2 shown]
	v_mov_b32_e32 v48, v165
	v_mov_b32_e32 v49, v166
.LBB31_82:
	s_or_b32 exec_lo, exec_lo, s1
	s_mov_b32 s2, exec_lo
	s_waitcnt lgkmcnt(0)
	s_barrier
	buffer_gl0_inv
	v_cmpx_eq_u32_e32 9, v0
	s_cbranch_execz .LBB31_89
; %bb.83:
	ds_write2_b64 v1, v[42:43], v[44:45] offset1:1
	ds_write2_b64 v164, v[38:39], v[40:41] offset0:20 offset1:21
	ds_write2_b64 v164, v[34:35], v[36:37] offset0:22 offset1:23
	;; [unrolled: 1-line block ×6, first 2 shown]
	ds_read2_b64 v[102:105], v1 offset1:1
	s_waitcnt lgkmcnt(0)
	v_cmp_neq_f64_e32 vcc_lo, 0, v[102:103]
	v_cmp_neq_f64_e64 s1, 0, v[104:105]
	s_or_b32 s1, vcc_lo, s1
	s_and_b32 exec_lo, exec_lo, s1
	s_cbranch_execz .LBB31_89
; %bb.84:
	v_cmp_ngt_f64_e64 s1, |v[102:103]|, |v[104:105]|
                                        ; implicit-def: $vgpr106_vgpr107
	s_and_saveexec_b32 s3, s1
	s_xor_b32 s1, exec_lo, s3
                                        ; implicit-def: $vgpr108_vgpr109
	s_cbranch_execz .LBB31_86
; %bb.85:
	v_div_scale_f64 v[106:107], null, v[104:105], v[104:105], v[102:103]
	v_div_scale_f64 v[112:113], vcc_lo, v[102:103], v[104:105], v[102:103]
	v_rcp_f64_e32 v[108:109], v[106:107]
	v_fma_f64 v[110:111], -v[106:107], v[108:109], 1.0
	v_fma_f64 v[108:109], v[108:109], v[110:111], v[108:109]
	v_fma_f64 v[110:111], -v[106:107], v[108:109], 1.0
	v_fma_f64 v[108:109], v[108:109], v[110:111], v[108:109]
	v_mul_f64 v[110:111], v[112:113], v[108:109]
	v_fma_f64 v[106:107], -v[106:107], v[110:111], v[112:113]
	v_div_fmas_f64 v[106:107], v[106:107], v[108:109], v[110:111]
	v_div_fixup_f64 v[106:107], v[106:107], v[104:105], v[102:103]
	v_fma_f64 v[102:103], v[102:103], v[106:107], v[104:105]
	v_div_scale_f64 v[104:105], null, v[102:103], v[102:103], 1.0
	v_rcp_f64_e32 v[108:109], v[104:105]
	v_fma_f64 v[110:111], -v[104:105], v[108:109], 1.0
	v_fma_f64 v[108:109], v[108:109], v[110:111], v[108:109]
	v_fma_f64 v[110:111], -v[104:105], v[108:109], 1.0
	v_fma_f64 v[108:109], v[108:109], v[110:111], v[108:109]
	v_div_scale_f64 v[110:111], vcc_lo, 1.0, v[102:103], 1.0
	v_mul_f64 v[112:113], v[110:111], v[108:109]
	v_fma_f64 v[104:105], -v[104:105], v[112:113], v[110:111]
	v_div_fmas_f64 v[104:105], v[104:105], v[108:109], v[112:113]
	v_div_fixup_f64 v[108:109], v[104:105], v[102:103], 1.0
                                        ; implicit-def: $vgpr102_vgpr103
	v_mul_f64 v[106:107], v[106:107], v[108:109]
	v_xor_b32_e32 v109, 0x80000000, v109
.LBB31_86:
	s_andn2_saveexec_b32 s1, s1
	s_cbranch_execz .LBB31_88
; %bb.87:
	v_div_scale_f64 v[106:107], null, v[102:103], v[102:103], v[104:105]
	v_div_scale_f64 v[112:113], vcc_lo, v[104:105], v[102:103], v[104:105]
	v_rcp_f64_e32 v[108:109], v[106:107]
	v_fma_f64 v[110:111], -v[106:107], v[108:109], 1.0
	v_fma_f64 v[108:109], v[108:109], v[110:111], v[108:109]
	v_fma_f64 v[110:111], -v[106:107], v[108:109], 1.0
	v_fma_f64 v[108:109], v[108:109], v[110:111], v[108:109]
	v_mul_f64 v[110:111], v[112:113], v[108:109]
	v_fma_f64 v[106:107], -v[106:107], v[110:111], v[112:113]
	v_div_fmas_f64 v[106:107], v[106:107], v[108:109], v[110:111]
	v_div_fixup_f64 v[108:109], v[106:107], v[102:103], v[104:105]
	v_fma_f64 v[102:103], v[104:105], v[108:109], v[102:103]
	v_div_scale_f64 v[104:105], null, v[102:103], v[102:103], 1.0
	v_rcp_f64_e32 v[106:107], v[104:105]
	v_fma_f64 v[110:111], -v[104:105], v[106:107], 1.0
	v_fma_f64 v[106:107], v[106:107], v[110:111], v[106:107]
	v_fma_f64 v[110:111], -v[104:105], v[106:107], 1.0
	v_fma_f64 v[106:107], v[106:107], v[110:111], v[106:107]
	v_div_scale_f64 v[110:111], vcc_lo, 1.0, v[102:103], 1.0
	v_mul_f64 v[112:113], v[110:111], v[106:107]
	v_fma_f64 v[104:105], -v[104:105], v[112:113], v[110:111]
	v_div_fmas_f64 v[104:105], v[104:105], v[106:107], v[112:113]
	v_div_fixup_f64 v[106:107], v[104:105], v[102:103], 1.0
	v_mul_f64 v[108:109], v[108:109], -v[106:107]
.LBB31_88:
	s_or_b32 exec_lo, exec_lo, s1
	ds_write2_b64 v1, v[106:107], v[108:109] offset1:1
.LBB31_89:
	s_or_b32 exec_lo, exec_lo, s2
	s_waitcnt lgkmcnt(0)
	s_barrier
	buffer_gl0_inv
	ds_read2_b64 v[102:105], v1 offset1:1
	s_mov_b32 s1, exec_lo
	v_cmpx_lt_u32_e32 9, v0
	s_cbranch_execz .LBB31_91
; %bb.90:
	s_waitcnt lgkmcnt(0)
	v_mul_f64 v[106:107], v[102:103], v[44:45]
	v_mul_f64 v[44:45], v[104:105], v[44:45]
	v_fma_f64 v[165:166], v[104:105], v[42:43], v[106:107]
	ds_read2_b64 v[106:109], v164 offset0:20 offset1:21
	ds_read2_b64 v[110:113], v164 offset0:22 offset1:23
	;; [unrolled: 1-line block ×6, first 2 shown]
	v_fma_f64 v[42:43], v[102:103], v[42:43], -v[44:45]
	s_waitcnt lgkmcnt(5)
	v_mul_f64 v[44:45], v[108:109], v[165:166]
	v_mul_f64 v[167:168], v[106:107], v[165:166]
	s_waitcnt lgkmcnt(4)
	v_mul_f64 v[169:170], v[112:113], v[165:166]
	v_mul_f64 v[171:172], v[110:111], v[165:166]
	s_waitcnt lgkmcnt(3)
	v_mul_f64 v[173:174], v[116:117], v[165:166]
	v_mul_f64 v[175:176], v[114:115], v[165:166]
	s_waitcnt lgkmcnt(2)
	v_mul_f64 v[177:178], v[120:121], v[165:166]
	v_mul_f64 v[179:180], v[118:119], v[165:166]
	s_waitcnt lgkmcnt(1)
	v_mul_f64 v[181:182], v[124:125], v[165:166]
	v_mul_f64 v[183:184], v[122:123], v[165:166]
	s_waitcnt lgkmcnt(0)
	v_mul_f64 v[185:186], v[128:129], v[165:166]
	v_mul_f64 v[187:188], v[126:127], v[165:166]
	v_fma_f64 v[44:45], v[106:107], v[42:43], -v[44:45]
	v_fma_f64 v[106:107], v[108:109], v[42:43], v[167:168]
	v_fma_f64 v[108:109], v[110:111], v[42:43], -v[169:170]
	v_fma_f64 v[110:111], v[112:113], v[42:43], v[171:172]
	;; [unrolled: 2-line block ×6, first 2 shown]
	v_add_f64 v[38:39], v[38:39], -v[44:45]
	v_add_f64 v[40:41], v[40:41], -v[106:107]
	;; [unrolled: 1-line block ×12, first 2 shown]
	v_mov_b32_e32 v44, v165
	v_mov_b32_e32 v45, v166
.LBB31_91:
	s_or_b32 exec_lo, exec_lo, s1
	s_mov_b32 s2, exec_lo
	s_waitcnt lgkmcnt(0)
	s_barrier
	buffer_gl0_inv
	v_cmpx_eq_u32_e32 10, v0
	s_cbranch_execz .LBB31_98
; %bb.92:
	ds_write2_b64 v1, v[38:39], v[40:41] offset1:1
	ds_write2_b64 v164, v[34:35], v[36:37] offset0:22 offset1:23
	ds_write2_b64 v164, v[30:31], v[32:33] offset0:24 offset1:25
	;; [unrolled: 1-line block ×5, first 2 shown]
	ds_read2_b64 v[106:109], v1 offset1:1
	s_waitcnt lgkmcnt(0)
	v_cmp_neq_f64_e32 vcc_lo, 0, v[106:107]
	v_cmp_neq_f64_e64 s1, 0, v[108:109]
	s_or_b32 s1, vcc_lo, s1
	s_and_b32 exec_lo, exec_lo, s1
	s_cbranch_execz .LBB31_98
; %bb.93:
	v_cmp_ngt_f64_e64 s1, |v[106:107]|, |v[108:109]|
                                        ; implicit-def: $vgpr110_vgpr111
	s_and_saveexec_b32 s3, s1
	s_xor_b32 s1, exec_lo, s3
                                        ; implicit-def: $vgpr112_vgpr113
	s_cbranch_execz .LBB31_95
; %bb.94:
	v_div_scale_f64 v[110:111], null, v[108:109], v[108:109], v[106:107]
	v_div_scale_f64 v[116:117], vcc_lo, v[106:107], v[108:109], v[106:107]
	v_rcp_f64_e32 v[112:113], v[110:111]
	v_fma_f64 v[114:115], -v[110:111], v[112:113], 1.0
	v_fma_f64 v[112:113], v[112:113], v[114:115], v[112:113]
	v_fma_f64 v[114:115], -v[110:111], v[112:113], 1.0
	v_fma_f64 v[112:113], v[112:113], v[114:115], v[112:113]
	v_mul_f64 v[114:115], v[116:117], v[112:113]
	v_fma_f64 v[110:111], -v[110:111], v[114:115], v[116:117]
	v_div_fmas_f64 v[110:111], v[110:111], v[112:113], v[114:115]
	v_div_fixup_f64 v[110:111], v[110:111], v[108:109], v[106:107]
	v_fma_f64 v[106:107], v[106:107], v[110:111], v[108:109]
	v_div_scale_f64 v[108:109], null, v[106:107], v[106:107], 1.0
	v_rcp_f64_e32 v[112:113], v[108:109]
	v_fma_f64 v[114:115], -v[108:109], v[112:113], 1.0
	v_fma_f64 v[112:113], v[112:113], v[114:115], v[112:113]
	v_fma_f64 v[114:115], -v[108:109], v[112:113], 1.0
	v_fma_f64 v[112:113], v[112:113], v[114:115], v[112:113]
	v_div_scale_f64 v[114:115], vcc_lo, 1.0, v[106:107], 1.0
	v_mul_f64 v[116:117], v[114:115], v[112:113]
	v_fma_f64 v[108:109], -v[108:109], v[116:117], v[114:115]
	v_div_fmas_f64 v[108:109], v[108:109], v[112:113], v[116:117]
	v_div_fixup_f64 v[112:113], v[108:109], v[106:107], 1.0
                                        ; implicit-def: $vgpr106_vgpr107
	v_mul_f64 v[110:111], v[110:111], v[112:113]
	v_xor_b32_e32 v113, 0x80000000, v113
.LBB31_95:
	s_andn2_saveexec_b32 s1, s1
	s_cbranch_execz .LBB31_97
; %bb.96:
	v_div_scale_f64 v[110:111], null, v[106:107], v[106:107], v[108:109]
	v_div_scale_f64 v[116:117], vcc_lo, v[108:109], v[106:107], v[108:109]
	v_rcp_f64_e32 v[112:113], v[110:111]
	v_fma_f64 v[114:115], -v[110:111], v[112:113], 1.0
	v_fma_f64 v[112:113], v[112:113], v[114:115], v[112:113]
	v_fma_f64 v[114:115], -v[110:111], v[112:113], 1.0
	v_fma_f64 v[112:113], v[112:113], v[114:115], v[112:113]
	v_mul_f64 v[114:115], v[116:117], v[112:113]
	v_fma_f64 v[110:111], -v[110:111], v[114:115], v[116:117]
	v_div_fmas_f64 v[110:111], v[110:111], v[112:113], v[114:115]
	v_div_fixup_f64 v[112:113], v[110:111], v[106:107], v[108:109]
	v_fma_f64 v[106:107], v[108:109], v[112:113], v[106:107]
	v_div_scale_f64 v[108:109], null, v[106:107], v[106:107], 1.0
	v_rcp_f64_e32 v[110:111], v[108:109]
	v_fma_f64 v[114:115], -v[108:109], v[110:111], 1.0
	v_fma_f64 v[110:111], v[110:111], v[114:115], v[110:111]
	v_fma_f64 v[114:115], -v[108:109], v[110:111], 1.0
	v_fma_f64 v[110:111], v[110:111], v[114:115], v[110:111]
	v_div_scale_f64 v[114:115], vcc_lo, 1.0, v[106:107], 1.0
	v_mul_f64 v[116:117], v[114:115], v[110:111]
	v_fma_f64 v[108:109], -v[108:109], v[116:117], v[114:115]
	v_div_fmas_f64 v[108:109], v[108:109], v[110:111], v[116:117]
	v_div_fixup_f64 v[110:111], v[108:109], v[106:107], 1.0
	v_mul_f64 v[112:113], v[112:113], -v[110:111]
.LBB31_97:
	s_or_b32 exec_lo, exec_lo, s1
	ds_write2_b64 v1, v[110:111], v[112:113] offset1:1
.LBB31_98:
	s_or_b32 exec_lo, exec_lo, s2
	s_waitcnt lgkmcnt(0)
	s_barrier
	buffer_gl0_inv
	ds_read2_b64 v[106:109], v1 offset1:1
	s_mov_b32 s1, exec_lo
	v_cmpx_lt_u32_e32 10, v0
	s_cbranch_execz .LBB31_100
; %bb.99:
	s_waitcnt lgkmcnt(0)
	v_mul_f64 v[110:111], v[106:107], v[40:41]
	v_mul_f64 v[40:41], v[108:109], v[40:41]
	v_fma_f64 v[165:166], v[108:109], v[38:39], v[110:111]
	ds_read2_b64 v[110:113], v164 offset0:22 offset1:23
	ds_read2_b64 v[114:117], v164 offset0:24 offset1:25
	;; [unrolled: 1-line block ×5, first 2 shown]
	v_fma_f64 v[38:39], v[106:107], v[38:39], -v[40:41]
	s_waitcnt lgkmcnt(4)
	v_mul_f64 v[40:41], v[112:113], v[165:166]
	v_mul_f64 v[167:168], v[110:111], v[165:166]
	s_waitcnt lgkmcnt(3)
	v_mul_f64 v[169:170], v[116:117], v[165:166]
	v_mul_f64 v[171:172], v[114:115], v[165:166]
	;; [unrolled: 3-line block ×5, first 2 shown]
	v_fma_f64 v[40:41], v[110:111], v[38:39], -v[40:41]
	v_fma_f64 v[110:111], v[112:113], v[38:39], v[167:168]
	v_fma_f64 v[112:113], v[114:115], v[38:39], -v[169:170]
	v_fma_f64 v[114:115], v[116:117], v[38:39], v[171:172]
	;; [unrolled: 2-line block ×5, first 2 shown]
	v_add_f64 v[34:35], v[34:35], -v[40:41]
	v_add_f64 v[36:37], v[36:37], -v[110:111]
	;; [unrolled: 1-line block ×10, first 2 shown]
	v_mov_b32_e32 v40, v165
	v_mov_b32_e32 v41, v166
.LBB31_100:
	s_or_b32 exec_lo, exec_lo, s1
	s_mov_b32 s2, exec_lo
	s_waitcnt lgkmcnt(0)
	s_barrier
	buffer_gl0_inv
	v_cmpx_eq_u32_e32 11, v0
	s_cbranch_execz .LBB31_107
; %bb.101:
	ds_write2_b64 v1, v[34:35], v[36:37] offset1:1
	ds_write2_b64 v164, v[30:31], v[32:33] offset0:24 offset1:25
	ds_write2_b64 v164, v[26:27], v[28:29] offset0:26 offset1:27
	;; [unrolled: 1-line block ×4, first 2 shown]
	ds_read2_b64 v[110:113], v1 offset1:1
	s_waitcnt lgkmcnt(0)
	v_cmp_neq_f64_e32 vcc_lo, 0, v[110:111]
	v_cmp_neq_f64_e64 s1, 0, v[112:113]
	s_or_b32 s1, vcc_lo, s1
	s_and_b32 exec_lo, exec_lo, s1
	s_cbranch_execz .LBB31_107
; %bb.102:
	v_cmp_ngt_f64_e64 s1, |v[110:111]|, |v[112:113]|
                                        ; implicit-def: $vgpr114_vgpr115
	s_and_saveexec_b32 s3, s1
	s_xor_b32 s1, exec_lo, s3
                                        ; implicit-def: $vgpr116_vgpr117
	s_cbranch_execz .LBB31_104
; %bb.103:
	v_div_scale_f64 v[114:115], null, v[112:113], v[112:113], v[110:111]
	v_div_scale_f64 v[120:121], vcc_lo, v[110:111], v[112:113], v[110:111]
	v_rcp_f64_e32 v[116:117], v[114:115]
	v_fma_f64 v[118:119], -v[114:115], v[116:117], 1.0
	v_fma_f64 v[116:117], v[116:117], v[118:119], v[116:117]
	v_fma_f64 v[118:119], -v[114:115], v[116:117], 1.0
	v_fma_f64 v[116:117], v[116:117], v[118:119], v[116:117]
	v_mul_f64 v[118:119], v[120:121], v[116:117]
	v_fma_f64 v[114:115], -v[114:115], v[118:119], v[120:121]
	v_div_fmas_f64 v[114:115], v[114:115], v[116:117], v[118:119]
	v_div_fixup_f64 v[114:115], v[114:115], v[112:113], v[110:111]
	v_fma_f64 v[110:111], v[110:111], v[114:115], v[112:113]
	v_div_scale_f64 v[112:113], null, v[110:111], v[110:111], 1.0
	v_rcp_f64_e32 v[116:117], v[112:113]
	v_fma_f64 v[118:119], -v[112:113], v[116:117], 1.0
	v_fma_f64 v[116:117], v[116:117], v[118:119], v[116:117]
	v_fma_f64 v[118:119], -v[112:113], v[116:117], 1.0
	v_fma_f64 v[116:117], v[116:117], v[118:119], v[116:117]
	v_div_scale_f64 v[118:119], vcc_lo, 1.0, v[110:111], 1.0
	v_mul_f64 v[120:121], v[118:119], v[116:117]
	v_fma_f64 v[112:113], -v[112:113], v[120:121], v[118:119]
	v_div_fmas_f64 v[112:113], v[112:113], v[116:117], v[120:121]
	v_div_fixup_f64 v[116:117], v[112:113], v[110:111], 1.0
                                        ; implicit-def: $vgpr110_vgpr111
	v_mul_f64 v[114:115], v[114:115], v[116:117]
	v_xor_b32_e32 v117, 0x80000000, v117
.LBB31_104:
	s_andn2_saveexec_b32 s1, s1
	s_cbranch_execz .LBB31_106
; %bb.105:
	v_div_scale_f64 v[114:115], null, v[110:111], v[110:111], v[112:113]
	v_div_scale_f64 v[120:121], vcc_lo, v[112:113], v[110:111], v[112:113]
	v_rcp_f64_e32 v[116:117], v[114:115]
	v_fma_f64 v[118:119], -v[114:115], v[116:117], 1.0
	v_fma_f64 v[116:117], v[116:117], v[118:119], v[116:117]
	v_fma_f64 v[118:119], -v[114:115], v[116:117], 1.0
	v_fma_f64 v[116:117], v[116:117], v[118:119], v[116:117]
	v_mul_f64 v[118:119], v[120:121], v[116:117]
	v_fma_f64 v[114:115], -v[114:115], v[118:119], v[120:121]
	v_div_fmas_f64 v[114:115], v[114:115], v[116:117], v[118:119]
	v_div_fixup_f64 v[116:117], v[114:115], v[110:111], v[112:113]
	v_fma_f64 v[110:111], v[112:113], v[116:117], v[110:111]
	v_div_scale_f64 v[112:113], null, v[110:111], v[110:111], 1.0
	v_rcp_f64_e32 v[114:115], v[112:113]
	v_fma_f64 v[118:119], -v[112:113], v[114:115], 1.0
	v_fma_f64 v[114:115], v[114:115], v[118:119], v[114:115]
	v_fma_f64 v[118:119], -v[112:113], v[114:115], 1.0
	v_fma_f64 v[114:115], v[114:115], v[118:119], v[114:115]
	v_div_scale_f64 v[118:119], vcc_lo, 1.0, v[110:111], 1.0
	v_mul_f64 v[120:121], v[118:119], v[114:115]
	v_fma_f64 v[112:113], -v[112:113], v[120:121], v[118:119]
	v_div_fmas_f64 v[112:113], v[112:113], v[114:115], v[120:121]
	v_div_fixup_f64 v[114:115], v[112:113], v[110:111], 1.0
	v_mul_f64 v[116:117], v[116:117], -v[114:115]
.LBB31_106:
	s_or_b32 exec_lo, exec_lo, s1
	ds_write2_b64 v1, v[114:115], v[116:117] offset1:1
.LBB31_107:
	s_or_b32 exec_lo, exec_lo, s2
	s_waitcnt lgkmcnt(0)
	s_barrier
	buffer_gl0_inv
	ds_read2_b64 v[110:113], v1 offset1:1
	s_mov_b32 s1, exec_lo
	v_cmpx_lt_u32_e32 11, v0
	s_cbranch_execz .LBB31_109
; %bb.108:
	s_waitcnt lgkmcnt(0)
	v_mul_f64 v[114:115], v[110:111], v[36:37]
	v_mul_f64 v[36:37], v[112:113], v[36:37]
	v_fma_f64 v[165:166], v[112:113], v[34:35], v[114:115]
	ds_read2_b64 v[114:117], v164 offset0:24 offset1:25
	ds_read2_b64 v[118:121], v164 offset0:26 offset1:27
	;; [unrolled: 1-line block ×4, first 2 shown]
	v_fma_f64 v[34:35], v[110:111], v[34:35], -v[36:37]
	s_waitcnt lgkmcnt(3)
	v_mul_f64 v[36:37], v[116:117], v[165:166]
	v_mul_f64 v[167:168], v[114:115], v[165:166]
	s_waitcnt lgkmcnt(2)
	v_mul_f64 v[169:170], v[120:121], v[165:166]
	v_mul_f64 v[171:172], v[118:119], v[165:166]
	;; [unrolled: 3-line block ×4, first 2 shown]
	v_fma_f64 v[36:37], v[114:115], v[34:35], -v[36:37]
	v_fma_f64 v[114:115], v[116:117], v[34:35], v[167:168]
	v_fma_f64 v[116:117], v[118:119], v[34:35], -v[169:170]
	v_fma_f64 v[118:119], v[120:121], v[34:35], v[171:172]
	;; [unrolled: 2-line block ×4, first 2 shown]
	v_add_f64 v[30:31], v[30:31], -v[36:37]
	v_add_f64 v[32:33], v[32:33], -v[114:115]
	;; [unrolled: 1-line block ×8, first 2 shown]
	v_mov_b32_e32 v36, v165
	v_mov_b32_e32 v37, v166
.LBB31_109:
	s_or_b32 exec_lo, exec_lo, s1
	s_mov_b32 s2, exec_lo
	s_waitcnt lgkmcnt(0)
	s_barrier
	buffer_gl0_inv
	v_cmpx_eq_u32_e32 12, v0
	s_cbranch_execz .LBB31_116
; %bb.110:
	ds_write2_b64 v1, v[30:31], v[32:33] offset1:1
	ds_write2_b64 v164, v[26:27], v[28:29] offset0:26 offset1:27
	ds_write2_b64 v164, v[22:23], v[24:25] offset0:28 offset1:29
	;; [unrolled: 1-line block ×3, first 2 shown]
	ds_read2_b64 v[114:117], v1 offset1:1
	s_waitcnt lgkmcnt(0)
	v_cmp_neq_f64_e32 vcc_lo, 0, v[114:115]
	v_cmp_neq_f64_e64 s1, 0, v[116:117]
	s_or_b32 s1, vcc_lo, s1
	s_and_b32 exec_lo, exec_lo, s1
	s_cbranch_execz .LBB31_116
; %bb.111:
	v_cmp_ngt_f64_e64 s1, |v[114:115]|, |v[116:117]|
                                        ; implicit-def: $vgpr118_vgpr119
	s_and_saveexec_b32 s3, s1
	s_xor_b32 s1, exec_lo, s3
                                        ; implicit-def: $vgpr120_vgpr121
	s_cbranch_execz .LBB31_113
; %bb.112:
	v_div_scale_f64 v[118:119], null, v[116:117], v[116:117], v[114:115]
	v_div_scale_f64 v[124:125], vcc_lo, v[114:115], v[116:117], v[114:115]
	v_rcp_f64_e32 v[120:121], v[118:119]
	v_fma_f64 v[122:123], -v[118:119], v[120:121], 1.0
	v_fma_f64 v[120:121], v[120:121], v[122:123], v[120:121]
	v_fma_f64 v[122:123], -v[118:119], v[120:121], 1.0
	v_fma_f64 v[120:121], v[120:121], v[122:123], v[120:121]
	v_mul_f64 v[122:123], v[124:125], v[120:121]
	v_fma_f64 v[118:119], -v[118:119], v[122:123], v[124:125]
	v_div_fmas_f64 v[118:119], v[118:119], v[120:121], v[122:123]
	v_div_fixup_f64 v[118:119], v[118:119], v[116:117], v[114:115]
	v_fma_f64 v[114:115], v[114:115], v[118:119], v[116:117]
	v_div_scale_f64 v[116:117], null, v[114:115], v[114:115], 1.0
	v_rcp_f64_e32 v[120:121], v[116:117]
	v_fma_f64 v[122:123], -v[116:117], v[120:121], 1.0
	v_fma_f64 v[120:121], v[120:121], v[122:123], v[120:121]
	v_fma_f64 v[122:123], -v[116:117], v[120:121], 1.0
	v_fma_f64 v[120:121], v[120:121], v[122:123], v[120:121]
	v_div_scale_f64 v[122:123], vcc_lo, 1.0, v[114:115], 1.0
	v_mul_f64 v[124:125], v[122:123], v[120:121]
	v_fma_f64 v[116:117], -v[116:117], v[124:125], v[122:123]
	v_div_fmas_f64 v[116:117], v[116:117], v[120:121], v[124:125]
	v_div_fixup_f64 v[120:121], v[116:117], v[114:115], 1.0
                                        ; implicit-def: $vgpr114_vgpr115
	v_mul_f64 v[118:119], v[118:119], v[120:121]
	v_xor_b32_e32 v121, 0x80000000, v121
.LBB31_113:
	s_andn2_saveexec_b32 s1, s1
	s_cbranch_execz .LBB31_115
; %bb.114:
	v_div_scale_f64 v[118:119], null, v[114:115], v[114:115], v[116:117]
	v_div_scale_f64 v[124:125], vcc_lo, v[116:117], v[114:115], v[116:117]
	v_rcp_f64_e32 v[120:121], v[118:119]
	v_fma_f64 v[122:123], -v[118:119], v[120:121], 1.0
	v_fma_f64 v[120:121], v[120:121], v[122:123], v[120:121]
	v_fma_f64 v[122:123], -v[118:119], v[120:121], 1.0
	v_fma_f64 v[120:121], v[120:121], v[122:123], v[120:121]
	v_mul_f64 v[122:123], v[124:125], v[120:121]
	v_fma_f64 v[118:119], -v[118:119], v[122:123], v[124:125]
	v_div_fmas_f64 v[118:119], v[118:119], v[120:121], v[122:123]
	v_div_fixup_f64 v[120:121], v[118:119], v[114:115], v[116:117]
	v_fma_f64 v[114:115], v[116:117], v[120:121], v[114:115]
	v_div_scale_f64 v[116:117], null, v[114:115], v[114:115], 1.0
	v_rcp_f64_e32 v[118:119], v[116:117]
	v_fma_f64 v[122:123], -v[116:117], v[118:119], 1.0
	v_fma_f64 v[118:119], v[118:119], v[122:123], v[118:119]
	v_fma_f64 v[122:123], -v[116:117], v[118:119], 1.0
	v_fma_f64 v[118:119], v[118:119], v[122:123], v[118:119]
	v_div_scale_f64 v[122:123], vcc_lo, 1.0, v[114:115], 1.0
	v_mul_f64 v[124:125], v[122:123], v[118:119]
	v_fma_f64 v[116:117], -v[116:117], v[124:125], v[122:123]
	v_div_fmas_f64 v[116:117], v[116:117], v[118:119], v[124:125]
	v_div_fixup_f64 v[118:119], v[116:117], v[114:115], 1.0
	v_mul_f64 v[120:121], v[120:121], -v[118:119]
.LBB31_115:
	s_or_b32 exec_lo, exec_lo, s1
	ds_write2_b64 v1, v[118:119], v[120:121] offset1:1
.LBB31_116:
	s_or_b32 exec_lo, exec_lo, s2
	s_waitcnt lgkmcnt(0)
	s_barrier
	buffer_gl0_inv
	ds_read2_b64 v[114:117], v1 offset1:1
	s_mov_b32 s1, exec_lo
	v_cmpx_lt_u32_e32 12, v0
	s_cbranch_execz .LBB31_118
; %bb.117:
	s_waitcnt lgkmcnt(0)
	v_mul_f64 v[118:119], v[114:115], v[32:33]
	v_mul_f64 v[32:33], v[116:117], v[32:33]
	v_fma_f64 v[165:166], v[116:117], v[30:31], v[118:119]
	ds_read2_b64 v[118:121], v164 offset0:26 offset1:27
	ds_read2_b64 v[122:125], v164 offset0:28 offset1:29
	;; [unrolled: 1-line block ×3, first 2 shown]
	v_fma_f64 v[30:31], v[114:115], v[30:31], -v[32:33]
	s_waitcnt lgkmcnt(2)
	v_mul_f64 v[32:33], v[120:121], v[165:166]
	v_mul_f64 v[167:168], v[118:119], v[165:166]
	s_waitcnt lgkmcnt(1)
	v_mul_f64 v[169:170], v[124:125], v[165:166]
	v_mul_f64 v[171:172], v[122:123], v[165:166]
	;; [unrolled: 3-line block ×3, first 2 shown]
	v_fma_f64 v[32:33], v[118:119], v[30:31], -v[32:33]
	v_fma_f64 v[118:119], v[120:121], v[30:31], v[167:168]
	v_fma_f64 v[120:121], v[122:123], v[30:31], -v[169:170]
	v_fma_f64 v[122:123], v[124:125], v[30:31], v[171:172]
	;; [unrolled: 2-line block ×3, first 2 shown]
	v_add_f64 v[26:27], v[26:27], -v[32:33]
	v_add_f64 v[28:29], v[28:29], -v[118:119]
	;; [unrolled: 1-line block ×6, first 2 shown]
	v_mov_b32_e32 v32, v165
	v_mov_b32_e32 v33, v166
.LBB31_118:
	s_or_b32 exec_lo, exec_lo, s1
	s_mov_b32 s2, exec_lo
	s_waitcnt lgkmcnt(0)
	s_barrier
	buffer_gl0_inv
	v_cmpx_eq_u32_e32 13, v0
	s_cbranch_execz .LBB31_125
; %bb.119:
	ds_write2_b64 v1, v[26:27], v[28:29] offset1:1
	ds_write2_b64 v164, v[22:23], v[24:25] offset0:28 offset1:29
	ds_write2_b64 v164, v[18:19], v[20:21] offset0:30 offset1:31
	ds_read2_b64 v[118:121], v1 offset1:1
	s_waitcnt lgkmcnt(0)
	v_cmp_neq_f64_e32 vcc_lo, 0, v[118:119]
	v_cmp_neq_f64_e64 s1, 0, v[120:121]
	s_or_b32 s1, vcc_lo, s1
	s_and_b32 exec_lo, exec_lo, s1
	s_cbranch_execz .LBB31_125
; %bb.120:
	v_cmp_ngt_f64_e64 s1, |v[118:119]|, |v[120:121]|
                                        ; implicit-def: $vgpr122_vgpr123
	s_and_saveexec_b32 s3, s1
	s_xor_b32 s1, exec_lo, s3
                                        ; implicit-def: $vgpr124_vgpr125
	s_cbranch_execz .LBB31_122
; %bb.121:
	v_div_scale_f64 v[122:123], null, v[120:121], v[120:121], v[118:119]
	v_div_scale_f64 v[128:129], vcc_lo, v[118:119], v[120:121], v[118:119]
	v_rcp_f64_e32 v[124:125], v[122:123]
	v_fma_f64 v[126:127], -v[122:123], v[124:125], 1.0
	v_fma_f64 v[124:125], v[124:125], v[126:127], v[124:125]
	v_fma_f64 v[126:127], -v[122:123], v[124:125], 1.0
	v_fma_f64 v[124:125], v[124:125], v[126:127], v[124:125]
	v_mul_f64 v[126:127], v[128:129], v[124:125]
	v_fma_f64 v[122:123], -v[122:123], v[126:127], v[128:129]
	v_div_fmas_f64 v[122:123], v[122:123], v[124:125], v[126:127]
	v_div_fixup_f64 v[122:123], v[122:123], v[120:121], v[118:119]
	v_fma_f64 v[118:119], v[118:119], v[122:123], v[120:121]
	v_div_scale_f64 v[120:121], null, v[118:119], v[118:119], 1.0
	v_rcp_f64_e32 v[124:125], v[120:121]
	v_fma_f64 v[126:127], -v[120:121], v[124:125], 1.0
	v_fma_f64 v[124:125], v[124:125], v[126:127], v[124:125]
	v_fma_f64 v[126:127], -v[120:121], v[124:125], 1.0
	v_fma_f64 v[124:125], v[124:125], v[126:127], v[124:125]
	v_div_scale_f64 v[126:127], vcc_lo, 1.0, v[118:119], 1.0
	v_mul_f64 v[128:129], v[126:127], v[124:125]
	v_fma_f64 v[120:121], -v[120:121], v[128:129], v[126:127]
	v_div_fmas_f64 v[120:121], v[120:121], v[124:125], v[128:129]
	v_div_fixup_f64 v[124:125], v[120:121], v[118:119], 1.0
                                        ; implicit-def: $vgpr118_vgpr119
	v_mul_f64 v[122:123], v[122:123], v[124:125]
	v_xor_b32_e32 v125, 0x80000000, v125
.LBB31_122:
	s_andn2_saveexec_b32 s1, s1
	s_cbranch_execz .LBB31_124
; %bb.123:
	v_div_scale_f64 v[122:123], null, v[118:119], v[118:119], v[120:121]
	v_div_scale_f64 v[128:129], vcc_lo, v[120:121], v[118:119], v[120:121]
	v_rcp_f64_e32 v[124:125], v[122:123]
	v_fma_f64 v[126:127], -v[122:123], v[124:125], 1.0
	v_fma_f64 v[124:125], v[124:125], v[126:127], v[124:125]
	v_fma_f64 v[126:127], -v[122:123], v[124:125], 1.0
	v_fma_f64 v[124:125], v[124:125], v[126:127], v[124:125]
	v_mul_f64 v[126:127], v[128:129], v[124:125]
	v_fma_f64 v[122:123], -v[122:123], v[126:127], v[128:129]
	v_div_fmas_f64 v[122:123], v[122:123], v[124:125], v[126:127]
	v_div_fixup_f64 v[124:125], v[122:123], v[118:119], v[120:121]
	v_fma_f64 v[118:119], v[120:121], v[124:125], v[118:119]
	v_div_scale_f64 v[120:121], null, v[118:119], v[118:119], 1.0
	v_rcp_f64_e32 v[122:123], v[120:121]
	v_fma_f64 v[126:127], -v[120:121], v[122:123], 1.0
	v_fma_f64 v[122:123], v[122:123], v[126:127], v[122:123]
	v_fma_f64 v[126:127], -v[120:121], v[122:123], 1.0
	v_fma_f64 v[122:123], v[122:123], v[126:127], v[122:123]
	v_div_scale_f64 v[126:127], vcc_lo, 1.0, v[118:119], 1.0
	v_mul_f64 v[128:129], v[126:127], v[122:123]
	v_fma_f64 v[120:121], -v[120:121], v[128:129], v[126:127]
	v_div_fmas_f64 v[120:121], v[120:121], v[122:123], v[128:129]
	v_div_fixup_f64 v[122:123], v[120:121], v[118:119], 1.0
	v_mul_f64 v[124:125], v[124:125], -v[122:123]
.LBB31_124:
	s_or_b32 exec_lo, exec_lo, s1
	ds_write2_b64 v1, v[122:123], v[124:125] offset1:1
.LBB31_125:
	s_or_b32 exec_lo, exec_lo, s2
	s_waitcnt lgkmcnt(0)
	s_barrier
	buffer_gl0_inv
	ds_read2_b64 v[118:121], v1 offset1:1
	s_mov_b32 s1, exec_lo
	v_cmpx_lt_u32_e32 13, v0
	s_cbranch_execz .LBB31_127
; %bb.126:
	s_waitcnt lgkmcnt(0)
	v_mul_f64 v[122:123], v[118:119], v[28:29]
	v_mul_f64 v[28:29], v[120:121], v[28:29]
	v_fma_f64 v[165:166], v[120:121], v[26:27], v[122:123]
	ds_read2_b64 v[122:125], v164 offset0:28 offset1:29
	ds_read2_b64 v[126:129], v164 offset0:30 offset1:31
	v_fma_f64 v[26:27], v[118:119], v[26:27], -v[28:29]
	s_waitcnt lgkmcnt(1)
	v_mul_f64 v[28:29], v[124:125], v[165:166]
	v_mul_f64 v[167:168], v[122:123], v[165:166]
	s_waitcnt lgkmcnt(0)
	v_mul_f64 v[169:170], v[128:129], v[165:166]
	v_mul_f64 v[171:172], v[126:127], v[165:166]
	v_fma_f64 v[28:29], v[122:123], v[26:27], -v[28:29]
	v_fma_f64 v[122:123], v[124:125], v[26:27], v[167:168]
	v_fma_f64 v[124:125], v[126:127], v[26:27], -v[169:170]
	v_fma_f64 v[126:127], v[128:129], v[26:27], v[171:172]
	v_add_f64 v[22:23], v[22:23], -v[28:29]
	v_add_f64 v[24:25], v[24:25], -v[122:123]
	;; [unrolled: 1-line block ×4, first 2 shown]
	v_mov_b32_e32 v28, v165
	v_mov_b32_e32 v29, v166
.LBB31_127:
	s_or_b32 exec_lo, exec_lo, s1
	s_mov_b32 s2, exec_lo
	s_waitcnt lgkmcnt(0)
	s_barrier
	buffer_gl0_inv
	v_cmpx_eq_u32_e32 14, v0
	s_cbranch_execz .LBB31_134
; %bb.128:
	ds_write2_b64 v1, v[22:23], v[24:25] offset1:1
	ds_write2_b64 v164, v[18:19], v[20:21] offset0:30 offset1:31
	ds_read2_b64 v[122:125], v1 offset1:1
	s_waitcnt lgkmcnt(0)
	v_cmp_neq_f64_e32 vcc_lo, 0, v[122:123]
	v_cmp_neq_f64_e64 s1, 0, v[124:125]
	s_or_b32 s1, vcc_lo, s1
	s_and_b32 exec_lo, exec_lo, s1
	s_cbranch_execz .LBB31_134
; %bb.129:
	v_cmp_ngt_f64_e64 s1, |v[122:123]|, |v[124:125]|
                                        ; implicit-def: $vgpr126_vgpr127
	s_and_saveexec_b32 s3, s1
	s_xor_b32 s1, exec_lo, s3
                                        ; implicit-def: $vgpr128_vgpr129
	s_cbranch_execz .LBB31_131
; %bb.130:
	v_div_scale_f64 v[126:127], null, v[124:125], v[124:125], v[122:123]
	v_div_scale_f64 v[167:168], vcc_lo, v[122:123], v[124:125], v[122:123]
	v_rcp_f64_e32 v[128:129], v[126:127]
	v_fma_f64 v[165:166], -v[126:127], v[128:129], 1.0
	v_fma_f64 v[128:129], v[128:129], v[165:166], v[128:129]
	v_fma_f64 v[165:166], -v[126:127], v[128:129], 1.0
	v_fma_f64 v[128:129], v[128:129], v[165:166], v[128:129]
	v_mul_f64 v[165:166], v[167:168], v[128:129]
	v_fma_f64 v[126:127], -v[126:127], v[165:166], v[167:168]
	v_div_fmas_f64 v[126:127], v[126:127], v[128:129], v[165:166]
	v_div_fixup_f64 v[126:127], v[126:127], v[124:125], v[122:123]
	v_fma_f64 v[122:123], v[122:123], v[126:127], v[124:125]
	v_div_scale_f64 v[124:125], null, v[122:123], v[122:123], 1.0
	v_rcp_f64_e32 v[128:129], v[124:125]
	v_fma_f64 v[165:166], -v[124:125], v[128:129], 1.0
	v_fma_f64 v[128:129], v[128:129], v[165:166], v[128:129]
	v_fma_f64 v[165:166], -v[124:125], v[128:129], 1.0
	v_fma_f64 v[128:129], v[128:129], v[165:166], v[128:129]
	v_div_scale_f64 v[165:166], vcc_lo, 1.0, v[122:123], 1.0
	v_mul_f64 v[167:168], v[165:166], v[128:129]
	v_fma_f64 v[124:125], -v[124:125], v[167:168], v[165:166]
	v_div_fmas_f64 v[124:125], v[124:125], v[128:129], v[167:168]
	v_div_fixup_f64 v[128:129], v[124:125], v[122:123], 1.0
                                        ; implicit-def: $vgpr122_vgpr123
	v_mul_f64 v[126:127], v[126:127], v[128:129]
	v_xor_b32_e32 v129, 0x80000000, v129
.LBB31_131:
	s_andn2_saveexec_b32 s1, s1
	s_cbranch_execz .LBB31_133
; %bb.132:
	v_div_scale_f64 v[126:127], null, v[122:123], v[122:123], v[124:125]
	v_div_scale_f64 v[167:168], vcc_lo, v[124:125], v[122:123], v[124:125]
	v_rcp_f64_e32 v[128:129], v[126:127]
	v_fma_f64 v[165:166], -v[126:127], v[128:129], 1.0
	v_fma_f64 v[128:129], v[128:129], v[165:166], v[128:129]
	v_fma_f64 v[165:166], -v[126:127], v[128:129], 1.0
	v_fma_f64 v[128:129], v[128:129], v[165:166], v[128:129]
	v_mul_f64 v[165:166], v[167:168], v[128:129]
	v_fma_f64 v[126:127], -v[126:127], v[165:166], v[167:168]
	v_div_fmas_f64 v[126:127], v[126:127], v[128:129], v[165:166]
	v_div_fixup_f64 v[128:129], v[126:127], v[122:123], v[124:125]
	v_fma_f64 v[122:123], v[124:125], v[128:129], v[122:123]
	v_div_scale_f64 v[124:125], null, v[122:123], v[122:123], 1.0
	v_rcp_f64_e32 v[126:127], v[124:125]
	v_fma_f64 v[165:166], -v[124:125], v[126:127], 1.0
	v_fma_f64 v[126:127], v[126:127], v[165:166], v[126:127]
	v_fma_f64 v[165:166], -v[124:125], v[126:127], 1.0
	v_fma_f64 v[126:127], v[126:127], v[165:166], v[126:127]
	v_div_scale_f64 v[165:166], vcc_lo, 1.0, v[122:123], 1.0
	v_mul_f64 v[167:168], v[165:166], v[126:127]
	v_fma_f64 v[124:125], -v[124:125], v[167:168], v[165:166]
	v_div_fmas_f64 v[124:125], v[124:125], v[126:127], v[167:168]
	v_div_fixup_f64 v[126:127], v[124:125], v[122:123], 1.0
	v_mul_f64 v[128:129], v[128:129], -v[126:127]
.LBB31_133:
	s_or_b32 exec_lo, exec_lo, s1
	ds_write2_b64 v1, v[126:127], v[128:129] offset1:1
.LBB31_134:
	s_or_b32 exec_lo, exec_lo, s2
	s_waitcnt lgkmcnt(0)
	s_barrier
	buffer_gl0_inv
	ds_read2_b64 v[122:125], v1 offset1:1
	s_mov_b32 s1, exec_lo
	v_cmpx_lt_u32_e32 14, v0
	s_cbranch_execz .LBB31_136
; %bb.135:
	s_waitcnt lgkmcnt(0)
	v_mul_f64 v[126:127], v[122:123], v[24:25]
	v_mul_f64 v[24:25], v[124:125], v[24:25]
	v_fma_f64 v[165:166], v[124:125], v[22:23], v[126:127]
	ds_read2_b64 v[126:129], v164 offset0:30 offset1:31
	v_fma_f64 v[22:23], v[122:123], v[22:23], -v[24:25]
	s_waitcnt lgkmcnt(0)
	v_mul_f64 v[24:25], v[128:129], v[165:166]
	v_mul_f64 v[167:168], v[126:127], v[165:166]
	v_fma_f64 v[24:25], v[126:127], v[22:23], -v[24:25]
	v_fma_f64 v[126:127], v[128:129], v[22:23], v[167:168]
	v_add_f64 v[18:19], v[18:19], -v[24:25]
	v_add_f64 v[20:21], v[20:21], -v[126:127]
	v_mov_b32_e32 v24, v165
	v_mov_b32_e32 v25, v166
.LBB31_136:
	s_or_b32 exec_lo, exec_lo, s1
	s_mov_b32 s2, exec_lo
	s_waitcnt lgkmcnt(0)
	s_barrier
	buffer_gl0_inv
	v_cmpx_eq_u32_e32 15, v0
	s_cbranch_execz .LBB31_143
; %bb.137:
	v_cmp_neq_f64_e32 vcc_lo, 0, v[18:19]
	v_cmp_neq_f64_e64 s1, 0, v[20:21]
	ds_write2_b64 v1, v[18:19], v[20:21] offset1:1
	s_or_b32 s1, vcc_lo, s1
	s_and_b32 exec_lo, exec_lo, s1
	s_cbranch_execz .LBB31_143
; %bb.138:
	v_cmp_ngt_f64_e64 s1, |v[18:19]|, |v[20:21]|
                                        ; implicit-def: $vgpr126_vgpr127
	s_and_saveexec_b32 s3, s1
	s_xor_b32 s1, exec_lo, s3
                                        ; implicit-def: $vgpr128_vgpr129
	s_cbranch_execz .LBB31_140
; %bb.139:
	v_div_scale_f64 v[126:127], null, v[20:21], v[20:21], v[18:19]
	v_div_scale_f64 v[166:167], vcc_lo, v[18:19], v[20:21], v[18:19]
	v_rcp_f64_e32 v[128:129], v[126:127]
	v_fma_f64 v[164:165], -v[126:127], v[128:129], 1.0
	v_fma_f64 v[128:129], v[128:129], v[164:165], v[128:129]
	v_fma_f64 v[164:165], -v[126:127], v[128:129], 1.0
	v_fma_f64 v[128:129], v[128:129], v[164:165], v[128:129]
	v_mul_f64 v[164:165], v[166:167], v[128:129]
	v_fma_f64 v[126:127], -v[126:127], v[164:165], v[166:167]
	v_div_fmas_f64 v[126:127], v[126:127], v[128:129], v[164:165]
	v_div_fixup_f64 v[126:127], v[126:127], v[20:21], v[18:19]
	v_fma_f64 v[128:129], v[18:19], v[126:127], v[20:21]
	v_div_scale_f64 v[164:165], null, v[128:129], v[128:129], 1.0
	v_rcp_f64_e32 v[166:167], v[164:165]
	v_fma_f64 v[168:169], -v[164:165], v[166:167], 1.0
	v_fma_f64 v[166:167], v[166:167], v[168:169], v[166:167]
	v_fma_f64 v[168:169], -v[164:165], v[166:167], 1.0
	v_fma_f64 v[166:167], v[166:167], v[168:169], v[166:167]
	v_div_scale_f64 v[168:169], vcc_lo, 1.0, v[128:129], 1.0
	v_mul_f64 v[170:171], v[168:169], v[166:167]
	v_fma_f64 v[164:165], -v[164:165], v[170:171], v[168:169]
	v_div_fmas_f64 v[164:165], v[164:165], v[166:167], v[170:171]
	v_div_fixup_f64 v[128:129], v[164:165], v[128:129], 1.0
	v_mul_f64 v[126:127], v[126:127], v[128:129]
	v_xor_b32_e32 v129, 0x80000000, v129
.LBB31_140:
	s_andn2_saveexec_b32 s1, s1
	s_cbranch_execz .LBB31_142
; %bb.141:
	v_div_scale_f64 v[126:127], null, v[18:19], v[18:19], v[20:21]
	v_div_scale_f64 v[166:167], vcc_lo, v[20:21], v[18:19], v[20:21]
	v_rcp_f64_e32 v[128:129], v[126:127]
	v_fma_f64 v[164:165], -v[126:127], v[128:129], 1.0
	v_fma_f64 v[128:129], v[128:129], v[164:165], v[128:129]
	v_fma_f64 v[164:165], -v[126:127], v[128:129], 1.0
	v_fma_f64 v[128:129], v[128:129], v[164:165], v[128:129]
	v_mul_f64 v[164:165], v[166:167], v[128:129]
	v_fma_f64 v[126:127], -v[126:127], v[164:165], v[166:167]
	v_div_fmas_f64 v[126:127], v[126:127], v[128:129], v[164:165]
	v_div_fixup_f64 v[128:129], v[126:127], v[18:19], v[20:21]
	v_fma_f64 v[126:127], v[20:21], v[128:129], v[18:19]
	v_div_scale_f64 v[164:165], null, v[126:127], v[126:127], 1.0
	v_rcp_f64_e32 v[166:167], v[164:165]
	v_fma_f64 v[168:169], -v[164:165], v[166:167], 1.0
	v_fma_f64 v[166:167], v[166:167], v[168:169], v[166:167]
	v_fma_f64 v[168:169], -v[164:165], v[166:167], 1.0
	v_fma_f64 v[166:167], v[166:167], v[168:169], v[166:167]
	v_div_scale_f64 v[168:169], vcc_lo, 1.0, v[126:127], 1.0
	v_mul_f64 v[170:171], v[168:169], v[166:167]
	v_fma_f64 v[164:165], -v[164:165], v[170:171], v[168:169]
	v_div_fmas_f64 v[164:165], v[164:165], v[166:167], v[170:171]
	v_div_fixup_f64 v[126:127], v[164:165], v[126:127], 1.0
	v_mul_f64 v[128:129], v[128:129], -v[126:127]
.LBB31_142:
	s_or_b32 exec_lo, exec_lo, s1
	ds_write2_b64 v1, v[126:127], v[128:129] offset1:1
.LBB31_143:
	s_or_b32 exec_lo, exec_lo, s2
	s_waitcnt lgkmcnt(0)
	s_barrier
	buffer_gl0_inv
	ds_read2_b64 v[126:129], v1 offset1:1
	s_mov_b32 s1, exec_lo
	v_cmpx_lt_u32_e32 15, v0
	s_cbranch_execz .LBB31_145
; %bb.144:
	s_waitcnt lgkmcnt(0)
	v_mul_f64 v[0:1], v[128:129], v[20:21]
	v_mul_f64 v[20:21], v[126:127], v[20:21]
	v_fma_f64 v[0:1], v[126:127], v[18:19], -v[0:1]
	v_fma_f64 v[20:21], v[128:129], v[18:19], v[20:21]
	v_mov_b32_e32 v19, v1
	v_mov_b32_e32 v18, v0
.LBB31_145:
	s_or_b32 exec_lo, exec_lo, s1
	s_waitcnt lgkmcnt(0)
	s_barrier
	buffer_gl0_inv
	s_and_saveexec_b32 s6, s0
	s_cbranch_execz .LBB31_148
; %bb.146:
	v_lshlrev_b64 v[0:1], 2, v[148:149]
	v_cmp_eq_f64_e64 s0, 0, v[68:69]
	v_cmp_neq_f64_e64 s1, 0, v[70:71]
	v_cmp_neq_f64_e64 s2, 0, v[72:73]
	v_cmp_eq_f64_e64 s3, 0, v[74:75]
	v_cmp_eq_f64_e64 s4, 0, v[76:77]
	v_add_co_u32 v0, vcc_lo, s10, v0
	v_add_co_ci_u32_e64 v1, null, s11, v1, vcc_lo
	v_cmp_eq_f64_e32 vcc_lo, 0, v[66:67]
	v_cmp_eq_f64_e64 s5, 0, v[78:79]
	global_load_dword v148, v[0:1], off
	s_or_b32 s1, s1, s2
	v_cmp_eq_f64_e64 s2, 0, v[84:85]
	s_and_b32 s3, s3, s4
	v_cmp_eq_f64_e64 s4, 0, v[88:89]
	s_and_b32 s0, vcc_lo, s0
	v_cmp_eq_f64_e32 vcc_lo, 0, v[80:81]
	v_cndmask_b32_e64 v66, 0, 1, s0
	s_or_b32 s0, s1, s0
	v_cmp_eq_f64_e64 s1, 0, v[82:83]
	v_cndmask_b32_e64 v66, 2, v66, s0
	v_cmp_eq_u32_e64 s0, 0, v66
	s_and_b32 s0, s3, s0
	v_cmp_eq_f64_e64 s3, 0, v[86:87]
	v_cndmask_b32_e64 v66, v66, 3, s0
	s_and_b32 s5, s5, vcc_lo
	v_cmp_eq_u32_e64 s0, 0, v66
	s_and_b32 s1, s1, s2
	v_cmp_eq_f64_e64 s2, 0, v[96:97]
	s_and_b32 s0, s5, s0
	v_cmp_eq_f64_e64 s5, 0, v[92:93]
	v_cndmask_b32_e64 v66, v66, 4, s0
	v_cmp_eq_f64_e64 s0, 0, v[90:91]
	v_cmp_eq_u32_e32 vcc_lo, 0, v66
	s_and_b32 s3, s3, s4
	s_and_b32 s1, s1, vcc_lo
	v_cmp_eq_f64_e64 s4, 0, v[100:101]
	v_cndmask_b32_e64 v66, v66, 5, s1
	v_cmp_eq_f64_e64 s1, 0, v[94:95]
	v_cmp_eq_u32_e32 vcc_lo, 0, v66
	s_and_b32 s3, s3, vcc_lo
	s_and_b32 s0, s0, s5
	v_cndmask_b32_e64 v66, v66, 6, s3
	v_cmp_eq_f64_e64 s3, 0, v[98:99]
	v_cmp_eq_f64_e64 s5, 0, v[104:105]
	v_cmp_eq_u32_e32 vcc_lo, 0, v66
	s_and_b32 s0, s0, vcc_lo
	s_and_b32 s1, s1, s2
	v_cndmask_b32_e64 v66, v66, 7, s0
	v_cmp_eq_f64_e64 s0, 0, v[102:103]
	;; [unrolled: 6-line block ×8, first 2 shown]
	v_cmp_eq_u32_e32 vcc_lo, 0, v66
	s_and_b32 s1, s1, vcc_lo
	v_cndmask_b32_e64 v66, v66, 14, s1
	s_and_b32 s1, s3, s4
	v_cmp_eq_u32_e32 vcc_lo, 0, v66
	s_and_b32 s1, s1, vcc_lo
	s_and_b32 s0, s0, s5
	v_cndmask_b32_e64 v66, v66, 15, s1
	v_cmp_eq_u32_e32 vcc_lo, 0, v66
	s_and_b32 s0, s0, vcc_lo
	v_cndmask_b32_e64 v66, v66, 16, s0
	v_cmp_ne_u32_e64 s0, 0, v66
	s_waitcnt vmcnt(0)
	v_cmp_eq_u32_e32 vcc_lo, 0, v148
	s_and_b32 s0, vcc_lo, s0
	s_and_b32 exec_lo, exec_lo, s0
	s_cbranch_execz .LBB31_148
; %bb.147:
	v_add_nc_u32_e32 v66, s13, v66
	global_store_dword v[0:1], v66, off
.LBB31_148:
	s_or_b32 exec_lo, exec_lo, s6
	global_store_dwordx4 v[134:135], v[14:17], off
	global_store_dwordx4 v[136:137], v[10:13], off
	;; [unrolled: 1-line block ×16, first 2 shown]
.LBB31_149:
	s_endpgm
	.section	.rodata,"a",@progbits
	.p2align	6, 0x0
	.amdhsa_kernel _ZN9rocsolver6v33100L23getf2_npvt_small_kernelILi16E19rocblas_complex_numIdEiiPS3_EEvT1_T3_lS5_lPT2_S5_S5_
		.amdhsa_group_segment_fixed_size 0
		.amdhsa_private_segment_fixed_size 0
		.amdhsa_kernarg_size 312
		.amdhsa_user_sgpr_count 6
		.amdhsa_user_sgpr_private_segment_buffer 1
		.amdhsa_user_sgpr_dispatch_ptr 0
		.amdhsa_user_sgpr_queue_ptr 0
		.amdhsa_user_sgpr_kernarg_segment_ptr 1
		.amdhsa_user_sgpr_dispatch_id 0
		.amdhsa_user_sgpr_flat_scratch_init 0
		.amdhsa_user_sgpr_private_segment_size 0
		.amdhsa_wavefront_size32 1
		.amdhsa_uses_dynamic_stack 0
		.amdhsa_system_sgpr_private_segment_wavefront_offset 0
		.amdhsa_system_sgpr_workgroup_id_x 1
		.amdhsa_system_sgpr_workgroup_id_y 1
		.amdhsa_system_sgpr_workgroup_id_z 0
		.amdhsa_system_sgpr_workgroup_info 0
		.amdhsa_system_vgpr_workitem_id 1
		.amdhsa_next_free_vgpr 225
		.amdhsa_next_free_sgpr 15
		.amdhsa_reserve_vcc 1
		.amdhsa_reserve_flat_scratch 0
		.amdhsa_float_round_mode_32 0
		.amdhsa_float_round_mode_16_64 0
		.amdhsa_float_denorm_mode_32 3
		.amdhsa_float_denorm_mode_16_64 3
		.amdhsa_dx10_clamp 1
		.amdhsa_ieee_mode 1
		.amdhsa_fp16_overflow 0
		.amdhsa_workgroup_processor_mode 1
		.amdhsa_memory_ordered 1
		.amdhsa_forward_progress 1
		.amdhsa_shared_vgpr_count 0
		.amdhsa_exception_fp_ieee_invalid_op 0
		.amdhsa_exception_fp_denorm_src 0
		.amdhsa_exception_fp_ieee_div_zero 0
		.amdhsa_exception_fp_ieee_overflow 0
		.amdhsa_exception_fp_ieee_underflow 0
		.amdhsa_exception_fp_ieee_inexact 0
		.amdhsa_exception_int_div_zero 0
	.end_amdhsa_kernel
	.section	.text._ZN9rocsolver6v33100L23getf2_npvt_small_kernelILi16E19rocblas_complex_numIdEiiPS3_EEvT1_T3_lS5_lPT2_S5_S5_,"axG",@progbits,_ZN9rocsolver6v33100L23getf2_npvt_small_kernelILi16E19rocblas_complex_numIdEiiPS3_EEvT1_T3_lS5_lPT2_S5_S5_,comdat
.Lfunc_end31:
	.size	_ZN9rocsolver6v33100L23getf2_npvt_small_kernelILi16E19rocblas_complex_numIdEiiPS3_EEvT1_T3_lS5_lPT2_S5_S5_, .Lfunc_end31-_ZN9rocsolver6v33100L23getf2_npvt_small_kernelILi16E19rocblas_complex_numIdEiiPS3_EEvT1_T3_lS5_lPT2_S5_S5_
                                        ; -- End function
	.set _ZN9rocsolver6v33100L23getf2_npvt_small_kernelILi16E19rocblas_complex_numIdEiiPS3_EEvT1_T3_lS5_lPT2_S5_S5_.num_vgpr, 225
	.set _ZN9rocsolver6v33100L23getf2_npvt_small_kernelILi16E19rocblas_complex_numIdEiiPS3_EEvT1_T3_lS5_lPT2_S5_S5_.num_agpr, 0
	.set _ZN9rocsolver6v33100L23getf2_npvt_small_kernelILi16E19rocblas_complex_numIdEiiPS3_EEvT1_T3_lS5_lPT2_S5_S5_.numbered_sgpr, 15
	.set _ZN9rocsolver6v33100L23getf2_npvt_small_kernelILi16E19rocblas_complex_numIdEiiPS3_EEvT1_T3_lS5_lPT2_S5_S5_.num_named_barrier, 0
	.set _ZN9rocsolver6v33100L23getf2_npvt_small_kernelILi16E19rocblas_complex_numIdEiiPS3_EEvT1_T3_lS5_lPT2_S5_S5_.private_seg_size, 0
	.set _ZN9rocsolver6v33100L23getf2_npvt_small_kernelILi16E19rocblas_complex_numIdEiiPS3_EEvT1_T3_lS5_lPT2_S5_S5_.uses_vcc, 1
	.set _ZN9rocsolver6v33100L23getf2_npvt_small_kernelILi16E19rocblas_complex_numIdEiiPS3_EEvT1_T3_lS5_lPT2_S5_S5_.uses_flat_scratch, 0
	.set _ZN9rocsolver6v33100L23getf2_npvt_small_kernelILi16E19rocblas_complex_numIdEiiPS3_EEvT1_T3_lS5_lPT2_S5_S5_.has_dyn_sized_stack, 0
	.set _ZN9rocsolver6v33100L23getf2_npvt_small_kernelILi16E19rocblas_complex_numIdEiiPS3_EEvT1_T3_lS5_lPT2_S5_S5_.has_recursion, 0
	.set _ZN9rocsolver6v33100L23getf2_npvt_small_kernelILi16E19rocblas_complex_numIdEiiPS3_EEvT1_T3_lS5_lPT2_S5_S5_.has_indirect_call, 0
	.section	.AMDGPU.csdata,"",@progbits
; Kernel info:
; codeLenInByte = 19028
; TotalNumSgprs: 17
; NumVgprs: 225
; ScratchSize: 0
; MemoryBound: 1
; FloatMode: 240
; IeeeMode: 1
; LDSByteSize: 0 bytes/workgroup (compile time only)
; SGPRBlocks: 0
; VGPRBlocks: 28
; NumSGPRsForWavesPerEU: 17
; NumVGPRsForWavesPerEU: 225
; Occupancy: 4
; WaveLimiterHint : 0
; COMPUTE_PGM_RSRC2:SCRATCH_EN: 0
; COMPUTE_PGM_RSRC2:USER_SGPR: 6
; COMPUTE_PGM_RSRC2:TRAP_HANDLER: 0
; COMPUTE_PGM_RSRC2:TGID_X_EN: 1
; COMPUTE_PGM_RSRC2:TGID_Y_EN: 1
; COMPUTE_PGM_RSRC2:TGID_Z_EN: 0
; COMPUTE_PGM_RSRC2:TIDIG_COMP_CNT: 1
	.section	.text._ZN9rocsolver6v33100L18getf2_small_kernelILi17E19rocblas_complex_numIdEiiPS3_EEvT1_T3_lS5_lPS5_llPT2_S5_S5_S7_l,"axG",@progbits,_ZN9rocsolver6v33100L18getf2_small_kernelILi17E19rocblas_complex_numIdEiiPS3_EEvT1_T3_lS5_lPS5_llPT2_S5_S5_S7_l,comdat
	.globl	_ZN9rocsolver6v33100L18getf2_small_kernelILi17E19rocblas_complex_numIdEiiPS3_EEvT1_T3_lS5_lPS5_llPT2_S5_S5_S7_l ; -- Begin function _ZN9rocsolver6v33100L18getf2_small_kernelILi17E19rocblas_complex_numIdEiiPS3_EEvT1_T3_lS5_lPS5_llPT2_S5_S5_S7_l
	.p2align	8
	.type	_ZN9rocsolver6v33100L18getf2_small_kernelILi17E19rocblas_complex_numIdEiiPS3_EEvT1_T3_lS5_lPS5_llPT2_S5_S5_S7_l,@function
_ZN9rocsolver6v33100L18getf2_small_kernelILi17E19rocblas_complex_numIdEiiPS3_EEvT1_T3_lS5_lPS5_llPT2_S5_S5_S7_l: ; @_ZN9rocsolver6v33100L18getf2_small_kernelILi17E19rocblas_complex_numIdEiiPS3_EEvT1_T3_lS5_lPS5_llPT2_S5_S5_S7_l
; %bb.0:
	s_clause 0x1
	s_load_dword s0, s[4:5], 0x6c
	s_load_dwordx2 s[16:17], s[4:5], 0x48
	s_waitcnt lgkmcnt(0)
	s_lshr_b32 s0, s0, 16
	v_mad_u64_u32 v[74:75], null, s7, s0, v[1:2]
	s_mov_b32 s0, exec_lo
	v_cmpx_gt_i32_e64 s16, v74
	s_cbranch_execz .LBB32_360
; %bb.1:
	s_load_dwordx4 s[0:3], s[4:5], 0x50
	v_mov_b32_e32 v76, 0
	v_ashrrev_i32_e32 v75, 31, v74
	v_mov_b32_e32 v77, 0
	s_waitcnt lgkmcnt(0)
	s_cmp_eq_u64 s[0:1], 0
	s_cselect_b32 s16, -1, 0
	s_and_b32 vcc_lo, exec_lo, s16
	s_cbranch_vccnz .LBB32_3
; %bb.2:
	v_mul_lo_u32 v4, s3, v74
	v_mul_lo_u32 v5, s2, v75
	v_mad_u64_u32 v[2:3], null, s2, v74, 0
	v_add3_u32 v3, v3, v5, v4
	v_lshlrev_b64 v[2:3], 2, v[2:3]
	v_add_co_u32 v76, vcc_lo, s0, v2
	v_add_co_ci_u32_e64 v77, null, s1, v3, vcc_lo
.LBB32_3:
	s_clause 0x2
	s_load_dwordx8 s[8:15], s[4:5], 0x20
	s_load_dword s6, s[4:5], 0x18
	s_load_dwordx4 s[0:3], s[4:5], 0x8
	v_lshlrev_b32_e32 v80, 4, v0
	s_clause 0x1
	s_load_dword s18, s[4:5], 0x0
	s_load_dwordx2 s[4:5], s[4:5], 0x40
	s_waitcnt lgkmcnt(0)
	v_mul_lo_u32 v5, s9, v74
	v_mul_lo_u32 v7, s8, v75
	v_mad_u64_u32 v[2:3], null, s8, v74, 0
	v_add3_u32 v4, s6, s6, v0
	s_lshl_b64 s[2:3], s[2:3], 4
	s_ashr_i32 s7, s6, 31
	s_lshl_b64 s[8:9], s[6:7], 4
	v_add_nc_u32_e32 v6, s6, v4
	v_add3_u32 v3, v3, v7, v5
	v_ashrrev_i32_e32 v5, 31, v4
	v_add_nc_u32_e32 v8, s6, v6
	v_lshlrev_b64 v[2:3], 4, v[2:3]
	v_ashrrev_i32_e32 v7, 31, v6
	v_lshlrev_b64 v[4:5], 4, v[4:5]
	v_add_nc_u32_e32 v10, s6, v8
	v_ashrrev_i32_e32 v9, 31, v8
	v_add_co_u32 v12, vcc_lo, s0, v2
	v_add_co_ci_u32_e64 v3, null, s1, v3, vcc_lo
	v_add_nc_u32_e32 v2, s6, v10
	v_add_co_u32 v81, vcc_lo, v12, s2
	v_add_co_ci_u32_e64 v82, null, s3, v3, vcc_lo
	v_lshlrev_b64 v[6:7], 4, v[6:7]
	v_ashrrev_i32_e32 v11, 31, v10
	v_add_nc_u32_e32 v12, s6, v2
	v_add_co_u32 v14, vcc_lo, v81, v80
	v_lshlrev_b64 v[8:9], 4, v[8:9]
	v_add_co_ci_u32_e64 v15, null, 0, v82, vcc_lo
	v_add_co_u32 v4, vcc_lo, v81, v4
	v_lshlrev_b64 v[10:11], 4, v[10:11]
	v_add_co_ci_u32_e64 v5, null, v82, v5, vcc_lo
	v_add_co_u32 v6, vcc_lo, v81, v6
	v_add_nc_u32_e32 v16, s6, v12
	v_ashrrev_i32_e32 v3, 31, v2
	v_add_co_ci_u32_e64 v7, null, v82, v7, vcc_lo
	v_add_co_u32 v8, vcc_lo, v81, v8
	v_ashrrev_i32_e32 v13, 31, v12
	v_add_co_ci_u32_e64 v9, null, v82, v9, vcc_lo
	v_add_co_u32 v10, vcc_lo, v81, v10
	s_clause 0x1
	global_load_dwordx4 v[54:57], v[4:5], off
	global_load_dwordx4 v[50:53], v[6:7], off
	v_add_nc_u32_e32 v6, s6, v16
	v_lshlrev_b64 v[2:3], 4, v[2:3]
	v_add_co_ci_u32_e64 v11, null, v82, v11, vcc_lo
	v_lshlrev_b64 v[4:5], 4, v[12:13]
	v_ashrrev_i32_e32 v17, 31, v16
	v_add_co_u32 v18, vcc_lo, v14, s8
	s_clause 0x1
	global_load_dwordx4 v[58:61], v[8:9], off
	global_load_dwordx4 v[34:37], v[10:11], off
	v_add_nc_u32_e32 v10, s6, v6
	v_add_co_ci_u32_e64 v19, null, s9, v15, vcc_lo
	v_add_co_u32 v2, vcc_lo, v81, v2
	v_add_co_ci_u32_e64 v3, null, v82, v3, vcc_lo
	v_lshlrev_b64 v[8:9], 4, v[16:17]
	v_add_co_u32 v4, vcc_lo, v81, v4
	v_add_nc_u32_e32 v12, s6, v10
	v_add_co_ci_u32_e64 v5, null, v82, v5, vcc_lo
	s_clause 0x1
	global_load_dwordx4 v[62:65], v[14:15], off
	global_load_dwordx4 v[66:69], v[18:19], off
	v_ashrrev_i32_e32 v11, 31, v10
	s_clause 0x1
	global_load_dwordx4 v[46:49], v[2:3], off
	global_load_dwordx4 v[30:33], v[4:5], off
	v_add_co_u32 v2, vcc_lo, v81, v8
	v_ashrrev_i32_e32 v13, 31, v12
	v_add_nc_u32_e32 v8, s6, v12
	v_lshlrev_b64 v[4:5], 4, v[10:11]
	v_ashrrev_i32_e32 v7, 31, v6
	v_add_co_ci_u32_e64 v3, null, v82, v9, vcc_lo
	v_lshlrev_b64 v[10:11], 4, v[12:13]
	v_add_nc_u32_e32 v12, s6, v8
	v_lshlrev_b64 v[6:7], 4, v[6:7]
	v_ashrrev_i32_e32 v9, 31, v8
	s_max_i32 s0, s18, 17
	s_cmp_lt_i32 s18, 2
	v_add_nc_u32_e32 v14, s6, v12
	v_ashrrev_i32_e32 v13, 31, v12
	v_add_co_u32 v6, vcc_lo, v81, v6
	v_lshlrev_b64 v[8:9], 4, v[8:9]
	v_add_nc_u32_e32 v16, s6, v14
	v_ashrrev_i32_e32 v15, 31, v14
	v_add_co_ci_u32_e64 v7, null, v82, v7, vcc_lo
	v_add_co_u32 v4, vcc_lo, v81, v4
	v_lshlrev_b64 v[12:13], 4, v[12:13]
	v_add_nc_u32_e32 v18, s6, v16
	v_add_co_ci_u32_e64 v5, null, v82, v5, vcc_lo
	v_add_co_u32 v10, vcc_lo, v81, v10
	v_lshlrev_b64 v[14:15], 4, v[14:15]
	v_ashrrev_i32_e32 v17, 31, v16
	v_add_co_ci_u32_e64 v11, null, v82, v11, vcc_lo
	v_add_co_u32 v8, vcc_lo, v81, v8
	v_ashrrev_i32_e32 v19, 31, v18
	v_add_co_ci_u32_e64 v9, null, v82, v9, vcc_lo
	v_add_co_u32 v12, vcc_lo, v81, v12
	v_add_co_ci_u32_e64 v13, null, v82, v13, vcc_lo
	v_lshlrev_b64 v[16:17], 4, v[16:17]
	v_add_co_u32 v70, vcc_lo, v81, v14
	v_add_co_ci_u32_e64 v71, null, v82, v15, vcc_lo
	v_lshlrev_b64 v[14:15], 4, v[18:19]
	v_add_co_u32 v72, vcc_lo, v81, v16
	v_add_co_ci_u32_e64 v73, null, v82, v17, vcc_lo
	v_add_co_u32 v78, vcc_lo, v81, v14
	v_add_co_ci_u32_e64 v79, null, v82, v15, vcc_lo
	s_clause 0x8
	global_load_dwordx4 v[42:45], v[2:3], off
	global_load_dwordx4 v[38:41], v[6:7], off
	;; [unrolled: 1-line block ×9, first 2 shown]
	v_mul_lo_u32 v78, s0, v1
	v_lshl_add_u32 v1, v78, 4, 0
	v_add_nc_u32_e32 v70, v1, v80
	v_lshlrev_b32_e32 v80, 4, v78
	v_mov_b32_e32 v78, 0
	s_waitcnt vmcnt(12)
	ds_write2_b64 v70, v[62:63], v[64:65] offset1:1
	s_waitcnt vmcnt(0) lgkmcnt(0)
	s_barrier
	buffer_gl0_inv
	ds_read2_b64 v[70:73], v1 offset1:1
	s_cbranch_scc1 .LBB32_6
; %bb.4:
	v_add3_u32 v79, v80, 0, 16
	v_mov_b32_e32 v78, 0
	s_mov_b32 s1, 1
	s_inst_prefetch 0x1
	.p2align	6
.LBB32_5:                               ; =>This Inner Loop Header: Depth=1
	s_waitcnt lgkmcnt(0)
	v_cmp_gt_f64_e32 vcc_lo, 0, v[72:73]
	v_cmp_gt_f64_e64 s0, 0, v[70:71]
	ds_read2_b64 v[83:86], v79 offset1:1
	v_xor_b32_e32 v88, 0x80000000, v71
	v_xor_b32_e32 v90, 0x80000000, v73
	v_mov_b32_e32 v87, v70
	v_mov_b32_e32 v89, v72
	v_add_nc_u32_e32 v79, 16, v79
	s_waitcnt lgkmcnt(0)
	v_xor_b32_e32 v92, 0x80000000, v86
	v_cndmask_b32_e64 v88, v71, v88, s0
	v_cndmask_b32_e32 v90, v73, v90, vcc_lo
	v_cmp_gt_f64_e32 vcc_lo, 0, v[85:86]
	v_cmp_gt_f64_e64 s0, 0, v[83:84]
	v_mov_b32_e32 v91, v85
	v_add_f64 v[87:88], v[87:88], v[89:90]
	v_xor_b32_e32 v90, 0x80000000, v84
	v_mov_b32_e32 v89, v83
	v_cndmask_b32_e32 v92, v86, v92, vcc_lo
	v_cndmask_b32_e64 v90, v84, v90, s0
	v_add_f64 v[89:90], v[89:90], v[91:92]
	v_cmp_lt_f64_e32 vcc_lo, v[87:88], v[89:90]
	v_cndmask_b32_e32 v71, v71, v84, vcc_lo
	v_cndmask_b32_e32 v70, v70, v83, vcc_lo
	;; [unrolled: 1-line block ×4, first 2 shown]
	v_cndmask_b32_e64 v78, v78, s1, vcc_lo
	s_add_i32 s1, s1, 1
	s_cmp_eq_u32 s18, s1
	s_cbranch_scc0 .LBB32_5
.LBB32_6:
	s_inst_prefetch 0x2
	s_waitcnt lgkmcnt(0)
	v_cmp_neq_f64_e32 vcc_lo, 0, v[70:71]
	v_cmp_neq_f64_e64 s0, 0, v[72:73]
	v_mov_b32_e32 v83, 1
	v_mov_b32_e32 v85, 1
	s_or_b32 s1, vcc_lo, s0
	s_and_saveexec_b32 s0, s1
	s_cbranch_execz .LBB32_12
; %bb.7:
	v_cmp_ngt_f64_e64 s1, |v[70:71]|, |v[72:73]|
	s_and_saveexec_b32 s2, s1
	s_xor_b32 s1, exec_lo, s2
	s_cbranch_execz .LBB32_9
; %bb.8:
	v_div_scale_f64 v[83:84], null, v[72:73], v[72:73], v[70:71]
	v_div_scale_f64 v[89:90], vcc_lo, v[70:71], v[72:73], v[70:71]
	v_rcp_f64_e32 v[85:86], v[83:84]
	v_fma_f64 v[87:88], -v[83:84], v[85:86], 1.0
	v_fma_f64 v[85:86], v[85:86], v[87:88], v[85:86]
	v_fma_f64 v[87:88], -v[83:84], v[85:86], 1.0
	v_fma_f64 v[85:86], v[85:86], v[87:88], v[85:86]
	v_mul_f64 v[87:88], v[89:90], v[85:86]
	v_fma_f64 v[83:84], -v[83:84], v[87:88], v[89:90]
	v_div_fmas_f64 v[83:84], v[83:84], v[85:86], v[87:88]
	v_div_fixup_f64 v[83:84], v[83:84], v[72:73], v[70:71]
	v_fma_f64 v[70:71], v[70:71], v[83:84], v[72:73]
	v_div_scale_f64 v[72:73], null, v[70:71], v[70:71], 1.0
	v_rcp_f64_e32 v[85:86], v[72:73]
	v_fma_f64 v[87:88], -v[72:73], v[85:86], 1.0
	v_fma_f64 v[85:86], v[85:86], v[87:88], v[85:86]
	v_fma_f64 v[87:88], -v[72:73], v[85:86], 1.0
	v_fma_f64 v[85:86], v[85:86], v[87:88], v[85:86]
	v_div_scale_f64 v[87:88], vcc_lo, 1.0, v[70:71], 1.0
	v_mul_f64 v[89:90], v[87:88], v[85:86]
	v_fma_f64 v[72:73], -v[72:73], v[89:90], v[87:88]
	v_div_fmas_f64 v[72:73], v[72:73], v[85:86], v[89:90]
	v_div_fixup_f64 v[72:73], v[72:73], v[70:71], 1.0
	v_mul_f64 v[70:71], v[83:84], v[72:73]
	v_xor_b32_e32 v73, 0x80000000, v73
.LBB32_9:
	s_andn2_saveexec_b32 s1, s1
	s_cbranch_execz .LBB32_11
; %bb.10:
	v_div_scale_f64 v[83:84], null, v[70:71], v[70:71], v[72:73]
	v_div_scale_f64 v[89:90], vcc_lo, v[72:73], v[70:71], v[72:73]
	v_rcp_f64_e32 v[85:86], v[83:84]
	v_fma_f64 v[87:88], -v[83:84], v[85:86], 1.0
	v_fma_f64 v[85:86], v[85:86], v[87:88], v[85:86]
	v_fma_f64 v[87:88], -v[83:84], v[85:86], 1.0
	v_fma_f64 v[85:86], v[85:86], v[87:88], v[85:86]
	v_mul_f64 v[87:88], v[89:90], v[85:86]
	v_fma_f64 v[83:84], -v[83:84], v[87:88], v[89:90]
	v_div_fmas_f64 v[83:84], v[83:84], v[85:86], v[87:88]
	v_div_fixup_f64 v[83:84], v[83:84], v[70:71], v[72:73]
	v_fma_f64 v[70:71], v[72:73], v[83:84], v[70:71]
	v_div_scale_f64 v[72:73], null, v[70:71], v[70:71], 1.0
	v_rcp_f64_e32 v[85:86], v[72:73]
	v_fma_f64 v[87:88], -v[72:73], v[85:86], 1.0
	v_fma_f64 v[85:86], v[85:86], v[87:88], v[85:86]
	v_fma_f64 v[87:88], -v[72:73], v[85:86], 1.0
	v_fma_f64 v[85:86], v[85:86], v[87:88], v[85:86]
	v_div_scale_f64 v[87:88], vcc_lo, 1.0, v[70:71], 1.0
	v_mul_f64 v[89:90], v[87:88], v[85:86]
	v_fma_f64 v[72:73], -v[72:73], v[89:90], v[87:88]
	v_div_fmas_f64 v[72:73], v[72:73], v[85:86], v[89:90]
	v_div_fixup_f64 v[70:71], v[72:73], v[70:71], 1.0
	v_mul_f64 v[72:73], v[83:84], -v[70:71]
.LBB32_11:
	s_or_b32 exec_lo, exec_lo, s1
	v_mov_b32_e32 v85, 0
	v_mov_b32_e32 v83, 2
.LBB32_12:
	s_or_b32 exec_lo, exec_lo, s0
	s_mov_b32 s0, exec_lo
	v_cmpx_ne_u32_e64 v0, v78
	s_xor_b32 s0, exec_lo, s0
	s_cbranch_execz .LBB32_18
; %bb.13:
	s_mov_b32 s1, exec_lo
	v_cmpx_eq_u32_e32 0, v0
	s_cbranch_execz .LBB32_17
; %bb.14:
	v_cmp_ne_u32_e32 vcc_lo, 0, v78
	s_xor_b32 s2, s16, -1
	s_and_b32 s3, s2, vcc_lo
	s_and_saveexec_b32 s2, s3
	s_cbranch_execz .LBB32_16
; %bb.15:
	v_ashrrev_i32_e32 v79, 31, v78
	v_lshlrev_b64 v[86:87], 2, v[78:79]
	v_add_co_u32 v86, vcc_lo, v76, v86
	v_add_co_ci_u32_e64 v87, null, v77, v87, vcc_lo
	s_clause 0x1
	global_load_dword v0, v[86:87], off
	global_load_dword v79, v[76:77], off
	s_waitcnt vmcnt(1)
	global_store_dword v[76:77], v0, off
	s_waitcnt vmcnt(0)
	global_store_dword v[86:87], v79, off
.LBB32_16:
	s_or_b32 exec_lo, exec_lo, s2
	v_mov_b32_e32 v0, v78
.LBB32_17:
	s_or_b32 exec_lo, exec_lo, s1
.LBB32_18:
	s_or_saveexec_b32 s0, s0
	v_mov_b32_e32 v84, v0
	s_xor_b32 exec_lo, exec_lo, s0
	s_cbranch_execz .LBB32_20
; %bb.19:
	v_mov_b32_e32 v84, 0
	ds_write2_b64 v1, v[66:67], v[68:69] offset0:2 offset1:3
	ds_write2_b64 v1, v[54:55], v[56:57] offset0:4 offset1:5
	;; [unrolled: 1-line block ×16, first 2 shown]
.LBB32_20:
	s_or_b32 exec_lo, exec_lo, s0
	s_mov_b32 s0, exec_lo
	s_waitcnt lgkmcnt(0)
	s_waitcnt_vscnt null, 0x0
	s_barrier
	buffer_gl0_inv
	v_cmpx_lt_i32_e32 0, v84
	s_cbranch_execz .LBB32_22
; %bb.21:
	v_mul_f64 v[78:79], v[70:71], v[64:65]
	v_mul_f64 v[64:65], v[72:73], v[64:65]
	v_fma_f64 v[78:79], v[72:73], v[62:63], v[78:79]
	v_fma_f64 v[62:63], v[70:71], v[62:63], -v[64:65]
	ds_read2_b64 v[70:73], v1 offset0:2 offset1:3
	s_waitcnt lgkmcnt(0)
	v_mul_f64 v[64:65], v[72:73], v[78:79]
	v_fma_f64 v[64:65], v[70:71], v[62:63], -v[64:65]
	v_mul_f64 v[70:71], v[70:71], v[78:79]
	v_add_f64 v[66:67], v[66:67], -v[64:65]
	v_fma_f64 v[70:71], v[72:73], v[62:63], v[70:71]
	v_add_f64 v[68:69], v[68:69], -v[70:71]
	ds_read2_b64 v[70:73], v1 offset0:4 offset1:5
	s_waitcnt lgkmcnt(0)
	v_mul_f64 v[64:65], v[72:73], v[78:79]
	v_fma_f64 v[64:65], v[70:71], v[62:63], -v[64:65]
	v_mul_f64 v[70:71], v[70:71], v[78:79]
	v_add_f64 v[54:55], v[54:55], -v[64:65]
	v_fma_f64 v[70:71], v[72:73], v[62:63], v[70:71]
	v_add_f64 v[56:57], v[56:57], -v[70:71]
	;; [unrolled: 8-line block ×15, first 2 shown]
	ds_read2_b64 v[70:73], v1 offset0:32 offset1:33
	s_waitcnt lgkmcnt(0)
	v_mul_f64 v[64:65], v[72:73], v[78:79]
	v_fma_f64 v[64:65], v[70:71], v[62:63], -v[64:65]
	v_mul_f64 v[70:71], v[70:71], v[78:79]
	v_add_f64 v[2:3], v[2:3], -v[64:65]
	v_fma_f64 v[70:71], v[72:73], v[62:63], v[70:71]
	v_mov_b32_e32 v64, v78
	v_mov_b32_e32 v65, v79
	v_add_f64 v[4:5], v[4:5], -v[70:71]
.LBB32_22:
	s_or_b32 exec_lo, exec_lo, s0
	v_lshl_add_u32 v70, v84, 4, v1
	s_barrier
	buffer_gl0_inv
	v_mov_b32_e32 v78, 1
	ds_write2_b64 v70, v[66:67], v[68:69] offset1:1
	s_waitcnt lgkmcnt(0)
	s_barrier
	buffer_gl0_inv
	ds_read2_b64 v[70:73], v1 offset0:2 offset1:3
	s_cmp_lt_i32 s18, 3
	s_cbranch_scc1 .LBB32_25
; %bb.23:
	v_add3_u32 v79, v80, 0, 32
	v_mov_b32_e32 v78, 1
	s_mov_b32 s3, 2
	s_inst_prefetch 0x1
	.p2align	6
.LBB32_24:                              ; =>This Inner Loop Header: Depth=1
	ds_read2_b64 v[86:89], v79 offset1:1
	s_waitcnt lgkmcnt(1)
	v_cmp_gt_f64_e32 vcc_lo, 0, v[70:71]
	v_cmp_gt_f64_e64 s0, 0, v[72:73]
	v_xor_b32_e32 v91, 0x80000000, v71
	v_xor_b32_e32 v93, 0x80000000, v73
	v_mov_b32_e32 v90, v70
	v_mov_b32_e32 v92, v72
	v_add_nc_u32_e32 v79, 16, v79
	s_waitcnt lgkmcnt(0)
	v_cmp_gt_f64_e64 s1, 0, v[86:87]
	v_cmp_gt_f64_e64 s2, 0, v[88:89]
	v_xor_b32_e32 v95, 0x80000000, v87
	v_xor_b32_e32 v97, 0x80000000, v89
	v_mov_b32_e32 v94, v86
	v_mov_b32_e32 v96, v88
	v_cndmask_b32_e32 v91, v71, v91, vcc_lo
	v_cndmask_b32_e64 v93, v73, v93, s0
	v_add_f64 v[90:91], v[90:91], v[92:93]
	v_cndmask_b32_e64 v95, v87, v95, s1
	v_cndmask_b32_e64 v97, v89, v97, s2
	v_add_f64 v[92:93], v[94:95], v[96:97]
	v_cmp_lt_f64_e32 vcc_lo, v[90:91], v[92:93]
	v_cndmask_b32_e32 v71, v71, v87, vcc_lo
	v_cndmask_b32_e32 v70, v70, v86, vcc_lo
	v_cndmask_b32_e32 v73, v73, v89, vcc_lo
	v_cndmask_b32_e32 v72, v72, v88, vcc_lo
	v_cndmask_b32_e64 v78, v78, s3, vcc_lo
	s_add_i32 s3, s3, 1
	s_cmp_lg_u32 s18, s3
	s_cbranch_scc1 .LBB32_24
.LBB32_25:
	s_inst_prefetch 0x2
	s_waitcnt lgkmcnt(0)
	v_cmp_neq_f64_e32 vcc_lo, 0, v[70:71]
	v_cmp_neq_f64_e64 s0, 0, v[72:73]
	s_or_b32 s1, vcc_lo, s0
	s_and_saveexec_b32 s0, s1
	s_cbranch_execz .LBB32_31
; %bb.26:
	v_cmp_ngt_f64_e64 s1, |v[70:71]|, |v[72:73]|
	s_and_saveexec_b32 s2, s1
	s_xor_b32 s1, exec_lo, s2
	s_cbranch_execz .LBB32_28
; %bb.27:
	v_div_scale_f64 v[86:87], null, v[72:73], v[72:73], v[70:71]
	v_div_scale_f64 v[92:93], vcc_lo, v[70:71], v[72:73], v[70:71]
	v_rcp_f64_e32 v[88:89], v[86:87]
	v_fma_f64 v[90:91], -v[86:87], v[88:89], 1.0
	v_fma_f64 v[88:89], v[88:89], v[90:91], v[88:89]
	v_fma_f64 v[90:91], -v[86:87], v[88:89], 1.0
	v_fma_f64 v[88:89], v[88:89], v[90:91], v[88:89]
	v_mul_f64 v[90:91], v[92:93], v[88:89]
	v_fma_f64 v[86:87], -v[86:87], v[90:91], v[92:93]
	v_div_fmas_f64 v[86:87], v[86:87], v[88:89], v[90:91]
	v_div_fixup_f64 v[86:87], v[86:87], v[72:73], v[70:71]
	v_fma_f64 v[70:71], v[70:71], v[86:87], v[72:73]
	v_div_scale_f64 v[72:73], null, v[70:71], v[70:71], 1.0
	v_rcp_f64_e32 v[88:89], v[72:73]
	v_fma_f64 v[90:91], -v[72:73], v[88:89], 1.0
	v_fma_f64 v[88:89], v[88:89], v[90:91], v[88:89]
	v_fma_f64 v[90:91], -v[72:73], v[88:89], 1.0
	v_fma_f64 v[88:89], v[88:89], v[90:91], v[88:89]
	v_div_scale_f64 v[90:91], vcc_lo, 1.0, v[70:71], 1.0
	v_mul_f64 v[92:93], v[90:91], v[88:89]
	v_fma_f64 v[72:73], -v[72:73], v[92:93], v[90:91]
	v_div_fmas_f64 v[72:73], v[72:73], v[88:89], v[92:93]
	v_div_fixup_f64 v[72:73], v[72:73], v[70:71], 1.0
	v_mul_f64 v[70:71], v[86:87], v[72:73]
	v_xor_b32_e32 v73, 0x80000000, v73
.LBB32_28:
	s_andn2_saveexec_b32 s1, s1
	s_cbranch_execz .LBB32_30
; %bb.29:
	v_div_scale_f64 v[86:87], null, v[70:71], v[70:71], v[72:73]
	v_div_scale_f64 v[92:93], vcc_lo, v[72:73], v[70:71], v[72:73]
	v_rcp_f64_e32 v[88:89], v[86:87]
	v_fma_f64 v[90:91], -v[86:87], v[88:89], 1.0
	v_fma_f64 v[88:89], v[88:89], v[90:91], v[88:89]
	v_fma_f64 v[90:91], -v[86:87], v[88:89], 1.0
	v_fma_f64 v[88:89], v[88:89], v[90:91], v[88:89]
	v_mul_f64 v[90:91], v[92:93], v[88:89]
	v_fma_f64 v[86:87], -v[86:87], v[90:91], v[92:93]
	v_div_fmas_f64 v[86:87], v[86:87], v[88:89], v[90:91]
	v_div_fixup_f64 v[86:87], v[86:87], v[70:71], v[72:73]
	v_fma_f64 v[70:71], v[72:73], v[86:87], v[70:71]
	v_div_scale_f64 v[72:73], null, v[70:71], v[70:71], 1.0
	v_rcp_f64_e32 v[88:89], v[72:73]
	v_fma_f64 v[90:91], -v[72:73], v[88:89], 1.0
	v_fma_f64 v[88:89], v[88:89], v[90:91], v[88:89]
	v_fma_f64 v[90:91], -v[72:73], v[88:89], 1.0
	v_fma_f64 v[88:89], v[88:89], v[90:91], v[88:89]
	v_div_scale_f64 v[90:91], vcc_lo, 1.0, v[70:71], 1.0
	v_mul_f64 v[92:93], v[90:91], v[88:89]
	v_fma_f64 v[72:73], -v[72:73], v[92:93], v[90:91]
	v_div_fmas_f64 v[72:73], v[72:73], v[88:89], v[92:93]
	v_div_fixup_f64 v[70:71], v[72:73], v[70:71], 1.0
	v_mul_f64 v[72:73], v[86:87], -v[70:71]
.LBB32_30:
	s_or_b32 exec_lo, exec_lo, s1
	v_mov_b32_e32 v83, v85
.LBB32_31:
	s_or_b32 exec_lo, exec_lo, s0
	s_mov_b32 s0, exec_lo
	v_cmpx_ne_u32_e64 v84, v78
	s_xor_b32 s0, exec_lo, s0
	s_cbranch_execz .LBB32_37
; %bb.32:
	s_mov_b32 s1, exec_lo
	v_cmpx_eq_u32_e32 1, v84
	s_cbranch_execz .LBB32_36
; %bb.33:
	v_cmp_ne_u32_e32 vcc_lo, 1, v78
	s_xor_b32 s2, s16, -1
	s_and_b32 s3, s2, vcc_lo
	s_and_saveexec_b32 s2, s3
	s_cbranch_execz .LBB32_35
; %bb.34:
	v_ashrrev_i32_e32 v79, 31, v78
	v_lshlrev_b64 v[84:85], 2, v[78:79]
	v_add_co_u32 v84, vcc_lo, v76, v84
	v_add_co_ci_u32_e64 v85, null, v77, v85, vcc_lo
	s_clause 0x1
	global_load_dword v0, v[84:85], off
	global_load_dword v79, v[76:77], off offset:4
	s_waitcnt vmcnt(1)
	global_store_dword v[76:77], v0, off offset:4
	s_waitcnt vmcnt(0)
	global_store_dword v[84:85], v79, off
.LBB32_35:
	s_or_b32 exec_lo, exec_lo, s2
	v_mov_b32_e32 v84, v78
	v_mov_b32_e32 v0, v78
.LBB32_36:
	s_or_b32 exec_lo, exec_lo, s1
.LBB32_37:
	s_andn2_saveexec_b32 s0, s0
	s_cbranch_execz .LBB32_39
; %bb.38:
	v_mov_b32_e32 v84, 1
	ds_write2_b64 v1, v[54:55], v[56:57] offset0:4 offset1:5
	ds_write2_b64 v1, v[50:51], v[52:53] offset0:6 offset1:7
	;; [unrolled: 1-line block ×15, first 2 shown]
.LBB32_39:
	s_or_b32 exec_lo, exec_lo, s0
	s_mov_b32 s0, exec_lo
	s_waitcnt lgkmcnt(0)
	s_waitcnt_vscnt null, 0x0
	s_barrier
	buffer_gl0_inv
	v_cmpx_lt_i32_e32 1, v84
	s_cbranch_execz .LBB32_41
; %bb.40:
	v_mul_f64 v[78:79], v[70:71], v[68:69]
	v_mul_f64 v[68:69], v[72:73], v[68:69]
	v_fma_f64 v[78:79], v[72:73], v[66:67], v[78:79]
	v_fma_f64 v[66:67], v[70:71], v[66:67], -v[68:69]
	ds_read2_b64 v[68:71], v1 offset0:4 offset1:5
	s_waitcnt lgkmcnt(0)
	v_mul_f64 v[72:73], v[70:71], v[78:79]
	v_fma_f64 v[72:73], v[68:69], v[66:67], -v[72:73]
	v_mul_f64 v[68:69], v[68:69], v[78:79]
	v_add_f64 v[54:55], v[54:55], -v[72:73]
	v_fma_f64 v[68:69], v[70:71], v[66:67], v[68:69]
	v_add_f64 v[56:57], v[56:57], -v[68:69]
	ds_read2_b64 v[68:71], v1 offset0:6 offset1:7
	s_waitcnt lgkmcnt(0)
	v_mul_f64 v[72:73], v[70:71], v[78:79]
	v_fma_f64 v[72:73], v[68:69], v[66:67], -v[72:73]
	v_mul_f64 v[68:69], v[68:69], v[78:79]
	v_add_f64 v[50:51], v[50:51], -v[72:73]
	v_fma_f64 v[68:69], v[70:71], v[66:67], v[68:69]
	v_add_f64 v[52:53], v[52:53], -v[68:69]
	;; [unrolled: 8-line block ×15, first 2 shown]
	v_mov_b32_e32 v68, v78
	v_mov_b32_e32 v69, v79
.LBB32_41:
	s_or_b32 exec_lo, exec_lo, s0
	v_lshl_add_u32 v70, v84, 4, v1
	s_barrier
	buffer_gl0_inv
	v_mov_b32_e32 v78, 2
	ds_write2_b64 v70, v[54:55], v[56:57] offset1:1
	s_waitcnt lgkmcnt(0)
	s_barrier
	buffer_gl0_inv
	ds_read2_b64 v[70:73], v1 offset0:4 offset1:5
	s_cmp_lt_i32 s18, 4
	s_cbranch_scc1 .LBB32_44
; %bb.42:
	v_add3_u32 v79, v80, 0, 48
	v_mov_b32_e32 v78, 2
	s_mov_b32 s1, 3
	s_inst_prefetch 0x1
	.p2align	6
.LBB32_43:                              ; =>This Inner Loop Header: Depth=1
	s_waitcnt lgkmcnt(0)
	v_cmp_gt_f64_e32 vcc_lo, 0, v[72:73]
	v_cmp_gt_f64_e64 s0, 0, v[70:71]
	ds_read2_b64 v[85:88], v79 offset1:1
	v_xor_b32_e32 v90, 0x80000000, v71
	v_xor_b32_e32 v92, 0x80000000, v73
	v_mov_b32_e32 v89, v70
	v_mov_b32_e32 v91, v72
	v_add_nc_u32_e32 v79, 16, v79
	s_waitcnt lgkmcnt(0)
	v_xor_b32_e32 v94, 0x80000000, v88
	v_cndmask_b32_e64 v90, v71, v90, s0
	v_cndmask_b32_e32 v92, v73, v92, vcc_lo
	v_cmp_gt_f64_e32 vcc_lo, 0, v[87:88]
	v_cmp_gt_f64_e64 s0, 0, v[85:86]
	v_mov_b32_e32 v93, v87
	v_add_f64 v[89:90], v[89:90], v[91:92]
	v_xor_b32_e32 v92, 0x80000000, v86
	v_mov_b32_e32 v91, v85
	v_cndmask_b32_e32 v94, v88, v94, vcc_lo
	v_cndmask_b32_e64 v92, v86, v92, s0
	v_add_f64 v[91:92], v[91:92], v[93:94]
	v_cmp_lt_f64_e32 vcc_lo, v[89:90], v[91:92]
	v_cndmask_b32_e32 v71, v71, v86, vcc_lo
	v_cndmask_b32_e32 v70, v70, v85, vcc_lo
	;; [unrolled: 1-line block ×4, first 2 shown]
	v_cndmask_b32_e64 v78, v78, s1, vcc_lo
	s_add_i32 s1, s1, 1
	s_cmp_lg_u32 s18, s1
	s_cbranch_scc1 .LBB32_43
.LBB32_44:
	s_inst_prefetch 0x2
	s_waitcnt lgkmcnt(0)
	v_cmp_eq_f64_e32 vcc_lo, 0, v[70:71]
	v_cmp_eq_f64_e64 s0, 0, v[72:73]
	s_and_b32 s0, vcc_lo, s0
	s_and_saveexec_b32 s1, s0
	s_xor_b32 s0, exec_lo, s1
; %bb.45:
	v_cmp_ne_u32_e32 vcc_lo, 0, v83
	v_cndmask_b32_e32 v83, 3, v83, vcc_lo
; %bb.46:
	s_andn2_saveexec_b32 s0, s0
	s_cbranch_execz .LBB32_52
; %bb.47:
	v_cmp_ngt_f64_e64 s1, |v[70:71]|, |v[72:73]|
	s_and_saveexec_b32 s2, s1
	s_xor_b32 s1, exec_lo, s2
	s_cbranch_execz .LBB32_49
; %bb.48:
	v_div_scale_f64 v[85:86], null, v[72:73], v[72:73], v[70:71]
	v_div_scale_f64 v[91:92], vcc_lo, v[70:71], v[72:73], v[70:71]
	v_rcp_f64_e32 v[87:88], v[85:86]
	v_fma_f64 v[89:90], -v[85:86], v[87:88], 1.0
	v_fma_f64 v[87:88], v[87:88], v[89:90], v[87:88]
	v_fma_f64 v[89:90], -v[85:86], v[87:88], 1.0
	v_fma_f64 v[87:88], v[87:88], v[89:90], v[87:88]
	v_mul_f64 v[89:90], v[91:92], v[87:88]
	v_fma_f64 v[85:86], -v[85:86], v[89:90], v[91:92]
	v_div_fmas_f64 v[85:86], v[85:86], v[87:88], v[89:90]
	v_div_fixup_f64 v[85:86], v[85:86], v[72:73], v[70:71]
	v_fma_f64 v[70:71], v[70:71], v[85:86], v[72:73]
	v_div_scale_f64 v[72:73], null, v[70:71], v[70:71], 1.0
	v_rcp_f64_e32 v[87:88], v[72:73]
	v_fma_f64 v[89:90], -v[72:73], v[87:88], 1.0
	v_fma_f64 v[87:88], v[87:88], v[89:90], v[87:88]
	v_fma_f64 v[89:90], -v[72:73], v[87:88], 1.0
	v_fma_f64 v[87:88], v[87:88], v[89:90], v[87:88]
	v_div_scale_f64 v[89:90], vcc_lo, 1.0, v[70:71], 1.0
	v_mul_f64 v[91:92], v[89:90], v[87:88]
	v_fma_f64 v[72:73], -v[72:73], v[91:92], v[89:90]
	v_div_fmas_f64 v[72:73], v[72:73], v[87:88], v[91:92]
	v_div_fixup_f64 v[72:73], v[72:73], v[70:71], 1.0
	v_mul_f64 v[70:71], v[85:86], v[72:73]
	v_xor_b32_e32 v73, 0x80000000, v73
.LBB32_49:
	s_andn2_saveexec_b32 s1, s1
	s_cbranch_execz .LBB32_51
; %bb.50:
	v_div_scale_f64 v[85:86], null, v[70:71], v[70:71], v[72:73]
	v_div_scale_f64 v[91:92], vcc_lo, v[72:73], v[70:71], v[72:73]
	v_rcp_f64_e32 v[87:88], v[85:86]
	v_fma_f64 v[89:90], -v[85:86], v[87:88], 1.0
	v_fma_f64 v[87:88], v[87:88], v[89:90], v[87:88]
	v_fma_f64 v[89:90], -v[85:86], v[87:88], 1.0
	v_fma_f64 v[87:88], v[87:88], v[89:90], v[87:88]
	v_mul_f64 v[89:90], v[91:92], v[87:88]
	v_fma_f64 v[85:86], -v[85:86], v[89:90], v[91:92]
	v_div_fmas_f64 v[85:86], v[85:86], v[87:88], v[89:90]
	v_div_fixup_f64 v[85:86], v[85:86], v[70:71], v[72:73]
	v_fma_f64 v[70:71], v[72:73], v[85:86], v[70:71]
	v_div_scale_f64 v[72:73], null, v[70:71], v[70:71], 1.0
	v_rcp_f64_e32 v[87:88], v[72:73]
	v_fma_f64 v[89:90], -v[72:73], v[87:88], 1.0
	v_fma_f64 v[87:88], v[87:88], v[89:90], v[87:88]
	v_fma_f64 v[89:90], -v[72:73], v[87:88], 1.0
	v_fma_f64 v[87:88], v[87:88], v[89:90], v[87:88]
	v_div_scale_f64 v[89:90], vcc_lo, 1.0, v[70:71], 1.0
	v_mul_f64 v[91:92], v[89:90], v[87:88]
	v_fma_f64 v[72:73], -v[72:73], v[91:92], v[89:90]
	v_div_fmas_f64 v[72:73], v[72:73], v[87:88], v[91:92]
	v_div_fixup_f64 v[70:71], v[72:73], v[70:71], 1.0
	v_mul_f64 v[72:73], v[85:86], -v[70:71]
.LBB32_51:
	s_or_b32 exec_lo, exec_lo, s1
.LBB32_52:
	s_or_b32 exec_lo, exec_lo, s0
	s_mov_b32 s0, exec_lo
	v_cmpx_ne_u32_e64 v84, v78
	s_xor_b32 s0, exec_lo, s0
	s_cbranch_execz .LBB32_58
; %bb.53:
	s_mov_b32 s1, exec_lo
	v_cmpx_eq_u32_e32 2, v84
	s_cbranch_execz .LBB32_57
; %bb.54:
	v_cmp_ne_u32_e32 vcc_lo, 2, v78
	s_xor_b32 s2, s16, -1
	s_and_b32 s3, s2, vcc_lo
	s_and_saveexec_b32 s2, s3
	s_cbranch_execz .LBB32_56
; %bb.55:
	v_ashrrev_i32_e32 v79, 31, v78
	v_lshlrev_b64 v[84:85], 2, v[78:79]
	v_add_co_u32 v84, vcc_lo, v76, v84
	v_add_co_ci_u32_e64 v85, null, v77, v85, vcc_lo
	s_clause 0x1
	global_load_dword v0, v[84:85], off
	global_load_dword v79, v[76:77], off offset:8
	s_waitcnt vmcnt(1)
	global_store_dword v[76:77], v0, off offset:8
	s_waitcnt vmcnt(0)
	global_store_dword v[84:85], v79, off
.LBB32_56:
	s_or_b32 exec_lo, exec_lo, s2
	v_mov_b32_e32 v84, v78
	v_mov_b32_e32 v0, v78
.LBB32_57:
	s_or_b32 exec_lo, exec_lo, s1
.LBB32_58:
	s_andn2_saveexec_b32 s0, s0
	s_cbranch_execz .LBB32_60
; %bb.59:
	v_mov_b32_e32 v84, 2
	ds_write2_b64 v1, v[50:51], v[52:53] offset0:6 offset1:7
	ds_write2_b64 v1, v[58:59], v[60:61] offset0:8 offset1:9
	;; [unrolled: 1-line block ×14, first 2 shown]
.LBB32_60:
	s_or_b32 exec_lo, exec_lo, s0
	s_mov_b32 s0, exec_lo
	s_waitcnt lgkmcnt(0)
	s_waitcnt_vscnt null, 0x0
	s_barrier
	buffer_gl0_inv
	v_cmpx_lt_i32_e32 2, v84
	s_cbranch_execz .LBB32_62
; %bb.61:
	v_mul_f64 v[78:79], v[70:71], v[56:57]
	v_mul_f64 v[56:57], v[72:73], v[56:57]
	v_fma_f64 v[78:79], v[72:73], v[54:55], v[78:79]
	v_fma_f64 v[54:55], v[70:71], v[54:55], -v[56:57]
	ds_read2_b64 v[70:73], v1 offset0:6 offset1:7
	s_waitcnt lgkmcnt(0)
	v_mul_f64 v[56:57], v[72:73], v[78:79]
	v_fma_f64 v[56:57], v[70:71], v[54:55], -v[56:57]
	v_mul_f64 v[70:71], v[70:71], v[78:79]
	v_add_f64 v[50:51], v[50:51], -v[56:57]
	v_fma_f64 v[70:71], v[72:73], v[54:55], v[70:71]
	v_add_f64 v[52:53], v[52:53], -v[70:71]
	ds_read2_b64 v[70:73], v1 offset0:8 offset1:9
	s_waitcnt lgkmcnt(0)
	v_mul_f64 v[56:57], v[72:73], v[78:79]
	v_fma_f64 v[56:57], v[70:71], v[54:55], -v[56:57]
	v_mul_f64 v[70:71], v[70:71], v[78:79]
	v_add_f64 v[58:59], v[58:59], -v[56:57]
	v_fma_f64 v[70:71], v[72:73], v[54:55], v[70:71]
	v_add_f64 v[60:61], v[60:61], -v[70:71]
	;; [unrolled: 8-line block ×13, first 2 shown]
	ds_read2_b64 v[70:73], v1 offset0:32 offset1:33
	s_waitcnt lgkmcnt(0)
	v_mul_f64 v[56:57], v[72:73], v[78:79]
	v_fma_f64 v[56:57], v[70:71], v[54:55], -v[56:57]
	v_mul_f64 v[70:71], v[70:71], v[78:79]
	v_add_f64 v[2:3], v[2:3], -v[56:57]
	v_fma_f64 v[70:71], v[72:73], v[54:55], v[70:71]
	v_mov_b32_e32 v56, v78
	v_mov_b32_e32 v57, v79
	v_add_f64 v[4:5], v[4:5], -v[70:71]
.LBB32_62:
	s_or_b32 exec_lo, exec_lo, s0
	v_lshl_add_u32 v70, v84, 4, v1
	s_barrier
	buffer_gl0_inv
	v_mov_b32_e32 v78, 3
	ds_write2_b64 v70, v[50:51], v[52:53] offset1:1
	s_waitcnt lgkmcnt(0)
	s_barrier
	buffer_gl0_inv
	ds_read2_b64 v[70:73], v1 offset0:6 offset1:7
	s_cmp_lt_i32 s18, 5
	s_mov_b32 s1, 4
	s_cbranch_scc1 .LBB32_65
; %bb.63:
	v_add3_u32 v79, v80, 0, 64
	v_mov_b32_e32 v78, 3
	s_inst_prefetch 0x1
	.p2align	6
.LBB32_64:                              ; =>This Inner Loop Header: Depth=1
	s_waitcnt lgkmcnt(0)
	v_cmp_gt_f64_e32 vcc_lo, 0, v[72:73]
	v_cmp_gt_f64_e64 s0, 0, v[70:71]
	ds_read2_b64 v[85:88], v79 offset1:1
	v_xor_b32_e32 v90, 0x80000000, v71
	v_xor_b32_e32 v92, 0x80000000, v73
	v_mov_b32_e32 v89, v70
	v_mov_b32_e32 v91, v72
	v_add_nc_u32_e32 v79, 16, v79
	s_waitcnt lgkmcnt(0)
	v_xor_b32_e32 v94, 0x80000000, v88
	v_cndmask_b32_e64 v90, v71, v90, s0
	v_cndmask_b32_e32 v92, v73, v92, vcc_lo
	v_cmp_gt_f64_e32 vcc_lo, 0, v[87:88]
	v_cmp_gt_f64_e64 s0, 0, v[85:86]
	v_mov_b32_e32 v93, v87
	v_add_f64 v[89:90], v[89:90], v[91:92]
	v_xor_b32_e32 v92, 0x80000000, v86
	v_mov_b32_e32 v91, v85
	v_cndmask_b32_e32 v94, v88, v94, vcc_lo
	v_cndmask_b32_e64 v92, v86, v92, s0
	v_add_f64 v[91:92], v[91:92], v[93:94]
	v_cmp_lt_f64_e32 vcc_lo, v[89:90], v[91:92]
	v_cndmask_b32_e32 v71, v71, v86, vcc_lo
	v_cndmask_b32_e32 v70, v70, v85, vcc_lo
	v_cndmask_b32_e32 v73, v73, v88, vcc_lo
	v_cndmask_b32_e32 v72, v72, v87, vcc_lo
	v_cndmask_b32_e64 v78, v78, s1, vcc_lo
	s_add_i32 s1, s1, 1
	s_cmp_lg_u32 s18, s1
	s_cbranch_scc1 .LBB32_64
.LBB32_65:
	s_inst_prefetch 0x2
	s_waitcnt lgkmcnt(0)
	v_cmp_eq_f64_e32 vcc_lo, 0, v[70:71]
	v_cmp_eq_f64_e64 s0, 0, v[72:73]
	s_and_b32 s0, vcc_lo, s0
	s_and_saveexec_b32 s1, s0
	s_xor_b32 s0, exec_lo, s1
; %bb.66:
	v_cmp_ne_u32_e32 vcc_lo, 0, v83
	v_cndmask_b32_e32 v83, 4, v83, vcc_lo
; %bb.67:
	s_andn2_saveexec_b32 s0, s0
	s_cbranch_execz .LBB32_73
; %bb.68:
	v_cmp_ngt_f64_e64 s1, |v[70:71]|, |v[72:73]|
	s_and_saveexec_b32 s2, s1
	s_xor_b32 s1, exec_lo, s2
	s_cbranch_execz .LBB32_70
; %bb.69:
	v_div_scale_f64 v[85:86], null, v[72:73], v[72:73], v[70:71]
	v_div_scale_f64 v[91:92], vcc_lo, v[70:71], v[72:73], v[70:71]
	v_rcp_f64_e32 v[87:88], v[85:86]
	v_fma_f64 v[89:90], -v[85:86], v[87:88], 1.0
	v_fma_f64 v[87:88], v[87:88], v[89:90], v[87:88]
	v_fma_f64 v[89:90], -v[85:86], v[87:88], 1.0
	v_fma_f64 v[87:88], v[87:88], v[89:90], v[87:88]
	v_mul_f64 v[89:90], v[91:92], v[87:88]
	v_fma_f64 v[85:86], -v[85:86], v[89:90], v[91:92]
	v_div_fmas_f64 v[85:86], v[85:86], v[87:88], v[89:90]
	v_div_fixup_f64 v[85:86], v[85:86], v[72:73], v[70:71]
	v_fma_f64 v[70:71], v[70:71], v[85:86], v[72:73]
	v_div_scale_f64 v[72:73], null, v[70:71], v[70:71], 1.0
	v_rcp_f64_e32 v[87:88], v[72:73]
	v_fma_f64 v[89:90], -v[72:73], v[87:88], 1.0
	v_fma_f64 v[87:88], v[87:88], v[89:90], v[87:88]
	v_fma_f64 v[89:90], -v[72:73], v[87:88], 1.0
	v_fma_f64 v[87:88], v[87:88], v[89:90], v[87:88]
	v_div_scale_f64 v[89:90], vcc_lo, 1.0, v[70:71], 1.0
	v_mul_f64 v[91:92], v[89:90], v[87:88]
	v_fma_f64 v[72:73], -v[72:73], v[91:92], v[89:90]
	v_div_fmas_f64 v[72:73], v[72:73], v[87:88], v[91:92]
	v_div_fixup_f64 v[72:73], v[72:73], v[70:71], 1.0
	v_mul_f64 v[70:71], v[85:86], v[72:73]
	v_xor_b32_e32 v73, 0x80000000, v73
.LBB32_70:
	s_andn2_saveexec_b32 s1, s1
	s_cbranch_execz .LBB32_72
; %bb.71:
	v_div_scale_f64 v[85:86], null, v[70:71], v[70:71], v[72:73]
	v_div_scale_f64 v[91:92], vcc_lo, v[72:73], v[70:71], v[72:73]
	v_rcp_f64_e32 v[87:88], v[85:86]
	v_fma_f64 v[89:90], -v[85:86], v[87:88], 1.0
	v_fma_f64 v[87:88], v[87:88], v[89:90], v[87:88]
	v_fma_f64 v[89:90], -v[85:86], v[87:88], 1.0
	v_fma_f64 v[87:88], v[87:88], v[89:90], v[87:88]
	v_mul_f64 v[89:90], v[91:92], v[87:88]
	v_fma_f64 v[85:86], -v[85:86], v[89:90], v[91:92]
	v_div_fmas_f64 v[85:86], v[85:86], v[87:88], v[89:90]
	v_div_fixup_f64 v[85:86], v[85:86], v[70:71], v[72:73]
	v_fma_f64 v[70:71], v[72:73], v[85:86], v[70:71]
	v_div_scale_f64 v[72:73], null, v[70:71], v[70:71], 1.0
	v_rcp_f64_e32 v[87:88], v[72:73]
	v_fma_f64 v[89:90], -v[72:73], v[87:88], 1.0
	v_fma_f64 v[87:88], v[87:88], v[89:90], v[87:88]
	v_fma_f64 v[89:90], -v[72:73], v[87:88], 1.0
	v_fma_f64 v[87:88], v[87:88], v[89:90], v[87:88]
	v_div_scale_f64 v[89:90], vcc_lo, 1.0, v[70:71], 1.0
	v_mul_f64 v[91:92], v[89:90], v[87:88]
	v_fma_f64 v[72:73], -v[72:73], v[91:92], v[89:90]
	v_div_fmas_f64 v[72:73], v[72:73], v[87:88], v[91:92]
	v_div_fixup_f64 v[70:71], v[72:73], v[70:71], 1.0
	v_mul_f64 v[72:73], v[85:86], -v[70:71]
.LBB32_72:
	s_or_b32 exec_lo, exec_lo, s1
.LBB32_73:
	s_or_b32 exec_lo, exec_lo, s0
	s_mov_b32 s0, exec_lo
	v_cmpx_ne_u32_e64 v84, v78
	s_xor_b32 s0, exec_lo, s0
	s_cbranch_execz .LBB32_79
; %bb.74:
	s_mov_b32 s1, exec_lo
	v_cmpx_eq_u32_e32 3, v84
	s_cbranch_execz .LBB32_78
; %bb.75:
	v_cmp_ne_u32_e32 vcc_lo, 3, v78
	s_xor_b32 s2, s16, -1
	s_and_b32 s3, s2, vcc_lo
	s_and_saveexec_b32 s2, s3
	s_cbranch_execz .LBB32_77
; %bb.76:
	v_ashrrev_i32_e32 v79, 31, v78
	v_lshlrev_b64 v[84:85], 2, v[78:79]
	v_add_co_u32 v84, vcc_lo, v76, v84
	v_add_co_ci_u32_e64 v85, null, v77, v85, vcc_lo
	s_clause 0x1
	global_load_dword v0, v[84:85], off
	global_load_dword v79, v[76:77], off offset:12
	s_waitcnt vmcnt(1)
	global_store_dword v[76:77], v0, off offset:12
	s_waitcnt vmcnt(0)
	global_store_dword v[84:85], v79, off
.LBB32_77:
	s_or_b32 exec_lo, exec_lo, s2
	v_mov_b32_e32 v84, v78
	v_mov_b32_e32 v0, v78
.LBB32_78:
	s_or_b32 exec_lo, exec_lo, s1
.LBB32_79:
	s_andn2_saveexec_b32 s0, s0
	s_cbranch_execz .LBB32_81
; %bb.80:
	v_mov_b32_e32 v84, 3
	ds_write2_b64 v1, v[58:59], v[60:61] offset0:8 offset1:9
	ds_write2_b64 v1, v[34:35], v[36:37] offset0:10 offset1:11
	;; [unrolled: 1-line block ×13, first 2 shown]
.LBB32_81:
	s_or_b32 exec_lo, exec_lo, s0
	s_mov_b32 s0, exec_lo
	s_waitcnt lgkmcnt(0)
	s_waitcnt_vscnt null, 0x0
	s_barrier
	buffer_gl0_inv
	v_cmpx_lt_i32_e32 3, v84
	s_cbranch_execz .LBB32_83
; %bb.82:
	v_mul_f64 v[78:79], v[70:71], v[52:53]
	v_mul_f64 v[52:53], v[72:73], v[52:53]
	v_fma_f64 v[78:79], v[72:73], v[50:51], v[78:79]
	v_fma_f64 v[50:51], v[70:71], v[50:51], -v[52:53]
	ds_read2_b64 v[70:73], v1 offset0:8 offset1:9
	s_waitcnt lgkmcnt(0)
	v_mul_f64 v[52:53], v[72:73], v[78:79]
	v_fma_f64 v[52:53], v[70:71], v[50:51], -v[52:53]
	v_mul_f64 v[70:71], v[70:71], v[78:79]
	v_add_f64 v[58:59], v[58:59], -v[52:53]
	v_fma_f64 v[70:71], v[72:73], v[50:51], v[70:71]
	v_add_f64 v[60:61], v[60:61], -v[70:71]
	ds_read2_b64 v[70:73], v1 offset0:10 offset1:11
	s_waitcnt lgkmcnt(0)
	v_mul_f64 v[52:53], v[72:73], v[78:79]
	v_fma_f64 v[52:53], v[70:71], v[50:51], -v[52:53]
	v_mul_f64 v[70:71], v[70:71], v[78:79]
	v_add_f64 v[34:35], v[34:35], -v[52:53]
	v_fma_f64 v[70:71], v[72:73], v[50:51], v[70:71]
	v_add_f64 v[36:37], v[36:37], -v[70:71]
	ds_read2_b64 v[70:73], v1 offset0:12 offset1:13
	s_waitcnt lgkmcnt(0)
	v_mul_f64 v[52:53], v[72:73], v[78:79]
	v_fma_f64 v[52:53], v[70:71], v[50:51], -v[52:53]
	v_mul_f64 v[70:71], v[70:71], v[78:79]
	v_add_f64 v[46:47], v[46:47], -v[52:53]
	v_fma_f64 v[70:71], v[72:73], v[50:51], v[70:71]
	v_add_f64 v[48:49], v[48:49], -v[70:71]
	ds_read2_b64 v[70:73], v1 offset0:14 offset1:15
	s_waitcnt lgkmcnt(0)
	v_mul_f64 v[52:53], v[72:73], v[78:79]
	v_fma_f64 v[52:53], v[70:71], v[50:51], -v[52:53]
	v_mul_f64 v[70:71], v[70:71], v[78:79]
	v_add_f64 v[30:31], v[30:31], -v[52:53]
	v_fma_f64 v[70:71], v[72:73], v[50:51], v[70:71]
	v_add_f64 v[32:33], v[32:33], -v[70:71]
	ds_read2_b64 v[70:73], v1 offset0:16 offset1:17
	s_waitcnt lgkmcnt(0)
	v_mul_f64 v[52:53], v[72:73], v[78:79]
	v_fma_f64 v[52:53], v[70:71], v[50:51], -v[52:53]
	v_mul_f64 v[70:71], v[70:71], v[78:79]
	v_add_f64 v[42:43], v[42:43], -v[52:53]
	v_fma_f64 v[70:71], v[72:73], v[50:51], v[70:71]
	v_add_f64 v[44:45], v[44:45], -v[70:71]
	ds_read2_b64 v[70:73], v1 offset0:18 offset1:19
	s_waitcnt lgkmcnt(0)
	v_mul_f64 v[52:53], v[72:73], v[78:79]
	v_fma_f64 v[52:53], v[70:71], v[50:51], -v[52:53]
	v_mul_f64 v[70:71], v[70:71], v[78:79]
	v_add_f64 v[38:39], v[38:39], -v[52:53]
	v_fma_f64 v[70:71], v[72:73], v[50:51], v[70:71]
	v_add_f64 v[40:41], v[40:41], -v[70:71]
	ds_read2_b64 v[70:73], v1 offset0:20 offset1:21
	s_waitcnt lgkmcnt(0)
	v_mul_f64 v[52:53], v[72:73], v[78:79]
	v_fma_f64 v[52:53], v[70:71], v[50:51], -v[52:53]
	v_mul_f64 v[70:71], v[70:71], v[78:79]
	v_add_f64 v[26:27], v[26:27], -v[52:53]
	v_fma_f64 v[70:71], v[72:73], v[50:51], v[70:71]
	v_add_f64 v[28:29], v[28:29], -v[70:71]
	ds_read2_b64 v[70:73], v1 offset0:22 offset1:23
	s_waitcnt lgkmcnt(0)
	v_mul_f64 v[52:53], v[72:73], v[78:79]
	v_fma_f64 v[52:53], v[70:71], v[50:51], -v[52:53]
	v_mul_f64 v[70:71], v[70:71], v[78:79]
	v_add_f64 v[22:23], v[22:23], -v[52:53]
	v_fma_f64 v[70:71], v[72:73], v[50:51], v[70:71]
	v_add_f64 v[24:25], v[24:25], -v[70:71]
	ds_read2_b64 v[70:73], v1 offset0:24 offset1:25
	s_waitcnt lgkmcnt(0)
	v_mul_f64 v[52:53], v[72:73], v[78:79]
	v_fma_f64 v[52:53], v[70:71], v[50:51], -v[52:53]
	v_mul_f64 v[70:71], v[70:71], v[78:79]
	v_add_f64 v[18:19], v[18:19], -v[52:53]
	v_fma_f64 v[70:71], v[72:73], v[50:51], v[70:71]
	v_add_f64 v[20:21], v[20:21], -v[70:71]
	ds_read2_b64 v[70:73], v1 offset0:26 offset1:27
	s_waitcnt lgkmcnt(0)
	v_mul_f64 v[52:53], v[72:73], v[78:79]
	v_fma_f64 v[52:53], v[70:71], v[50:51], -v[52:53]
	v_mul_f64 v[70:71], v[70:71], v[78:79]
	v_add_f64 v[14:15], v[14:15], -v[52:53]
	v_fma_f64 v[70:71], v[72:73], v[50:51], v[70:71]
	v_add_f64 v[16:17], v[16:17], -v[70:71]
	ds_read2_b64 v[70:73], v1 offset0:28 offset1:29
	s_waitcnt lgkmcnt(0)
	v_mul_f64 v[52:53], v[72:73], v[78:79]
	v_fma_f64 v[52:53], v[70:71], v[50:51], -v[52:53]
	v_mul_f64 v[70:71], v[70:71], v[78:79]
	v_add_f64 v[10:11], v[10:11], -v[52:53]
	v_fma_f64 v[70:71], v[72:73], v[50:51], v[70:71]
	v_add_f64 v[12:13], v[12:13], -v[70:71]
	ds_read2_b64 v[70:73], v1 offset0:30 offset1:31
	s_waitcnt lgkmcnt(0)
	v_mul_f64 v[52:53], v[72:73], v[78:79]
	v_fma_f64 v[52:53], v[70:71], v[50:51], -v[52:53]
	v_mul_f64 v[70:71], v[70:71], v[78:79]
	v_add_f64 v[6:7], v[6:7], -v[52:53]
	v_fma_f64 v[70:71], v[72:73], v[50:51], v[70:71]
	v_add_f64 v[8:9], v[8:9], -v[70:71]
	ds_read2_b64 v[70:73], v1 offset0:32 offset1:33
	s_waitcnt lgkmcnt(0)
	v_mul_f64 v[52:53], v[72:73], v[78:79]
	v_fma_f64 v[52:53], v[70:71], v[50:51], -v[52:53]
	v_mul_f64 v[70:71], v[70:71], v[78:79]
	v_add_f64 v[2:3], v[2:3], -v[52:53]
	v_fma_f64 v[70:71], v[72:73], v[50:51], v[70:71]
	v_mov_b32_e32 v52, v78
	v_mov_b32_e32 v53, v79
	v_add_f64 v[4:5], v[4:5], -v[70:71]
.LBB32_83:
	s_or_b32 exec_lo, exec_lo, s0
	v_lshl_add_u32 v70, v84, 4, v1
	s_barrier
	buffer_gl0_inv
	v_mov_b32_e32 v78, 4
	ds_write2_b64 v70, v[58:59], v[60:61] offset1:1
	s_waitcnt lgkmcnt(0)
	s_barrier
	buffer_gl0_inv
	ds_read2_b64 v[70:73], v1 offset0:8 offset1:9
	s_cmp_lt_i32 s18, 6
	s_cbranch_scc1 .LBB32_86
; %bb.84:
	v_mov_b32_e32 v78, 4
	v_add3_u32 v79, v80, 0, 0x50
	s_mov_b32 s1, 5
	s_inst_prefetch 0x1
	.p2align	6
.LBB32_85:                              ; =>This Inner Loop Header: Depth=1
	s_waitcnt lgkmcnt(0)
	v_cmp_gt_f64_e32 vcc_lo, 0, v[72:73]
	v_cmp_gt_f64_e64 s0, 0, v[70:71]
	ds_read2_b64 v[85:88], v79 offset1:1
	v_xor_b32_e32 v90, 0x80000000, v71
	v_xor_b32_e32 v92, 0x80000000, v73
	v_mov_b32_e32 v89, v70
	v_mov_b32_e32 v91, v72
	v_add_nc_u32_e32 v79, 16, v79
	s_waitcnt lgkmcnt(0)
	v_xor_b32_e32 v94, 0x80000000, v88
	v_cndmask_b32_e64 v90, v71, v90, s0
	v_cndmask_b32_e32 v92, v73, v92, vcc_lo
	v_cmp_gt_f64_e32 vcc_lo, 0, v[87:88]
	v_cmp_gt_f64_e64 s0, 0, v[85:86]
	v_mov_b32_e32 v93, v87
	v_add_f64 v[89:90], v[89:90], v[91:92]
	v_xor_b32_e32 v92, 0x80000000, v86
	v_mov_b32_e32 v91, v85
	v_cndmask_b32_e32 v94, v88, v94, vcc_lo
	v_cndmask_b32_e64 v92, v86, v92, s0
	v_add_f64 v[91:92], v[91:92], v[93:94]
	v_cmp_lt_f64_e32 vcc_lo, v[89:90], v[91:92]
	v_cndmask_b32_e32 v71, v71, v86, vcc_lo
	v_cndmask_b32_e32 v70, v70, v85, vcc_lo
	;; [unrolled: 1-line block ×4, first 2 shown]
	v_cndmask_b32_e64 v78, v78, s1, vcc_lo
	s_add_i32 s1, s1, 1
	s_cmp_lg_u32 s18, s1
	s_cbranch_scc1 .LBB32_85
.LBB32_86:
	s_inst_prefetch 0x2
	s_waitcnt lgkmcnt(0)
	v_cmp_eq_f64_e32 vcc_lo, 0, v[70:71]
	v_cmp_eq_f64_e64 s0, 0, v[72:73]
	s_and_b32 s0, vcc_lo, s0
	s_and_saveexec_b32 s1, s0
	s_xor_b32 s0, exec_lo, s1
; %bb.87:
	v_cmp_ne_u32_e32 vcc_lo, 0, v83
	v_cndmask_b32_e32 v83, 5, v83, vcc_lo
; %bb.88:
	s_andn2_saveexec_b32 s0, s0
	s_cbranch_execz .LBB32_94
; %bb.89:
	v_cmp_ngt_f64_e64 s1, |v[70:71]|, |v[72:73]|
	s_and_saveexec_b32 s2, s1
	s_xor_b32 s1, exec_lo, s2
	s_cbranch_execz .LBB32_91
; %bb.90:
	v_div_scale_f64 v[85:86], null, v[72:73], v[72:73], v[70:71]
	v_div_scale_f64 v[91:92], vcc_lo, v[70:71], v[72:73], v[70:71]
	v_rcp_f64_e32 v[87:88], v[85:86]
	v_fma_f64 v[89:90], -v[85:86], v[87:88], 1.0
	v_fma_f64 v[87:88], v[87:88], v[89:90], v[87:88]
	v_fma_f64 v[89:90], -v[85:86], v[87:88], 1.0
	v_fma_f64 v[87:88], v[87:88], v[89:90], v[87:88]
	v_mul_f64 v[89:90], v[91:92], v[87:88]
	v_fma_f64 v[85:86], -v[85:86], v[89:90], v[91:92]
	v_div_fmas_f64 v[85:86], v[85:86], v[87:88], v[89:90]
	v_div_fixup_f64 v[85:86], v[85:86], v[72:73], v[70:71]
	v_fma_f64 v[70:71], v[70:71], v[85:86], v[72:73]
	v_div_scale_f64 v[72:73], null, v[70:71], v[70:71], 1.0
	v_rcp_f64_e32 v[87:88], v[72:73]
	v_fma_f64 v[89:90], -v[72:73], v[87:88], 1.0
	v_fma_f64 v[87:88], v[87:88], v[89:90], v[87:88]
	v_fma_f64 v[89:90], -v[72:73], v[87:88], 1.0
	v_fma_f64 v[87:88], v[87:88], v[89:90], v[87:88]
	v_div_scale_f64 v[89:90], vcc_lo, 1.0, v[70:71], 1.0
	v_mul_f64 v[91:92], v[89:90], v[87:88]
	v_fma_f64 v[72:73], -v[72:73], v[91:92], v[89:90]
	v_div_fmas_f64 v[72:73], v[72:73], v[87:88], v[91:92]
	v_div_fixup_f64 v[72:73], v[72:73], v[70:71], 1.0
	v_mul_f64 v[70:71], v[85:86], v[72:73]
	v_xor_b32_e32 v73, 0x80000000, v73
.LBB32_91:
	s_andn2_saveexec_b32 s1, s1
	s_cbranch_execz .LBB32_93
; %bb.92:
	v_div_scale_f64 v[85:86], null, v[70:71], v[70:71], v[72:73]
	v_div_scale_f64 v[91:92], vcc_lo, v[72:73], v[70:71], v[72:73]
	v_rcp_f64_e32 v[87:88], v[85:86]
	v_fma_f64 v[89:90], -v[85:86], v[87:88], 1.0
	v_fma_f64 v[87:88], v[87:88], v[89:90], v[87:88]
	v_fma_f64 v[89:90], -v[85:86], v[87:88], 1.0
	v_fma_f64 v[87:88], v[87:88], v[89:90], v[87:88]
	v_mul_f64 v[89:90], v[91:92], v[87:88]
	v_fma_f64 v[85:86], -v[85:86], v[89:90], v[91:92]
	v_div_fmas_f64 v[85:86], v[85:86], v[87:88], v[89:90]
	v_div_fixup_f64 v[85:86], v[85:86], v[70:71], v[72:73]
	v_fma_f64 v[70:71], v[72:73], v[85:86], v[70:71]
	v_div_scale_f64 v[72:73], null, v[70:71], v[70:71], 1.0
	v_rcp_f64_e32 v[87:88], v[72:73]
	v_fma_f64 v[89:90], -v[72:73], v[87:88], 1.0
	v_fma_f64 v[87:88], v[87:88], v[89:90], v[87:88]
	v_fma_f64 v[89:90], -v[72:73], v[87:88], 1.0
	v_fma_f64 v[87:88], v[87:88], v[89:90], v[87:88]
	v_div_scale_f64 v[89:90], vcc_lo, 1.0, v[70:71], 1.0
	v_mul_f64 v[91:92], v[89:90], v[87:88]
	v_fma_f64 v[72:73], -v[72:73], v[91:92], v[89:90]
	v_div_fmas_f64 v[72:73], v[72:73], v[87:88], v[91:92]
	v_div_fixup_f64 v[70:71], v[72:73], v[70:71], 1.0
	v_mul_f64 v[72:73], v[85:86], -v[70:71]
.LBB32_93:
	s_or_b32 exec_lo, exec_lo, s1
.LBB32_94:
	s_or_b32 exec_lo, exec_lo, s0
	s_mov_b32 s0, exec_lo
	v_cmpx_ne_u32_e64 v84, v78
	s_xor_b32 s0, exec_lo, s0
	s_cbranch_execz .LBB32_100
; %bb.95:
	s_mov_b32 s1, exec_lo
	v_cmpx_eq_u32_e32 4, v84
	s_cbranch_execz .LBB32_99
; %bb.96:
	v_cmp_ne_u32_e32 vcc_lo, 4, v78
	s_xor_b32 s2, s16, -1
	s_and_b32 s3, s2, vcc_lo
	s_and_saveexec_b32 s2, s3
	s_cbranch_execz .LBB32_98
; %bb.97:
	v_ashrrev_i32_e32 v79, 31, v78
	v_lshlrev_b64 v[84:85], 2, v[78:79]
	v_add_co_u32 v84, vcc_lo, v76, v84
	v_add_co_ci_u32_e64 v85, null, v77, v85, vcc_lo
	s_clause 0x1
	global_load_dword v0, v[84:85], off
	global_load_dword v79, v[76:77], off offset:16
	s_waitcnt vmcnt(1)
	global_store_dword v[76:77], v0, off offset:16
	s_waitcnt vmcnt(0)
	global_store_dword v[84:85], v79, off
.LBB32_98:
	s_or_b32 exec_lo, exec_lo, s2
	v_mov_b32_e32 v84, v78
	v_mov_b32_e32 v0, v78
.LBB32_99:
	s_or_b32 exec_lo, exec_lo, s1
.LBB32_100:
	s_andn2_saveexec_b32 s0, s0
	s_cbranch_execz .LBB32_102
; %bb.101:
	v_mov_b32_e32 v84, 4
	ds_write2_b64 v1, v[34:35], v[36:37] offset0:10 offset1:11
	ds_write2_b64 v1, v[46:47], v[48:49] offset0:12 offset1:13
	;; [unrolled: 1-line block ×12, first 2 shown]
.LBB32_102:
	s_or_b32 exec_lo, exec_lo, s0
	s_mov_b32 s0, exec_lo
	s_waitcnt lgkmcnt(0)
	s_waitcnt_vscnt null, 0x0
	s_barrier
	buffer_gl0_inv
	v_cmpx_lt_i32_e32 4, v84
	s_cbranch_execz .LBB32_104
; %bb.103:
	v_mul_f64 v[78:79], v[70:71], v[60:61]
	v_mul_f64 v[60:61], v[72:73], v[60:61]
	v_fma_f64 v[78:79], v[72:73], v[58:59], v[78:79]
	v_fma_f64 v[58:59], v[70:71], v[58:59], -v[60:61]
	ds_read2_b64 v[70:73], v1 offset0:10 offset1:11
	s_waitcnt lgkmcnt(0)
	v_mul_f64 v[60:61], v[72:73], v[78:79]
	v_fma_f64 v[60:61], v[70:71], v[58:59], -v[60:61]
	v_mul_f64 v[70:71], v[70:71], v[78:79]
	v_add_f64 v[34:35], v[34:35], -v[60:61]
	v_fma_f64 v[70:71], v[72:73], v[58:59], v[70:71]
	v_add_f64 v[36:37], v[36:37], -v[70:71]
	ds_read2_b64 v[70:73], v1 offset0:12 offset1:13
	s_waitcnt lgkmcnt(0)
	v_mul_f64 v[60:61], v[72:73], v[78:79]
	v_fma_f64 v[60:61], v[70:71], v[58:59], -v[60:61]
	v_mul_f64 v[70:71], v[70:71], v[78:79]
	v_add_f64 v[46:47], v[46:47], -v[60:61]
	v_fma_f64 v[70:71], v[72:73], v[58:59], v[70:71]
	v_add_f64 v[48:49], v[48:49], -v[70:71]
	;; [unrolled: 8-line block ×11, first 2 shown]
	ds_read2_b64 v[70:73], v1 offset0:32 offset1:33
	s_waitcnt lgkmcnt(0)
	v_mul_f64 v[60:61], v[72:73], v[78:79]
	v_fma_f64 v[60:61], v[70:71], v[58:59], -v[60:61]
	v_mul_f64 v[70:71], v[70:71], v[78:79]
	v_add_f64 v[2:3], v[2:3], -v[60:61]
	v_fma_f64 v[70:71], v[72:73], v[58:59], v[70:71]
	v_mov_b32_e32 v60, v78
	v_mov_b32_e32 v61, v79
	v_add_f64 v[4:5], v[4:5], -v[70:71]
.LBB32_104:
	s_or_b32 exec_lo, exec_lo, s0
	v_lshl_add_u32 v70, v84, 4, v1
	s_barrier
	buffer_gl0_inv
	v_mov_b32_e32 v78, 5
	ds_write2_b64 v70, v[34:35], v[36:37] offset1:1
	s_waitcnt lgkmcnt(0)
	s_barrier
	buffer_gl0_inv
	ds_read2_b64 v[70:73], v1 offset0:10 offset1:11
	s_cmp_lt_i32 s18, 7
	s_cbranch_scc1 .LBB32_107
; %bb.105:
	v_add3_u32 v79, v80, 0, 0x60
	v_mov_b32_e32 v78, 5
	s_mov_b32 s1, 6
	s_inst_prefetch 0x1
	.p2align	6
.LBB32_106:                             ; =>This Inner Loop Header: Depth=1
	s_waitcnt lgkmcnt(0)
	v_cmp_gt_f64_e32 vcc_lo, 0, v[72:73]
	v_cmp_gt_f64_e64 s0, 0, v[70:71]
	ds_read2_b64 v[85:88], v79 offset1:1
	v_xor_b32_e32 v90, 0x80000000, v71
	v_xor_b32_e32 v92, 0x80000000, v73
	v_mov_b32_e32 v89, v70
	v_mov_b32_e32 v91, v72
	v_add_nc_u32_e32 v79, 16, v79
	s_waitcnt lgkmcnt(0)
	v_xor_b32_e32 v94, 0x80000000, v88
	v_cndmask_b32_e64 v90, v71, v90, s0
	v_cndmask_b32_e32 v92, v73, v92, vcc_lo
	v_cmp_gt_f64_e32 vcc_lo, 0, v[87:88]
	v_cmp_gt_f64_e64 s0, 0, v[85:86]
	v_mov_b32_e32 v93, v87
	v_add_f64 v[89:90], v[89:90], v[91:92]
	v_xor_b32_e32 v92, 0x80000000, v86
	v_mov_b32_e32 v91, v85
	v_cndmask_b32_e32 v94, v88, v94, vcc_lo
	v_cndmask_b32_e64 v92, v86, v92, s0
	v_add_f64 v[91:92], v[91:92], v[93:94]
	v_cmp_lt_f64_e32 vcc_lo, v[89:90], v[91:92]
	v_cndmask_b32_e32 v71, v71, v86, vcc_lo
	v_cndmask_b32_e32 v70, v70, v85, vcc_lo
	;; [unrolled: 1-line block ×4, first 2 shown]
	v_cndmask_b32_e64 v78, v78, s1, vcc_lo
	s_add_i32 s1, s1, 1
	s_cmp_lg_u32 s18, s1
	s_cbranch_scc1 .LBB32_106
.LBB32_107:
	s_inst_prefetch 0x2
	s_waitcnt lgkmcnt(0)
	v_cmp_eq_f64_e32 vcc_lo, 0, v[70:71]
	v_cmp_eq_f64_e64 s0, 0, v[72:73]
	s_and_b32 s0, vcc_lo, s0
	s_and_saveexec_b32 s1, s0
	s_xor_b32 s0, exec_lo, s1
; %bb.108:
	v_cmp_ne_u32_e32 vcc_lo, 0, v83
	v_cndmask_b32_e32 v83, 6, v83, vcc_lo
; %bb.109:
	s_andn2_saveexec_b32 s0, s0
	s_cbranch_execz .LBB32_115
; %bb.110:
	v_cmp_ngt_f64_e64 s1, |v[70:71]|, |v[72:73]|
	s_and_saveexec_b32 s2, s1
	s_xor_b32 s1, exec_lo, s2
	s_cbranch_execz .LBB32_112
; %bb.111:
	v_div_scale_f64 v[85:86], null, v[72:73], v[72:73], v[70:71]
	v_div_scale_f64 v[91:92], vcc_lo, v[70:71], v[72:73], v[70:71]
	v_rcp_f64_e32 v[87:88], v[85:86]
	v_fma_f64 v[89:90], -v[85:86], v[87:88], 1.0
	v_fma_f64 v[87:88], v[87:88], v[89:90], v[87:88]
	v_fma_f64 v[89:90], -v[85:86], v[87:88], 1.0
	v_fma_f64 v[87:88], v[87:88], v[89:90], v[87:88]
	v_mul_f64 v[89:90], v[91:92], v[87:88]
	v_fma_f64 v[85:86], -v[85:86], v[89:90], v[91:92]
	v_div_fmas_f64 v[85:86], v[85:86], v[87:88], v[89:90]
	v_div_fixup_f64 v[85:86], v[85:86], v[72:73], v[70:71]
	v_fma_f64 v[70:71], v[70:71], v[85:86], v[72:73]
	v_div_scale_f64 v[72:73], null, v[70:71], v[70:71], 1.0
	v_rcp_f64_e32 v[87:88], v[72:73]
	v_fma_f64 v[89:90], -v[72:73], v[87:88], 1.0
	v_fma_f64 v[87:88], v[87:88], v[89:90], v[87:88]
	v_fma_f64 v[89:90], -v[72:73], v[87:88], 1.0
	v_fma_f64 v[87:88], v[87:88], v[89:90], v[87:88]
	v_div_scale_f64 v[89:90], vcc_lo, 1.0, v[70:71], 1.0
	v_mul_f64 v[91:92], v[89:90], v[87:88]
	v_fma_f64 v[72:73], -v[72:73], v[91:92], v[89:90]
	v_div_fmas_f64 v[72:73], v[72:73], v[87:88], v[91:92]
	v_div_fixup_f64 v[72:73], v[72:73], v[70:71], 1.0
	v_mul_f64 v[70:71], v[85:86], v[72:73]
	v_xor_b32_e32 v73, 0x80000000, v73
.LBB32_112:
	s_andn2_saveexec_b32 s1, s1
	s_cbranch_execz .LBB32_114
; %bb.113:
	v_div_scale_f64 v[85:86], null, v[70:71], v[70:71], v[72:73]
	v_div_scale_f64 v[91:92], vcc_lo, v[72:73], v[70:71], v[72:73]
	v_rcp_f64_e32 v[87:88], v[85:86]
	v_fma_f64 v[89:90], -v[85:86], v[87:88], 1.0
	v_fma_f64 v[87:88], v[87:88], v[89:90], v[87:88]
	v_fma_f64 v[89:90], -v[85:86], v[87:88], 1.0
	v_fma_f64 v[87:88], v[87:88], v[89:90], v[87:88]
	v_mul_f64 v[89:90], v[91:92], v[87:88]
	v_fma_f64 v[85:86], -v[85:86], v[89:90], v[91:92]
	v_div_fmas_f64 v[85:86], v[85:86], v[87:88], v[89:90]
	v_div_fixup_f64 v[85:86], v[85:86], v[70:71], v[72:73]
	v_fma_f64 v[70:71], v[72:73], v[85:86], v[70:71]
	v_div_scale_f64 v[72:73], null, v[70:71], v[70:71], 1.0
	v_rcp_f64_e32 v[87:88], v[72:73]
	v_fma_f64 v[89:90], -v[72:73], v[87:88], 1.0
	v_fma_f64 v[87:88], v[87:88], v[89:90], v[87:88]
	v_fma_f64 v[89:90], -v[72:73], v[87:88], 1.0
	v_fma_f64 v[87:88], v[87:88], v[89:90], v[87:88]
	v_div_scale_f64 v[89:90], vcc_lo, 1.0, v[70:71], 1.0
	v_mul_f64 v[91:92], v[89:90], v[87:88]
	v_fma_f64 v[72:73], -v[72:73], v[91:92], v[89:90]
	v_div_fmas_f64 v[72:73], v[72:73], v[87:88], v[91:92]
	v_div_fixup_f64 v[70:71], v[72:73], v[70:71], 1.0
	v_mul_f64 v[72:73], v[85:86], -v[70:71]
.LBB32_114:
	s_or_b32 exec_lo, exec_lo, s1
.LBB32_115:
	s_or_b32 exec_lo, exec_lo, s0
	s_mov_b32 s0, exec_lo
	v_cmpx_ne_u32_e64 v84, v78
	s_xor_b32 s0, exec_lo, s0
	s_cbranch_execz .LBB32_121
; %bb.116:
	s_mov_b32 s1, exec_lo
	v_cmpx_eq_u32_e32 5, v84
	s_cbranch_execz .LBB32_120
; %bb.117:
	v_cmp_ne_u32_e32 vcc_lo, 5, v78
	s_xor_b32 s2, s16, -1
	s_and_b32 s3, s2, vcc_lo
	s_and_saveexec_b32 s2, s3
	s_cbranch_execz .LBB32_119
; %bb.118:
	v_ashrrev_i32_e32 v79, 31, v78
	v_lshlrev_b64 v[84:85], 2, v[78:79]
	v_add_co_u32 v84, vcc_lo, v76, v84
	v_add_co_ci_u32_e64 v85, null, v77, v85, vcc_lo
	s_clause 0x1
	global_load_dword v0, v[84:85], off
	global_load_dword v79, v[76:77], off offset:20
	s_waitcnt vmcnt(1)
	global_store_dword v[76:77], v0, off offset:20
	s_waitcnt vmcnt(0)
	global_store_dword v[84:85], v79, off
.LBB32_119:
	s_or_b32 exec_lo, exec_lo, s2
	v_mov_b32_e32 v84, v78
	v_mov_b32_e32 v0, v78
.LBB32_120:
	s_or_b32 exec_lo, exec_lo, s1
.LBB32_121:
	s_andn2_saveexec_b32 s0, s0
	s_cbranch_execz .LBB32_123
; %bb.122:
	v_mov_b32_e32 v84, 5
	ds_write2_b64 v1, v[46:47], v[48:49] offset0:12 offset1:13
	ds_write2_b64 v1, v[30:31], v[32:33] offset0:14 offset1:15
	;; [unrolled: 1-line block ×11, first 2 shown]
.LBB32_123:
	s_or_b32 exec_lo, exec_lo, s0
	s_mov_b32 s0, exec_lo
	s_waitcnt lgkmcnt(0)
	s_waitcnt_vscnt null, 0x0
	s_barrier
	buffer_gl0_inv
	v_cmpx_lt_i32_e32 5, v84
	s_cbranch_execz .LBB32_125
; %bb.124:
	v_mul_f64 v[78:79], v[70:71], v[36:37]
	v_mul_f64 v[36:37], v[72:73], v[36:37]
	v_fma_f64 v[78:79], v[72:73], v[34:35], v[78:79]
	v_fma_f64 v[34:35], v[70:71], v[34:35], -v[36:37]
	ds_read2_b64 v[70:73], v1 offset0:12 offset1:13
	s_waitcnt lgkmcnt(0)
	v_mul_f64 v[36:37], v[72:73], v[78:79]
	v_fma_f64 v[36:37], v[70:71], v[34:35], -v[36:37]
	v_mul_f64 v[70:71], v[70:71], v[78:79]
	v_add_f64 v[46:47], v[46:47], -v[36:37]
	v_fma_f64 v[70:71], v[72:73], v[34:35], v[70:71]
	v_add_f64 v[48:49], v[48:49], -v[70:71]
	ds_read2_b64 v[70:73], v1 offset0:14 offset1:15
	s_waitcnt lgkmcnt(0)
	v_mul_f64 v[36:37], v[72:73], v[78:79]
	v_fma_f64 v[36:37], v[70:71], v[34:35], -v[36:37]
	v_mul_f64 v[70:71], v[70:71], v[78:79]
	v_add_f64 v[30:31], v[30:31], -v[36:37]
	v_fma_f64 v[70:71], v[72:73], v[34:35], v[70:71]
	v_add_f64 v[32:33], v[32:33], -v[70:71]
	;; [unrolled: 8-line block ×10, first 2 shown]
	ds_read2_b64 v[70:73], v1 offset0:32 offset1:33
	s_waitcnt lgkmcnt(0)
	v_mul_f64 v[36:37], v[72:73], v[78:79]
	v_fma_f64 v[36:37], v[70:71], v[34:35], -v[36:37]
	v_mul_f64 v[70:71], v[70:71], v[78:79]
	v_add_f64 v[2:3], v[2:3], -v[36:37]
	v_fma_f64 v[70:71], v[72:73], v[34:35], v[70:71]
	v_mov_b32_e32 v36, v78
	v_mov_b32_e32 v37, v79
	v_add_f64 v[4:5], v[4:5], -v[70:71]
.LBB32_125:
	s_or_b32 exec_lo, exec_lo, s0
	v_lshl_add_u32 v70, v84, 4, v1
	s_barrier
	buffer_gl0_inv
	v_mov_b32_e32 v78, 6
	ds_write2_b64 v70, v[46:47], v[48:49] offset1:1
	s_waitcnt lgkmcnt(0)
	s_barrier
	buffer_gl0_inv
	ds_read2_b64 v[70:73], v1 offset0:12 offset1:13
	s_cmp_lt_i32 s18, 8
	s_cbranch_scc1 .LBB32_128
; %bb.126:
	v_add3_u32 v79, v80, 0, 0x70
	v_mov_b32_e32 v78, 6
	s_mov_b32 s1, 7
	s_inst_prefetch 0x1
	.p2align	6
.LBB32_127:                             ; =>This Inner Loop Header: Depth=1
	s_waitcnt lgkmcnt(0)
	v_cmp_gt_f64_e32 vcc_lo, 0, v[72:73]
	v_cmp_gt_f64_e64 s0, 0, v[70:71]
	ds_read2_b64 v[85:88], v79 offset1:1
	v_xor_b32_e32 v90, 0x80000000, v71
	v_xor_b32_e32 v92, 0x80000000, v73
	v_mov_b32_e32 v89, v70
	v_mov_b32_e32 v91, v72
	v_add_nc_u32_e32 v79, 16, v79
	s_waitcnt lgkmcnt(0)
	v_xor_b32_e32 v94, 0x80000000, v88
	v_cndmask_b32_e64 v90, v71, v90, s0
	v_cndmask_b32_e32 v92, v73, v92, vcc_lo
	v_cmp_gt_f64_e32 vcc_lo, 0, v[87:88]
	v_cmp_gt_f64_e64 s0, 0, v[85:86]
	v_mov_b32_e32 v93, v87
	v_add_f64 v[89:90], v[89:90], v[91:92]
	v_xor_b32_e32 v92, 0x80000000, v86
	v_mov_b32_e32 v91, v85
	v_cndmask_b32_e32 v94, v88, v94, vcc_lo
	v_cndmask_b32_e64 v92, v86, v92, s0
	v_add_f64 v[91:92], v[91:92], v[93:94]
	v_cmp_lt_f64_e32 vcc_lo, v[89:90], v[91:92]
	v_cndmask_b32_e32 v71, v71, v86, vcc_lo
	v_cndmask_b32_e32 v70, v70, v85, vcc_lo
	;; [unrolled: 1-line block ×4, first 2 shown]
	v_cndmask_b32_e64 v78, v78, s1, vcc_lo
	s_add_i32 s1, s1, 1
	s_cmp_lg_u32 s18, s1
	s_cbranch_scc1 .LBB32_127
.LBB32_128:
	s_inst_prefetch 0x2
	s_waitcnt lgkmcnt(0)
	v_cmp_eq_f64_e32 vcc_lo, 0, v[70:71]
	v_cmp_eq_f64_e64 s0, 0, v[72:73]
	s_and_b32 s0, vcc_lo, s0
	s_and_saveexec_b32 s1, s0
	s_xor_b32 s0, exec_lo, s1
; %bb.129:
	v_cmp_ne_u32_e32 vcc_lo, 0, v83
	v_cndmask_b32_e32 v83, 7, v83, vcc_lo
; %bb.130:
	s_andn2_saveexec_b32 s0, s0
	s_cbranch_execz .LBB32_136
; %bb.131:
	v_cmp_ngt_f64_e64 s1, |v[70:71]|, |v[72:73]|
	s_and_saveexec_b32 s2, s1
	s_xor_b32 s1, exec_lo, s2
	s_cbranch_execz .LBB32_133
; %bb.132:
	v_div_scale_f64 v[85:86], null, v[72:73], v[72:73], v[70:71]
	v_div_scale_f64 v[91:92], vcc_lo, v[70:71], v[72:73], v[70:71]
	v_rcp_f64_e32 v[87:88], v[85:86]
	v_fma_f64 v[89:90], -v[85:86], v[87:88], 1.0
	v_fma_f64 v[87:88], v[87:88], v[89:90], v[87:88]
	v_fma_f64 v[89:90], -v[85:86], v[87:88], 1.0
	v_fma_f64 v[87:88], v[87:88], v[89:90], v[87:88]
	v_mul_f64 v[89:90], v[91:92], v[87:88]
	v_fma_f64 v[85:86], -v[85:86], v[89:90], v[91:92]
	v_div_fmas_f64 v[85:86], v[85:86], v[87:88], v[89:90]
	v_div_fixup_f64 v[85:86], v[85:86], v[72:73], v[70:71]
	v_fma_f64 v[70:71], v[70:71], v[85:86], v[72:73]
	v_div_scale_f64 v[72:73], null, v[70:71], v[70:71], 1.0
	v_rcp_f64_e32 v[87:88], v[72:73]
	v_fma_f64 v[89:90], -v[72:73], v[87:88], 1.0
	v_fma_f64 v[87:88], v[87:88], v[89:90], v[87:88]
	v_fma_f64 v[89:90], -v[72:73], v[87:88], 1.0
	v_fma_f64 v[87:88], v[87:88], v[89:90], v[87:88]
	v_div_scale_f64 v[89:90], vcc_lo, 1.0, v[70:71], 1.0
	v_mul_f64 v[91:92], v[89:90], v[87:88]
	v_fma_f64 v[72:73], -v[72:73], v[91:92], v[89:90]
	v_div_fmas_f64 v[72:73], v[72:73], v[87:88], v[91:92]
	v_div_fixup_f64 v[72:73], v[72:73], v[70:71], 1.0
	v_mul_f64 v[70:71], v[85:86], v[72:73]
	v_xor_b32_e32 v73, 0x80000000, v73
.LBB32_133:
	s_andn2_saveexec_b32 s1, s1
	s_cbranch_execz .LBB32_135
; %bb.134:
	v_div_scale_f64 v[85:86], null, v[70:71], v[70:71], v[72:73]
	v_div_scale_f64 v[91:92], vcc_lo, v[72:73], v[70:71], v[72:73]
	v_rcp_f64_e32 v[87:88], v[85:86]
	v_fma_f64 v[89:90], -v[85:86], v[87:88], 1.0
	v_fma_f64 v[87:88], v[87:88], v[89:90], v[87:88]
	v_fma_f64 v[89:90], -v[85:86], v[87:88], 1.0
	v_fma_f64 v[87:88], v[87:88], v[89:90], v[87:88]
	v_mul_f64 v[89:90], v[91:92], v[87:88]
	v_fma_f64 v[85:86], -v[85:86], v[89:90], v[91:92]
	v_div_fmas_f64 v[85:86], v[85:86], v[87:88], v[89:90]
	v_div_fixup_f64 v[85:86], v[85:86], v[70:71], v[72:73]
	v_fma_f64 v[70:71], v[72:73], v[85:86], v[70:71]
	v_div_scale_f64 v[72:73], null, v[70:71], v[70:71], 1.0
	v_rcp_f64_e32 v[87:88], v[72:73]
	v_fma_f64 v[89:90], -v[72:73], v[87:88], 1.0
	v_fma_f64 v[87:88], v[87:88], v[89:90], v[87:88]
	v_fma_f64 v[89:90], -v[72:73], v[87:88], 1.0
	v_fma_f64 v[87:88], v[87:88], v[89:90], v[87:88]
	v_div_scale_f64 v[89:90], vcc_lo, 1.0, v[70:71], 1.0
	v_mul_f64 v[91:92], v[89:90], v[87:88]
	v_fma_f64 v[72:73], -v[72:73], v[91:92], v[89:90]
	v_div_fmas_f64 v[72:73], v[72:73], v[87:88], v[91:92]
	v_div_fixup_f64 v[70:71], v[72:73], v[70:71], 1.0
	v_mul_f64 v[72:73], v[85:86], -v[70:71]
.LBB32_135:
	s_or_b32 exec_lo, exec_lo, s1
.LBB32_136:
	s_or_b32 exec_lo, exec_lo, s0
	s_mov_b32 s0, exec_lo
	v_cmpx_ne_u32_e64 v84, v78
	s_xor_b32 s0, exec_lo, s0
	s_cbranch_execz .LBB32_142
; %bb.137:
	s_mov_b32 s1, exec_lo
	v_cmpx_eq_u32_e32 6, v84
	s_cbranch_execz .LBB32_141
; %bb.138:
	v_cmp_ne_u32_e32 vcc_lo, 6, v78
	s_xor_b32 s2, s16, -1
	s_and_b32 s3, s2, vcc_lo
	s_and_saveexec_b32 s2, s3
	s_cbranch_execz .LBB32_140
; %bb.139:
	v_ashrrev_i32_e32 v79, 31, v78
	v_lshlrev_b64 v[84:85], 2, v[78:79]
	v_add_co_u32 v84, vcc_lo, v76, v84
	v_add_co_ci_u32_e64 v85, null, v77, v85, vcc_lo
	s_clause 0x1
	global_load_dword v0, v[84:85], off
	global_load_dword v79, v[76:77], off offset:24
	s_waitcnt vmcnt(1)
	global_store_dword v[76:77], v0, off offset:24
	s_waitcnt vmcnt(0)
	global_store_dword v[84:85], v79, off
.LBB32_140:
	s_or_b32 exec_lo, exec_lo, s2
	v_mov_b32_e32 v84, v78
	v_mov_b32_e32 v0, v78
.LBB32_141:
	s_or_b32 exec_lo, exec_lo, s1
.LBB32_142:
	s_andn2_saveexec_b32 s0, s0
	s_cbranch_execz .LBB32_144
; %bb.143:
	v_mov_b32_e32 v84, 6
	ds_write2_b64 v1, v[30:31], v[32:33] offset0:14 offset1:15
	ds_write2_b64 v1, v[42:43], v[44:45] offset0:16 offset1:17
	;; [unrolled: 1-line block ×10, first 2 shown]
.LBB32_144:
	s_or_b32 exec_lo, exec_lo, s0
	s_mov_b32 s0, exec_lo
	s_waitcnt lgkmcnt(0)
	s_waitcnt_vscnt null, 0x0
	s_barrier
	buffer_gl0_inv
	v_cmpx_lt_i32_e32 6, v84
	s_cbranch_execz .LBB32_146
; %bb.145:
	v_mul_f64 v[78:79], v[70:71], v[48:49]
	v_mul_f64 v[48:49], v[72:73], v[48:49]
	v_fma_f64 v[78:79], v[72:73], v[46:47], v[78:79]
	v_fma_f64 v[46:47], v[70:71], v[46:47], -v[48:49]
	ds_read2_b64 v[70:73], v1 offset0:14 offset1:15
	s_waitcnt lgkmcnt(0)
	v_mul_f64 v[48:49], v[72:73], v[78:79]
	v_fma_f64 v[48:49], v[70:71], v[46:47], -v[48:49]
	v_mul_f64 v[70:71], v[70:71], v[78:79]
	v_add_f64 v[30:31], v[30:31], -v[48:49]
	v_fma_f64 v[70:71], v[72:73], v[46:47], v[70:71]
	v_add_f64 v[32:33], v[32:33], -v[70:71]
	ds_read2_b64 v[70:73], v1 offset0:16 offset1:17
	s_waitcnt lgkmcnt(0)
	v_mul_f64 v[48:49], v[72:73], v[78:79]
	v_fma_f64 v[48:49], v[70:71], v[46:47], -v[48:49]
	v_mul_f64 v[70:71], v[70:71], v[78:79]
	v_add_f64 v[42:43], v[42:43], -v[48:49]
	v_fma_f64 v[70:71], v[72:73], v[46:47], v[70:71]
	v_add_f64 v[44:45], v[44:45], -v[70:71]
	;; [unrolled: 8-line block ×9, first 2 shown]
	ds_read2_b64 v[70:73], v1 offset0:32 offset1:33
	s_waitcnt lgkmcnt(0)
	v_mul_f64 v[48:49], v[72:73], v[78:79]
	v_fma_f64 v[48:49], v[70:71], v[46:47], -v[48:49]
	v_mul_f64 v[70:71], v[70:71], v[78:79]
	v_add_f64 v[2:3], v[2:3], -v[48:49]
	v_fma_f64 v[70:71], v[72:73], v[46:47], v[70:71]
	v_mov_b32_e32 v48, v78
	v_mov_b32_e32 v49, v79
	v_add_f64 v[4:5], v[4:5], -v[70:71]
.LBB32_146:
	s_or_b32 exec_lo, exec_lo, s0
	v_lshl_add_u32 v70, v84, 4, v1
	s_barrier
	buffer_gl0_inv
	v_mov_b32_e32 v78, 7
	ds_write2_b64 v70, v[30:31], v[32:33] offset1:1
	s_waitcnt lgkmcnt(0)
	s_barrier
	buffer_gl0_inv
	ds_read2_b64 v[70:73], v1 offset0:14 offset1:15
	s_cmp_lt_i32 s18, 9
	s_cbranch_scc1 .LBB32_149
; %bb.147:
	v_add3_u32 v79, v80, 0, 0x80
	v_mov_b32_e32 v78, 7
	s_mov_b32 s1, 8
	s_inst_prefetch 0x1
	.p2align	6
.LBB32_148:                             ; =>This Inner Loop Header: Depth=1
	s_waitcnt lgkmcnt(0)
	v_cmp_gt_f64_e32 vcc_lo, 0, v[72:73]
	v_cmp_gt_f64_e64 s0, 0, v[70:71]
	ds_read2_b64 v[85:88], v79 offset1:1
	v_xor_b32_e32 v90, 0x80000000, v71
	v_xor_b32_e32 v92, 0x80000000, v73
	v_mov_b32_e32 v89, v70
	v_mov_b32_e32 v91, v72
	v_add_nc_u32_e32 v79, 16, v79
	s_waitcnt lgkmcnt(0)
	v_xor_b32_e32 v94, 0x80000000, v88
	v_cndmask_b32_e64 v90, v71, v90, s0
	v_cndmask_b32_e32 v92, v73, v92, vcc_lo
	v_cmp_gt_f64_e32 vcc_lo, 0, v[87:88]
	v_cmp_gt_f64_e64 s0, 0, v[85:86]
	v_mov_b32_e32 v93, v87
	v_add_f64 v[89:90], v[89:90], v[91:92]
	v_xor_b32_e32 v92, 0x80000000, v86
	v_mov_b32_e32 v91, v85
	v_cndmask_b32_e32 v94, v88, v94, vcc_lo
	v_cndmask_b32_e64 v92, v86, v92, s0
	v_add_f64 v[91:92], v[91:92], v[93:94]
	v_cmp_lt_f64_e32 vcc_lo, v[89:90], v[91:92]
	v_cndmask_b32_e32 v71, v71, v86, vcc_lo
	v_cndmask_b32_e32 v70, v70, v85, vcc_lo
	;; [unrolled: 1-line block ×4, first 2 shown]
	v_cndmask_b32_e64 v78, v78, s1, vcc_lo
	s_add_i32 s1, s1, 1
	s_cmp_lg_u32 s18, s1
	s_cbranch_scc1 .LBB32_148
.LBB32_149:
	s_inst_prefetch 0x2
	s_waitcnt lgkmcnt(0)
	v_cmp_eq_f64_e32 vcc_lo, 0, v[70:71]
	v_cmp_eq_f64_e64 s0, 0, v[72:73]
	s_and_b32 s0, vcc_lo, s0
	s_and_saveexec_b32 s1, s0
	s_xor_b32 s0, exec_lo, s1
; %bb.150:
	v_cmp_ne_u32_e32 vcc_lo, 0, v83
	v_cndmask_b32_e32 v83, 8, v83, vcc_lo
; %bb.151:
	s_andn2_saveexec_b32 s0, s0
	s_cbranch_execz .LBB32_157
; %bb.152:
	v_cmp_ngt_f64_e64 s1, |v[70:71]|, |v[72:73]|
	s_and_saveexec_b32 s2, s1
	s_xor_b32 s1, exec_lo, s2
	s_cbranch_execz .LBB32_154
; %bb.153:
	v_div_scale_f64 v[85:86], null, v[72:73], v[72:73], v[70:71]
	v_div_scale_f64 v[91:92], vcc_lo, v[70:71], v[72:73], v[70:71]
	v_rcp_f64_e32 v[87:88], v[85:86]
	v_fma_f64 v[89:90], -v[85:86], v[87:88], 1.0
	v_fma_f64 v[87:88], v[87:88], v[89:90], v[87:88]
	v_fma_f64 v[89:90], -v[85:86], v[87:88], 1.0
	v_fma_f64 v[87:88], v[87:88], v[89:90], v[87:88]
	v_mul_f64 v[89:90], v[91:92], v[87:88]
	v_fma_f64 v[85:86], -v[85:86], v[89:90], v[91:92]
	v_div_fmas_f64 v[85:86], v[85:86], v[87:88], v[89:90]
	v_div_fixup_f64 v[85:86], v[85:86], v[72:73], v[70:71]
	v_fma_f64 v[70:71], v[70:71], v[85:86], v[72:73]
	v_div_scale_f64 v[72:73], null, v[70:71], v[70:71], 1.0
	v_rcp_f64_e32 v[87:88], v[72:73]
	v_fma_f64 v[89:90], -v[72:73], v[87:88], 1.0
	v_fma_f64 v[87:88], v[87:88], v[89:90], v[87:88]
	v_fma_f64 v[89:90], -v[72:73], v[87:88], 1.0
	v_fma_f64 v[87:88], v[87:88], v[89:90], v[87:88]
	v_div_scale_f64 v[89:90], vcc_lo, 1.0, v[70:71], 1.0
	v_mul_f64 v[91:92], v[89:90], v[87:88]
	v_fma_f64 v[72:73], -v[72:73], v[91:92], v[89:90]
	v_div_fmas_f64 v[72:73], v[72:73], v[87:88], v[91:92]
	v_div_fixup_f64 v[72:73], v[72:73], v[70:71], 1.0
	v_mul_f64 v[70:71], v[85:86], v[72:73]
	v_xor_b32_e32 v73, 0x80000000, v73
.LBB32_154:
	s_andn2_saveexec_b32 s1, s1
	s_cbranch_execz .LBB32_156
; %bb.155:
	v_div_scale_f64 v[85:86], null, v[70:71], v[70:71], v[72:73]
	v_div_scale_f64 v[91:92], vcc_lo, v[72:73], v[70:71], v[72:73]
	v_rcp_f64_e32 v[87:88], v[85:86]
	v_fma_f64 v[89:90], -v[85:86], v[87:88], 1.0
	v_fma_f64 v[87:88], v[87:88], v[89:90], v[87:88]
	v_fma_f64 v[89:90], -v[85:86], v[87:88], 1.0
	v_fma_f64 v[87:88], v[87:88], v[89:90], v[87:88]
	v_mul_f64 v[89:90], v[91:92], v[87:88]
	v_fma_f64 v[85:86], -v[85:86], v[89:90], v[91:92]
	v_div_fmas_f64 v[85:86], v[85:86], v[87:88], v[89:90]
	v_div_fixup_f64 v[85:86], v[85:86], v[70:71], v[72:73]
	v_fma_f64 v[70:71], v[72:73], v[85:86], v[70:71]
	v_div_scale_f64 v[72:73], null, v[70:71], v[70:71], 1.0
	v_rcp_f64_e32 v[87:88], v[72:73]
	v_fma_f64 v[89:90], -v[72:73], v[87:88], 1.0
	v_fma_f64 v[87:88], v[87:88], v[89:90], v[87:88]
	v_fma_f64 v[89:90], -v[72:73], v[87:88], 1.0
	v_fma_f64 v[87:88], v[87:88], v[89:90], v[87:88]
	v_div_scale_f64 v[89:90], vcc_lo, 1.0, v[70:71], 1.0
	v_mul_f64 v[91:92], v[89:90], v[87:88]
	v_fma_f64 v[72:73], -v[72:73], v[91:92], v[89:90]
	v_div_fmas_f64 v[72:73], v[72:73], v[87:88], v[91:92]
	v_div_fixup_f64 v[70:71], v[72:73], v[70:71], 1.0
	v_mul_f64 v[72:73], v[85:86], -v[70:71]
.LBB32_156:
	s_or_b32 exec_lo, exec_lo, s1
.LBB32_157:
	s_or_b32 exec_lo, exec_lo, s0
	s_mov_b32 s0, exec_lo
	v_cmpx_ne_u32_e64 v84, v78
	s_xor_b32 s0, exec_lo, s0
	s_cbranch_execz .LBB32_163
; %bb.158:
	s_mov_b32 s1, exec_lo
	v_cmpx_eq_u32_e32 7, v84
	s_cbranch_execz .LBB32_162
; %bb.159:
	v_cmp_ne_u32_e32 vcc_lo, 7, v78
	s_xor_b32 s2, s16, -1
	s_and_b32 s3, s2, vcc_lo
	s_and_saveexec_b32 s2, s3
	s_cbranch_execz .LBB32_161
; %bb.160:
	v_ashrrev_i32_e32 v79, 31, v78
	v_lshlrev_b64 v[84:85], 2, v[78:79]
	v_add_co_u32 v84, vcc_lo, v76, v84
	v_add_co_ci_u32_e64 v85, null, v77, v85, vcc_lo
	s_clause 0x1
	global_load_dword v0, v[84:85], off
	global_load_dword v79, v[76:77], off offset:28
	s_waitcnt vmcnt(1)
	global_store_dword v[76:77], v0, off offset:28
	s_waitcnt vmcnt(0)
	global_store_dword v[84:85], v79, off
.LBB32_161:
	s_or_b32 exec_lo, exec_lo, s2
	v_mov_b32_e32 v84, v78
	v_mov_b32_e32 v0, v78
.LBB32_162:
	s_or_b32 exec_lo, exec_lo, s1
.LBB32_163:
	s_andn2_saveexec_b32 s0, s0
	s_cbranch_execz .LBB32_165
; %bb.164:
	v_mov_b32_e32 v84, 7
	ds_write2_b64 v1, v[42:43], v[44:45] offset0:16 offset1:17
	ds_write2_b64 v1, v[38:39], v[40:41] offset0:18 offset1:19
	;; [unrolled: 1-line block ×9, first 2 shown]
.LBB32_165:
	s_or_b32 exec_lo, exec_lo, s0
	s_mov_b32 s0, exec_lo
	s_waitcnt lgkmcnt(0)
	s_waitcnt_vscnt null, 0x0
	s_barrier
	buffer_gl0_inv
	v_cmpx_lt_i32_e32 7, v84
	s_cbranch_execz .LBB32_167
; %bb.166:
	v_mul_f64 v[78:79], v[70:71], v[32:33]
	v_mul_f64 v[32:33], v[72:73], v[32:33]
	v_fma_f64 v[78:79], v[72:73], v[30:31], v[78:79]
	v_fma_f64 v[30:31], v[70:71], v[30:31], -v[32:33]
	ds_read2_b64 v[70:73], v1 offset0:16 offset1:17
	s_waitcnt lgkmcnt(0)
	v_mul_f64 v[32:33], v[72:73], v[78:79]
	v_fma_f64 v[32:33], v[70:71], v[30:31], -v[32:33]
	v_mul_f64 v[70:71], v[70:71], v[78:79]
	v_add_f64 v[42:43], v[42:43], -v[32:33]
	v_fma_f64 v[70:71], v[72:73], v[30:31], v[70:71]
	v_add_f64 v[44:45], v[44:45], -v[70:71]
	ds_read2_b64 v[70:73], v1 offset0:18 offset1:19
	s_waitcnt lgkmcnt(0)
	v_mul_f64 v[32:33], v[72:73], v[78:79]
	v_fma_f64 v[32:33], v[70:71], v[30:31], -v[32:33]
	v_mul_f64 v[70:71], v[70:71], v[78:79]
	v_add_f64 v[38:39], v[38:39], -v[32:33]
	v_fma_f64 v[70:71], v[72:73], v[30:31], v[70:71]
	v_add_f64 v[40:41], v[40:41], -v[70:71]
	;; [unrolled: 8-line block ×8, first 2 shown]
	ds_read2_b64 v[70:73], v1 offset0:32 offset1:33
	s_waitcnt lgkmcnt(0)
	v_mul_f64 v[32:33], v[72:73], v[78:79]
	v_fma_f64 v[32:33], v[70:71], v[30:31], -v[32:33]
	v_mul_f64 v[70:71], v[70:71], v[78:79]
	v_add_f64 v[2:3], v[2:3], -v[32:33]
	v_fma_f64 v[70:71], v[72:73], v[30:31], v[70:71]
	v_mov_b32_e32 v32, v78
	v_mov_b32_e32 v33, v79
	v_add_f64 v[4:5], v[4:5], -v[70:71]
.LBB32_167:
	s_or_b32 exec_lo, exec_lo, s0
	v_lshl_add_u32 v70, v84, 4, v1
	s_barrier
	buffer_gl0_inv
	v_mov_b32_e32 v78, 8
	ds_write2_b64 v70, v[42:43], v[44:45] offset1:1
	s_waitcnt lgkmcnt(0)
	s_barrier
	buffer_gl0_inv
	ds_read2_b64 v[70:73], v1 offset0:16 offset1:17
	s_cmp_lt_i32 s18, 10
	s_cbranch_scc1 .LBB32_170
; %bb.168:
	v_add3_u32 v79, v80, 0, 0x90
	v_mov_b32_e32 v78, 8
	s_mov_b32 s1, 9
	s_inst_prefetch 0x1
	.p2align	6
.LBB32_169:                             ; =>This Inner Loop Header: Depth=1
	s_waitcnt lgkmcnt(0)
	v_cmp_gt_f64_e32 vcc_lo, 0, v[72:73]
	v_cmp_gt_f64_e64 s0, 0, v[70:71]
	ds_read2_b64 v[85:88], v79 offset1:1
	v_xor_b32_e32 v90, 0x80000000, v71
	v_xor_b32_e32 v92, 0x80000000, v73
	v_mov_b32_e32 v89, v70
	v_mov_b32_e32 v91, v72
	v_add_nc_u32_e32 v79, 16, v79
	s_waitcnt lgkmcnt(0)
	v_xor_b32_e32 v94, 0x80000000, v88
	v_cndmask_b32_e64 v90, v71, v90, s0
	v_cndmask_b32_e32 v92, v73, v92, vcc_lo
	v_cmp_gt_f64_e32 vcc_lo, 0, v[87:88]
	v_cmp_gt_f64_e64 s0, 0, v[85:86]
	v_mov_b32_e32 v93, v87
	v_add_f64 v[89:90], v[89:90], v[91:92]
	v_xor_b32_e32 v92, 0x80000000, v86
	v_mov_b32_e32 v91, v85
	v_cndmask_b32_e32 v94, v88, v94, vcc_lo
	v_cndmask_b32_e64 v92, v86, v92, s0
	v_add_f64 v[91:92], v[91:92], v[93:94]
	v_cmp_lt_f64_e32 vcc_lo, v[89:90], v[91:92]
	v_cndmask_b32_e32 v71, v71, v86, vcc_lo
	v_cndmask_b32_e32 v70, v70, v85, vcc_lo
	;; [unrolled: 1-line block ×4, first 2 shown]
	v_cndmask_b32_e64 v78, v78, s1, vcc_lo
	s_add_i32 s1, s1, 1
	s_cmp_lg_u32 s18, s1
	s_cbranch_scc1 .LBB32_169
.LBB32_170:
	s_inst_prefetch 0x2
	s_waitcnt lgkmcnt(0)
	v_cmp_eq_f64_e32 vcc_lo, 0, v[70:71]
	v_cmp_eq_f64_e64 s0, 0, v[72:73]
	s_and_b32 s0, vcc_lo, s0
	s_and_saveexec_b32 s1, s0
	s_xor_b32 s0, exec_lo, s1
; %bb.171:
	v_cmp_ne_u32_e32 vcc_lo, 0, v83
	v_cndmask_b32_e32 v83, 9, v83, vcc_lo
; %bb.172:
	s_andn2_saveexec_b32 s0, s0
	s_cbranch_execz .LBB32_178
; %bb.173:
	v_cmp_ngt_f64_e64 s1, |v[70:71]|, |v[72:73]|
	s_and_saveexec_b32 s2, s1
	s_xor_b32 s1, exec_lo, s2
	s_cbranch_execz .LBB32_175
; %bb.174:
	v_div_scale_f64 v[85:86], null, v[72:73], v[72:73], v[70:71]
	v_div_scale_f64 v[91:92], vcc_lo, v[70:71], v[72:73], v[70:71]
	v_rcp_f64_e32 v[87:88], v[85:86]
	v_fma_f64 v[89:90], -v[85:86], v[87:88], 1.0
	v_fma_f64 v[87:88], v[87:88], v[89:90], v[87:88]
	v_fma_f64 v[89:90], -v[85:86], v[87:88], 1.0
	v_fma_f64 v[87:88], v[87:88], v[89:90], v[87:88]
	v_mul_f64 v[89:90], v[91:92], v[87:88]
	v_fma_f64 v[85:86], -v[85:86], v[89:90], v[91:92]
	v_div_fmas_f64 v[85:86], v[85:86], v[87:88], v[89:90]
	v_div_fixup_f64 v[85:86], v[85:86], v[72:73], v[70:71]
	v_fma_f64 v[70:71], v[70:71], v[85:86], v[72:73]
	v_div_scale_f64 v[72:73], null, v[70:71], v[70:71], 1.0
	v_rcp_f64_e32 v[87:88], v[72:73]
	v_fma_f64 v[89:90], -v[72:73], v[87:88], 1.0
	v_fma_f64 v[87:88], v[87:88], v[89:90], v[87:88]
	v_fma_f64 v[89:90], -v[72:73], v[87:88], 1.0
	v_fma_f64 v[87:88], v[87:88], v[89:90], v[87:88]
	v_div_scale_f64 v[89:90], vcc_lo, 1.0, v[70:71], 1.0
	v_mul_f64 v[91:92], v[89:90], v[87:88]
	v_fma_f64 v[72:73], -v[72:73], v[91:92], v[89:90]
	v_div_fmas_f64 v[72:73], v[72:73], v[87:88], v[91:92]
	v_div_fixup_f64 v[72:73], v[72:73], v[70:71], 1.0
	v_mul_f64 v[70:71], v[85:86], v[72:73]
	v_xor_b32_e32 v73, 0x80000000, v73
.LBB32_175:
	s_andn2_saveexec_b32 s1, s1
	s_cbranch_execz .LBB32_177
; %bb.176:
	v_div_scale_f64 v[85:86], null, v[70:71], v[70:71], v[72:73]
	v_div_scale_f64 v[91:92], vcc_lo, v[72:73], v[70:71], v[72:73]
	v_rcp_f64_e32 v[87:88], v[85:86]
	v_fma_f64 v[89:90], -v[85:86], v[87:88], 1.0
	v_fma_f64 v[87:88], v[87:88], v[89:90], v[87:88]
	v_fma_f64 v[89:90], -v[85:86], v[87:88], 1.0
	v_fma_f64 v[87:88], v[87:88], v[89:90], v[87:88]
	v_mul_f64 v[89:90], v[91:92], v[87:88]
	v_fma_f64 v[85:86], -v[85:86], v[89:90], v[91:92]
	v_div_fmas_f64 v[85:86], v[85:86], v[87:88], v[89:90]
	v_div_fixup_f64 v[85:86], v[85:86], v[70:71], v[72:73]
	v_fma_f64 v[70:71], v[72:73], v[85:86], v[70:71]
	v_div_scale_f64 v[72:73], null, v[70:71], v[70:71], 1.0
	v_rcp_f64_e32 v[87:88], v[72:73]
	v_fma_f64 v[89:90], -v[72:73], v[87:88], 1.0
	v_fma_f64 v[87:88], v[87:88], v[89:90], v[87:88]
	v_fma_f64 v[89:90], -v[72:73], v[87:88], 1.0
	v_fma_f64 v[87:88], v[87:88], v[89:90], v[87:88]
	v_div_scale_f64 v[89:90], vcc_lo, 1.0, v[70:71], 1.0
	v_mul_f64 v[91:92], v[89:90], v[87:88]
	v_fma_f64 v[72:73], -v[72:73], v[91:92], v[89:90]
	v_div_fmas_f64 v[72:73], v[72:73], v[87:88], v[91:92]
	v_div_fixup_f64 v[70:71], v[72:73], v[70:71], 1.0
	v_mul_f64 v[72:73], v[85:86], -v[70:71]
.LBB32_177:
	s_or_b32 exec_lo, exec_lo, s1
.LBB32_178:
	s_or_b32 exec_lo, exec_lo, s0
	s_mov_b32 s0, exec_lo
	v_cmpx_ne_u32_e64 v84, v78
	s_xor_b32 s0, exec_lo, s0
	s_cbranch_execz .LBB32_184
; %bb.179:
	s_mov_b32 s1, exec_lo
	v_cmpx_eq_u32_e32 8, v84
	s_cbranch_execz .LBB32_183
; %bb.180:
	v_cmp_ne_u32_e32 vcc_lo, 8, v78
	s_xor_b32 s2, s16, -1
	s_and_b32 s3, s2, vcc_lo
	s_and_saveexec_b32 s2, s3
	s_cbranch_execz .LBB32_182
; %bb.181:
	v_ashrrev_i32_e32 v79, 31, v78
	v_lshlrev_b64 v[84:85], 2, v[78:79]
	v_add_co_u32 v84, vcc_lo, v76, v84
	v_add_co_ci_u32_e64 v85, null, v77, v85, vcc_lo
	s_clause 0x1
	global_load_dword v0, v[84:85], off
	global_load_dword v79, v[76:77], off offset:32
	s_waitcnt vmcnt(1)
	global_store_dword v[76:77], v0, off offset:32
	s_waitcnt vmcnt(0)
	global_store_dword v[84:85], v79, off
.LBB32_182:
	s_or_b32 exec_lo, exec_lo, s2
	v_mov_b32_e32 v84, v78
	v_mov_b32_e32 v0, v78
.LBB32_183:
	s_or_b32 exec_lo, exec_lo, s1
.LBB32_184:
	s_andn2_saveexec_b32 s0, s0
	s_cbranch_execz .LBB32_186
; %bb.185:
	v_mov_b32_e32 v84, 8
	ds_write2_b64 v1, v[38:39], v[40:41] offset0:18 offset1:19
	ds_write2_b64 v1, v[26:27], v[28:29] offset0:20 offset1:21
	;; [unrolled: 1-line block ×8, first 2 shown]
.LBB32_186:
	s_or_b32 exec_lo, exec_lo, s0
	s_mov_b32 s0, exec_lo
	s_waitcnt lgkmcnt(0)
	s_waitcnt_vscnt null, 0x0
	s_barrier
	buffer_gl0_inv
	v_cmpx_lt_i32_e32 8, v84
	s_cbranch_execz .LBB32_188
; %bb.187:
	v_mul_f64 v[78:79], v[70:71], v[44:45]
	v_mul_f64 v[44:45], v[72:73], v[44:45]
	v_fma_f64 v[78:79], v[72:73], v[42:43], v[78:79]
	v_fma_f64 v[42:43], v[70:71], v[42:43], -v[44:45]
	ds_read2_b64 v[70:73], v1 offset0:18 offset1:19
	s_waitcnt lgkmcnt(0)
	v_mul_f64 v[44:45], v[72:73], v[78:79]
	v_fma_f64 v[44:45], v[70:71], v[42:43], -v[44:45]
	v_mul_f64 v[70:71], v[70:71], v[78:79]
	v_add_f64 v[38:39], v[38:39], -v[44:45]
	v_fma_f64 v[70:71], v[72:73], v[42:43], v[70:71]
	v_add_f64 v[40:41], v[40:41], -v[70:71]
	ds_read2_b64 v[70:73], v1 offset0:20 offset1:21
	s_waitcnt lgkmcnt(0)
	v_mul_f64 v[44:45], v[72:73], v[78:79]
	v_fma_f64 v[44:45], v[70:71], v[42:43], -v[44:45]
	v_mul_f64 v[70:71], v[70:71], v[78:79]
	v_add_f64 v[26:27], v[26:27], -v[44:45]
	v_fma_f64 v[70:71], v[72:73], v[42:43], v[70:71]
	v_add_f64 v[28:29], v[28:29], -v[70:71]
	ds_read2_b64 v[70:73], v1 offset0:22 offset1:23
	s_waitcnt lgkmcnt(0)
	v_mul_f64 v[44:45], v[72:73], v[78:79]
	v_fma_f64 v[44:45], v[70:71], v[42:43], -v[44:45]
	v_mul_f64 v[70:71], v[70:71], v[78:79]
	v_add_f64 v[22:23], v[22:23], -v[44:45]
	v_fma_f64 v[70:71], v[72:73], v[42:43], v[70:71]
	v_add_f64 v[24:25], v[24:25], -v[70:71]
	ds_read2_b64 v[70:73], v1 offset0:24 offset1:25
	s_waitcnt lgkmcnt(0)
	v_mul_f64 v[44:45], v[72:73], v[78:79]
	v_fma_f64 v[44:45], v[70:71], v[42:43], -v[44:45]
	v_mul_f64 v[70:71], v[70:71], v[78:79]
	v_add_f64 v[18:19], v[18:19], -v[44:45]
	v_fma_f64 v[70:71], v[72:73], v[42:43], v[70:71]
	v_add_f64 v[20:21], v[20:21], -v[70:71]
	ds_read2_b64 v[70:73], v1 offset0:26 offset1:27
	s_waitcnt lgkmcnt(0)
	v_mul_f64 v[44:45], v[72:73], v[78:79]
	v_fma_f64 v[44:45], v[70:71], v[42:43], -v[44:45]
	v_mul_f64 v[70:71], v[70:71], v[78:79]
	v_add_f64 v[14:15], v[14:15], -v[44:45]
	v_fma_f64 v[70:71], v[72:73], v[42:43], v[70:71]
	v_add_f64 v[16:17], v[16:17], -v[70:71]
	ds_read2_b64 v[70:73], v1 offset0:28 offset1:29
	s_waitcnt lgkmcnt(0)
	v_mul_f64 v[44:45], v[72:73], v[78:79]
	v_fma_f64 v[44:45], v[70:71], v[42:43], -v[44:45]
	v_mul_f64 v[70:71], v[70:71], v[78:79]
	v_add_f64 v[10:11], v[10:11], -v[44:45]
	v_fma_f64 v[70:71], v[72:73], v[42:43], v[70:71]
	v_add_f64 v[12:13], v[12:13], -v[70:71]
	ds_read2_b64 v[70:73], v1 offset0:30 offset1:31
	s_waitcnt lgkmcnt(0)
	v_mul_f64 v[44:45], v[72:73], v[78:79]
	v_fma_f64 v[44:45], v[70:71], v[42:43], -v[44:45]
	v_mul_f64 v[70:71], v[70:71], v[78:79]
	v_add_f64 v[6:7], v[6:7], -v[44:45]
	v_fma_f64 v[70:71], v[72:73], v[42:43], v[70:71]
	v_add_f64 v[8:9], v[8:9], -v[70:71]
	ds_read2_b64 v[70:73], v1 offset0:32 offset1:33
	s_waitcnt lgkmcnt(0)
	v_mul_f64 v[44:45], v[72:73], v[78:79]
	v_fma_f64 v[44:45], v[70:71], v[42:43], -v[44:45]
	v_mul_f64 v[70:71], v[70:71], v[78:79]
	v_add_f64 v[2:3], v[2:3], -v[44:45]
	v_fma_f64 v[70:71], v[72:73], v[42:43], v[70:71]
	v_mov_b32_e32 v44, v78
	v_mov_b32_e32 v45, v79
	v_add_f64 v[4:5], v[4:5], -v[70:71]
.LBB32_188:
	s_or_b32 exec_lo, exec_lo, s0
	v_lshl_add_u32 v70, v84, 4, v1
	s_barrier
	buffer_gl0_inv
	v_mov_b32_e32 v78, 9
	ds_write2_b64 v70, v[38:39], v[40:41] offset1:1
	s_waitcnt lgkmcnt(0)
	s_barrier
	buffer_gl0_inv
	ds_read2_b64 v[70:73], v1 offset0:18 offset1:19
	s_cmp_lt_i32 s18, 11
	s_cbranch_scc1 .LBB32_191
; %bb.189:
	v_add3_u32 v79, v80, 0, 0xa0
	v_mov_b32_e32 v78, 9
	s_mov_b32 s1, 10
	s_inst_prefetch 0x1
	.p2align	6
.LBB32_190:                             ; =>This Inner Loop Header: Depth=1
	s_waitcnt lgkmcnt(0)
	v_cmp_gt_f64_e32 vcc_lo, 0, v[72:73]
	v_cmp_gt_f64_e64 s0, 0, v[70:71]
	ds_read2_b64 v[85:88], v79 offset1:1
	v_xor_b32_e32 v90, 0x80000000, v71
	v_xor_b32_e32 v92, 0x80000000, v73
	v_mov_b32_e32 v89, v70
	v_mov_b32_e32 v91, v72
	v_add_nc_u32_e32 v79, 16, v79
	s_waitcnt lgkmcnt(0)
	v_xor_b32_e32 v94, 0x80000000, v88
	v_cndmask_b32_e64 v90, v71, v90, s0
	v_cndmask_b32_e32 v92, v73, v92, vcc_lo
	v_cmp_gt_f64_e32 vcc_lo, 0, v[87:88]
	v_cmp_gt_f64_e64 s0, 0, v[85:86]
	v_mov_b32_e32 v93, v87
	v_add_f64 v[89:90], v[89:90], v[91:92]
	v_xor_b32_e32 v92, 0x80000000, v86
	v_mov_b32_e32 v91, v85
	v_cndmask_b32_e32 v94, v88, v94, vcc_lo
	v_cndmask_b32_e64 v92, v86, v92, s0
	v_add_f64 v[91:92], v[91:92], v[93:94]
	v_cmp_lt_f64_e32 vcc_lo, v[89:90], v[91:92]
	v_cndmask_b32_e32 v71, v71, v86, vcc_lo
	v_cndmask_b32_e32 v70, v70, v85, vcc_lo
	;; [unrolled: 1-line block ×4, first 2 shown]
	v_cndmask_b32_e64 v78, v78, s1, vcc_lo
	s_add_i32 s1, s1, 1
	s_cmp_lg_u32 s18, s1
	s_cbranch_scc1 .LBB32_190
.LBB32_191:
	s_inst_prefetch 0x2
	s_waitcnt lgkmcnt(0)
	v_cmp_eq_f64_e32 vcc_lo, 0, v[70:71]
	v_cmp_eq_f64_e64 s0, 0, v[72:73]
	s_and_b32 s0, vcc_lo, s0
	s_and_saveexec_b32 s1, s0
	s_xor_b32 s0, exec_lo, s1
; %bb.192:
	v_cmp_ne_u32_e32 vcc_lo, 0, v83
	v_cndmask_b32_e32 v83, 10, v83, vcc_lo
; %bb.193:
	s_andn2_saveexec_b32 s0, s0
	s_cbranch_execz .LBB32_199
; %bb.194:
	v_cmp_ngt_f64_e64 s1, |v[70:71]|, |v[72:73]|
	s_and_saveexec_b32 s2, s1
	s_xor_b32 s1, exec_lo, s2
	s_cbranch_execz .LBB32_196
; %bb.195:
	v_div_scale_f64 v[85:86], null, v[72:73], v[72:73], v[70:71]
	v_div_scale_f64 v[91:92], vcc_lo, v[70:71], v[72:73], v[70:71]
	v_rcp_f64_e32 v[87:88], v[85:86]
	v_fma_f64 v[89:90], -v[85:86], v[87:88], 1.0
	v_fma_f64 v[87:88], v[87:88], v[89:90], v[87:88]
	v_fma_f64 v[89:90], -v[85:86], v[87:88], 1.0
	v_fma_f64 v[87:88], v[87:88], v[89:90], v[87:88]
	v_mul_f64 v[89:90], v[91:92], v[87:88]
	v_fma_f64 v[85:86], -v[85:86], v[89:90], v[91:92]
	v_div_fmas_f64 v[85:86], v[85:86], v[87:88], v[89:90]
	v_div_fixup_f64 v[85:86], v[85:86], v[72:73], v[70:71]
	v_fma_f64 v[70:71], v[70:71], v[85:86], v[72:73]
	v_div_scale_f64 v[72:73], null, v[70:71], v[70:71], 1.0
	v_rcp_f64_e32 v[87:88], v[72:73]
	v_fma_f64 v[89:90], -v[72:73], v[87:88], 1.0
	v_fma_f64 v[87:88], v[87:88], v[89:90], v[87:88]
	v_fma_f64 v[89:90], -v[72:73], v[87:88], 1.0
	v_fma_f64 v[87:88], v[87:88], v[89:90], v[87:88]
	v_div_scale_f64 v[89:90], vcc_lo, 1.0, v[70:71], 1.0
	v_mul_f64 v[91:92], v[89:90], v[87:88]
	v_fma_f64 v[72:73], -v[72:73], v[91:92], v[89:90]
	v_div_fmas_f64 v[72:73], v[72:73], v[87:88], v[91:92]
	v_div_fixup_f64 v[72:73], v[72:73], v[70:71], 1.0
	v_mul_f64 v[70:71], v[85:86], v[72:73]
	v_xor_b32_e32 v73, 0x80000000, v73
.LBB32_196:
	s_andn2_saveexec_b32 s1, s1
	s_cbranch_execz .LBB32_198
; %bb.197:
	v_div_scale_f64 v[85:86], null, v[70:71], v[70:71], v[72:73]
	v_div_scale_f64 v[91:92], vcc_lo, v[72:73], v[70:71], v[72:73]
	v_rcp_f64_e32 v[87:88], v[85:86]
	v_fma_f64 v[89:90], -v[85:86], v[87:88], 1.0
	v_fma_f64 v[87:88], v[87:88], v[89:90], v[87:88]
	v_fma_f64 v[89:90], -v[85:86], v[87:88], 1.0
	v_fma_f64 v[87:88], v[87:88], v[89:90], v[87:88]
	v_mul_f64 v[89:90], v[91:92], v[87:88]
	v_fma_f64 v[85:86], -v[85:86], v[89:90], v[91:92]
	v_div_fmas_f64 v[85:86], v[85:86], v[87:88], v[89:90]
	v_div_fixup_f64 v[85:86], v[85:86], v[70:71], v[72:73]
	v_fma_f64 v[70:71], v[72:73], v[85:86], v[70:71]
	v_div_scale_f64 v[72:73], null, v[70:71], v[70:71], 1.0
	v_rcp_f64_e32 v[87:88], v[72:73]
	v_fma_f64 v[89:90], -v[72:73], v[87:88], 1.0
	v_fma_f64 v[87:88], v[87:88], v[89:90], v[87:88]
	v_fma_f64 v[89:90], -v[72:73], v[87:88], 1.0
	v_fma_f64 v[87:88], v[87:88], v[89:90], v[87:88]
	v_div_scale_f64 v[89:90], vcc_lo, 1.0, v[70:71], 1.0
	v_mul_f64 v[91:92], v[89:90], v[87:88]
	v_fma_f64 v[72:73], -v[72:73], v[91:92], v[89:90]
	v_div_fmas_f64 v[72:73], v[72:73], v[87:88], v[91:92]
	v_div_fixup_f64 v[70:71], v[72:73], v[70:71], 1.0
	v_mul_f64 v[72:73], v[85:86], -v[70:71]
.LBB32_198:
	s_or_b32 exec_lo, exec_lo, s1
.LBB32_199:
	s_or_b32 exec_lo, exec_lo, s0
	s_mov_b32 s0, exec_lo
	v_cmpx_ne_u32_e64 v84, v78
	s_xor_b32 s0, exec_lo, s0
	s_cbranch_execz .LBB32_205
; %bb.200:
	s_mov_b32 s1, exec_lo
	v_cmpx_eq_u32_e32 9, v84
	s_cbranch_execz .LBB32_204
; %bb.201:
	v_cmp_ne_u32_e32 vcc_lo, 9, v78
	s_xor_b32 s2, s16, -1
	s_and_b32 s3, s2, vcc_lo
	s_and_saveexec_b32 s2, s3
	s_cbranch_execz .LBB32_203
; %bb.202:
	v_ashrrev_i32_e32 v79, 31, v78
	v_lshlrev_b64 v[84:85], 2, v[78:79]
	v_add_co_u32 v84, vcc_lo, v76, v84
	v_add_co_ci_u32_e64 v85, null, v77, v85, vcc_lo
	s_clause 0x1
	global_load_dword v0, v[84:85], off
	global_load_dword v79, v[76:77], off offset:36
	s_waitcnt vmcnt(1)
	global_store_dword v[76:77], v0, off offset:36
	s_waitcnt vmcnt(0)
	global_store_dword v[84:85], v79, off
.LBB32_203:
	s_or_b32 exec_lo, exec_lo, s2
	v_mov_b32_e32 v84, v78
	v_mov_b32_e32 v0, v78
.LBB32_204:
	s_or_b32 exec_lo, exec_lo, s1
.LBB32_205:
	s_andn2_saveexec_b32 s0, s0
	s_cbranch_execz .LBB32_207
; %bb.206:
	v_mov_b32_e32 v84, 9
	ds_write2_b64 v1, v[26:27], v[28:29] offset0:20 offset1:21
	ds_write2_b64 v1, v[22:23], v[24:25] offset0:22 offset1:23
	;; [unrolled: 1-line block ×7, first 2 shown]
.LBB32_207:
	s_or_b32 exec_lo, exec_lo, s0
	s_mov_b32 s0, exec_lo
	s_waitcnt lgkmcnt(0)
	s_waitcnt_vscnt null, 0x0
	s_barrier
	buffer_gl0_inv
	v_cmpx_lt_i32_e32 9, v84
	s_cbranch_execz .LBB32_209
; %bb.208:
	v_mul_f64 v[78:79], v[70:71], v[40:41]
	v_mul_f64 v[40:41], v[72:73], v[40:41]
	v_fma_f64 v[78:79], v[72:73], v[38:39], v[78:79]
	v_fma_f64 v[38:39], v[70:71], v[38:39], -v[40:41]
	ds_read2_b64 v[70:73], v1 offset0:20 offset1:21
	s_waitcnt lgkmcnt(0)
	v_mul_f64 v[40:41], v[72:73], v[78:79]
	v_fma_f64 v[40:41], v[70:71], v[38:39], -v[40:41]
	v_mul_f64 v[70:71], v[70:71], v[78:79]
	v_add_f64 v[26:27], v[26:27], -v[40:41]
	v_fma_f64 v[70:71], v[72:73], v[38:39], v[70:71]
	v_add_f64 v[28:29], v[28:29], -v[70:71]
	ds_read2_b64 v[70:73], v1 offset0:22 offset1:23
	s_waitcnt lgkmcnt(0)
	v_mul_f64 v[40:41], v[72:73], v[78:79]
	v_fma_f64 v[40:41], v[70:71], v[38:39], -v[40:41]
	v_mul_f64 v[70:71], v[70:71], v[78:79]
	v_add_f64 v[22:23], v[22:23], -v[40:41]
	v_fma_f64 v[70:71], v[72:73], v[38:39], v[70:71]
	v_add_f64 v[24:25], v[24:25], -v[70:71]
	;; [unrolled: 8-line block ×6, first 2 shown]
	ds_read2_b64 v[70:73], v1 offset0:32 offset1:33
	s_waitcnt lgkmcnt(0)
	v_mul_f64 v[40:41], v[72:73], v[78:79]
	v_fma_f64 v[40:41], v[70:71], v[38:39], -v[40:41]
	v_mul_f64 v[70:71], v[70:71], v[78:79]
	v_add_f64 v[2:3], v[2:3], -v[40:41]
	v_fma_f64 v[70:71], v[72:73], v[38:39], v[70:71]
	v_mov_b32_e32 v40, v78
	v_mov_b32_e32 v41, v79
	v_add_f64 v[4:5], v[4:5], -v[70:71]
.LBB32_209:
	s_or_b32 exec_lo, exec_lo, s0
	v_lshl_add_u32 v70, v84, 4, v1
	s_barrier
	buffer_gl0_inv
	v_mov_b32_e32 v78, 10
	ds_write2_b64 v70, v[26:27], v[28:29] offset1:1
	s_waitcnt lgkmcnt(0)
	s_barrier
	buffer_gl0_inv
	ds_read2_b64 v[70:73], v1 offset0:20 offset1:21
	s_cmp_lt_i32 s18, 12
	s_cbranch_scc1 .LBB32_212
; %bb.210:
	v_add3_u32 v79, v80, 0, 0xb0
	v_mov_b32_e32 v78, 10
	s_mov_b32 s1, 11
	s_inst_prefetch 0x1
	.p2align	6
.LBB32_211:                             ; =>This Inner Loop Header: Depth=1
	s_waitcnt lgkmcnt(0)
	v_cmp_gt_f64_e32 vcc_lo, 0, v[72:73]
	v_cmp_gt_f64_e64 s0, 0, v[70:71]
	ds_read2_b64 v[85:88], v79 offset1:1
	v_xor_b32_e32 v90, 0x80000000, v71
	v_xor_b32_e32 v92, 0x80000000, v73
	v_mov_b32_e32 v89, v70
	v_mov_b32_e32 v91, v72
	v_add_nc_u32_e32 v79, 16, v79
	s_waitcnt lgkmcnt(0)
	v_xor_b32_e32 v94, 0x80000000, v88
	v_cndmask_b32_e64 v90, v71, v90, s0
	v_cndmask_b32_e32 v92, v73, v92, vcc_lo
	v_cmp_gt_f64_e32 vcc_lo, 0, v[87:88]
	v_cmp_gt_f64_e64 s0, 0, v[85:86]
	v_mov_b32_e32 v93, v87
	v_add_f64 v[89:90], v[89:90], v[91:92]
	v_xor_b32_e32 v92, 0x80000000, v86
	v_mov_b32_e32 v91, v85
	v_cndmask_b32_e32 v94, v88, v94, vcc_lo
	v_cndmask_b32_e64 v92, v86, v92, s0
	v_add_f64 v[91:92], v[91:92], v[93:94]
	v_cmp_lt_f64_e32 vcc_lo, v[89:90], v[91:92]
	v_cndmask_b32_e32 v71, v71, v86, vcc_lo
	v_cndmask_b32_e32 v70, v70, v85, vcc_lo
	;; [unrolled: 1-line block ×4, first 2 shown]
	v_cndmask_b32_e64 v78, v78, s1, vcc_lo
	s_add_i32 s1, s1, 1
	s_cmp_lg_u32 s18, s1
	s_cbranch_scc1 .LBB32_211
.LBB32_212:
	s_inst_prefetch 0x2
	s_waitcnt lgkmcnt(0)
	v_cmp_eq_f64_e32 vcc_lo, 0, v[70:71]
	v_cmp_eq_f64_e64 s0, 0, v[72:73]
	s_and_b32 s0, vcc_lo, s0
	s_and_saveexec_b32 s1, s0
	s_xor_b32 s0, exec_lo, s1
; %bb.213:
	v_cmp_ne_u32_e32 vcc_lo, 0, v83
	v_cndmask_b32_e32 v83, 11, v83, vcc_lo
; %bb.214:
	s_andn2_saveexec_b32 s0, s0
	s_cbranch_execz .LBB32_220
; %bb.215:
	v_cmp_ngt_f64_e64 s1, |v[70:71]|, |v[72:73]|
	s_and_saveexec_b32 s2, s1
	s_xor_b32 s1, exec_lo, s2
	s_cbranch_execz .LBB32_217
; %bb.216:
	v_div_scale_f64 v[85:86], null, v[72:73], v[72:73], v[70:71]
	v_div_scale_f64 v[91:92], vcc_lo, v[70:71], v[72:73], v[70:71]
	v_rcp_f64_e32 v[87:88], v[85:86]
	v_fma_f64 v[89:90], -v[85:86], v[87:88], 1.0
	v_fma_f64 v[87:88], v[87:88], v[89:90], v[87:88]
	v_fma_f64 v[89:90], -v[85:86], v[87:88], 1.0
	v_fma_f64 v[87:88], v[87:88], v[89:90], v[87:88]
	v_mul_f64 v[89:90], v[91:92], v[87:88]
	v_fma_f64 v[85:86], -v[85:86], v[89:90], v[91:92]
	v_div_fmas_f64 v[85:86], v[85:86], v[87:88], v[89:90]
	v_div_fixup_f64 v[85:86], v[85:86], v[72:73], v[70:71]
	v_fma_f64 v[70:71], v[70:71], v[85:86], v[72:73]
	v_div_scale_f64 v[72:73], null, v[70:71], v[70:71], 1.0
	v_rcp_f64_e32 v[87:88], v[72:73]
	v_fma_f64 v[89:90], -v[72:73], v[87:88], 1.0
	v_fma_f64 v[87:88], v[87:88], v[89:90], v[87:88]
	v_fma_f64 v[89:90], -v[72:73], v[87:88], 1.0
	v_fma_f64 v[87:88], v[87:88], v[89:90], v[87:88]
	v_div_scale_f64 v[89:90], vcc_lo, 1.0, v[70:71], 1.0
	v_mul_f64 v[91:92], v[89:90], v[87:88]
	v_fma_f64 v[72:73], -v[72:73], v[91:92], v[89:90]
	v_div_fmas_f64 v[72:73], v[72:73], v[87:88], v[91:92]
	v_div_fixup_f64 v[72:73], v[72:73], v[70:71], 1.0
	v_mul_f64 v[70:71], v[85:86], v[72:73]
	v_xor_b32_e32 v73, 0x80000000, v73
.LBB32_217:
	s_andn2_saveexec_b32 s1, s1
	s_cbranch_execz .LBB32_219
; %bb.218:
	v_div_scale_f64 v[85:86], null, v[70:71], v[70:71], v[72:73]
	v_div_scale_f64 v[91:92], vcc_lo, v[72:73], v[70:71], v[72:73]
	v_rcp_f64_e32 v[87:88], v[85:86]
	v_fma_f64 v[89:90], -v[85:86], v[87:88], 1.0
	v_fma_f64 v[87:88], v[87:88], v[89:90], v[87:88]
	v_fma_f64 v[89:90], -v[85:86], v[87:88], 1.0
	v_fma_f64 v[87:88], v[87:88], v[89:90], v[87:88]
	v_mul_f64 v[89:90], v[91:92], v[87:88]
	v_fma_f64 v[85:86], -v[85:86], v[89:90], v[91:92]
	v_div_fmas_f64 v[85:86], v[85:86], v[87:88], v[89:90]
	v_div_fixup_f64 v[85:86], v[85:86], v[70:71], v[72:73]
	v_fma_f64 v[70:71], v[72:73], v[85:86], v[70:71]
	v_div_scale_f64 v[72:73], null, v[70:71], v[70:71], 1.0
	v_rcp_f64_e32 v[87:88], v[72:73]
	v_fma_f64 v[89:90], -v[72:73], v[87:88], 1.0
	v_fma_f64 v[87:88], v[87:88], v[89:90], v[87:88]
	v_fma_f64 v[89:90], -v[72:73], v[87:88], 1.0
	v_fma_f64 v[87:88], v[87:88], v[89:90], v[87:88]
	v_div_scale_f64 v[89:90], vcc_lo, 1.0, v[70:71], 1.0
	v_mul_f64 v[91:92], v[89:90], v[87:88]
	v_fma_f64 v[72:73], -v[72:73], v[91:92], v[89:90]
	v_div_fmas_f64 v[72:73], v[72:73], v[87:88], v[91:92]
	v_div_fixup_f64 v[70:71], v[72:73], v[70:71], 1.0
	v_mul_f64 v[72:73], v[85:86], -v[70:71]
.LBB32_219:
	s_or_b32 exec_lo, exec_lo, s1
.LBB32_220:
	s_or_b32 exec_lo, exec_lo, s0
	s_mov_b32 s0, exec_lo
	v_cmpx_ne_u32_e64 v84, v78
	s_xor_b32 s0, exec_lo, s0
	s_cbranch_execz .LBB32_226
; %bb.221:
	s_mov_b32 s1, exec_lo
	v_cmpx_eq_u32_e32 10, v84
	s_cbranch_execz .LBB32_225
; %bb.222:
	v_cmp_ne_u32_e32 vcc_lo, 10, v78
	s_xor_b32 s2, s16, -1
	s_and_b32 s3, s2, vcc_lo
	s_and_saveexec_b32 s2, s3
	s_cbranch_execz .LBB32_224
; %bb.223:
	v_ashrrev_i32_e32 v79, 31, v78
	v_lshlrev_b64 v[84:85], 2, v[78:79]
	v_add_co_u32 v84, vcc_lo, v76, v84
	v_add_co_ci_u32_e64 v85, null, v77, v85, vcc_lo
	s_clause 0x1
	global_load_dword v0, v[84:85], off
	global_load_dword v79, v[76:77], off offset:40
	s_waitcnt vmcnt(1)
	global_store_dword v[76:77], v0, off offset:40
	s_waitcnt vmcnt(0)
	global_store_dword v[84:85], v79, off
.LBB32_224:
	s_or_b32 exec_lo, exec_lo, s2
	v_mov_b32_e32 v84, v78
	v_mov_b32_e32 v0, v78
.LBB32_225:
	s_or_b32 exec_lo, exec_lo, s1
.LBB32_226:
	s_andn2_saveexec_b32 s0, s0
	s_cbranch_execz .LBB32_228
; %bb.227:
	v_mov_b32_e32 v84, 10
	ds_write2_b64 v1, v[22:23], v[24:25] offset0:22 offset1:23
	ds_write2_b64 v1, v[18:19], v[20:21] offset0:24 offset1:25
	;; [unrolled: 1-line block ×6, first 2 shown]
.LBB32_228:
	s_or_b32 exec_lo, exec_lo, s0
	s_mov_b32 s0, exec_lo
	s_waitcnt lgkmcnt(0)
	s_waitcnt_vscnt null, 0x0
	s_barrier
	buffer_gl0_inv
	v_cmpx_lt_i32_e32 10, v84
	s_cbranch_execz .LBB32_230
; %bb.229:
	v_mul_f64 v[78:79], v[70:71], v[28:29]
	v_mul_f64 v[28:29], v[72:73], v[28:29]
	v_fma_f64 v[78:79], v[72:73], v[26:27], v[78:79]
	v_fma_f64 v[26:27], v[70:71], v[26:27], -v[28:29]
	ds_read2_b64 v[70:73], v1 offset0:22 offset1:23
	s_waitcnt lgkmcnt(0)
	v_mul_f64 v[28:29], v[72:73], v[78:79]
	v_fma_f64 v[28:29], v[70:71], v[26:27], -v[28:29]
	v_mul_f64 v[70:71], v[70:71], v[78:79]
	v_add_f64 v[22:23], v[22:23], -v[28:29]
	v_fma_f64 v[70:71], v[72:73], v[26:27], v[70:71]
	v_add_f64 v[24:25], v[24:25], -v[70:71]
	ds_read2_b64 v[70:73], v1 offset0:24 offset1:25
	s_waitcnt lgkmcnt(0)
	v_mul_f64 v[28:29], v[72:73], v[78:79]
	v_fma_f64 v[28:29], v[70:71], v[26:27], -v[28:29]
	v_mul_f64 v[70:71], v[70:71], v[78:79]
	v_add_f64 v[18:19], v[18:19], -v[28:29]
	v_fma_f64 v[70:71], v[72:73], v[26:27], v[70:71]
	v_add_f64 v[20:21], v[20:21], -v[70:71]
	;; [unrolled: 8-line block ×5, first 2 shown]
	ds_read2_b64 v[70:73], v1 offset0:32 offset1:33
	s_waitcnt lgkmcnt(0)
	v_mul_f64 v[28:29], v[72:73], v[78:79]
	v_fma_f64 v[28:29], v[70:71], v[26:27], -v[28:29]
	v_mul_f64 v[70:71], v[70:71], v[78:79]
	v_add_f64 v[2:3], v[2:3], -v[28:29]
	v_fma_f64 v[70:71], v[72:73], v[26:27], v[70:71]
	v_mov_b32_e32 v28, v78
	v_mov_b32_e32 v29, v79
	v_add_f64 v[4:5], v[4:5], -v[70:71]
.LBB32_230:
	s_or_b32 exec_lo, exec_lo, s0
	v_lshl_add_u32 v70, v84, 4, v1
	s_barrier
	buffer_gl0_inv
	v_mov_b32_e32 v78, 11
	ds_write2_b64 v70, v[22:23], v[24:25] offset1:1
	s_waitcnt lgkmcnt(0)
	s_barrier
	buffer_gl0_inv
	ds_read2_b64 v[70:73], v1 offset0:22 offset1:23
	s_cmp_lt_i32 s18, 13
	s_cbranch_scc1 .LBB32_233
; %bb.231:
	v_add3_u32 v79, v80, 0, 0xc0
	v_mov_b32_e32 v78, 11
	s_mov_b32 s1, 12
	s_inst_prefetch 0x1
	.p2align	6
.LBB32_232:                             ; =>This Inner Loop Header: Depth=1
	s_waitcnt lgkmcnt(0)
	v_cmp_gt_f64_e32 vcc_lo, 0, v[72:73]
	v_cmp_gt_f64_e64 s0, 0, v[70:71]
	ds_read2_b64 v[85:88], v79 offset1:1
	v_xor_b32_e32 v90, 0x80000000, v71
	v_xor_b32_e32 v92, 0x80000000, v73
	v_mov_b32_e32 v89, v70
	v_mov_b32_e32 v91, v72
	v_add_nc_u32_e32 v79, 16, v79
	s_waitcnt lgkmcnt(0)
	v_xor_b32_e32 v94, 0x80000000, v88
	v_cndmask_b32_e64 v90, v71, v90, s0
	v_cndmask_b32_e32 v92, v73, v92, vcc_lo
	v_cmp_gt_f64_e32 vcc_lo, 0, v[87:88]
	v_cmp_gt_f64_e64 s0, 0, v[85:86]
	v_mov_b32_e32 v93, v87
	v_add_f64 v[89:90], v[89:90], v[91:92]
	v_xor_b32_e32 v92, 0x80000000, v86
	v_mov_b32_e32 v91, v85
	v_cndmask_b32_e32 v94, v88, v94, vcc_lo
	v_cndmask_b32_e64 v92, v86, v92, s0
	v_add_f64 v[91:92], v[91:92], v[93:94]
	v_cmp_lt_f64_e32 vcc_lo, v[89:90], v[91:92]
	v_cndmask_b32_e32 v71, v71, v86, vcc_lo
	v_cndmask_b32_e32 v70, v70, v85, vcc_lo
	;; [unrolled: 1-line block ×4, first 2 shown]
	v_cndmask_b32_e64 v78, v78, s1, vcc_lo
	s_add_i32 s1, s1, 1
	s_cmp_lg_u32 s18, s1
	s_cbranch_scc1 .LBB32_232
.LBB32_233:
	s_inst_prefetch 0x2
	s_waitcnt lgkmcnt(0)
	v_cmp_eq_f64_e32 vcc_lo, 0, v[70:71]
	v_cmp_eq_f64_e64 s0, 0, v[72:73]
	s_and_b32 s0, vcc_lo, s0
	s_and_saveexec_b32 s1, s0
	s_xor_b32 s0, exec_lo, s1
; %bb.234:
	v_cmp_ne_u32_e32 vcc_lo, 0, v83
	v_cndmask_b32_e32 v83, 12, v83, vcc_lo
; %bb.235:
	s_andn2_saveexec_b32 s0, s0
	s_cbranch_execz .LBB32_241
; %bb.236:
	v_cmp_ngt_f64_e64 s1, |v[70:71]|, |v[72:73]|
	s_and_saveexec_b32 s2, s1
	s_xor_b32 s1, exec_lo, s2
	s_cbranch_execz .LBB32_238
; %bb.237:
	v_div_scale_f64 v[85:86], null, v[72:73], v[72:73], v[70:71]
	v_div_scale_f64 v[91:92], vcc_lo, v[70:71], v[72:73], v[70:71]
	v_rcp_f64_e32 v[87:88], v[85:86]
	v_fma_f64 v[89:90], -v[85:86], v[87:88], 1.0
	v_fma_f64 v[87:88], v[87:88], v[89:90], v[87:88]
	v_fma_f64 v[89:90], -v[85:86], v[87:88], 1.0
	v_fma_f64 v[87:88], v[87:88], v[89:90], v[87:88]
	v_mul_f64 v[89:90], v[91:92], v[87:88]
	v_fma_f64 v[85:86], -v[85:86], v[89:90], v[91:92]
	v_div_fmas_f64 v[85:86], v[85:86], v[87:88], v[89:90]
	v_div_fixup_f64 v[85:86], v[85:86], v[72:73], v[70:71]
	v_fma_f64 v[70:71], v[70:71], v[85:86], v[72:73]
	v_div_scale_f64 v[72:73], null, v[70:71], v[70:71], 1.0
	v_rcp_f64_e32 v[87:88], v[72:73]
	v_fma_f64 v[89:90], -v[72:73], v[87:88], 1.0
	v_fma_f64 v[87:88], v[87:88], v[89:90], v[87:88]
	v_fma_f64 v[89:90], -v[72:73], v[87:88], 1.0
	v_fma_f64 v[87:88], v[87:88], v[89:90], v[87:88]
	v_div_scale_f64 v[89:90], vcc_lo, 1.0, v[70:71], 1.0
	v_mul_f64 v[91:92], v[89:90], v[87:88]
	v_fma_f64 v[72:73], -v[72:73], v[91:92], v[89:90]
	v_div_fmas_f64 v[72:73], v[72:73], v[87:88], v[91:92]
	v_div_fixup_f64 v[72:73], v[72:73], v[70:71], 1.0
	v_mul_f64 v[70:71], v[85:86], v[72:73]
	v_xor_b32_e32 v73, 0x80000000, v73
.LBB32_238:
	s_andn2_saveexec_b32 s1, s1
	s_cbranch_execz .LBB32_240
; %bb.239:
	v_div_scale_f64 v[85:86], null, v[70:71], v[70:71], v[72:73]
	v_div_scale_f64 v[91:92], vcc_lo, v[72:73], v[70:71], v[72:73]
	v_rcp_f64_e32 v[87:88], v[85:86]
	v_fma_f64 v[89:90], -v[85:86], v[87:88], 1.0
	v_fma_f64 v[87:88], v[87:88], v[89:90], v[87:88]
	v_fma_f64 v[89:90], -v[85:86], v[87:88], 1.0
	v_fma_f64 v[87:88], v[87:88], v[89:90], v[87:88]
	v_mul_f64 v[89:90], v[91:92], v[87:88]
	v_fma_f64 v[85:86], -v[85:86], v[89:90], v[91:92]
	v_div_fmas_f64 v[85:86], v[85:86], v[87:88], v[89:90]
	v_div_fixup_f64 v[85:86], v[85:86], v[70:71], v[72:73]
	v_fma_f64 v[70:71], v[72:73], v[85:86], v[70:71]
	v_div_scale_f64 v[72:73], null, v[70:71], v[70:71], 1.0
	v_rcp_f64_e32 v[87:88], v[72:73]
	v_fma_f64 v[89:90], -v[72:73], v[87:88], 1.0
	v_fma_f64 v[87:88], v[87:88], v[89:90], v[87:88]
	v_fma_f64 v[89:90], -v[72:73], v[87:88], 1.0
	v_fma_f64 v[87:88], v[87:88], v[89:90], v[87:88]
	v_div_scale_f64 v[89:90], vcc_lo, 1.0, v[70:71], 1.0
	v_mul_f64 v[91:92], v[89:90], v[87:88]
	v_fma_f64 v[72:73], -v[72:73], v[91:92], v[89:90]
	v_div_fmas_f64 v[72:73], v[72:73], v[87:88], v[91:92]
	v_div_fixup_f64 v[70:71], v[72:73], v[70:71], 1.0
	v_mul_f64 v[72:73], v[85:86], -v[70:71]
.LBB32_240:
	s_or_b32 exec_lo, exec_lo, s1
.LBB32_241:
	s_or_b32 exec_lo, exec_lo, s0
	s_mov_b32 s0, exec_lo
	v_cmpx_ne_u32_e64 v84, v78
	s_xor_b32 s0, exec_lo, s0
	s_cbranch_execz .LBB32_247
; %bb.242:
	s_mov_b32 s1, exec_lo
	v_cmpx_eq_u32_e32 11, v84
	s_cbranch_execz .LBB32_246
; %bb.243:
	v_cmp_ne_u32_e32 vcc_lo, 11, v78
	s_xor_b32 s2, s16, -1
	s_and_b32 s3, s2, vcc_lo
	s_and_saveexec_b32 s2, s3
	s_cbranch_execz .LBB32_245
; %bb.244:
	v_ashrrev_i32_e32 v79, 31, v78
	v_lshlrev_b64 v[84:85], 2, v[78:79]
	v_add_co_u32 v84, vcc_lo, v76, v84
	v_add_co_ci_u32_e64 v85, null, v77, v85, vcc_lo
	s_clause 0x1
	global_load_dword v0, v[84:85], off
	global_load_dword v79, v[76:77], off offset:44
	s_waitcnt vmcnt(1)
	global_store_dword v[76:77], v0, off offset:44
	s_waitcnt vmcnt(0)
	global_store_dword v[84:85], v79, off
.LBB32_245:
	s_or_b32 exec_lo, exec_lo, s2
	v_mov_b32_e32 v84, v78
	v_mov_b32_e32 v0, v78
.LBB32_246:
	s_or_b32 exec_lo, exec_lo, s1
.LBB32_247:
	s_andn2_saveexec_b32 s0, s0
	s_cbranch_execz .LBB32_249
; %bb.248:
	v_mov_b32_e32 v84, 11
	ds_write2_b64 v1, v[18:19], v[20:21] offset0:24 offset1:25
	ds_write2_b64 v1, v[14:15], v[16:17] offset0:26 offset1:27
	;; [unrolled: 1-line block ×5, first 2 shown]
.LBB32_249:
	s_or_b32 exec_lo, exec_lo, s0
	s_mov_b32 s0, exec_lo
	s_waitcnt lgkmcnt(0)
	s_waitcnt_vscnt null, 0x0
	s_barrier
	buffer_gl0_inv
	v_cmpx_lt_i32_e32 11, v84
	s_cbranch_execz .LBB32_251
; %bb.250:
	v_mul_f64 v[78:79], v[70:71], v[24:25]
	v_mul_f64 v[24:25], v[72:73], v[24:25]
	v_fma_f64 v[78:79], v[72:73], v[22:23], v[78:79]
	v_fma_f64 v[22:23], v[70:71], v[22:23], -v[24:25]
	ds_read2_b64 v[70:73], v1 offset0:24 offset1:25
	s_waitcnt lgkmcnt(0)
	v_mul_f64 v[24:25], v[72:73], v[78:79]
	v_fma_f64 v[24:25], v[70:71], v[22:23], -v[24:25]
	v_mul_f64 v[70:71], v[70:71], v[78:79]
	v_add_f64 v[18:19], v[18:19], -v[24:25]
	v_fma_f64 v[70:71], v[72:73], v[22:23], v[70:71]
	v_add_f64 v[20:21], v[20:21], -v[70:71]
	ds_read2_b64 v[70:73], v1 offset0:26 offset1:27
	s_waitcnt lgkmcnt(0)
	v_mul_f64 v[24:25], v[72:73], v[78:79]
	v_fma_f64 v[24:25], v[70:71], v[22:23], -v[24:25]
	v_mul_f64 v[70:71], v[70:71], v[78:79]
	v_add_f64 v[14:15], v[14:15], -v[24:25]
	v_fma_f64 v[70:71], v[72:73], v[22:23], v[70:71]
	v_add_f64 v[16:17], v[16:17], -v[70:71]
	;; [unrolled: 8-line block ×4, first 2 shown]
	ds_read2_b64 v[70:73], v1 offset0:32 offset1:33
	s_waitcnt lgkmcnt(0)
	v_mul_f64 v[24:25], v[72:73], v[78:79]
	v_fma_f64 v[24:25], v[70:71], v[22:23], -v[24:25]
	v_mul_f64 v[70:71], v[70:71], v[78:79]
	v_add_f64 v[2:3], v[2:3], -v[24:25]
	v_fma_f64 v[70:71], v[72:73], v[22:23], v[70:71]
	v_mov_b32_e32 v24, v78
	v_mov_b32_e32 v25, v79
	v_add_f64 v[4:5], v[4:5], -v[70:71]
.LBB32_251:
	s_or_b32 exec_lo, exec_lo, s0
	v_lshl_add_u32 v70, v84, 4, v1
	s_barrier
	buffer_gl0_inv
	v_mov_b32_e32 v78, 12
	ds_write2_b64 v70, v[18:19], v[20:21] offset1:1
	s_waitcnt lgkmcnt(0)
	s_barrier
	buffer_gl0_inv
	ds_read2_b64 v[70:73], v1 offset0:24 offset1:25
	s_cmp_lt_i32 s18, 14
	s_cbranch_scc1 .LBB32_254
; %bb.252:
	v_add3_u32 v79, v80, 0, 0xd0
	v_mov_b32_e32 v78, 12
	s_mov_b32 s1, 13
	s_inst_prefetch 0x1
	.p2align	6
.LBB32_253:                             ; =>This Inner Loop Header: Depth=1
	s_waitcnt lgkmcnt(0)
	v_cmp_gt_f64_e32 vcc_lo, 0, v[72:73]
	v_cmp_gt_f64_e64 s0, 0, v[70:71]
	ds_read2_b64 v[85:88], v79 offset1:1
	v_xor_b32_e32 v90, 0x80000000, v71
	v_xor_b32_e32 v92, 0x80000000, v73
	v_mov_b32_e32 v89, v70
	v_mov_b32_e32 v91, v72
	v_add_nc_u32_e32 v79, 16, v79
	s_waitcnt lgkmcnt(0)
	v_xor_b32_e32 v94, 0x80000000, v88
	v_cndmask_b32_e64 v90, v71, v90, s0
	v_cndmask_b32_e32 v92, v73, v92, vcc_lo
	v_cmp_gt_f64_e32 vcc_lo, 0, v[87:88]
	v_cmp_gt_f64_e64 s0, 0, v[85:86]
	v_mov_b32_e32 v93, v87
	v_add_f64 v[89:90], v[89:90], v[91:92]
	v_xor_b32_e32 v92, 0x80000000, v86
	v_mov_b32_e32 v91, v85
	v_cndmask_b32_e32 v94, v88, v94, vcc_lo
	v_cndmask_b32_e64 v92, v86, v92, s0
	v_add_f64 v[91:92], v[91:92], v[93:94]
	v_cmp_lt_f64_e32 vcc_lo, v[89:90], v[91:92]
	v_cndmask_b32_e32 v71, v71, v86, vcc_lo
	v_cndmask_b32_e32 v70, v70, v85, vcc_lo
	;; [unrolled: 1-line block ×4, first 2 shown]
	v_cndmask_b32_e64 v78, v78, s1, vcc_lo
	s_add_i32 s1, s1, 1
	s_cmp_lg_u32 s18, s1
	s_cbranch_scc1 .LBB32_253
.LBB32_254:
	s_inst_prefetch 0x2
	s_waitcnt lgkmcnt(0)
	v_cmp_eq_f64_e32 vcc_lo, 0, v[70:71]
	v_cmp_eq_f64_e64 s0, 0, v[72:73]
	s_and_b32 s0, vcc_lo, s0
	s_and_saveexec_b32 s1, s0
	s_xor_b32 s0, exec_lo, s1
; %bb.255:
	v_cmp_ne_u32_e32 vcc_lo, 0, v83
	v_cndmask_b32_e32 v83, 13, v83, vcc_lo
; %bb.256:
	s_andn2_saveexec_b32 s0, s0
	s_cbranch_execz .LBB32_262
; %bb.257:
	v_cmp_ngt_f64_e64 s1, |v[70:71]|, |v[72:73]|
	s_and_saveexec_b32 s2, s1
	s_xor_b32 s1, exec_lo, s2
	s_cbranch_execz .LBB32_259
; %bb.258:
	v_div_scale_f64 v[85:86], null, v[72:73], v[72:73], v[70:71]
	v_div_scale_f64 v[91:92], vcc_lo, v[70:71], v[72:73], v[70:71]
	v_rcp_f64_e32 v[87:88], v[85:86]
	v_fma_f64 v[89:90], -v[85:86], v[87:88], 1.0
	v_fma_f64 v[87:88], v[87:88], v[89:90], v[87:88]
	v_fma_f64 v[89:90], -v[85:86], v[87:88], 1.0
	v_fma_f64 v[87:88], v[87:88], v[89:90], v[87:88]
	v_mul_f64 v[89:90], v[91:92], v[87:88]
	v_fma_f64 v[85:86], -v[85:86], v[89:90], v[91:92]
	v_div_fmas_f64 v[85:86], v[85:86], v[87:88], v[89:90]
	v_div_fixup_f64 v[85:86], v[85:86], v[72:73], v[70:71]
	v_fma_f64 v[70:71], v[70:71], v[85:86], v[72:73]
	v_div_scale_f64 v[72:73], null, v[70:71], v[70:71], 1.0
	v_rcp_f64_e32 v[87:88], v[72:73]
	v_fma_f64 v[89:90], -v[72:73], v[87:88], 1.0
	v_fma_f64 v[87:88], v[87:88], v[89:90], v[87:88]
	v_fma_f64 v[89:90], -v[72:73], v[87:88], 1.0
	v_fma_f64 v[87:88], v[87:88], v[89:90], v[87:88]
	v_div_scale_f64 v[89:90], vcc_lo, 1.0, v[70:71], 1.0
	v_mul_f64 v[91:92], v[89:90], v[87:88]
	v_fma_f64 v[72:73], -v[72:73], v[91:92], v[89:90]
	v_div_fmas_f64 v[72:73], v[72:73], v[87:88], v[91:92]
	v_div_fixup_f64 v[72:73], v[72:73], v[70:71], 1.0
	v_mul_f64 v[70:71], v[85:86], v[72:73]
	v_xor_b32_e32 v73, 0x80000000, v73
.LBB32_259:
	s_andn2_saveexec_b32 s1, s1
	s_cbranch_execz .LBB32_261
; %bb.260:
	v_div_scale_f64 v[85:86], null, v[70:71], v[70:71], v[72:73]
	v_div_scale_f64 v[91:92], vcc_lo, v[72:73], v[70:71], v[72:73]
	v_rcp_f64_e32 v[87:88], v[85:86]
	v_fma_f64 v[89:90], -v[85:86], v[87:88], 1.0
	v_fma_f64 v[87:88], v[87:88], v[89:90], v[87:88]
	v_fma_f64 v[89:90], -v[85:86], v[87:88], 1.0
	v_fma_f64 v[87:88], v[87:88], v[89:90], v[87:88]
	v_mul_f64 v[89:90], v[91:92], v[87:88]
	v_fma_f64 v[85:86], -v[85:86], v[89:90], v[91:92]
	v_div_fmas_f64 v[85:86], v[85:86], v[87:88], v[89:90]
	v_div_fixup_f64 v[85:86], v[85:86], v[70:71], v[72:73]
	v_fma_f64 v[70:71], v[72:73], v[85:86], v[70:71]
	v_div_scale_f64 v[72:73], null, v[70:71], v[70:71], 1.0
	v_rcp_f64_e32 v[87:88], v[72:73]
	v_fma_f64 v[89:90], -v[72:73], v[87:88], 1.0
	v_fma_f64 v[87:88], v[87:88], v[89:90], v[87:88]
	v_fma_f64 v[89:90], -v[72:73], v[87:88], 1.0
	v_fma_f64 v[87:88], v[87:88], v[89:90], v[87:88]
	v_div_scale_f64 v[89:90], vcc_lo, 1.0, v[70:71], 1.0
	v_mul_f64 v[91:92], v[89:90], v[87:88]
	v_fma_f64 v[72:73], -v[72:73], v[91:92], v[89:90]
	v_div_fmas_f64 v[72:73], v[72:73], v[87:88], v[91:92]
	v_div_fixup_f64 v[70:71], v[72:73], v[70:71], 1.0
	v_mul_f64 v[72:73], v[85:86], -v[70:71]
.LBB32_261:
	s_or_b32 exec_lo, exec_lo, s1
.LBB32_262:
	s_or_b32 exec_lo, exec_lo, s0
	s_mov_b32 s0, exec_lo
	v_cmpx_ne_u32_e64 v84, v78
	s_xor_b32 s0, exec_lo, s0
	s_cbranch_execz .LBB32_268
; %bb.263:
	s_mov_b32 s1, exec_lo
	v_cmpx_eq_u32_e32 12, v84
	s_cbranch_execz .LBB32_267
; %bb.264:
	v_cmp_ne_u32_e32 vcc_lo, 12, v78
	s_xor_b32 s2, s16, -1
	s_and_b32 s3, s2, vcc_lo
	s_and_saveexec_b32 s2, s3
	s_cbranch_execz .LBB32_266
; %bb.265:
	v_ashrrev_i32_e32 v79, 31, v78
	v_lshlrev_b64 v[84:85], 2, v[78:79]
	v_add_co_u32 v84, vcc_lo, v76, v84
	v_add_co_ci_u32_e64 v85, null, v77, v85, vcc_lo
	s_clause 0x1
	global_load_dword v0, v[84:85], off
	global_load_dword v79, v[76:77], off offset:48
	s_waitcnt vmcnt(1)
	global_store_dword v[76:77], v0, off offset:48
	s_waitcnt vmcnt(0)
	global_store_dword v[84:85], v79, off
.LBB32_266:
	s_or_b32 exec_lo, exec_lo, s2
	v_mov_b32_e32 v84, v78
	v_mov_b32_e32 v0, v78
.LBB32_267:
	s_or_b32 exec_lo, exec_lo, s1
.LBB32_268:
	s_andn2_saveexec_b32 s0, s0
	s_cbranch_execz .LBB32_270
; %bb.269:
	v_mov_b32_e32 v84, 12
	ds_write2_b64 v1, v[14:15], v[16:17] offset0:26 offset1:27
	ds_write2_b64 v1, v[10:11], v[12:13] offset0:28 offset1:29
	;; [unrolled: 1-line block ×4, first 2 shown]
.LBB32_270:
	s_or_b32 exec_lo, exec_lo, s0
	s_mov_b32 s0, exec_lo
	s_waitcnt lgkmcnt(0)
	s_waitcnt_vscnt null, 0x0
	s_barrier
	buffer_gl0_inv
	v_cmpx_lt_i32_e32 12, v84
	s_cbranch_execz .LBB32_272
; %bb.271:
	v_mul_f64 v[78:79], v[70:71], v[20:21]
	v_mul_f64 v[20:21], v[72:73], v[20:21]
	v_fma_f64 v[78:79], v[72:73], v[18:19], v[78:79]
	v_fma_f64 v[18:19], v[70:71], v[18:19], -v[20:21]
	ds_read2_b64 v[70:73], v1 offset0:26 offset1:27
	s_waitcnt lgkmcnt(0)
	v_mul_f64 v[20:21], v[72:73], v[78:79]
	v_fma_f64 v[20:21], v[70:71], v[18:19], -v[20:21]
	v_mul_f64 v[70:71], v[70:71], v[78:79]
	v_add_f64 v[14:15], v[14:15], -v[20:21]
	v_fma_f64 v[70:71], v[72:73], v[18:19], v[70:71]
	v_add_f64 v[16:17], v[16:17], -v[70:71]
	ds_read2_b64 v[70:73], v1 offset0:28 offset1:29
	s_waitcnt lgkmcnt(0)
	v_mul_f64 v[20:21], v[72:73], v[78:79]
	v_fma_f64 v[20:21], v[70:71], v[18:19], -v[20:21]
	v_mul_f64 v[70:71], v[70:71], v[78:79]
	v_add_f64 v[10:11], v[10:11], -v[20:21]
	v_fma_f64 v[70:71], v[72:73], v[18:19], v[70:71]
	v_add_f64 v[12:13], v[12:13], -v[70:71]
	;; [unrolled: 8-line block ×3, first 2 shown]
	ds_read2_b64 v[70:73], v1 offset0:32 offset1:33
	s_waitcnt lgkmcnt(0)
	v_mul_f64 v[20:21], v[72:73], v[78:79]
	v_fma_f64 v[20:21], v[70:71], v[18:19], -v[20:21]
	v_mul_f64 v[70:71], v[70:71], v[78:79]
	v_add_f64 v[2:3], v[2:3], -v[20:21]
	v_fma_f64 v[70:71], v[72:73], v[18:19], v[70:71]
	v_mov_b32_e32 v20, v78
	v_mov_b32_e32 v21, v79
	v_add_f64 v[4:5], v[4:5], -v[70:71]
.LBB32_272:
	s_or_b32 exec_lo, exec_lo, s0
	v_lshl_add_u32 v70, v84, 4, v1
	s_barrier
	buffer_gl0_inv
	v_mov_b32_e32 v78, 13
	ds_write2_b64 v70, v[14:15], v[16:17] offset1:1
	s_waitcnt lgkmcnt(0)
	s_barrier
	buffer_gl0_inv
	ds_read2_b64 v[70:73], v1 offset0:26 offset1:27
	s_cmp_lt_i32 s18, 15
	s_cbranch_scc1 .LBB32_275
; %bb.273:
	v_add3_u32 v79, v80, 0, 0xe0
	v_mov_b32_e32 v78, 13
	s_mov_b32 s1, 14
	s_inst_prefetch 0x1
	.p2align	6
.LBB32_274:                             ; =>This Inner Loop Header: Depth=1
	s_waitcnt lgkmcnt(0)
	v_cmp_gt_f64_e32 vcc_lo, 0, v[72:73]
	v_cmp_gt_f64_e64 s0, 0, v[70:71]
	ds_read2_b64 v[85:88], v79 offset1:1
	v_xor_b32_e32 v90, 0x80000000, v71
	v_xor_b32_e32 v92, 0x80000000, v73
	v_mov_b32_e32 v89, v70
	v_mov_b32_e32 v91, v72
	v_add_nc_u32_e32 v79, 16, v79
	s_waitcnt lgkmcnt(0)
	v_xor_b32_e32 v94, 0x80000000, v88
	v_cndmask_b32_e64 v90, v71, v90, s0
	v_cndmask_b32_e32 v92, v73, v92, vcc_lo
	v_cmp_gt_f64_e32 vcc_lo, 0, v[87:88]
	v_cmp_gt_f64_e64 s0, 0, v[85:86]
	v_mov_b32_e32 v93, v87
	v_add_f64 v[89:90], v[89:90], v[91:92]
	v_xor_b32_e32 v92, 0x80000000, v86
	v_mov_b32_e32 v91, v85
	v_cndmask_b32_e32 v94, v88, v94, vcc_lo
	v_cndmask_b32_e64 v92, v86, v92, s0
	v_add_f64 v[91:92], v[91:92], v[93:94]
	v_cmp_lt_f64_e32 vcc_lo, v[89:90], v[91:92]
	v_cndmask_b32_e32 v71, v71, v86, vcc_lo
	v_cndmask_b32_e32 v70, v70, v85, vcc_lo
	;; [unrolled: 1-line block ×4, first 2 shown]
	v_cndmask_b32_e64 v78, v78, s1, vcc_lo
	s_add_i32 s1, s1, 1
	s_cmp_lg_u32 s18, s1
	s_cbranch_scc1 .LBB32_274
.LBB32_275:
	s_inst_prefetch 0x2
	s_waitcnt lgkmcnt(0)
	v_cmp_eq_f64_e32 vcc_lo, 0, v[70:71]
	v_cmp_eq_f64_e64 s0, 0, v[72:73]
	s_and_b32 s0, vcc_lo, s0
	s_and_saveexec_b32 s1, s0
	s_xor_b32 s0, exec_lo, s1
; %bb.276:
	v_cmp_ne_u32_e32 vcc_lo, 0, v83
	v_cndmask_b32_e32 v83, 14, v83, vcc_lo
; %bb.277:
	s_andn2_saveexec_b32 s0, s0
	s_cbranch_execz .LBB32_283
; %bb.278:
	v_cmp_ngt_f64_e64 s1, |v[70:71]|, |v[72:73]|
	s_and_saveexec_b32 s2, s1
	s_xor_b32 s1, exec_lo, s2
	s_cbranch_execz .LBB32_280
; %bb.279:
	v_div_scale_f64 v[85:86], null, v[72:73], v[72:73], v[70:71]
	v_div_scale_f64 v[91:92], vcc_lo, v[70:71], v[72:73], v[70:71]
	v_rcp_f64_e32 v[87:88], v[85:86]
	v_fma_f64 v[89:90], -v[85:86], v[87:88], 1.0
	v_fma_f64 v[87:88], v[87:88], v[89:90], v[87:88]
	v_fma_f64 v[89:90], -v[85:86], v[87:88], 1.0
	v_fma_f64 v[87:88], v[87:88], v[89:90], v[87:88]
	v_mul_f64 v[89:90], v[91:92], v[87:88]
	v_fma_f64 v[85:86], -v[85:86], v[89:90], v[91:92]
	v_div_fmas_f64 v[85:86], v[85:86], v[87:88], v[89:90]
	v_div_fixup_f64 v[85:86], v[85:86], v[72:73], v[70:71]
	v_fma_f64 v[70:71], v[70:71], v[85:86], v[72:73]
	v_div_scale_f64 v[72:73], null, v[70:71], v[70:71], 1.0
	v_rcp_f64_e32 v[87:88], v[72:73]
	v_fma_f64 v[89:90], -v[72:73], v[87:88], 1.0
	v_fma_f64 v[87:88], v[87:88], v[89:90], v[87:88]
	v_fma_f64 v[89:90], -v[72:73], v[87:88], 1.0
	v_fma_f64 v[87:88], v[87:88], v[89:90], v[87:88]
	v_div_scale_f64 v[89:90], vcc_lo, 1.0, v[70:71], 1.0
	v_mul_f64 v[91:92], v[89:90], v[87:88]
	v_fma_f64 v[72:73], -v[72:73], v[91:92], v[89:90]
	v_div_fmas_f64 v[72:73], v[72:73], v[87:88], v[91:92]
	v_div_fixup_f64 v[72:73], v[72:73], v[70:71], 1.0
	v_mul_f64 v[70:71], v[85:86], v[72:73]
	v_xor_b32_e32 v73, 0x80000000, v73
.LBB32_280:
	s_andn2_saveexec_b32 s1, s1
	s_cbranch_execz .LBB32_282
; %bb.281:
	v_div_scale_f64 v[85:86], null, v[70:71], v[70:71], v[72:73]
	v_div_scale_f64 v[91:92], vcc_lo, v[72:73], v[70:71], v[72:73]
	v_rcp_f64_e32 v[87:88], v[85:86]
	v_fma_f64 v[89:90], -v[85:86], v[87:88], 1.0
	v_fma_f64 v[87:88], v[87:88], v[89:90], v[87:88]
	v_fma_f64 v[89:90], -v[85:86], v[87:88], 1.0
	v_fma_f64 v[87:88], v[87:88], v[89:90], v[87:88]
	v_mul_f64 v[89:90], v[91:92], v[87:88]
	v_fma_f64 v[85:86], -v[85:86], v[89:90], v[91:92]
	v_div_fmas_f64 v[85:86], v[85:86], v[87:88], v[89:90]
	v_div_fixup_f64 v[85:86], v[85:86], v[70:71], v[72:73]
	v_fma_f64 v[70:71], v[72:73], v[85:86], v[70:71]
	v_div_scale_f64 v[72:73], null, v[70:71], v[70:71], 1.0
	v_rcp_f64_e32 v[87:88], v[72:73]
	v_fma_f64 v[89:90], -v[72:73], v[87:88], 1.0
	v_fma_f64 v[87:88], v[87:88], v[89:90], v[87:88]
	v_fma_f64 v[89:90], -v[72:73], v[87:88], 1.0
	v_fma_f64 v[87:88], v[87:88], v[89:90], v[87:88]
	v_div_scale_f64 v[89:90], vcc_lo, 1.0, v[70:71], 1.0
	v_mul_f64 v[91:92], v[89:90], v[87:88]
	v_fma_f64 v[72:73], -v[72:73], v[91:92], v[89:90]
	v_div_fmas_f64 v[72:73], v[72:73], v[87:88], v[91:92]
	v_div_fixup_f64 v[70:71], v[72:73], v[70:71], 1.0
	v_mul_f64 v[72:73], v[85:86], -v[70:71]
.LBB32_282:
	s_or_b32 exec_lo, exec_lo, s1
.LBB32_283:
	s_or_b32 exec_lo, exec_lo, s0
	s_mov_b32 s0, exec_lo
	v_cmpx_ne_u32_e64 v84, v78
	s_xor_b32 s0, exec_lo, s0
	s_cbranch_execz .LBB32_289
; %bb.284:
	s_mov_b32 s1, exec_lo
	v_cmpx_eq_u32_e32 13, v84
	s_cbranch_execz .LBB32_288
; %bb.285:
	v_cmp_ne_u32_e32 vcc_lo, 13, v78
	s_xor_b32 s2, s16, -1
	s_and_b32 s3, s2, vcc_lo
	s_and_saveexec_b32 s2, s3
	s_cbranch_execz .LBB32_287
; %bb.286:
	v_ashrrev_i32_e32 v79, 31, v78
	v_lshlrev_b64 v[84:85], 2, v[78:79]
	v_add_co_u32 v84, vcc_lo, v76, v84
	v_add_co_ci_u32_e64 v85, null, v77, v85, vcc_lo
	s_clause 0x1
	global_load_dword v0, v[84:85], off
	global_load_dword v79, v[76:77], off offset:52
	s_waitcnt vmcnt(1)
	global_store_dword v[76:77], v0, off offset:52
	s_waitcnt vmcnt(0)
	global_store_dword v[84:85], v79, off
.LBB32_287:
	s_or_b32 exec_lo, exec_lo, s2
	v_mov_b32_e32 v84, v78
	v_mov_b32_e32 v0, v78
.LBB32_288:
	s_or_b32 exec_lo, exec_lo, s1
.LBB32_289:
	s_andn2_saveexec_b32 s0, s0
	s_cbranch_execz .LBB32_291
; %bb.290:
	v_mov_b32_e32 v84, 13
	ds_write2_b64 v1, v[10:11], v[12:13] offset0:28 offset1:29
	ds_write2_b64 v1, v[6:7], v[8:9] offset0:30 offset1:31
	;; [unrolled: 1-line block ×3, first 2 shown]
.LBB32_291:
	s_or_b32 exec_lo, exec_lo, s0
	s_mov_b32 s0, exec_lo
	s_waitcnt lgkmcnt(0)
	s_waitcnt_vscnt null, 0x0
	s_barrier
	buffer_gl0_inv
	v_cmpx_lt_i32_e32 13, v84
	s_cbranch_execz .LBB32_293
; %bb.292:
	v_mul_f64 v[78:79], v[70:71], v[16:17]
	v_mul_f64 v[16:17], v[72:73], v[16:17]
	ds_read2_b64 v[85:88], v1 offset0:28 offset1:29
	ds_read2_b64 v[89:92], v1 offset0:30 offset1:31
	;; [unrolled: 1-line block ×3, first 2 shown]
	v_fma_f64 v[72:73], v[72:73], v[14:15], v[78:79]
	v_fma_f64 v[14:15], v[70:71], v[14:15], -v[16:17]
	s_waitcnt lgkmcnt(2)
	v_mul_f64 v[16:17], v[87:88], v[72:73]
	v_mul_f64 v[70:71], v[85:86], v[72:73]
	s_waitcnt lgkmcnt(1)
	v_mul_f64 v[78:79], v[91:92], v[72:73]
	v_mul_f64 v[97:98], v[89:90], v[72:73]
	;; [unrolled: 3-line block ×3, first 2 shown]
	v_fma_f64 v[16:17], v[85:86], v[14:15], -v[16:17]
	v_fma_f64 v[70:71], v[87:88], v[14:15], v[70:71]
	v_fma_f64 v[78:79], v[89:90], v[14:15], -v[78:79]
	v_fma_f64 v[85:86], v[91:92], v[14:15], v[97:98]
	;; [unrolled: 2-line block ×3, first 2 shown]
	v_add_f64 v[10:11], v[10:11], -v[16:17]
	v_add_f64 v[12:13], v[12:13], -v[70:71]
	;; [unrolled: 1-line block ×6, first 2 shown]
	v_mov_b32_e32 v16, v72
	v_mov_b32_e32 v17, v73
.LBB32_293:
	s_or_b32 exec_lo, exec_lo, s0
	v_lshl_add_u32 v70, v84, 4, v1
	s_barrier
	buffer_gl0_inv
	v_mov_b32_e32 v78, 14
	ds_write2_b64 v70, v[10:11], v[12:13] offset1:1
	s_waitcnt lgkmcnt(0)
	s_barrier
	buffer_gl0_inv
	ds_read2_b64 v[70:73], v1 offset0:28 offset1:29
	s_cmp_lt_i32 s18, 16
	s_cbranch_scc1 .LBB32_296
; %bb.294:
	v_add3_u32 v79, v80, 0, 0xf0
	v_mov_b32_e32 v78, 14
	s_mov_b32 s1, 15
	s_inst_prefetch 0x1
	.p2align	6
.LBB32_295:                             ; =>This Inner Loop Header: Depth=1
	s_waitcnt lgkmcnt(0)
	v_cmp_gt_f64_e32 vcc_lo, 0, v[72:73]
	v_cmp_gt_f64_e64 s0, 0, v[70:71]
	ds_read2_b64 v[85:88], v79 offset1:1
	v_xor_b32_e32 v90, 0x80000000, v71
	v_xor_b32_e32 v92, 0x80000000, v73
	v_mov_b32_e32 v89, v70
	v_mov_b32_e32 v91, v72
	v_add_nc_u32_e32 v79, 16, v79
	s_waitcnt lgkmcnt(0)
	v_xor_b32_e32 v94, 0x80000000, v88
	v_cndmask_b32_e64 v90, v71, v90, s0
	v_cndmask_b32_e32 v92, v73, v92, vcc_lo
	v_cmp_gt_f64_e32 vcc_lo, 0, v[87:88]
	v_cmp_gt_f64_e64 s0, 0, v[85:86]
	v_mov_b32_e32 v93, v87
	v_add_f64 v[89:90], v[89:90], v[91:92]
	v_xor_b32_e32 v92, 0x80000000, v86
	v_mov_b32_e32 v91, v85
	v_cndmask_b32_e32 v94, v88, v94, vcc_lo
	v_cndmask_b32_e64 v92, v86, v92, s0
	v_add_f64 v[91:92], v[91:92], v[93:94]
	v_cmp_lt_f64_e32 vcc_lo, v[89:90], v[91:92]
	v_cndmask_b32_e32 v71, v71, v86, vcc_lo
	v_cndmask_b32_e32 v70, v70, v85, vcc_lo
	;; [unrolled: 1-line block ×4, first 2 shown]
	v_cndmask_b32_e64 v78, v78, s1, vcc_lo
	s_add_i32 s1, s1, 1
	s_cmp_lg_u32 s18, s1
	s_cbranch_scc1 .LBB32_295
.LBB32_296:
	s_inst_prefetch 0x2
	s_waitcnt lgkmcnt(0)
	v_cmp_eq_f64_e32 vcc_lo, 0, v[70:71]
	v_cmp_eq_f64_e64 s0, 0, v[72:73]
	s_and_b32 s0, vcc_lo, s0
	s_and_saveexec_b32 s1, s0
	s_xor_b32 s0, exec_lo, s1
; %bb.297:
	v_cmp_ne_u32_e32 vcc_lo, 0, v83
	v_cndmask_b32_e32 v83, 15, v83, vcc_lo
; %bb.298:
	s_andn2_saveexec_b32 s0, s0
	s_cbranch_execz .LBB32_304
; %bb.299:
	v_cmp_ngt_f64_e64 s1, |v[70:71]|, |v[72:73]|
	s_and_saveexec_b32 s2, s1
	s_xor_b32 s1, exec_lo, s2
	s_cbranch_execz .LBB32_301
; %bb.300:
	v_div_scale_f64 v[85:86], null, v[72:73], v[72:73], v[70:71]
	v_div_scale_f64 v[91:92], vcc_lo, v[70:71], v[72:73], v[70:71]
	v_rcp_f64_e32 v[87:88], v[85:86]
	v_fma_f64 v[89:90], -v[85:86], v[87:88], 1.0
	v_fma_f64 v[87:88], v[87:88], v[89:90], v[87:88]
	v_fma_f64 v[89:90], -v[85:86], v[87:88], 1.0
	v_fma_f64 v[87:88], v[87:88], v[89:90], v[87:88]
	v_mul_f64 v[89:90], v[91:92], v[87:88]
	v_fma_f64 v[85:86], -v[85:86], v[89:90], v[91:92]
	v_div_fmas_f64 v[85:86], v[85:86], v[87:88], v[89:90]
	v_div_fixup_f64 v[85:86], v[85:86], v[72:73], v[70:71]
	v_fma_f64 v[70:71], v[70:71], v[85:86], v[72:73]
	v_div_scale_f64 v[72:73], null, v[70:71], v[70:71], 1.0
	v_rcp_f64_e32 v[87:88], v[72:73]
	v_fma_f64 v[89:90], -v[72:73], v[87:88], 1.0
	v_fma_f64 v[87:88], v[87:88], v[89:90], v[87:88]
	v_fma_f64 v[89:90], -v[72:73], v[87:88], 1.0
	v_fma_f64 v[87:88], v[87:88], v[89:90], v[87:88]
	v_div_scale_f64 v[89:90], vcc_lo, 1.0, v[70:71], 1.0
	v_mul_f64 v[91:92], v[89:90], v[87:88]
	v_fma_f64 v[72:73], -v[72:73], v[91:92], v[89:90]
	v_div_fmas_f64 v[72:73], v[72:73], v[87:88], v[91:92]
	v_div_fixup_f64 v[72:73], v[72:73], v[70:71], 1.0
	v_mul_f64 v[70:71], v[85:86], v[72:73]
	v_xor_b32_e32 v73, 0x80000000, v73
.LBB32_301:
	s_andn2_saveexec_b32 s1, s1
	s_cbranch_execz .LBB32_303
; %bb.302:
	v_div_scale_f64 v[85:86], null, v[70:71], v[70:71], v[72:73]
	v_div_scale_f64 v[91:92], vcc_lo, v[72:73], v[70:71], v[72:73]
	v_rcp_f64_e32 v[87:88], v[85:86]
	v_fma_f64 v[89:90], -v[85:86], v[87:88], 1.0
	v_fma_f64 v[87:88], v[87:88], v[89:90], v[87:88]
	v_fma_f64 v[89:90], -v[85:86], v[87:88], 1.0
	v_fma_f64 v[87:88], v[87:88], v[89:90], v[87:88]
	v_mul_f64 v[89:90], v[91:92], v[87:88]
	v_fma_f64 v[85:86], -v[85:86], v[89:90], v[91:92]
	v_div_fmas_f64 v[85:86], v[85:86], v[87:88], v[89:90]
	v_div_fixup_f64 v[85:86], v[85:86], v[70:71], v[72:73]
	v_fma_f64 v[70:71], v[72:73], v[85:86], v[70:71]
	v_div_scale_f64 v[72:73], null, v[70:71], v[70:71], 1.0
	v_rcp_f64_e32 v[87:88], v[72:73]
	v_fma_f64 v[89:90], -v[72:73], v[87:88], 1.0
	v_fma_f64 v[87:88], v[87:88], v[89:90], v[87:88]
	v_fma_f64 v[89:90], -v[72:73], v[87:88], 1.0
	v_fma_f64 v[87:88], v[87:88], v[89:90], v[87:88]
	v_div_scale_f64 v[89:90], vcc_lo, 1.0, v[70:71], 1.0
	v_mul_f64 v[91:92], v[89:90], v[87:88]
	v_fma_f64 v[72:73], -v[72:73], v[91:92], v[89:90]
	v_div_fmas_f64 v[72:73], v[72:73], v[87:88], v[91:92]
	v_div_fixup_f64 v[70:71], v[72:73], v[70:71], 1.0
	v_mul_f64 v[72:73], v[85:86], -v[70:71]
.LBB32_303:
	s_or_b32 exec_lo, exec_lo, s1
.LBB32_304:
	s_or_b32 exec_lo, exec_lo, s0
	s_mov_b32 s0, exec_lo
	v_cmpx_ne_u32_e64 v84, v78
	s_xor_b32 s0, exec_lo, s0
	s_cbranch_execz .LBB32_310
; %bb.305:
	s_mov_b32 s1, exec_lo
	v_cmpx_eq_u32_e32 14, v84
	s_cbranch_execz .LBB32_309
; %bb.306:
	v_cmp_ne_u32_e32 vcc_lo, 14, v78
	s_xor_b32 s2, s16, -1
	s_and_b32 s3, s2, vcc_lo
	s_and_saveexec_b32 s2, s3
	s_cbranch_execz .LBB32_308
; %bb.307:
	v_ashrrev_i32_e32 v79, 31, v78
	v_lshlrev_b64 v[84:85], 2, v[78:79]
	v_add_co_u32 v84, vcc_lo, v76, v84
	v_add_co_ci_u32_e64 v85, null, v77, v85, vcc_lo
	s_clause 0x1
	global_load_dword v0, v[84:85], off
	global_load_dword v79, v[76:77], off offset:56
	s_waitcnt vmcnt(1)
	global_store_dword v[76:77], v0, off offset:56
	s_waitcnt vmcnt(0)
	global_store_dword v[84:85], v79, off
.LBB32_308:
	s_or_b32 exec_lo, exec_lo, s2
	v_mov_b32_e32 v84, v78
	v_mov_b32_e32 v0, v78
.LBB32_309:
	s_or_b32 exec_lo, exec_lo, s1
.LBB32_310:
	s_andn2_saveexec_b32 s0, s0
	s_cbranch_execz .LBB32_312
; %bb.311:
	v_mov_b32_e32 v84, 14
	ds_write2_b64 v1, v[6:7], v[8:9] offset0:30 offset1:31
	ds_write2_b64 v1, v[2:3], v[4:5] offset0:32 offset1:33
.LBB32_312:
	s_or_b32 exec_lo, exec_lo, s0
	s_mov_b32 s0, exec_lo
	s_waitcnt lgkmcnt(0)
	s_waitcnt_vscnt null, 0x0
	s_barrier
	buffer_gl0_inv
	v_cmpx_lt_i32_e32 14, v84
	s_cbranch_execz .LBB32_314
; %bb.313:
	v_mul_f64 v[78:79], v[70:71], v[12:13]
	v_mul_f64 v[12:13], v[72:73], v[12:13]
	ds_read2_b64 v[85:88], v1 offset0:30 offset1:31
	ds_read2_b64 v[89:92], v1 offset0:32 offset1:33
	v_fma_f64 v[72:73], v[72:73], v[10:11], v[78:79]
	v_fma_f64 v[10:11], v[70:71], v[10:11], -v[12:13]
	s_waitcnt lgkmcnt(1)
	v_mul_f64 v[12:13], v[87:88], v[72:73]
	v_mul_f64 v[70:71], v[85:86], v[72:73]
	s_waitcnt lgkmcnt(0)
	v_mul_f64 v[78:79], v[91:92], v[72:73]
	v_mul_f64 v[93:94], v[89:90], v[72:73]
	v_fma_f64 v[12:13], v[85:86], v[10:11], -v[12:13]
	v_fma_f64 v[70:71], v[87:88], v[10:11], v[70:71]
	v_fma_f64 v[78:79], v[89:90], v[10:11], -v[78:79]
	v_fma_f64 v[85:86], v[91:92], v[10:11], v[93:94]
	v_add_f64 v[6:7], v[6:7], -v[12:13]
	v_add_f64 v[8:9], v[8:9], -v[70:71]
	;; [unrolled: 1-line block ×4, first 2 shown]
	v_mov_b32_e32 v12, v72
	v_mov_b32_e32 v13, v73
.LBB32_314:
	s_or_b32 exec_lo, exec_lo, s0
	v_lshl_add_u32 v70, v84, 4, v1
	s_barrier
	buffer_gl0_inv
	v_mov_b32_e32 v78, 15
	ds_write2_b64 v70, v[6:7], v[8:9] offset1:1
	s_waitcnt lgkmcnt(0)
	s_barrier
	buffer_gl0_inv
	ds_read2_b64 v[70:73], v1 offset0:30 offset1:31
	s_cmp_lt_i32 s18, 17
	s_cbranch_scc1 .LBB32_317
; %bb.315:
	v_add3_u32 v79, v80, 0, 0x100
	v_mov_b32_e32 v78, 15
	s_mov_b32 s1, 16
	s_inst_prefetch 0x1
	.p2align	6
.LBB32_316:                             ; =>This Inner Loop Header: Depth=1
	s_waitcnt lgkmcnt(0)
	v_cmp_gt_f64_e32 vcc_lo, 0, v[72:73]
	v_cmp_gt_f64_e64 s0, 0, v[70:71]
	ds_read2_b64 v[85:88], v79 offset1:1
	v_xor_b32_e32 v90, 0x80000000, v71
	v_xor_b32_e32 v92, 0x80000000, v73
	v_mov_b32_e32 v89, v70
	v_mov_b32_e32 v91, v72
	v_add_nc_u32_e32 v79, 16, v79
	s_waitcnt lgkmcnt(0)
	v_xor_b32_e32 v94, 0x80000000, v88
	v_cndmask_b32_e64 v90, v71, v90, s0
	v_cndmask_b32_e32 v92, v73, v92, vcc_lo
	v_cmp_gt_f64_e32 vcc_lo, 0, v[87:88]
	v_cmp_gt_f64_e64 s0, 0, v[85:86]
	v_mov_b32_e32 v93, v87
	v_add_f64 v[89:90], v[89:90], v[91:92]
	v_xor_b32_e32 v92, 0x80000000, v86
	v_mov_b32_e32 v91, v85
	v_cndmask_b32_e32 v94, v88, v94, vcc_lo
	v_cndmask_b32_e64 v92, v86, v92, s0
	v_add_f64 v[91:92], v[91:92], v[93:94]
	v_cmp_lt_f64_e32 vcc_lo, v[89:90], v[91:92]
	v_cndmask_b32_e32 v71, v71, v86, vcc_lo
	v_cndmask_b32_e32 v70, v70, v85, vcc_lo
	;; [unrolled: 1-line block ×4, first 2 shown]
	v_cndmask_b32_e64 v78, v78, s1, vcc_lo
	s_add_i32 s1, s1, 1
	s_cmp_lg_u32 s18, s1
	s_cbranch_scc1 .LBB32_316
.LBB32_317:
	s_inst_prefetch 0x2
	s_waitcnt lgkmcnt(0)
	v_cmp_eq_f64_e32 vcc_lo, 0, v[70:71]
	v_cmp_eq_f64_e64 s0, 0, v[72:73]
	s_and_b32 s0, vcc_lo, s0
	s_and_saveexec_b32 s1, s0
	s_xor_b32 s0, exec_lo, s1
; %bb.318:
	v_cmp_ne_u32_e32 vcc_lo, 0, v83
	v_cndmask_b32_e32 v83, 16, v83, vcc_lo
; %bb.319:
	s_andn2_saveexec_b32 s0, s0
	s_cbranch_execz .LBB32_325
; %bb.320:
	v_cmp_ngt_f64_e64 s1, |v[70:71]|, |v[72:73]|
	s_and_saveexec_b32 s2, s1
	s_xor_b32 s1, exec_lo, s2
	s_cbranch_execz .LBB32_322
; %bb.321:
	v_div_scale_f64 v[85:86], null, v[72:73], v[72:73], v[70:71]
	v_div_scale_f64 v[91:92], vcc_lo, v[70:71], v[72:73], v[70:71]
	v_rcp_f64_e32 v[87:88], v[85:86]
	v_fma_f64 v[89:90], -v[85:86], v[87:88], 1.0
	v_fma_f64 v[87:88], v[87:88], v[89:90], v[87:88]
	v_fma_f64 v[89:90], -v[85:86], v[87:88], 1.0
	v_fma_f64 v[87:88], v[87:88], v[89:90], v[87:88]
	v_mul_f64 v[89:90], v[91:92], v[87:88]
	v_fma_f64 v[85:86], -v[85:86], v[89:90], v[91:92]
	v_div_fmas_f64 v[85:86], v[85:86], v[87:88], v[89:90]
	v_div_fixup_f64 v[85:86], v[85:86], v[72:73], v[70:71]
	v_fma_f64 v[70:71], v[70:71], v[85:86], v[72:73]
	v_div_scale_f64 v[72:73], null, v[70:71], v[70:71], 1.0
	v_rcp_f64_e32 v[87:88], v[72:73]
	v_fma_f64 v[89:90], -v[72:73], v[87:88], 1.0
	v_fma_f64 v[87:88], v[87:88], v[89:90], v[87:88]
	v_fma_f64 v[89:90], -v[72:73], v[87:88], 1.0
	v_fma_f64 v[87:88], v[87:88], v[89:90], v[87:88]
	v_div_scale_f64 v[89:90], vcc_lo, 1.0, v[70:71], 1.0
	v_mul_f64 v[91:92], v[89:90], v[87:88]
	v_fma_f64 v[72:73], -v[72:73], v[91:92], v[89:90]
	v_div_fmas_f64 v[72:73], v[72:73], v[87:88], v[91:92]
	v_div_fixup_f64 v[72:73], v[72:73], v[70:71], 1.0
	v_mul_f64 v[70:71], v[85:86], v[72:73]
	v_xor_b32_e32 v73, 0x80000000, v73
.LBB32_322:
	s_andn2_saveexec_b32 s1, s1
	s_cbranch_execz .LBB32_324
; %bb.323:
	v_div_scale_f64 v[85:86], null, v[70:71], v[70:71], v[72:73]
	v_div_scale_f64 v[91:92], vcc_lo, v[72:73], v[70:71], v[72:73]
	v_rcp_f64_e32 v[87:88], v[85:86]
	v_fma_f64 v[89:90], -v[85:86], v[87:88], 1.0
	v_fma_f64 v[87:88], v[87:88], v[89:90], v[87:88]
	v_fma_f64 v[89:90], -v[85:86], v[87:88], 1.0
	v_fma_f64 v[87:88], v[87:88], v[89:90], v[87:88]
	v_mul_f64 v[89:90], v[91:92], v[87:88]
	v_fma_f64 v[85:86], -v[85:86], v[89:90], v[91:92]
	v_div_fmas_f64 v[85:86], v[85:86], v[87:88], v[89:90]
	v_div_fixup_f64 v[85:86], v[85:86], v[70:71], v[72:73]
	v_fma_f64 v[70:71], v[72:73], v[85:86], v[70:71]
	v_div_scale_f64 v[72:73], null, v[70:71], v[70:71], 1.0
	v_rcp_f64_e32 v[87:88], v[72:73]
	v_fma_f64 v[89:90], -v[72:73], v[87:88], 1.0
	v_fma_f64 v[87:88], v[87:88], v[89:90], v[87:88]
	v_fma_f64 v[89:90], -v[72:73], v[87:88], 1.0
	v_fma_f64 v[87:88], v[87:88], v[89:90], v[87:88]
	v_div_scale_f64 v[89:90], vcc_lo, 1.0, v[70:71], 1.0
	v_mul_f64 v[91:92], v[89:90], v[87:88]
	v_fma_f64 v[72:73], -v[72:73], v[91:92], v[89:90]
	v_div_fmas_f64 v[72:73], v[72:73], v[87:88], v[91:92]
	v_div_fixup_f64 v[70:71], v[72:73], v[70:71], 1.0
	v_mul_f64 v[72:73], v[85:86], -v[70:71]
.LBB32_324:
	s_or_b32 exec_lo, exec_lo, s1
.LBB32_325:
	s_or_b32 exec_lo, exec_lo, s0
	s_mov_b32 s0, exec_lo
	v_cmpx_ne_u32_e64 v84, v78
	s_xor_b32 s0, exec_lo, s0
	s_cbranch_execz .LBB32_331
; %bb.326:
	s_mov_b32 s1, exec_lo
	v_cmpx_eq_u32_e32 15, v84
	s_cbranch_execz .LBB32_330
; %bb.327:
	v_cmp_ne_u32_e32 vcc_lo, 15, v78
	s_xor_b32 s2, s16, -1
	s_and_b32 s3, s2, vcc_lo
	s_and_saveexec_b32 s2, s3
	s_cbranch_execz .LBB32_329
; %bb.328:
	v_ashrrev_i32_e32 v79, 31, v78
	v_lshlrev_b64 v[84:85], 2, v[78:79]
	v_add_co_u32 v84, vcc_lo, v76, v84
	v_add_co_ci_u32_e64 v85, null, v77, v85, vcc_lo
	s_clause 0x1
	global_load_dword v0, v[84:85], off
	global_load_dword v79, v[76:77], off offset:60
	s_waitcnt vmcnt(1)
	global_store_dword v[76:77], v0, off offset:60
	s_waitcnt vmcnt(0)
	global_store_dword v[84:85], v79, off
.LBB32_329:
	s_or_b32 exec_lo, exec_lo, s2
	v_mov_b32_e32 v84, v78
	v_mov_b32_e32 v0, v78
.LBB32_330:
	s_or_b32 exec_lo, exec_lo, s1
.LBB32_331:
	s_andn2_saveexec_b32 s0, s0
; %bb.332:
	v_mov_b32_e32 v84, 15
	ds_write2_b64 v1, v[2:3], v[4:5] offset0:32 offset1:33
; %bb.333:
	s_or_b32 exec_lo, exec_lo, s0
	s_mov_b32 s0, exec_lo
	s_waitcnt lgkmcnt(0)
	s_waitcnt_vscnt null, 0x0
	s_barrier
	buffer_gl0_inv
	v_cmpx_lt_i32_e32 15, v84
	s_cbranch_execz .LBB32_335
; %bb.334:
	v_mul_f64 v[78:79], v[70:71], v[8:9]
	v_mul_f64 v[8:9], v[72:73], v[8:9]
	ds_read2_b64 v[85:88], v1 offset0:32 offset1:33
	v_fma_f64 v[72:73], v[72:73], v[6:7], v[78:79]
	v_fma_f64 v[6:7], v[70:71], v[6:7], -v[8:9]
	s_waitcnt lgkmcnt(0)
	v_mul_f64 v[8:9], v[87:88], v[72:73]
	v_mul_f64 v[70:71], v[85:86], v[72:73]
	v_fma_f64 v[8:9], v[85:86], v[6:7], -v[8:9]
	v_fma_f64 v[70:71], v[87:88], v[6:7], v[70:71]
	v_add_f64 v[2:3], v[2:3], -v[8:9]
	v_add_f64 v[4:5], v[4:5], -v[70:71]
	v_mov_b32_e32 v8, v72
	v_mov_b32_e32 v9, v73
.LBB32_335:
	s_or_b32 exec_lo, exec_lo, s0
	v_lshl_add_u32 v70, v84, 4, v1
	s_barrier
	buffer_gl0_inv
	v_mov_b32_e32 v78, 16
	ds_write2_b64 v70, v[2:3], v[4:5] offset1:1
	s_waitcnt lgkmcnt(0)
	s_barrier
	buffer_gl0_inv
	ds_read2_b64 v[70:73], v1 offset0:32 offset1:33
	s_cmp_lt_i32 s18, 18
	s_cbranch_scc1 .LBB32_338
; %bb.336:
	v_add3_u32 v1, v80, 0, 0x110
	v_mov_b32_e32 v78, 16
	s_mov_b32 s1, 17
	s_inst_prefetch 0x1
	.p2align	6
.LBB32_337:                             ; =>This Inner Loop Header: Depth=1
	s_waitcnt lgkmcnt(0)
	v_cmp_gt_f64_e32 vcc_lo, 0, v[72:73]
	v_cmp_gt_f64_e64 s0, 0, v[70:71]
	ds_read2_b64 v[85:88], v1 offset1:1
	v_xor_b32_e32 v80, 0x80000000, v71
	v_xor_b32_e32 v90, 0x80000000, v73
	v_mov_b32_e32 v79, v70
	v_mov_b32_e32 v89, v72
	v_add_nc_u32_e32 v1, 16, v1
	s_waitcnt lgkmcnt(0)
	v_xor_b32_e32 v92, 0x80000000, v88
	v_cndmask_b32_e64 v80, v71, v80, s0
	v_cndmask_b32_e32 v90, v73, v90, vcc_lo
	v_cmp_gt_f64_e32 vcc_lo, 0, v[87:88]
	v_cmp_gt_f64_e64 s0, 0, v[85:86]
	v_mov_b32_e32 v91, v87
	v_add_f64 v[79:80], v[79:80], v[89:90]
	v_xor_b32_e32 v90, 0x80000000, v86
	v_mov_b32_e32 v89, v85
	v_cndmask_b32_e32 v92, v88, v92, vcc_lo
	v_cndmask_b32_e64 v90, v86, v90, s0
	v_add_f64 v[89:90], v[89:90], v[91:92]
	v_cmp_lt_f64_e32 vcc_lo, v[79:80], v[89:90]
	v_cndmask_b32_e32 v71, v71, v86, vcc_lo
	v_cndmask_b32_e32 v70, v70, v85, vcc_lo
	;; [unrolled: 1-line block ×4, first 2 shown]
	v_cndmask_b32_e64 v78, v78, s1, vcc_lo
	s_add_i32 s1, s1, 1
	s_cmp_lg_u32 s18, s1
	s_cbranch_scc1 .LBB32_337
.LBB32_338:
	s_inst_prefetch 0x2
	s_waitcnt lgkmcnt(0)
	v_cmp_eq_f64_e32 vcc_lo, 0, v[70:71]
	v_cmp_eq_f64_e64 s0, 0, v[72:73]
	s_and_b32 s0, vcc_lo, s0
	s_and_saveexec_b32 s1, s0
	s_xor_b32 s0, exec_lo, s1
; %bb.339:
	v_cmp_ne_u32_e32 vcc_lo, 0, v83
	v_cndmask_b32_e32 v83, 17, v83, vcc_lo
; %bb.340:
	s_andn2_saveexec_b32 s0, s0
	s_cbranch_execz .LBB32_346
; %bb.341:
	v_cmp_ngt_f64_e64 s1, |v[70:71]|, |v[72:73]|
	s_and_saveexec_b32 s2, s1
	s_xor_b32 s1, exec_lo, s2
	s_cbranch_execz .LBB32_343
; %bb.342:
	v_div_scale_f64 v[79:80], null, v[72:73], v[72:73], v[70:71]
	v_div_scale_f64 v[89:90], vcc_lo, v[70:71], v[72:73], v[70:71]
	v_rcp_f64_e32 v[85:86], v[79:80]
	v_fma_f64 v[87:88], -v[79:80], v[85:86], 1.0
	v_fma_f64 v[85:86], v[85:86], v[87:88], v[85:86]
	v_fma_f64 v[87:88], -v[79:80], v[85:86], 1.0
	v_fma_f64 v[85:86], v[85:86], v[87:88], v[85:86]
	v_mul_f64 v[87:88], v[89:90], v[85:86]
	v_fma_f64 v[79:80], -v[79:80], v[87:88], v[89:90]
	v_div_fmas_f64 v[79:80], v[79:80], v[85:86], v[87:88]
	v_div_fixup_f64 v[79:80], v[79:80], v[72:73], v[70:71]
	v_fma_f64 v[70:71], v[70:71], v[79:80], v[72:73]
	v_div_scale_f64 v[72:73], null, v[70:71], v[70:71], 1.0
	v_rcp_f64_e32 v[85:86], v[72:73]
	v_fma_f64 v[87:88], -v[72:73], v[85:86], 1.0
	v_fma_f64 v[85:86], v[85:86], v[87:88], v[85:86]
	v_fma_f64 v[87:88], -v[72:73], v[85:86], 1.0
	v_fma_f64 v[85:86], v[85:86], v[87:88], v[85:86]
	v_div_scale_f64 v[87:88], vcc_lo, 1.0, v[70:71], 1.0
	v_mul_f64 v[89:90], v[87:88], v[85:86]
	v_fma_f64 v[72:73], -v[72:73], v[89:90], v[87:88]
	v_div_fmas_f64 v[72:73], v[72:73], v[85:86], v[89:90]
	v_div_fixup_f64 v[72:73], v[72:73], v[70:71], 1.0
	v_mul_f64 v[70:71], v[79:80], v[72:73]
	v_xor_b32_e32 v73, 0x80000000, v73
.LBB32_343:
	s_andn2_saveexec_b32 s1, s1
	s_cbranch_execz .LBB32_345
; %bb.344:
	v_div_scale_f64 v[79:80], null, v[70:71], v[70:71], v[72:73]
	v_div_scale_f64 v[89:90], vcc_lo, v[72:73], v[70:71], v[72:73]
	v_rcp_f64_e32 v[85:86], v[79:80]
	v_fma_f64 v[87:88], -v[79:80], v[85:86], 1.0
	v_fma_f64 v[85:86], v[85:86], v[87:88], v[85:86]
	v_fma_f64 v[87:88], -v[79:80], v[85:86], 1.0
	v_fma_f64 v[85:86], v[85:86], v[87:88], v[85:86]
	v_mul_f64 v[87:88], v[89:90], v[85:86]
	v_fma_f64 v[79:80], -v[79:80], v[87:88], v[89:90]
	v_div_fmas_f64 v[79:80], v[79:80], v[85:86], v[87:88]
	v_div_fixup_f64 v[79:80], v[79:80], v[70:71], v[72:73]
	v_fma_f64 v[70:71], v[72:73], v[79:80], v[70:71]
	v_div_scale_f64 v[72:73], null, v[70:71], v[70:71], 1.0
	v_rcp_f64_e32 v[85:86], v[72:73]
	v_fma_f64 v[87:88], -v[72:73], v[85:86], 1.0
	v_fma_f64 v[85:86], v[85:86], v[87:88], v[85:86]
	v_fma_f64 v[87:88], -v[72:73], v[85:86], 1.0
	v_fma_f64 v[85:86], v[85:86], v[87:88], v[85:86]
	v_div_scale_f64 v[87:88], vcc_lo, 1.0, v[70:71], 1.0
	v_mul_f64 v[89:90], v[87:88], v[85:86]
	v_fma_f64 v[72:73], -v[72:73], v[89:90], v[87:88]
	v_div_fmas_f64 v[72:73], v[72:73], v[85:86], v[89:90]
	v_div_fixup_f64 v[70:71], v[72:73], v[70:71], 1.0
	v_mul_f64 v[72:73], v[79:80], -v[70:71]
.LBB32_345:
	s_or_b32 exec_lo, exec_lo, s1
.LBB32_346:
	s_or_b32 exec_lo, exec_lo, s0
	v_mov_b32_e32 v79, 16
	s_mov_b32 s0, exec_lo
	v_cmpx_ne_u32_e64 v84, v78
	s_cbranch_execz .LBB32_352
; %bb.347:
	s_mov_b32 s1, exec_lo
	v_cmpx_eq_u32_e32 16, v84
	s_cbranch_execz .LBB32_351
; %bb.348:
	v_cmp_ne_u32_e32 vcc_lo, 16, v78
	s_xor_b32 s2, s16, -1
	s_and_b32 s3, s2, vcc_lo
	s_and_saveexec_b32 s2, s3
	s_cbranch_execz .LBB32_350
; %bb.349:
	v_ashrrev_i32_e32 v79, 31, v78
	v_lshlrev_b64 v[0:1], 2, v[78:79]
	v_add_co_u32 v0, vcc_lo, v76, v0
	v_add_co_ci_u32_e64 v1, null, v77, v1, vcc_lo
	s_clause 0x1
	global_load_dword v79, v[0:1], off
	global_load_dword v80, v[76:77], off offset:64
	s_waitcnt vmcnt(1)
	global_store_dword v[76:77], v79, off offset:64
	s_waitcnt vmcnt(0)
	global_store_dword v[0:1], v80, off
.LBB32_350:
	s_or_b32 exec_lo, exec_lo, s2
	v_mov_b32_e32 v84, v78
	v_mov_b32_e32 v0, v78
.LBB32_351:
	s_or_b32 exec_lo, exec_lo, s1
	v_mov_b32_e32 v79, v84
.LBB32_352:
	s_or_b32 exec_lo, exec_lo, s0
	s_mov_b32 s0, exec_lo
	s_waitcnt_vscnt null, 0x0
	s_barrier
	buffer_gl0_inv
	v_cmpx_lt_i32_e32 16, v79
	s_cbranch_execz .LBB32_354
; %bb.353:
	v_mul_f64 v[76:77], v[72:73], v[4:5]
	v_mul_f64 v[4:5], v[70:71], v[4:5]
	v_fma_f64 v[70:71], v[70:71], v[2:3], -v[76:77]
	v_fma_f64 v[4:5], v[72:73], v[2:3], v[4:5]
	v_mov_b32_e32 v2, v70
	v_mov_b32_e32 v3, v71
.LBB32_354:
	s_or_b32 exec_lo, exec_lo, s0
	v_ashrrev_i32_e32 v80, 31, v79
	s_mov_b32 s0, exec_lo
	s_barrier
	buffer_gl0_inv
	v_cmpx_gt_i32_e32 17, v79
	s_cbranch_execz .LBB32_356
; %bb.355:
	v_mul_lo_u32 v1, s15, v74
	v_mul_lo_u32 v72, s14, v75
	v_mad_u64_u32 v[70:71], null, s14, v74, 0
	s_lshl_b64 s[2:3], s[12:13], 2
	v_add3_u32 v0, v0, s17, 1
	v_add3_u32 v71, v71, v72, v1
	v_lshlrev_b64 v[70:71], 2, v[70:71]
	v_add_co_u32 v1, vcc_lo, s10, v70
	v_add_co_ci_u32_e64 v72, null, s11, v71, vcc_lo
	v_lshlrev_b64 v[70:71], 2, v[79:80]
	v_add_co_u32 v1, vcc_lo, v1, s2
	v_add_co_ci_u32_e64 v72, null, s3, v72, vcc_lo
	v_add_co_u32 v70, vcc_lo, v1, v70
	v_add_co_ci_u32_e64 v71, null, v72, v71, vcc_lo
	global_store_dword v[70:71], v0, off
.LBB32_356:
	s_or_b32 exec_lo, exec_lo, s0
	s_mov_b32 s1, exec_lo
	v_cmpx_eq_u32_e32 0, v79
	s_cbranch_execz .LBB32_359
; %bb.357:
	v_lshlrev_b64 v[0:1], 2, v[74:75]
	v_cmp_ne_u32_e64 s0, 0, v83
	v_add_co_u32 v0, vcc_lo, s4, v0
	v_add_co_ci_u32_e64 v1, null, s5, v1, vcc_lo
	global_load_dword v70, v[0:1], off
	s_waitcnt vmcnt(0)
	v_cmp_eq_u32_e32 vcc_lo, 0, v70
	s_and_b32 s0, vcc_lo, s0
	s_and_b32 exec_lo, exec_lo, s0
	s_cbranch_execz .LBB32_359
; %bb.358:
	v_add_nc_u32_e32 v70, s17, v83
	global_store_dword v[0:1], v70, off
.LBB32_359:
	s_or_b32 exec_lo, exec_lo, s1
	v_add3_u32 v0, s6, s6, v79
	v_lshlrev_b64 v[70:71], 4, v[79:80]
	v_add_nc_u32_e32 v72, s6, v0
	v_ashrrev_i32_e32 v1, 31, v0
	v_add_co_u32 v70, vcc_lo, v81, v70
	v_add_co_ci_u32_e64 v71, null, v82, v71, vcc_lo
	v_add_nc_u32_e32 v76, s6, v72
	v_add_co_u32 v74, vcc_lo, v70, s8
	v_ashrrev_i32_e32 v73, 31, v72
	v_add_co_ci_u32_e64 v75, null, s9, v71, vcc_lo
	v_ashrrev_i32_e32 v77, 31, v76
	v_lshlrev_b64 v[0:1], 4, v[0:1]
	global_store_dwordx4 v[70:71], v[62:65], off
	global_store_dwordx4 v[74:75], v[66:69], off
	v_lshlrev_b64 v[62:63], 4, v[72:73]
	v_add_nc_u32_e32 v66, s6, v76
	v_lshlrev_b64 v[64:65], 4, v[76:77]
	v_add_co_u32 v0, vcc_lo, v81, v0
	v_add_co_ci_u32_e64 v1, null, v82, v1, vcc_lo
	v_add_co_u32 v62, vcc_lo, v81, v62
	v_add_co_ci_u32_e64 v63, null, v82, v63, vcc_lo
	v_add_co_u32 v64, vcc_lo, v81, v64
	v_add_nc_u32_e32 v68, s6, v66
	v_add_co_ci_u32_e64 v65, null, v82, v65, vcc_lo
	v_ashrrev_i32_e32 v67, 31, v66
	global_store_dwordx4 v[0:1], v[54:57], off
	v_ashrrev_i32_e32 v69, 31, v68
	global_store_dwordx4 v[62:63], v[50:53], off
	global_store_dwordx4 v[64:65], v[58:61], off
	v_add_nc_u32_e32 v52, s6, v68
	v_lshlrev_b64 v[0:1], 4, v[66:67]
	v_lshlrev_b64 v[50:51], 4, v[68:69]
	v_add_nc_u32_e32 v54, s6, v52
	v_ashrrev_i32_e32 v53, 31, v52
	v_add_co_u32 v0, vcc_lo, v81, v0
	v_add_co_ci_u32_e64 v1, null, v82, v1, vcc_lo
	v_add_nc_u32_e32 v56, s6, v54
	v_add_co_u32 v50, vcc_lo, v81, v50
	v_add_co_ci_u32_e64 v51, null, v82, v51, vcc_lo
	v_ashrrev_i32_e32 v55, 31, v54
	v_ashrrev_i32_e32 v57, 31, v56
	v_lshlrev_b64 v[52:53], 4, v[52:53]
	global_store_dwordx4 v[0:1], v[34:37], off
	global_store_dwordx4 v[50:51], v[46:49], off
	v_add_nc_u32_e32 v46, s6, v56
	v_lshlrev_b64 v[0:1], 4, v[54:55]
	v_lshlrev_b64 v[36:37], 4, v[56:57]
	v_add_co_u32 v34, vcc_lo, v81, v52
	v_add_nc_u32_e32 v48, s6, v46
	v_add_co_ci_u32_e64 v35, null, v82, v53, vcc_lo
	v_add_co_u32 v0, vcc_lo, v81, v0
	v_ashrrev_i32_e32 v47, 31, v46
	v_add_co_ci_u32_e64 v1, null, v82, v1, vcc_lo
	v_add_co_u32 v36, vcc_lo, v81, v36
	v_ashrrev_i32_e32 v49, 31, v48
	v_add_co_ci_u32_e64 v37, null, v82, v37, vcc_lo
	global_store_dwordx4 v[34:35], v[30:33], off
	v_lshlrev_b64 v[30:31], 4, v[46:47]
	v_add_nc_u32_e32 v32, s6, v48
	global_store_dwordx4 v[0:1], v[42:45], off
	global_store_dwordx4 v[36:37], v[38:41], off
	v_lshlrev_b64 v[0:1], 4, v[48:49]
	v_add_nc_u32_e32 v34, s6, v32
	v_add_co_u32 v30, vcc_lo, v81, v30
	v_add_co_ci_u32_e64 v31, null, v82, v31, vcc_lo
	v_add_co_u32 v0, vcc_lo, v81, v0
	v_add_co_ci_u32_e64 v1, null, v82, v1, vcc_lo
	v_add_nc_u32_e32 v36, s6, v34
	v_ashrrev_i32_e32 v33, 31, v32
	global_store_dwordx4 v[30:31], v[26:29], off
	global_store_dwordx4 v[0:1], v[22:25], off
	v_ashrrev_i32_e32 v35, 31, v34
	v_add_nc_u32_e32 v22, s6, v36
	v_lshlrev_b64 v[26:27], 4, v[32:33]
	v_ashrrev_i32_e32 v37, 31, v36
	v_lshlrev_b64 v[0:1], 4, v[34:35]
	v_add_nc_u32_e32 v28, s6, v22
	v_ashrrev_i32_e32 v23, 31, v22
	v_add_co_u32 v24, vcc_lo, v81, v26
	v_add_co_ci_u32_e64 v25, null, v82, v27, vcc_lo
	v_ashrrev_i32_e32 v29, 31, v28
	v_lshlrev_b64 v[26:27], 4, v[36:37]
	v_lshlrev_b64 v[22:23], 4, v[22:23]
	v_add_co_u32 v0, vcc_lo, v81, v0
	v_lshlrev_b64 v[28:29], 4, v[28:29]
	v_add_co_ci_u32_e64 v1, null, v82, v1, vcc_lo
	v_add_co_u32 v26, vcc_lo, v81, v26
	v_add_co_ci_u32_e64 v27, null, v82, v27, vcc_lo
	v_add_co_u32 v22, vcc_lo, v81, v22
	;; [unrolled: 2-line block ×3, first 2 shown]
	v_add_co_ci_u32_e64 v29, null, v82, v29, vcc_lo
	global_store_dwordx4 v[24:25], v[18:21], off
	global_store_dwordx4 v[0:1], v[14:17], off
	;; [unrolled: 1-line block ×5, first 2 shown]
.LBB32_360:
	s_endpgm
	.section	.rodata,"a",@progbits
	.p2align	6, 0x0
	.amdhsa_kernel _ZN9rocsolver6v33100L18getf2_small_kernelILi17E19rocblas_complex_numIdEiiPS3_EEvT1_T3_lS5_lPS5_llPT2_S5_S5_S7_l
		.amdhsa_group_segment_fixed_size 0
		.amdhsa_private_segment_fixed_size 0
		.amdhsa_kernarg_size 352
		.amdhsa_user_sgpr_count 6
		.amdhsa_user_sgpr_private_segment_buffer 1
		.amdhsa_user_sgpr_dispatch_ptr 0
		.amdhsa_user_sgpr_queue_ptr 0
		.amdhsa_user_sgpr_kernarg_segment_ptr 1
		.amdhsa_user_sgpr_dispatch_id 0
		.amdhsa_user_sgpr_flat_scratch_init 0
		.amdhsa_user_sgpr_private_segment_size 0
		.amdhsa_wavefront_size32 1
		.amdhsa_uses_dynamic_stack 0
		.amdhsa_system_sgpr_private_segment_wavefront_offset 0
		.amdhsa_system_sgpr_workgroup_id_x 1
		.amdhsa_system_sgpr_workgroup_id_y 1
		.amdhsa_system_sgpr_workgroup_id_z 0
		.amdhsa_system_sgpr_workgroup_info 0
		.amdhsa_system_vgpr_workitem_id 1
		.amdhsa_next_free_vgpr 103
		.amdhsa_next_free_sgpr 19
		.amdhsa_reserve_vcc 1
		.amdhsa_reserve_flat_scratch 0
		.amdhsa_float_round_mode_32 0
		.amdhsa_float_round_mode_16_64 0
		.amdhsa_float_denorm_mode_32 3
		.amdhsa_float_denorm_mode_16_64 3
		.amdhsa_dx10_clamp 1
		.amdhsa_ieee_mode 1
		.amdhsa_fp16_overflow 0
		.amdhsa_workgroup_processor_mode 1
		.amdhsa_memory_ordered 1
		.amdhsa_forward_progress 1
		.amdhsa_shared_vgpr_count 0
		.amdhsa_exception_fp_ieee_invalid_op 0
		.amdhsa_exception_fp_denorm_src 0
		.amdhsa_exception_fp_ieee_div_zero 0
		.amdhsa_exception_fp_ieee_overflow 0
		.amdhsa_exception_fp_ieee_underflow 0
		.amdhsa_exception_fp_ieee_inexact 0
		.amdhsa_exception_int_div_zero 0
	.end_amdhsa_kernel
	.section	.text._ZN9rocsolver6v33100L18getf2_small_kernelILi17E19rocblas_complex_numIdEiiPS3_EEvT1_T3_lS5_lPS5_llPT2_S5_S5_S7_l,"axG",@progbits,_ZN9rocsolver6v33100L18getf2_small_kernelILi17E19rocblas_complex_numIdEiiPS3_EEvT1_T3_lS5_lPS5_llPT2_S5_S5_S7_l,comdat
.Lfunc_end32:
	.size	_ZN9rocsolver6v33100L18getf2_small_kernelILi17E19rocblas_complex_numIdEiiPS3_EEvT1_T3_lS5_lPS5_llPT2_S5_S5_S7_l, .Lfunc_end32-_ZN9rocsolver6v33100L18getf2_small_kernelILi17E19rocblas_complex_numIdEiiPS3_EEvT1_T3_lS5_lPS5_llPT2_S5_S5_S7_l
                                        ; -- End function
	.set _ZN9rocsolver6v33100L18getf2_small_kernelILi17E19rocblas_complex_numIdEiiPS3_EEvT1_T3_lS5_lPS5_llPT2_S5_S5_S7_l.num_vgpr, 103
	.set _ZN9rocsolver6v33100L18getf2_small_kernelILi17E19rocblas_complex_numIdEiiPS3_EEvT1_T3_lS5_lPS5_llPT2_S5_S5_S7_l.num_agpr, 0
	.set _ZN9rocsolver6v33100L18getf2_small_kernelILi17E19rocblas_complex_numIdEiiPS3_EEvT1_T3_lS5_lPS5_llPT2_S5_S5_S7_l.numbered_sgpr, 19
	.set _ZN9rocsolver6v33100L18getf2_small_kernelILi17E19rocblas_complex_numIdEiiPS3_EEvT1_T3_lS5_lPS5_llPT2_S5_S5_S7_l.num_named_barrier, 0
	.set _ZN9rocsolver6v33100L18getf2_small_kernelILi17E19rocblas_complex_numIdEiiPS3_EEvT1_T3_lS5_lPS5_llPT2_S5_S5_S7_l.private_seg_size, 0
	.set _ZN9rocsolver6v33100L18getf2_small_kernelILi17E19rocblas_complex_numIdEiiPS3_EEvT1_T3_lS5_lPS5_llPT2_S5_S5_S7_l.uses_vcc, 1
	.set _ZN9rocsolver6v33100L18getf2_small_kernelILi17E19rocblas_complex_numIdEiiPS3_EEvT1_T3_lS5_lPS5_llPT2_S5_S5_S7_l.uses_flat_scratch, 0
	.set _ZN9rocsolver6v33100L18getf2_small_kernelILi17E19rocblas_complex_numIdEiiPS3_EEvT1_T3_lS5_lPS5_llPT2_S5_S5_S7_l.has_dyn_sized_stack, 0
	.set _ZN9rocsolver6v33100L18getf2_small_kernelILi17E19rocblas_complex_numIdEiiPS3_EEvT1_T3_lS5_lPS5_llPT2_S5_S5_S7_l.has_recursion, 0
	.set _ZN9rocsolver6v33100L18getf2_small_kernelILi17E19rocblas_complex_numIdEiiPS3_EEvT1_T3_lS5_lPS5_llPT2_S5_S5_S7_l.has_indirect_call, 0
	.section	.AMDGPU.csdata,"",@progbits
; Kernel info:
; codeLenInByte = 27800
; TotalNumSgprs: 21
; NumVgprs: 103
; ScratchSize: 0
; MemoryBound: 0
; FloatMode: 240
; IeeeMode: 1
; LDSByteSize: 0 bytes/workgroup (compile time only)
; SGPRBlocks: 0
; VGPRBlocks: 12
; NumSGPRsForWavesPerEU: 21
; NumVGPRsForWavesPerEU: 103
; Occupancy: 9
; WaveLimiterHint : 0
; COMPUTE_PGM_RSRC2:SCRATCH_EN: 0
; COMPUTE_PGM_RSRC2:USER_SGPR: 6
; COMPUTE_PGM_RSRC2:TRAP_HANDLER: 0
; COMPUTE_PGM_RSRC2:TGID_X_EN: 1
; COMPUTE_PGM_RSRC2:TGID_Y_EN: 1
; COMPUTE_PGM_RSRC2:TGID_Z_EN: 0
; COMPUTE_PGM_RSRC2:TIDIG_COMP_CNT: 1
	.section	.text._ZN9rocsolver6v33100L23getf2_npvt_small_kernelILi17E19rocblas_complex_numIdEiiPS3_EEvT1_T3_lS5_lPT2_S5_S5_,"axG",@progbits,_ZN9rocsolver6v33100L23getf2_npvt_small_kernelILi17E19rocblas_complex_numIdEiiPS3_EEvT1_T3_lS5_lPT2_S5_S5_,comdat
	.globl	_ZN9rocsolver6v33100L23getf2_npvt_small_kernelILi17E19rocblas_complex_numIdEiiPS3_EEvT1_T3_lS5_lPT2_S5_S5_ ; -- Begin function _ZN9rocsolver6v33100L23getf2_npvt_small_kernelILi17E19rocblas_complex_numIdEiiPS3_EEvT1_T3_lS5_lPT2_S5_S5_
	.p2align	8
	.type	_ZN9rocsolver6v33100L23getf2_npvt_small_kernelILi17E19rocblas_complex_numIdEiiPS3_EEvT1_T3_lS5_lPT2_S5_S5_,@function
_ZN9rocsolver6v33100L23getf2_npvt_small_kernelILi17E19rocblas_complex_numIdEiiPS3_EEvT1_T3_lS5_lPT2_S5_S5_: ; @_ZN9rocsolver6v33100L23getf2_npvt_small_kernelILi17E19rocblas_complex_numIdEiiPS3_EEvT1_T3_lS5_lPT2_S5_S5_
; %bb.0:
	s_clause 0x1
	s_load_dword s0, s[4:5], 0x44
	s_load_dwordx2 s[12:13], s[4:5], 0x30
	s_waitcnt lgkmcnt(0)
	s_lshr_b32 s14, s0, 16
	s_mov_b32 s0, exec_lo
	v_mad_u64_u32 v[158:159], null, s7, s14, v[1:2]
	v_cmpx_gt_i32_e64 s12, v158
	s_cbranch_execz .LBB33_158
; %bb.1:
	s_clause 0x2
	s_load_dwordx4 s[8:11], s[4:5], 0x20
	s_load_dword s6, s[4:5], 0x18
	s_load_dwordx4 s[0:3], s[4:5], 0x8
	v_ashrrev_i32_e32 v159, 31, v158
	v_lshlrev_b32_e32 v12, 4, v0
	v_lshlrev_b32_e32 v70, 4, v1
	s_mulk_i32 s14, 0x110
	v_mad_u32_u24 v174, 0x110, v1, 0
	v_add3_u32 v1, 0, s14, v70
	s_waitcnt lgkmcnt(0)
	v_mul_lo_u32 v5, s9, v158
	v_mul_lo_u32 v7, s8, v159
	v_mad_u64_u32 v[2:3], null, s8, v158, 0
	v_add3_u32 v4, s6, s6, v0
	s_lshl_b64 s[2:3], s[2:3], 4
	s_ashr_i32 s7, s6, 31
	s_lshl_b64 s[4:5], s[6:7], 4
	v_add_nc_u32_e32 v6, s6, v4
	v_add3_u32 v3, v3, v7, v5
	v_ashrrev_i32_e32 v5, 31, v4
	v_add_nc_u32_e32 v8, s6, v6
	v_lshlrev_b64 v[2:3], 4, v[2:3]
	v_ashrrev_i32_e32 v7, 31, v6
	v_lshlrev_b64 v[4:5], 4, v[4:5]
	v_add_nc_u32_e32 v10, s6, v8
	v_ashrrev_i32_e32 v9, 31, v8
	v_add_co_u32 v2, vcc_lo, s0, v2
	v_add_co_ci_u32_e64 v3, null, s1, v3, vcc_lo
	v_lshlrev_b64 v[6:7], 4, v[6:7]
	v_add_co_u32 v26, vcc_lo, v2, s2
	v_add_co_ci_u32_e64 v27, null, s3, v3, vcc_lo
	v_add_nc_u32_e32 v20, s6, v10
	v_add_co_u32 v142, vcc_lo, v26, v12
	v_lshlrev_b64 v[18:19], 4, v[8:9]
	v_ashrrev_i32_e32 v11, 31, v10
	v_add_co_ci_u32_e64 v143, null, 0, v27, vcc_lo
	v_add_co_u32 v140, vcc_lo, v26, v4
	v_add_co_ci_u32_e64 v141, null, v27, v5, vcc_lo
	v_add_co_u32 v138, vcc_lo, v26, v6
	v_ashrrev_i32_e32 v21, 31, v20
	v_add_nc_u32_e32 v24, s6, v20
	v_add_co_ci_u32_e64 v139, null, v27, v7, vcc_lo
	v_add_co_u32 v144, vcc_lo, v142, s4
	v_lshlrev_b64 v[22:23], 4, v[10:11]
	v_add_co_ci_u32_e64 v145, null, s5, v143, vcc_lo
	v_add_co_u32 v146, vcc_lo, v26, v18
	v_add_co_ci_u32_e64 v147, null, v27, v19, vcc_lo
	v_lshlrev_b64 v[18:19], 4, v[20:21]
	v_ashrrev_i32_e32 v25, 31, v24
	v_add_nc_u32_e32 v20, s6, v24
	v_add_co_u32 v148, vcc_lo, v26, v22
	v_add_co_ci_u32_e64 v149, null, v27, v23, vcc_lo
	v_lshlrev_b64 v[22:23], 4, v[24:25]
	v_ashrrev_i32_e32 v21, 31, v20
	v_add_nc_u32_e32 v24, s6, v20
	;; [unrolled: 5-line block ×8, first 2 shown]
	v_add_co_u32 v164, vcc_lo, v26, v18
	v_add_co_ci_u32_e64 v165, null, v27, v19, vcc_lo
	v_lshlrev_b64 v[18:19], 4, v[20:21]
	v_add_nc_u32_e32 v20, s6, v24
	v_ashrrev_i32_e32 v25, 31, v24
	v_add_co_u32 v170, vcc_lo, v26, v22
	v_add_co_ci_u32_e64 v171, null, v27, v23, vcc_lo
	v_ashrrev_i32_e32 v21, 31, v20
	v_lshlrev_b64 v[22:23], 4, v[24:25]
	v_add_co_u32 v166, vcc_lo, v26, v18
	v_add_co_ci_u32_e64 v167, null, v27, v19, vcc_lo
	v_lshlrev_b64 v[18:19], 4, v[20:21]
	v_add_co_u32 v168, vcc_lo, v26, v22
	v_add_co_ci_u32_e64 v169, null, v27, v23, vcc_lo
	s_clause 0x3
	global_load_dwordx4 v[6:9], v[140:141], off
	global_load_dwordx4 v[2:5], v[138:139], off
	;; [unrolled: 1-line block ×4, first 2 shown]
	v_add_co_u32 v172, vcc_lo, v26, v18
	v_add_co_ci_u32_e64 v173, null, v27, v19, vcc_lo
	s_clause 0xc
	global_load_dwordx4 v[66:69], v[146:147], off
	global_load_dwordx4 v[62:65], v[148:149], off
	;; [unrolled: 1-line block ×13, first 2 shown]
	v_cmp_ne_u32_e64 s1, 0, v0
	v_cmp_eq_u32_e64 s0, 0, v0
	s_and_saveexec_b32 s3, s0
	s_cbranch_execz .LBB33_8
; %bb.2:
	s_waitcnt vmcnt(14)
	ds_write2_b64 v1, v[14:15], v[16:17] offset1:1
	s_waitcnt vmcnt(13)
	ds_write2_b64 v174, v[10:11], v[12:13] offset0:2 offset1:3
	ds_write2_b64 v174, v[6:7], v[8:9] offset0:4 offset1:5
	;; [unrolled: 1-line block ×3, first 2 shown]
	s_waitcnt vmcnt(12)
	ds_write2_b64 v174, v[66:67], v[68:69] offset0:8 offset1:9
	s_waitcnt vmcnt(11)
	ds_write2_b64 v174, v[62:63], v[64:65] offset0:10 offset1:11
	;; [unrolled: 2-line block ×13, first 2 shown]
	ds_read2_b64 v[70:73], v1 offset1:1
	s_waitcnt lgkmcnt(0)
	v_cmp_neq_f64_e32 vcc_lo, 0, v[70:71]
	v_cmp_neq_f64_e64 s2, 0, v[72:73]
	s_or_b32 s2, vcc_lo, s2
	s_and_b32 exec_lo, exec_lo, s2
	s_cbranch_execz .LBB33_8
; %bb.3:
	v_cmp_ngt_f64_e64 s2, |v[70:71]|, |v[72:73]|
                                        ; implicit-def: $vgpr74_vgpr75
	s_and_saveexec_b32 s4, s2
	s_xor_b32 s2, exec_lo, s4
                                        ; implicit-def: $vgpr76_vgpr77
	s_cbranch_execz .LBB33_5
; %bb.4:
	v_div_scale_f64 v[74:75], null, v[72:73], v[72:73], v[70:71]
	v_div_scale_f64 v[80:81], vcc_lo, v[70:71], v[72:73], v[70:71]
	v_rcp_f64_e32 v[76:77], v[74:75]
	v_fma_f64 v[78:79], -v[74:75], v[76:77], 1.0
	v_fma_f64 v[76:77], v[76:77], v[78:79], v[76:77]
	v_fma_f64 v[78:79], -v[74:75], v[76:77], 1.0
	v_fma_f64 v[76:77], v[76:77], v[78:79], v[76:77]
	v_mul_f64 v[78:79], v[80:81], v[76:77]
	v_fma_f64 v[74:75], -v[74:75], v[78:79], v[80:81]
	v_div_fmas_f64 v[74:75], v[74:75], v[76:77], v[78:79]
	v_div_fixup_f64 v[74:75], v[74:75], v[72:73], v[70:71]
	v_fma_f64 v[70:71], v[70:71], v[74:75], v[72:73]
	v_div_scale_f64 v[72:73], null, v[70:71], v[70:71], 1.0
	v_rcp_f64_e32 v[76:77], v[72:73]
	v_fma_f64 v[78:79], -v[72:73], v[76:77], 1.0
	v_fma_f64 v[76:77], v[76:77], v[78:79], v[76:77]
	v_fma_f64 v[78:79], -v[72:73], v[76:77], 1.0
	v_fma_f64 v[76:77], v[76:77], v[78:79], v[76:77]
	v_div_scale_f64 v[78:79], vcc_lo, 1.0, v[70:71], 1.0
	v_mul_f64 v[80:81], v[78:79], v[76:77]
	v_fma_f64 v[72:73], -v[72:73], v[80:81], v[78:79]
	v_div_fmas_f64 v[72:73], v[72:73], v[76:77], v[80:81]
	v_div_fixup_f64 v[76:77], v[72:73], v[70:71], 1.0
                                        ; implicit-def: $vgpr70_vgpr71
	v_mul_f64 v[74:75], v[74:75], v[76:77]
	v_xor_b32_e32 v77, 0x80000000, v77
.LBB33_5:
	s_andn2_saveexec_b32 s2, s2
	s_cbranch_execz .LBB33_7
; %bb.6:
	v_div_scale_f64 v[74:75], null, v[70:71], v[70:71], v[72:73]
	v_div_scale_f64 v[80:81], vcc_lo, v[72:73], v[70:71], v[72:73]
	v_rcp_f64_e32 v[76:77], v[74:75]
	v_fma_f64 v[78:79], -v[74:75], v[76:77], 1.0
	v_fma_f64 v[76:77], v[76:77], v[78:79], v[76:77]
	v_fma_f64 v[78:79], -v[74:75], v[76:77], 1.0
	v_fma_f64 v[76:77], v[76:77], v[78:79], v[76:77]
	v_mul_f64 v[78:79], v[80:81], v[76:77]
	v_fma_f64 v[74:75], -v[74:75], v[78:79], v[80:81]
	v_div_fmas_f64 v[74:75], v[74:75], v[76:77], v[78:79]
	v_div_fixup_f64 v[76:77], v[74:75], v[70:71], v[72:73]
	v_fma_f64 v[70:71], v[72:73], v[76:77], v[70:71]
	v_div_scale_f64 v[72:73], null, v[70:71], v[70:71], 1.0
	v_rcp_f64_e32 v[74:75], v[72:73]
	v_fma_f64 v[78:79], -v[72:73], v[74:75], 1.0
	v_fma_f64 v[74:75], v[74:75], v[78:79], v[74:75]
	v_fma_f64 v[78:79], -v[72:73], v[74:75], 1.0
	v_fma_f64 v[74:75], v[74:75], v[78:79], v[74:75]
	v_div_scale_f64 v[78:79], vcc_lo, 1.0, v[70:71], 1.0
	v_mul_f64 v[80:81], v[78:79], v[74:75]
	v_fma_f64 v[72:73], -v[72:73], v[80:81], v[78:79]
	v_div_fmas_f64 v[72:73], v[72:73], v[74:75], v[80:81]
	v_div_fixup_f64 v[74:75], v[72:73], v[70:71], 1.0
	v_mul_f64 v[76:77], v[76:77], -v[74:75]
.LBB33_7:
	s_or_b32 exec_lo, exec_lo, s2
	ds_write2_b64 v1, v[74:75], v[76:77] offset1:1
.LBB33_8:
	s_or_b32 exec_lo, exec_lo, s3
	s_waitcnt vmcnt(0) lgkmcnt(0)
	s_barrier
	buffer_gl0_inv
	ds_read2_b64 v[70:73], v1 offset1:1
	s_and_saveexec_b32 s2, s1
	s_cbranch_execz .LBB33_10
; %bb.9:
	s_waitcnt lgkmcnt(0)
	v_mul_f64 v[74:75], v[70:71], v[16:17]
	v_mul_f64 v[16:17], v[72:73], v[16:17]
	v_fma_f64 v[175:176], v[72:73], v[14:15], v[74:75]
	ds_read2_b64 v[74:77], v174 offset0:2 offset1:3
	ds_read2_b64 v[78:81], v174 offset0:4 offset1:5
	;; [unrolled: 1-line block ×16, first 2 shown]
	v_fma_f64 v[14:15], v[70:71], v[14:15], -v[16:17]
	s_waitcnt lgkmcnt(15)
	v_mul_f64 v[16:17], v[76:77], v[175:176]
	v_mul_f64 v[177:178], v[74:75], v[175:176]
	s_waitcnt lgkmcnt(14)
	v_mul_f64 v[179:180], v[80:81], v[175:176]
	v_mul_f64 v[181:182], v[78:79], v[175:176]
	;; [unrolled: 3-line block ×16, first 2 shown]
	v_fma_f64 v[16:17], v[74:75], v[14:15], -v[16:17]
	v_fma_f64 v[74:75], v[76:77], v[14:15], v[177:178]
	v_fma_f64 v[76:77], v[78:79], v[14:15], -v[179:180]
	v_fma_f64 v[78:79], v[80:81], v[14:15], v[181:182]
	;; [unrolled: 2-line block ×14, first 2 shown]
	v_add_f64 v[10:11], v[10:11], -v[16:17]
	v_add_f64 v[12:13], v[12:13], -v[74:75]
	;; [unrolled: 1-line block ×4, first 2 shown]
	v_fma_f64 v[16:17], v[130:131], v[14:15], -v[231:232]
	v_fma_f64 v[74:75], v[132:133], v[14:15], v[233:234]
	v_fma_f64 v[76:77], v[134:135], v[14:15], -v[235:236]
	v_fma_f64 v[78:79], v[136:137], v[14:15], v[237:238]
	v_add_f64 v[2:3], v[2:3], -v[80:81]
	v_add_f64 v[4:5], v[4:5], -v[82:83]
	;; [unrolled: 1-line block ×28, first 2 shown]
	v_mov_b32_e32 v16, v175
	v_mov_b32_e32 v17, v176
.LBB33_10:
	s_or_b32 exec_lo, exec_lo, s2
	s_mov_b32 s2, exec_lo
	s_waitcnt lgkmcnt(0)
	s_barrier
	buffer_gl0_inv
	v_cmpx_eq_u32_e32 1, v0
	s_cbranch_execz .LBB33_17
; %bb.11:
	ds_write2_b64 v1, v[10:11], v[12:13] offset1:1
	ds_write2_b64 v174, v[6:7], v[8:9] offset0:4 offset1:5
	ds_write2_b64 v174, v[2:3], v[4:5] offset0:6 offset1:7
	;; [unrolled: 1-line block ×15, first 2 shown]
	ds_read2_b64 v[74:77], v1 offset1:1
	s_waitcnt lgkmcnt(0)
	v_cmp_neq_f64_e32 vcc_lo, 0, v[74:75]
	v_cmp_neq_f64_e64 s1, 0, v[76:77]
	s_or_b32 s1, vcc_lo, s1
	s_and_b32 exec_lo, exec_lo, s1
	s_cbranch_execz .LBB33_17
; %bb.12:
	v_cmp_ngt_f64_e64 s1, |v[74:75]|, |v[76:77]|
                                        ; implicit-def: $vgpr78_vgpr79
	s_and_saveexec_b32 s3, s1
	s_xor_b32 s1, exec_lo, s3
                                        ; implicit-def: $vgpr80_vgpr81
	s_cbranch_execz .LBB33_14
; %bb.13:
	v_div_scale_f64 v[78:79], null, v[76:77], v[76:77], v[74:75]
	v_div_scale_f64 v[84:85], vcc_lo, v[74:75], v[76:77], v[74:75]
	v_rcp_f64_e32 v[80:81], v[78:79]
	v_fma_f64 v[82:83], -v[78:79], v[80:81], 1.0
	v_fma_f64 v[80:81], v[80:81], v[82:83], v[80:81]
	v_fma_f64 v[82:83], -v[78:79], v[80:81], 1.0
	v_fma_f64 v[80:81], v[80:81], v[82:83], v[80:81]
	v_mul_f64 v[82:83], v[84:85], v[80:81]
	v_fma_f64 v[78:79], -v[78:79], v[82:83], v[84:85]
	v_div_fmas_f64 v[78:79], v[78:79], v[80:81], v[82:83]
	v_div_fixup_f64 v[78:79], v[78:79], v[76:77], v[74:75]
	v_fma_f64 v[74:75], v[74:75], v[78:79], v[76:77]
	v_div_scale_f64 v[76:77], null, v[74:75], v[74:75], 1.0
	v_rcp_f64_e32 v[80:81], v[76:77]
	v_fma_f64 v[82:83], -v[76:77], v[80:81], 1.0
	v_fma_f64 v[80:81], v[80:81], v[82:83], v[80:81]
	v_fma_f64 v[82:83], -v[76:77], v[80:81], 1.0
	v_fma_f64 v[80:81], v[80:81], v[82:83], v[80:81]
	v_div_scale_f64 v[82:83], vcc_lo, 1.0, v[74:75], 1.0
	v_mul_f64 v[84:85], v[82:83], v[80:81]
	v_fma_f64 v[76:77], -v[76:77], v[84:85], v[82:83]
	v_div_fmas_f64 v[76:77], v[76:77], v[80:81], v[84:85]
	v_div_fixup_f64 v[80:81], v[76:77], v[74:75], 1.0
                                        ; implicit-def: $vgpr74_vgpr75
	v_mul_f64 v[78:79], v[78:79], v[80:81]
	v_xor_b32_e32 v81, 0x80000000, v81
.LBB33_14:
	s_andn2_saveexec_b32 s1, s1
	s_cbranch_execz .LBB33_16
; %bb.15:
	v_div_scale_f64 v[78:79], null, v[74:75], v[74:75], v[76:77]
	v_div_scale_f64 v[84:85], vcc_lo, v[76:77], v[74:75], v[76:77]
	v_rcp_f64_e32 v[80:81], v[78:79]
	v_fma_f64 v[82:83], -v[78:79], v[80:81], 1.0
	v_fma_f64 v[80:81], v[80:81], v[82:83], v[80:81]
	v_fma_f64 v[82:83], -v[78:79], v[80:81], 1.0
	v_fma_f64 v[80:81], v[80:81], v[82:83], v[80:81]
	v_mul_f64 v[82:83], v[84:85], v[80:81]
	v_fma_f64 v[78:79], -v[78:79], v[82:83], v[84:85]
	v_div_fmas_f64 v[78:79], v[78:79], v[80:81], v[82:83]
	v_div_fixup_f64 v[80:81], v[78:79], v[74:75], v[76:77]
	v_fma_f64 v[74:75], v[76:77], v[80:81], v[74:75]
	v_div_scale_f64 v[76:77], null, v[74:75], v[74:75], 1.0
	v_rcp_f64_e32 v[78:79], v[76:77]
	v_fma_f64 v[82:83], -v[76:77], v[78:79], 1.0
	v_fma_f64 v[78:79], v[78:79], v[82:83], v[78:79]
	v_fma_f64 v[82:83], -v[76:77], v[78:79], 1.0
	v_fma_f64 v[78:79], v[78:79], v[82:83], v[78:79]
	v_div_scale_f64 v[82:83], vcc_lo, 1.0, v[74:75], 1.0
	v_mul_f64 v[84:85], v[82:83], v[78:79]
	v_fma_f64 v[76:77], -v[76:77], v[84:85], v[82:83]
	v_div_fmas_f64 v[76:77], v[76:77], v[78:79], v[84:85]
	v_div_fixup_f64 v[78:79], v[76:77], v[74:75], 1.0
	v_mul_f64 v[80:81], v[80:81], -v[78:79]
.LBB33_16:
	s_or_b32 exec_lo, exec_lo, s1
	ds_write2_b64 v1, v[78:79], v[80:81] offset1:1
.LBB33_17:
	s_or_b32 exec_lo, exec_lo, s2
	s_waitcnt lgkmcnt(0)
	s_barrier
	buffer_gl0_inv
	ds_read2_b64 v[74:77], v1 offset1:1
	s_mov_b32 s1, exec_lo
	v_cmpx_lt_u32_e32 1, v0
	s_cbranch_execz .LBB33_19
; %bb.18:
	s_waitcnt lgkmcnt(0)
	v_mul_f64 v[78:79], v[74:75], v[12:13]
	v_mul_f64 v[12:13], v[76:77], v[12:13]
	v_fma_f64 v[175:176], v[76:77], v[10:11], v[78:79]
	ds_read2_b64 v[78:81], v174 offset0:4 offset1:5
	ds_read2_b64 v[82:85], v174 offset0:6 offset1:7
	;; [unrolled: 1-line block ×15, first 2 shown]
	v_fma_f64 v[10:11], v[74:75], v[10:11], -v[12:13]
	s_waitcnt lgkmcnt(14)
	v_mul_f64 v[12:13], v[80:81], v[175:176]
	v_mul_f64 v[177:178], v[78:79], v[175:176]
	s_waitcnt lgkmcnt(13)
	v_mul_f64 v[179:180], v[84:85], v[175:176]
	v_mul_f64 v[181:182], v[82:83], v[175:176]
	;; [unrolled: 3-line block ×15, first 2 shown]
	v_fma_f64 v[12:13], v[78:79], v[10:11], -v[12:13]
	v_fma_f64 v[78:79], v[80:81], v[10:11], v[177:178]
	v_fma_f64 v[80:81], v[82:83], v[10:11], -v[179:180]
	v_fma_f64 v[82:83], v[84:85], v[10:11], v[181:182]
	;; [unrolled: 2-line block ×15, first 2 shown]
	v_add_f64 v[6:7], v[6:7], -v[12:13]
	v_add_f64 v[8:9], v[8:9], -v[78:79]
	;; [unrolled: 1-line block ×30, first 2 shown]
	v_mov_b32_e32 v12, v175
	v_mov_b32_e32 v13, v176
.LBB33_19:
	s_or_b32 exec_lo, exec_lo, s1
	s_mov_b32 s2, exec_lo
	s_waitcnt lgkmcnt(0)
	s_barrier
	buffer_gl0_inv
	v_cmpx_eq_u32_e32 2, v0
	s_cbranch_execz .LBB33_26
; %bb.20:
	ds_write2_b64 v1, v[6:7], v[8:9] offset1:1
	ds_write2_b64 v174, v[2:3], v[4:5] offset0:6 offset1:7
	ds_write2_b64 v174, v[66:67], v[68:69] offset0:8 offset1:9
	;; [unrolled: 1-line block ×14, first 2 shown]
	ds_read2_b64 v[78:81], v1 offset1:1
	s_waitcnt lgkmcnt(0)
	v_cmp_neq_f64_e32 vcc_lo, 0, v[78:79]
	v_cmp_neq_f64_e64 s1, 0, v[80:81]
	s_or_b32 s1, vcc_lo, s1
	s_and_b32 exec_lo, exec_lo, s1
	s_cbranch_execz .LBB33_26
; %bb.21:
	v_cmp_ngt_f64_e64 s1, |v[78:79]|, |v[80:81]|
                                        ; implicit-def: $vgpr82_vgpr83
	s_and_saveexec_b32 s3, s1
	s_xor_b32 s1, exec_lo, s3
                                        ; implicit-def: $vgpr84_vgpr85
	s_cbranch_execz .LBB33_23
; %bb.22:
	v_div_scale_f64 v[82:83], null, v[80:81], v[80:81], v[78:79]
	v_div_scale_f64 v[88:89], vcc_lo, v[78:79], v[80:81], v[78:79]
	v_rcp_f64_e32 v[84:85], v[82:83]
	v_fma_f64 v[86:87], -v[82:83], v[84:85], 1.0
	v_fma_f64 v[84:85], v[84:85], v[86:87], v[84:85]
	v_fma_f64 v[86:87], -v[82:83], v[84:85], 1.0
	v_fma_f64 v[84:85], v[84:85], v[86:87], v[84:85]
	v_mul_f64 v[86:87], v[88:89], v[84:85]
	v_fma_f64 v[82:83], -v[82:83], v[86:87], v[88:89]
	v_div_fmas_f64 v[82:83], v[82:83], v[84:85], v[86:87]
	v_div_fixup_f64 v[82:83], v[82:83], v[80:81], v[78:79]
	v_fma_f64 v[78:79], v[78:79], v[82:83], v[80:81]
	v_div_scale_f64 v[80:81], null, v[78:79], v[78:79], 1.0
	v_rcp_f64_e32 v[84:85], v[80:81]
	v_fma_f64 v[86:87], -v[80:81], v[84:85], 1.0
	v_fma_f64 v[84:85], v[84:85], v[86:87], v[84:85]
	v_fma_f64 v[86:87], -v[80:81], v[84:85], 1.0
	v_fma_f64 v[84:85], v[84:85], v[86:87], v[84:85]
	v_div_scale_f64 v[86:87], vcc_lo, 1.0, v[78:79], 1.0
	v_mul_f64 v[88:89], v[86:87], v[84:85]
	v_fma_f64 v[80:81], -v[80:81], v[88:89], v[86:87]
	v_div_fmas_f64 v[80:81], v[80:81], v[84:85], v[88:89]
	v_div_fixup_f64 v[84:85], v[80:81], v[78:79], 1.0
                                        ; implicit-def: $vgpr78_vgpr79
	v_mul_f64 v[82:83], v[82:83], v[84:85]
	v_xor_b32_e32 v85, 0x80000000, v85
.LBB33_23:
	s_andn2_saveexec_b32 s1, s1
	s_cbranch_execz .LBB33_25
; %bb.24:
	v_div_scale_f64 v[82:83], null, v[78:79], v[78:79], v[80:81]
	v_div_scale_f64 v[88:89], vcc_lo, v[80:81], v[78:79], v[80:81]
	v_rcp_f64_e32 v[84:85], v[82:83]
	v_fma_f64 v[86:87], -v[82:83], v[84:85], 1.0
	v_fma_f64 v[84:85], v[84:85], v[86:87], v[84:85]
	v_fma_f64 v[86:87], -v[82:83], v[84:85], 1.0
	v_fma_f64 v[84:85], v[84:85], v[86:87], v[84:85]
	v_mul_f64 v[86:87], v[88:89], v[84:85]
	v_fma_f64 v[82:83], -v[82:83], v[86:87], v[88:89]
	v_div_fmas_f64 v[82:83], v[82:83], v[84:85], v[86:87]
	v_div_fixup_f64 v[84:85], v[82:83], v[78:79], v[80:81]
	v_fma_f64 v[78:79], v[80:81], v[84:85], v[78:79]
	v_div_scale_f64 v[80:81], null, v[78:79], v[78:79], 1.0
	v_rcp_f64_e32 v[82:83], v[80:81]
	v_fma_f64 v[86:87], -v[80:81], v[82:83], 1.0
	v_fma_f64 v[82:83], v[82:83], v[86:87], v[82:83]
	v_fma_f64 v[86:87], -v[80:81], v[82:83], 1.0
	v_fma_f64 v[82:83], v[82:83], v[86:87], v[82:83]
	v_div_scale_f64 v[86:87], vcc_lo, 1.0, v[78:79], 1.0
	v_mul_f64 v[88:89], v[86:87], v[82:83]
	v_fma_f64 v[80:81], -v[80:81], v[88:89], v[86:87]
	v_div_fmas_f64 v[80:81], v[80:81], v[82:83], v[88:89]
	v_div_fixup_f64 v[82:83], v[80:81], v[78:79], 1.0
	v_mul_f64 v[84:85], v[84:85], -v[82:83]
.LBB33_25:
	s_or_b32 exec_lo, exec_lo, s1
	ds_write2_b64 v1, v[82:83], v[84:85] offset1:1
.LBB33_26:
	s_or_b32 exec_lo, exec_lo, s2
	s_waitcnt lgkmcnt(0)
	s_barrier
	buffer_gl0_inv
	ds_read2_b64 v[78:81], v1 offset1:1
	s_mov_b32 s1, exec_lo
	v_cmpx_lt_u32_e32 2, v0
	s_cbranch_execz .LBB33_28
; %bb.27:
	s_waitcnt lgkmcnt(0)
	v_mul_f64 v[82:83], v[78:79], v[8:9]
	v_mul_f64 v[8:9], v[80:81], v[8:9]
	v_fma_f64 v[175:176], v[80:81], v[6:7], v[82:83]
	ds_read2_b64 v[82:85], v174 offset0:6 offset1:7
	ds_read2_b64 v[86:89], v174 offset0:8 offset1:9
	;; [unrolled: 1-line block ×14, first 2 shown]
	v_fma_f64 v[6:7], v[78:79], v[6:7], -v[8:9]
	s_waitcnt lgkmcnt(13)
	v_mul_f64 v[8:9], v[84:85], v[175:176]
	v_mul_f64 v[177:178], v[82:83], v[175:176]
	s_waitcnt lgkmcnt(12)
	v_mul_f64 v[179:180], v[88:89], v[175:176]
	v_mul_f64 v[181:182], v[86:87], v[175:176]
	;; [unrolled: 3-line block ×14, first 2 shown]
	v_fma_f64 v[8:9], v[82:83], v[6:7], -v[8:9]
	v_fma_f64 v[82:83], v[84:85], v[6:7], v[177:178]
	v_fma_f64 v[84:85], v[86:87], v[6:7], -v[179:180]
	v_fma_f64 v[86:87], v[88:89], v[6:7], v[181:182]
	;; [unrolled: 2-line block ×14, first 2 shown]
	v_add_f64 v[2:3], v[2:3], -v[8:9]
	v_add_f64 v[4:5], v[4:5], -v[82:83]
	;; [unrolled: 1-line block ×28, first 2 shown]
	v_mov_b32_e32 v8, v175
	v_mov_b32_e32 v9, v176
.LBB33_28:
	s_or_b32 exec_lo, exec_lo, s1
	s_mov_b32 s2, exec_lo
	s_waitcnt lgkmcnt(0)
	s_barrier
	buffer_gl0_inv
	v_cmpx_eq_u32_e32 3, v0
	s_cbranch_execz .LBB33_35
; %bb.29:
	ds_write2_b64 v1, v[2:3], v[4:5] offset1:1
	ds_write2_b64 v174, v[66:67], v[68:69] offset0:8 offset1:9
	ds_write2_b64 v174, v[62:63], v[64:65] offset0:10 offset1:11
	;; [unrolled: 1-line block ×13, first 2 shown]
	ds_read2_b64 v[82:85], v1 offset1:1
	s_waitcnt lgkmcnt(0)
	v_cmp_neq_f64_e32 vcc_lo, 0, v[82:83]
	v_cmp_neq_f64_e64 s1, 0, v[84:85]
	s_or_b32 s1, vcc_lo, s1
	s_and_b32 exec_lo, exec_lo, s1
	s_cbranch_execz .LBB33_35
; %bb.30:
	v_cmp_ngt_f64_e64 s1, |v[82:83]|, |v[84:85]|
                                        ; implicit-def: $vgpr86_vgpr87
	s_and_saveexec_b32 s3, s1
	s_xor_b32 s1, exec_lo, s3
                                        ; implicit-def: $vgpr88_vgpr89
	s_cbranch_execz .LBB33_32
; %bb.31:
	v_div_scale_f64 v[86:87], null, v[84:85], v[84:85], v[82:83]
	v_div_scale_f64 v[92:93], vcc_lo, v[82:83], v[84:85], v[82:83]
	v_rcp_f64_e32 v[88:89], v[86:87]
	v_fma_f64 v[90:91], -v[86:87], v[88:89], 1.0
	v_fma_f64 v[88:89], v[88:89], v[90:91], v[88:89]
	v_fma_f64 v[90:91], -v[86:87], v[88:89], 1.0
	v_fma_f64 v[88:89], v[88:89], v[90:91], v[88:89]
	v_mul_f64 v[90:91], v[92:93], v[88:89]
	v_fma_f64 v[86:87], -v[86:87], v[90:91], v[92:93]
	v_div_fmas_f64 v[86:87], v[86:87], v[88:89], v[90:91]
	v_div_fixup_f64 v[86:87], v[86:87], v[84:85], v[82:83]
	v_fma_f64 v[82:83], v[82:83], v[86:87], v[84:85]
	v_div_scale_f64 v[84:85], null, v[82:83], v[82:83], 1.0
	v_rcp_f64_e32 v[88:89], v[84:85]
	v_fma_f64 v[90:91], -v[84:85], v[88:89], 1.0
	v_fma_f64 v[88:89], v[88:89], v[90:91], v[88:89]
	v_fma_f64 v[90:91], -v[84:85], v[88:89], 1.0
	v_fma_f64 v[88:89], v[88:89], v[90:91], v[88:89]
	v_div_scale_f64 v[90:91], vcc_lo, 1.0, v[82:83], 1.0
	v_mul_f64 v[92:93], v[90:91], v[88:89]
	v_fma_f64 v[84:85], -v[84:85], v[92:93], v[90:91]
	v_div_fmas_f64 v[84:85], v[84:85], v[88:89], v[92:93]
	v_div_fixup_f64 v[88:89], v[84:85], v[82:83], 1.0
                                        ; implicit-def: $vgpr82_vgpr83
	v_mul_f64 v[86:87], v[86:87], v[88:89]
	v_xor_b32_e32 v89, 0x80000000, v89
.LBB33_32:
	s_andn2_saveexec_b32 s1, s1
	s_cbranch_execz .LBB33_34
; %bb.33:
	v_div_scale_f64 v[86:87], null, v[82:83], v[82:83], v[84:85]
	v_div_scale_f64 v[92:93], vcc_lo, v[84:85], v[82:83], v[84:85]
	v_rcp_f64_e32 v[88:89], v[86:87]
	v_fma_f64 v[90:91], -v[86:87], v[88:89], 1.0
	v_fma_f64 v[88:89], v[88:89], v[90:91], v[88:89]
	v_fma_f64 v[90:91], -v[86:87], v[88:89], 1.0
	v_fma_f64 v[88:89], v[88:89], v[90:91], v[88:89]
	v_mul_f64 v[90:91], v[92:93], v[88:89]
	v_fma_f64 v[86:87], -v[86:87], v[90:91], v[92:93]
	v_div_fmas_f64 v[86:87], v[86:87], v[88:89], v[90:91]
	v_div_fixup_f64 v[88:89], v[86:87], v[82:83], v[84:85]
	v_fma_f64 v[82:83], v[84:85], v[88:89], v[82:83]
	v_div_scale_f64 v[84:85], null, v[82:83], v[82:83], 1.0
	v_rcp_f64_e32 v[86:87], v[84:85]
	v_fma_f64 v[90:91], -v[84:85], v[86:87], 1.0
	v_fma_f64 v[86:87], v[86:87], v[90:91], v[86:87]
	v_fma_f64 v[90:91], -v[84:85], v[86:87], 1.0
	v_fma_f64 v[86:87], v[86:87], v[90:91], v[86:87]
	v_div_scale_f64 v[90:91], vcc_lo, 1.0, v[82:83], 1.0
	v_mul_f64 v[92:93], v[90:91], v[86:87]
	v_fma_f64 v[84:85], -v[84:85], v[92:93], v[90:91]
	v_div_fmas_f64 v[84:85], v[84:85], v[86:87], v[92:93]
	v_div_fixup_f64 v[86:87], v[84:85], v[82:83], 1.0
	v_mul_f64 v[88:89], v[88:89], -v[86:87]
.LBB33_34:
	s_or_b32 exec_lo, exec_lo, s1
	ds_write2_b64 v1, v[86:87], v[88:89] offset1:1
.LBB33_35:
	s_or_b32 exec_lo, exec_lo, s2
	s_waitcnt lgkmcnt(0)
	s_barrier
	buffer_gl0_inv
	ds_read2_b64 v[82:85], v1 offset1:1
	s_mov_b32 s1, exec_lo
	v_cmpx_lt_u32_e32 3, v0
	s_cbranch_execz .LBB33_37
; %bb.36:
	s_waitcnt lgkmcnt(0)
	v_mul_f64 v[86:87], v[82:83], v[4:5]
	v_mul_f64 v[4:5], v[84:85], v[4:5]
	v_fma_f64 v[175:176], v[84:85], v[2:3], v[86:87]
	ds_read2_b64 v[86:89], v174 offset0:8 offset1:9
	ds_read2_b64 v[90:93], v174 offset0:10 offset1:11
	;; [unrolled: 1-line block ×13, first 2 shown]
	v_fma_f64 v[2:3], v[82:83], v[2:3], -v[4:5]
	s_waitcnt lgkmcnt(12)
	v_mul_f64 v[4:5], v[88:89], v[175:176]
	v_mul_f64 v[177:178], v[86:87], v[175:176]
	s_waitcnt lgkmcnt(11)
	v_mul_f64 v[179:180], v[92:93], v[175:176]
	v_mul_f64 v[181:182], v[90:91], v[175:176]
	;; [unrolled: 3-line block ×13, first 2 shown]
	v_fma_f64 v[4:5], v[86:87], v[2:3], -v[4:5]
	v_fma_f64 v[86:87], v[88:89], v[2:3], v[177:178]
	v_fma_f64 v[88:89], v[90:91], v[2:3], -v[179:180]
	v_fma_f64 v[90:91], v[92:93], v[2:3], v[181:182]
	;; [unrolled: 2-line block ×13, first 2 shown]
	v_add_f64 v[66:67], v[66:67], -v[4:5]
	v_add_f64 v[68:69], v[68:69], -v[86:87]
	;; [unrolled: 1-line block ×26, first 2 shown]
	v_mov_b32_e32 v4, v175
	v_mov_b32_e32 v5, v176
.LBB33_37:
	s_or_b32 exec_lo, exec_lo, s1
	s_mov_b32 s2, exec_lo
	s_waitcnt lgkmcnt(0)
	s_barrier
	buffer_gl0_inv
	v_cmpx_eq_u32_e32 4, v0
	s_cbranch_execz .LBB33_44
; %bb.38:
	ds_write2_b64 v1, v[66:67], v[68:69] offset1:1
	ds_write2_b64 v174, v[62:63], v[64:65] offset0:10 offset1:11
	ds_write2_b64 v174, v[58:59], v[60:61] offset0:12 offset1:13
	;; [unrolled: 1-line block ×12, first 2 shown]
	ds_read2_b64 v[86:89], v1 offset1:1
	s_waitcnt lgkmcnt(0)
	v_cmp_neq_f64_e32 vcc_lo, 0, v[86:87]
	v_cmp_neq_f64_e64 s1, 0, v[88:89]
	s_or_b32 s1, vcc_lo, s1
	s_and_b32 exec_lo, exec_lo, s1
	s_cbranch_execz .LBB33_44
; %bb.39:
	v_cmp_ngt_f64_e64 s1, |v[86:87]|, |v[88:89]|
                                        ; implicit-def: $vgpr90_vgpr91
	s_and_saveexec_b32 s3, s1
	s_xor_b32 s1, exec_lo, s3
                                        ; implicit-def: $vgpr92_vgpr93
	s_cbranch_execz .LBB33_41
; %bb.40:
	v_div_scale_f64 v[90:91], null, v[88:89], v[88:89], v[86:87]
	v_div_scale_f64 v[96:97], vcc_lo, v[86:87], v[88:89], v[86:87]
	v_rcp_f64_e32 v[92:93], v[90:91]
	v_fma_f64 v[94:95], -v[90:91], v[92:93], 1.0
	v_fma_f64 v[92:93], v[92:93], v[94:95], v[92:93]
	v_fma_f64 v[94:95], -v[90:91], v[92:93], 1.0
	v_fma_f64 v[92:93], v[92:93], v[94:95], v[92:93]
	v_mul_f64 v[94:95], v[96:97], v[92:93]
	v_fma_f64 v[90:91], -v[90:91], v[94:95], v[96:97]
	v_div_fmas_f64 v[90:91], v[90:91], v[92:93], v[94:95]
	v_div_fixup_f64 v[90:91], v[90:91], v[88:89], v[86:87]
	v_fma_f64 v[86:87], v[86:87], v[90:91], v[88:89]
	v_div_scale_f64 v[88:89], null, v[86:87], v[86:87], 1.0
	v_rcp_f64_e32 v[92:93], v[88:89]
	v_fma_f64 v[94:95], -v[88:89], v[92:93], 1.0
	v_fma_f64 v[92:93], v[92:93], v[94:95], v[92:93]
	v_fma_f64 v[94:95], -v[88:89], v[92:93], 1.0
	v_fma_f64 v[92:93], v[92:93], v[94:95], v[92:93]
	v_div_scale_f64 v[94:95], vcc_lo, 1.0, v[86:87], 1.0
	v_mul_f64 v[96:97], v[94:95], v[92:93]
	v_fma_f64 v[88:89], -v[88:89], v[96:97], v[94:95]
	v_div_fmas_f64 v[88:89], v[88:89], v[92:93], v[96:97]
	v_div_fixup_f64 v[92:93], v[88:89], v[86:87], 1.0
                                        ; implicit-def: $vgpr86_vgpr87
	v_mul_f64 v[90:91], v[90:91], v[92:93]
	v_xor_b32_e32 v93, 0x80000000, v93
.LBB33_41:
	s_andn2_saveexec_b32 s1, s1
	s_cbranch_execz .LBB33_43
; %bb.42:
	v_div_scale_f64 v[90:91], null, v[86:87], v[86:87], v[88:89]
	v_div_scale_f64 v[96:97], vcc_lo, v[88:89], v[86:87], v[88:89]
	v_rcp_f64_e32 v[92:93], v[90:91]
	v_fma_f64 v[94:95], -v[90:91], v[92:93], 1.0
	v_fma_f64 v[92:93], v[92:93], v[94:95], v[92:93]
	v_fma_f64 v[94:95], -v[90:91], v[92:93], 1.0
	v_fma_f64 v[92:93], v[92:93], v[94:95], v[92:93]
	v_mul_f64 v[94:95], v[96:97], v[92:93]
	v_fma_f64 v[90:91], -v[90:91], v[94:95], v[96:97]
	v_div_fmas_f64 v[90:91], v[90:91], v[92:93], v[94:95]
	v_div_fixup_f64 v[92:93], v[90:91], v[86:87], v[88:89]
	v_fma_f64 v[86:87], v[88:89], v[92:93], v[86:87]
	v_div_scale_f64 v[88:89], null, v[86:87], v[86:87], 1.0
	v_rcp_f64_e32 v[90:91], v[88:89]
	v_fma_f64 v[94:95], -v[88:89], v[90:91], 1.0
	v_fma_f64 v[90:91], v[90:91], v[94:95], v[90:91]
	v_fma_f64 v[94:95], -v[88:89], v[90:91], 1.0
	v_fma_f64 v[90:91], v[90:91], v[94:95], v[90:91]
	v_div_scale_f64 v[94:95], vcc_lo, 1.0, v[86:87], 1.0
	v_mul_f64 v[96:97], v[94:95], v[90:91]
	v_fma_f64 v[88:89], -v[88:89], v[96:97], v[94:95]
	v_div_fmas_f64 v[88:89], v[88:89], v[90:91], v[96:97]
	v_div_fixup_f64 v[90:91], v[88:89], v[86:87], 1.0
	v_mul_f64 v[92:93], v[92:93], -v[90:91]
.LBB33_43:
	s_or_b32 exec_lo, exec_lo, s1
	ds_write2_b64 v1, v[90:91], v[92:93] offset1:1
.LBB33_44:
	s_or_b32 exec_lo, exec_lo, s2
	s_waitcnt lgkmcnt(0)
	s_barrier
	buffer_gl0_inv
	ds_read2_b64 v[86:89], v1 offset1:1
	s_mov_b32 s1, exec_lo
	v_cmpx_lt_u32_e32 4, v0
	s_cbranch_execz .LBB33_46
; %bb.45:
	s_waitcnt lgkmcnt(0)
	v_mul_f64 v[90:91], v[86:87], v[68:69]
	v_mul_f64 v[68:69], v[88:89], v[68:69]
	v_fma_f64 v[175:176], v[88:89], v[66:67], v[90:91]
	ds_read2_b64 v[90:93], v174 offset0:10 offset1:11
	ds_read2_b64 v[94:97], v174 offset0:12 offset1:13
	;; [unrolled: 1-line block ×12, first 2 shown]
	v_fma_f64 v[66:67], v[86:87], v[66:67], -v[68:69]
	s_waitcnt lgkmcnt(11)
	v_mul_f64 v[68:69], v[92:93], v[175:176]
	v_mul_f64 v[177:178], v[90:91], v[175:176]
	s_waitcnt lgkmcnt(10)
	v_mul_f64 v[179:180], v[96:97], v[175:176]
	v_mul_f64 v[181:182], v[94:95], v[175:176]
	;; [unrolled: 3-line block ×12, first 2 shown]
	v_fma_f64 v[68:69], v[90:91], v[66:67], -v[68:69]
	v_fma_f64 v[90:91], v[92:93], v[66:67], v[177:178]
	v_fma_f64 v[92:93], v[94:95], v[66:67], -v[179:180]
	v_fma_f64 v[94:95], v[96:97], v[66:67], v[181:182]
	;; [unrolled: 2-line block ×12, first 2 shown]
	v_add_f64 v[62:63], v[62:63], -v[68:69]
	v_add_f64 v[64:65], v[64:65], -v[90:91]
	;; [unrolled: 1-line block ×24, first 2 shown]
	v_mov_b32_e32 v68, v175
	v_mov_b32_e32 v69, v176
.LBB33_46:
	s_or_b32 exec_lo, exec_lo, s1
	s_mov_b32 s2, exec_lo
	s_waitcnt lgkmcnt(0)
	s_barrier
	buffer_gl0_inv
	v_cmpx_eq_u32_e32 5, v0
	s_cbranch_execz .LBB33_53
; %bb.47:
	ds_write2_b64 v1, v[62:63], v[64:65] offset1:1
	ds_write2_b64 v174, v[58:59], v[60:61] offset0:12 offset1:13
	ds_write2_b64 v174, v[54:55], v[56:57] offset0:14 offset1:15
	;; [unrolled: 1-line block ×11, first 2 shown]
	ds_read2_b64 v[90:93], v1 offset1:1
	s_waitcnt lgkmcnt(0)
	v_cmp_neq_f64_e32 vcc_lo, 0, v[90:91]
	v_cmp_neq_f64_e64 s1, 0, v[92:93]
	s_or_b32 s1, vcc_lo, s1
	s_and_b32 exec_lo, exec_lo, s1
	s_cbranch_execz .LBB33_53
; %bb.48:
	v_cmp_ngt_f64_e64 s1, |v[90:91]|, |v[92:93]|
                                        ; implicit-def: $vgpr94_vgpr95
	s_and_saveexec_b32 s3, s1
	s_xor_b32 s1, exec_lo, s3
                                        ; implicit-def: $vgpr96_vgpr97
	s_cbranch_execz .LBB33_50
; %bb.49:
	v_div_scale_f64 v[94:95], null, v[92:93], v[92:93], v[90:91]
	v_div_scale_f64 v[100:101], vcc_lo, v[90:91], v[92:93], v[90:91]
	v_rcp_f64_e32 v[96:97], v[94:95]
	v_fma_f64 v[98:99], -v[94:95], v[96:97], 1.0
	v_fma_f64 v[96:97], v[96:97], v[98:99], v[96:97]
	v_fma_f64 v[98:99], -v[94:95], v[96:97], 1.0
	v_fma_f64 v[96:97], v[96:97], v[98:99], v[96:97]
	v_mul_f64 v[98:99], v[100:101], v[96:97]
	v_fma_f64 v[94:95], -v[94:95], v[98:99], v[100:101]
	v_div_fmas_f64 v[94:95], v[94:95], v[96:97], v[98:99]
	v_div_fixup_f64 v[94:95], v[94:95], v[92:93], v[90:91]
	v_fma_f64 v[90:91], v[90:91], v[94:95], v[92:93]
	v_div_scale_f64 v[92:93], null, v[90:91], v[90:91], 1.0
	v_rcp_f64_e32 v[96:97], v[92:93]
	v_fma_f64 v[98:99], -v[92:93], v[96:97], 1.0
	v_fma_f64 v[96:97], v[96:97], v[98:99], v[96:97]
	v_fma_f64 v[98:99], -v[92:93], v[96:97], 1.0
	v_fma_f64 v[96:97], v[96:97], v[98:99], v[96:97]
	v_div_scale_f64 v[98:99], vcc_lo, 1.0, v[90:91], 1.0
	v_mul_f64 v[100:101], v[98:99], v[96:97]
	v_fma_f64 v[92:93], -v[92:93], v[100:101], v[98:99]
	v_div_fmas_f64 v[92:93], v[92:93], v[96:97], v[100:101]
	v_div_fixup_f64 v[96:97], v[92:93], v[90:91], 1.0
                                        ; implicit-def: $vgpr90_vgpr91
	v_mul_f64 v[94:95], v[94:95], v[96:97]
	v_xor_b32_e32 v97, 0x80000000, v97
.LBB33_50:
	s_andn2_saveexec_b32 s1, s1
	s_cbranch_execz .LBB33_52
; %bb.51:
	v_div_scale_f64 v[94:95], null, v[90:91], v[90:91], v[92:93]
	v_div_scale_f64 v[100:101], vcc_lo, v[92:93], v[90:91], v[92:93]
	v_rcp_f64_e32 v[96:97], v[94:95]
	v_fma_f64 v[98:99], -v[94:95], v[96:97], 1.0
	v_fma_f64 v[96:97], v[96:97], v[98:99], v[96:97]
	v_fma_f64 v[98:99], -v[94:95], v[96:97], 1.0
	v_fma_f64 v[96:97], v[96:97], v[98:99], v[96:97]
	v_mul_f64 v[98:99], v[100:101], v[96:97]
	v_fma_f64 v[94:95], -v[94:95], v[98:99], v[100:101]
	v_div_fmas_f64 v[94:95], v[94:95], v[96:97], v[98:99]
	v_div_fixup_f64 v[96:97], v[94:95], v[90:91], v[92:93]
	v_fma_f64 v[90:91], v[92:93], v[96:97], v[90:91]
	v_div_scale_f64 v[92:93], null, v[90:91], v[90:91], 1.0
	v_rcp_f64_e32 v[94:95], v[92:93]
	v_fma_f64 v[98:99], -v[92:93], v[94:95], 1.0
	v_fma_f64 v[94:95], v[94:95], v[98:99], v[94:95]
	v_fma_f64 v[98:99], -v[92:93], v[94:95], 1.0
	v_fma_f64 v[94:95], v[94:95], v[98:99], v[94:95]
	v_div_scale_f64 v[98:99], vcc_lo, 1.0, v[90:91], 1.0
	v_mul_f64 v[100:101], v[98:99], v[94:95]
	v_fma_f64 v[92:93], -v[92:93], v[100:101], v[98:99]
	v_div_fmas_f64 v[92:93], v[92:93], v[94:95], v[100:101]
	v_div_fixup_f64 v[94:95], v[92:93], v[90:91], 1.0
	v_mul_f64 v[96:97], v[96:97], -v[94:95]
.LBB33_52:
	s_or_b32 exec_lo, exec_lo, s1
	ds_write2_b64 v1, v[94:95], v[96:97] offset1:1
.LBB33_53:
	s_or_b32 exec_lo, exec_lo, s2
	s_waitcnt lgkmcnt(0)
	s_barrier
	buffer_gl0_inv
	ds_read2_b64 v[90:93], v1 offset1:1
	s_mov_b32 s1, exec_lo
	v_cmpx_lt_u32_e32 5, v0
	s_cbranch_execz .LBB33_55
; %bb.54:
	s_waitcnt lgkmcnt(0)
	v_mul_f64 v[94:95], v[90:91], v[64:65]
	v_mul_f64 v[64:65], v[92:93], v[64:65]
	v_fma_f64 v[175:176], v[92:93], v[62:63], v[94:95]
	ds_read2_b64 v[94:97], v174 offset0:12 offset1:13
	ds_read2_b64 v[98:101], v174 offset0:14 offset1:15
	;; [unrolled: 1-line block ×11, first 2 shown]
	v_fma_f64 v[62:63], v[90:91], v[62:63], -v[64:65]
	s_waitcnt lgkmcnt(10)
	v_mul_f64 v[64:65], v[96:97], v[175:176]
	v_mul_f64 v[177:178], v[94:95], v[175:176]
	s_waitcnt lgkmcnt(9)
	v_mul_f64 v[179:180], v[100:101], v[175:176]
	v_mul_f64 v[181:182], v[98:99], v[175:176]
	s_waitcnt lgkmcnt(8)
	v_mul_f64 v[183:184], v[104:105], v[175:176]
	v_mul_f64 v[185:186], v[102:103], v[175:176]
	s_waitcnt lgkmcnt(7)
	v_mul_f64 v[187:188], v[108:109], v[175:176]
	v_mul_f64 v[189:190], v[106:107], v[175:176]
	s_waitcnt lgkmcnt(6)
	v_mul_f64 v[191:192], v[112:113], v[175:176]
	v_mul_f64 v[193:194], v[110:111], v[175:176]
	s_waitcnt lgkmcnt(5)
	v_mul_f64 v[195:196], v[116:117], v[175:176]
	v_mul_f64 v[197:198], v[114:115], v[175:176]
	s_waitcnt lgkmcnt(4)
	v_mul_f64 v[199:200], v[120:121], v[175:176]
	v_mul_f64 v[201:202], v[118:119], v[175:176]
	s_waitcnt lgkmcnt(3)
	v_mul_f64 v[203:204], v[124:125], v[175:176]
	v_mul_f64 v[205:206], v[122:123], v[175:176]
	s_waitcnt lgkmcnt(2)
	v_mul_f64 v[207:208], v[128:129], v[175:176]
	v_mul_f64 v[209:210], v[126:127], v[175:176]
	s_waitcnt lgkmcnt(1)
	v_mul_f64 v[211:212], v[132:133], v[175:176]
	v_mul_f64 v[213:214], v[130:131], v[175:176]
	s_waitcnt lgkmcnt(0)
	v_mul_f64 v[215:216], v[136:137], v[175:176]
	v_mul_f64 v[217:218], v[134:135], v[175:176]
	v_fma_f64 v[64:65], v[94:95], v[62:63], -v[64:65]
	v_fma_f64 v[94:95], v[96:97], v[62:63], v[177:178]
	v_fma_f64 v[96:97], v[98:99], v[62:63], -v[179:180]
	v_fma_f64 v[98:99], v[100:101], v[62:63], v[181:182]
	;; [unrolled: 2-line block ×11, first 2 shown]
	v_add_f64 v[58:59], v[58:59], -v[64:65]
	v_add_f64 v[60:61], v[60:61], -v[94:95]
	;; [unrolled: 1-line block ×22, first 2 shown]
	v_mov_b32_e32 v64, v175
	v_mov_b32_e32 v65, v176
.LBB33_55:
	s_or_b32 exec_lo, exec_lo, s1
	s_mov_b32 s2, exec_lo
	s_waitcnt lgkmcnt(0)
	s_barrier
	buffer_gl0_inv
	v_cmpx_eq_u32_e32 6, v0
	s_cbranch_execz .LBB33_62
; %bb.56:
	ds_write2_b64 v1, v[58:59], v[60:61] offset1:1
	ds_write2_b64 v174, v[54:55], v[56:57] offset0:14 offset1:15
	ds_write2_b64 v174, v[50:51], v[52:53] offset0:16 offset1:17
	;; [unrolled: 1-line block ×10, first 2 shown]
	ds_read2_b64 v[94:97], v1 offset1:1
	s_waitcnt lgkmcnt(0)
	v_cmp_neq_f64_e32 vcc_lo, 0, v[94:95]
	v_cmp_neq_f64_e64 s1, 0, v[96:97]
	s_or_b32 s1, vcc_lo, s1
	s_and_b32 exec_lo, exec_lo, s1
	s_cbranch_execz .LBB33_62
; %bb.57:
	v_cmp_ngt_f64_e64 s1, |v[94:95]|, |v[96:97]|
                                        ; implicit-def: $vgpr98_vgpr99
	s_and_saveexec_b32 s3, s1
	s_xor_b32 s1, exec_lo, s3
                                        ; implicit-def: $vgpr100_vgpr101
	s_cbranch_execz .LBB33_59
; %bb.58:
	v_div_scale_f64 v[98:99], null, v[96:97], v[96:97], v[94:95]
	v_div_scale_f64 v[104:105], vcc_lo, v[94:95], v[96:97], v[94:95]
	v_rcp_f64_e32 v[100:101], v[98:99]
	v_fma_f64 v[102:103], -v[98:99], v[100:101], 1.0
	v_fma_f64 v[100:101], v[100:101], v[102:103], v[100:101]
	v_fma_f64 v[102:103], -v[98:99], v[100:101], 1.0
	v_fma_f64 v[100:101], v[100:101], v[102:103], v[100:101]
	v_mul_f64 v[102:103], v[104:105], v[100:101]
	v_fma_f64 v[98:99], -v[98:99], v[102:103], v[104:105]
	v_div_fmas_f64 v[98:99], v[98:99], v[100:101], v[102:103]
	v_div_fixup_f64 v[98:99], v[98:99], v[96:97], v[94:95]
	v_fma_f64 v[94:95], v[94:95], v[98:99], v[96:97]
	v_div_scale_f64 v[96:97], null, v[94:95], v[94:95], 1.0
	v_rcp_f64_e32 v[100:101], v[96:97]
	v_fma_f64 v[102:103], -v[96:97], v[100:101], 1.0
	v_fma_f64 v[100:101], v[100:101], v[102:103], v[100:101]
	v_fma_f64 v[102:103], -v[96:97], v[100:101], 1.0
	v_fma_f64 v[100:101], v[100:101], v[102:103], v[100:101]
	v_div_scale_f64 v[102:103], vcc_lo, 1.0, v[94:95], 1.0
	v_mul_f64 v[104:105], v[102:103], v[100:101]
	v_fma_f64 v[96:97], -v[96:97], v[104:105], v[102:103]
	v_div_fmas_f64 v[96:97], v[96:97], v[100:101], v[104:105]
	v_div_fixup_f64 v[100:101], v[96:97], v[94:95], 1.0
                                        ; implicit-def: $vgpr94_vgpr95
	v_mul_f64 v[98:99], v[98:99], v[100:101]
	v_xor_b32_e32 v101, 0x80000000, v101
.LBB33_59:
	s_andn2_saveexec_b32 s1, s1
	s_cbranch_execz .LBB33_61
; %bb.60:
	v_div_scale_f64 v[98:99], null, v[94:95], v[94:95], v[96:97]
	v_div_scale_f64 v[104:105], vcc_lo, v[96:97], v[94:95], v[96:97]
	v_rcp_f64_e32 v[100:101], v[98:99]
	v_fma_f64 v[102:103], -v[98:99], v[100:101], 1.0
	v_fma_f64 v[100:101], v[100:101], v[102:103], v[100:101]
	v_fma_f64 v[102:103], -v[98:99], v[100:101], 1.0
	v_fma_f64 v[100:101], v[100:101], v[102:103], v[100:101]
	v_mul_f64 v[102:103], v[104:105], v[100:101]
	v_fma_f64 v[98:99], -v[98:99], v[102:103], v[104:105]
	v_div_fmas_f64 v[98:99], v[98:99], v[100:101], v[102:103]
	v_div_fixup_f64 v[100:101], v[98:99], v[94:95], v[96:97]
	v_fma_f64 v[94:95], v[96:97], v[100:101], v[94:95]
	v_div_scale_f64 v[96:97], null, v[94:95], v[94:95], 1.0
	v_rcp_f64_e32 v[98:99], v[96:97]
	v_fma_f64 v[102:103], -v[96:97], v[98:99], 1.0
	v_fma_f64 v[98:99], v[98:99], v[102:103], v[98:99]
	v_fma_f64 v[102:103], -v[96:97], v[98:99], 1.0
	v_fma_f64 v[98:99], v[98:99], v[102:103], v[98:99]
	v_div_scale_f64 v[102:103], vcc_lo, 1.0, v[94:95], 1.0
	v_mul_f64 v[104:105], v[102:103], v[98:99]
	v_fma_f64 v[96:97], -v[96:97], v[104:105], v[102:103]
	v_div_fmas_f64 v[96:97], v[96:97], v[98:99], v[104:105]
	v_div_fixup_f64 v[98:99], v[96:97], v[94:95], 1.0
	v_mul_f64 v[100:101], v[100:101], -v[98:99]
.LBB33_61:
	s_or_b32 exec_lo, exec_lo, s1
	ds_write2_b64 v1, v[98:99], v[100:101] offset1:1
.LBB33_62:
	s_or_b32 exec_lo, exec_lo, s2
	s_waitcnt lgkmcnt(0)
	s_barrier
	buffer_gl0_inv
	ds_read2_b64 v[94:97], v1 offset1:1
	s_mov_b32 s1, exec_lo
	v_cmpx_lt_u32_e32 6, v0
	s_cbranch_execz .LBB33_64
; %bb.63:
	s_waitcnt lgkmcnt(0)
	v_mul_f64 v[98:99], v[94:95], v[60:61]
	v_mul_f64 v[60:61], v[96:97], v[60:61]
	v_fma_f64 v[175:176], v[96:97], v[58:59], v[98:99]
	ds_read2_b64 v[98:101], v174 offset0:14 offset1:15
	ds_read2_b64 v[102:105], v174 offset0:16 offset1:17
	;; [unrolled: 1-line block ×10, first 2 shown]
	v_fma_f64 v[58:59], v[94:95], v[58:59], -v[60:61]
	s_waitcnt lgkmcnt(9)
	v_mul_f64 v[60:61], v[100:101], v[175:176]
	v_mul_f64 v[177:178], v[98:99], v[175:176]
	s_waitcnt lgkmcnt(8)
	v_mul_f64 v[179:180], v[104:105], v[175:176]
	v_mul_f64 v[181:182], v[102:103], v[175:176]
	s_waitcnt lgkmcnt(7)
	v_mul_f64 v[183:184], v[108:109], v[175:176]
	v_mul_f64 v[185:186], v[106:107], v[175:176]
	s_waitcnt lgkmcnt(6)
	v_mul_f64 v[187:188], v[112:113], v[175:176]
	v_mul_f64 v[189:190], v[110:111], v[175:176]
	s_waitcnt lgkmcnt(5)
	v_mul_f64 v[191:192], v[116:117], v[175:176]
	v_mul_f64 v[193:194], v[114:115], v[175:176]
	s_waitcnt lgkmcnt(4)
	v_mul_f64 v[195:196], v[120:121], v[175:176]
	v_mul_f64 v[197:198], v[118:119], v[175:176]
	s_waitcnt lgkmcnt(3)
	v_mul_f64 v[199:200], v[124:125], v[175:176]
	v_mul_f64 v[201:202], v[122:123], v[175:176]
	s_waitcnt lgkmcnt(2)
	v_mul_f64 v[203:204], v[128:129], v[175:176]
	v_mul_f64 v[205:206], v[126:127], v[175:176]
	s_waitcnt lgkmcnt(1)
	v_mul_f64 v[207:208], v[132:133], v[175:176]
	v_mul_f64 v[209:210], v[130:131], v[175:176]
	s_waitcnt lgkmcnt(0)
	v_mul_f64 v[211:212], v[136:137], v[175:176]
	v_mul_f64 v[213:214], v[134:135], v[175:176]
	v_fma_f64 v[60:61], v[98:99], v[58:59], -v[60:61]
	v_fma_f64 v[98:99], v[100:101], v[58:59], v[177:178]
	v_fma_f64 v[100:101], v[102:103], v[58:59], -v[179:180]
	v_fma_f64 v[102:103], v[104:105], v[58:59], v[181:182]
	;; [unrolled: 2-line block ×10, first 2 shown]
	v_add_f64 v[54:55], v[54:55], -v[60:61]
	v_add_f64 v[56:57], v[56:57], -v[98:99]
	;; [unrolled: 1-line block ×20, first 2 shown]
	v_mov_b32_e32 v60, v175
	v_mov_b32_e32 v61, v176
.LBB33_64:
	s_or_b32 exec_lo, exec_lo, s1
	s_mov_b32 s2, exec_lo
	s_waitcnt lgkmcnt(0)
	s_barrier
	buffer_gl0_inv
	v_cmpx_eq_u32_e32 7, v0
	s_cbranch_execz .LBB33_71
; %bb.65:
	ds_write2_b64 v1, v[54:55], v[56:57] offset1:1
	ds_write2_b64 v174, v[50:51], v[52:53] offset0:16 offset1:17
	ds_write2_b64 v174, v[46:47], v[48:49] offset0:18 offset1:19
	;; [unrolled: 1-line block ×9, first 2 shown]
	ds_read2_b64 v[98:101], v1 offset1:1
	s_waitcnt lgkmcnt(0)
	v_cmp_neq_f64_e32 vcc_lo, 0, v[98:99]
	v_cmp_neq_f64_e64 s1, 0, v[100:101]
	s_or_b32 s1, vcc_lo, s1
	s_and_b32 exec_lo, exec_lo, s1
	s_cbranch_execz .LBB33_71
; %bb.66:
	v_cmp_ngt_f64_e64 s1, |v[98:99]|, |v[100:101]|
                                        ; implicit-def: $vgpr102_vgpr103
	s_and_saveexec_b32 s3, s1
	s_xor_b32 s1, exec_lo, s3
                                        ; implicit-def: $vgpr104_vgpr105
	s_cbranch_execz .LBB33_68
; %bb.67:
	v_div_scale_f64 v[102:103], null, v[100:101], v[100:101], v[98:99]
	v_div_scale_f64 v[108:109], vcc_lo, v[98:99], v[100:101], v[98:99]
	v_rcp_f64_e32 v[104:105], v[102:103]
	v_fma_f64 v[106:107], -v[102:103], v[104:105], 1.0
	v_fma_f64 v[104:105], v[104:105], v[106:107], v[104:105]
	v_fma_f64 v[106:107], -v[102:103], v[104:105], 1.0
	v_fma_f64 v[104:105], v[104:105], v[106:107], v[104:105]
	v_mul_f64 v[106:107], v[108:109], v[104:105]
	v_fma_f64 v[102:103], -v[102:103], v[106:107], v[108:109]
	v_div_fmas_f64 v[102:103], v[102:103], v[104:105], v[106:107]
	v_div_fixup_f64 v[102:103], v[102:103], v[100:101], v[98:99]
	v_fma_f64 v[98:99], v[98:99], v[102:103], v[100:101]
	v_div_scale_f64 v[100:101], null, v[98:99], v[98:99], 1.0
	v_rcp_f64_e32 v[104:105], v[100:101]
	v_fma_f64 v[106:107], -v[100:101], v[104:105], 1.0
	v_fma_f64 v[104:105], v[104:105], v[106:107], v[104:105]
	v_fma_f64 v[106:107], -v[100:101], v[104:105], 1.0
	v_fma_f64 v[104:105], v[104:105], v[106:107], v[104:105]
	v_div_scale_f64 v[106:107], vcc_lo, 1.0, v[98:99], 1.0
	v_mul_f64 v[108:109], v[106:107], v[104:105]
	v_fma_f64 v[100:101], -v[100:101], v[108:109], v[106:107]
	v_div_fmas_f64 v[100:101], v[100:101], v[104:105], v[108:109]
	v_div_fixup_f64 v[104:105], v[100:101], v[98:99], 1.0
                                        ; implicit-def: $vgpr98_vgpr99
	v_mul_f64 v[102:103], v[102:103], v[104:105]
	v_xor_b32_e32 v105, 0x80000000, v105
.LBB33_68:
	s_andn2_saveexec_b32 s1, s1
	s_cbranch_execz .LBB33_70
; %bb.69:
	v_div_scale_f64 v[102:103], null, v[98:99], v[98:99], v[100:101]
	v_div_scale_f64 v[108:109], vcc_lo, v[100:101], v[98:99], v[100:101]
	v_rcp_f64_e32 v[104:105], v[102:103]
	v_fma_f64 v[106:107], -v[102:103], v[104:105], 1.0
	v_fma_f64 v[104:105], v[104:105], v[106:107], v[104:105]
	v_fma_f64 v[106:107], -v[102:103], v[104:105], 1.0
	v_fma_f64 v[104:105], v[104:105], v[106:107], v[104:105]
	v_mul_f64 v[106:107], v[108:109], v[104:105]
	v_fma_f64 v[102:103], -v[102:103], v[106:107], v[108:109]
	v_div_fmas_f64 v[102:103], v[102:103], v[104:105], v[106:107]
	v_div_fixup_f64 v[104:105], v[102:103], v[98:99], v[100:101]
	v_fma_f64 v[98:99], v[100:101], v[104:105], v[98:99]
	v_div_scale_f64 v[100:101], null, v[98:99], v[98:99], 1.0
	v_rcp_f64_e32 v[102:103], v[100:101]
	v_fma_f64 v[106:107], -v[100:101], v[102:103], 1.0
	v_fma_f64 v[102:103], v[102:103], v[106:107], v[102:103]
	v_fma_f64 v[106:107], -v[100:101], v[102:103], 1.0
	v_fma_f64 v[102:103], v[102:103], v[106:107], v[102:103]
	v_div_scale_f64 v[106:107], vcc_lo, 1.0, v[98:99], 1.0
	v_mul_f64 v[108:109], v[106:107], v[102:103]
	v_fma_f64 v[100:101], -v[100:101], v[108:109], v[106:107]
	v_div_fmas_f64 v[100:101], v[100:101], v[102:103], v[108:109]
	v_div_fixup_f64 v[102:103], v[100:101], v[98:99], 1.0
	v_mul_f64 v[104:105], v[104:105], -v[102:103]
.LBB33_70:
	s_or_b32 exec_lo, exec_lo, s1
	ds_write2_b64 v1, v[102:103], v[104:105] offset1:1
.LBB33_71:
	s_or_b32 exec_lo, exec_lo, s2
	s_waitcnt lgkmcnt(0)
	s_barrier
	buffer_gl0_inv
	ds_read2_b64 v[98:101], v1 offset1:1
	s_mov_b32 s1, exec_lo
	v_cmpx_lt_u32_e32 7, v0
	s_cbranch_execz .LBB33_73
; %bb.72:
	s_waitcnt lgkmcnt(0)
	v_mul_f64 v[102:103], v[98:99], v[56:57]
	v_mul_f64 v[56:57], v[100:101], v[56:57]
	v_fma_f64 v[175:176], v[100:101], v[54:55], v[102:103]
	ds_read2_b64 v[102:105], v174 offset0:16 offset1:17
	ds_read2_b64 v[106:109], v174 offset0:18 offset1:19
	;; [unrolled: 1-line block ×9, first 2 shown]
	v_fma_f64 v[54:55], v[98:99], v[54:55], -v[56:57]
	s_waitcnt lgkmcnt(8)
	v_mul_f64 v[56:57], v[104:105], v[175:176]
	v_mul_f64 v[177:178], v[102:103], v[175:176]
	s_waitcnt lgkmcnt(7)
	v_mul_f64 v[179:180], v[108:109], v[175:176]
	v_mul_f64 v[181:182], v[106:107], v[175:176]
	s_waitcnt lgkmcnt(6)
	v_mul_f64 v[183:184], v[112:113], v[175:176]
	v_mul_f64 v[185:186], v[110:111], v[175:176]
	s_waitcnt lgkmcnt(5)
	v_mul_f64 v[187:188], v[116:117], v[175:176]
	v_mul_f64 v[189:190], v[114:115], v[175:176]
	s_waitcnt lgkmcnt(4)
	v_mul_f64 v[191:192], v[120:121], v[175:176]
	v_mul_f64 v[193:194], v[118:119], v[175:176]
	s_waitcnt lgkmcnt(3)
	v_mul_f64 v[195:196], v[124:125], v[175:176]
	v_mul_f64 v[197:198], v[122:123], v[175:176]
	s_waitcnt lgkmcnt(2)
	v_mul_f64 v[199:200], v[128:129], v[175:176]
	v_mul_f64 v[201:202], v[126:127], v[175:176]
	s_waitcnt lgkmcnt(1)
	v_mul_f64 v[203:204], v[132:133], v[175:176]
	v_mul_f64 v[205:206], v[130:131], v[175:176]
	s_waitcnt lgkmcnt(0)
	v_mul_f64 v[207:208], v[136:137], v[175:176]
	v_mul_f64 v[209:210], v[134:135], v[175:176]
	v_fma_f64 v[56:57], v[102:103], v[54:55], -v[56:57]
	v_fma_f64 v[102:103], v[104:105], v[54:55], v[177:178]
	v_fma_f64 v[104:105], v[106:107], v[54:55], -v[179:180]
	v_fma_f64 v[106:107], v[108:109], v[54:55], v[181:182]
	;; [unrolled: 2-line block ×9, first 2 shown]
	v_add_f64 v[50:51], v[50:51], -v[56:57]
	v_add_f64 v[52:53], v[52:53], -v[102:103]
	;; [unrolled: 1-line block ×18, first 2 shown]
	v_mov_b32_e32 v56, v175
	v_mov_b32_e32 v57, v176
.LBB33_73:
	s_or_b32 exec_lo, exec_lo, s1
	s_mov_b32 s2, exec_lo
	s_waitcnt lgkmcnt(0)
	s_barrier
	buffer_gl0_inv
	v_cmpx_eq_u32_e32 8, v0
	s_cbranch_execz .LBB33_80
; %bb.74:
	ds_write2_b64 v1, v[50:51], v[52:53] offset1:1
	ds_write2_b64 v174, v[46:47], v[48:49] offset0:18 offset1:19
	ds_write2_b64 v174, v[42:43], v[44:45] offset0:20 offset1:21
	;; [unrolled: 1-line block ×8, first 2 shown]
	ds_read2_b64 v[102:105], v1 offset1:1
	s_waitcnt lgkmcnt(0)
	v_cmp_neq_f64_e32 vcc_lo, 0, v[102:103]
	v_cmp_neq_f64_e64 s1, 0, v[104:105]
	s_or_b32 s1, vcc_lo, s1
	s_and_b32 exec_lo, exec_lo, s1
	s_cbranch_execz .LBB33_80
; %bb.75:
	v_cmp_ngt_f64_e64 s1, |v[102:103]|, |v[104:105]|
                                        ; implicit-def: $vgpr106_vgpr107
	s_and_saveexec_b32 s3, s1
	s_xor_b32 s1, exec_lo, s3
                                        ; implicit-def: $vgpr108_vgpr109
	s_cbranch_execz .LBB33_77
; %bb.76:
	v_div_scale_f64 v[106:107], null, v[104:105], v[104:105], v[102:103]
	v_div_scale_f64 v[112:113], vcc_lo, v[102:103], v[104:105], v[102:103]
	v_rcp_f64_e32 v[108:109], v[106:107]
	v_fma_f64 v[110:111], -v[106:107], v[108:109], 1.0
	v_fma_f64 v[108:109], v[108:109], v[110:111], v[108:109]
	v_fma_f64 v[110:111], -v[106:107], v[108:109], 1.0
	v_fma_f64 v[108:109], v[108:109], v[110:111], v[108:109]
	v_mul_f64 v[110:111], v[112:113], v[108:109]
	v_fma_f64 v[106:107], -v[106:107], v[110:111], v[112:113]
	v_div_fmas_f64 v[106:107], v[106:107], v[108:109], v[110:111]
	v_div_fixup_f64 v[106:107], v[106:107], v[104:105], v[102:103]
	v_fma_f64 v[102:103], v[102:103], v[106:107], v[104:105]
	v_div_scale_f64 v[104:105], null, v[102:103], v[102:103], 1.0
	v_rcp_f64_e32 v[108:109], v[104:105]
	v_fma_f64 v[110:111], -v[104:105], v[108:109], 1.0
	v_fma_f64 v[108:109], v[108:109], v[110:111], v[108:109]
	v_fma_f64 v[110:111], -v[104:105], v[108:109], 1.0
	v_fma_f64 v[108:109], v[108:109], v[110:111], v[108:109]
	v_div_scale_f64 v[110:111], vcc_lo, 1.0, v[102:103], 1.0
	v_mul_f64 v[112:113], v[110:111], v[108:109]
	v_fma_f64 v[104:105], -v[104:105], v[112:113], v[110:111]
	v_div_fmas_f64 v[104:105], v[104:105], v[108:109], v[112:113]
	v_div_fixup_f64 v[108:109], v[104:105], v[102:103], 1.0
                                        ; implicit-def: $vgpr102_vgpr103
	v_mul_f64 v[106:107], v[106:107], v[108:109]
	v_xor_b32_e32 v109, 0x80000000, v109
.LBB33_77:
	s_andn2_saveexec_b32 s1, s1
	s_cbranch_execz .LBB33_79
; %bb.78:
	v_div_scale_f64 v[106:107], null, v[102:103], v[102:103], v[104:105]
	v_div_scale_f64 v[112:113], vcc_lo, v[104:105], v[102:103], v[104:105]
	v_rcp_f64_e32 v[108:109], v[106:107]
	v_fma_f64 v[110:111], -v[106:107], v[108:109], 1.0
	v_fma_f64 v[108:109], v[108:109], v[110:111], v[108:109]
	v_fma_f64 v[110:111], -v[106:107], v[108:109], 1.0
	v_fma_f64 v[108:109], v[108:109], v[110:111], v[108:109]
	v_mul_f64 v[110:111], v[112:113], v[108:109]
	v_fma_f64 v[106:107], -v[106:107], v[110:111], v[112:113]
	v_div_fmas_f64 v[106:107], v[106:107], v[108:109], v[110:111]
	v_div_fixup_f64 v[108:109], v[106:107], v[102:103], v[104:105]
	v_fma_f64 v[102:103], v[104:105], v[108:109], v[102:103]
	v_div_scale_f64 v[104:105], null, v[102:103], v[102:103], 1.0
	v_rcp_f64_e32 v[106:107], v[104:105]
	v_fma_f64 v[110:111], -v[104:105], v[106:107], 1.0
	v_fma_f64 v[106:107], v[106:107], v[110:111], v[106:107]
	v_fma_f64 v[110:111], -v[104:105], v[106:107], 1.0
	v_fma_f64 v[106:107], v[106:107], v[110:111], v[106:107]
	v_div_scale_f64 v[110:111], vcc_lo, 1.0, v[102:103], 1.0
	v_mul_f64 v[112:113], v[110:111], v[106:107]
	v_fma_f64 v[104:105], -v[104:105], v[112:113], v[110:111]
	v_div_fmas_f64 v[104:105], v[104:105], v[106:107], v[112:113]
	v_div_fixup_f64 v[106:107], v[104:105], v[102:103], 1.0
	v_mul_f64 v[108:109], v[108:109], -v[106:107]
.LBB33_79:
	s_or_b32 exec_lo, exec_lo, s1
	ds_write2_b64 v1, v[106:107], v[108:109] offset1:1
.LBB33_80:
	s_or_b32 exec_lo, exec_lo, s2
	s_waitcnt lgkmcnt(0)
	s_barrier
	buffer_gl0_inv
	ds_read2_b64 v[102:105], v1 offset1:1
	s_mov_b32 s1, exec_lo
	v_cmpx_lt_u32_e32 8, v0
	s_cbranch_execz .LBB33_82
; %bb.81:
	s_waitcnt lgkmcnt(0)
	v_mul_f64 v[106:107], v[102:103], v[52:53]
	v_mul_f64 v[52:53], v[104:105], v[52:53]
	v_fma_f64 v[175:176], v[104:105], v[50:51], v[106:107]
	ds_read2_b64 v[106:109], v174 offset0:18 offset1:19
	ds_read2_b64 v[110:113], v174 offset0:20 offset1:21
	;; [unrolled: 1-line block ×8, first 2 shown]
	v_fma_f64 v[50:51], v[102:103], v[50:51], -v[52:53]
	s_waitcnt lgkmcnt(7)
	v_mul_f64 v[52:53], v[108:109], v[175:176]
	v_mul_f64 v[177:178], v[106:107], v[175:176]
	s_waitcnt lgkmcnt(6)
	v_mul_f64 v[179:180], v[112:113], v[175:176]
	v_mul_f64 v[181:182], v[110:111], v[175:176]
	;; [unrolled: 3-line block ×8, first 2 shown]
	v_fma_f64 v[52:53], v[106:107], v[50:51], -v[52:53]
	v_fma_f64 v[106:107], v[108:109], v[50:51], v[177:178]
	v_fma_f64 v[108:109], v[110:111], v[50:51], -v[179:180]
	v_fma_f64 v[110:111], v[112:113], v[50:51], v[181:182]
	;; [unrolled: 2-line block ×8, first 2 shown]
	v_add_f64 v[46:47], v[46:47], -v[52:53]
	v_add_f64 v[48:49], v[48:49], -v[106:107]
	;; [unrolled: 1-line block ×16, first 2 shown]
	v_mov_b32_e32 v52, v175
	v_mov_b32_e32 v53, v176
.LBB33_82:
	s_or_b32 exec_lo, exec_lo, s1
	s_mov_b32 s2, exec_lo
	s_waitcnt lgkmcnt(0)
	s_barrier
	buffer_gl0_inv
	v_cmpx_eq_u32_e32 9, v0
	s_cbranch_execz .LBB33_89
; %bb.83:
	ds_write2_b64 v1, v[46:47], v[48:49] offset1:1
	ds_write2_b64 v174, v[42:43], v[44:45] offset0:20 offset1:21
	ds_write2_b64 v174, v[38:39], v[40:41] offset0:22 offset1:23
	;; [unrolled: 1-line block ×7, first 2 shown]
	ds_read2_b64 v[106:109], v1 offset1:1
	s_waitcnt lgkmcnt(0)
	v_cmp_neq_f64_e32 vcc_lo, 0, v[106:107]
	v_cmp_neq_f64_e64 s1, 0, v[108:109]
	s_or_b32 s1, vcc_lo, s1
	s_and_b32 exec_lo, exec_lo, s1
	s_cbranch_execz .LBB33_89
; %bb.84:
	v_cmp_ngt_f64_e64 s1, |v[106:107]|, |v[108:109]|
                                        ; implicit-def: $vgpr110_vgpr111
	s_and_saveexec_b32 s3, s1
	s_xor_b32 s1, exec_lo, s3
                                        ; implicit-def: $vgpr112_vgpr113
	s_cbranch_execz .LBB33_86
; %bb.85:
	v_div_scale_f64 v[110:111], null, v[108:109], v[108:109], v[106:107]
	v_div_scale_f64 v[116:117], vcc_lo, v[106:107], v[108:109], v[106:107]
	v_rcp_f64_e32 v[112:113], v[110:111]
	v_fma_f64 v[114:115], -v[110:111], v[112:113], 1.0
	v_fma_f64 v[112:113], v[112:113], v[114:115], v[112:113]
	v_fma_f64 v[114:115], -v[110:111], v[112:113], 1.0
	v_fma_f64 v[112:113], v[112:113], v[114:115], v[112:113]
	v_mul_f64 v[114:115], v[116:117], v[112:113]
	v_fma_f64 v[110:111], -v[110:111], v[114:115], v[116:117]
	v_div_fmas_f64 v[110:111], v[110:111], v[112:113], v[114:115]
	v_div_fixup_f64 v[110:111], v[110:111], v[108:109], v[106:107]
	v_fma_f64 v[106:107], v[106:107], v[110:111], v[108:109]
	v_div_scale_f64 v[108:109], null, v[106:107], v[106:107], 1.0
	v_rcp_f64_e32 v[112:113], v[108:109]
	v_fma_f64 v[114:115], -v[108:109], v[112:113], 1.0
	v_fma_f64 v[112:113], v[112:113], v[114:115], v[112:113]
	v_fma_f64 v[114:115], -v[108:109], v[112:113], 1.0
	v_fma_f64 v[112:113], v[112:113], v[114:115], v[112:113]
	v_div_scale_f64 v[114:115], vcc_lo, 1.0, v[106:107], 1.0
	v_mul_f64 v[116:117], v[114:115], v[112:113]
	v_fma_f64 v[108:109], -v[108:109], v[116:117], v[114:115]
	v_div_fmas_f64 v[108:109], v[108:109], v[112:113], v[116:117]
	v_div_fixup_f64 v[112:113], v[108:109], v[106:107], 1.0
                                        ; implicit-def: $vgpr106_vgpr107
	v_mul_f64 v[110:111], v[110:111], v[112:113]
	v_xor_b32_e32 v113, 0x80000000, v113
.LBB33_86:
	s_andn2_saveexec_b32 s1, s1
	s_cbranch_execz .LBB33_88
; %bb.87:
	v_div_scale_f64 v[110:111], null, v[106:107], v[106:107], v[108:109]
	v_div_scale_f64 v[116:117], vcc_lo, v[108:109], v[106:107], v[108:109]
	v_rcp_f64_e32 v[112:113], v[110:111]
	v_fma_f64 v[114:115], -v[110:111], v[112:113], 1.0
	v_fma_f64 v[112:113], v[112:113], v[114:115], v[112:113]
	v_fma_f64 v[114:115], -v[110:111], v[112:113], 1.0
	v_fma_f64 v[112:113], v[112:113], v[114:115], v[112:113]
	v_mul_f64 v[114:115], v[116:117], v[112:113]
	v_fma_f64 v[110:111], -v[110:111], v[114:115], v[116:117]
	v_div_fmas_f64 v[110:111], v[110:111], v[112:113], v[114:115]
	v_div_fixup_f64 v[112:113], v[110:111], v[106:107], v[108:109]
	v_fma_f64 v[106:107], v[108:109], v[112:113], v[106:107]
	v_div_scale_f64 v[108:109], null, v[106:107], v[106:107], 1.0
	v_rcp_f64_e32 v[110:111], v[108:109]
	v_fma_f64 v[114:115], -v[108:109], v[110:111], 1.0
	v_fma_f64 v[110:111], v[110:111], v[114:115], v[110:111]
	v_fma_f64 v[114:115], -v[108:109], v[110:111], 1.0
	v_fma_f64 v[110:111], v[110:111], v[114:115], v[110:111]
	v_div_scale_f64 v[114:115], vcc_lo, 1.0, v[106:107], 1.0
	v_mul_f64 v[116:117], v[114:115], v[110:111]
	v_fma_f64 v[108:109], -v[108:109], v[116:117], v[114:115]
	v_div_fmas_f64 v[108:109], v[108:109], v[110:111], v[116:117]
	v_div_fixup_f64 v[110:111], v[108:109], v[106:107], 1.0
	v_mul_f64 v[112:113], v[112:113], -v[110:111]
.LBB33_88:
	s_or_b32 exec_lo, exec_lo, s1
	ds_write2_b64 v1, v[110:111], v[112:113] offset1:1
.LBB33_89:
	s_or_b32 exec_lo, exec_lo, s2
	s_waitcnt lgkmcnt(0)
	s_barrier
	buffer_gl0_inv
	ds_read2_b64 v[106:109], v1 offset1:1
	s_mov_b32 s1, exec_lo
	v_cmpx_lt_u32_e32 9, v0
	s_cbranch_execz .LBB33_91
; %bb.90:
	s_waitcnt lgkmcnt(0)
	v_mul_f64 v[110:111], v[106:107], v[48:49]
	v_mul_f64 v[48:49], v[108:109], v[48:49]
	v_fma_f64 v[175:176], v[108:109], v[46:47], v[110:111]
	ds_read2_b64 v[110:113], v174 offset0:20 offset1:21
	ds_read2_b64 v[114:117], v174 offset0:22 offset1:23
	;; [unrolled: 1-line block ×7, first 2 shown]
	v_fma_f64 v[46:47], v[106:107], v[46:47], -v[48:49]
	s_waitcnt lgkmcnt(6)
	v_mul_f64 v[48:49], v[112:113], v[175:176]
	v_mul_f64 v[177:178], v[110:111], v[175:176]
	s_waitcnt lgkmcnt(5)
	v_mul_f64 v[179:180], v[116:117], v[175:176]
	v_mul_f64 v[181:182], v[114:115], v[175:176]
	;; [unrolled: 3-line block ×7, first 2 shown]
	v_fma_f64 v[48:49], v[110:111], v[46:47], -v[48:49]
	v_fma_f64 v[110:111], v[112:113], v[46:47], v[177:178]
	v_fma_f64 v[112:113], v[114:115], v[46:47], -v[179:180]
	v_fma_f64 v[114:115], v[116:117], v[46:47], v[181:182]
	;; [unrolled: 2-line block ×7, first 2 shown]
	v_add_f64 v[42:43], v[42:43], -v[48:49]
	v_add_f64 v[44:45], v[44:45], -v[110:111]
	;; [unrolled: 1-line block ×14, first 2 shown]
	v_mov_b32_e32 v48, v175
	v_mov_b32_e32 v49, v176
.LBB33_91:
	s_or_b32 exec_lo, exec_lo, s1
	s_mov_b32 s2, exec_lo
	s_waitcnt lgkmcnt(0)
	s_barrier
	buffer_gl0_inv
	v_cmpx_eq_u32_e32 10, v0
	s_cbranch_execz .LBB33_98
; %bb.92:
	ds_write2_b64 v1, v[42:43], v[44:45] offset1:1
	ds_write2_b64 v174, v[38:39], v[40:41] offset0:22 offset1:23
	ds_write2_b64 v174, v[34:35], v[36:37] offset0:24 offset1:25
	;; [unrolled: 1-line block ×6, first 2 shown]
	ds_read2_b64 v[110:113], v1 offset1:1
	s_waitcnt lgkmcnt(0)
	v_cmp_neq_f64_e32 vcc_lo, 0, v[110:111]
	v_cmp_neq_f64_e64 s1, 0, v[112:113]
	s_or_b32 s1, vcc_lo, s1
	s_and_b32 exec_lo, exec_lo, s1
	s_cbranch_execz .LBB33_98
; %bb.93:
	v_cmp_ngt_f64_e64 s1, |v[110:111]|, |v[112:113]|
                                        ; implicit-def: $vgpr114_vgpr115
	s_and_saveexec_b32 s3, s1
	s_xor_b32 s1, exec_lo, s3
                                        ; implicit-def: $vgpr116_vgpr117
	s_cbranch_execz .LBB33_95
; %bb.94:
	v_div_scale_f64 v[114:115], null, v[112:113], v[112:113], v[110:111]
	v_div_scale_f64 v[120:121], vcc_lo, v[110:111], v[112:113], v[110:111]
	v_rcp_f64_e32 v[116:117], v[114:115]
	v_fma_f64 v[118:119], -v[114:115], v[116:117], 1.0
	v_fma_f64 v[116:117], v[116:117], v[118:119], v[116:117]
	v_fma_f64 v[118:119], -v[114:115], v[116:117], 1.0
	v_fma_f64 v[116:117], v[116:117], v[118:119], v[116:117]
	v_mul_f64 v[118:119], v[120:121], v[116:117]
	v_fma_f64 v[114:115], -v[114:115], v[118:119], v[120:121]
	v_div_fmas_f64 v[114:115], v[114:115], v[116:117], v[118:119]
	v_div_fixup_f64 v[114:115], v[114:115], v[112:113], v[110:111]
	v_fma_f64 v[110:111], v[110:111], v[114:115], v[112:113]
	v_div_scale_f64 v[112:113], null, v[110:111], v[110:111], 1.0
	v_rcp_f64_e32 v[116:117], v[112:113]
	v_fma_f64 v[118:119], -v[112:113], v[116:117], 1.0
	v_fma_f64 v[116:117], v[116:117], v[118:119], v[116:117]
	v_fma_f64 v[118:119], -v[112:113], v[116:117], 1.0
	v_fma_f64 v[116:117], v[116:117], v[118:119], v[116:117]
	v_div_scale_f64 v[118:119], vcc_lo, 1.0, v[110:111], 1.0
	v_mul_f64 v[120:121], v[118:119], v[116:117]
	v_fma_f64 v[112:113], -v[112:113], v[120:121], v[118:119]
	v_div_fmas_f64 v[112:113], v[112:113], v[116:117], v[120:121]
	v_div_fixup_f64 v[116:117], v[112:113], v[110:111], 1.0
                                        ; implicit-def: $vgpr110_vgpr111
	v_mul_f64 v[114:115], v[114:115], v[116:117]
	v_xor_b32_e32 v117, 0x80000000, v117
.LBB33_95:
	s_andn2_saveexec_b32 s1, s1
	s_cbranch_execz .LBB33_97
; %bb.96:
	v_div_scale_f64 v[114:115], null, v[110:111], v[110:111], v[112:113]
	v_div_scale_f64 v[120:121], vcc_lo, v[112:113], v[110:111], v[112:113]
	v_rcp_f64_e32 v[116:117], v[114:115]
	v_fma_f64 v[118:119], -v[114:115], v[116:117], 1.0
	v_fma_f64 v[116:117], v[116:117], v[118:119], v[116:117]
	v_fma_f64 v[118:119], -v[114:115], v[116:117], 1.0
	v_fma_f64 v[116:117], v[116:117], v[118:119], v[116:117]
	v_mul_f64 v[118:119], v[120:121], v[116:117]
	v_fma_f64 v[114:115], -v[114:115], v[118:119], v[120:121]
	v_div_fmas_f64 v[114:115], v[114:115], v[116:117], v[118:119]
	v_div_fixup_f64 v[116:117], v[114:115], v[110:111], v[112:113]
	v_fma_f64 v[110:111], v[112:113], v[116:117], v[110:111]
	v_div_scale_f64 v[112:113], null, v[110:111], v[110:111], 1.0
	v_rcp_f64_e32 v[114:115], v[112:113]
	v_fma_f64 v[118:119], -v[112:113], v[114:115], 1.0
	v_fma_f64 v[114:115], v[114:115], v[118:119], v[114:115]
	v_fma_f64 v[118:119], -v[112:113], v[114:115], 1.0
	v_fma_f64 v[114:115], v[114:115], v[118:119], v[114:115]
	v_div_scale_f64 v[118:119], vcc_lo, 1.0, v[110:111], 1.0
	v_mul_f64 v[120:121], v[118:119], v[114:115]
	v_fma_f64 v[112:113], -v[112:113], v[120:121], v[118:119]
	v_div_fmas_f64 v[112:113], v[112:113], v[114:115], v[120:121]
	v_div_fixup_f64 v[114:115], v[112:113], v[110:111], 1.0
	v_mul_f64 v[116:117], v[116:117], -v[114:115]
.LBB33_97:
	s_or_b32 exec_lo, exec_lo, s1
	ds_write2_b64 v1, v[114:115], v[116:117] offset1:1
.LBB33_98:
	s_or_b32 exec_lo, exec_lo, s2
	s_waitcnt lgkmcnt(0)
	s_barrier
	buffer_gl0_inv
	ds_read2_b64 v[110:113], v1 offset1:1
	s_mov_b32 s1, exec_lo
	v_cmpx_lt_u32_e32 10, v0
	s_cbranch_execz .LBB33_100
; %bb.99:
	s_waitcnt lgkmcnt(0)
	v_mul_f64 v[114:115], v[110:111], v[44:45]
	v_mul_f64 v[44:45], v[112:113], v[44:45]
	v_fma_f64 v[175:176], v[112:113], v[42:43], v[114:115]
	ds_read2_b64 v[114:117], v174 offset0:22 offset1:23
	ds_read2_b64 v[118:121], v174 offset0:24 offset1:25
	;; [unrolled: 1-line block ×6, first 2 shown]
	v_fma_f64 v[42:43], v[110:111], v[42:43], -v[44:45]
	s_waitcnt lgkmcnt(5)
	v_mul_f64 v[44:45], v[116:117], v[175:176]
	v_mul_f64 v[177:178], v[114:115], v[175:176]
	s_waitcnt lgkmcnt(4)
	v_mul_f64 v[179:180], v[120:121], v[175:176]
	v_mul_f64 v[181:182], v[118:119], v[175:176]
	s_waitcnt lgkmcnt(3)
	v_mul_f64 v[183:184], v[124:125], v[175:176]
	v_mul_f64 v[185:186], v[122:123], v[175:176]
	s_waitcnt lgkmcnt(2)
	v_mul_f64 v[187:188], v[128:129], v[175:176]
	v_mul_f64 v[189:190], v[126:127], v[175:176]
	s_waitcnt lgkmcnt(1)
	v_mul_f64 v[191:192], v[132:133], v[175:176]
	v_mul_f64 v[193:194], v[130:131], v[175:176]
	s_waitcnt lgkmcnt(0)
	v_mul_f64 v[195:196], v[136:137], v[175:176]
	v_mul_f64 v[197:198], v[134:135], v[175:176]
	v_fma_f64 v[44:45], v[114:115], v[42:43], -v[44:45]
	v_fma_f64 v[114:115], v[116:117], v[42:43], v[177:178]
	v_fma_f64 v[116:117], v[118:119], v[42:43], -v[179:180]
	v_fma_f64 v[118:119], v[120:121], v[42:43], v[181:182]
	;; [unrolled: 2-line block ×6, first 2 shown]
	v_add_f64 v[38:39], v[38:39], -v[44:45]
	v_add_f64 v[40:41], v[40:41], -v[114:115]
	;; [unrolled: 1-line block ×12, first 2 shown]
	v_mov_b32_e32 v44, v175
	v_mov_b32_e32 v45, v176
.LBB33_100:
	s_or_b32 exec_lo, exec_lo, s1
	s_mov_b32 s2, exec_lo
	s_waitcnt lgkmcnt(0)
	s_barrier
	buffer_gl0_inv
	v_cmpx_eq_u32_e32 11, v0
	s_cbranch_execz .LBB33_107
; %bb.101:
	ds_write2_b64 v1, v[38:39], v[40:41] offset1:1
	ds_write2_b64 v174, v[34:35], v[36:37] offset0:24 offset1:25
	ds_write2_b64 v174, v[30:31], v[32:33] offset0:26 offset1:27
	;; [unrolled: 1-line block ×5, first 2 shown]
	ds_read2_b64 v[114:117], v1 offset1:1
	s_waitcnt lgkmcnt(0)
	v_cmp_neq_f64_e32 vcc_lo, 0, v[114:115]
	v_cmp_neq_f64_e64 s1, 0, v[116:117]
	s_or_b32 s1, vcc_lo, s1
	s_and_b32 exec_lo, exec_lo, s1
	s_cbranch_execz .LBB33_107
; %bb.102:
	v_cmp_ngt_f64_e64 s1, |v[114:115]|, |v[116:117]|
                                        ; implicit-def: $vgpr118_vgpr119
	s_and_saveexec_b32 s3, s1
	s_xor_b32 s1, exec_lo, s3
                                        ; implicit-def: $vgpr120_vgpr121
	s_cbranch_execz .LBB33_104
; %bb.103:
	v_div_scale_f64 v[118:119], null, v[116:117], v[116:117], v[114:115]
	v_div_scale_f64 v[124:125], vcc_lo, v[114:115], v[116:117], v[114:115]
	v_rcp_f64_e32 v[120:121], v[118:119]
	v_fma_f64 v[122:123], -v[118:119], v[120:121], 1.0
	v_fma_f64 v[120:121], v[120:121], v[122:123], v[120:121]
	v_fma_f64 v[122:123], -v[118:119], v[120:121], 1.0
	v_fma_f64 v[120:121], v[120:121], v[122:123], v[120:121]
	v_mul_f64 v[122:123], v[124:125], v[120:121]
	v_fma_f64 v[118:119], -v[118:119], v[122:123], v[124:125]
	v_div_fmas_f64 v[118:119], v[118:119], v[120:121], v[122:123]
	v_div_fixup_f64 v[118:119], v[118:119], v[116:117], v[114:115]
	v_fma_f64 v[114:115], v[114:115], v[118:119], v[116:117]
	v_div_scale_f64 v[116:117], null, v[114:115], v[114:115], 1.0
	v_rcp_f64_e32 v[120:121], v[116:117]
	v_fma_f64 v[122:123], -v[116:117], v[120:121], 1.0
	v_fma_f64 v[120:121], v[120:121], v[122:123], v[120:121]
	v_fma_f64 v[122:123], -v[116:117], v[120:121], 1.0
	v_fma_f64 v[120:121], v[120:121], v[122:123], v[120:121]
	v_div_scale_f64 v[122:123], vcc_lo, 1.0, v[114:115], 1.0
	v_mul_f64 v[124:125], v[122:123], v[120:121]
	v_fma_f64 v[116:117], -v[116:117], v[124:125], v[122:123]
	v_div_fmas_f64 v[116:117], v[116:117], v[120:121], v[124:125]
	v_div_fixup_f64 v[120:121], v[116:117], v[114:115], 1.0
                                        ; implicit-def: $vgpr114_vgpr115
	v_mul_f64 v[118:119], v[118:119], v[120:121]
	v_xor_b32_e32 v121, 0x80000000, v121
.LBB33_104:
	s_andn2_saveexec_b32 s1, s1
	s_cbranch_execz .LBB33_106
; %bb.105:
	v_div_scale_f64 v[118:119], null, v[114:115], v[114:115], v[116:117]
	v_div_scale_f64 v[124:125], vcc_lo, v[116:117], v[114:115], v[116:117]
	v_rcp_f64_e32 v[120:121], v[118:119]
	v_fma_f64 v[122:123], -v[118:119], v[120:121], 1.0
	v_fma_f64 v[120:121], v[120:121], v[122:123], v[120:121]
	v_fma_f64 v[122:123], -v[118:119], v[120:121], 1.0
	v_fma_f64 v[120:121], v[120:121], v[122:123], v[120:121]
	v_mul_f64 v[122:123], v[124:125], v[120:121]
	v_fma_f64 v[118:119], -v[118:119], v[122:123], v[124:125]
	v_div_fmas_f64 v[118:119], v[118:119], v[120:121], v[122:123]
	v_div_fixup_f64 v[120:121], v[118:119], v[114:115], v[116:117]
	v_fma_f64 v[114:115], v[116:117], v[120:121], v[114:115]
	v_div_scale_f64 v[116:117], null, v[114:115], v[114:115], 1.0
	v_rcp_f64_e32 v[118:119], v[116:117]
	v_fma_f64 v[122:123], -v[116:117], v[118:119], 1.0
	v_fma_f64 v[118:119], v[118:119], v[122:123], v[118:119]
	v_fma_f64 v[122:123], -v[116:117], v[118:119], 1.0
	v_fma_f64 v[118:119], v[118:119], v[122:123], v[118:119]
	v_div_scale_f64 v[122:123], vcc_lo, 1.0, v[114:115], 1.0
	v_mul_f64 v[124:125], v[122:123], v[118:119]
	v_fma_f64 v[116:117], -v[116:117], v[124:125], v[122:123]
	v_div_fmas_f64 v[116:117], v[116:117], v[118:119], v[124:125]
	v_div_fixup_f64 v[118:119], v[116:117], v[114:115], 1.0
	v_mul_f64 v[120:121], v[120:121], -v[118:119]
.LBB33_106:
	s_or_b32 exec_lo, exec_lo, s1
	ds_write2_b64 v1, v[118:119], v[120:121] offset1:1
.LBB33_107:
	s_or_b32 exec_lo, exec_lo, s2
	s_waitcnt lgkmcnt(0)
	s_barrier
	buffer_gl0_inv
	ds_read2_b64 v[114:117], v1 offset1:1
	s_mov_b32 s1, exec_lo
	v_cmpx_lt_u32_e32 11, v0
	s_cbranch_execz .LBB33_109
; %bb.108:
	s_waitcnt lgkmcnt(0)
	v_mul_f64 v[118:119], v[114:115], v[40:41]
	v_mul_f64 v[40:41], v[116:117], v[40:41]
	v_fma_f64 v[175:176], v[116:117], v[38:39], v[118:119]
	ds_read2_b64 v[118:121], v174 offset0:24 offset1:25
	ds_read2_b64 v[122:125], v174 offset0:26 offset1:27
	;; [unrolled: 1-line block ×5, first 2 shown]
	v_fma_f64 v[38:39], v[114:115], v[38:39], -v[40:41]
	s_waitcnt lgkmcnt(4)
	v_mul_f64 v[40:41], v[120:121], v[175:176]
	v_mul_f64 v[177:178], v[118:119], v[175:176]
	s_waitcnt lgkmcnt(3)
	v_mul_f64 v[179:180], v[124:125], v[175:176]
	v_mul_f64 v[181:182], v[122:123], v[175:176]
	;; [unrolled: 3-line block ×5, first 2 shown]
	v_fma_f64 v[40:41], v[118:119], v[38:39], -v[40:41]
	v_fma_f64 v[118:119], v[120:121], v[38:39], v[177:178]
	v_fma_f64 v[120:121], v[122:123], v[38:39], -v[179:180]
	v_fma_f64 v[122:123], v[124:125], v[38:39], v[181:182]
	v_fma_f64 v[124:125], v[126:127], v[38:39], -v[183:184]
	v_fma_f64 v[126:127], v[128:129], v[38:39], v[185:186]
	v_fma_f64 v[128:129], v[130:131], v[38:39], -v[187:188]
	v_fma_f64 v[130:131], v[132:133], v[38:39], v[189:190]
	v_fma_f64 v[132:133], v[134:135], v[38:39], -v[191:192]
	v_fma_f64 v[134:135], v[136:137], v[38:39], v[193:194]
	v_add_f64 v[34:35], v[34:35], -v[40:41]
	v_add_f64 v[36:37], v[36:37], -v[118:119]
	;; [unrolled: 1-line block ×10, first 2 shown]
	v_mov_b32_e32 v40, v175
	v_mov_b32_e32 v41, v176
.LBB33_109:
	s_or_b32 exec_lo, exec_lo, s1
	s_mov_b32 s2, exec_lo
	s_waitcnt lgkmcnt(0)
	s_barrier
	buffer_gl0_inv
	v_cmpx_eq_u32_e32 12, v0
	s_cbranch_execz .LBB33_116
; %bb.110:
	ds_write2_b64 v1, v[34:35], v[36:37] offset1:1
	ds_write2_b64 v174, v[30:31], v[32:33] offset0:26 offset1:27
	ds_write2_b64 v174, v[26:27], v[28:29] offset0:28 offset1:29
	;; [unrolled: 1-line block ×4, first 2 shown]
	ds_read2_b64 v[118:121], v1 offset1:1
	s_waitcnt lgkmcnt(0)
	v_cmp_neq_f64_e32 vcc_lo, 0, v[118:119]
	v_cmp_neq_f64_e64 s1, 0, v[120:121]
	s_or_b32 s1, vcc_lo, s1
	s_and_b32 exec_lo, exec_lo, s1
	s_cbranch_execz .LBB33_116
; %bb.111:
	v_cmp_ngt_f64_e64 s1, |v[118:119]|, |v[120:121]|
                                        ; implicit-def: $vgpr122_vgpr123
	s_and_saveexec_b32 s3, s1
	s_xor_b32 s1, exec_lo, s3
                                        ; implicit-def: $vgpr124_vgpr125
	s_cbranch_execz .LBB33_113
; %bb.112:
	v_div_scale_f64 v[122:123], null, v[120:121], v[120:121], v[118:119]
	v_div_scale_f64 v[128:129], vcc_lo, v[118:119], v[120:121], v[118:119]
	v_rcp_f64_e32 v[124:125], v[122:123]
	v_fma_f64 v[126:127], -v[122:123], v[124:125], 1.0
	v_fma_f64 v[124:125], v[124:125], v[126:127], v[124:125]
	v_fma_f64 v[126:127], -v[122:123], v[124:125], 1.0
	v_fma_f64 v[124:125], v[124:125], v[126:127], v[124:125]
	v_mul_f64 v[126:127], v[128:129], v[124:125]
	v_fma_f64 v[122:123], -v[122:123], v[126:127], v[128:129]
	v_div_fmas_f64 v[122:123], v[122:123], v[124:125], v[126:127]
	v_div_fixup_f64 v[122:123], v[122:123], v[120:121], v[118:119]
	v_fma_f64 v[118:119], v[118:119], v[122:123], v[120:121]
	v_div_scale_f64 v[120:121], null, v[118:119], v[118:119], 1.0
	v_rcp_f64_e32 v[124:125], v[120:121]
	v_fma_f64 v[126:127], -v[120:121], v[124:125], 1.0
	v_fma_f64 v[124:125], v[124:125], v[126:127], v[124:125]
	v_fma_f64 v[126:127], -v[120:121], v[124:125], 1.0
	v_fma_f64 v[124:125], v[124:125], v[126:127], v[124:125]
	v_div_scale_f64 v[126:127], vcc_lo, 1.0, v[118:119], 1.0
	v_mul_f64 v[128:129], v[126:127], v[124:125]
	v_fma_f64 v[120:121], -v[120:121], v[128:129], v[126:127]
	v_div_fmas_f64 v[120:121], v[120:121], v[124:125], v[128:129]
	v_div_fixup_f64 v[124:125], v[120:121], v[118:119], 1.0
                                        ; implicit-def: $vgpr118_vgpr119
	v_mul_f64 v[122:123], v[122:123], v[124:125]
	v_xor_b32_e32 v125, 0x80000000, v125
.LBB33_113:
	s_andn2_saveexec_b32 s1, s1
	s_cbranch_execz .LBB33_115
; %bb.114:
	v_div_scale_f64 v[122:123], null, v[118:119], v[118:119], v[120:121]
	v_div_scale_f64 v[128:129], vcc_lo, v[120:121], v[118:119], v[120:121]
	v_rcp_f64_e32 v[124:125], v[122:123]
	v_fma_f64 v[126:127], -v[122:123], v[124:125], 1.0
	v_fma_f64 v[124:125], v[124:125], v[126:127], v[124:125]
	v_fma_f64 v[126:127], -v[122:123], v[124:125], 1.0
	v_fma_f64 v[124:125], v[124:125], v[126:127], v[124:125]
	v_mul_f64 v[126:127], v[128:129], v[124:125]
	v_fma_f64 v[122:123], -v[122:123], v[126:127], v[128:129]
	v_div_fmas_f64 v[122:123], v[122:123], v[124:125], v[126:127]
	v_div_fixup_f64 v[124:125], v[122:123], v[118:119], v[120:121]
	v_fma_f64 v[118:119], v[120:121], v[124:125], v[118:119]
	v_div_scale_f64 v[120:121], null, v[118:119], v[118:119], 1.0
	v_rcp_f64_e32 v[122:123], v[120:121]
	v_fma_f64 v[126:127], -v[120:121], v[122:123], 1.0
	v_fma_f64 v[122:123], v[122:123], v[126:127], v[122:123]
	v_fma_f64 v[126:127], -v[120:121], v[122:123], 1.0
	v_fma_f64 v[122:123], v[122:123], v[126:127], v[122:123]
	v_div_scale_f64 v[126:127], vcc_lo, 1.0, v[118:119], 1.0
	v_mul_f64 v[128:129], v[126:127], v[122:123]
	v_fma_f64 v[120:121], -v[120:121], v[128:129], v[126:127]
	v_div_fmas_f64 v[120:121], v[120:121], v[122:123], v[128:129]
	v_div_fixup_f64 v[122:123], v[120:121], v[118:119], 1.0
	v_mul_f64 v[124:125], v[124:125], -v[122:123]
.LBB33_115:
	s_or_b32 exec_lo, exec_lo, s1
	ds_write2_b64 v1, v[122:123], v[124:125] offset1:1
.LBB33_116:
	s_or_b32 exec_lo, exec_lo, s2
	s_waitcnt lgkmcnt(0)
	s_barrier
	buffer_gl0_inv
	ds_read2_b64 v[118:121], v1 offset1:1
	s_mov_b32 s1, exec_lo
	v_cmpx_lt_u32_e32 12, v0
	s_cbranch_execz .LBB33_118
; %bb.117:
	s_waitcnt lgkmcnt(0)
	v_mul_f64 v[122:123], v[118:119], v[36:37]
	v_mul_f64 v[36:37], v[120:121], v[36:37]
	v_fma_f64 v[175:176], v[120:121], v[34:35], v[122:123]
	ds_read2_b64 v[122:125], v174 offset0:26 offset1:27
	ds_read2_b64 v[126:129], v174 offset0:28 offset1:29
	;; [unrolled: 1-line block ×4, first 2 shown]
	v_fma_f64 v[34:35], v[118:119], v[34:35], -v[36:37]
	s_waitcnt lgkmcnt(3)
	v_mul_f64 v[36:37], v[124:125], v[175:176]
	v_mul_f64 v[177:178], v[122:123], v[175:176]
	s_waitcnt lgkmcnt(2)
	v_mul_f64 v[179:180], v[128:129], v[175:176]
	v_mul_f64 v[181:182], v[126:127], v[175:176]
	;; [unrolled: 3-line block ×4, first 2 shown]
	v_fma_f64 v[36:37], v[122:123], v[34:35], -v[36:37]
	v_fma_f64 v[122:123], v[124:125], v[34:35], v[177:178]
	v_fma_f64 v[124:125], v[126:127], v[34:35], -v[179:180]
	v_fma_f64 v[126:127], v[128:129], v[34:35], v[181:182]
	;; [unrolled: 2-line block ×4, first 2 shown]
	v_add_f64 v[30:31], v[30:31], -v[36:37]
	v_add_f64 v[32:33], v[32:33], -v[122:123]
	;; [unrolled: 1-line block ×8, first 2 shown]
	v_mov_b32_e32 v36, v175
	v_mov_b32_e32 v37, v176
.LBB33_118:
	s_or_b32 exec_lo, exec_lo, s1
	s_mov_b32 s2, exec_lo
	s_waitcnt lgkmcnt(0)
	s_barrier
	buffer_gl0_inv
	v_cmpx_eq_u32_e32 13, v0
	s_cbranch_execz .LBB33_125
; %bb.119:
	ds_write2_b64 v1, v[30:31], v[32:33] offset1:1
	ds_write2_b64 v174, v[26:27], v[28:29] offset0:28 offset1:29
	ds_write2_b64 v174, v[22:23], v[24:25] offset0:30 offset1:31
	;; [unrolled: 1-line block ×3, first 2 shown]
	ds_read2_b64 v[122:125], v1 offset1:1
	s_waitcnt lgkmcnt(0)
	v_cmp_neq_f64_e32 vcc_lo, 0, v[122:123]
	v_cmp_neq_f64_e64 s1, 0, v[124:125]
	s_or_b32 s1, vcc_lo, s1
	s_and_b32 exec_lo, exec_lo, s1
	s_cbranch_execz .LBB33_125
; %bb.120:
	v_cmp_ngt_f64_e64 s1, |v[122:123]|, |v[124:125]|
                                        ; implicit-def: $vgpr126_vgpr127
	s_and_saveexec_b32 s3, s1
	s_xor_b32 s1, exec_lo, s3
                                        ; implicit-def: $vgpr128_vgpr129
	s_cbranch_execz .LBB33_122
; %bb.121:
	v_div_scale_f64 v[126:127], null, v[124:125], v[124:125], v[122:123]
	v_div_scale_f64 v[132:133], vcc_lo, v[122:123], v[124:125], v[122:123]
	v_rcp_f64_e32 v[128:129], v[126:127]
	v_fma_f64 v[130:131], -v[126:127], v[128:129], 1.0
	v_fma_f64 v[128:129], v[128:129], v[130:131], v[128:129]
	v_fma_f64 v[130:131], -v[126:127], v[128:129], 1.0
	v_fma_f64 v[128:129], v[128:129], v[130:131], v[128:129]
	v_mul_f64 v[130:131], v[132:133], v[128:129]
	v_fma_f64 v[126:127], -v[126:127], v[130:131], v[132:133]
	v_div_fmas_f64 v[126:127], v[126:127], v[128:129], v[130:131]
	v_div_fixup_f64 v[126:127], v[126:127], v[124:125], v[122:123]
	v_fma_f64 v[122:123], v[122:123], v[126:127], v[124:125]
	v_div_scale_f64 v[124:125], null, v[122:123], v[122:123], 1.0
	v_rcp_f64_e32 v[128:129], v[124:125]
	v_fma_f64 v[130:131], -v[124:125], v[128:129], 1.0
	v_fma_f64 v[128:129], v[128:129], v[130:131], v[128:129]
	v_fma_f64 v[130:131], -v[124:125], v[128:129], 1.0
	v_fma_f64 v[128:129], v[128:129], v[130:131], v[128:129]
	v_div_scale_f64 v[130:131], vcc_lo, 1.0, v[122:123], 1.0
	v_mul_f64 v[132:133], v[130:131], v[128:129]
	v_fma_f64 v[124:125], -v[124:125], v[132:133], v[130:131]
	v_div_fmas_f64 v[124:125], v[124:125], v[128:129], v[132:133]
	v_div_fixup_f64 v[128:129], v[124:125], v[122:123], 1.0
                                        ; implicit-def: $vgpr122_vgpr123
	v_mul_f64 v[126:127], v[126:127], v[128:129]
	v_xor_b32_e32 v129, 0x80000000, v129
.LBB33_122:
	s_andn2_saveexec_b32 s1, s1
	s_cbranch_execz .LBB33_124
; %bb.123:
	v_div_scale_f64 v[126:127], null, v[122:123], v[122:123], v[124:125]
	v_div_scale_f64 v[132:133], vcc_lo, v[124:125], v[122:123], v[124:125]
	v_rcp_f64_e32 v[128:129], v[126:127]
	v_fma_f64 v[130:131], -v[126:127], v[128:129], 1.0
	v_fma_f64 v[128:129], v[128:129], v[130:131], v[128:129]
	v_fma_f64 v[130:131], -v[126:127], v[128:129], 1.0
	v_fma_f64 v[128:129], v[128:129], v[130:131], v[128:129]
	v_mul_f64 v[130:131], v[132:133], v[128:129]
	v_fma_f64 v[126:127], -v[126:127], v[130:131], v[132:133]
	v_div_fmas_f64 v[126:127], v[126:127], v[128:129], v[130:131]
	v_div_fixup_f64 v[128:129], v[126:127], v[122:123], v[124:125]
	v_fma_f64 v[122:123], v[124:125], v[128:129], v[122:123]
	v_div_scale_f64 v[124:125], null, v[122:123], v[122:123], 1.0
	v_rcp_f64_e32 v[126:127], v[124:125]
	v_fma_f64 v[130:131], -v[124:125], v[126:127], 1.0
	v_fma_f64 v[126:127], v[126:127], v[130:131], v[126:127]
	v_fma_f64 v[130:131], -v[124:125], v[126:127], 1.0
	v_fma_f64 v[126:127], v[126:127], v[130:131], v[126:127]
	v_div_scale_f64 v[130:131], vcc_lo, 1.0, v[122:123], 1.0
	v_mul_f64 v[132:133], v[130:131], v[126:127]
	v_fma_f64 v[124:125], -v[124:125], v[132:133], v[130:131]
	v_div_fmas_f64 v[124:125], v[124:125], v[126:127], v[132:133]
	v_div_fixup_f64 v[126:127], v[124:125], v[122:123], 1.0
	v_mul_f64 v[128:129], v[128:129], -v[126:127]
.LBB33_124:
	s_or_b32 exec_lo, exec_lo, s1
	ds_write2_b64 v1, v[126:127], v[128:129] offset1:1
.LBB33_125:
	s_or_b32 exec_lo, exec_lo, s2
	s_waitcnt lgkmcnt(0)
	s_barrier
	buffer_gl0_inv
	ds_read2_b64 v[122:125], v1 offset1:1
	s_mov_b32 s1, exec_lo
	v_cmpx_lt_u32_e32 13, v0
	s_cbranch_execz .LBB33_127
; %bb.126:
	s_waitcnt lgkmcnt(0)
	v_mul_f64 v[126:127], v[122:123], v[32:33]
	v_mul_f64 v[32:33], v[124:125], v[32:33]
	v_fma_f64 v[175:176], v[124:125], v[30:31], v[126:127]
	ds_read2_b64 v[126:129], v174 offset0:28 offset1:29
	ds_read2_b64 v[130:133], v174 offset0:30 offset1:31
	;; [unrolled: 1-line block ×3, first 2 shown]
	v_fma_f64 v[30:31], v[122:123], v[30:31], -v[32:33]
	s_waitcnt lgkmcnt(2)
	v_mul_f64 v[32:33], v[128:129], v[175:176]
	v_mul_f64 v[177:178], v[126:127], v[175:176]
	s_waitcnt lgkmcnt(1)
	v_mul_f64 v[179:180], v[132:133], v[175:176]
	v_mul_f64 v[181:182], v[130:131], v[175:176]
	;; [unrolled: 3-line block ×3, first 2 shown]
	v_fma_f64 v[32:33], v[126:127], v[30:31], -v[32:33]
	v_fma_f64 v[126:127], v[128:129], v[30:31], v[177:178]
	v_fma_f64 v[128:129], v[130:131], v[30:31], -v[179:180]
	v_fma_f64 v[130:131], v[132:133], v[30:31], v[181:182]
	v_fma_f64 v[132:133], v[134:135], v[30:31], -v[183:184]
	v_fma_f64 v[134:135], v[136:137], v[30:31], v[185:186]
	v_add_f64 v[26:27], v[26:27], -v[32:33]
	v_add_f64 v[28:29], v[28:29], -v[126:127]
	;; [unrolled: 1-line block ×6, first 2 shown]
	v_mov_b32_e32 v32, v175
	v_mov_b32_e32 v33, v176
.LBB33_127:
	s_or_b32 exec_lo, exec_lo, s1
	s_mov_b32 s2, exec_lo
	s_waitcnt lgkmcnt(0)
	s_barrier
	buffer_gl0_inv
	v_cmpx_eq_u32_e32 14, v0
	s_cbranch_execz .LBB33_134
; %bb.128:
	ds_write2_b64 v1, v[26:27], v[28:29] offset1:1
	ds_write2_b64 v174, v[22:23], v[24:25] offset0:30 offset1:31
	ds_write2_b64 v174, v[18:19], v[20:21] offset0:32 offset1:33
	ds_read2_b64 v[126:129], v1 offset1:1
	s_waitcnt lgkmcnt(0)
	v_cmp_neq_f64_e32 vcc_lo, 0, v[126:127]
	v_cmp_neq_f64_e64 s1, 0, v[128:129]
	s_or_b32 s1, vcc_lo, s1
	s_and_b32 exec_lo, exec_lo, s1
	s_cbranch_execz .LBB33_134
; %bb.129:
	v_cmp_ngt_f64_e64 s1, |v[126:127]|, |v[128:129]|
                                        ; implicit-def: $vgpr130_vgpr131
	s_and_saveexec_b32 s3, s1
	s_xor_b32 s1, exec_lo, s3
                                        ; implicit-def: $vgpr132_vgpr133
	s_cbranch_execz .LBB33_131
; %bb.130:
	v_div_scale_f64 v[130:131], null, v[128:129], v[128:129], v[126:127]
	v_div_scale_f64 v[136:137], vcc_lo, v[126:127], v[128:129], v[126:127]
	v_rcp_f64_e32 v[132:133], v[130:131]
	v_fma_f64 v[134:135], -v[130:131], v[132:133], 1.0
	v_fma_f64 v[132:133], v[132:133], v[134:135], v[132:133]
	v_fma_f64 v[134:135], -v[130:131], v[132:133], 1.0
	v_fma_f64 v[132:133], v[132:133], v[134:135], v[132:133]
	v_mul_f64 v[134:135], v[136:137], v[132:133]
	v_fma_f64 v[130:131], -v[130:131], v[134:135], v[136:137]
	v_div_fmas_f64 v[130:131], v[130:131], v[132:133], v[134:135]
	v_div_fixup_f64 v[130:131], v[130:131], v[128:129], v[126:127]
	v_fma_f64 v[126:127], v[126:127], v[130:131], v[128:129]
	v_div_scale_f64 v[128:129], null, v[126:127], v[126:127], 1.0
	v_rcp_f64_e32 v[132:133], v[128:129]
	v_fma_f64 v[134:135], -v[128:129], v[132:133], 1.0
	v_fma_f64 v[132:133], v[132:133], v[134:135], v[132:133]
	v_fma_f64 v[134:135], -v[128:129], v[132:133], 1.0
	v_fma_f64 v[132:133], v[132:133], v[134:135], v[132:133]
	v_div_scale_f64 v[134:135], vcc_lo, 1.0, v[126:127], 1.0
	v_mul_f64 v[136:137], v[134:135], v[132:133]
	v_fma_f64 v[128:129], -v[128:129], v[136:137], v[134:135]
	v_div_fmas_f64 v[128:129], v[128:129], v[132:133], v[136:137]
	v_div_fixup_f64 v[132:133], v[128:129], v[126:127], 1.0
                                        ; implicit-def: $vgpr126_vgpr127
	v_mul_f64 v[130:131], v[130:131], v[132:133]
	v_xor_b32_e32 v133, 0x80000000, v133
.LBB33_131:
	s_andn2_saveexec_b32 s1, s1
	s_cbranch_execz .LBB33_133
; %bb.132:
	v_div_scale_f64 v[130:131], null, v[126:127], v[126:127], v[128:129]
	v_div_scale_f64 v[136:137], vcc_lo, v[128:129], v[126:127], v[128:129]
	v_rcp_f64_e32 v[132:133], v[130:131]
	v_fma_f64 v[134:135], -v[130:131], v[132:133], 1.0
	v_fma_f64 v[132:133], v[132:133], v[134:135], v[132:133]
	v_fma_f64 v[134:135], -v[130:131], v[132:133], 1.0
	v_fma_f64 v[132:133], v[132:133], v[134:135], v[132:133]
	v_mul_f64 v[134:135], v[136:137], v[132:133]
	v_fma_f64 v[130:131], -v[130:131], v[134:135], v[136:137]
	v_div_fmas_f64 v[130:131], v[130:131], v[132:133], v[134:135]
	v_div_fixup_f64 v[132:133], v[130:131], v[126:127], v[128:129]
	v_fma_f64 v[126:127], v[128:129], v[132:133], v[126:127]
	v_div_scale_f64 v[128:129], null, v[126:127], v[126:127], 1.0
	v_rcp_f64_e32 v[130:131], v[128:129]
	v_fma_f64 v[134:135], -v[128:129], v[130:131], 1.0
	v_fma_f64 v[130:131], v[130:131], v[134:135], v[130:131]
	v_fma_f64 v[134:135], -v[128:129], v[130:131], 1.0
	v_fma_f64 v[130:131], v[130:131], v[134:135], v[130:131]
	v_div_scale_f64 v[134:135], vcc_lo, 1.0, v[126:127], 1.0
	v_mul_f64 v[136:137], v[134:135], v[130:131]
	v_fma_f64 v[128:129], -v[128:129], v[136:137], v[134:135]
	v_div_fmas_f64 v[128:129], v[128:129], v[130:131], v[136:137]
	v_div_fixup_f64 v[130:131], v[128:129], v[126:127], 1.0
	v_mul_f64 v[132:133], v[132:133], -v[130:131]
.LBB33_133:
	s_or_b32 exec_lo, exec_lo, s1
	ds_write2_b64 v1, v[130:131], v[132:133] offset1:1
.LBB33_134:
	s_or_b32 exec_lo, exec_lo, s2
	s_waitcnt lgkmcnt(0)
	s_barrier
	buffer_gl0_inv
	ds_read2_b64 v[126:129], v1 offset1:1
	s_mov_b32 s1, exec_lo
	v_cmpx_lt_u32_e32 14, v0
	s_cbranch_execz .LBB33_136
; %bb.135:
	s_waitcnt lgkmcnt(0)
	v_mul_f64 v[130:131], v[126:127], v[28:29]
	v_mul_f64 v[28:29], v[128:129], v[28:29]
	v_fma_f64 v[175:176], v[128:129], v[26:27], v[130:131]
	ds_read2_b64 v[130:133], v174 offset0:30 offset1:31
	ds_read2_b64 v[134:137], v174 offset0:32 offset1:33
	v_fma_f64 v[26:27], v[126:127], v[26:27], -v[28:29]
	s_waitcnt lgkmcnt(1)
	v_mul_f64 v[28:29], v[132:133], v[175:176]
	v_mul_f64 v[177:178], v[130:131], v[175:176]
	s_waitcnt lgkmcnt(0)
	v_mul_f64 v[179:180], v[136:137], v[175:176]
	v_mul_f64 v[181:182], v[134:135], v[175:176]
	v_fma_f64 v[28:29], v[130:131], v[26:27], -v[28:29]
	v_fma_f64 v[130:131], v[132:133], v[26:27], v[177:178]
	v_fma_f64 v[132:133], v[134:135], v[26:27], -v[179:180]
	v_fma_f64 v[134:135], v[136:137], v[26:27], v[181:182]
	v_add_f64 v[22:23], v[22:23], -v[28:29]
	v_add_f64 v[24:25], v[24:25], -v[130:131]
	;; [unrolled: 1-line block ×4, first 2 shown]
	v_mov_b32_e32 v28, v175
	v_mov_b32_e32 v29, v176
.LBB33_136:
	s_or_b32 exec_lo, exec_lo, s1
	s_mov_b32 s2, exec_lo
	s_waitcnt lgkmcnt(0)
	s_barrier
	buffer_gl0_inv
	v_cmpx_eq_u32_e32 15, v0
	s_cbranch_execz .LBB33_143
; %bb.137:
	ds_write2_b64 v1, v[22:23], v[24:25] offset1:1
	ds_write2_b64 v174, v[18:19], v[20:21] offset0:32 offset1:33
	ds_read2_b64 v[130:133], v1 offset1:1
	s_waitcnt lgkmcnt(0)
	v_cmp_neq_f64_e32 vcc_lo, 0, v[130:131]
	v_cmp_neq_f64_e64 s1, 0, v[132:133]
	s_or_b32 s1, vcc_lo, s1
	s_and_b32 exec_lo, exec_lo, s1
	s_cbranch_execz .LBB33_143
; %bb.138:
	v_cmp_ngt_f64_e64 s1, |v[130:131]|, |v[132:133]|
                                        ; implicit-def: $vgpr134_vgpr135
	s_and_saveexec_b32 s3, s1
	s_xor_b32 s1, exec_lo, s3
                                        ; implicit-def: $vgpr136_vgpr137
	s_cbranch_execz .LBB33_140
; %bb.139:
	v_div_scale_f64 v[134:135], null, v[132:133], v[132:133], v[130:131]
	v_div_scale_f64 v[177:178], vcc_lo, v[130:131], v[132:133], v[130:131]
	v_rcp_f64_e32 v[136:137], v[134:135]
	v_fma_f64 v[175:176], -v[134:135], v[136:137], 1.0
	v_fma_f64 v[136:137], v[136:137], v[175:176], v[136:137]
	v_fma_f64 v[175:176], -v[134:135], v[136:137], 1.0
	v_fma_f64 v[136:137], v[136:137], v[175:176], v[136:137]
	v_mul_f64 v[175:176], v[177:178], v[136:137]
	v_fma_f64 v[134:135], -v[134:135], v[175:176], v[177:178]
	v_div_fmas_f64 v[134:135], v[134:135], v[136:137], v[175:176]
	v_div_fixup_f64 v[134:135], v[134:135], v[132:133], v[130:131]
	v_fma_f64 v[130:131], v[130:131], v[134:135], v[132:133]
	v_div_scale_f64 v[132:133], null, v[130:131], v[130:131], 1.0
	v_rcp_f64_e32 v[136:137], v[132:133]
	v_fma_f64 v[175:176], -v[132:133], v[136:137], 1.0
	v_fma_f64 v[136:137], v[136:137], v[175:176], v[136:137]
	v_fma_f64 v[175:176], -v[132:133], v[136:137], 1.0
	v_fma_f64 v[136:137], v[136:137], v[175:176], v[136:137]
	v_div_scale_f64 v[175:176], vcc_lo, 1.0, v[130:131], 1.0
	v_mul_f64 v[177:178], v[175:176], v[136:137]
	v_fma_f64 v[132:133], -v[132:133], v[177:178], v[175:176]
	v_div_fmas_f64 v[132:133], v[132:133], v[136:137], v[177:178]
	v_div_fixup_f64 v[136:137], v[132:133], v[130:131], 1.0
                                        ; implicit-def: $vgpr130_vgpr131
	v_mul_f64 v[134:135], v[134:135], v[136:137]
	v_xor_b32_e32 v137, 0x80000000, v137
.LBB33_140:
	s_andn2_saveexec_b32 s1, s1
	s_cbranch_execz .LBB33_142
; %bb.141:
	v_div_scale_f64 v[134:135], null, v[130:131], v[130:131], v[132:133]
	v_div_scale_f64 v[177:178], vcc_lo, v[132:133], v[130:131], v[132:133]
	v_rcp_f64_e32 v[136:137], v[134:135]
	v_fma_f64 v[175:176], -v[134:135], v[136:137], 1.0
	v_fma_f64 v[136:137], v[136:137], v[175:176], v[136:137]
	v_fma_f64 v[175:176], -v[134:135], v[136:137], 1.0
	v_fma_f64 v[136:137], v[136:137], v[175:176], v[136:137]
	v_mul_f64 v[175:176], v[177:178], v[136:137]
	v_fma_f64 v[134:135], -v[134:135], v[175:176], v[177:178]
	v_div_fmas_f64 v[134:135], v[134:135], v[136:137], v[175:176]
	v_div_fixup_f64 v[136:137], v[134:135], v[130:131], v[132:133]
	v_fma_f64 v[130:131], v[132:133], v[136:137], v[130:131]
	v_div_scale_f64 v[132:133], null, v[130:131], v[130:131], 1.0
	v_rcp_f64_e32 v[134:135], v[132:133]
	v_fma_f64 v[175:176], -v[132:133], v[134:135], 1.0
	v_fma_f64 v[134:135], v[134:135], v[175:176], v[134:135]
	v_fma_f64 v[175:176], -v[132:133], v[134:135], 1.0
	v_fma_f64 v[134:135], v[134:135], v[175:176], v[134:135]
	v_div_scale_f64 v[175:176], vcc_lo, 1.0, v[130:131], 1.0
	v_mul_f64 v[177:178], v[175:176], v[134:135]
	v_fma_f64 v[132:133], -v[132:133], v[177:178], v[175:176]
	v_div_fmas_f64 v[132:133], v[132:133], v[134:135], v[177:178]
	v_div_fixup_f64 v[134:135], v[132:133], v[130:131], 1.0
	v_mul_f64 v[136:137], v[136:137], -v[134:135]
.LBB33_142:
	s_or_b32 exec_lo, exec_lo, s1
	ds_write2_b64 v1, v[134:135], v[136:137] offset1:1
.LBB33_143:
	s_or_b32 exec_lo, exec_lo, s2
	s_waitcnt lgkmcnt(0)
	s_barrier
	buffer_gl0_inv
	ds_read2_b64 v[130:133], v1 offset1:1
	s_mov_b32 s1, exec_lo
	v_cmpx_lt_u32_e32 15, v0
	s_cbranch_execz .LBB33_145
; %bb.144:
	s_waitcnt lgkmcnt(0)
	v_mul_f64 v[134:135], v[130:131], v[24:25]
	v_mul_f64 v[24:25], v[132:133], v[24:25]
	v_fma_f64 v[175:176], v[132:133], v[22:23], v[134:135]
	ds_read2_b64 v[134:137], v174 offset0:32 offset1:33
	v_fma_f64 v[22:23], v[130:131], v[22:23], -v[24:25]
	s_waitcnt lgkmcnt(0)
	v_mul_f64 v[24:25], v[136:137], v[175:176]
	v_mul_f64 v[177:178], v[134:135], v[175:176]
	v_fma_f64 v[24:25], v[134:135], v[22:23], -v[24:25]
	v_fma_f64 v[134:135], v[136:137], v[22:23], v[177:178]
	v_add_f64 v[18:19], v[18:19], -v[24:25]
	v_add_f64 v[20:21], v[20:21], -v[134:135]
	v_mov_b32_e32 v24, v175
	v_mov_b32_e32 v25, v176
.LBB33_145:
	s_or_b32 exec_lo, exec_lo, s1
	s_mov_b32 s2, exec_lo
	s_waitcnt lgkmcnt(0)
	s_barrier
	buffer_gl0_inv
	v_cmpx_eq_u32_e32 16, v0
	s_cbranch_execz .LBB33_152
; %bb.146:
	v_cmp_neq_f64_e32 vcc_lo, 0, v[18:19]
	v_cmp_neq_f64_e64 s1, 0, v[20:21]
	ds_write2_b64 v1, v[18:19], v[20:21] offset1:1
	s_or_b32 s1, vcc_lo, s1
	s_and_b32 exec_lo, exec_lo, s1
	s_cbranch_execz .LBB33_152
; %bb.147:
	v_cmp_ngt_f64_e64 s1, |v[18:19]|, |v[20:21]|
                                        ; implicit-def: $vgpr134_vgpr135
	s_and_saveexec_b32 s3, s1
	s_xor_b32 s1, exec_lo, s3
                                        ; implicit-def: $vgpr136_vgpr137
	s_cbranch_execz .LBB33_149
; %bb.148:
	v_div_scale_f64 v[134:135], null, v[20:21], v[20:21], v[18:19]
	v_div_scale_f64 v[176:177], vcc_lo, v[18:19], v[20:21], v[18:19]
	v_rcp_f64_e32 v[136:137], v[134:135]
	v_fma_f64 v[174:175], -v[134:135], v[136:137], 1.0
	v_fma_f64 v[136:137], v[136:137], v[174:175], v[136:137]
	v_fma_f64 v[174:175], -v[134:135], v[136:137], 1.0
	v_fma_f64 v[136:137], v[136:137], v[174:175], v[136:137]
	v_mul_f64 v[174:175], v[176:177], v[136:137]
	v_fma_f64 v[134:135], -v[134:135], v[174:175], v[176:177]
	v_div_fmas_f64 v[134:135], v[134:135], v[136:137], v[174:175]
	v_div_fixup_f64 v[134:135], v[134:135], v[20:21], v[18:19]
	v_fma_f64 v[136:137], v[18:19], v[134:135], v[20:21]
	v_div_scale_f64 v[174:175], null, v[136:137], v[136:137], 1.0
	v_rcp_f64_e32 v[176:177], v[174:175]
	v_fma_f64 v[178:179], -v[174:175], v[176:177], 1.0
	v_fma_f64 v[176:177], v[176:177], v[178:179], v[176:177]
	v_fma_f64 v[178:179], -v[174:175], v[176:177], 1.0
	v_fma_f64 v[176:177], v[176:177], v[178:179], v[176:177]
	v_div_scale_f64 v[178:179], vcc_lo, 1.0, v[136:137], 1.0
	v_mul_f64 v[180:181], v[178:179], v[176:177]
	v_fma_f64 v[174:175], -v[174:175], v[180:181], v[178:179]
	v_div_fmas_f64 v[174:175], v[174:175], v[176:177], v[180:181]
	v_div_fixup_f64 v[136:137], v[174:175], v[136:137], 1.0
	v_mul_f64 v[134:135], v[134:135], v[136:137]
	v_xor_b32_e32 v137, 0x80000000, v137
.LBB33_149:
	s_andn2_saveexec_b32 s1, s1
	s_cbranch_execz .LBB33_151
; %bb.150:
	v_div_scale_f64 v[134:135], null, v[18:19], v[18:19], v[20:21]
	v_div_scale_f64 v[176:177], vcc_lo, v[20:21], v[18:19], v[20:21]
	v_rcp_f64_e32 v[136:137], v[134:135]
	v_fma_f64 v[174:175], -v[134:135], v[136:137], 1.0
	v_fma_f64 v[136:137], v[136:137], v[174:175], v[136:137]
	v_fma_f64 v[174:175], -v[134:135], v[136:137], 1.0
	v_fma_f64 v[136:137], v[136:137], v[174:175], v[136:137]
	v_mul_f64 v[174:175], v[176:177], v[136:137]
	v_fma_f64 v[134:135], -v[134:135], v[174:175], v[176:177]
	v_div_fmas_f64 v[134:135], v[134:135], v[136:137], v[174:175]
	v_div_fixup_f64 v[136:137], v[134:135], v[18:19], v[20:21]
	v_fma_f64 v[134:135], v[20:21], v[136:137], v[18:19]
	v_div_scale_f64 v[174:175], null, v[134:135], v[134:135], 1.0
	v_rcp_f64_e32 v[176:177], v[174:175]
	v_fma_f64 v[178:179], -v[174:175], v[176:177], 1.0
	v_fma_f64 v[176:177], v[176:177], v[178:179], v[176:177]
	v_fma_f64 v[178:179], -v[174:175], v[176:177], 1.0
	v_fma_f64 v[176:177], v[176:177], v[178:179], v[176:177]
	v_div_scale_f64 v[178:179], vcc_lo, 1.0, v[134:135], 1.0
	v_mul_f64 v[180:181], v[178:179], v[176:177]
	v_fma_f64 v[174:175], -v[174:175], v[180:181], v[178:179]
	v_div_fmas_f64 v[174:175], v[174:175], v[176:177], v[180:181]
	v_div_fixup_f64 v[134:135], v[174:175], v[134:135], 1.0
	v_mul_f64 v[136:137], v[136:137], -v[134:135]
.LBB33_151:
	s_or_b32 exec_lo, exec_lo, s1
	ds_write2_b64 v1, v[134:135], v[136:137] offset1:1
.LBB33_152:
	s_or_b32 exec_lo, exec_lo, s2
	s_waitcnt lgkmcnt(0)
	s_barrier
	buffer_gl0_inv
	ds_read2_b64 v[134:137], v1 offset1:1
	s_mov_b32 s1, exec_lo
	v_cmpx_lt_u32_e32 16, v0
	s_cbranch_execz .LBB33_154
; %bb.153:
	s_waitcnt lgkmcnt(0)
	v_mul_f64 v[0:1], v[136:137], v[20:21]
	v_mul_f64 v[20:21], v[134:135], v[20:21]
	v_fma_f64 v[0:1], v[134:135], v[18:19], -v[0:1]
	v_fma_f64 v[20:21], v[136:137], v[18:19], v[20:21]
	v_mov_b32_e32 v19, v1
	v_mov_b32_e32 v18, v0
.LBB33_154:
	s_or_b32 exec_lo, exec_lo, s1
	s_waitcnt lgkmcnt(0)
	s_barrier
	buffer_gl0_inv
	s_and_saveexec_b32 s6, s0
	s_cbranch_execz .LBB33_157
; %bb.155:
	v_lshlrev_b64 v[0:1], 2, v[158:159]
	v_cmp_eq_f64_e64 s0, 0, v[72:73]
	v_cmp_neq_f64_e64 s1, 0, v[74:75]
	v_cmp_neq_f64_e64 s2, 0, v[76:77]
	v_cmp_eq_f64_e64 s3, 0, v[78:79]
	v_cmp_eq_f64_e64 s4, 0, v[80:81]
	v_add_co_u32 v0, vcc_lo, s10, v0
	v_add_co_ci_u32_e64 v1, null, s11, v1, vcc_lo
	v_cmp_eq_f64_e32 vcc_lo, 0, v[70:71]
	v_cmp_eq_f64_e64 s5, 0, v[82:83]
	global_load_dword v158, v[0:1], off
	s_or_b32 s1, s1, s2
	v_cmp_eq_f64_e64 s2, 0, v[88:89]
	s_and_b32 s3, s3, s4
	v_cmp_eq_f64_e64 s4, 0, v[92:93]
	s_and_b32 s0, vcc_lo, s0
	v_cmp_eq_f64_e32 vcc_lo, 0, v[84:85]
	v_cndmask_b32_e64 v70, 0, 1, s0
	s_or_b32 s0, s1, s0
	v_cmp_eq_f64_e64 s1, 0, v[86:87]
	v_cndmask_b32_e64 v70, 2, v70, s0
	v_cmp_eq_u32_e64 s0, 0, v70
	s_and_b32 s0, s3, s0
	v_cmp_eq_f64_e64 s3, 0, v[90:91]
	v_cndmask_b32_e64 v70, v70, 3, s0
	s_and_b32 s5, s5, vcc_lo
	v_cmp_eq_u32_e64 s0, 0, v70
	s_and_b32 s1, s1, s2
	v_cmp_eq_f64_e64 s2, 0, v[100:101]
	s_and_b32 s0, s5, s0
	v_cmp_eq_f64_e64 s5, 0, v[96:97]
	v_cndmask_b32_e64 v70, v70, 4, s0
	v_cmp_eq_f64_e64 s0, 0, v[94:95]
	v_cmp_eq_u32_e32 vcc_lo, 0, v70
	s_and_b32 s3, s3, s4
	s_and_b32 s1, s1, vcc_lo
	v_cmp_eq_f64_e64 s4, 0, v[104:105]
	v_cndmask_b32_e64 v70, v70, 5, s1
	v_cmp_eq_f64_e64 s1, 0, v[98:99]
	v_cmp_eq_u32_e32 vcc_lo, 0, v70
	s_and_b32 s3, s3, vcc_lo
	s_and_b32 s0, s0, s5
	v_cndmask_b32_e64 v70, v70, 6, s3
	v_cmp_eq_f64_e64 s3, 0, v[102:103]
	v_cmp_eq_f64_e64 s5, 0, v[108:109]
	v_cmp_eq_u32_e32 vcc_lo, 0, v70
	s_and_b32 s0, s0, vcc_lo
	s_and_b32 s1, s1, s2
	v_cndmask_b32_e64 v70, v70, 7, s0
	v_cmp_eq_f64_e64 s0, 0, v[106:107]
	;; [unrolled: 6-line block ×9, first 2 shown]
	v_cmp_eq_u32_e32 vcc_lo, 0, v70
	s_and_b32 s3, s3, vcc_lo
	s_and_b32 s0, s0, s5
	v_cndmask_b32_e64 v70, v70, 15, s3
	v_cmp_eq_u32_e32 vcc_lo, 0, v70
	s_and_b32 s0, s0, vcc_lo
	v_cndmask_b32_e64 v70, v70, 16, s0
	s_and_b32 s0, s1, s2
	v_cmp_eq_u32_e32 vcc_lo, 0, v70
	s_and_b32 s0, s0, vcc_lo
	v_cndmask_b32_e64 v70, v70, 17, s0
	v_cmp_ne_u32_e64 s0, 0, v70
	s_waitcnt vmcnt(0)
	v_cmp_eq_u32_e32 vcc_lo, 0, v158
	s_and_b32 s0, vcc_lo, s0
	s_and_b32 exec_lo, exec_lo, s0
	s_cbranch_execz .LBB33_157
; %bb.156:
	v_add_nc_u32_e32 v70, s13, v70
	global_store_dword v[0:1], v70, off
.LBB33_157:
	s_or_b32 exec_lo, exec_lo, s6
	global_store_dwordx4 v[142:143], v[14:17], off
	global_store_dwordx4 v[144:145], v[10:13], off
	;; [unrolled: 1-line block ×17, first 2 shown]
.LBB33_158:
	s_endpgm
	.section	.rodata,"a",@progbits
	.p2align	6, 0x0
	.amdhsa_kernel _ZN9rocsolver6v33100L23getf2_npvt_small_kernelILi17E19rocblas_complex_numIdEiiPS3_EEvT1_T3_lS5_lPT2_S5_S5_
		.amdhsa_group_segment_fixed_size 0
		.amdhsa_private_segment_fixed_size 0
		.amdhsa_kernarg_size 312
		.amdhsa_user_sgpr_count 6
		.amdhsa_user_sgpr_private_segment_buffer 1
		.amdhsa_user_sgpr_dispatch_ptr 0
		.amdhsa_user_sgpr_queue_ptr 0
		.amdhsa_user_sgpr_kernarg_segment_ptr 1
		.amdhsa_user_sgpr_dispatch_id 0
		.amdhsa_user_sgpr_flat_scratch_init 0
		.amdhsa_user_sgpr_private_segment_size 0
		.amdhsa_wavefront_size32 1
		.amdhsa_uses_dynamic_stack 0
		.amdhsa_system_sgpr_private_segment_wavefront_offset 0
		.amdhsa_system_sgpr_workgroup_id_x 1
		.amdhsa_system_sgpr_workgroup_id_y 1
		.amdhsa_system_sgpr_workgroup_id_z 0
		.amdhsa_system_sgpr_workgroup_info 0
		.amdhsa_system_vgpr_workitem_id 1
		.amdhsa_next_free_vgpr 239
		.amdhsa_next_free_sgpr 15
		.amdhsa_reserve_vcc 1
		.amdhsa_reserve_flat_scratch 0
		.amdhsa_float_round_mode_32 0
		.amdhsa_float_round_mode_16_64 0
		.amdhsa_float_denorm_mode_32 3
		.amdhsa_float_denorm_mode_16_64 3
		.amdhsa_dx10_clamp 1
		.amdhsa_ieee_mode 1
		.amdhsa_fp16_overflow 0
		.amdhsa_workgroup_processor_mode 1
		.amdhsa_memory_ordered 1
		.amdhsa_forward_progress 1
		.amdhsa_shared_vgpr_count 0
		.amdhsa_exception_fp_ieee_invalid_op 0
		.amdhsa_exception_fp_denorm_src 0
		.amdhsa_exception_fp_ieee_div_zero 0
		.amdhsa_exception_fp_ieee_overflow 0
		.amdhsa_exception_fp_ieee_underflow 0
		.amdhsa_exception_fp_ieee_inexact 0
		.amdhsa_exception_int_div_zero 0
	.end_amdhsa_kernel
	.section	.text._ZN9rocsolver6v33100L23getf2_npvt_small_kernelILi17E19rocblas_complex_numIdEiiPS3_EEvT1_T3_lS5_lPT2_S5_S5_,"axG",@progbits,_ZN9rocsolver6v33100L23getf2_npvt_small_kernelILi17E19rocblas_complex_numIdEiiPS3_EEvT1_T3_lS5_lPT2_S5_S5_,comdat
.Lfunc_end33:
	.size	_ZN9rocsolver6v33100L23getf2_npvt_small_kernelILi17E19rocblas_complex_numIdEiiPS3_EEvT1_T3_lS5_lPT2_S5_S5_, .Lfunc_end33-_ZN9rocsolver6v33100L23getf2_npvt_small_kernelILi17E19rocblas_complex_numIdEiiPS3_EEvT1_T3_lS5_lPT2_S5_S5_
                                        ; -- End function
	.set _ZN9rocsolver6v33100L23getf2_npvt_small_kernelILi17E19rocblas_complex_numIdEiiPS3_EEvT1_T3_lS5_lPT2_S5_S5_.num_vgpr, 239
	.set _ZN9rocsolver6v33100L23getf2_npvt_small_kernelILi17E19rocblas_complex_numIdEiiPS3_EEvT1_T3_lS5_lPT2_S5_S5_.num_agpr, 0
	.set _ZN9rocsolver6v33100L23getf2_npvt_small_kernelILi17E19rocblas_complex_numIdEiiPS3_EEvT1_T3_lS5_lPT2_S5_S5_.numbered_sgpr, 15
	.set _ZN9rocsolver6v33100L23getf2_npvt_small_kernelILi17E19rocblas_complex_numIdEiiPS3_EEvT1_T3_lS5_lPT2_S5_S5_.num_named_barrier, 0
	.set _ZN9rocsolver6v33100L23getf2_npvt_small_kernelILi17E19rocblas_complex_numIdEiiPS3_EEvT1_T3_lS5_lPT2_S5_S5_.private_seg_size, 0
	.set _ZN9rocsolver6v33100L23getf2_npvt_small_kernelILi17E19rocblas_complex_numIdEiiPS3_EEvT1_T3_lS5_lPT2_S5_S5_.uses_vcc, 1
	.set _ZN9rocsolver6v33100L23getf2_npvt_small_kernelILi17E19rocblas_complex_numIdEiiPS3_EEvT1_T3_lS5_lPT2_S5_S5_.uses_flat_scratch, 0
	.set _ZN9rocsolver6v33100L23getf2_npvt_small_kernelILi17E19rocblas_complex_numIdEiiPS3_EEvT1_T3_lS5_lPT2_S5_S5_.has_dyn_sized_stack, 0
	.set _ZN9rocsolver6v33100L23getf2_npvt_small_kernelILi17E19rocblas_complex_numIdEiiPS3_EEvT1_T3_lS5_lPT2_S5_S5_.has_recursion, 0
	.set _ZN9rocsolver6v33100L23getf2_npvt_small_kernelILi17E19rocblas_complex_numIdEiiPS3_EEvT1_T3_lS5_lPT2_S5_S5_.has_indirect_call, 0
	.section	.AMDGPU.csdata,"",@progbits
; Kernel info:
; codeLenInByte = 20784
; TotalNumSgprs: 17
; NumVgprs: 239
; ScratchSize: 0
; MemoryBound: 1
; FloatMode: 240
; IeeeMode: 1
; LDSByteSize: 0 bytes/workgroup (compile time only)
; SGPRBlocks: 0
; VGPRBlocks: 29
; NumSGPRsForWavesPerEU: 17
; NumVGPRsForWavesPerEU: 239
; Occupancy: 4
; WaveLimiterHint : 0
; COMPUTE_PGM_RSRC2:SCRATCH_EN: 0
; COMPUTE_PGM_RSRC2:USER_SGPR: 6
; COMPUTE_PGM_RSRC2:TRAP_HANDLER: 0
; COMPUTE_PGM_RSRC2:TGID_X_EN: 1
; COMPUTE_PGM_RSRC2:TGID_Y_EN: 1
; COMPUTE_PGM_RSRC2:TGID_Z_EN: 0
; COMPUTE_PGM_RSRC2:TIDIG_COMP_CNT: 1
	.section	.text._ZN9rocsolver6v33100L18getf2_small_kernelILi18E19rocblas_complex_numIdEiiPS3_EEvT1_T3_lS5_lPS5_llPT2_S5_S5_S7_l,"axG",@progbits,_ZN9rocsolver6v33100L18getf2_small_kernelILi18E19rocblas_complex_numIdEiiPS3_EEvT1_T3_lS5_lPS5_llPT2_S5_S5_S7_l,comdat
	.globl	_ZN9rocsolver6v33100L18getf2_small_kernelILi18E19rocblas_complex_numIdEiiPS3_EEvT1_T3_lS5_lPS5_llPT2_S5_S5_S7_l ; -- Begin function _ZN9rocsolver6v33100L18getf2_small_kernelILi18E19rocblas_complex_numIdEiiPS3_EEvT1_T3_lS5_lPS5_llPT2_S5_S5_S7_l
	.p2align	8
	.type	_ZN9rocsolver6v33100L18getf2_small_kernelILi18E19rocblas_complex_numIdEiiPS3_EEvT1_T3_lS5_lPS5_llPT2_S5_S5_S7_l,@function
_ZN9rocsolver6v33100L18getf2_small_kernelILi18E19rocblas_complex_numIdEiiPS3_EEvT1_T3_lS5_lPS5_llPT2_S5_S5_S7_l: ; @_ZN9rocsolver6v33100L18getf2_small_kernelILi18E19rocblas_complex_numIdEiiPS3_EEvT1_T3_lS5_lPS5_llPT2_S5_S5_S7_l
; %bb.0:
	s_clause 0x1
	s_load_dword s0, s[4:5], 0x6c
	s_load_dwordx2 s[16:17], s[4:5], 0x48
	s_waitcnt lgkmcnt(0)
	s_lshr_b32 s0, s0, 16
	v_mad_u64_u32 v[78:79], null, s7, s0, v[1:2]
	s_mov_b32 s0, exec_lo
	v_cmpx_gt_i32_e64 s16, v78
	s_cbranch_execz .LBB34_381
; %bb.1:
	s_load_dwordx4 s[0:3], s[4:5], 0x50
	v_mov_b32_e32 v80, 0
	v_ashrrev_i32_e32 v79, 31, v78
	v_mov_b32_e32 v81, 0
	s_waitcnt lgkmcnt(0)
	s_cmp_eq_u64 s[0:1], 0
	s_cselect_b32 s16, -1, 0
	s_and_b32 vcc_lo, exec_lo, s16
	s_cbranch_vccnz .LBB34_3
; %bb.2:
	v_mul_lo_u32 v4, s3, v78
	v_mul_lo_u32 v5, s2, v79
	v_mad_u64_u32 v[2:3], null, s2, v78, 0
	v_add3_u32 v3, v3, v5, v4
	v_lshlrev_b64 v[2:3], 2, v[2:3]
	v_add_co_u32 v80, vcc_lo, s0, v2
	v_add_co_ci_u32_e64 v81, null, s1, v3, vcc_lo
.LBB34_3:
	s_clause 0x2
	s_load_dwordx8 s[8:15], s[4:5], 0x20
	s_load_dword s6, s[4:5], 0x18
	s_load_dwordx4 s[0:3], s[4:5], 0x8
	v_lshlrev_b32_e32 v84, 4, v0
	s_clause 0x1
	s_load_dword s18, s[4:5], 0x0
	s_load_dwordx2 s[4:5], s[4:5], 0x40
	s_waitcnt lgkmcnt(0)
	v_mul_lo_u32 v5, s9, v78
	v_mul_lo_u32 v7, s8, v79
	v_mad_u64_u32 v[2:3], null, s8, v78, 0
	v_add3_u32 v4, s6, s6, v0
	s_lshl_b64 s[2:3], s[2:3], 4
	s_ashr_i32 s7, s6, 31
	s_lshl_b64 s[8:9], s[6:7], 4
	v_add_nc_u32_e32 v6, s6, v4
	v_add3_u32 v3, v3, v7, v5
	v_ashrrev_i32_e32 v5, 31, v4
	v_add_nc_u32_e32 v8, s6, v6
	v_lshlrev_b64 v[2:3], 4, v[2:3]
	v_ashrrev_i32_e32 v7, 31, v6
	v_lshlrev_b64 v[4:5], 4, v[4:5]
	v_add_nc_u32_e32 v10, s6, v8
	v_ashrrev_i32_e32 v9, 31, v8
	v_add_co_u32 v12, vcc_lo, s0, v2
	v_add_co_ci_u32_e64 v3, null, s1, v3, vcc_lo
	v_add_nc_u32_e32 v2, s6, v10
	v_add_co_u32 v85, vcc_lo, v12, s2
	v_add_co_ci_u32_e64 v86, null, s3, v3, vcc_lo
	v_lshlrev_b64 v[6:7], 4, v[6:7]
	v_ashrrev_i32_e32 v11, 31, v10
	v_add_nc_u32_e32 v12, s6, v2
	v_add_co_u32 v14, vcc_lo, v85, v84
	v_lshlrev_b64 v[8:9], 4, v[8:9]
	v_add_co_ci_u32_e64 v15, null, 0, v86, vcc_lo
	v_add_co_u32 v4, vcc_lo, v85, v4
	v_lshlrev_b64 v[10:11], 4, v[10:11]
	v_add_co_ci_u32_e64 v5, null, v86, v5, vcc_lo
	v_add_co_u32 v6, vcc_lo, v85, v6
	v_add_nc_u32_e32 v16, s6, v12
	v_add_co_ci_u32_e64 v7, null, v86, v7, vcc_lo
	v_add_co_u32 v8, vcc_lo, v85, v8
	v_add_co_ci_u32_e64 v9, null, v86, v9, vcc_lo
	v_add_co_u32 v10, vcc_lo, v85, v10
	s_clause 0x1
	global_load_dwordx4 v[62:65], v[4:5], off
	global_load_dwordx4 v[42:45], v[6:7], off
	v_add_nc_u32_e32 v6, s6, v16
	v_add_co_ci_u32_e64 v11, null, v86, v11, vcc_lo
	v_ashrrev_i32_e32 v13, 31, v12
	s_clause 0x1
	global_load_dwordx4 v[50:53], v[8:9], off
	global_load_dwordx4 v[46:49], v[10:11], off
	v_add_nc_u32_e32 v10, s6, v6
	v_add_co_u32 v18, vcc_lo, v14, s8
	v_lshlrev_b64 v[4:5], 4, v[12:13]
	v_add_co_ci_u32_e64 v19, null, s9, v15, vcc_lo
	v_add_nc_u32_e32 v12, s6, v10
	v_ashrrev_i32_e32 v17, 31, v16
	s_clause 0x1
	global_load_dwordx4 v[70:73], v[14:15], off
	global_load_dwordx4 v[66:69], v[18:19], off
	v_ashrrev_i32_e32 v3, 31, v2
	v_ashrrev_i32_e32 v7, 31, v6
	v_add_nc_u32_e32 v14, s6, v12
	v_lshlrev_b64 v[8:9], 4, v[16:17]
	v_ashrrev_i32_e32 v11, 31, v10
	v_lshlrev_b64 v[2:3], 4, v[2:3]
	v_ashrrev_i32_e32 v13, 31, v12
	v_add_nc_u32_e32 v16, s6, v14
	v_lshlrev_b64 v[6:7], 4, v[6:7]
	v_ashrrev_i32_e32 v15, 31, v14
	v_lshlrev_b64 v[10:11], 4, v[10:11]
	v_add_co_u32 v2, vcc_lo, v85, v2
	v_add_nc_u32_e32 v18, s6, v16
	v_add_co_ci_u32_e64 v3, null, v86, v3, vcc_lo
	v_add_co_u32 v4, vcc_lo, v85, v4
	v_add_nc_u32_e32 v20, s6, v18
	v_ashrrev_i32_e32 v17, 31, v16
	v_add_co_ci_u32_e64 v5, null, v86, v5, vcc_lo
	v_add_co_u32 v8, vcc_lo, v85, v8
	v_lshlrev_b64 v[12:13], 4, v[12:13]
	v_ashrrev_i32_e32 v19, 31, v18
	v_add_nc_u32_e32 v22, s6, v20
	v_add_co_ci_u32_e64 v9, null, v86, v9, vcc_lo
	v_add_co_u32 v6, vcc_lo, v85, v6
	v_lshlrev_b64 v[14:15], 4, v[14:15]
	v_ashrrev_i32_e32 v21, 31, v20
	v_add_co_ci_u32_e64 v7, null, v86, v7, vcc_lo
	v_add_co_u32 v10, vcc_lo, v85, v10
	v_lshlrev_b64 v[16:17], 4, v[16:17]
	v_add_co_ci_u32_e64 v11, null, v86, v11, vcc_lo
	v_add_co_u32 v12, vcc_lo, v85, v12
	v_lshlrev_b64 v[18:19], 4, v[18:19]
	v_add_nc_u32_e32 v24, s6, v22
	v_add_co_ci_u32_e64 v13, null, v86, v13, vcc_lo
	v_add_co_u32 v14, vcc_lo, v85, v14
	v_lshlrev_b64 v[20:21], 4, v[20:21]
	v_ashrrev_i32_e32 v23, 31, v22
	v_add_co_ci_u32_e64 v15, null, v86, v15, vcc_lo
	v_add_co_u32 v16, vcc_lo, v85, v16
	v_ashrrev_i32_e32 v25, 31, v24
	v_add_co_ci_u32_e64 v17, null, v86, v17, vcc_lo
	v_add_co_u32 v74, vcc_lo, v85, v18
	v_add_co_ci_u32_e64 v75, null, v86, v19, vcc_lo
	v_lshlrev_b64 v[18:19], 4, v[22:23]
	v_add_co_u32 v76, vcc_lo, v85, v20
	v_add_co_ci_u32_e64 v77, null, v86, v21, vcc_lo
	v_lshlrev_b64 v[20:21], 4, v[24:25]
	v_add_co_u32 v82, vcc_lo, v85, v18
	v_add_co_ci_u32_e64 v83, null, v86, v19, vcc_lo
	s_max_i32 s0, s18, 18
	v_add_co_u32 v87, vcc_lo, v85, v20
	v_add_co_ci_u32_e64 v88, null, v86, v21, vcc_lo
	s_clause 0xb
	global_load_dwordx4 v[58:61], v[2:3], off
	global_load_dwordx4 v[54:57], v[4:5], off
	;; [unrolled: 1-line block ×12, first 2 shown]
	v_mul_lo_u32 v82, s0, v1
	s_cmp_lt_i32 s18, 2
	v_lshl_add_u32 v1, v82, 4, 0
	v_add_nc_u32_e32 v74, v1, v84
	v_lshlrev_b32_e32 v84, 4, v82
	v_mov_b32_e32 v82, 0
	s_waitcnt vmcnt(13)
	ds_write2_b64 v74, v[70:71], v[72:73] offset1:1
	s_waitcnt vmcnt(0) lgkmcnt(0)
	s_barrier
	buffer_gl0_inv
	ds_read2_b64 v[74:77], v1 offset1:1
	s_cbranch_scc1 .LBB34_6
; %bb.4:
	v_add3_u32 v83, v84, 0, 16
	v_mov_b32_e32 v82, 0
	s_mov_b32 s3, 1
	s_inst_prefetch 0x1
	.p2align	6
.LBB34_5:                               ; =>This Inner Loop Header: Depth=1
	ds_read2_b64 v[87:90], v83 offset1:1
	s_waitcnt lgkmcnt(1)
	v_cmp_gt_f64_e32 vcc_lo, 0, v[74:75]
	v_cmp_gt_f64_e64 s0, 0, v[76:77]
	v_xor_b32_e32 v92, 0x80000000, v75
	v_xor_b32_e32 v94, 0x80000000, v77
	v_mov_b32_e32 v91, v74
	v_mov_b32_e32 v93, v76
	v_add_nc_u32_e32 v83, 16, v83
	s_waitcnt lgkmcnt(0)
	v_cmp_gt_f64_e64 s1, 0, v[87:88]
	v_cmp_gt_f64_e64 s2, 0, v[89:90]
	v_xor_b32_e32 v96, 0x80000000, v88
	v_xor_b32_e32 v98, 0x80000000, v90
	v_mov_b32_e32 v95, v87
	v_mov_b32_e32 v97, v89
	v_cndmask_b32_e32 v92, v75, v92, vcc_lo
	v_cndmask_b32_e64 v94, v77, v94, s0
	v_add_f64 v[91:92], v[91:92], v[93:94]
	v_cndmask_b32_e64 v96, v88, v96, s1
	v_cndmask_b32_e64 v98, v90, v98, s2
	v_add_f64 v[93:94], v[95:96], v[97:98]
	v_cmp_lt_f64_e32 vcc_lo, v[91:92], v[93:94]
	v_cndmask_b32_e32 v75, v75, v88, vcc_lo
	v_cndmask_b32_e32 v74, v74, v87, vcc_lo
	;; [unrolled: 1-line block ×4, first 2 shown]
	v_cndmask_b32_e64 v82, v82, s3, vcc_lo
	s_add_i32 s3, s3, 1
	s_cmp_eq_u32 s18, s3
	s_cbranch_scc0 .LBB34_5
.LBB34_6:
	s_inst_prefetch 0x2
	s_waitcnt lgkmcnt(0)
	v_cmp_neq_f64_e32 vcc_lo, 0, v[74:75]
	v_cmp_neq_f64_e64 s0, 0, v[76:77]
	v_mov_b32_e32 v87, 1
	v_mov_b32_e32 v89, 1
	s_or_b32 s1, vcc_lo, s0
	s_and_saveexec_b32 s0, s1
	s_cbranch_execz .LBB34_12
; %bb.7:
	v_cmp_ngt_f64_e64 s1, |v[74:75]|, |v[76:77]|
	s_and_saveexec_b32 s2, s1
	s_xor_b32 s1, exec_lo, s2
	s_cbranch_execz .LBB34_9
; %bb.8:
	v_div_scale_f64 v[87:88], null, v[76:77], v[76:77], v[74:75]
	v_div_scale_f64 v[93:94], vcc_lo, v[74:75], v[76:77], v[74:75]
	v_rcp_f64_e32 v[89:90], v[87:88]
	v_fma_f64 v[91:92], -v[87:88], v[89:90], 1.0
	v_fma_f64 v[89:90], v[89:90], v[91:92], v[89:90]
	v_fma_f64 v[91:92], -v[87:88], v[89:90], 1.0
	v_fma_f64 v[89:90], v[89:90], v[91:92], v[89:90]
	v_mul_f64 v[91:92], v[93:94], v[89:90]
	v_fma_f64 v[87:88], -v[87:88], v[91:92], v[93:94]
	v_div_fmas_f64 v[87:88], v[87:88], v[89:90], v[91:92]
	v_div_fixup_f64 v[87:88], v[87:88], v[76:77], v[74:75]
	v_fma_f64 v[74:75], v[74:75], v[87:88], v[76:77]
	v_div_scale_f64 v[76:77], null, v[74:75], v[74:75], 1.0
	v_rcp_f64_e32 v[89:90], v[76:77]
	v_fma_f64 v[91:92], -v[76:77], v[89:90], 1.0
	v_fma_f64 v[89:90], v[89:90], v[91:92], v[89:90]
	v_fma_f64 v[91:92], -v[76:77], v[89:90], 1.0
	v_fma_f64 v[89:90], v[89:90], v[91:92], v[89:90]
	v_div_scale_f64 v[91:92], vcc_lo, 1.0, v[74:75], 1.0
	v_mul_f64 v[93:94], v[91:92], v[89:90]
	v_fma_f64 v[76:77], -v[76:77], v[93:94], v[91:92]
	v_div_fmas_f64 v[76:77], v[76:77], v[89:90], v[93:94]
	v_div_fixup_f64 v[76:77], v[76:77], v[74:75], 1.0
	v_mul_f64 v[74:75], v[87:88], v[76:77]
	v_xor_b32_e32 v77, 0x80000000, v77
.LBB34_9:
	s_andn2_saveexec_b32 s1, s1
	s_cbranch_execz .LBB34_11
; %bb.10:
	v_div_scale_f64 v[87:88], null, v[74:75], v[74:75], v[76:77]
	v_div_scale_f64 v[93:94], vcc_lo, v[76:77], v[74:75], v[76:77]
	v_rcp_f64_e32 v[89:90], v[87:88]
	v_fma_f64 v[91:92], -v[87:88], v[89:90], 1.0
	v_fma_f64 v[89:90], v[89:90], v[91:92], v[89:90]
	v_fma_f64 v[91:92], -v[87:88], v[89:90], 1.0
	v_fma_f64 v[89:90], v[89:90], v[91:92], v[89:90]
	v_mul_f64 v[91:92], v[93:94], v[89:90]
	v_fma_f64 v[87:88], -v[87:88], v[91:92], v[93:94]
	v_div_fmas_f64 v[87:88], v[87:88], v[89:90], v[91:92]
	v_div_fixup_f64 v[87:88], v[87:88], v[74:75], v[76:77]
	v_fma_f64 v[74:75], v[76:77], v[87:88], v[74:75]
	v_div_scale_f64 v[76:77], null, v[74:75], v[74:75], 1.0
	v_rcp_f64_e32 v[89:90], v[76:77]
	v_fma_f64 v[91:92], -v[76:77], v[89:90], 1.0
	v_fma_f64 v[89:90], v[89:90], v[91:92], v[89:90]
	v_fma_f64 v[91:92], -v[76:77], v[89:90], 1.0
	v_fma_f64 v[89:90], v[89:90], v[91:92], v[89:90]
	v_div_scale_f64 v[91:92], vcc_lo, 1.0, v[74:75], 1.0
	v_mul_f64 v[93:94], v[91:92], v[89:90]
	v_fma_f64 v[76:77], -v[76:77], v[93:94], v[91:92]
	v_div_fmas_f64 v[76:77], v[76:77], v[89:90], v[93:94]
	v_div_fixup_f64 v[74:75], v[76:77], v[74:75], 1.0
	v_mul_f64 v[76:77], v[87:88], -v[74:75]
.LBB34_11:
	s_or_b32 exec_lo, exec_lo, s1
	v_mov_b32_e32 v89, 0
	v_mov_b32_e32 v87, 2
.LBB34_12:
	s_or_b32 exec_lo, exec_lo, s0
	s_mov_b32 s0, exec_lo
	v_cmpx_ne_u32_e64 v0, v82
	s_xor_b32 s0, exec_lo, s0
	s_cbranch_execz .LBB34_18
; %bb.13:
	s_mov_b32 s1, exec_lo
	v_cmpx_eq_u32_e32 0, v0
	s_cbranch_execz .LBB34_17
; %bb.14:
	v_cmp_ne_u32_e32 vcc_lo, 0, v82
	s_xor_b32 s2, s16, -1
	s_and_b32 s3, s2, vcc_lo
	s_and_saveexec_b32 s2, s3
	s_cbranch_execz .LBB34_16
; %bb.15:
	v_ashrrev_i32_e32 v83, 31, v82
	v_lshlrev_b64 v[90:91], 2, v[82:83]
	v_add_co_u32 v90, vcc_lo, v80, v90
	v_add_co_ci_u32_e64 v91, null, v81, v91, vcc_lo
	s_clause 0x1
	global_load_dword v0, v[90:91], off
	global_load_dword v83, v[80:81], off
	s_waitcnt vmcnt(1)
	global_store_dword v[80:81], v0, off
	s_waitcnt vmcnt(0)
	global_store_dword v[90:91], v83, off
.LBB34_16:
	s_or_b32 exec_lo, exec_lo, s2
	v_mov_b32_e32 v0, v82
.LBB34_17:
	s_or_b32 exec_lo, exec_lo, s1
.LBB34_18:
	s_or_saveexec_b32 s0, s0
	v_mov_b32_e32 v88, v0
	s_xor_b32 exec_lo, exec_lo, s0
	s_cbranch_execz .LBB34_20
; %bb.19:
	v_mov_b32_e32 v88, 0
	ds_write2_b64 v1, v[66:67], v[68:69] offset0:2 offset1:3
	ds_write2_b64 v1, v[62:63], v[64:65] offset0:4 offset1:5
	;; [unrolled: 1-line block ×17, first 2 shown]
.LBB34_20:
	s_or_b32 exec_lo, exec_lo, s0
	s_mov_b32 s0, exec_lo
	s_waitcnt lgkmcnt(0)
	s_waitcnt_vscnt null, 0x0
	s_barrier
	buffer_gl0_inv
	v_cmpx_lt_i32_e32 0, v88
	s_cbranch_execz .LBB34_22
; %bb.21:
	v_mul_f64 v[82:83], v[76:77], v[72:73]
	v_mul_f64 v[72:73], v[74:75], v[72:73]
	v_fma_f64 v[82:83], v[74:75], v[70:71], -v[82:83]
	v_fma_f64 v[72:73], v[76:77], v[70:71], v[72:73]
	ds_read2_b64 v[74:77], v1 offset0:2 offset1:3
	s_waitcnt lgkmcnt(0)
	v_mul_f64 v[70:71], v[76:77], v[72:73]
	v_fma_f64 v[70:71], v[74:75], v[82:83], -v[70:71]
	v_mul_f64 v[74:75], v[74:75], v[72:73]
	v_add_f64 v[66:67], v[66:67], -v[70:71]
	v_fma_f64 v[74:75], v[76:77], v[82:83], v[74:75]
	v_add_f64 v[68:69], v[68:69], -v[74:75]
	ds_read2_b64 v[74:77], v1 offset0:4 offset1:5
	s_waitcnt lgkmcnt(0)
	v_mul_f64 v[70:71], v[76:77], v[72:73]
	v_fma_f64 v[70:71], v[74:75], v[82:83], -v[70:71]
	v_mul_f64 v[74:75], v[74:75], v[72:73]
	v_add_f64 v[62:63], v[62:63], -v[70:71]
	v_fma_f64 v[74:75], v[76:77], v[82:83], v[74:75]
	v_add_f64 v[64:65], v[64:65], -v[74:75]
	;; [unrolled: 8-line block ×16, first 2 shown]
	ds_read2_b64 v[74:77], v1 offset0:34 offset1:35
	s_waitcnt lgkmcnt(0)
	v_mul_f64 v[70:71], v[76:77], v[72:73]
	v_fma_f64 v[70:71], v[74:75], v[82:83], -v[70:71]
	v_mul_f64 v[74:75], v[74:75], v[72:73]
	v_add_f64 v[2:3], v[2:3], -v[70:71]
	v_fma_f64 v[74:75], v[76:77], v[82:83], v[74:75]
	v_mov_b32_e32 v70, v82
	v_mov_b32_e32 v71, v83
	v_add_f64 v[4:5], v[4:5], -v[74:75]
.LBB34_22:
	s_or_b32 exec_lo, exec_lo, s0
	v_lshl_add_u32 v74, v88, 4, v1
	s_barrier
	buffer_gl0_inv
	v_mov_b32_e32 v82, 1
	ds_write2_b64 v74, v[66:67], v[68:69] offset1:1
	s_waitcnt lgkmcnt(0)
	s_barrier
	buffer_gl0_inv
	ds_read2_b64 v[74:77], v1 offset0:2 offset1:3
	s_cmp_lt_i32 s18, 3
	s_cbranch_scc1 .LBB34_25
; %bb.23:
	v_add3_u32 v83, v84, 0, 32
	v_mov_b32_e32 v82, 1
	s_mov_b32 s1, 2
	s_inst_prefetch 0x1
	.p2align	6
.LBB34_24:                              ; =>This Inner Loop Header: Depth=1
	s_waitcnt lgkmcnt(0)
	v_cmp_gt_f64_e32 vcc_lo, 0, v[76:77]
	v_cmp_gt_f64_e64 s0, 0, v[74:75]
	ds_read2_b64 v[90:93], v83 offset1:1
	v_xor_b32_e32 v95, 0x80000000, v75
	v_xor_b32_e32 v97, 0x80000000, v77
	v_mov_b32_e32 v94, v74
	v_mov_b32_e32 v96, v76
	v_add_nc_u32_e32 v83, 16, v83
	s_waitcnt lgkmcnt(0)
	v_xor_b32_e32 v99, 0x80000000, v93
	v_cndmask_b32_e64 v95, v75, v95, s0
	v_cndmask_b32_e32 v97, v77, v97, vcc_lo
	v_cmp_gt_f64_e32 vcc_lo, 0, v[92:93]
	v_cmp_gt_f64_e64 s0, 0, v[90:91]
	v_mov_b32_e32 v98, v92
	v_add_f64 v[94:95], v[94:95], v[96:97]
	v_xor_b32_e32 v97, 0x80000000, v91
	v_mov_b32_e32 v96, v90
	v_cndmask_b32_e32 v99, v93, v99, vcc_lo
	v_cndmask_b32_e64 v97, v91, v97, s0
	v_add_f64 v[96:97], v[96:97], v[98:99]
	v_cmp_lt_f64_e32 vcc_lo, v[94:95], v[96:97]
	v_cndmask_b32_e32 v75, v75, v91, vcc_lo
	v_cndmask_b32_e32 v74, v74, v90, vcc_lo
	;; [unrolled: 1-line block ×4, first 2 shown]
	v_cndmask_b32_e64 v82, v82, s1, vcc_lo
	s_add_i32 s1, s1, 1
	s_cmp_lg_u32 s18, s1
	s_cbranch_scc1 .LBB34_24
.LBB34_25:
	s_inst_prefetch 0x2
	s_waitcnt lgkmcnt(0)
	v_cmp_neq_f64_e32 vcc_lo, 0, v[74:75]
	v_cmp_neq_f64_e64 s0, 0, v[76:77]
	s_or_b32 s1, vcc_lo, s0
	s_and_saveexec_b32 s0, s1
	s_cbranch_execz .LBB34_31
; %bb.26:
	v_cmp_ngt_f64_e64 s1, |v[74:75]|, |v[76:77]|
	s_and_saveexec_b32 s2, s1
	s_xor_b32 s1, exec_lo, s2
	s_cbranch_execz .LBB34_28
; %bb.27:
	v_div_scale_f64 v[90:91], null, v[76:77], v[76:77], v[74:75]
	v_div_scale_f64 v[96:97], vcc_lo, v[74:75], v[76:77], v[74:75]
	v_rcp_f64_e32 v[92:93], v[90:91]
	v_fma_f64 v[94:95], -v[90:91], v[92:93], 1.0
	v_fma_f64 v[92:93], v[92:93], v[94:95], v[92:93]
	v_fma_f64 v[94:95], -v[90:91], v[92:93], 1.0
	v_fma_f64 v[92:93], v[92:93], v[94:95], v[92:93]
	v_mul_f64 v[94:95], v[96:97], v[92:93]
	v_fma_f64 v[90:91], -v[90:91], v[94:95], v[96:97]
	v_div_fmas_f64 v[90:91], v[90:91], v[92:93], v[94:95]
	v_div_fixup_f64 v[90:91], v[90:91], v[76:77], v[74:75]
	v_fma_f64 v[74:75], v[74:75], v[90:91], v[76:77]
	v_div_scale_f64 v[76:77], null, v[74:75], v[74:75], 1.0
	v_rcp_f64_e32 v[92:93], v[76:77]
	v_fma_f64 v[94:95], -v[76:77], v[92:93], 1.0
	v_fma_f64 v[92:93], v[92:93], v[94:95], v[92:93]
	v_fma_f64 v[94:95], -v[76:77], v[92:93], 1.0
	v_fma_f64 v[92:93], v[92:93], v[94:95], v[92:93]
	v_div_scale_f64 v[94:95], vcc_lo, 1.0, v[74:75], 1.0
	v_mul_f64 v[96:97], v[94:95], v[92:93]
	v_fma_f64 v[76:77], -v[76:77], v[96:97], v[94:95]
	v_div_fmas_f64 v[76:77], v[76:77], v[92:93], v[96:97]
	v_div_fixup_f64 v[76:77], v[76:77], v[74:75], 1.0
	v_mul_f64 v[74:75], v[90:91], v[76:77]
	v_xor_b32_e32 v77, 0x80000000, v77
.LBB34_28:
	s_andn2_saveexec_b32 s1, s1
	s_cbranch_execz .LBB34_30
; %bb.29:
	v_div_scale_f64 v[90:91], null, v[74:75], v[74:75], v[76:77]
	v_div_scale_f64 v[96:97], vcc_lo, v[76:77], v[74:75], v[76:77]
	v_rcp_f64_e32 v[92:93], v[90:91]
	v_fma_f64 v[94:95], -v[90:91], v[92:93], 1.0
	v_fma_f64 v[92:93], v[92:93], v[94:95], v[92:93]
	v_fma_f64 v[94:95], -v[90:91], v[92:93], 1.0
	v_fma_f64 v[92:93], v[92:93], v[94:95], v[92:93]
	v_mul_f64 v[94:95], v[96:97], v[92:93]
	v_fma_f64 v[90:91], -v[90:91], v[94:95], v[96:97]
	v_div_fmas_f64 v[90:91], v[90:91], v[92:93], v[94:95]
	v_div_fixup_f64 v[90:91], v[90:91], v[74:75], v[76:77]
	v_fma_f64 v[74:75], v[76:77], v[90:91], v[74:75]
	v_div_scale_f64 v[76:77], null, v[74:75], v[74:75], 1.0
	v_rcp_f64_e32 v[92:93], v[76:77]
	v_fma_f64 v[94:95], -v[76:77], v[92:93], 1.0
	v_fma_f64 v[92:93], v[92:93], v[94:95], v[92:93]
	v_fma_f64 v[94:95], -v[76:77], v[92:93], 1.0
	v_fma_f64 v[92:93], v[92:93], v[94:95], v[92:93]
	v_div_scale_f64 v[94:95], vcc_lo, 1.0, v[74:75], 1.0
	v_mul_f64 v[96:97], v[94:95], v[92:93]
	v_fma_f64 v[76:77], -v[76:77], v[96:97], v[94:95]
	v_div_fmas_f64 v[76:77], v[76:77], v[92:93], v[96:97]
	v_div_fixup_f64 v[74:75], v[76:77], v[74:75], 1.0
	v_mul_f64 v[76:77], v[90:91], -v[74:75]
.LBB34_30:
	s_or_b32 exec_lo, exec_lo, s1
	v_mov_b32_e32 v87, v89
.LBB34_31:
	s_or_b32 exec_lo, exec_lo, s0
	s_mov_b32 s0, exec_lo
	v_cmpx_ne_u32_e64 v88, v82
	s_xor_b32 s0, exec_lo, s0
	s_cbranch_execz .LBB34_37
; %bb.32:
	s_mov_b32 s1, exec_lo
	v_cmpx_eq_u32_e32 1, v88
	s_cbranch_execz .LBB34_36
; %bb.33:
	v_cmp_ne_u32_e32 vcc_lo, 1, v82
	s_xor_b32 s2, s16, -1
	s_and_b32 s3, s2, vcc_lo
	s_and_saveexec_b32 s2, s3
	s_cbranch_execz .LBB34_35
; %bb.34:
	v_ashrrev_i32_e32 v83, 31, v82
	v_lshlrev_b64 v[88:89], 2, v[82:83]
	v_add_co_u32 v88, vcc_lo, v80, v88
	v_add_co_ci_u32_e64 v89, null, v81, v89, vcc_lo
	s_clause 0x1
	global_load_dword v0, v[88:89], off
	global_load_dword v83, v[80:81], off offset:4
	s_waitcnt vmcnt(1)
	global_store_dword v[80:81], v0, off offset:4
	s_waitcnt vmcnt(0)
	global_store_dword v[88:89], v83, off
.LBB34_35:
	s_or_b32 exec_lo, exec_lo, s2
	v_mov_b32_e32 v88, v82
	v_mov_b32_e32 v0, v82
.LBB34_36:
	s_or_b32 exec_lo, exec_lo, s1
.LBB34_37:
	s_andn2_saveexec_b32 s0, s0
	s_cbranch_execz .LBB34_39
; %bb.38:
	v_mov_b32_e32 v88, 1
	ds_write2_b64 v1, v[62:63], v[64:65] offset0:4 offset1:5
	ds_write2_b64 v1, v[42:43], v[44:45] offset0:6 offset1:7
	;; [unrolled: 1-line block ×16, first 2 shown]
.LBB34_39:
	s_or_b32 exec_lo, exec_lo, s0
	s_mov_b32 s0, exec_lo
	s_waitcnt lgkmcnt(0)
	s_waitcnt_vscnt null, 0x0
	s_barrier
	buffer_gl0_inv
	v_cmpx_lt_i32_e32 1, v88
	s_cbranch_execz .LBB34_41
; %bb.40:
	v_mul_f64 v[82:83], v[74:75], v[68:69]
	v_mul_f64 v[68:69], v[76:77], v[68:69]
	v_fma_f64 v[82:83], v[76:77], v[66:67], v[82:83]
	v_fma_f64 v[66:67], v[74:75], v[66:67], -v[68:69]
	ds_read2_b64 v[74:77], v1 offset0:4 offset1:5
	s_waitcnt lgkmcnt(0)
	v_mul_f64 v[68:69], v[76:77], v[82:83]
	v_fma_f64 v[68:69], v[74:75], v[66:67], -v[68:69]
	v_mul_f64 v[74:75], v[74:75], v[82:83]
	v_add_f64 v[62:63], v[62:63], -v[68:69]
	v_fma_f64 v[74:75], v[76:77], v[66:67], v[74:75]
	v_add_f64 v[64:65], v[64:65], -v[74:75]
	ds_read2_b64 v[74:77], v1 offset0:6 offset1:7
	s_waitcnt lgkmcnt(0)
	v_mul_f64 v[68:69], v[76:77], v[82:83]
	v_fma_f64 v[68:69], v[74:75], v[66:67], -v[68:69]
	v_mul_f64 v[74:75], v[74:75], v[82:83]
	v_add_f64 v[42:43], v[42:43], -v[68:69]
	v_fma_f64 v[74:75], v[76:77], v[66:67], v[74:75]
	v_add_f64 v[44:45], v[44:45], -v[74:75]
	;; [unrolled: 8-line block ×15, first 2 shown]
	ds_read2_b64 v[74:77], v1 offset0:34 offset1:35
	s_waitcnt lgkmcnt(0)
	v_mul_f64 v[68:69], v[76:77], v[82:83]
	v_fma_f64 v[68:69], v[74:75], v[66:67], -v[68:69]
	v_mul_f64 v[74:75], v[74:75], v[82:83]
	v_add_f64 v[2:3], v[2:3], -v[68:69]
	v_fma_f64 v[74:75], v[76:77], v[66:67], v[74:75]
	v_mov_b32_e32 v68, v82
	v_mov_b32_e32 v69, v83
	v_add_f64 v[4:5], v[4:5], -v[74:75]
.LBB34_41:
	s_or_b32 exec_lo, exec_lo, s0
	v_lshl_add_u32 v74, v88, 4, v1
	s_barrier
	buffer_gl0_inv
	v_mov_b32_e32 v82, 2
	ds_write2_b64 v74, v[62:63], v[64:65] offset1:1
	s_waitcnt lgkmcnt(0)
	s_barrier
	buffer_gl0_inv
	ds_read2_b64 v[74:77], v1 offset0:4 offset1:5
	s_cmp_lt_i32 s18, 4
	s_cbranch_scc1 .LBB34_44
; %bb.42:
	v_add3_u32 v83, v84, 0, 48
	v_mov_b32_e32 v82, 2
	s_mov_b32 s1, 3
	s_inst_prefetch 0x1
	.p2align	6
.LBB34_43:                              ; =>This Inner Loop Header: Depth=1
	s_waitcnt lgkmcnt(0)
	v_cmp_gt_f64_e32 vcc_lo, 0, v[76:77]
	v_cmp_gt_f64_e64 s0, 0, v[74:75]
	ds_read2_b64 v[89:92], v83 offset1:1
	v_xor_b32_e32 v94, 0x80000000, v75
	v_xor_b32_e32 v96, 0x80000000, v77
	v_mov_b32_e32 v93, v74
	v_mov_b32_e32 v95, v76
	v_add_nc_u32_e32 v83, 16, v83
	s_waitcnt lgkmcnt(0)
	v_xor_b32_e32 v98, 0x80000000, v92
	v_cndmask_b32_e64 v94, v75, v94, s0
	v_cndmask_b32_e32 v96, v77, v96, vcc_lo
	v_cmp_gt_f64_e32 vcc_lo, 0, v[91:92]
	v_cmp_gt_f64_e64 s0, 0, v[89:90]
	v_mov_b32_e32 v97, v91
	v_add_f64 v[93:94], v[93:94], v[95:96]
	v_xor_b32_e32 v96, 0x80000000, v90
	v_mov_b32_e32 v95, v89
	v_cndmask_b32_e32 v98, v92, v98, vcc_lo
	v_cndmask_b32_e64 v96, v90, v96, s0
	v_add_f64 v[95:96], v[95:96], v[97:98]
	v_cmp_lt_f64_e32 vcc_lo, v[93:94], v[95:96]
	v_cndmask_b32_e32 v75, v75, v90, vcc_lo
	v_cndmask_b32_e32 v74, v74, v89, vcc_lo
	;; [unrolled: 1-line block ×4, first 2 shown]
	v_cndmask_b32_e64 v82, v82, s1, vcc_lo
	s_add_i32 s1, s1, 1
	s_cmp_lg_u32 s18, s1
	s_cbranch_scc1 .LBB34_43
.LBB34_44:
	s_inst_prefetch 0x2
	s_waitcnt lgkmcnt(0)
	v_cmp_eq_f64_e32 vcc_lo, 0, v[74:75]
	v_cmp_eq_f64_e64 s0, 0, v[76:77]
	s_and_b32 s0, vcc_lo, s0
	s_and_saveexec_b32 s1, s0
	s_xor_b32 s0, exec_lo, s1
; %bb.45:
	v_cmp_ne_u32_e32 vcc_lo, 0, v87
	v_cndmask_b32_e32 v87, 3, v87, vcc_lo
; %bb.46:
	s_andn2_saveexec_b32 s0, s0
	s_cbranch_execz .LBB34_52
; %bb.47:
	v_cmp_ngt_f64_e64 s1, |v[74:75]|, |v[76:77]|
	s_and_saveexec_b32 s2, s1
	s_xor_b32 s1, exec_lo, s2
	s_cbranch_execz .LBB34_49
; %bb.48:
	v_div_scale_f64 v[89:90], null, v[76:77], v[76:77], v[74:75]
	v_div_scale_f64 v[95:96], vcc_lo, v[74:75], v[76:77], v[74:75]
	v_rcp_f64_e32 v[91:92], v[89:90]
	v_fma_f64 v[93:94], -v[89:90], v[91:92], 1.0
	v_fma_f64 v[91:92], v[91:92], v[93:94], v[91:92]
	v_fma_f64 v[93:94], -v[89:90], v[91:92], 1.0
	v_fma_f64 v[91:92], v[91:92], v[93:94], v[91:92]
	v_mul_f64 v[93:94], v[95:96], v[91:92]
	v_fma_f64 v[89:90], -v[89:90], v[93:94], v[95:96]
	v_div_fmas_f64 v[89:90], v[89:90], v[91:92], v[93:94]
	v_div_fixup_f64 v[89:90], v[89:90], v[76:77], v[74:75]
	v_fma_f64 v[74:75], v[74:75], v[89:90], v[76:77]
	v_div_scale_f64 v[76:77], null, v[74:75], v[74:75], 1.0
	v_rcp_f64_e32 v[91:92], v[76:77]
	v_fma_f64 v[93:94], -v[76:77], v[91:92], 1.0
	v_fma_f64 v[91:92], v[91:92], v[93:94], v[91:92]
	v_fma_f64 v[93:94], -v[76:77], v[91:92], 1.0
	v_fma_f64 v[91:92], v[91:92], v[93:94], v[91:92]
	v_div_scale_f64 v[93:94], vcc_lo, 1.0, v[74:75], 1.0
	v_mul_f64 v[95:96], v[93:94], v[91:92]
	v_fma_f64 v[76:77], -v[76:77], v[95:96], v[93:94]
	v_div_fmas_f64 v[76:77], v[76:77], v[91:92], v[95:96]
	v_div_fixup_f64 v[76:77], v[76:77], v[74:75], 1.0
	v_mul_f64 v[74:75], v[89:90], v[76:77]
	v_xor_b32_e32 v77, 0x80000000, v77
.LBB34_49:
	s_andn2_saveexec_b32 s1, s1
	s_cbranch_execz .LBB34_51
; %bb.50:
	v_div_scale_f64 v[89:90], null, v[74:75], v[74:75], v[76:77]
	v_div_scale_f64 v[95:96], vcc_lo, v[76:77], v[74:75], v[76:77]
	v_rcp_f64_e32 v[91:92], v[89:90]
	v_fma_f64 v[93:94], -v[89:90], v[91:92], 1.0
	v_fma_f64 v[91:92], v[91:92], v[93:94], v[91:92]
	v_fma_f64 v[93:94], -v[89:90], v[91:92], 1.0
	v_fma_f64 v[91:92], v[91:92], v[93:94], v[91:92]
	v_mul_f64 v[93:94], v[95:96], v[91:92]
	v_fma_f64 v[89:90], -v[89:90], v[93:94], v[95:96]
	v_div_fmas_f64 v[89:90], v[89:90], v[91:92], v[93:94]
	v_div_fixup_f64 v[89:90], v[89:90], v[74:75], v[76:77]
	v_fma_f64 v[74:75], v[76:77], v[89:90], v[74:75]
	v_div_scale_f64 v[76:77], null, v[74:75], v[74:75], 1.0
	v_rcp_f64_e32 v[91:92], v[76:77]
	v_fma_f64 v[93:94], -v[76:77], v[91:92], 1.0
	v_fma_f64 v[91:92], v[91:92], v[93:94], v[91:92]
	v_fma_f64 v[93:94], -v[76:77], v[91:92], 1.0
	v_fma_f64 v[91:92], v[91:92], v[93:94], v[91:92]
	v_div_scale_f64 v[93:94], vcc_lo, 1.0, v[74:75], 1.0
	v_mul_f64 v[95:96], v[93:94], v[91:92]
	v_fma_f64 v[76:77], -v[76:77], v[95:96], v[93:94]
	v_div_fmas_f64 v[76:77], v[76:77], v[91:92], v[95:96]
	v_div_fixup_f64 v[74:75], v[76:77], v[74:75], 1.0
	v_mul_f64 v[76:77], v[89:90], -v[74:75]
.LBB34_51:
	s_or_b32 exec_lo, exec_lo, s1
.LBB34_52:
	s_or_b32 exec_lo, exec_lo, s0
	s_mov_b32 s0, exec_lo
	v_cmpx_ne_u32_e64 v88, v82
	s_xor_b32 s0, exec_lo, s0
	s_cbranch_execz .LBB34_58
; %bb.53:
	s_mov_b32 s1, exec_lo
	v_cmpx_eq_u32_e32 2, v88
	s_cbranch_execz .LBB34_57
; %bb.54:
	v_cmp_ne_u32_e32 vcc_lo, 2, v82
	s_xor_b32 s2, s16, -1
	s_and_b32 s3, s2, vcc_lo
	s_and_saveexec_b32 s2, s3
	s_cbranch_execz .LBB34_56
; %bb.55:
	v_ashrrev_i32_e32 v83, 31, v82
	v_lshlrev_b64 v[88:89], 2, v[82:83]
	v_add_co_u32 v88, vcc_lo, v80, v88
	v_add_co_ci_u32_e64 v89, null, v81, v89, vcc_lo
	s_clause 0x1
	global_load_dword v0, v[88:89], off
	global_load_dword v83, v[80:81], off offset:8
	s_waitcnt vmcnt(1)
	global_store_dword v[80:81], v0, off offset:8
	s_waitcnt vmcnt(0)
	global_store_dword v[88:89], v83, off
.LBB34_56:
	s_or_b32 exec_lo, exec_lo, s2
	v_mov_b32_e32 v88, v82
	v_mov_b32_e32 v0, v82
.LBB34_57:
	s_or_b32 exec_lo, exec_lo, s1
.LBB34_58:
	s_andn2_saveexec_b32 s0, s0
	s_cbranch_execz .LBB34_60
; %bb.59:
	v_mov_b32_e32 v88, 2
	ds_write2_b64 v1, v[42:43], v[44:45] offset0:6 offset1:7
	ds_write2_b64 v1, v[50:51], v[52:53] offset0:8 offset1:9
	;; [unrolled: 1-line block ×15, first 2 shown]
.LBB34_60:
	s_or_b32 exec_lo, exec_lo, s0
	s_mov_b32 s0, exec_lo
	s_waitcnt lgkmcnt(0)
	s_waitcnt_vscnt null, 0x0
	s_barrier
	buffer_gl0_inv
	v_cmpx_lt_i32_e32 2, v88
	s_cbranch_execz .LBB34_62
; %bb.61:
	v_mul_f64 v[82:83], v[74:75], v[64:65]
	v_mul_f64 v[64:65], v[76:77], v[64:65]
	v_fma_f64 v[82:83], v[76:77], v[62:63], v[82:83]
	v_fma_f64 v[62:63], v[74:75], v[62:63], -v[64:65]
	ds_read2_b64 v[74:77], v1 offset0:6 offset1:7
	s_waitcnt lgkmcnt(0)
	v_mul_f64 v[64:65], v[76:77], v[82:83]
	v_fma_f64 v[64:65], v[74:75], v[62:63], -v[64:65]
	v_mul_f64 v[74:75], v[74:75], v[82:83]
	v_add_f64 v[42:43], v[42:43], -v[64:65]
	v_fma_f64 v[74:75], v[76:77], v[62:63], v[74:75]
	v_add_f64 v[44:45], v[44:45], -v[74:75]
	ds_read2_b64 v[74:77], v1 offset0:8 offset1:9
	s_waitcnt lgkmcnt(0)
	v_mul_f64 v[64:65], v[76:77], v[82:83]
	v_fma_f64 v[64:65], v[74:75], v[62:63], -v[64:65]
	v_mul_f64 v[74:75], v[74:75], v[82:83]
	v_add_f64 v[50:51], v[50:51], -v[64:65]
	v_fma_f64 v[74:75], v[76:77], v[62:63], v[74:75]
	v_add_f64 v[52:53], v[52:53], -v[74:75]
	;; [unrolled: 8-line block ×14, first 2 shown]
	ds_read2_b64 v[74:77], v1 offset0:34 offset1:35
	s_waitcnt lgkmcnt(0)
	v_mul_f64 v[64:65], v[76:77], v[82:83]
	v_fma_f64 v[64:65], v[74:75], v[62:63], -v[64:65]
	v_mul_f64 v[74:75], v[74:75], v[82:83]
	v_add_f64 v[2:3], v[2:3], -v[64:65]
	v_fma_f64 v[74:75], v[76:77], v[62:63], v[74:75]
	v_mov_b32_e32 v64, v82
	v_mov_b32_e32 v65, v83
	v_add_f64 v[4:5], v[4:5], -v[74:75]
.LBB34_62:
	s_or_b32 exec_lo, exec_lo, s0
	v_lshl_add_u32 v74, v88, 4, v1
	s_barrier
	buffer_gl0_inv
	v_mov_b32_e32 v82, 3
	ds_write2_b64 v74, v[42:43], v[44:45] offset1:1
	s_waitcnt lgkmcnt(0)
	s_barrier
	buffer_gl0_inv
	ds_read2_b64 v[74:77], v1 offset0:6 offset1:7
	s_cmp_lt_i32 s18, 5
	s_mov_b32 s1, 4
	s_cbranch_scc1 .LBB34_65
; %bb.63:
	v_add3_u32 v83, v84, 0, 64
	v_mov_b32_e32 v82, 3
	s_inst_prefetch 0x1
	.p2align	6
.LBB34_64:                              ; =>This Inner Loop Header: Depth=1
	s_waitcnt lgkmcnt(0)
	v_cmp_gt_f64_e32 vcc_lo, 0, v[76:77]
	v_cmp_gt_f64_e64 s0, 0, v[74:75]
	ds_read2_b64 v[89:92], v83 offset1:1
	v_xor_b32_e32 v94, 0x80000000, v75
	v_xor_b32_e32 v96, 0x80000000, v77
	v_mov_b32_e32 v93, v74
	v_mov_b32_e32 v95, v76
	v_add_nc_u32_e32 v83, 16, v83
	s_waitcnt lgkmcnt(0)
	v_xor_b32_e32 v98, 0x80000000, v92
	v_cndmask_b32_e64 v94, v75, v94, s0
	v_cndmask_b32_e32 v96, v77, v96, vcc_lo
	v_cmp_gt_f64_e32 vcc_lo, 0, v[91:92]
	v_cmp_gt_f64_e64 s0, 0, v[89:90]
	v_mov_b32_e32 v97, v91
	v_add_f64 v[93:94], v[93:94], v[95:96]
	v_xor_b32_e32 v96, 0x80000000, v90
	v_mov_b32_e32 v95, v89
	v_cndmask_b32_e32 v98, v92, v98, vcc_lo
	v_cndmask_b32_e64 v96, v90, v96, s0
	v_add_f64 v[95:96], v[95:96], v[97:98]
	v_cmp_lt_f64_e32 vcc_lo, v[93:94], v[95:96]
	v_cndmask_b32_e32 v75, v75, v90, vcc_lo
	v_cndmask_b32_e32 v74, v74, v89, vcc_lo
	;; [unrolled: 1-line block ×4, first 2 shown]
	v_cndmask_b32_e64 v82, v82, s1, vcc_lo
	s_add_i32 s1, s1, 1
	s_cmp_lg_u32 s18, s1
	s_cbranch_scc1 .LBB34_64
.LBB34_65:
	s_inst_prefetch 0x2
	s_waitcnt lgkmcnt(0)
	v_cmp_eq_f64_e32 vcc_lo, 0, v[74:75]
	v_cmp_eq_f64_e64 s0, 0, v[76:77]
	s_and_b32 s0, vcc_lo, s0
	s_and_saveexec_b32 s1, s0
	s_xor_b32 s0, exec_lo, s1
; %bb.66:
	v_cmp_ne_u32_e32 vcc_lo, 0, v87
	v_cndmask_b32_e32 v87, 4, v87, vcc_lo
; %bb.67:
	s_andn2_saveexec_b32 s0, s0
	s_cbranch_execz .LBB34_73
; %bb.68:
	v_cmp_ngt_f64_e64 s1, |v[74:75]|, |v[76:77]|
	s_and_saveexec_b32 s2, s1
	s_xor_b32 s1, exec_lo, s2
	s_cbranch_execz .LBB34_70
; %bb.69:
	v_div_scale_f64 v[89:90], null, v[76:77], v[76:77], v[74:75]
	v_div_scale_f64 v[95:96], vcc_lo, v[74:75], v[76:77], v[74:75]
	v_rcp_f64_e32 v[91:92], v[89:90]
	v_fma_f64 v[93:94], -v[89:90], v[91:92], 1.0
	v_fma_f64 v[91:92], v[91:92], v[93:94], v[91:92]
	v_fma_f64 v[93:94], -v[89:90], v[91:92], 1.0
	v_fma_f64 v[91:92], v[91:92], v[93:94], v[91:92]
	v_mul_f64 v[93:94], v[95:96], v[91:92]
	v_fma_f64 v[89:90], -v[89:90], v[93:94], v[95:96]
	v_div_fmas_f64 v[89:90], v[89:90], v[91:92], v[93:94]
	v_div_fixup_f64 v[89:90], v[89:90], v[76:77], v[74:75]
	v_fma_f64 v[74:75], v[74:75], v[89:90], v[76:77]
	v_div_scale_f64 v[76:77], null, v[74:75], v[74:75], 1.0
	v_rcp_f64_e32 v[91:92], v[76:77]
	v_fma_f64 v[93:94], -v[76:77], v[91:92], 1.0
	v_fma_f64 v[91:92], v[91:92], v[93:94], v[91:92]
	v_fma_f64 v[93:94], -v[76:77], v[91:92], 1.0
	v_fma_f64 v[91:92], v[91:92], v[93:94], v[91:92]
	v_div_scale_f64 v[93:94], vcc_lo, 1.0, v[74:75], 1.0
	v_mul_f64 v[95:96], v[93:94], v[91:92]
	v_fma_f64 v[76:77], -v[76:77], v[95:96], v[93:94]
	v_div_fmas_f64 v[76:77], v[76:77], v[91:92], v[95:96]
	v_div_fixup_f64 v[76:77], v[76:77], v[74:75], 1.0
	v_mul_f64 v[74:75], v[89:90], v[76:77]
	v_xor_b32_e32 v77, 0x80000000, v77
.LBB34_70:
	s_andn2_saveexec_b32 s1, s1
	s_cbranch_execz .LBB34_72
; %bb.71:
	v_div_scale_f64 v[89:90], null, v[74:75], v[74:75], v[76:77]
	v_div_scale_f64 v[95:96], vcc_lo, v[76:77], v[74:75], v[76:77]
	v_rcp_f64_e32 v[91:92], v[89:90]
	v_fma_f64 v[93:94], -v[89:90], v[91:92], 1.0
	v_fma_f64 v[91:92], v[91:92], v[93:94], v[91:92]
	v_fma_f64 v[93:94], -v[89:90], v[91:92], 1.0
	v_fma_f64 v[91:92], v[91:92], v[93:94], v[91:92]
	v_mul_f64 v[93:94], v[95:96], v[91:92]
	v_fma_f64 v[89:90], -v[89:90], v[93:94], v[95:96]
	v_div_fmas_f64 v[89:90], v[89:90], v[91:92], v[93:94]
	v_div_fixup_f64 v[89:90], v[89:90], v[74:75], v[76:77]
	v_fma_f64 v[74:75], v[76:77], v[89:90], v[74:75]
	v_div_scale_f64 v[76:77], null, v[74:75], v[74:75], 1.0
	v_rcp_f64_e32 v[91:92], v[76:77]
	v_fma_f64 v[93:94], -v[76:77], v[91:92], 1.0
	v_fma_f64 v[91:92], v[91:92], v[93:94], v[91:92]
	v_fma_f64 v[93:94], -v[76:77], v[91:92], 1.0
	v_fma_f64 v[91:92], v[91:92], v[93:94], v[91:92]
	v_div_scale_f64 v[93:94], vcc_lo, 1.0, v[74:75], 1.0
	v_mul_f64 v[95:96], v[93:94], v[91:92]
	v_fma_f64 v[76:77], -v[76:77], v[95:96], v[93:94]
	v_div_fmas_f64 v[76:77], v[76:77], v[91:92], v[95:96]
	v_div_fixup_f64 v[74:75], v[76:77], v[74:75], 1.0
	v_mul_f64 v[76:77], v[89:90], -v[74:75]
.LBB34_72:
	s_or_b32 exec_lo, exec_lo, s1
.LBB34_73:
	s_or_b32 exec_lo, exec_lo, s0
	s_mov_b32 s0, exec_lo
	v_cmpx_ne_u32_e64 v88, v82
	s_xor_b32 s0, exec_lo, s0
	s_cbranch_execz .LBB34_79
; %bb.74:
	s_mov_b32 s1, exec_lo
	v_cmpx_eq_u32_e32 3, v88
	s_cbranch_execz .LBB34_78
; %bb.75:
	v_cmp_ne_u32_e32 vcc_lo, 3, v82
	s_xor_b32 s2, s16, -1
	s_and_b32 s3, s2, vcc_lo
	s_and_saveexec_b32 s2, s3
	s_cbranch_execz .LBB34_77
; %bb.76:
	v_ashrrev_i32_e32 v83, 31, v82
	v_lshlrev_b64 v[88:89], 2, v[82:83]
	v_add_co_u32 v88, vcc_lo, v80, v88
	v_add_co_ci_u32_e64 v89, null, v81, v89, vcc_lo
	s_clause 0x1
	global_load_dword v0, v[88:89], off
	global_load_dword v83, v[80:81], off offset:12
	s_waitcnt vmcnt(1)
	global_store_dword v[80:81], v0, off offset:12
	s_waitcnt vmcnt(0)
	global_store_dword v[88:89], v83, off
.LBB34_77:
	s_or_b32 exec_lo, exec_lo, s2
	v_mov_b32_e32 v88, v82
	v_mov_b32_e32 v0, v82
.LBB34_78:
	s_or_b32 exec_lo, exec_lo, s1
.LBB34_79:
	s_andn2_saveexec_b32 s0, s0
	s_cbranch_execz .LBB34_81
; %bb.80:
	v_mov_b32_e32 v88, 3
	ds_write2_b64 v1, v[50:51], v[52:53] offset0:8 offset1:9
	ds_write2_b64 v1, v[46:47], v[48:49] offset0:10 offset1:11
	;; [unrolled: 1-line block ×14, first 2 shown]
.LBB34_81:
	s_or_b32 exec_lo, exec_lo, s0
	s_mov_b32 s0, exec_lo
	s_waitcnt lgkmcnt(0)
	s_waitcnt_vscnt null, 0x0
	s_barrier
	buffer_gl0_inv
	v_cmpx_lt_i32_e32 3, v88
	s_cbranch_execz .LBB34_83
; %bb.82:
	v_mul_f64 v[82:83], v[74:75], v[44:45]
	v_mul_f64 v[44:45], v[76:77], v[44:45]
	v_fma_f64 v[82:83], v[76:77], v[42:43], v[82:83]
	v_fma_f64 v[42:43], v[74:75], v[42:43], -v[44:45]
	ds_read2_b64 v[74:77], v1 offset0:8 offset1:9
	s_waitcnt lgkmcnt(0)
	v_mul_f64 v[44:45], v[76:77], v[82:83]
	v_fma_f64 v[44:45], v[74:75], v[42:43], -v[44:45]
	v_mul_f64 v[74:75], v[74:75], v[82:83]
	v_add_f64 v[50:51], v[50:51], -v[44:45]
	v_fma_f64 v[74:75], v[76:77], v[42:43], v[74:75]
	v_add_f64 v[52:53], v[52:53], -v[74:75]
	ds_read2_b64 v[74:77], v1 offset0:10 offset1:11
	s_waitcnt lgkmcnt(0)
	v_mul_f64 v[44:45], v[76:77], v[82:83]
	v_fma_f64 v[44:45], v[74:75], v[42:43], -v[44:45]
	v_mul_f64 v[74:75], v[74:75], v[82:83]
	v_add_f64 v[46:47], v[46:47], -v[44:45]
	v_fma_f64 v[74:75], v[76:77], v[42:43], v[74:75]
	v_add_f64 v[48:49], v[48:49], -v[74:75]
	;; [unrolled: 8-line block ×13, first 2 shown]
	ds_read2_b64 v[74:77], v1 offset0:34 offset1:35
	s_waitcnt lgkmcnt(0)
	v_mul_f64 v[44:45], v[76:77], v[82:83]
	v_fma_f64 v[44:45], v[74:75], v[42:43], -v[44:45]
	v_mul_f64 v[74:75], v[74:75], v[82:83]
	v_add_f64 v[2:3], v[2:3], -v[44:45]
	v_fma_f64 v[74:75], v[76:77], v[42:43], v[74:75]
	v_mov_b32_e32 v44, v82
	v_mov_b32_e32 v45, v83
	v_add_f64 v[4:5], v[4:5], -v[74:75]
.LBB34_83:
	s_or_b32 exec_lo, exec_lo, s0
	v_lshl_add_u32 v74, v88, 4, v1
	s_barrier
	buffer_gl0_inv
	v_mov_b32_e32 v82, 4
	ds_write2_b64 v74, v[50:51], v[52:53] offset1:1
	s_waitcnt lgkmcnt(0)
	s_barrier
	buffer_gl0_inv
	ds_read2_b64 v[74:77], v1 offset0:8 offset1:9
	s_cmp_lt_i32 s18, 6
	s_cbranch_scc1 .LBB34_86
; %bb.84:
	v_mov_b32_e32 v82, 4
	v_add3_u32 v83, v84, 0, 0x50
	s_mov_b32 s1, 5
	s_inst_prefetch 0x1
	.p2align	6
.LBB34_85:                              ; =>This Inner Loop Header: Depth=1
	s_waitcnt lgkmcnt(0)
	v_cmp_gt_f64_e32 vcc_lo, 0, v[76:77]
	v_cmp_gt_f64_e64 s0, 0, v[74:75]
	ds_read2_b64 v[89:92], v83 offset1:1
	v_xor_b32_e32 v94, 0x80000000, v75
	v_xor_b32_e32 v96, 0x80000000, v77
	v_mov_b32_e32 v93, v74
	v_mov_b32_e32 v95, v76
	v_add_nc_u32_e32 v83, 16, v83
	s_waitcnt lgkmcnt(0)
	v_xor_b32_e32 v98, 0x80000000, v92
	v_cndmask_b32_e64 v94, v75, v94, s0
	v_cndmask_b32_e32 v96, v77, v96, vcc_lo
	v_cmp_gt_f64_e32 vcc_lo, 0, v[91:92]
	v_cmp_gt_f64_e64 s0, 0, v[89:90]
	v_mov_b32_e32 v97, v91
	v_add_f64 v[93:94], v[93:94], v[95:96]
	v_xor_b32_e32 v96, 0x80000000, v90
	v_mov_b32_e32 v95, v89
	v_cndmask_b32_e32 v98, v92, v98, vcc_lo
	v_cndmask_b32_e64 v96, v90, v96, s0
	v_add_f64 v[95:96], v[95:96], v[97:98]
	v_cmp_lt_f64_e32 vcc_lo, v[93:94], v[95:96]
	v_cndmask_b32_e32 v75, v75, v90, vcc_lo
	v_cndmask_b32_e32 v74, v74, v89, vcc_lo
	;; [unrolled: 1-line block ×4, first 2 shown]
	v_cndmask_b32_e64 v82, v82, s1, vcc_lo
	s_add_i32 s1, s1, 1
	s_cmp_lg_u32 s18, s1
	s_cbranch_scc1 .LBB34_85
.LBB34_86:
	s_inst_prefetch 0x2
	s_waitcnt lgkmcnt(0)
	v_cmp_eq_f64_e32 vcc_lo, 0, v[74:75]
	v_cmp_eq_f64_e64 s0, 0, v[76:77]
	s_and_b32 s0, vcc_lo, s0
	s_and_saveexec_b32 s1, s0
	s_xor_b32 s0, exec_lo, s1
; %bb.87:
	v_cmp_ne_u32_e32 vcc_lo, 0, v87
	v_cndmask_b32_e32 v87, 5, v87, vcc_lo
; %bb.88:
	s_andn2_saveexec_b32 s0, s0
	s_cbranch_execz .LBB34_94
; %bb.89:
	v_cmp_ngt_f64_e64 s1, |v[74:75]|, |v[76:77]|
	s_and_saveexec_b32 s2, s1
	s_xor_b32 s1, exec_lo, s2
	s_cbranch_execz .LBB34_91
; %bb.90:
	v_div_scale_f64 v[89:90], null, v[76:77], v[76:77], v[74:75]
	v_div_scale_f64 v[95:96], vcc_lo, v[74:75], v[76:77], v[74:75]
	v_rcp_f64_e32 v[91:92], v[89:90]
	v_fma_f64 v[93:94], -v[89:90], v[91:92], 1.0
	v_fma_f64 v[91:92], v[91:92], v[93:94], v[91:92]
	v_fma_f64 v[93:94], -v[89:90], v[91:92], 1.0
	v_fma_f64 v[91:92], v[91:92], v[93:94], v[91:92]
	v_mul_f64 v[93:94], v[95:96], v[91:92]
	v_fma_f64 v[89:90], -v[89:90], v[93:94], v[95:96]
	v_div_fmas_f64 v[89:90], v[89:90], v[91:92], v[93:94]
	v_div_fixup_f64 v[89:90], v[89:90], v[76:77], v[74:75]
	v_fma_f64 v[74:75], v[74:75], v[89:90], v[76:77]
	v_div_scale_f64 v[76:77], null, v[74:75], v[74:75], 1.0
	v_rcp_f64_e32 v[91:92], v[76:77]
	v_fma_f64 v[93:94], -v[76:77], v[91:92], 1.0
	v_fma_f64 v[91:92], v[91:92], v[93:94], v[91:92]
	v_fma_f64 v[93:94], -v[76:77], v[91:92], 1.0
	v_fma_f64 v[91:92], v[91:92], v[93:94], v[91:92]
	v_div_scale_f64 v[93:94], vcc_lo, 1.0, v[74:75], 1.0
	v_mul_f64 v[95:96], v[93:94], v[91:92]
	v_fma_f64 v[76:77], -v[76:77], v[95:96], v[93:94]
	v_div_fmas_f64 v[76:77], v[76:77], v[91:92], v[95:96]
	v_div_fixup_f64 v[76:77], v[76:77], v[74:75], 1.0
	v_mul_f64 v[74:75], v[89:90], v[76:77]
	v_xor_b32_e32 v77, 0x80000000, v77
.LBB34_91:
	s_andn2_saveexec_b32 s1, s1
	s_cbranch_execz .LBB34_93
; %bb.92:
	v_div_scale_f64 v[89:90], null, v[74:75], v[74:75], v[76:77]
	v_div_scale_f64 v[95:96], vcc_lo, v[76:77], v[74:75], v[76:77]
	v_rcp_f64_e32 v[91:92], v[89:90]
	v_fma_f64 v[93:94], -v[89:90], v[91:92], 1.0
	v_fma_f64 v[91:92], v[91:92], v[93:94], v[91:92]
	v_fma_f64 v[93:94], -v[89:90], v[91:92], 1.0
	v_fma_f64 v[91:92], v[91:92], v[93:94], v[91:92]
	v_mul_f64 v[93:94], v[95:96], v[91:92]
	v_fma_f64 v[89:90], -v[89:90], v[93:94], v[95:96]
	v_div_fmas_f64 v[89:90], v[89:90], v[91:92], v[93:94]
	v_div_fixup_f64 v[89:90], v[89:90], v[74:75], v[76:77]
	v_fma_f64 v[74:75], v[76:77], v[89:90], v[74:75]
	v_div_scale_f64 v[76:77], null, v[74:75], v[74:75], 1.0
	v_rcp_f64_e32 v[91:92], v[76:77]
	v_fma_f64 v[93:94], -v[76:77], v[91:92], 1.0
	v_fma_f64 v[91:92], v[91:92], v[93:94], v[91:92]
	v_fma_f64 v[93:94], -v[76:77], v[91:92], 1.0
	v_fma_f64 v[91:92], v[91:92], v[93:94], v[91:92]
	v_div_scale_f64 v[93:94], vcc_lo, 1.0, v[74:75], 1.0
	v_mul_f64 v[95:96], v[93:94], v[91:92]
	v_fma_f64 v[76:77], -v[76:77], v[95:96], v[93:94]
	v_div_fmas_f64 v[76:77], v[76:77], v[91:92], v[95:96]
	v_div_fixup_f64 v[74:75], v[76:77], v[74:75], 1.0
	v_mul_f64 v[76:77], v[89:90], -v[74:75]
.LBB34_93:
	s_or_b32 exec_lo, exec_lo, s1
.LBB34_94:
	s_or_b32 exec_lo, exec_lo, s0
	s_mov_b32 s0, exec_lo
	v_cmpx_ne_u32_e64 v88, v82
	s_xor_b32 s0, exec_lo, s0
	s_cbranch_execz .LBB34_100
; %bb.95:
	s_mov_b32 s1, exec_lo
	v_cmpx_eq_u32_e32 4, v88
	s_cbranch_execz .LBB34_99
; %bb.96:
	v_cmp_ne_u32_e32 vcc_lo, 4, v82
	s_xor_b32 s2, s16, -1
	s_and_b32 s3, s2, vcc_lo
	s_and_saveexec_b32 s2, s3
	s_cbranch_execz .LBB34_98
; %bb.97:
	v_ashrrev_i32_e32 v83, 31, v82
	v_lshlrev_b64 v[88:89], 2, v[82:83]
	v_add_co_u32 v88, vcc_lo, v80, v88
	v_add_co_ci_u32_e64 v89, null, v81, v89, vcc_lo
	s_clause 0x1
	global_load_dword v0, v[88:89], off
	global_load_dword v83, v[80:81], off offset:16
	s_waitcnt vmcnt(1)
	global_store_dword v[80:81], v0, off offset:16
	s_waitcnt vmcnt(0)
	global_store_dword v[88:89], v83, off
.LBB34_98:
	s_or_b32 exec_lo, exec_lo, s2
	v_mov_b32_e32 v88, v82
	v_mov_b32_e32 v0, v82
.LBB34_99:
	s_or_b32 exec_lo, exec_lo, s1
.LBB34_100:
	s_andn2_saveexec_b32 s0, s0
	s_cbranch_execz .LBB34_102
; %bb.101:
	v_mov_b32_e32 v88, 4
	ds_write2_b64 v1, v[46:47], v[48:49] offset0:10 offset1:11
	ds_write2_b64 v1, v[58:59], v[60:61] offset0:12 offset1:13
	;; [unrolled: 1-line block ×13, first 2 shown]
.LBB34_102:
	s_or_b32 exec_lo, exec_lo, s0
	s_mov_b32 s0, exec_lo
	s_waitcnt lgkmcnt(0)
	s_waitcnt_vscnt null, 0x0
	s_barrier
	buffer_gl0_inv
	v_cmpx_lt_i32_e32 4, v88
	s_cbranch_execz .LBB34_104
; %bb.103:
	v_mul_f64 v[82:83], v[74:75], v[52:53]
	v_mul_f64 v[52:53], v[76:77], v[52:53]
	v_fma_f64 v[82:83], v[76:77], v[50:51], v[82:83]
	v_fma_f64 v[50:51], v[74:75], v[50:51], -v[52:53]
	ds_read2_b64 v[74:77], v1 offset0:10 offset1:11
	s_waitcnt lgkmcnt(0)
	v_mul_f64 v[52:53], v[76:77], v[82:83]
	v_fma_f64 v[52:53], v[74:75], v[50:51], -v[52:53]
	v_mul_f64 v[74:75], v[74:75], v[82:83]
	v_add_f64 v[46:47], v[46:47], -v[52:53]
	v_fma_f64 v[74:75], v[76:77], v[50:51], v[74:75]
	v_add_f64 v[48:49], v[48:49], -v[74:75]
	ds_read2_b64 v[74:77], v1 offset0:12 offset1:13
	s_waitcnt lgkmcnt(0)
	v_mul_f64 v[52:53], v[76:77], v[82:83]
	v_fma_f64 v[52:53], v[74:75], v[50:51], -v[52:53]
	v_mul_f64 v[74:75], v[74:75], v[82:83]
	v_add_f64 v[58:59], v[58:59], -v[52:53]
	v_fma_f64 v[74:75], v[76:77], v[50:51], v[74:75]
	v_add_f64 v[60:61], v[60:61], -v[74:75]
	ds_read2_b64 v[74:77], v1 offset0:14 offset1:15
	s_waitcnt lgkmcnt(0)
	v_mul_f64 v[52:53], v[76:77], v[82:83]
	v_fma_f64 v[52:53], v[74:75], v[50:51], -v[52:53]
	v_mul_f64 v[74:75], v[74:75], v[82:83]
	v_add_f64 v[54:55], v[54:55], -v[52:53]
	v_fma_f64 v[74:75], v[76:77], v[50:51], v[74:75]
	v_add_f64 v[56:57], v[56:57], -v[74:75]
	ds_read2_b64 v[74:77], v1 offset0:16 offset1:17
	s_waitcnt lgkmcnt(0)
	v_mul_f64 v[52:53], v[76:77], v[82:83]
	v_fma_f64 v[52:53], v[74:75], v[50:51], -v[52:53]
	v_mul_f64 v[74:75], v[74:75], v[82:83]
	v_add_f64 v[38:39], v[38:39], -v[52:53]
	v_fma_f64 v[74:75], v[76:77], v[50:51], v[74:75]
	v_add_f64 v[40:41], v[40:41], -v[74:75]
	ds_read2_b64 v[74:77], v1 offset0:18 offset1:19
	s_waitcnt lgkmcnt(0)
	v_mul_f64 v[52:53], v[76:77], v[82:83]
	v_fma_f64 v[52:53], v[74:75], v[50:51], -v[52:53]
	v_mul_f64 v[74:75], v[74:75], v[82:83]
	v_add_f64 v[34:35], v[34:35], -v[52:53]
	v_fma_f64 v[74:75], v[76:77], v[50:51], v[74:75]
	v_add_f64 v[36:37], v[36:37], -v[74:75]
	ds_read2_b64 v[74:77], v1 offset0:20 offset1:21
	s_waitcnt lgkmcnt(0)
	v_mul_f64 v[52:53], v[76:77], v[82:83]
	v_fma_f64 v[52:53], v[74:75], v[50:51], -v[52:53]
	v_mul_f64 v[74:75], v[74:75], v[82:83]
	v_add_f64 v[30:31], v[30:31], -v[52:53]
	v_fma_f64 v[74:75], v[76:77], v[50:51], v[74:75]
	v_add_f64 v[32:33], v[32:33], -v[74:75]
	ds_read2_b64 v[74:77], v1 offset0:22 offset1:23
	s_waitcnt lgkmcnt(0)
	v_mul_f64 v[52:53], v[76:77], v[82:83]
	v_fma_f64 v[52:53], v[74:75], v[50:51], -v[52:53]
	v_mul_f64 v[74:75], v[74:75], v[82:83]
	v_add_f64 v[26:27], v[26:27], -v[52:53]
	v_fma_f64 v[74:75], v[76:77], v[50:51], v[74:75]
	v_add_f64 v[28:29], v[28:29], -v[74:75]
	ds_read2_b64 v[74:77], v1 offset0:24 offset1:25
	s_waitcnt lgkmcnt(0)
	v_mul_f64 v[52:53], v[76:77], v[82:83]
	v_fma_f64 v[52:53], v[74:75], v[50:51], -v[52:53]
	v_mul_f64 v[74:75], v[74:75], v[82:83]
	v_add_f64 v[22:23], v[22:23], -v[52:53]
	v_fma_f64 v[74:75], v[76:77], v[50:51], v[74:75]
	v_add_f64 v[24:25], v[24:25], -v[74:75]
	ds_read2_b64 v[74:77], v1 offset0:26 offset1:27
	s_waitcnt lgkmcnt(0)
	v_mul_f64 v[52:53], v[76:77], v[82:83]
	v_fma_f64 v[52:53], v[74:75], v[50:51], -v[52:53]
	v_mul_f64 v[74:75], v[74:75], v[82:83]
	v_add_f64 v[18:19], v[18:19], -v[52:53]
	v_fma_f64 v[74:75], v[76:77], v[50:51], v[74:75]
	v_add_f64 v[20:21], v[20:21], -v[74:75]
	ds_read2_b64 v[74:77], v1 offset0:28 offset1:29
	s_waitcnt lgkmcnt(0)
	v_mul_f64 v[52:53], v[76:77], v[82:83]
	v_fma_f64 v[52:53], v[74:75], v[50:51], -v[52:53]
	v_mul_f64 v[74:75], v[74:75], v[82:83]
	v_add_f64 v[14:15], v[14:15], -v[52:53]
	v_fma_f64 v[74:75], v[76:77], v[50:51], v[74:75]
	v_add_f64 v[16:17], v[16:17], -v[74:75]
	ds_read2_b64 v[74:77], v1 offset0:30 offset1:31
	s_waitcnt lgkmcnt(0)
	v_mul_f64 v[52:53], v[76:77], v[82:83]
	v_fma_f64 v[52:53], v[74:75], v[50:51], -v[52:53]
	v_mul_f64 v[74:75], v[74:75], v[82:83]
	v_add_f64 v[10:11], v[10:11], -v[52:53]
	v_fma_f64 v[74:75], v[76:77], v[50:51], v[74:75]
	v_add_f64 v[12:13], v[12:13], -v[74:75]
	ds_read2_b64 v[74:77], v1 offset0:32 offset1:33
	s_waitcnt lgkmcnt(0)
	v_mul_f64 v[52:53], v[76:77], v[82:83]
	v_fma_f64 v[52:53], v[74:75], v[50:51], -v[52:53]
	v_mul_f64 v[74:75], v[74:75], v[82:83]
	v_add_f64 v[6:7], v[6:7], -v[52:53]
	v_fma_f64 v[74:75], v[76:77], v[50:51], v[74:75]
	v_add_f64 v[8:9], v[8:9], -v[74:75]
	ds_read2_b64 v[74:77], v1 offset0:34 offset1:35
	s_waitcnt lgkmcnt(0)
	v_mul_f64 v[52:53], v[76:77], v[82:83]
	v_fma_f64 v[52:53], v[74:75], v[50:51], -v[52:53]
	v_mul_f64 v[74:75], v[74:75], v[82:83]
	v_add_f64 v[2:3], v[2:3], -v[52:53]
	v_fma_f64 v[74:75], v[76:77], v[50:51], v[74:75]
	v_mov_b32_e32 v52, v82
	v_mov_b32_e32 v53, v83
	v_add_f64 v[4:5], v[4:5], -v[74:75]
.LBB34_104:
	s_or_b32 exec_lo, exec_lo, s0
	v_lshl_add_u32 v74, v88, 4, v1
	s_barrier
	buffer_gl0_inv
	v_mov_b32_e32 v82, 5
	ds_write2_b64 v74, v[46:47], v[48:49] offset1:1
	s_waitcnt lgkmcnt(0)
	s_barrier
	buffer_gl0_inv
	ds_read2_b64 v[74:77], v1 offset0:10 offset1:11
	s_cmp_lt_i32 s18, 7
	s_cbranch_scc1 .LBB34_107
; %bb.105:
	v_add3_u32 v83, v84, 0, 0x60
	v_mov_b32_e32 v82, 5
	s_mov_b32 s1, 6
	s_inst_prefetch 0x1
	.p2align	6
.LBB34_106:                             ; =>This Inner Loop Header: Depth=1
	s_waitcnt lgkmcnt(0)
	v_cmp_gt_f64_e32 vcc_lo, 0, v[76:77]
	v_cmp_gt_f64_e64 s0, 0, v[74:75]
	ds_read2_b64 v[89:92], v83 offset1:1
	v_xor_b32_e32 v94, 0x80000000, v75
	v_xor_b32_e32 v96, 0x80000000, v77
	v_mov_b32_e32 v93, v74
	v_mov_b32_e32 v95, v76
	v_add_nc_u32_e32 v83, 16, v83
	s_waitcnt lgkmcnt(0)
	v_xor_b32_e32 v98, 0x80000000, v92
	v_cndmask_b32_e64 v94, v75, v94, s0
	v_cndmask_b32_e32 v96, v77, v96, vcc_lo
	v_cmp_gt_f64_e32 vcc_lo, 0, v[91:92]
	v_cmp_gt_f64_e64 s0, 0, v[89:90]
	v_mov_b32_e32 v97, v91
	v_add_f64 v[93:94], v[93:94], v[95:96]
	v_xor_b32_e32 v96, 0x80000000, v90
	v_mov_b32_e32 v95, v89
	v_cndmask_b32_e32 v98, v92, v98, vcc_lo
	v_cndmask_b32_e64 v96, v90, v96, s0
	v_add_f64 v[95:96], v[95:96], v[97:98]
	v_cmp_lt_f64_e32 vcc_lo, v[93:94], v[95:96]
	v_cndmask_b32_e32 v75, v75, v90, vcc_lo
	v_cndmask_b32_e32 v74, v74, v89, vcc_lo
	;; [unrolled: 1-line block ×4, first 2 shown]
	v_cndmask_b32_e64 v82, v82, s1, vcc_lo
	s_add_i32 s1, s1, 1
	s_cmp_lg_u32 s18, s1
	s_cbranch_scc1 .LBB34_106
.LBB34_107:
	s_inst_prefetch 0x2
	s_waitcnt lgkmcnt(0)
	v_cmp_eq_f64_e32 vcc_lo, 0, v[74:75]
	v_cmp_eq_f64_e64 s0, 0, v[76:77]
	s_and_b32 s0, vcc_lo, s0
	s_and_saveexec_b32 s1, s0
	s_xor_b32 s0, exec_lo, s1
; %bb.108:
	v_cmp_ne_u32_e32 vcc_lo, 0, v87
	v_cndmask_b32_e32 v87, 6, v87, vcc_lo
; %bb.109:
	s_andn2_saveexec_b32 s0, s0
	s_cbranch_execz .LBB34_115
; %bb.110:
	v_cmp_ngt_f64_e64 s1, |v[74:75]|, |v[76:77]|
	s_and_saveexec_b32 s2, s1
	s_xor_b32 s1, exec_lo, s2
	s_cbranch_execz .LBB34_112
; %bb.111:
	v_div_scale_f64 v[89:90], null, v[76:77], v[76:77], v[74:75]
	v_div_scale_f64 v[95:96], vcc_lo, v[74:75], v[76:77], v[74:75]
	v_rcp_f64_e32 v[91:92], v[89:90]
	v_fma_f64 v[93:94], -v[89:90], v[91:92], 1.0
	v_fma_f64 v[91:92], v[91:92], v[93:94], v[91:92]
	v_fma_f64 v[93:94], -v[89:90], v[91:92], 1.0
	v_fma_f64 v[91:92], v[91:92], v[93:94], v[91:92]
	v_mul_f64 v[93:94], v[95:96], v[91:92]
	v_fma_f64 v[89:90], -v[89:90], v[93:94], v[95:96]
	v_div_fmas_f64 v[89:90], v[89:90], v[91:92], v[93:94]
	v_div_fixup_f64 v[89:90], v[89:90], v[76:77], v[74:75]
	v_fma_f64 v[74:75], v[74:75], v[89:90], v[76:77]
	v_div_scale_f64 v[76:77], null, v[74:75], v[74:75], 1.0
	v_rcp_f64_e32 v[91:92], v[76:77]
	v_fma_f64 v[93:94], -v[76:77], v[91:92], 1.0
	v_fma_f64 v[91:92], v[91:92], v[93:94], v[91:92]
	v_fma_f64 v[93:94], -v[76:77], v[91:92], 1.0
	v_fma_f64 v[91:92], v[91:92], v[93:94], v[91:92]
	v_div_scale_f64 v[93:94], vcc_lo, 1.0, v[74:75], 1.0
	v_mul_f64 v[95:96], v[93:94], v[91:92]
	v_fma_f64 v[76:77], -v[76:77], v[95:96], v[93:94]
	v_div_fmas_f64 v[76:77], v[76:77], v[91:92], v[95:96]
	v_div_fixup_f64 v[76:77], v[76:77], v[74:75], 1.0
	v_mul_f64 v[74:75], v[89:90], v[76:77]
	v_xor_b32_e32 v77, 0x80000000, v77
.LBB34_112:
	s_andn2_saveexec_b32 s1, s1
	s_cbranch_execz .LBB34_114
; %bb.113:
	v_div_scale_f64 v[89:90], null, v[74:75], v[74:75], v[76:77]
	v_div_scale_f64 v[95:96], vcc_lo, v[76:77], v[74:75], v[76:77]
	v_rcp_f64_e32 v[91:92], v[89:90]
	v_fma_f64 v[93:94], -v[89:90], v[91:92], 1.0
	v_fma_f64 v[91:92], v[91:92], v[93:94], v[91:92]
	v_fma_f64 v[93:94], -v[89:90], v[91:92], 1.0
	v_fma_f64 v[91:92], v[91:92], v[93:94], v[91:92]
	v_mul_f64 v[93:94], v[95:96], v[91:92]
	v_fma_f64 v[89:90], -v[89:90], v[93:94], v[95:96]
	v_div_fmas_f64 v[89:90], v[89:90], v[91:92], v[93:94]
	v_div_fixup_f64 v[89:90], v[89:90], v[74:75], v[76:77]
	v_fma_f64 v[74:75], v[76:77], v[89:90], v[74:75]
	v_div_scale_f64 v[76:77], null, v[74:75], v[74:75], 1.0
	v_rcp_f64_e32 v[91:92], v[76:77]
	v_fma_f64 v[93:94], -v[76:77], v[91:92], 1.0
	v_fma_f64 v[91:92], v[91:92], v[93:94], v[91:92]
	v_fma_f64 v[93:94], -v[76:77], v[91:92], 1.0
	v_fma_f64 v[91:92], v[91:92], v[93:94], v[91:92]
	v_div_scale_f64 v[93:94], vcc_lo, 1.0, v[74:75], 1.0
	v_mul_f64 v[95:96], v[93:94], v[91:92]
	v_fma_f64 v[76:77], -v[76:77], v[95:96], v[93:94]
	v_div_fmas_f64 v[76:77], v[76:77], v[91:92], v[95:96]
	v_div_fixup_f64 v[74:75], v[76:77], v[74:75], 1.0
	v_mul_f64 v[76:77], v[89:90], -v[74:75]
.LBB34_114:
	s_or_b32 exec_lo, exec_lo, s1
.LBB34_115:
	s_or_b32 exec_lo, exec_lo, s0
	s_mov_b32 s0, exec_lo
	v_cmpx_ne_u32_e64 v88, v82
	s_xor_b32 s0, exec_lo, s0
	s_cbranch_execz .LBB34_121
; %bb.116:
	s_mov_b32 s1, exec_lo
	v_cmpx_eq_u32_e32 5, v88
	s_cbranch_execz .LBB34_120
; %bb.117:
	v_cmp_ne_u32_e32 vcc_lo, 5, v82
	s_xor_b32 s2, s16, -1
	s_and_b32 s3, s2, vcc_lo
	s_and_saveexec_b32 s2, s3
	s_cbranch_execz .LBB34_119
; %bb.118:
	v_ashrrev_i32_e32 v83, 31, v82
	v_lshlrev_b64 v[88:89], 2, v[82:83]
	v_add_co_u32 v88, vcc_lo, v80, v88
	v_add_co_ci_u32_e64 v89, null, v81, v89, vcc_lo
	s_clause 0x1
	global_load_dword v0, v[88:89], off
	global_load_dword v83, v[80:81], off offset:20
	s_waitcnt vmcnt(1)
	global_store_dword v[80:81], v0, off offset:20
	s_waitcnt vmcnt(0)
	global_store_dword v[88:89], v83, off
.LBB34_119:
	s_or_b32 exec_lo, exec_lo, s2
	v_mov_b32_e32 v88, v82
	v_mov_b32_e32 v0, v82
.LBB34_120:
	s_or_b32 exec_lo, exec_lo, s1
.LBB34_121:
	s_andn2_saveexec_b32 s0, s0
	s_cbranch_execz .LBB34_123
; %bb.122:
	v_mov_b32_e32 v88, 5
	ds_write2_b64 v1, v[58:59], v[60:61] offset0:12 offset1:13
	ds_write2_b64 v1, v[54:55], v[56:57] offset0:14 offset1:15
	;; [unrolled: 1-line block ×12, first 2 shown]
.LBB34_123:
	s_or_b32 exec_lo, exec_lo, s0
	s_mov_b32 s0, exec_lo
	s_waitcnt lgkmcnt(0)
	s_waitcnt_vscnt null, 0x0
	s_barrier
	buffer_gl0_inv
	v_cmpx_lt_i32_e32 5, v88
	s_cbranch_execz .LBB34_125
; %bb.124:
	v_mul_f64 v[82:83], v[74:75], v[48:49]
	v_mul_f64 v[48:49], v[76:77], v[48:49]
	v_fma_f64 v[82:83], v[76:77], v[46:47], v[82:83]
	v_fma_f64 v[46:47], v[74:75], v[46:47], -v[48:49]
	ds_read2_b64 v[74:77], v1 offset0:12 offset1:13
	s_waitcnt lgkmcnt(0)
	v_mul_f64 v[48:49], v[76:77], v[82:83]
	v_fma_f64 v[48:49], v[74:75], v[46:47], -v[48:49]
	v_mul_f64 v[74:75], v[74:75], v[82:83]
	v_add_f64 v[58:59], v[58:59], -v[48:49]
	v_fma_f64 v[74:75], v[76:77], v[46:47], v[74:75]
	v_add_f64 v[60:61], v[60:61], -v[74:75]
	ds_read2_b64 v[74:77], v1 offset0:14 offset1:15
	s_waitcnt lgkmcnt(0)
	v_mul_f64 v[48:49], v[76:77], v[82:83]
	v_fma_f64 v[48:49], v[74:75], v[46:47], -v[48:49]
	v_mul_f64 v[74:75], v[74:75], v[82:83]
	v_add_f64 v[54:55], v[54:55], -v[48:49]
	v_fma_f64 v[74:75], v[76:77], v[46:47], v[74:75]
	v_add_f64 v[56:57], v[56:57], -v[74:75]
	;; [unrolled: 8-line block ×11, first 2 shown]
	ds_read2_b64 v[74:77], v1 offset0:34 offset1:35
	s_waitcnt lgkmcnt(0)
	v_mul_f64 v[48:49], v[76:77], v[82:83]
	v_fma_f64 v[48:49], v[74:75], v[46:47], -v[48:49]
	v_mul_f64 v[74:75], v[74:75], v[82:83]
	v_add_f64 v[2:3], v[2:3], -v[48:49]
	v_fma_f64 v[74:75], v[76:77], v[46:47], v[74:75]
	v_mov_b32_e32 v48, v82
	v_mov_b32_e32 v49, v83
	v_add_f64 v[4:5], v[4:5], -v[74:75]
.LBB34_125:
	s_or_b32 exec_lo, exec_lo, s0
	v_lshl_add_u32 v74, v88, 4, v1
	s_barrier
	buffer_gl0_inv
	v_mov_b32_e32 v82, 6
	ds_write2_b64 v74, v[58:59], v[60:61] offset1:1
	s_waitcnt lgkmcnt(0)
	s_barrier
	buffer_gl0_inv
	ds_read2_b64 v[74:77], v1 offset0:12 offset1:13
	s_cmp_lt_i32 s18, 8
	s_cbranch_scc1 .LBB34_128
; %bb.126:
	v_add3_u32 v83, v84, 0, 0x70
	v_mov_b32_e32 v82, 6
	s_mov_b32 s1, 7
	s_inst_prefetch 0x1
	.p2align	6
.LBB34_127:                             ; =>This Inner Loop Header: Depth=1
	s_waitcnt lgkmcnt(0)
	v_cmp_gt_f64_e32 vcc_lo, 0, v[76:77]
	v_cmp_gt_f64_e64 s0, 0, v[74:75]
	ds_read2_b64 v[89:92], v83 offset1:1
	v_xor_b32_e32 v94, 0x80000000, v75
	v_xor_b32_e32 v96, 0x80000000, v77
	v_mov_b32_e32 v93, v74
	v_mov_b32_e32 v95, v76
	v_add_nc_u32_e32 v83, 16, v83
	s_waitcnt lgkmcnt(0)
	v_xor_b32_e32 v98, 0x80000000, v92
	v_cndmask_b32_e64 v94, v75, v94, s0
	v_cndmask_b32_e32 v96, v77, v96, vcc_lo
	v_cmp_gt_f64_e32 vcc_lo, 0, v[91:92]
	v_cmp_gt_f64_e64 s0, 0, v[89:90]
	v_mov_b32_e32 v97, v91
	v_add_f64 v[93:94], v[93:94], v[95:96]
	v_xor_b32_e32 v96, 0x80000000, v90
	v_mov_b32_e32 v95, v89
	v_cndmask_b32_e32 v98, v92, v98, vcc_lo
	v_cndmask_b32_e64 v96, v90, v96, s0
	v_add_f64 v[95:96], v[95:96], v[97:98]
	v_cmp_lt_f64_e32 vcc_lo, v[93:94], v[95:96]
	v_cndmask_b32_e32 v75, v75, v90, vcc_lo
	v_cndmask_b32_e32 v74, v74, v89, vcc_lo
	;; [unrolled: 1-line block ×4, first 2 shown]
	v_cndmask_b32_e64 v82, v82, s1, vcc_lo
	s_add_i32 s1, s1, 1
	s_cmp_lg_u32 s18, s1
	s_cbranch_scc1 .LBB34_127
.LBB34_128:
	s_inst_prefetch 0x2
	s_waitcnt lgkmcnt(0)
	v_cmp_eq_f64_e32 vcc_lo, 0, v[74:75]
	v_cmp_eq_f64_e64 s0, 0, v[76:77]
	s_and_b32 s0, vcc_lo, s0
	s_and_saveexec_b32 s1, s0
	s_xor_b32 s0, exec_lo, s1
; %bb.129:
	v_cmp_ne_u32_e32 vcc_lo, 0, v87
	v_cndmask_b32_e32 v87, 7, v87, vcc_lo
; %bb.130:
	s_andn2_saveexec_b32 s0, s0
	s_cbranch_execz .LBB34_136
; %bb.131:
	v_cmp_ngt_f64_e64 s1, |v[74:75]|, |v[76:77]|
	s_and_saveexec_b32 s2, s1
	s_xor_b32 s1, exec_lo, s2
	s_cbranch_execz .LBB34_133
; %bb.132:
	v_div_scale_f64 v[89:90], null, v[76:77], v[76:77], v[74:75]
	v_div_scale_f64 v[95:96], vcc_lo, v[74:75], v[76:77], v[74:75]
	v_rcp_f64_e32 v[91:92], v[89:90]
	v_fma_f64 v[93:94], -v[89:90], v[91:92], 1.0
	v_fma_f64 v[91:92], v[91:92], v[93:94], v[91:92]
	v_fma_f64 v[93:94], -v[89:90], v[91:92], 1.0
	v_fma_f64 v[91:92], v[91:92], v[93:94], v[91:92]
	v_mul_f64 v[93:94], v[95:96], v[91:92]
	v_fma_f64 v[89:90], -v[89:90], v[93:94], v[95:96]
	v_div_fmas_f64 v[89:90], v[89:90], v[91:92], v[93:94]
	v_div_fixup_f64 v[89:90], v[89:90], v[76:77], v[74:75]
	v_fma_f64 v[74:75], v[74:75], v[89:90], v[76:77]
	v_div_scale_f64 v[76:77], null, v[74:75], v[74:75], 1.0
	v_rcp_f64_e32 v[91:92], v[76:77]
	v_fma_f64 v[93:94], -v[76:77], v[91:92], 1.0
	v_fma_f64 v[91:92], v[91:92], v[93:94], v[91:92]
	v_fma_f64 v[93:94], -v[76:77], v[91:92], 1.0
	v_fma_f64 v[91:92], v[91:92], v[93:94], v[91:92]
	v_div_scale_f64 v[93:94], vcc_lo, 1.0, v[74:75], 1.0
	v_mul_f64 v[95:96], v[93:94], v[91:92]
	v_fma_f64 v[76:77], -v[76:77], v[95:96], v[93:94]
	v_div_fmas_f64 v[76:77], v[76:77], v[91:92], v[95:96]
	v_div_fixup_f64 v[76:77], v[76:77], v[74:75], 1.0
	v_mul_f64 v[74:75], v[89:90], v[76:77]
	v_xor_b32_e32 v77, 0x80000000, v77
.LBB34_133:
	s_andn2_saveexec_b32 s1, s1
	s_cbranch_execz .LBB34_135
; %bb.134:
	v_div_scale_f64 v[89:90], null, v[74:75], v[74:75], v[76:77]
	v_div_scale_f64 v[95:96], vcc_lo, v[76:77], v[74:75], v[76:77]
	v_rcp_f64_e32 v[91:92], v[89:90]
	v_fma_f64 v[93:94], -v[89:90], v[91:92], 1.0
	v_fma_f64 v[91:92], v[91:92], v[93:94], v[91:92]
	v_fma_f64 v[93:94], -v[89:90], v[91:92], 1.0
	v_fma_f64 v[91:92], v[91:92], v[93:94], v[91:92]
	v_mul_f64 v[93:94], v[95:96], v[91:92]
	v_fma_f64 v[89:90], -v[89:90], v[93:94], v[95:96]
	v_div_fmas_f64 v[89:90], v[89:90], v[91:92], v[93:94]
	v_div_fixup_f64 v[89:90], v[89:90], v[74:75], v[76:77]
	v_fma_f64 v[74:75], v[76:77], v[89:90], v[74:75]
	v_div_scale_f64 v[76:77], null, v[74:75], v[74:75], 1.0
	v_rcp_f64_e32 v[91:92], v[76:77]
	v_fma_f64 v[93:94], -v[76:77], v[91:92], 1.0
	v_fma_f64 v[91:92], v[91:92], v[93:94], v[91:92]
	v_fma_f64 v[93:94], -v[76:77], v[91:92], 1.0
	v_fma_f64 v[91:92], v[91:92], v[93:94], v[91:92]
	v_div_scale_f64 v[93:94], vcc_lo, 1.0, v[74:75], 1.0
	v_mul_f64 v[95:96], v[93:94], v[91:92]
	v_fma_f64 v[76:77], -v[76:77], v[95:96], v[93:94]
	v_div_fmas_f64 v[76:77], v[76:77], v[91:92], v[95:96]
	v_div_fixup_f64 v[74:75], v[76:77], v[74:75], 1.0
	v_mul_f64 v[76:77], v[89:90], -v[74:75]
.LBB34_135:
	s_or_b32 exec_lo, exec_lo, s1
.LBB34_136:
	s_or_b32 exec_lo, exec_lo, s0
	s_mov_b32 s0, exec_lo
	v_cmpx_ne_u32_e64 v88, v82
	s_xor_b32 s0, exec_lo, s0
	s_cbranch_execz .LBB34_142
; %bb.137:
	s_mov_b32 s1, exec_lo
	v_cmpx_eq_u32_e32 6, v88
	s_cbranch_execz .LBB34_141
; %bb.138:
	v_cmp_ne_u32_e32 vcc_lo, 6, v82
	s_xor_b32 s2, s16, -1
	s_and_b32 s3, s2, vcc_lo
	s_and_saveexec_b32 s2, s3
	s_cbranch_execz .LBB34_140
; %bb.139:
	v_ashrrev_i32_e32 v83, 31, v82
	v_lshlrev_b64 v[88:89], 2, v[82:83]
	v_add_co_u32 v88, vcc_lo, v80, v88
	v_add_co_ci_u32_e64 v89, null, v81, v89, vcc_lo
	s_clause 0x1
	global_load_dword v0, v[88:89], off
	global_load_dword v83, v[80:81], off offset:24
	s_waitcnt vmcnt(1)
	global_store_dword v[80:81], v0, off offset:24
	s_waitcnt vmcnt(0)
	global_store_dword v[88:89], v83, off
.LBB34_140:
	s_or_b32 exec_lo, exec_lo, s2
	v_mov_b32_e32 v88, v82
	v_mov_b32_e32 v0, v82
.LBB34_141:
	s_or_b32 exec_lo, exec_lo, s1
.LBB34_142:
	s_andn2_saveexec_b32 s0, s0
	s_cbranch_execz .LBB34_144
; %bb.143:
	v_mov_b32_e32 v88, 6
	ds_write2_b64 v1, v[54:55], v[56:57] offset0:14 offset1:15
	ds_write2_b64 v1, v[38:39], v[40:41] offset0:16 offset1:17
	;; [unrolled: 1-line block ×11, first 2 shown]
.LBB34_144:
	s_or_b32 exec_lo, exec_lo, s0
	s_mov_b32 s0, exec_lo
	s_waitcnt lgkmcnt(0)
	s_waitcnt_vscnt null, 0x0
	s_barrier
	buffer_gl0_inv
	v_cmpx_lt_i32_e32 6, v88
	s_cbranch_execz .LBB34_146
; %bb.145:
	v_mul_f64 v[82:83], v[74:75], v[60:61]
	v_mul_f64 v[60:61], v[76:77], v[60:61]
	v_fma_f64 v[82:83], v[76:77], v[58:59], v[82:83]
	v_fma_f64 v[58:59], v[74:75], v[58:59], -v[60:61]
	ds_read2_b64 v[74:77], v1 offset0:14 offset1:15
	s_waitcnt lgkmcnt(0)
	v_mul_f64 v[60:61], v[76:77], v[82:83]
	v_fma_f64 v[60:61], v[74:75], v[58:59], -v[60:61]
	v_mul_f64 v[74:75], v[74:75], v[82:83]
	v_add_f64 v[54:55], v[54:55], -v[60:61]
	v_fma_f64 v[74:75], v[76:77], v[58:59], v[74:75]
	v_add_f64 v[56:57], v[56:57], -v[74:75]
	ds_read2_b64 v[74:77], v1 offset0:16 offset1:17
	s_waitcnt lgkmcnt(0)
	v_mul_f64 v[60:61], v[76:77], v[82:83]
	v_fma_f64 v[60:61], v[74:75], v[58:59], -v[60:61]
	v_mul_f64 v[74:75], v[74:75], v[82:83]
	v_add_f64 v[38:39], v[38:39], -v[60:61]
	v_fma_f64 v[74:75], v[76:77], v[58:59], v[74:75]
	v_add_f64 v[40:41], v[40:41], -v[74:75]
	;; [unrolled: 8-line block ×10, first 2 shown]
	ds_read2_b64 v[74:77], v1 offset0:34 offset1:35
	s_waitcnt lgkmcnt(0)
	v_mul_f64 v[60:61], v[76:77], v[82:83]
	v_fma_f64 v[60:61], v[74:75], v[58:59], -v[60:61]
	v_mul_f64 v[74:75], v[74:75], v[82:83]
	v_add_f64 v[2:3], v[2:3], -v[60:61]
	v_fma_f64 v[74:75], v[76:77], v[58:59], v[74:75]
	v_mov_b32_e32 v60, v82
	v_mov_b32_e32 v61, v83
	v_add_f64 v[4:5], v[4:5], -v[74:75]
.LBB34_146:
	s_or_b32 exec_lo, exec_lo, s0
	v_lshl_add_u32 v74, v88, 4, v1
	s_barrier
	buffer_gl0_inv
	v_mov_b32_e32 v82, 7
	ds_write2_b64 v74, v[54:55], v[56:57] offset1:1
	s_waitcnt lgkmcnt(0)
	s_barrier
	buffer_gl0_inv
	ds_read2_b64 v[74:77], v1 offset0:14 offset1:15
	s_cmp_lt_i32 s18, 9
	s_cbranch_scc1 .LBB34_149
; %bb.147:
	v_add3_u32 v83, v84, 0, 0x80
	v_mov_b32_e32 v82, 7
	s_mov_b32 s1, 8
	s_inst_prefetch 0x1
	.p2align	6
.LBB34_148:                             ; =>This Inner Loop Header: Depth=1
	s_waitcnt lgkmcnt(0)
	v_cmp_gt_f64_e32 vcc_lo, 0, v[76:77]
	v_cmp_gt_f64_e64 s0, 0, v[74:75]
	ds_read2_b64 v[89:92], v83 offset1:1
	v_xor_b32_e32 v94, 0x80000000, v75
	v_xor_b32_e32 v96, 0x80000000, v77
	v_mov_b32_e32 v93, v74
	v_mov_b32_e32 v95, v76
	v_add_nc_u32_e32 v83, 16, v83
	s_waitcnt lgkmcnt(0)
	v_xor_b32_e32 v98, 0x80000000, v92
	v_cndmask_b32_e64 v94, v75, v94, s0
	v_cndmask_b32_e32 v96, v77, v96, vcc_lo
	v_cmp_gt_f64_e32 vcc_lo, 0, v[91:92]
	v_cmp_gt_f64_e64 s0, 0, v[89:90]
	v_mov_b32_e32 v97, v91
	v_add_f64 v[93:94], v[93:94], v[95:96]
	v_xor_b32_e32 v96, 0x80000000, v90
	v_mov_b32_e32 v95, v89
	v_cndmask_b32_e32 v98, v92, v98, vcc_lo
	v_cndmask_b32_e64 v96, v90, v96, s0
	v_add_f64 v[95:96], v[95:96], v[97:98]
	v_cmp_lt_f64_e32 vcc_lo, v[93:94], v[95:96]
	v_cndmask_b32_e32 v75, v75, v90, vcc_lo
	v_cndmask_b32_e32 v74, v74, v89, vcc_lo
	;; [unrolled: 1-line block ×4, first 2 shown]
	v_cndmask_b32_e64 v82, v82, s1, vcc_lo
	s_add_i32 s1, s1, 1
	s_cmp_lg_u32 s18, s1
	s_cbranch_scc1 .LBB34_148
.LBB34_149:
	s_inst_prefetch 0x2
	s_waitcnt lgkmcnt(0)
	v_cmp_eq_f64_e32 vcc_lo, 0, v[74:75]
	v_cmp_eq_f64_e64 s0, 0, v[76:77]
	s_and_b32 s0, vcc_lo, s0
	s_and_saveexec_b32 s1, s0
	s_xor_b32 s0, exec_lo, s1
; %bb.150:
	v_cmp_ne_u32_e32 vcc_lo, 0, v87
	v_cndmask_b32_e32 v87, 8, v87, vcc_lo
; %bb.151:
	s_andn2_saveexec_b32 s0, s0
	s_cbranch_execz .LBB34_157
; %bb.152:
	v_cmp_ngt_f64_e64 s1, |v[74:75]|, |v[76:77]|
	s_and_saveexec_b32 s2, s1
	s_xor_b32 s1, exec_lo, s2
	s_cbranch_execz .LBB34_154
; %bb.153:
	v_div_scale_f64 v[89:90], null, v[76:77], v[76:77], v[74:75]
	v_div_scale_f64 v[95:96], vcc_lo, v[74:75], v[76:77], v[74:75]
	v_rcp_f64_e32 v[91:92], v[89:90]
	v_fma_f64 v[93:94], -v[89:90], v[91:92], 1.0
	v_fma_f64 v[91:92], v[91:92], v[93:94], v[91:92]
	v_fma_f64 v[93:94], -v[89:90], v[91:92], 1.0
	v_fma_f64 v[91:92], v[91:92], v[93:94], v[91:92]
	v_mul_f64 v[93:94], v[95:96], v[91:92]
	v_fma_f64 v[89:90], -v[89:90], v[93:94], v[95:96]
	v_div_fmas_f64 v[89:90], v[89:90], v[91:92], v[93:94]
	v_div_fixup_f64 v[89:90], v[89:90], v[76:77], v[74:75]
	v_fma_f64 v[74:75], v[74:75], v[89:90], v[76:77]
	v_div_scale_f64 v[76:77], null, v[74:75], v[74:75], 1.0
	v_rcp_f64_e32 v[91:92], v[76:77]
	v_fma_f64 v[93:94], -v[76:77], v[91:92], 1.0
	v_fma_f64 v[91:92], v[91:92], v[93:94], v[91:92]
	v_fma_f64 v[93:94], -v[76:77], v[91:92], 1.0
	v_fma_f64 v[91:92], v[91:92], v[93:94], v[91:92]
	v_div_scale_f64 v[93:94], vcc_lo, 1.0, v[74:75], 1.0
	v_mul_f64 v[95:96], v[93:94], v[91:92]
	v_fma_f64 v[76:77], -v[76:77], v[95:96], v[93:94]
	v_div_fmas_f64 v[76:77], v[76:77], v[91:92], v[95:96]
	v_div_fixup_f64 v[76:77], v[76:77], v[74:75], 1.0
	v_mul_f64 v[74:75], v[89:90], v[76:77]
	v_xor_b32_e32 v77, 0x80000000, v77
.LBB34_154:
	s_andn2_saveexec_b32 s1, s1
	s_cbranch_execz .LBB34_156
; %bb.155:
	v_div_scale_f64 v[89:90], null, v[74:75], v[74:75], v[76:77]
	v_div_scale_f64 v[95:96], vcc_lo, v[76:77], v[74:75], v[76:77]
	v_rcp_f64_e32 v[91:92], v[89:90]
	v_fma_f64 v[93:94], -v[89:90], v[91:92], 1.0
	v_fma_f64 v[91:92], v[91:92], v[93:94], v[91:92]
	v_fma_f64 v[93:94], -v[89:90], v[91:92], 1.0
	v_fma_f64 v[91:92], v[91:92], v[93:94], v[91:92]
	v_mul_f64 v[93:94], v[95:96], v[91:92]
	v_fma_f64 v[89:90], -v[89:90], v[93:94], v[95:96]
	v_div_fmas_f64 v[89:90], v[89:90], v[91:92], v[93:94]
	v_div_fixup_f64 v[89:90], v[89:90], v[74:75], v[76:77]
	v_fma_f64 v[74:75], v[76:77], v[89:90], v[74:75]
	v_div_scale_f64 v[76:77], null, v[74:75], v[74:75], 1.0
	v_rcp_f64_e32 v[91:92], v[76:77]
	v_fma_f64 v[93:94], -v[76:77], v[91:92], 1.0
	v_fma_f64 v[91:92], v[91:92], v[93:94], v[91:92]
	v_fma_f64 v[93:94], -v[76:77], v[91:92], 1.0
	v_fma_f64 v[91:92], v[91:92], v[93:94], v[91:92]
	v_div_scale_f64 v[93:94], vcc_lo, 1.0, v[74:75], 1.0
	v_mul_f64 v[95:96], v[93:94], v[91:92]
	v_fma_f64 v[76:77], -v[76:77], v[95:96], v[93:94]
	v_div_fmas_f64 v[76:77], v[76:77], v[91:92], v[95:96]
	v_div_fixup_f64 v[74:75], v[76:77], v[74:75], 1.0
	v_mul_f64 v[76:77], v[89:90], -v[74:75]
.LBB34_156:
	s_or_b32 exec_lo, exec_lo, s1
.LBB34_157:
	s_or_b32 exec_lo, exec_lo, s0
	s_mov_b32 s0, exec_lo
	v_cmpx_ne_u32_e64 v88, v82
	s_xor_b32 s0, exec_lo, s0
	s_cbranch_execz .LBB34_163
; %bb.158:
	s_mov_b32 s1, exec_lo
	v_cmpx_eq_u32_e32 7, v88
	s_cbranch_execz .LBB34_162
; %bb.159:
	v_cmp_ne_u32_e32 vcc_lo, 7, v82
	s_xor_b32 s2, s16, -1
	s_and_b32 s3, s2, vcc_lo
	s_and_saveexec_b32 s2, s3
	s_cbranch_execz .LBB34_161
; %bb.160:
	v_ashrrev_i32_e32 v83, 31, v82
	v_lshlrev_b64 v[88:89], 2, v[82:83]
	v_add_co_u32 v88, vcc_lo, v80, v88
	v_add_co_ci_u32_e64 v89, null, v81, v89, vcc_lo
	s_clause 0x1
	global_load_dword v0, v[88:89], off
	global_load_dword v83, v[80:81], off offset:28
	s_waitcnt vmcnt(1)
	global_store_dword v[80:81], v0, off offset:28
	s_waitcnt vmcnt(0)
	global_store_dword v[88:89], v83, off
.LBB34_161:
	s_or_b32 exec_lo, exec_lo, s2
	v_mov_b32_e32 v88, v82
	v_mov_b32_e32 v0, v82
.LBB34_162:
	s_or_b32 exec_lo, exec_lo, s1
.LBB34_163:
	s_andn2_saveexec_b32 s0, s0
	s_cbranch_execz .LBB34_165
; %bb.164:
	v_mov_b32_e32 v88, 7
	ds_write2_b64 v1, v[38:39], v[40:41] offset0:16 offset1:17
	ds_write2_b64 v1, v[34:35], v[36:37] offset0:18 offset1:19
	;; [unrolled: 1-line block ×10, first 2 shown]
.LBB34_165:
	s_or_b32 exec_lo, exec_lo, s0
	s_mov_b32 s0, exec_lo
	s_waitcnt lgkmcnt(0)
	s_waitcnt_vscnt null, 0x0
	s_barrier
	buffer_gl0_inv
	v_cmpx_lt_i32_e32 7, v88
	s_cbranch_execz .LBB34_167
; %bb.166:
	v_mul_f64 v[82:83], v[74:75], v[56:57]
	v_mul_f64 v[56:57], v[76:77], v[56:57]
	v_fma_f64 v[82:83], v[76:77], v[54:55], v[82:83]
	v_fma_f64 v[54:55], v[74:75], v[54:55], -v[56:57]
	ds_read2_b64 v[74:77], v1 offset0:16 offset1:17
	s_waitcnt lgkmcnt(0)
	v_mul_f64 v[56:57], v[76:77], v[82:83]
	v_fma_f64 v[56:57], v[74:75], v[54:55], -v[56:57]
	v_mul_f64 v[74:75], v[74:75], v[82:83]
	v_add_f64 v[38:39], v[38:39], -v[56:57]
	v_fma_f64 v[74:75], v[76:77], v[54:55], v[74:75]
	v_add_f64 v[40:41], v[40:41], -v[74:75]
	ds_read2_b64 v[74:77], v1 offset0:18 offset1:19
	s_waitcnt lgkmcnt(0)
	v_mul_f64 v[56:57], v[76:77], v[82:83]
	v_fma_f64 v[56:57], v[74:75], v[54:55], -v[56:57]
	v_mul_f64 v[74:75], v[74:75], v[82:83]
	v_add_f64 v[34:35], v[34:35], -v[56:57]
	v_fma_f64 v[74:75], v[76:77], v[54:55], v[74:75]
	v_add_f64 v[36:37], v[36:37], -v[74:75]
	;; [unrolled: 8-line block ×9, first 2 shown]
	ds_read2_b64 v[74:77], v1 offset0:34 offset1:35
	s_waitcnt lgkmcnt(0)
	v_mul_f64 v[56:57], v[76:77], v[82:83]
	v_fma_f64 v[56:57], v[74:75], v[54:55], -v[56:57]
	v_mul_f64 v[74:75], v[74:75], v[82:83]
	v_add_f64 v[2:3], v[2:3], -v[56:57]
	v_fma_f64 v[74:75], v[76:77], v[54:55], v[74:75]
	v_mov_b32_e32 v56, v82
	v_mov_b32_e32 v57, v83
	v_add_f64 v[4:5], v[4:5], -v[74:75]
.LBB34_167:
	s_or_b32 exec_lo, exec_lo, s0
	v_lshl_add_u32 v74, v88, 4, v1
	s_barrier
	buffer_gl0_inv
	v_mov_b32_e32 v82, 8
	ds_write2_b64 v74, v[38:39], v[40:41] offset1:1
	s_waitcnt lgkmcnt(0)
	s_barrier
	buffer_gl0_inv
	ds_read2_b64 v[74:77], v1 offset0:16 offset1:17
	s_cmp_lt_i32 s18, 10
	s_cbranch_scc1 .LBB34_170
; %bb.168:
	v_add3_u32 v83, v84, 0, 0x90
	v_mov_b32_e32 v82, 8
	s_mov_b32 s1, 9
	s_inst_prefetch 0x1
	.p2align	6
.LBB34_169:                             ; =>This Inner Loop Header: Depth=1
	s_waitcnt lgkmcnt(0)
	v_cmp_gt_f64_e32 vcc_lo, 0, v[76:77]
	v_cmp_gt_f64_e64 s0, 0, v[74:75]
	ds_read2_b64 v[89:92], v83 offset1:1
	v_xor_b32_e32 v94, 0x80000000, v75
	v_xor_b32_e32 v96, 0x80000000, v77
	v_mov_b32_e32 v93, v74
	v_mov_b32_e32 v95, v76
	v_add_nc_u32_e32 v83, 16, v83
	s_waitcnt lgkmcnt(0)
	v_xor_b32_e32 v98, 0x80000000, v92
	v_cndmask_b32_e64 v94, v75, v94, s0
	v_cndmask_b32_e32 v96, v77, v96, vcc_lo
	v_cmp_gt_f64_e32 vcc_lo, 0, v[91:92]
	v_cmp_gt_f64_e64 s0, 0, v[89:90]
	v_mov_b32_e32 v97, v91
	v_add_f64 v[93:94], v[93:94], v[95:96]
	v_xor_b32_e32 v96, 0x80000000, v90
	v_mov_b32_e32 v95, v89
	v_cndmask_b32_e32 v98, v92, v98, vcc_lo
	v_cndmask_b32_e64 v96, v90, v96, s0
	v_add_f64 v[95:96], v[95:96], v[97:98]
	v_cmp_lt_f64_e32 vcc_lo, v[93:94], v[95:96]
	v_cndmask_b32_e32 v75, v75, v90, vcc_lo
	v_cndmask_b32_e32 v74, v74, v89, vcc_lo
	;; [unrolled: 1-line block ×4, first 2 shown]
	v_cndmask_b32_e64 v82, v82, s1, vcc_lo
	s_add_i32 s1, s1, 1
	s_cmp_lg_u32 s18, s1
	s_cbranch_scc1 .LBB34_169
.LBB34_170:
	s_inst_prefetch 0x2
	s_waitcnt lgkmcnt(0)
	v_cmp_eq_f64_e32 vcc_lo, 0, v[74:75]
	v_cmp_eq_f64_e64 s0, 0, v[76:77]
	s_and_b32 s0, vcc_lo, s0
	s_and_saveexec_b32 s1, s0
	s_xor_b32 s0, exec_lo, s1
; %bb.171:
	v_cmp_ne_u32_e32 vcc_lo, 0, v87
	v_cndmask_b32_e32 v87, 9, v87, vcc_lo
; %bb.172:
	s_andn2_saveexec_b32 s0, s0
	s_cbranch_execz .LBB34_178
; %bb.173:
	v_cmp_ngt_f64_e64 s1, |v[74:75]|, |v[76:77]|
	s_and_saveexec_b32 s2, s1
	s_xor_b32 s1, exec_lo, s2
	s_cbranch_execz .LBB34_175
; %bb.174:
	v_div_scale_f64 v[89:90], null, v[76:77], v[76:77], v[74:75]
	v_div_scale_f64 v[95:96], vcc_lo, v[74:75], v[76:77], v[74:75]
	v_rcp_f64_e32 v[91:92], v[89:90]
	v_fma_f64 v[93:94], -v[89:90], v[91:92], 1.0
	v_fma_f64 v[91:92], v[91:92], v[93:94], v[91:92]
	v_fma_f64 v[93:94], -v[89:90], v[91:92], 1.0
	v_fma_f64 v[91:92], v[91:92], v[93:94], v[91:92]
	v_mul_f64 v[93:94], v[95:96], v[91:92]
	v_fma_f64 v[89:90], -v[89:90], v[93:94], v[95:96]
	v_div_fmas_f64 v[89:90], v[89:90], v[91:92], v[93:94]
	v_div_fixup_f64 v[89:90], v[89:90], v[76:77], v[74:75]
	v_fma_f64 v[74:75], v[74:75], v[89:90], v[76:77]
	v_div_scale_f64 v[76:77], null, v[74:75], v[74:75], 1.0
	v_rcp_f64_e32 v[91:92], v[76:77]
	v_fma_f64 v[93:94], -v[76:77], v[91:92], 1.0
	v_fma_f64 v[91:92], v[91:92], v[93:94], v[91:92]
	v_fma_f64 v[93:94], -v[76:77], v[91:92], 1.0
	v_fma_f64 v[91:92], v[91:92], v[93:94], v[91:92]
	v_div_scale_f64 v[93:94], vcc_lo, 1.0, v[74:75], 1.0
	v_mul_f64 v[95:96], v[93:94], v[91:92]
	v_fma_f64 v[76:77], -v[76:77], v[95:96], v[93:94]
	v_div_fmas_f64 v[76:77], v[76:77], v[91:92], v[95:96]
	v_div_fixup_f64 v[76:77], v[76:77], v[74:75], 1.0
	v_mul_f64 v[74:75], v[89:90], v[76:77]
	v_xor_b32_e32 v77, 0x80000000, v77
.LBB34_175:
	s_andn2_saveexec_b32 s1, s1
	s_cbranch_execz .LBB34_177
; %bb.176:
	v_div_scale_f64 v[89:90], null, v[74:75], v[74:75], v[76:77]
	v_div_scale_f64 v[95:96], vcc_lo, v[76:77], v[74:75], v[76:77]
	v_rcp_f64_e32 v[91:92], v[89:90]
	v_fma_f64 v[93:94], -v[89:90], v[91:92], 1.0
	v_fma_f64 v[91:92], v[91:92], v[93:94], v[91:92]
	v_fma_f64 v[93:94], -v[89:90], v[91:92], 1.0
	v_fma_f64 v[91:92], v[91:92], v[93:94], v[91:92]
	v_mul_f64 v[93:94], v[95:96], v[91:92]
	v_fma_f64 v[89:90], -v[89:90], v[93:94], v[95:96]
	v_div_fmas_f64 v[89:90], v[89:90], v[91:92], v[93:94]
	v_div_fixup_f64 v[89:90], v[89:90], v[74:75], v[76:77]
	v_fma_f64 v[74:75], v[76:77], v[89:90], v[74:75]
	v_div_scale_f64 v[76:77], null, v[74:75], v[74:75], 1.0
	v_rcp_f64_e32 v[91:92], v[76:77]
	v_fma_f64 v[93:94], -v[76:77], v[91:92], 1.0
	v_fma_f64 v[91:92], v[91:92], v[93:94], v[91:92]
	v_fma_f64 v[93:94], -v[76:77], v[91:92], 1.0
	v_fma_f64 v[91:92], v[91:92], v[93:94], v[91:92]
	v_div_scale_f64 v[93:94], vcc_lo, 1.0, v[74:75], 1.0
	v_mul_f64 v[95:96], v[93:94], v[91:92]
	v_fma_f64 v[76:77], -v[76:77], v[95:96], v[93:94]
	v_div_fmas_f64 v[76:77], v[76:77], v[91:92], v[95:96]
	v_div_fixup_f64 v[74:75], v[76:77], v[74:75], 1.0
	v_mul_f64 v[76:77], v[89:90], -v[74:75]
.LBB34_177:
	s_or_b32 exec_lo, exec_lo, s1
.LBB34_178:
	s_or_b32 exec_lo, exec_lo, s0
	s_mov_b32 s0, exec_lo
	v_cmpx_ne_u32_e64 v88, v82
	s_xor_b32 s0, exec_lo, s0
	s_cbranch_execz .LBB34_184
; %bb.179:
	s_mov_b32 s1, exec_lo
	v_cmpx_eq_u32_e32 8, v88
	s_cbranch_execz .LBB34_183
; %bb.180:
	v_cmp_ne_u32_e32 vcc_lo, 8, v82
	s_xor_b32 s2, s16, -1
	s_and_b32 s3, s2, vcc_lo
	s_and_saveexec_b32 s2, s3
	s_cbranch_execz .LBB34_182
; %bb.181:
	v_ashrrev_i32_e32 v83, 31, v82
	v_lshlrev_b64 v[88:89], 2, v[82:83]
	v_add_co_u32 v88, vcc_lo, v80, v88
	v_add_co_ci_u32_e64 v89, null, v81, v89, vcc_lo
	s_clause 0x1
	global_load_dword v0, v[88:89], off
	global_load_dword v83, v[80:81], off offset:32
	s_waitcnt vmcnt(1)
	global_store_dword v[80:81], v0, off offset:32
	s_waitcnt vmcnt(0)
	global_store_dword v[88:89], v83, off
.LBB34_182:
	s_or_b32 exec_lo, exec_lo, s2
	v_mov_b32_e32 v88, v82
	v_mov_b32_e32 v0, v82
.LBB34_183:
	s_or_b32 exec_lo, exec_lo, s1
.LBB34_184:
	s_andn2_saveexec_b32 s0, s0
	s_cbranch_execz .LBB34_186
; %bb.185:
	v_mov_b32_e32 v88, 8
	ds_write2_b64 v1, v[34:35], v[36:37] offset0:18 offset1:19
	ds_write2_b64 v1, v[30:31], v[32:33] offset0:20 offset1:21
	;; [unrolled: 1-line block ×9, first 2 shown]
.LBB34_186:
	s_or_b32 exec_lo, exec_lo, s0
	s_mov_b32 s0, exec_lo
	s_waitcnt lgkmcnt(0)
	s_waitcnt_vscnt null, 0x0
	s_barrier
	buffer_gl0_inv
	v_cmpx_lt_i32_e32 8, v88
	s_cbranch_execz .LBB34_188
; %bb.187:
	v_mul_f64 v[82:83], v[74:75], v[40:41]
	v_mul_f64 v[40:41], v[76:77], v[40:41]
	v_fma_f64 v[82:83], v[76:77], v[38:39], v[82:83]
	v_fma_f64 v[38:39], v[74:75], v[38:39], -v[40:41]
	ds_read2_b64 v[74:77], v1 offset0:18 offset1:19
	s_waitcnt lgkmcnt(0)
	v_mul_f64 v[40:41], v[76:77], v[82:83]
	v_fma_f64 v[40:41], v[74:75], v[38:39], -v[40:41]
	v_mul_f64 v[74:75], v[74:75], v[82:83]
	v_add_f64 v[34:35], v[34:35], -v[40:41]
	v_fma_f64 v[74:75], v[76:77], v[38:39], v[74:75]
	v_add_f64 v[36:37], v[36:37], -v[74:75]
	ds_read2_b64 v[74:77], v1 offset0:20 offset1:21
	s_waitcnt lgkmcnt(0)
	v_mul_f64 v[40:41], v[76:77], v[82:83]
	v_fma_f64 v[40:41], v[74:75], v[38:39], -v[40:41]
	v_mul_f64 v[74:75], v[74:75], v[82:83]
	v_add_f64 v[30:31], v[30:31], -v[40:41]
	v_fma_f64 v[74:75], v[76:77], v[38:39], v[74:75]
	v_add_f64 v[32:33], v[32:33], -v[74:75]
	;; [unrolled: 8-line block ×8, first 2 shown]
	ds_read2_b64 v[74:77], v1 offset0:34 offset1:35
	s_waitcnt lgkmcnt(0)
	v_mul_f64 v[40:41], v[76:77], v[82:83]
	v_fma_f64 v[40:41], v[74:75], v[38:39], -v[40:41]
	v_mul_f64 v[74:75], v[74:75], v[82:83]
	v_add_f64 v[2:3], v[2:3], -v[40:41]
	v_fma_f64 v[74:75], v[76:77], v[38:39], v[74:75]
	v_mov_b32_e32 v40, v82
	v_mov_b32_e32 v41, v83
	v_add_f64 v[4:5], v[4:5], -v[74:75]
.LBB34_188:
	s_or_b32 exec_lo, exec_lo, s0
	v_lshl_add_u32 v74, v88, 4, v1
	s_barrier
	buffer_gl0_inv
	v_mov_b32_e32 v82, 9
	ds_write2_b64 v74, v[34:35], v[36:37] offset1:1
	s_waitcnt lgkmcnt(0)
	s_barrier
	buffer_gl0_inv
	ds_read2_b64 v[74:77], v1 offset0:18 offset1:19
	s_cmp_lt_i32 s18, 11
	s_cbranch_scc1 .LBB34_191
; %bb.189:
	v_add3_u32 v83, v84, 0, 0xa0
	v_mov_b32_e32 v82, 9
	s_mov_b32 s1, 10
	s_inst_prefetch 0x1
	.p2align	6
.LBB34_190:                             ; =>This Inner Loop Header: Depth=1
	s_waitcnt lgkmcnt(0)
	v_cmp_gt_f64_e32 vcc_lo, 0, v[76:77]
	v_cmp_gt_f64_e64 s0, 0, v[74:75]
	ds_read2_b64 v[89:92], v83 offset1:1
	v_xor_b32_e32 v94, 0x80000000, v75
	v_xor_b32_e32 v96, 0x80000000, v77
	v_mov_b32_e32 v93, v74
	v_mov_b32_e32 v95, v76
	v_add_nc_u32_e32 v83, 16, v83
	s_waitcnt lgkmcnt(0)
	v_xor_b32_e32 v98, 0x80000000, v92
	v_cndmask_b32_e64 v94, v75, v94, s0
	v_cndmask_b32_e32 v96, v77, v96, vcc_lo
	v_cmp_gt_f64_e32 vcc_lo, 0, v[91:92]
	v_cmp_gt_f64_e64 s0, 0, v[89:90]
	v_mov_b32_e32 v97, v91
	v_add_f64 v[93:94], v[93:94], v[95:96]
	v_xor_b32_e32 v96, 0x80000000, v90
	v_mov_b32_e32 v95, v89
	v_cndmask_b32_e32 v98, v92, v98, vcc_lo
	v_cndmask_b32_e64 v96, v90, v96, s0
	v_add_f64 v[95:96], v[95:96], v[97:98]
	v_cmp_lt_f64_e32 vcc_lo, v[93:94], v[95:96]
	v_cndmask_b32_e32 v75, v75, v90, vcc_lo
	v_cndmask_b32_e32 v74, v74, v89, vcc_lo
	v_cndmask_b32_e32 v77, v77, v92, vcc_lo
	v_cndmask_b32_e32 v76, v76, v91, vcc_lo
	v_cndmask_b32_e64 v82, v82, s1, vcc_lo
	s_add_i32 s1, s1, 1
	s_cmp_lg_u32 s18, s1
	s_cbranch_scc1 .LBB34_190
.LBB34_191:
	s_inst_prefetch 0x2
	s_waitcnt lgkmcnt(0)
	v_cmp_eq_f64_e32 vcc_lo, 0, v[74:75]
	v_cmp_eq_f64_e64 s0, 0, v[76:77]
	s_and_b32 s0, vcc_lo, s0
	s_and_saveexec_b32 s1, s0
	s_xor_b32 s0, exec_lo, s1
; %bb.192:
	v_cmp_ne_u32_e32 vcc_lo, 0, v87
	v_cndmask_b32_e32 v87, 10, v87, vcc_lo
; %bb.193:
	s_andn2_saveexec_b32 s0, s0
	s_cbranch_execz .LBB34_199
; %bb.194:
	v_cmp_ngt_f64_e64 s1, |v[74:75]|, |v[76:77]|
	s_and_saveexec_b32 s2, s1
	s_xor_b32 s1, exec_lo, s2
	s_cbranch_execz .LBB34_196
; %bb.195:
	v_div_scale_f64 v[89:90], null, v[76:77], v[76:77], v[74:75]
	v_div_scale_f64 v[95:96], vcc_lo, v[74:75], v[76:77], v[74:75]
	v_rcp_f64_e32 v[91:92], v[89:90]
	v_fma_f64 v[93:94], -v[89:90], v[91:92], 1.0
	v_fma_f64 v[91:92], v[91:92], v[93:94], v[91:92]
	v_fma_f64 v[93:94], -v[89:90], v[91:92], 1.0
	v_fma_f64 v[91:92], v[91:92], v[93:94], v[91:92]
	v_mul_f64 v[93:94], v[95:96], v[91:92]
	v_fma_f64 v[89:90], -v[89:90], v[93:94], v[95:96]
	v_div_fmas_f64 v[89:90], v[89:90], v[91:92], v[93:94]
	v_div_fixup_f64 v[89:90], v[89:90], v[76:77], v[74:75]
	v_fma_f64 v[74:75], v[74:75], v[89:90], v[76:77]
	v_div_scale_f64 v[76:77], null, v[74:75], v[74:75], 1.0
	v_rcp_f64_e32 v[91:92], v[76:77]
	v_fma_f64 v[93:94], -v[76:77], v[91:92], 1.0
	v_fma_f64 v[91:92], v[91:92], v[93:94], v[91:92]
	v_fma_f64 v[93:94], -v[76:77], v[91:92], 1.0
	v_fma_f64 v[91:92], v[91:92], v[93:94], v[91:92]
	v_div_scale_f64 v[93:94], vcc_lo, 1.0, v[74:75], 1.0
	v_mul_f64 v[95:96], v[93:94], v[91:92]
	v_fma_f64 v[76:77], -v[76:77], v[95:96], v[93:94]
	v_div_fmas_f64 v[76:77], v[76:77], v[91:92], v[95:96]
	v_div_fixup_f64 v[76:77], v[76:77], v[74:75], 1.0
	v_mul_f64 v[74:75], v[89:90], v[76:77]
	v_xor_b32_e32 v77, 0x80000000, v77
.LBB34_196:
	s_andn2_saveexec_b32 s1, s1
	s_cbranch_execz .LBB34_198
; %bb.197:
	v_div_scale_f64 v[89:90], null, v[74:75], v[74:75], v[76:77]
	v_div_scale_f64 v[95:96], vcc_lo, v[76:77], v[74:75], v[76:77]
	v_rcp_f64_e32 v[91:92], v[89:90]
	v_fma_f64 v[93:94], -v[89:90], v[91:92], 1.0
	v_fma_f64 v[91:92], v[91:92], v[93:94], v[91:92]
	v_fma_f64 v[93:94], -v[89:90], v[91:92], 1.0
	v_fma_f64 v[91:92], v[91:92], v[93:94], v[91:92]
	v_mul_f64 v[93:94], v[95:96], v[91:92]
	v_fma_f64 v[89:90], -v[89:90], v[93:94], v[95:96]
	v_div_fmas_f64 v[89:90], v[89:90], v[91:92], v[93:94]
	v_div_fixup_f64 v[89:90], v[89:90], v[74:75], v[76:77]
	v_fma_f64 v[74:75], v[76:77], v[89:90], v[74:75]
	v_div_scale_f64 v[76:77], null, v[74:75], v[74:75], 1.0
	v_rcp_f64_e32 v[91:92], v[76:77]
	v_fma_f64 v[93:94], -v[76:77], v[91:92], 1.0
	v_fma_f64 v[91:92], v[91:92], v[93:94], v[91:92]
	v_fma_f64 v[93:94], -v[76:77], v[91:92], 1.0
	v_fma_f64 v[91:92], v[91:92], v[93:94], v[91:92]
	v_div_scale_f64 v[93:94], vcc_lo, 1.0, v[74:75], 1.0
	v_mul_f64 v[95:96], v[93:94], v[91:92]
	v_fma_f64 v[76:77], -v[76:77], v[95:96], v[93:94]
	v_div_fmas_f64 v[76:77], v[76:77], v[91:92], v[95:96]
	v_div_fixup_f64 v[74:75], v[76:77], v[74:75], 1.0
	v_mul_f64 v[76:77], v[89:90], -v[74:75]
.LBB34_198:
	s_or_b32 exec_lo, exec_lo, s1
.LBB34_199:
	s_or_b32 exec_lo, exec_lo, s0
	s_mov_b32 s0, exec_lo
	v_cmpx_ne_u32_e64 v88, v82
	s_xor_b32 s0, exec_lo, s0
	s_cbranch_execz .LBB34_205
; %bb.200:
	s_mov_b32 s1, exec_lo
	v_cmpx_eq_u32_e32 9, v88
	s_cbranch_execz .LBB34_204
; %bb.201:
	v_cmp_ne_u32_e32 vcc_lo, 9, v82
	s_xor_b32 s2, s16, -1
	s_and_b32 s3, s2, vcc_lo
	s_and_saveexec_b32 s2, s3
	s_cbranch_execz .LBB34_203
; %bb.202:
	v_ashrrev_i32_e32 v83, 31, v82
	v_lshlrev_b64 v[88:89], 2, v[82:83]
	v_add_co_u32 v88, vcc_lo, v80, v88
	v_add_co_ci_u32_e64 v89, null, v81, v89, vcc_lo
	s_clause 0x1
	global_load_dword v0, v[88:89], off
	global_load_dword v83, v[80:81], off offset:36
	s_waitcnt vmcnt(1)
	global_store_dword v[80:81], v0, off offset:36
	s_waitcnt vmcnt(0)
	global_store_dword v[88:89], v83, off
.LBB34_203:
	s_or_b32 exec_lo, exec_lo, s2
	v_mov_b32_e32 v88, v82
	v_mov_b32_e32 v0, v82
.LBB34_204:
	s_or_b32 exec_lo, exec_lo, s1
.LBB34_205:
	s_andn2_saveexec_b32 s0, s0
	s_cbranch_execz .LBB34_207
; %bb.206:
	v_mov_b32_e32 v88, 9
	ds_write2_b64 v1, v[30:31], v[32:33] offset0:20 offset1:21
	ds_write2_b64 v1, v[26:27], v[28:29] offset0:22 offset1:23
	;; [unrolled: 1-line block ×8, first 2 shown]
.LBB34_207:
	s_or_b32 exec_lo, exec_lo, s0
	s_mov_b32 s0, exec_lo
	s_waitcnt lgkmcnt(0)
	s_waitcnt_vscnt null, 0x0
	s_barrier
	buffer_gl0_inv
	v_cmpx_lt_i32_e32 9, v88
	s_cbranch_execz .LBB34_209
; %bb.208:
	v_mul_f64 v[82:83], v[74:75], v[36:37]
	v_mul_f64 v[36:37], v[76:77], v[36:37]
	v_fma_f64 v[82:83], v[76:77], v[34:35], v[82:83]
	v_fma_f64 v[34:35], v[74:75], v[34:35], -v[36:37]
	ds_read2_b64 v[74:77], v1 offset0:20 offset1:21
	s_waitcnt lgkmcnt(0)
	v_mul_f64 v[36:37], v[76:77], v[82:83]
	v_fma_f64 v[36:37], v[74:75], v[34:35], -v[36:37]
	v_mul_f64 v[74:75], v[74:75], v[82:83]
	v_add_f64 v[30:31], v[30:31], -v[36:37]
	v_fma_f64 v[74:75], v[76:77], v[34:35], v[74:75]
	v_add_f64 v[32:33], v[32:33], -v[74:75]
	ds_read2_b64 v[74:77], v1 offset0:22 offset1:23
	s_waitcnt lgkmcnt(0)
	v_mul_f64 v[36:37], v[76:77], v[82:83]
	v_fma_f64 v[36:37], v[74:75], v[34:35], -v[36:37]
	v_mul_f64 v[74:75], v[74:75], v[82:83]
	v_add_f64 v[26:27], v[26:27], -v[36:37]
	v_fma_f64 v[74:75], v[76:77], v[34:35], v[74:75]
	v_add_f64 v[28:29], v[28:29], -v[74:75]
	;; [unrolled: 8-line block ×7, first 2 shown]
	ds_read2_b64 v[74:77], v1 offset0:34 offset1:35
	s_waitcnt lgkmcnt(0)
	v_mul_f64 v[36:37], v[76:77], v[82:83]
	v_fma_f64 v[36:37], v[74:75], v[34:35], -v[36:37]
	v_mul_f64 v[74:75], v[74:75], v[82:83]
	v_add_f64 v[2:3], v[2:3], -v[36:37]
	v_fma_f64 v[74:75], v[76:77], v[34:35], v[74:75]
	v_mov_b32_e32 v36, v82
	v_mov_b32_e32 v37, v83
	v_add_f64 v[4:5], v[4:5], -v[74:75]
.LBB34_209:
	s_or_b32 exec_lo, exec_lo, s0
	v_lshl_add_u32 v74, v88, 4, v1
	s_barrier
	buffer_gl0_inv
	v_mov_b32_e32 v82, 10
	ds_write2_b64 v74, v[30:31], v[32:33] offset1:1
	s_waitcnt lgkmcnt(0)
	s_barrier
	buffer_gl0_inv
	ds_read2_b64 v[74:77], v1 offset0:20 offset1:21
	s_cmp_lt_i32 s18, 12
	s_cbranch_scc1 .LBB34_212
; %bb.210:
	v_add3_u32 v83, v84, 0, 0xb0
	v_mov_b32_e32 v82, 10
	s_mov_b32 s1, 11
	s_inst_prefetch 0x1
	.p2align	6
.LBB34_211:                             ; =>This Inner Loop Header: Depth=1
	s_waitcnt lgkmcnt(0)
	v_cmp_gt_f64_e32 vcc_lo, 0, v[76:77]
	v_cmp_gt_f64_e64 s0, 0, v[74:75]
	ds_read2_b64 v[89:92], v83 offset1:1
	v_xor_b32_e32 v94, 0x80000000, v75
	v_xor_b32_e32 v96, 0x80000000, v77
	v_mov_b32_e32 v93, v74
	v_mov_b32_e32 v95, v76
	v_add_nc_u32_e32 v83, 16, v83
	s_waitcnt lgkmcnt(0)
	v_xor_b32_e32 v98, 0x80000000, v92
	v_cndmask_b32_e64 v94, v75, v94, s0
	v_cndmask_b32_e32 v96, v77, v96, vcc_lo
	v_cmp_gt_f64_e32 vcc_lo, 0, v[91:92]
	v_cmp_gt_f64_e64 s0, 0, v[89:90]
	v_mov_b32_e32 v97, v91
	v_add_f64 v[93:94], v[93:94], v[95:96]
	v_xor_b32_e32 v96, 0x80000000, v90
	v_mov_b32_e32 v95, v89
	v_cndmask_b32_e32 v98, v92, v98, vcc_lo
	v_cndmask_b32_e64 v96, v90, v96, s0
	v_add_f64 v[95:96], v[95:96], v[97:98]
	v_cmp_lt_f64_e32 vcc_lo, v[93:94], v[95:96]
	v_cndmask_b32_e32 v75, v75, v90, vcc_lo
	v_cndmask_b32_e32 v74, v74, v89, vcc_lo
	v_cndmask_b32_e32 v77, v77, v92, vcc_lo
	v_cndmask_b32_e32 v76, v76, v91, vcc_lo
	v_cndmask_b32_e64 v82, v82, s1, vcc_lo
	s_add_i32 s1, s1, 1
	s_cmp_lg_u32 s18, s1
	s_cbranch_scc1 .LBB34_211
.LBB34_212:
	s_inst_prefetch 0x2
	s_waitcnt lgkmcnt(0)
	v_cmp_eq_f64_e32 vcc_lo, 0, v[74:75]
	v_cmp_eq_f64_e64 s0, 0, v[76:77]
	s_and_b32 s0, vcc_lo, s0
	s_and_saveexec_b32 s1, s0
	s_xor_b32 s0, exec_lo, s1
; %bb.213:
	v_cmp_ne_u32_e32 vcc_lo, 0, v87
	v_cndmask_b32_e32 v87, 11, v87, vcc_lo
; %bb.214:
	s_andn2_saveexec_b32 s0, s0
	s_cbranch_execz .LBB34_220
; %bb.215:
	v_cmp_ngt_f64_e64 s1, |v[74:75]|, |v[76:77]|
	s_and_saveexec_b32 s2, s1
	s_xor_b32 s1, exec_lo, s2
	s_cbranch_execz .LBB34_217
; %bb.216:
	v_div_scale_f64 v[89:90], null, v[76:77], v[76:77], v[74:75]
	v_div_scale_f64 v[95:96], vcc_lo, v[74:75], v[76:77], v[74:75]
	v_rcp_f64_e32 v[91:92], v[89:90]
	v_fma_f64 v[93:94], -v[89:90], v[91:92], 1.0
	v_fma_f64 v[91:92], v[91:92], v[93:94], v[91:92]
	v_fma_f64 v[93:94], -v[89:90], v[91:92], 1.0
	v_fma_f64 v[91:92], v[91:92], v[93:94], v[91:92]
	v_mul_f64 v[93:94], v[95:96], v[91:92]
	v_fma_f64 v[89:90], -v[89:90], v[93:94], v[95:96]
	v_div_fmas_f64 v[89:90], v[89:90], v[91:92], v[93:94]
	v_div_fixup_f64 v[89:90], v[89:90], v[76:77], v[74:75]
	v_fma_f64 v[74:75], v[74:75], v[89:90], v[76:77]
	v_div_scale_f64 v[76:77], null, v[74:75], v[74:75], 1.0
	v_rcp_f64_e32 v[91:92], v[76:77]
	v_fma_f64 v[93:94], -v[76:77], v[91:92], 1.0
	v_fma_f64 v[91:92], v[91:92], v[93:94], v[91:92]
	v_fma_f64 v[93:94], -v[76:77], v[91:92], 1.0
	v_fma_f64 v[91:92], v[91:92], v[93:94], v[91:92]
	v_div_scale_f64 v[93:94], vcc_lo, 1.0, v[74:75], 1.0
	v_mul_f64 v[95:96], v[93:94], v[91:92]
	v_fma_f64 v[76:77], -v[76:77], v[95:96], v[93:94]
	v_div_fmas_f64 v[76:77], v[76:77], v[91:92], v[95:96]
	v_div_fixup_f64 v[76:77], v[76:77], v[74:75], 1.0
	v_mul_f64 v[74:75], v[89:90], v[76:77]
	v_xor_b32_e32 v77, 0x80000000, v77
.LBB34_217:
	s_andn2_saveexec_b32 s1, s1
	s_cbranch_execz .LBB34_219
; %bb.218:
	v_div_scale_f64 v[89:90], null, v[74:75], v[74:75], v[76:77]
	v_div_scale_f64 v[95:96], vcc_lo, v[76:77], v[74:75], v[76:77]
	v_rcp_f64_e32 v[91:92], v[89:90]
	v_fma_f64 v[93:94], -v[89:90], v[91:92], 1.0
	v_fma_f64 v[91:92], v[91:92], v[93:94], v[91:92]
	v_fma_f64 v[93:94], -v[89:90], v[91:92], 1.0
	v_fma_f64 v[91:92], v[91:92], v[93:94], v[91:92]
	v_mul_f64 v[93:94], v[95:96], v[91:92]
	v_fma_f64 v[89:90], -v[89:90], v[93:94], v[95:96]
	v_div_fmas_f64 v[89:90], v[89:90], v[91:92], v[93:94]
	v_div_fixup_f64 v[89:90], v[89:90], v[74:75], v[76:77]
	v_fma_f64 v[74:75], v[76:77], v[89:90], v[74:75]
	v_div_scale_f64 v[76:77], null, v[74:75], v[74:75], 1.0
	v_rcp_f64_e32 v[91:92], v[76:77]
	v_fma_f64 v[93:94], -v[76:77], v[91:92], 1.0
	v_fma_f64 v[91:92], v[91:92], v[93:94], v[91:92]
	v_fma_f64 v[93:94], -v[76:77], v[91:92], 1.0
	v_fma_f64 v[91:92], v[91:92], v[93:94], v[91:92]
	v_div_scale_f64 v[93:94], vcc_lo, 1.0, v[74:75], 1.0
	v_mul_f64 v[95:96], v[93:94], v[91:92]
	v_fma_f64 v[76:77], -v[76:77], v[95:96], v[93:94]
	v_div_fmas_f64 v[76:77], v[76:77], v[91:92], v[95:96]
	v_div_fixup_f64 v[74:75], v[76:77], v[74:75], 1.0
	v_mul_f64 v[76:77], v[89:90], -v[74:75]
.LBB34_219:
	s_or_b32 exec_lo, exec_lo, s1
.LBB34_220:
	s_or_b32 exec_lo, exec_lo, s0
	s_mov_b32 s0, exec_lo
	v_cmpx_ne_u32_e64 v88, v82
	s_xor_b32 s0, exec_lo, s0
	s_cbranch_execz .LBB34_226
; %bb.221:
	s_mov_b32 s1, exec_lo
	v_cmpx_eq_u32_e32 10, v88
	s_cbranch_execz .LBB34_225
; %bb.222:
	v_cmp_ne_u32_e32 vcc_lo, 10, v82
	s_xor_b32 s2, s16, -1
	s_and_b32 s3, s2, vcc_lo
	s_and_saveexec_b32 s2, s3
	s_cbranch_execz .LBB34_224
; %bb.223:
	v_ashrrev_i32_e32 v83, 31, v82
	v_lshlrev_b64 v[88:89], 2, v[82:83]
	v_add_co_u32 v88, vcc_lo, v80, v88
	v_add_co_ci_u32_e64 v89, null, v81, v89, vcc_lo
	s_clause 0x1
	global_load_dword v0, v[88:89], off
	global_load_dword v83, v[80:81], off offset:40
	s_waitcnt vmcnt(1)
	global_store_dword v[80:81], v0, off offset:40
	s_waitcnt vmcnt(0)
	global_store_dword v[88:89], v83, off
.LBB34_224:
	s_or_b32 exec_lo, exec_lo, s2
	v_mov_b32_e32 v88, v82
	v_mov_b32_e32 v0, v82
.LBB34_225:
	s_or_b32 exec_lo, exec_lo, s1
.LBB34_226:
	s_andn2_saveexec_b32 s0, s0
	s_cbranch_execz .LBB34_228
; %bb.227:
	v_mov_b32_e32 v88, 10
	ds_write2_b64 v1, v[26:27], v[28:29] offset0:22 offset1:23
	ds_write2_b64 v1, v[22:23], v[24:25] offset0:24 offset1:25
	;; [unrolled: 1-line block ×7, first 2 shown]
.LBB34_228:
	s_or_b32 exec_lo, exec_lo, s0
	s_mov_b32 s0, exec_lo
	s_waitcnt lgkmcnt(0)
	s_waitcnt_vscnt null, 0x0
	s_barrier
	buffer_gl0_inv
	v_cmpx_lt_i32_e32 10, v88
	s_cbranch_execz .LBB34_230
; %bb.229:
	v_mul_f64 v[82:83], v[74:75], v[32:33]
	v_mul_f64 v[32:33], v[76:77], v[32:33]
	v_fma_f64 v[82:83], v[76:77], v[30:31], v[82:83]
	v_fma_f64 v[30:31], v[74:75], v[30:31], -v[32:33]
	ds_read2_b64 v[74:77], v1 offset0:22 offset1:23
	s_waitcnt lgkmcnt(0)
	v_mul_f64 v[32:33], v[76:77], v[82:83]
	v_fma_f64 v[32:33], v[74:75], v[30:31], -v[32:33]
	v_mul_f64 v[74:75], v[74:75], v[82:83]
	v_add_f64 v[26:27], v[26:27], -v[32:33]
	v_fma_f64 v[74:75], v[76:77], v[30:31], v[74:75]
	v_add_f64 v[28:29], v[28:29], -v[74:75]
	ds_read2_b64 v[74:77], v1 offset0:24 offset1:25
	s_waitcnt lgkmcnt(0)
	v_mul_f64 v[32:33], v[76:77], v[82:83]
	v_fma_f64 v[32:33], v[74:75], v[30:31], -v[32:33]
	v_mul_f64 v[74:75], v[74:75], v[82:83]
	v_add_f64 v[22:23], v[22:23], -v[32:33]
	v_fma_f64 v[74:75], v[76:77], v[30:31], v[74:75]
	v_add_f64 v[24:25], v[24:25], -v[74:75]
	;; [unrolled: 8-line block ×6, first 2 shown]
	ds_read2_b64 v[74:77], v1 offset0:34 offset1:35
	s_waitcnt lgkmcnt(0)
	v_mul_f64 v[32:33], v[76:77], v[82:83]
	v_fma_f64 v[32:33], v[74:75], v[30:31], -v[32:33]
	v_mul_f64 v[74:75], v[74:75], v[82:83]
	v_add_f64 v[2:3], v[2:3], -v[32:33]
	v_fma_f64 v[74:75], v[76:77], v[30:31], v[74:75]
	v_mov_b32_e32 v32, v82
	v_mov_b32_e32 v33, v83
	v_add_f64 v[4:5], v[4:5], -v[74:75]
.LBB34_230:
	s_or_b32 exec_lo, exec_lo, s0
	v_lshl_add_u32 v74, v88, 4, v1
	s_barrier
	buffer_gl0_inv
	v_mov_b32_e32 v82, 11
	ds_write2_b64 v74, v[26:27], v[28:29] offset1:1
	s_waitcnt lgkmcnt(0)
	s_barrier
	buffer_gl0_inv
	ds_read2_b64 v[74:77], v1 offset0:22 offset1:23
	s_cmp_lt_i32 s18, 13
	s_cbranch_scc1 .LBB34_233
; %bb.231:
	v_add3_u32 v83, v84, 0, 0xc0
	v_mov_b32_e32 v82, 11
	s_mov_b32 s1, 12
	s_inst_prefetch 0x1
	.p2align	6
.LBB34_232:                             ; =>This Inner Loop Header: Depth=1
	s_waitcnt lgkmcnt(0)
	v_cmp_gt_f64_e32 vcc_lo, 0, v[76:77]
	v_cmp_gt_f64_e64 s0, 0, v[74:75]
	ds_read2_b64 v[89:92], v83 offset1:1
	v_xor_b32_e32 v94, 0x80000000, v75
	v_xor_b32_e32 v96, 0x80000000, v77
	v_mov_b32_e32 v93, v74
	v_mov_b32_e32 v95, v76
	v_add_nc_u32_e32 v83, 16, v83
	s_waitcnt lgkmcnt(0)
	v_xor_b32_e32 v98, 0x80000000, v92
	v_cndmask_b32_e64 v94, v75, v94, s0
	v_cndmask_b32_e32 v96, v77, v96, vcc_lo
	v_cmp_gt_f64_e32 vcc_lo, 0, v[91:92]
	v_cmp_gt_f64_e64 s0, 0, v[89:90]
	v_mov_b32_e32 v97, v91
	v_add_f64 v[93:94], v[93:94], v[95:96]
	v_xor_b32_e32 v96, 0x80000000, v90
	v_mov_b32_e32 v95, v89
	v_cndmask_b32_e32 v98, v92, v98, vcc_lo
	v_cndmask_b32_e64 v96, v90, v96, s0
	v_add_f64 v[95:96], v[95:96], v[97:98]
	v_cmp_lt_f64_e32 vcc_lo, v[93:94], v[95:96]
	v_cndmask_b32_e32 v75, v75, v90, vcc_lo
	v_cndmask_b32_e32 v74, v74, v89, vcc_lo
	;; [unrolled: 1-line block ×4, first 2 shown]
	v_cndmask_b32_e64 v82, v82, s1, vcc_lo
	s_add_i32 s1, s1, 1
	s_cmp_lg_u32 s18, s1
	s_cbranch_scc1 .LBB34_232
.LBB34_233:
	s_inst_prefetch 0x2
	s_waitcnt lgkmcnt(0)
	v_cmp_eq_f64_e32 vcc_lo, 0, v[74:75]
	v_cmp_eq_f64_e64 s0, 0, v[76:77]
	s_and_b32 s0, vcc_lo, s0
	s_and_saveexec_b32 s1, s0
	s_xor_b32 s0, exec_lo, s1
; %bb.234:
	v_cmp_ne_u32_e32 vcc_lo, 0, v87
	v_cndmask_b32_e32 v87, 12, v87, vcc_lo
; %bb.235:
	s_andn2_saveexec_b32 s0, s0
	s_cbranch_execz .LBB34_241
; %bb.236:
	v_cmp_ngt_f64_e64 s1, |v[74:75]|, |v[76:77]|
	s_and_saveexec_b32 s2, s1
	s_xor_b32 s1, exec_lo, s2
	s_cbranch_execz .LBB34_238
; %bb.237:
	v_div_scale_f64 v[89:90], null, v[76:77], v[76:77], v[74:75]
	v_div_scale_f64 v[95:96], vcc_lo, v[74:75], v[76:77], v[74:75]
	v_rcp_f64_e32 v[91:92], v[89:90]
	v_fma_f64 v[93:94], -v[89:90], v[91:92], 1.0
	v_fma_f64 v[91:92], v[91:92], v[93:94], v[91:92]
	v_fma_f64 v[93:94], -v[89:90], v[91:92], 1.0
	v_fma_f64 v[91:92], v[91:92], v[93:94], v[91:92]
	v_mul_f64 v[93:94], v[95:96], v[91:92]
	v_fma_f64 v[89:90], -v[89:90], v[93:94], v[95:96]
	v_div_fmas_f64 v[89:90], v[89:90], v[91:92], v[93:94]
	v_div_fixup_f64 v[89:90], v[89:90], v[76:77], v[74:75]
	v_fma_f64 v[74:75], v[74:75], v[89:90], v[76:77]
	v_div_scale_f64 v[76:77], null, v[74:75], v[74:75], 1.0
	v_rcp_f64_e32 v[91:92], v[76:77]
	v_fma_f64 v[93:94], -v[76:77], v[91:92], 1.0
	v_fma_f64 v[91:92], v[91:92], v[93:94], v[91:92]
	v_fma_f64 v[93:94], -v[76:77], v[91:92], 1.0
	v_fma_f64 v[91:92], v[91:92], v[93:94], v[91:92]
	v_div_scale_f64 v[93:94], vcc_lo, 1.0, v[74:75], 1.0
	v_mul_f64 v[95:96], v[93:94], v[91:92]
	v_fma_f64 v[76:77], -v[76:77], v[95:96], v[93:94]
	v_div_fmas_f64 v[76:77], v[76:77], v[91:92], v[95:96]
	v_div_fixup_f64 v[76:77], v[76:77], v[74:75], 1.0
	v_mul_f64 v[74:75], v[89:90], v[76:77]
	v_xor_b32_e32 v77, 0x80000000, v77
.LBB34_238:
	s_andn2_saveexec_b32 s1, s1
	s_cbranch_execz .LBB34_240
; %bb.239:
	v_div_scale_f64 v[89:90], null, v[74:75], v[74:75], v[76:77]
	v_div_scale_f64 v[95:96], vcc_lo, v[76:77], v[74:75], v[76:77]
	v_rcp_f64_e32 v[91:92], v[89:90]
	v_fma_f64 v[93:94], -v[89:90], v[91:92], 1.0
	v_fma_f64 v[91:92], v[91:92], v[93:94], v[91:92]
	v_fma_f64 v[93:94], -v[89:90], v[91:92], 1.0
	v_fma_f64 v[91:92], v[91:92], v[93:94], v[91:92]
	v_mul_f64 v[93:94], v[95:96], v[91:92]
	v_fma_f64 v[89:90], -v[89:90], v[93:94], v[95:96]
	v_div_fmas_f64 v[89:90], v[89:90], v[91:92], v[93:94]
	v_div_fixup_f64 v[89:90], v[89:90], v[74:75], v[76:77]
	v_fma_f64 v[74:75], v[76:77], v[89:90], v[74:75]
	v_div_scale_f64 v[76:77], null, v[74:75], v[74:75], 1.0
	v_rcp_f64_e32 v[91:92], v[76:77]
	v_fma_f64 v[93:94], -v[76:77], v[91:92], 1.0
	v_fma_f64 v[91:92], v[91:92], v[93:94], v[91:92]
	v_fma_f64 v[93:94], -v[76:77], v[91:92], 1.0
	v_fma_f64 v[91:92], v[91:92], v[93:94], v[91:92]
	v_div_scale_f64 v[93:94], vcc_lo, 1.0, v[74:75], 1.0
	v_mul_f64 v[95:96], v[93:94], v[91:92]
	v_fma_f64 v[76:77], -v[76:77], v[95:96], v[93:94]
	v_div_fmas_f64 v[76:77], v[76:77], v[91:92], v[95:96]
	v_div_fixup_f64 v[74:75], v[76:77], v[74:75], 1.0
	v_mul_f64 v[76:77], v[89:90], -v[74:75]
.LBB34_240:
	s_or_b32 exec_lo, exec_lo, s1
.LBB34_241:
	s_or_b32 exec_lo, exec_lo, s0
	s_mov_b32 s0, exec_lo
	v_cmpx_ne_u32_e64 v88, v82
	s_xor_b32 s0, exec_lo, s0
	s_cbranch_execz .LBB34_247
; %bb.242:
	s_mov_b32 s1, exec_lo
	v_cmpx_eq_u32_e32 11, v88
	s_cbranch_execz .LBB34_246
; %bb.243:
	v_cmp_ne_u32_e32 vcc_lo, 11, v82
	s_xor_b32 s2, s16, -1
	s_and_b32 s3, s2, vcc_lo
	s_and_saveexec_b32 s2, s3
	s_cbranch_execz .LBB34_245
; %bb.244:
	v_ashrrev_i32_e32 v83, 31, v82
	v_lshlrev_b64 v[88:89], 2, v[82:83]
	v_add_co_u32 v88, vcc_lo, v80, v88
	v_add_co_ci_u32_e64 v89, null, v81, v89, vcc_lo
	s_clause 0x1
	global_load_dword v0, v[88:89], off
	global_load_dword v83, v[80:81], off offset:44
	s_waitcnt vmcnt(1)
	global_store_dword v[80:81], v0, off offset:44
	s_waitcnt vmcnt(0)
	global_store_dword v[88:89], v83, off
.LBB34_245:
	s_or_b32 exec_lo, exec_lo, s2
	v_mov_b32_e32 v88, v82
	v_mov_b32_e32 v0, v82
.LBB34_246:
	s_or_b32 exec_lo, exec_lo, s1
.LBB34_247:
	s_andn2_saveexec_b32 s0, s0
	s_cbranch_execz .LBB34_249
; %bb.248:
	v_mov_b32_e32 v88, 11
	ds_write2_b64 v1, v[22:23], v[24:25] offset0:24 offset1:25
	ds_write2_b64 v1, v[18:19], v[20:21] offset0:26 offset1:27
	;; [unrolled: 1-line block ×6, first 2 shown]
.LBB34_249:
	s_or_b32 exec_lo, exec_lo, s0
	s_mov_b32 s0, exec_lo
	s_waitcnt lgkmcnt(0)
	s_waitcnt_vscnt null, 0x0
	s_barrier
	buffer_gl0_inv
	v_cmpx_lt_i32_e32 11, v88
	s_cbranch_execz .LBB34_251
; %bb.250:
	v_mul_f64 v[82:83], v[74:75], v[28:29]
	v_mul_f64 v[28:29], v[76:77], v[28:29]
	v_fma_f64 v[82:83], v[76:77], v[26:27], v[82:83]
	v_fma_f64 v[26:27], v[74:75], v[26:27], -v[28:29]
	ds_read2_b64 v[74:77], v1 offset0:24 offset1:25
	s_waitcnt lgkmcnt(0)
	v_mul_f64 v[28:29], v[76:77], v[82:83]
	v_fma_f64 v[28:29], v[74:75], v[26:27], -v[28:29]
	v_mul_f64 v[74:75], v[74:75], v[82:83]
	v_add_f64 v[22:23], v[22:23], -v[28:29]
	v_fma_f64 v[74:75], v[76:77], v[26:27], v[74:75]
	v_add_f64 v[24:25], v[24:25], -v[74:75]
	ds_read2_b64 v[74:77], v1 offset0:26 offset1:27
	s_waitcnt lgkmcnt(0)
	v_mul_f64 v[28:29], v[76:77], v[82:83]
	v_fma_f64 v[28:29], v[74:75], v[26:27], -v[28:29]
	v_mul_f64 v[74:75], v[74:75], v[82:83]
	v_add_f64 v[18:19], v[18:19], -v[28:29]
	v_fma_f64 v[74:75], v[76:77], v[26:27], v[74:75]
	v_add_f64 v[20:21], v[20:21], -v[74:75]
	;; [unrolled: 8-line block ×5, first 2 shown]
	ds_read2_b64 v[74:77], v1 offset0:34 offset1:35
	s_waitcnt lgkmcnt(0)
	v_mul_f64 v[28:29], v[76:77], v[82:83]
	v_fma_f64 v[28:29], v[74:75], v[26:27], -v[28:29]
	v_mul_f64 v[74:75], v[74:75], v[82:83]
	v_add_f64 v[2:3], v[2:3], -v[28:29]
	v_fma_f64 v[74:75], v[76:77], v[26:27], v[74:75]
	v_mov_b32_e32 v28, v82
	v_mov_b32_e32 v29, v83
	v_add_f64 v[4:5], v[4:5], -v[74:75]
.LBB34_251:
	s_or_b32 exec_lo, exec_lo, s0
	v_lshl_add_u32 v74, v88, 4, v1
	s_barrier
	buffer_gl0_inv
	v_mov_b32_e32 v82, 12
	ds_write2_b64 v74, v[22:23], v[24:25] offset1:1
	s_waitcnt lgkmcnt(0)
	s_barrier
	buffer_gl0_inv
	ds_read2_b64 v[74:77], v1 offset0:24 offset1:25
	s_cmp_lt_i32 s18, 14
	s_cbranch_scc1 .LBB34_254
; %bb.252:
	v_add3_u32 v83, v84, 0, 0xd0
	v_mov_b32_e32 v82, 12
	s_mov_b32 s1, 13
	s_inst_prefetch 0x1
	.p2align	6
.LBB34_253:                             ; =>This Inner Loop Header: Depth=1
	s_waitcnt lgkmcnt(0)
	v_cmp_gt_f64_e32 vcc_lo, 0, v[76:77]
	v_cmp_gt_f64_e64 s0, 0, v[74:75]
	ds_read2_b64 v[89:92], v83 offset1:1
	v_xor_b32_e32 v94, 0x80000000, v75
	v_xor_b32_e32 v96, 0x80000000, v77
	v_mov_b32_e32 v93, v74
	v_mov_b32_e32 v95, v76
	v_add_nc_u32_e32 v83, 16, v83
	s_waitcnt lgkmcnt(0)
	v_xor_b32_e32 v98, 0x80000000, v92
	v_cndmask_b32_e64 v94, v75, v94, s0
	v_cndmask_b32_e32 v96, v77, v96, vcc_lo
	v_cmp_gt_f64_e32 vcc_lo, 0, v[91:92]
	v_cmp_gt_f64_e64 s0, 0, v[89:90]
	v_mov_b32_e32 v97, v91
	v_add_f64 v[93:94], v[93:94], v[95:96]
	v_xor_b32_e32 v96, 0x80000000, v90
	v_mov_b32_e32 v95, v89
	v_cndmask_b32_e32 v98, v92, v98, vcc_lo
	v_cndmask_b32_e64 v96, v90, v96, s0
	v_add_f64 v[95:96], v[95:96], v[97:98]
	v_cmp_lt_f64_e32 vcc_lo, v[93:94], v[95:96]
	v_cndmask_b32_e32 v75, v75, v90, vcc_lo
	v_cndmask_b32_e32 v74, v74, v89, vcc_lo
	;; [unrolled: 1-line block ×4, first 2 shown]
	v_cndmask_b32_e64 v82, v82, s1, vcc_lo
	s_add_i32 s1, s1, 1
	s_cmp_lg_u32 s18, s1
	s_cbranch_scc1 .LBB34_253
.LBB34_254:
	s_inst_prefetch 0x2
	s_waitcnt lgkmcnt(0)
	v_cmp_eq_f64_e32 vcc_lo, 0, v[74:75]
	v_cmp_eq_f64_e64 s0, 0, v[76:77]
	s_and_b32 s0, vcc_lo, s0
	s_and_saveexec_b32 s1, s0
	s_xor_b32 s0, exec_lo, s1
; %bb.255:
	v_cmp_ne_u32_e32 vcc_lo, 0, v87
	v_cndmask_b32_e32 v87, 13, v87, vcc_lo
; %bb.256:
	s_andn2_saveexec_b32 s0, s0
	s_cbranch_execz .LBB34_262
; %bb.257:
	v_cmp_ngt_f64_e64 s1, |v[74:75]|, |v[76:77]|
	s_and_saveexec_b32 s2, s1
	s_xor_b32 s1, exec_lo, s2
	s_cbranch_execz .LBB34_259
; %bb.258:
	v_div_scale_f64 v[89:90], null, v[76:77], v[76:77], v[74:75]
	v_div_scale_f64 v[95:96], vcc_lo, v[74:75], v[76:77], v[74:75]
	v_rcp_f64_e32 v[91:92], v[89:90]
	v_fma_f64 v[93:94], -v[89:90], v[91:92], 1.0
	v_fma_f64 v[91:92], v[91:92], v[93:94], v[91:92]
	v_fma_f64 v[93:94], -v[89:90], v[91:92], 1.0
	v_fma_f64 v[91:92], v[91:92], v[93:94], v[91:92]
	v_mul_f64 v[93:94], v[95:96], v[91:92]
	v_fma_f64 v[89:90], -v[89:90], v[93:94], v[95:96]
	v_div_fmas_f64 v[89:90], v[89:90], v[91:92], v[93:94]
	v_div_fixup_f64 v[89:90], v[89:90], v[76:77], v[74:75]
	v_fma_f64 v[74:75], v[74:75], v[89:90], v[76:77]
	v_div_scale_f64 v[76:77], null, v[74:75], v[74:75], 1.0
	v_rcp_f64_e32 v[91:92], v[76:77]
	v_fma_f64 v[93:94], -v[76:77], v[91:92], 1.0
	v_fma_f64 v[91:92], v[91:92], v[93:94], v[91:92]
	v_fma_f64 v[93:94], -v[76:77], v[91:92], 1.0
	v_fma_f64 v[91:92], v[91:92], v[93:94], v[91:92]
	v_div_scale_f64 v[93:94], vcc_lo, 1.0, v[74:75], 1.0
	v_mul_f64 v[95:96], v[93:94], v[91:92]
	v_fma_f64 v[76:77], -v[76:77], v[95:96], v[93:94]
	v_div_fmas_f64 v[76:77], v[76:77], v[91:92], v[95:96]
	v_div_fixup_f64 v[76:77], v[76:77], v[74:75], 1.0
	v_mul_f64 v[74:75], v[89:90], v[76:77]
	v_xor_b32_e32 v77, 0x80000000, v77
.LBB34_259:
	s_andn2_saveexec_b32 s1, s1
	s_cbranch_execz .LBB34_261
; %bb.260:
	v_div_scale_f64 v[89:90], null, v[74:75], v[74:75], v[76:77]
	v_div_scale_f64 v[95:96], vcc_lo, v[76:77], v[74:75], v[76:77]
	v_rcp_f64_e32 v[91:92], v[89:90]
	v_fma_f64 v[93:94], -v[89:90], v[91:92], 1.0
	v_fma_f64 v[91:92], v[91:92], v[93:94], v[91:92]
	v_fma_f64 v[93:94], -v[89:90], v[91:92], 1.0
	v_fma_f64 v[91:92], v[91:92], v[93:94], v[91:92]
	v_mul_f64 v[93:94], v[95:96], v[91:92]
	v_fma_f64 v[89:90], -v[89:90], v[93:94], v[95:96]
	v_div_fmas_f64 v[89:90], v[89:90], v[91:92], v[93:94]
	v_div_fixup_f64 v[89:90], v[89:90], v[74:75], v[76:77]
	v_fma_f64 v[74:75], v[76:77], v[89:90], v[74:75]
	v_div_scale_f64 v[76:77], null, v[74:75], v[74:75], 1.0
	v_rcp_f64_e32 v[91:92], v[76:77]
	v_fma_f64 v[93:94], -v[76:77], v[91:92], 1.0
	v_fma_f64 v[91:92], v[91:92], v[93:94], v[91:92]
	v_fma_f64 v[93:94], -v[76:77], v[91:92], 1.0
	v_fma_f64 v[91:92], v[91:92], v[93:94], v[91:92]
	v_div_scale_f64 v[93:94], vcc_lo, 1.0, v[74:75], 1.0
	v_mul_f64 v[95:96], v[93:94], v[91:92]
	v_fma_f64 v[76:77], -v[76:77], v[95:96], v[93:94]
	v_div_fmas_f64 v[76:77], v[76:77], v[91:92], v[95:96]
	v_div_fixup_f64 v[74:75], v[76:77], v[74:75], 1.0
	v_mul_f64 v[76:77], v[89:90], -v[74:75]
.LBB34_261:
	s_or_b32 exec_lo, exec_lo, s1
.LBB34_262:
	s_or_b32 exec_lo, exec_lo, s0
	s_mov_b32 s0, exec_lo
	v_cmpx_ne_u32_e64 v88, v82
	s_xor_b32 s0, exec_lo, s0
	s_cbranch_execz .LBB34_268
; %bb.263:
	s_mov_b32 s1, exec_lo
	v_cmpx_eq_u32_e32 12, v88
	s_cbranch_execz .LBB34_267
; %bb.264:
	v_cmp_ne_u32_e32 vcc_lo, 12, v82
	s_xor_b32 s2, s16, -1
	s_and_b32 s3, s2, vcc_lo
	s_and_saveexec_b32 s2, s3
	s_cbranch_execz .LBB34_266
; %bb.265:
	v_ashrrev_i32_e32 v83, 31, v82
	v_lshlrev_b64 v[88:89], 2, v[82:83]
	v_add_co_u32 v88, vcc_lo, v80, v88
	v_add_co_ci_u32_e64 v89, null, v81, v89, vcc_lo
	s_clause 0x1
	global_load_dword v0, v[88:89], off
	global_load_dword v83, v[80:81], off offset:48
	s_waitcnt vmcnt(1)
	global_store_dword v[80:81], v0, off offset:48
	s_waitcnt vmcnt(0)
	global_store_dword v[88:89], v83, off
.LBB34_266:
	s_or_b32 exec_lo, exec_lo, s2
	v_mov_b32_e32 v88, v82
	v_mov_b32_e32 v0, v82
.LBB34_267:
	s_or_b32 exec_lo, exec_lo, s1
.LBB34_268:
	s_andn2_saveexec_b32 s0, s0
	s_cbranch_execz .LBB34_270
; %bb.269:
	v_mov_b32_e32 v88, 12
	ds_write2_b64 v1, v[18:19], v[20:21] offset0:26 offset1:27
	ds_write2_b64 v1, v[14:15], v[16:17] offset0:28 offset1:29
	;; [unrolled: 1-line block ×5, first 2 shown]
.LBB34_270:
	s_or_b32 exec_lo, exec_lo, s0
	s_mov_b32 s0, exec_lo
	s_waitcnt lgkmcnt(0)
	s_waitcnt_vscnt null, 0x0
	s_barrier
	buffer_gl0_inv
	v_cmpx_lt_i32_e32 12, v88
	s_cbranch_execz .LBB34_272
; %bb.271:
	v_mul_f64 v[82:83], v[74:75], v[24:25]
	v_mul_f64 v[24:25], v[76:77], v[24:25]
	v_fma_f64 v[82:83], v[76:77], v[22:23], v[82:83]
	v_fma_f64 v[22:23], v[74:75], v[22:23], -v[24:25]
	ds_read2_b64 v[74:77], v1 offset0:26 offset1:27
	s_waitcnt lgkmcnt(0)
	v_mul_f64 v[24:25], v[76:77], v[82:83]
	v_fma_f64 v[24:25], v[74:75], v[22:23], -v[24:25]
	v_mul_f64 v[74:75], v[74:75], v[82:83]
	v_add_f64 v[18:19], v[18:19], -v[24:25]
	v_fma_f64 v[74:75], v[76:77], v[22:23], v[74:75]
	v_add_f64 v[20:21], v[20:21], -v[74:75]
	ds_read2_b64 v[74:77], v1 offset0:28 offset1:29
	s_waitcnt lgkmcnt(0)
	v_mul_f64 v[24:25], v[76:77], v[82:83]
	v_fma_f64 v[24:25], v[74:75], v[22:23], -v[24:25]
	v_mul_f64 v[74:75], v[74:75], v[82:83]
	v_add_f64 v[14:15], v[14:15], -v[24:25]
	v_fma_f64 v[74:75], v[76:77], v[22:23], v[74:75]
	v_add_f64 v[16:17], v[16:17], -v[74:75]
	;; [unrolled: 8-line block ×4, first 2 shown]
	ds_read2_b64 v[74:77], v1 offset0:34 offset1:35
	s_waitcnt lgkmcnt(0)
	v_mul_f64 v[24:25], v[76:77], v[82:83]
	v_fma_f64 v[24:25], v[74:75], v[22:23], -v[24:25]
	v_mul_f64 v[74:75], v[74:75], v[82:83]
	v_add_f64 v[2:3], v[2:3], -v[24:25]
	v_fma_f64 v[74:75], v[76:77], v[22:23], v[74:75]
	v_mov_b32_e32 v24, v82
	v_mov_b32_e32 v25, v83
	v_add_f64 v[4:5], v[4:5], -v[74:75]
.LBB34_272:
	s_or_b32 exec_lo, exec_lo, s0
	v_lshl_add_u32 v74, v88, 4, v1
	s_barrier
	buffer_gl0_inv
	v_mov_b32_e32 v82, 13
	ds_write2_b64 v74, v[18:19], v[20:21] offset1:1
	s_waitcnt lgkmcnt(0)
	s_barrier
	buffer_gl0_inv
	ds_read2_b64 v[74:77], v1 offset0:26 offset1:27
	s_cmp_lt_i32 s18, 15
	s_cbranch_scc1 .LBB34_275
; %bb.273:
	v_add3_u32 v83, v84, 0, 0xe0
	v_mov_b32_e32 v82, 13
	s_mov_b32 s1, 14
	s_inst_prefetch 0x1
	.p2align	6
.LBB34_274:                             ; =>This Inner Loop Header: Depth=1
	s_waitcnt lgkmcnt(0)
	v_cmp_gt_f64_e32 vcc_lo, 0, v[76:77]
	v_cmp_gt_f64_e64 s0, 0, v[74:75]
	ds_read2_b64 v[89:92], v83 offset1:1
	v_xor_b32_e32 v94, 0x80000000, v75
	v_xor_b32_e32 v96, 0x80000000, v77
	v_mov_b32_e32 v93, v74
	v_mov_b32_e32 v95, v76
	v_add_nc_u32_e32 v83, 16, v83
	s_waitcnt lgkmcnt(0)
	v_xor_b32_e32 v98, 0x80000000, v92
	v_cndmask_b32_e64 v94, v75, v94, s0
	v_cndmask_b32_e32 v96, v77, v96, vcc_lo
	v_cmp_gt_f64_e32 vcc_lo, 0, v[91:92]
	v_cmp_gt_f64_e64 s0, 0, v[89:90]
	v_mov_b32_e32 v97, v91
	v_add_f64 v[93:94], v[93:94], v[95:96]
	v_xor_b32_e32 v96, 0x80000000, v90
	v_mov_b32_e32 v95, v89
	v_cndmask_b32_e32 v98, v92, v98, vcc_lo
	v_cndmask_b32_e64 v96, v90, v96, s0
	v_add_f64 v[95:96], v[95:96], v[97:98]
	v_cmp_lt_f64_e32 vcc_lo, v[93:94], v[95:96]
	v_cndmask_b32_e32 v75, v75, v90, vcc_lo
	v_cndmask_b32_e32 v74, v74, v89, vcc_lo
	;; [unrolled: 1-line block ×4, first 2 shown]
	v_cndmask_b32_e64 v82, v82, s1, vcc_lo
	s_add_i32 s1, s1, 1
	s_cmp_lg_u32 s18, s1
	s_cbranch_scc1 .LBB34_274
.LBB34_275:
	s_inst_prefetch 0x2
	s_waitcnt lgkmcnt(0)
	v_cmp_eq_f64_e32 vcc_lo, 0, v[74:75]
	v_cmp_eq_f64_e64 s0, 0, v[76:77]
	s_and_b32 s0, vcc_lo, s0
	s_and_saveexec_b32 s1, s0
	s_xor_b32 s0, exec_lo, s1
; %bb.276:
	v_cmp_ne_u32_e32 vcc_lo, 0, v87
	v_cndmask_b32_e32 v87, 14, v87, vcc_lo
; %bb.277:
	s_andn2_saveexec_b32 s0, s0
	s_cbranch_execz .LBB34_283
; %bb.278:
	v_cmp_ngt_f64_e64 s1, |v[74:75]|, |v[76:77]|
	s_and_saveexec_b32 s2, s1
	s_xor_b32 s1, exec_lo, s2
	s_cbranch_execz .LBB34_280
; %bb.279:
	v_div_scale_f64 v[89:90], null, v[76:77], v[76:77], v[74:75]
	v_div_scale_f64 v[95:96], vcc_lo, v[74:75], v[76:77], v[74:75]
	v_rcp_f64_e32 v[91:92], v[89:90]
	v_fma_f64 v[93:94], -v[89:90], v[91:92], 1.0
	v_fma_f64 v[91:92], v[91:92], v[93:94], v[91:92]
	v_fma_f64 v[93:94], -v[89:90], v[91:92], 1.0
	v_fma_f64 v[91:92], v[91:92], v[93:94], v[91:92]
	v_mul_f64 v[93:94], v[95:96], v[91:92]
	v_fma_f64 v[89:90], -v[89:90], v[93:94], v[95:96]
	v_div_fmas_f64 v[89:90], v[89:90], v[91:92], v[93:94]
	v_div_fixup_f64 v[89:90], v[89:90], v[76:77], v[74:75]
	v_fma_f64 v[74:75], v[74:75], v[89:90], v[76:77]
	v_div_scale_f64 v[76:77], null, v[74:75], v[74:75], 1.0
	v_rcp_f64_e32 v[91:92], v[76:77]
	v_fma_f64 v[93:94], -v[76:77], v[91:92], 1.0
	v_fma_f64 v[91:92], v[91:92], v[93:94], v[91:92]
	v_fma_f64 v[93:94], -v[76:77], v[91:92], 1.0
	v_fma_f64 v[91:92], v[91:92], v[93:94], v[91:92]
	v_div_scale_f64 v[93:94], vcc_lo, 1.0, v[74:75], 1.0
	v_mul_f64 v[95:96], v[93:94], v[91:92]
	v_fma_f64 v[76:77], -v[76:77], v[95:96], v[93:94]
	v_div_fmas_f64 v[76:77], v[76:77], v[91:92], v[95:96]
	v_div_fixup_f64 v[76:77], v[76:77], v[74:75], 1.0
	v_mul_f64 v[74:75], v[89:90], v[76:77]
	v_xor_b32_e32 v77, 0x80000000, v77
.LBB34_280:
	s_andn2_saveexec_b32 s1, s1
	s_cbranch_execz .LBB34_282
; %bb.281:
	v_div_scale_f64 v[89:90], null, v[74:75], v[74:75], v[76:77]
	v_div_scale_f64 v[95:96], vcc_lo, v[76:77], v[74:75], v[76:77]
	v_rcp_f64_e32 v[91:92], v[89:90]
	v_fma_f64 v[93:94], -v[89:90], v[91:92], 1.0
	v_fma_f64 v[91:92], v[91:92], v[93:94], v[91:92]
	v_fma_f64 v[93:94], -v[89:90], v[91:92], 1.0
	v_fma_f64 v[91:92], v[91:92], v[93:94], v[91:92]
	v_mul_f64 v[93:94], v[95:96], v[91:92]
	v_fma_f64 v[89:90], -v[89:90], v[93:94], v[95:96]
	v_div_fmas_f64 v[89:90], v[89:90], v[91:92], v[93:94]
	v_div_fixup_f64 v[89:90], v[89:90], v[74:75], v[76:77]
	v_fma_f64 v[74:75], v[76:77], v[89:90], v[74:75]
	v_div_scale_f64 v[76:77], null, v[74:75], v[74:75], 1.0
	v_rcp_f64_e32 v[91:92], v[76:77]
	v_fma_f64 v[93:94], -v[76:77], v[91:92], 1.0
	v_fma_f64 v[91:92], v[91:92], v[93:94], v[91:92]
	v_fma_f64 v[93:94], -v[76:77], v[91:92], 1.0
	v_fma_f64 v[91:92], v[91:92], v[93:94], v[91:92]
	v_div_scale_f64 v[93:94], vcc_lo, 1.0, v[74:75], 1.0
	v_mul_f64 v[95:96], v[93:94], v[91:92]
	v_fma_f64 v[76:77], -v[76:77], v[95:96], v[93:94]
	v_div_fmas_f64 v[76:77], v[76:77], v[91:92], v[95:96]
	v_div_fixup_f64 v[74:75], v[76:77], v[74:75], 1.0
	v_mul_f64 v[76:77], v[89:90], -v[74:75]
.LBB34_282:
	s_or_b32 exec_lo, exec_lo, s1
.LBB34_283:
	s_or_b32 exec_lo, exec_lo, s0
	s_mov_b32 s0, exec_lo
	v_cmpx_ne_u32_e64 v88, v82
	s_xor_b32 s0, exec_lo, s0
	s_cbranch_execz .LBB34_289
; %bb.284:
	s_mov_b32 s1, exec_lo
	v_cmpx_eq_u32_e32 13, v88
	s_cbranch_execz .LBB34_288
; %bb.285:
	v_cmp_ne_u32_e32 vcc_lo, 13, v82
	s_xor_b32 s2, s16, -1
	s_and_b32 s3, s2, vcc_lo
	s_and_saveexec_b32 s2, s3
	s_cbranch_execz .LBB34_287
; %bb.286:
	v_ashrrev_i32_e32 v83, 31, v82
	v_lshlrev_b64 v[88:89], 2, v[82:83]
	v_add_co_u32 v88, vcc_lo, v80, v88
	v_add_co_ci_u32_e64 v89, null, v81, v89, vcc_lo
	s_clause 0x1
	global_load_dword v0, v[88:89], off
	global_load_dword v83, v[80:81], off offset:52
	s_waitcnt vmcnt(1)
	global_store_dword v[80:81], v0, off offset:52
	s_waitcnt vmcnt(0)
	global_store_dword v[88:89], v83, off
.LBB34_287:
	s_or_b32 exec_lo, exec_lo, s2
	v_mov_b32_e32 v88, v82
	v_mov_b32_e32 v0, v82
.LBB34_288:
	s_or_b32 exec_lo, exec_lo, s1
.LBB34_289:
	s_andn2_saveexec_b32 s0, s0
	s_cbranch_execz .LBB34_291
; %bb.290:
	v_mov_b32_e32 v88, 13
	ds_write2_b64 v1, v[14:15], v[16:17] offset0:28 offset1:29
	ds_write2_b64 v1, v[10:11], v[12:13] offset0:30 offset1:31
	;; [unrolled: 1-line block ×4, first 2 shown]
.LBB34_291:
	s_or_b32 exec_lo, exec_lo, s0
	s_mov_b32 s0, exec_lo
	s_waitcnt lgkmcnt(0)
	s_waitcnt_vscnt null, 0x0
	s_barrier
	buffer_gl0_inv
	v_cmpx_lt_i32_e32 13, v88
	s_cbranch_execz .LBB34_293
; %bb.292:
	v_mul_f64 v[82:83], v[74:75], v[20:21]
	v_mul_f64 v[20:21], v[76:77], v[20:21]
	v_fma_f64 v[82:83], v[76:77], v[18:19], v[82:83]
	v_fma_f64 v[18:19], v[74:75], v[18:19], -v[20:21]
	ds_read2_b64 v[74:77], v1 offset0:28 offset1:29
	s_waitcnt lgkmcnt(0)
	v_mul_f64 v[20:21], v[76:77], v[82:83]
	v_fma_f64 v[20:21], v[74:75], v[18:19], -v[20:21]
	v_mul_f64 v[74:75], v[74:75], v[82:83]
	v_add_f64 v[14:15], v[14:15], -v[20:21]
	v_fma_f64 v[74:75], v[76:77], v[18:19], v[74:75]
	v_add_f64 v[16:17], v[16:17], -v[74:75]
	ds_read2_b64 v[74:77], v1 offset0:30 offset1:31
	s_waitcnt lgkmcnt(0)
	v_mul_f64 v[20:21], v[76:77], v[82:83]
	v_fma_f64 v[20:21], v[74:75], v[18:19], -v[20:21]
	v_mul_f64 v[74:75], v[74:75], v[82:83]
	v_add_f64 v[10:11], v[10:11], -v[20:21]
	v_fma_f64 v[74:75], v[76:77], v[18:19], v[74:75]
	v_add_f64 v[12:13], v[12:13], -v[74:75]
	;; [unrolled: 8-line block ×3, first 2 shown]
	ds_read2_b64 v[74:77], v1 offset0:34 offset1:35
	s_waitcnt lgkmcnt(0)
	v_mul_f64 v[20:21], v[76:77], v[82:83]
	v_fma_f64 v[20:21], v[74:75], v[18:19], -v[20:21]
	v_mul_f64 v[74:75], v[74:75], v[82:83]
	v_add_f64 v[2:3], v[2:3], -v[20:21]
	v_fma_f64 v[74:75], v[76:77], v[18:19], v[74:75]
	v_mov_b32_e32 v20, v82
	v_mov_b32_e32 v21, v83
	v_add_f64 v[4:5], v[4:5], -v[74:75]
.LBB34_293:
	s_or_b32 exec_lo, exec_lo, s0
	v_lshl_add_u32 v74, v88, 4, v1
	s_barrier
	buffer_gl0_inv
	v_mov_b32_e32 v82, 14
	ds_write2_b64 v74, v[14:15], v[16:17] offset1:1
	s_waitcnt lgkmcnt(0)
	s_barrier
	buffer_gl0_inv
	ds_read2_b64 v[74:77], v1 offset0:28 offset1:29
	s_cmp_lt_i32 s18, 16
	s_cbranch_scc1 .LBB34_296
; %bb.294:
	v_add3_u32 v83, v84, 0, 0xf0
	v_mov_b32_e32 v82, 14
	s_mov_b32 s1, 15
	s_inst_prefetch 0x1
	.p2align	6
.LBB34_295:                             ; =>This Inner Loop Header: Depth=1
	s_waitcnt lgkmcnt(0)
	v_cmp_gt_f64_e32 vcc_lo, 0, v[76:77]
	v_cmp_gt_f64_e64 s0, 0, v[74:75]
	ds_read2_b64 v[89:92], v83 offset1:1
	v_xor_b32_e32 v94, 0x80000000, v75
	v_xor_b32_e32 v96, 0x80000000, v77
	v_mov_b32_e32 v93, v74
	v_mov_b32_e32 v95, v76
	v_add_nc_u32_e32 v83, 16, v83
	s_waitcnt lgkmcnt(0)
	v_xor_b32_e32 v98, 0x80000000, v92
	v_cndmask_b32_e64 v94, v75, v94, s0
	v_cndmask_b32_e32 v96, v77, v96, vcc_lo
	v_cmp_gt_f64_e32 vcc_lo, 0, v[91:92]
	v_cmp_gt_f64_e64 s0, 0, v[89:90]
	v_mov_b32_e32 v97, v91
	v_add_f64 v[93:94], v[93:94], v[95:96]
	v_xor_b32_e32 v96, 0x80000000, v90
	v_mov_b32_e32 v95, v89
	v_cndmask_b32_e32 v98, v92, v98, vcc_lo
	v_cndmask_b32_e64 v96, v90, v96, s0
	v_add_f64 v[95:96], v[95:96], v[97:98]
	v_cmp_lt_f64_e32 vcc_lo, v[93:94], v[95:96]
	v_cndmask_b32_e32 v75, v75, v90, vcc_lo
	v_cndmask_b32_e32 v74, v74, v89, vcc_lo
	;; [unrolled: 1-line block ×4, first 2 shown]
	v_cndmask_b32_e64 v82, v82, s1, vcc_lo
	s_add_i32 s1, s1, 1
	s_cmp_lg_u32 s18, s1
	s_cbranch_scc1 .LBB34_295
.LBB34_296:
	s_inst_prefetch 0x2
	s_waitcnt lgkmcnt(0)
	v_cmp_eq_f64_e32 vcc_lo, 0, v[74:75]
	v_cmp_eq_f64_e64 s0, 0, v[76:77]
	s_and_b32 s0, vcc_lo, s0
	s_and_saveexec_b32 s1, s0
	s_xor_b32 s0, exec_lo, s1
; %bb.297:
	v_cmp_ne_u32_e32 vcc_lo, 0, v87
	v_cndmask_b32_e32 v87, 15, v87, vcc_lo
; %bb.298:
	s_andn2_saveexec_b32 s0, s0
	s_cbranch_execz .LBB34_304
; %bb.299:
	v_cmp_ngt_f64_e64 s1, |v[74:75]|, |v[76:77]|
	s_and_saveexec_b32 s2, s1
	s_xor_b32 s1, exec_lo, s2
	s_cbranch_execz .LBB34_301
; %bb.300:
	v_div_scale_f64 v[89:90], null, v[76:77], v[76:77], v[74:75]
	v_div_scale_f64 v[95:96], vcc_lo, v[74:75], v[76:77], v[74:75]
	v_rcp_f64_e32 v[91:92], v[89:90]
	v_fma_f64 v[93:94], -v[89:90], v[91:92], 1.0
	v_fma_f64 v[91:92], v[91:92], v[93:94], v[91:92]
	v_fma_f64 v[93:94], -v[89:90], v[91:92], 1.0
	v_fma_f64 v[91:92], v[91:92], v[93:94], v[91:92]
	v_mul_f64 v[93:94], v[95:96], v[91:92]
	v_fma_f64 v[89:90], -v[89:90], v[93:94], v[95:96]
	v_div_fmas_f64 v[89:90], v[89:90], v[91:92], v[93:94]
	v_div_fixup_f64 v[89:90], v[89:90], v[76:77], v[74:75]
	v_fma_f64 v[74:75], v[74:75], v[89:90], v[76:77]
	v_div_scale_f64 v[76:77], null, v[74:75], v[74:75], 1.0
	v_rcp_f64_e32 v[91:92], v[76:77]
	v_fma_f64 v[93:94], -v[76:77], v[91:92], 1.0
	v_fma_f64 v[91:92], v[91:92], v[93:94], v[91:92]
	v_fma_f64 v[93:94], -v[76:77], v[91:92], 1.0
	v_fma_f64 v[91:92], v[91:92], v[93:94], v[91:92]
	v_div_scale_f64 v[93:94], vcc_lo, 1.0, v[74:75], 1.0
	v_mul_f64 v[95:96], v[93:94], v[91:92]
	v_fma_f64 v[76:77], -v[76:77], v[95:96], v[93:94]
	v_div_fmas_f64 v[76:77], v[76:77], v[91:92], v[95:96]
	v_div_fixup_f64 v[76:77], v[76:77], v[74:75], 1.0
	v_mul_f64 v[74:75], v[89:90], v[76:77]
	v_xor_b32_e32 v77, 0x80000000, v77
.LBB34_301:
	s_andn2_saveexec_b32 s1, s1
	s_cbranch_execz .LBB34_303
; %bb.302:
	v_div_scale_f64 v[89:90], null, v[74:75], v[74:75], v[76:77]
	v_div_scale_f64 v[95:96], vcc_lo, v[76:77], v[74:75], v[76:77]
	v_rcp_f64_e32 v[91:92], v[89:90]
	v_fma_f64 v[93:94], -v[89:90], v[91:92], 1.0
	v_fma_f64 v[91:92], v[91:92], v[93:94], v[91:92]
	v_fma_f64 v[93:94], -v[89:90], v[91:92], 1.0
	v_fma_f64 v[91:92], v[91:92], v[93:94], v[91:92]
	v_mul_f64 v[93:94], v[95:96], v[91:92]
	v_fma_f64 v[89:90], -v[89:90], v[93:94], v[95:96]
	v_div_fmas_f64 v[89:90], v[89:90], v[91:92], v[93:94]
	v_div_fixup_f64 v[89:90], v[89:90], v[74:75], v[76:77]
	v_fma_f64 v[74:75], v[76:77], v[89:90], v[74:75]
	v_div_scale_f64 v[76:77], null, v[74:75], v[74:75], 1.0
	v_rcp_f64_e32 v[91:92], v[76:77]
	v_fma_f64 v[93:94], -v[76:77], v[91:92], 1.0
	v_fma_f64 v[91:92], v[91:92], v[93:94], v[91:92]
	v_fma_f64 v[93:94], -v[76:77], v[91:92], 1.0
	v_fma_f64 v[91:92], v[91:92], v[93:94], v[91:92]
	v_div_scale_f64 v[93:94], vcc_lo, 1.0, v[74:75], 1.0
	v_mul_f64 v[95:96], v[93:94], v[91:92]
	v_fma_f64 v[76:77], -v[76:77], v[95:96], v[93:94]
	v_div_fmas_f64 v[76:77], v[76:77], v[91:92], v[95:96]
	v_div_fixup_f64 v[74:75], v[76:77], v[74:75], 1.0
	v_mul_f64 v[76:77], v[89:90], -v[74:75]
.LBB34_303:
	s_or_b32 exec_lo, exec_lo, s1
.LBB34_304:
	s_or_b32 exec_lo, exec_lo, s0
	s_mov_b32 s0, exec_lo
	v_cmpx_ne_u32_e64 v88, v82
	s_xor_b32 s0, exec_lo, s0
	s_cbranch_execz .LBB34_310
; %bb.305:
	s_mov_b32 s1, exec_lo
	v_cmpx_eq_u32_e32 14, v88
	s_cbranch_execz .LBB34_309
; %bb.306:
	v_cmp_ne_u32_e32 vcc_lo, 14, v82
	s_xor_b32 s2, s16, -1
	s_and_b32 s3, s2, vcc_lo
	s_and_saveexec_b32 s2, s3
	s_cbranch_execz .LBB34_308
; %bb.307:
	v_ashrrev_i32_e32 v83, 31, v82
	v_lshlrev_b64 v[88:89], 2, v[82:83]
	v_add_co_u32 v88, vcc_lo, v80, v88
	v_add_co_ci_u32_e64 v89, null, v81, v89, vcc_lo
	s_clause 0x1
	global_load_dword v0, v[88:89], off
	global_load_dword v83, v[80:81], off offset:56
	s_waitcnt vmcnt(1)
	global_store_dword v[80:81], v0, off offset:56
	s_waitcnt vmcnt(0)
	global_store_dword v[88:89], v83, off
.LBB34_308:
	s_or_b32 exec_lo, exec_lo, s2
	v_mov_b32_e32 v88, v82
	v_mov_b32_e32 v0, v82
.LBB34_309:
	s_or_b32 exec_lo, exec_lo, s1
.LBB34_310:
	s_andn2_saveexec_b32 s0, s0
	s_cbranch_execz .LBB34_312
; %bb.311:
	v_mov_b32_e32 v88, 14
	ds_write2_b64 v1, v[10:11], v[12:13] offset0:30 offset1:31
	ds_write2_b64 v1, v[6:7], v[8:9] offset0:32 offset1:33
	;; [unrolled: 1-line block ×3, first 2 shown]
.LBB34_312:
	s_or_b32 exec_lo, exec_lo, s0
	s_mov_b32 s0, exec_lo
	s_waitcnt lgkmcnt(0)
	s_waitcnt_vscnt null, 0x0
	s_barrier
	buffer_gl0_inv
	v_cmpx_lt_i32_e32 14, v88
	s_cbranch_execz .LBB34_314
; %bb.313:
	v_mul_f64 v[82:83], v[74:75], v[16:17]
	v_mul_f64 v[16:17], v[76:77], v[16:17]
	ds_read2_b64 v[89:92], v1 offset0:30 offset1:31
	ds_read2_b64 v[93:96], v1 offset0:32 offset1:33
	;; [unrolled: 1-line block ×3, first 2 shown]
	v_fma_f64 v[76:77], v[76:77], v[14:15], v[82:83]
	v_fma_f64 v[14:15], v[74:75], v[14:15], -v[16:17]
	s_waitcnt lgkmcnt(2)
	v_mul_f64 v[16:17], v[91:92], v[76:77]
	v_mul_f64 v[74:75], v[89:90], v[76:77]
	s_waitcnt lgkmcnt(1)
	v_mul_f64 v[82:83], v[95:96], v[76:77]
	v_mul_f64 v[101:102], v[93:94], v[76:77]
	s_waitcnt lgkmcnt(0)
	v_mul_f64 v[103:104], v[99:100], v[76:77]
	v_mul_f64 v[105:106], v[97:98], v[76:77]
	v_fma_f64 v[16:17], v[89:90], v[14:15], -v[16:17]
	v_fma_f64 v[74:75], v[91:92], v[14:15], v[74:75]
	v_fma_f64 v[82:83], v[93:94], v[14:15], -v[82:83]
	v_fma_f64 v[89:90], v[95:96], v[14:15], v[101:102]
	;; [unrolled: 2-line block ×3, first 2 shown]
	v_add_f64 v[10:11], v[10:11], -v[16:17]
	v_add_f64 v[12:13], v[12:13], -v[74:75]
	;; [unrolled: 1-line block ×6, first 2 shown]
	v_mov_b32_e32 v16, v76
	v_mov_b32_e32 v17, v77
.LBB34_314:
	s_or_b32 exec_lo, exec_lo, s0
	v_lshl_add_u32 v74, v88, 4, v1
	s_barrier
	buffer_gl0_inv
	v_mov_b32_e32 v82, 15
	ds_write2_b64 v74, v[10:11], v[12:13] offset1:1
	s_waitcnt lgkmcnt(0)
	s_barrier
	buffer_gl0_inv
	ds_read2_b64 v[74:77], v1 offset0:30 offset1:31
	s_cmp_lt_i32 s18, 17
	s_cbranch_scc1 .LBB34_317
; %bb.315:
	v_add3_u32 v83, v84, 0, 0x100
	v_mov_b32_e32 v82, 15
	s_mov_b32 s1, 16
	s_inst_prefetch 0x1
	.p2align	6
.LBB34_316:                             ; =>This Inner Loop Header: Depth=1
	s_waitcnt lgkmcnt(0)
	v_cmp_gt_f64_e32 vcc_lo, 0, v[76:77]
	v_cmp_gt_f64_e64 s0, 0, v[74:75]
	ds_read2_b64 v[89:92], v83 offset1:1
	v_xor_b32_e32 v94, 0x80000000, v75
	v_xor_b32_e32 v96, 0x80000000, v77
	v_mov_b32_e32 v93, v74
	v_mov_b32_e32 v95, v76
	v_add_nc_u32_e32 v83, 16, v83
	s_waitcnt lgkmcnt(0)
	v_xor_b32_e32 v98, 0x80000000, v92
	v_cndmask_b32_e64 v94, v75, v94, s0
	v_cndmask_b32_e32 v96, v77, v96, vcc_lo
	v_cmp_gt_f64_e32 vcc_lo, 0, v[91:92]
	v_cmp_gt_f64_e64 s0, 0, v[89:90]
	v_mov_b32_e32 v97, v91
	v_add_f64 v[93:94], v[93:94], v[95:96]
	v_xor_b32_e32 v96, 0x80000000, v90
	v_mov_b32_e32 v95, v89
	v_cndmask_b32_e32 v98, v92, v98, vcc_lo
	v_cndmask_b32_e64 v96, v90, v96, s0
	v_add_f64 v[95:96], v[95:96], v[97:98]
	v_cmp_lt_f64_e32 vcc_lo, v[93:94], v[95:96]
	v_cndmask_b32_e32 v75, v75, v90, vcc_lo
	v_cndmask_b32_e32 v74, v74, v89, vcc_lo
	v_cndmask_b32_e32 v77, v77, v92, vcc_lo
	v_cndmask_b32_e32 v76, v76, v91, vcc_lo
	v_cndmask_b32_e64 v82, v82, s1, vcc_lo
	s_add_i32 s1, s1, 1
	s_cmp_lg_u32 s18, s1
	s_cbranch_scc1 .LBB34_316
.LBB34_317:
	s_inst_prefetch 0x2
	s_waitcnt lgkmcnt(0)
	v_cmp_eq_f64_e32 vcc_lo, 0, v[74:75]
	v_cmp_eq_f64_e64 s0, 0, v[76:77]
	s_and_b32 s0, vcc_lo, s0
	s_and_saveexec_b32 s1, s0
	s_xor_b32 s0, exec_lo, s1
; %bb.318:
	v_cmp_ne_u32_e32 vcc_lo, 0, v87
	v_cndmask_b32_e32 v87, 16, v87, vcc_lo
; %bb.319:
	s_andn2_saveexec_b32 s0, s0
	s_cbranch_execz .LBB34_325
; %bb.320:
	v_cmp_ngt_f64_e64 s1, |v[74:75]|, |v[76:77]|
	s_and_saveexec_b32 s2, s1
	s_xor_b32 s1, exec_lo, s2
	s_cbranch_execz .LBB34_322
; %bb.321:
	v_div_scale_f64 v[89:90], null, v[76:77], v[76:77], v[74:75]
	v_div_scale_f64 v[95:96], vcc_lo, v[74:75], v[76:77], v[74:75]
	v_rcp_f64_e32 v[91:92], v[89:90]
	v_fma_f64 v[93:94], -v[89:90], v[91:92], 1.0
	v_fma_f64 v[91:92], v[91:92], v[93:94], v[91:92]
	v_fma_f64 v[93:94], -v[89:90], v[91:92], 1.0
	v_fma_f64 v[91:92], v[91:92], v[93:94], v[91:92]
	v_mul_f64 v[93:94], v[95:96], v[91:92]
	v_fma_f64 v[89:90], -v[89:90], v[93:94], v[95:96]
	v_div_fmas_f64 v[89:90], v[89:90], v[91:92], v[93:94]
	v_div_fixup_f64 v[89:90], v[89:90], v[76:77], v[74:75]
	v_fma_f64 v[74:75], v[74:75], v[89:90], v[76:77]
	v_div_scale_f64 v[76:77], null, v[74:75], v[74:75], 1.0
	v_rcp_f64_e32 v[91:92], v[76:77]
	v_fma_f64 v[93:94], -v[76:77], v[91:92], 1.0
	v_fma_f64 v[91:92], v[91:92], v[93:94], v[91:92]
	v_fma_f64 v[93:94], -v[76:77], v[91:92], 1.0
	v_fma_f64 v[91:92], v[91:92], v[93:94], v[91:92]
	v_div_scale_f64 v[93:94], vcc_lo, 1.0, v[74:75], 1.0
	v_mul_f64 v[95:96], v[93:94], v[91:92]
	v_fma_f64 v[76:77], -v[76:77], v[95:96], v[93:94]
	v_div_fmas_f64 v[76:77], v[76:77], v[91:92], v[95:96]
	v_div_fixup_f64 v[76:77], v[76:77], v[74:75], 1.0
	v_mul_f64 v[74:75], v[89:90], v[76:77]
	v_xor_b32_e32 v77, 0x80000000, v77
.LBB34_322:
	s_andn2_saveexec_b32 s1, s1
	s_cbranch_execz .LBB34_324
; %bb.323:
	v_div_scale_f64 v[89:90], null, v[74:75], v[74:75], v[76:77]
	v_div_scale_f64 v[95:96], vcc_lo, v[76:77], v[74:75], v[76:77]
	v_rcp_f64_e32 v[91:92], v[89:90]
	v_fma_f64 v[93:94], -v[89:90], v[91:92], 1.0
	v_fma_f64 v[91:92], v[91:92], v[93:94], v[91:92]
	v_fma_f64 v[93:94], -v[89:90], v[91:92], 1.0
	v_fma_f64 v[91:92], v[91:92], v[93:94], v[91:92]
	v_mul_f64 v[93:94], v[95:96], v[91:92]
	v_fma_f64 v[89:90], -v[89:90], v[93:94], v[95:96]
	v_div_fmas_f64 v[89:90], v[89:90], v[91:92], v[93:94]
	v_div_fixup_f64 v[89:90], v[89:90], v[74:75], v[76:77]
	v_fma_f64 v[74:75], v[76:77], v[89:90], v[74:75]
	v_div_scale_f64 v[76:77], null, v[74:75], v[74:75], 1.0
	v_rcp_f64_e32 v[91:92], v[76:77]
	v_fma_f64 v[93:94], -v[76:77], v[91:92], 1.0
	v_fma_f64 v[91:92], v[91:92], v[93:94], v[91:92]
	v_fma_f64 v[93:94], -v[76:77], v[91:92], 1.0
	v_fma_f64 v[91:92], v[91:92], v[93:94], v[91:92]
	v_div_scale_f64 v[93:94], vcc_lo, 1.0, v[74:75], 1.0
	v_mul_f64 v[95:96], v[93:94], v[91:92]
	v_fma_f64 v[76:77], -v[76:77], v[95:96], v[93:94]
	v_div_fmas_f64 v[76:77], v[76:77], v[91:92], v[95:96]
	v_div_fixup_f64 v[74:75], v[76:77], v[74:75], 1.0
	v_mul_f64 v[76:77], v[89:90], -v[74:75]
.LBB34_324:
	s_or_b32 exec_lo, exec_lo, s1
.LBB34_325:
	s_or_b32 exec_lo, exec_lo, s0
	s_mov_b32 s0, exec_lo
	v_cmpx_ne_u32_e64 v88, v82
	s_xor_b32 s0, exec_lo, s0
	s_cbranch_execz .LBB34_331
; %bb.326:
	s_mov_b32 s1, exec_lo
	v_cmpx_eq_u32_e32 15, v88
	s_cbranch_execz .LBB34_330
; %bb.327:
	v_cmp_ne_u32_e32 vcc_lo, 15, v82
	s_xor_b32 s2, s16, -1
	s_and_b32 s3, s2, vcc_lo
	s_and_saveexec_b32 s2, s3
	s_cbranch_execz .LBB34_329
; %bb.328:
	v_ashrrev_i32_e32 v83, 31, v82
	v_lshlrev_b64 v[88:89], 2, v[82:83]
	v_add_co_u32 v88, vcc_lo, v80, v88
	v_add_co_ci_u32_e64 v89, null, v81, v89, vcc_lo
	s_clause 0x1
	global_load_dword v0, v[88:89], off
	global_load_dword v83, v[80:81], off offset:60
	s_waitcnt vmcnt(1)
	global_store_dword v[80:81], v0, off offset:60
	s_waitcnt vmcnt(0)
	global_store_dword v[88:89], v83, off
.LBB34_329:
	s_or_b32 exec_lo, exec_lo, s2
	v_mov_b32_e32 v88, v82
	v_mov_b32_e32 v0, v82
.LBB34_330:
	s_or_b32 exec_lo, exec_lo, s1
.LBB34_331:
	s_andn2_saveexec_b32 s0, s0
	s_cbranch_execz .LBB34_333
; %bb.332:
	v_mov_b32_e32 v88, 15
	ds_write2_b64 v1, v[6:7], v[8:9] offset0:32 offset1:33
	ds_write2_b64 v1, v[2:3], v[4:5] offset0:34 offset1:35
.LBB34_333:
	s_or_b32 exec_lo, exec_lo, s0
	s_mov_b32 s0, exec_lo
	s_waitcnt lgkmcnt(0)
	s_waitcnt_vscnt null, 0x0
	s_barrier
	buffer_gl0_inv
	v_cmpx_lt_i32_e32 15, v88
	s_cbranch_execz .LBB34_335
; %bb.334:
	v_mul_f64 v[82:83], v[74:75], v[12:13]
	v_mul_f64 v[12:13], v[76:77], v[12:13]
	ds_read2_b64 v[89:92], v1 offset0:32 offset1:33
	ds_read2_b64 v[93:96], v1 offset0:34 offset1:35
	v_fma_f64 v[76:77], v[76:77], v[10:11], v[82:83]
	v_fma_f64 v[10:11], v[74:75], v[10:11], -v[12:13]
	s_waitcnt lgkmcnt(1)
	v_mul_f64 v[12:13], v[91:92], v[76:77]
	v_mul_f64 v[74:75], v[89:90], v[76:77]
	s_waitcnt lgkmcnt(0)
	v_mul_f64 v[82:83], v[95:96], v[76:77]
	v_mul_f64 v[97:98], v[93:94], v[76:77]
	v_fma_f64 v[12:13], v[89:90], v[10:11], -v[12:13]
	v_fma_f64 v[74:75], v[91:92], v[10:11], v[74:75]
	v_fma_f64 v[82:83], v[93:94], v[10:11], -v[82:83]
	v_fma_f64 v[89:90], v[95:96], v[10:11], v[97:98]
	v_add_f64 v[6:7], v[6:7], -v[12:13]
	v_add_f64 v[8:9], v[8:9], -v[74:75]
	;; [unrolled: 1-line block ×4, first 2 shown]
	v_mov_b32_e32 v12, v76
	v_mov_b32_e32 v13, v77
.LBB34_335:
	s_or_b32 exec_lo, exec_lo, s0
	v_lshl_add_u32 v74, v88, 4, v1
	s_barrier
	buffer_gl0_inv
	v_mov_b32_e32 v82, 16
	ds_write2_b64 v74, v[6:7], v[8:9] offset1:1
	s_waitcnt lgkmcnt(0)
	s_barrier
	buffer_gl0_inv
	ds_read2_b64 v[74:77], v1 offset0:32 offset1:33
	s_cmp_lt_i32 s18, 18
	s_cbranch_scc1 .LBB34_338
; %bb.336:
	v_add3_u32 v83, v84, 0, 0x110
	v_mov_b32_e32 v82, 16
	s_mov_b32 s1, 17
	s_inst_prefetch 0x1
	.p2align	6
.LBB34_337:                             ; =>This Inner Loop Header: Depth=1
	s_waitcnt lgkmcnt(0)
	v_cmp_gt_f64_e32 vcc_lo, 0, v[76:77]
	v_cmp_gt_f64_e64 s0, 0, v[74:75]
	ds_read2_b64 v[89:92], v83 offset1:1
	v_xor_b32_e32 v94, 0x80000000, v75
	v_xor_b32_e32 v96, 0x80000000, v77
	v_mov_b32_e32 v93, v74
	v_mov_b32_e32 v95, v76
	v_add_nc_u32_e32 v83, 16, v83
	s_waitcnt lgkmcnt(0)
	v_xor_b32_e32 v98, 0x80000000, v92
	v_cndmask_b32_e64 v94, v75, v94, s0
	v_cndmask_b32_e32 v96, v77, v96, vcc_lo
	v_cmp_gt_f64_e32 vcc_lo, 0, v[91:92]
	v_cmp_gt_f64_e64 s0, 0, v[89:90]
	v_mov_b32_e32 v97, v91
	v_add_f64 v[93:94], v[93:94], v[95:96]
	v_xor_b32_e32 v96, 0x80000000, v90
	v_mov_b32_e32 v95, v89
	v_cndmask_b32_e32 v98, v92, v98, vcc_lo
	v_cndmask_b32_e64 v96, v90, v96, s0
	v_add_f64 v[95:96], v[95:96], v[97:98]
	v_cmp_lt_f64_e32 vcc_lo, v[93:94], v[95:96]
	v_cndmask_b32_e32 v75, v75, v90, vcc_lo
	v_cndmask_b32_e32 v74, v74, v89, vcc_lo
	;; [unrolled: 1-line block ×4, first 2 shown]
	v_cndmask_b32_e64 v82, v82, s1, vcc_lo
	s_add_i32 s1, s1, 1
	s_cmp_lg_u32 s18, s1
	s_cbranch_scc1 .LBB34_337
.LBB34_338:
	s_inst_prefetch 0x2
	s_waitcnt lgkmcnt(0)
	v_cmp_eq_f64_e32 vcc_lo, 0, v[74:75]
	v_cmp_eq_f64_e64 s0, 0, v[76:77]
	s_and_b32 s0, vcc_lo, s0
	s_and_saveexec_b32 s1, s0
	s_xor_b32 s0, exec_lo, s1
; %bb.339:
	v_cmp_ne_u32_e32 vcc_lo, 0, v87
	v_cndmask_b32_e32 v87, 17, v87, vcc_lo
; %bb.340:
	s_andn2_saveexec_b32 s0, s0
	s_cbranch_execz .LBB34_346
; %bb.341:
	v_cmp_ngt_f64_e64 s1, |v[74:75]|, |v[76:77]|
	s_and_saveexec_b32 s2, s1
	s_xor_b32 s1, exec_lo, s2
	s_cbranch_execz .LBB34_343
; %bb.342:
	v_div_scale_f64 v[89:90], null, v[76:77], v[76:77], v[74:75]
	v_div_scale_f64 v[95:96], vcc_lo, v[74:75], v[76:77], v[74:75]
	v_rcp_f64_e32 v[91:92], v[89:90]
	v_fma_f64 v[93:94], -v[89:90], v[91:92], 1.0
	v_fma_f64 v[91:92], v[91:92], v[93:94], v[91:92]
	v_fma_f64 v[93:94], -v[89:90], v[91:92], 1.0
	v_fma_f64 v[91:92], v[91:92], v[93:94], v[91:92]
	v_mul_f64 v[93:94], v[95:96], v[91:92]
	v_fma_f64 v[89:90], -v[89:90], v[93:94], v[95:96]
	v_div_fmas_f64 v[89:90], v[89:90], v[91:92], v[93:94]
	v_div_fixup_f64 v[89:90], v[89:90], v[76:77], v[74:75]
	v_fma_f64 v[74:75], v[74:75], v[89:90], v[76:77]
	v_div_scale_f64 v[76:77], null, v[74:75], v[74:75], 1.0
	v_rcp_f64_e32 v[91:92], v[76:77]
	v_fma_f64 v[93:94], -v[76:77], v[91:92], 1.0
	v_fma_f64 v[91:92], v[91:92], v[93:94], v[91:92]
	v_fma_f64 v[93:94], -v[76:77], v[91:92], 1.0
	v_fma_f64 v[91:92], v[91:92], v[93:94], v[91:92]
	v_div_scale_f64 v[93:94], vcc_lo, 1.0, v[74:75], 1.0
	v_mul_f64 v[95:96], v[93:94], v[91:92]
	v_fma_f64 v[76:77], -v[76:77], v[95:96], v[93:94]
	v_div_fmas_f64 v[76:77], v[76:77], v[91:92], v[95:96]
	v_div_fixup_f64 v[76:77], v[76:77], v[74:75], 1.0
	v_mul_f64 v[74:75], v[89:90], v[76:77]
	v_xor_b32_e32 v77, 0x80000000, v77
.LBB34_343:
	s_andn2_saveexec_b32 s1, s1
	s_cbranch_execz .LBB34_345
; %bb.344:
	v_div_scale_f64 v[89:90], null, v[74:75], v[74:75], v[76:77]
	v_div_scale_f64 v[95:96], vcc_lo, v[76:77], v[74:75], v[76:77]
	v_rcp_f64_e32 v[91:92], v[89:90]
	v_fma_f64 v[93:94], -v[89:90], v[91:92], 1.0
	v_fma_f64 v[91:92], v[91:92], v[93:94], v[91:92]
	v_fma_f64 v[93:94], -v[89:90], v[91:92], 1.0
	v_fma_f64 v[91:92], v[91:92], v[93:94], v[91:92]
	v_mul_f64 v[93:94], v[95:96], v[91:92]
	v_fma_f64 v[89:90], -v[89:90], v[93:94], v[95:96]
	v_div_fmas_f64 v[89:90], v[89:90], v[91:92], v[93:94]
	v_div_fixup_f64 v[89:90], v[89:90], v[74:75], v[76:77]
	v_fma_f64 v[74:75], v[76:77], v[89:90], v[74:75]
	v_div_scale_f64 v[76:77], null, v[74:75], v[74:75], 1.0
	v_rcp_f64_e32 v[91:92], v[76:77]
	v_fma_f64 v[93:94], -v[76:77], v[91:92], 1.0
	v_fma_f64 v[91:92], v[91:92], v[93:94], v[91:92]
	v_fma_f64 v[93:94], -v[76:77], v[91:92], 1.0
	v_fma_f64 v[91:92], v[91:92], v[93:94], v[91:92]
	v_div_scale_f64 v[93:94], vcc_lo, 1.0, v[74:75], 1.0
	v_mul_f64 v[95:96], v[93:94], v[91:92]
	v_fma_f64 v[76:77], -v[76:77], v[95:96], v[93:94]
	v_div_fmas_f64 v[76:77], v[76:77], v[91:92], v[95:96]
	v_div_fixup_f64 v[74:75], v[76:77], v[74:75], 1.0
	v_mul_f64 v[76:77], v[89:90], -v[74:75]
.LBB34_345:
	s_or_b32 exec_lo, exec_lo, s1
.LBB34_346:
	s_or_b32 exec_lo, exec_lo, s0
	s_mov_b32 s0, exec_lo
	v_cmpx_ne_u32_e64 v88, v82
	s_xor_b32 s0, exec_lo, s0
	s_cbranch_execz .LBB34_352
; %bb.347:
	s_mov_b32 s1, exec_lo
	v_cmpx_eq_u32_e32 16, v88
	s_cbranch_execz .LBB34_351
; %bb.348:
	v_cmp_ne_u32_e32 vcc_lo, 16, v82
	s_xor_b32 s2, s16, -1
	s_and_b32 s3, s2, vcc_lo
	s_and_saveexec_b32 s2, s3
	s_cbranch_execz .LBB34_350
; %bb.349:
	v_ashrrev_i32_e32 v83, 31, v82
	v_lshlrev_b64 v[88:89], 2, v[82:83]
	v_add_co_u32 v88, vcc_lo, v80, v88
	v_add_co_ci_u32_e64 v89, null, v81, v89, vcc_lo
	s_clause 0x1
	global_load_dword v0, v[88:89], off
	global_load_dword v83, v[80:81], off offset:64
	s_waitcnt vmcnt(1)
	global_store_dword v[80:81], v0, off offset:64
	s_waitcnt vmcnt(0)
	global_store_dword v[88:89], v83, off
.LBB34_350:
	s_or_b32 exec_lo, exec_lo, s2
	v_mov_b32_e32 v88, v82
	v_mov_b32_e32 v0, v82
.LBB34_351:
	s_or_b32 exec_lo, exec_lo, s1
.LBB34_352:
	s_andn2_saveexec_b32 s0, s0
; %bb.353:
	v_mov_b32_e32 v88, 16
	ds_write2_b64 v1, v[2:3], v[4:5] offset0:34 offset1:35
; %bb.354:
	s_or_b32 exec_lo, exec_lo, s0
	s_mov_b32 s0, exec_lo
	s_waitcnt lgkmcnt(0)
	s_waitcnt_vscnt null, 0x0
	s_barrier
	buffer_gl0_inv
	v_cmpx_lt_i32_e32 16, v88
	s_cbranch_execz .LBB34_356
; %bb.355:
	v_mul_f64 v[82:83], v[74:75], v[8:9]
	v_mul_f64 v[8:9], v[76:77], v[8:9]
	ds_read2_b64 v[89:92], v1 offset0:34 offset1:35
	v_fma_f64 v[76:77], v[76:77], v[6:7], v[82:83]
	v_fma_f64 v[6:7], v[74:75], v[6:7], -v[8:9]
	s_waitcnt lgkmcnt(0)
	v_mul_f64 v[8:9], v[91:92], v[76:77]
	v_mul_f64 v[74:75], v[89:90], v[76:77]
	v_fma_f64 v[8:9], v[89:90], v[6:7], -v[8:9]
	v_fma_f64 v[74:75], v[91:92], v[6:7], v[74:75]
	v_add_f64 v[2:3], v[2:3], -v[8:9]
	v_add_f64 v[4:5], v[4:5], -v[74:75]
	v_mov_b32_e32 v8, v76
	v_mov_b32_e32 v9, v77
.LBB34_356:
	s_or_b32 exec_lo, exec_lo, s0
	v_lshl_add_u32 v74, v88, 4, v1
	s_barrier
	buffer_gl0_inv
	v_mov_b32_e32 v82, 17
	ds_write2_b64 v74, v[2:3], v[4:5] offset1:1
	s_waitcnt lgkmcnt(0)
	s_barrier
	buffer_gl0_inv
	ds_read2_b64 v[74:77], v1 offset0:34 offset1:35
	s_cmp_lt_i32 s18, 19
	s_cbranch_scc1 .LBB34_359
; %bb.357:
	v_add3_u32 v1, v84, 0, 0x120
	v_mov_b32_e32 v82, 17
	s_mov_b32 s1, 18
	s_inst_prefetch 0x1
	.p2align	6
.LBB34_358:                             ; =>This Inner Loop Header: Depth=1
	s_waitcnt lgkmcnt(0)
	v_cmp_gt_f64_e32 vcc_lo, 0, v[76:77]
	v_cmp_gt_f64_e64 s0, 0, v[74:75]
	ds_read2_b64 v[89:92], v1 offset1:1
	v_xor_b32_e32 v84, 0x80000000, v75
	v_xor_b32_e32 v94, 0x80000000, v77
	v_mov_b32_e32 v83, v74
	v_mov_b32_e32 v93, v76
	v_add_nc_u32_e32 v1, 16, v1
	s_waitcnt lgkmcnt(0)
	v_xor_b32_e32 v96, 0x80000000, v92
	v_cndmask_b32_e64 v84, v75, v84, s0
	v_cndmask_b32_e32 v94, v77, v94, vcc_lo
	v_cmp_gt_f64_e32 vcc_lo, 0, v[91:92]
	v_cmp_gt_f64_e64 s0, 0, v[89:90]
	v_mov_b32_e32 v95, v91
	v_add_f64 v[83:84], v[83:84], v[93:94]
	v_xor_b32_e32 v94, 0x80000000, v90
	v_mov_b32_e32 v93, v89
	v_cndmask_b32_e32 v96, v92, v96, vcc_lo
	v_cndmask_b32_e64 v94, v90, v94, s0
	v_add_f64 v[93:94], v[93:94], v[95:96]
	v_cmp_lt_f64_e32 vcc_lo, v[83:84], v[93:94]
	v_cndmask_b32_e32 v75, v75, v90, vcc_lo
	v_cndmask_b32_e32 v74, v74, v89, vcc_lo
	;; [unrolled: 1-line block ×4, first 2 shown]
	v_cndmask_b32_e64 v82, v82, s1, vcc_lo
	s_add_i32 s1, s1, 1
	s_cmp_lg_u32 s18, s1
	s_cbranch_scc1 .LBB34_358
.LBB34_359:
	s_inst_prefetch 0x2
	s_waitcnt lgkmcnt(0)
	v_cmp_eq_f64_e32 vcc_lo, 0, v[74:75]
	v_cmp_eq_f64_e64 s0, 0, v[76:77]
	s_and_b32 s0, vcc_lo, s0
	s_and_saveexec_b32 s1, s0
	s_xor_b32 s0, exec_lo, s1
; %bb.360:
	v_cmp_ne_u32_e32 vcc_lo, 0, v87
	v_cndmask_b32_e32 v87, 18, v87, vcc_lo
; %bb.361:
	s_andn2_saveexec_b32 s0, s0
	s_cbranch_execz .LBB34_367
; %bb.362:
	v_cmp_ngt_f64_e64 s1, |v[74:75]|, |v[76:77]|
	s_and_saveexec_b32 s2, s1
	s_xor_b32 s1, exec_lo, s2
	s_cbranch_execz .LBB34_364
; %bb.363:
	v_div_scale_f64 v[83:84], null, v[76:77], v[76:77], v[74:75]
	v_div_scale_f64 v[93:94], vcc_lo, v[74:75], v[76:77], v[74:75]
	v_rcp_f64_e32 v[89:90], v[83:84]
	v_fma_f64 v[91:92], -v[83:84], v[89:90], 1.0
	v_fma_f64 v[89:90], v[89:90], v[91:92], v[89:90]
	v_fma_f64 v[91:92], -v[83:84], v[89:90], 1.0
	v_fma_f64 v[89:90], v[89:90], v[91:92], v[89:90]
	v_mul_f64 v[91:92], v[93:94], v[89:90]
	v_fma_f64 v[83:84], -v[83:84], v[91:92], v[93:94]
	v_div_fmas_f64 v[83:84], v[83:84], v[89:90], v[91:92]
	v_div_fixup_f64 v[83:84], v[83:84], v[76:77], v[74:75]
	v_fma_f64 v[74:75], v[74:75], v[83:84], v[76:77]
	v_div_scale_f64 v[76:77], null, v[74:75], v[74:75], 1.0
	v_rcp_f64_e32 v[89:90], v[76:77]
	v_fma_f64 v[91:92], -v[76:77], v[89:90], 1.0
	v_fma_f64 v[89:90], v[89:90], v[91:92], v[89:90]
	v_fma_f64 v[91:92], -v[76:77], v[89:90], 1.0
	v_fma_f64 v[89:90], v[89:90], v[91:92], v[89:90]
	v_div_scale_f64 v[91:92], vcc_lo, 1.0, v[74:75], 1.0
	v_mul_f64 v[93:94], v[91:92], v[89:90]
	v_fma_f64 v[76:77], -v[76:77], v[93:94], v[91:92]
	v_div_fmas_f64 v[76:77], v[76:77], v[89:90], v[93:94]
	v_div_fixup_f64 v[76:77], v[76:77], v[74:75], 1.0
	v_mul_f64 v[74:75], v[83:84], v[76:77]
	v_xor_b32_e32 v77, 0x80000000, v77
.LBB34_364:
	s_andn2_saveexec_b32 s1, s1
	s_cbranch_execz .LBB34_366
; %bb.365:
	v_div_scale_f64 v[83:84], null, v[74:75], v[74:75], v[76:77]
	v_div_scale_f64 v[93:94], vcc_lo, v[76:77], v[74:75], v[76:77]
	v_rcp_f64_e32 v[89:90], v[83:84]
	v_fma_f64 v[91:92], -v[83:84], v[89:90], 1.0
	v_fma_f64 v[89:90], v[89:90], v[91:92], v[89:90]
	v_fma_f64 v[91:92], -v[83:84], v[89:90], 1.0
	v_fma_f64 v[89:90], v[89:90], v[91:92], v[89:90]
	v_mul_f64 v[91:92], v[93:94], v[89:90]
	v_fma_f64 v[83:84], -v[83:84], v[91:92], v[93:94]
	v_div_fmas_f64 v[83:84], v[83:84], v[89:90], v[91:92]
	v_div_fixup_f64 v[83:84], v[83:84], v[74:75], v[76:77]
	v_fma_f64 v[74:75], v[76:77], v[83:84], v[74:75]
	v_div_scale_f64 v[76:77], null, v[74:75], v[74:75], 1.0
	v_rcp_f64_e32 v[89:90], v[76:77]
	v_fma_f64 v[91:92], -v[76:77], v[89:90], 1.0
	v_fma_f64 v[89:90], v[89:90], v[91:92], v[89:90]
	v_fma_f64 v[91:92], -v[76:77], v[89:90], 1.0
	v_fma_f64 v[89:90], v[89:90], v[91:92], v[89:90]
	v_div_scale_f64 v[91:92], vcc_lo, 1.0, v[74:75], 1.0
	v_mul_f64 v[93:94], v[91:92], v[89:90]
	v_fma_f64 v[76:77], -v[76:77], v[93:94], v[91:92]
	v_div_fmas_f64 v[76:77], v[76:77], v[89:90], v[93:94]
	v_div_fixup_f64 v[74:75], v[76:77], v[74:75], 1.0
	v_mul_f64 v[76:77], v[83:84], -v[74:75]
.LBB34_366:
	s_or_b32 exec_lo, exec_lo, s1
.LBB34_367:
	s_or_b32 exec_lo, exec_lo, s0
	v_mov_b32_e32 v83, 17
	s_mov_b32 s0, exec_lo
	v_cmpx_ne_u32_e64 v88, v82
	s_cbranch_execz .LBB34_373
; %bb.368:
	s_mov_b32 s1, exec_lo
	v_cmpx_eq_u32_e32 17, v88
	s_cbranch_execz .LBB34_372
; %bb.369:
	v_cmp_ne_u32_e32 vcc_lo, 17, v82
	s_xor_b32 s2, s16, -1
	s_and_b32 s3, s2, vcc_lo
	s_and_saveexec_b32 s2, s3
	s_cbranch_execz .LBB34_371
; %bb.370:
	v_ashrrev_i32_e32 v83, 31, v82
	v_lshlrev_b64 v[0:1], 2, v[82:83]
	v_add_co_u32 v0, vcc_lo, v80, v0
	v_add_co_ci_u32_e64 v1, null, v81, v1, vcc_lo
	s_clause 0x1
	global_load_dword v83, v[0:1], off
	global_load_dword v84, v[80:81], off offset:68
	s_waitcnt vmcnt(1)
	global_store_dword v[80:81], v83, off offset:68
	s_waitcnt vmcnt(0)
	global_store_dword v[0:1], v84, off
.LBB34_371:
	s_or_b32 exec_lo, exec_lo, s2
	v_mov_b32_e32 v88, v82
	v_mov_b32_e32 v0, v82
.LBB34_372:
	s_or_b32 exec_lo, exec_lo, s1
	v_mov_b32_e32 v83, v88
.LBB34_373:
	s_or_b32 exec_lo, exec_lo, s0
	s_mov_b32 s0, exec_lo
	s_waitcnt_vscnt null, 0x0
	s_barrier
	buffer_gl0_inv
	v_cmpx_lt_i32_e32 17, v83
	s_cbranch_execz .LBB34_375
; %bb.374:
	v_mul_f64 v[80:81], v[76:77], v[4:5]
	v_mul_f64 v[4:5], v[74:75], v[4:5]
	v_fma_f64 v[74:75], v[74:75], v[2:3], -v[80:81]
	v_fma_f64 v[4:5], v[76:77], v[2:3], v[4:5]
	v_mov_b32_e32 v2, v74
	v_mov_b32_e32 v3, v75
.LBB34_375:
	s_or_b32 exec_lo, exec_lo, s0
	v_ashrrev_i32_e32 v84, 31, v83
	s_mov_b32 s0, exec_lo
	s_barrier
	buffer_gl0_inv
	v_cmpx_gt_i32_e32 18, v83
	s_cbranch_execz .LBB34_377
; %bb.376:
	v_mul_lo_u32 v1, s15, v78
	v_mul_lo_u32 v76, s14, v79
	v_mad_u64_u32 v[74:75], null, s14, v78, 0
	s_lshl_b64 s[2:3], s[12:13], 2
	v_add3_u32 v0, v0, s17, 1
	v_add3_u32 v75, v75, v76, v1
	v_lshlrev_b64 v[74:75], 2, v[74:75]
	v_add_co_u32 v1, vcc_lo, s10, v74
	v_add_co_ci_u32_e64 v76, null, s11, v75, vcc_lo
	v_lshlrev_b64 v[74:75], 2, v[83:84]
	v_add_co_u32 v1, vcc_lo, v1, s2
	v_add_co_ci_u32_e64 v76, null, s3, v76, vcc_lo
	v_add_co_u32 v74, vcc_lo, v1, v74
	v_add_co_ci_u32_e64 v75, null, v76, v75, vcc_lo
	global_store_dword v[74:75], v0, off
.LBB34_377:
	s_or_b32 exec_lo, exec_lo, s0
	s_mov_b32 s1, exec_lo
	v_cmpx_eq_u32_e32 0, v83
	s_cbranch_execz .LBB34_380
; %bb.378:
	v_lshlrev_b64 v[0:1], 2, v[78:79]
	v_cmp_ne_u32_e64 s0, 0, v87
	v_add_co_u32 v0, vcc_lo, s4, v0
	v_add_co_ci_u32_e64 v1, null, s5, v1, vcc_lo
	global_load_dword v74, v[0:1], off
	s_waitcnt vmcnt(0)
	v_cmp_eq_u32_e32 vcc_lo, 0, v74
	s_and_b32 s0, vcc_lo, s0
	s_and_b32 exec_lo, exec_lo, s0
	s_cbranch_execz .LBB34_380
; %bb.379:
	v_add_nc_u32_e32 v74, s17, v87
	global_store_dword v[0:1], v74, off
.LBB34_380:
	s_or_b32 exec_lo, exec_lo, s1
	v_lshlrev_b64 v[74:75], 4, v[83:84]
	v_add3_u32 v0, s6, s6, v83
	v_ashrrev_i32_e32 v1, 31, v0
	v_add_co_u32 v74, vcc_lo, v85, v74
	v_add_co_ci_u32_e64 v75, null, v86, v75, vcc_lo
	v_add_nc_u32_e32 v76, s6, v0
	v_lshlrev_b64 v[0:1], 4, v[0:1]
	global_store_dwordx4 v[74:75], v[70:73], off
	v_add_co_u32 v70, vcc_lo, v74, s8
	v_add_nc_u32_e32 v72, s6, v76
	v_ashrrev_i32_e32 v77, 31, v76
	v_add_co_ci_u32_e64 v71, null, s9, v75, vcc_lo
	v_add_co_u32 v0, vcc_lo, v85, v0
	v_add_nc_u32_e32 v74, s6, v72
	v_add_co_ci_u32_e64 v1, null, v86, v1, vcc_lo
	v_ashrrev_i32_e32 v73, 31, v72
	v_lshlrev_b64 v[76:77], 4, v[76:77]
	v_ashrrev_i32_e32 v75, 31, v74
	global_store_dwordx4 v[70:71], v[66:69], off
	global_store_dwordx4 v[0:1], v[62:65], off
	v_add_nc_u32_e32 v66, s6, v74
	v_lshlrev_b64 v[0:1], 4, v[72:73]
	v_add_co_u32 v62, vcc_lo, v85, v76
	v_lshlrev_b64 v[64:65], 4, v[74:75]
	v_add_co_ci_u32_e64 v63, null, v86, v77, vcc_lo
	v_add_nc_u32_e32 v68, s6, v66
	v_add_co_u32 v0, vcc_lo, v85, v0
	v_add_co_ci_u32_e64 v1, null, v86, v1, vcc_lo
	v_ashrrev_i32_e32 v67, 31, v66
	v_add_co_u32 v64, vcc_lo, v85, v64
	global_store_dwordx4 v[62:63], v[42:45], off
	v_add_nc_u32_e32 v44, s6, v68
	v_add_co_ci_u32_e64 v65, null, v86, v65, vcc_lo
	v_ashrrev_i32_e32 v69, 31, v68
	v_lshlrev_b64 v[42:43], 4, v[66:67]
	global_store_dwordx4 v[0:1], v[50:53], off
	global_store_dwordx4 v[64:65], v[46:49], off
	v_add_nc_u32_e32 v46, s6, v44
	v_ashrrev_i32_e32 v45, 31, v44
	v_lshlrev_b64 v[0:1], 4, v[68:69]
	v_add_co_u32 v42, vcc_lo, v85, v42
	v_add_nc_u32_e32 v48, s6, v46
	v_add_co_ci_u32_e64 v43, null, v86, v43, vcc_lo
	v_add_co_u32 v0, vcc_lo, v85, v0
	v_lshlrev_b64 v[44:45], 4, v[44:45]
	v_ashrrev_i32_e32 v47, 31, v46
	v_add_co_ci_u32_e64 v1, null, v86, v1, vcc_lo
	v_ashrrev_i32_e32 v49, 31, v48
	global_store_dwordx4 v[42:43], v[58:61], off
	global_store_dwordx4 v[0:1], v[54:57], off
	v_lshlrev_b64 v[0:1], 4, v[46:47]
	v_add_co_u32 v42, vcc_lo, v85, v44
	v_add_nc_u32_e32 v46, s6, v48
	v_add_co_ci_u32_e64 v43, null, v86, v45, vcc_lo
	v_lshlrev_b64 v[44:45], 4, v[48:49]
	v_add_co_u32 v0, vcc_lo, v85, v0
	v_add_nc_u32_e32 v48, s6, v46
	v_add_co_ci_u32_e64 v1, null, v86, v1, vcc_lo
	v_add_co_u32 v44, vcc_lo, v85, v44
	v_ashrrev_i32_e32 v47, 31, v46
	v_add_co_ci_u32_e64 v45, null, v86, v45, vcc_lo
	v_ashrrev_i32_e32 v49, 31, v48
	global_store_dwordx4 v[42:43], v[38:41], off
	v_lshlrev_b64 v[38:39], 4, v[46:47]
	global_store_dwordx4 v[0:1], v[34:37], off
	global_store_dwordx4 v[44:45], v[30:33], off
	v_add_nc_u32_e32 v30, s6, v48
	v_lshlrev_b64 v[0:1], 4, v[48:49]
	v_add_co_u32 v32, vcc_lo, v85, v38
	v_add_nc_u32_e32 v34, s6, v30
	v_add_co_ci_u32_e64 v33, null, v86, v39, vcc_lo
	v_add_co_u32 v0, vcc_lo, v85, v0
	v_add_co_ci_u32_e64 v1, null, v86, v1, vcc_lo
	v_add_nc_u32_e32 v36, s6, v34
	v_ashrrev_i32_e32 v31, 31, v30
	global_store_dwordx4 v[32:33], v[26:29], off
	global_store_dwordx4 v[0:1], v[22:25], off
	v_ashrrev_i32_e32 v35, 31, v34
	v_add_nc_u32_e32 v22, s6, v36
	v_lshlrev_b64 v[26:27], 4, v[30:31]
	v_ashrrev_i32_e32 v37, 31, v36
	v_lshlrev_b64 v[0:1], 4, v[34:35]
	v_add_nc_u32_e32 v28, s6, v22
	v_ashrrev_i32_e32 v23, 31, v22
	v_add_co_u32 v24, vcc_lo, v85, v26
	v_add_co_ci_u32_e64 v25, null, v86, v27, vcc_lo
	v_ashrrev_i32_e32 v29, 31, v28
	v_lshlrev_b64 v[26:27], 4, v[36:37]
	v_lshlrev_b64 v[22:23], 4, v[22:23]
	v_add_co_u32 v0, vcc_lo, v85, v0
	v_lshlrev_b64 v[28:29], 4, v[28:29]
	v_add_co_ci_u32_e64 v1, null, v86, v1, vcc_lo
	v_add_co_u32 v26, vcc_lo, v85, v26
	v_add_co_ci_u32_e64 v27, null, v86, v27, vcc_lo
	v_add_co_u32 v22, vcc_lo, v85, v22
	v_add_co_ci_u32_e64 v23, null, v86, v23, vcc_lo
	v_add_co_u32 v28, vcc_lo, v85, v28
	v_add_co_ci_u32_e64 v29, null, v86, v29, vcc_lo
	global_store_dwordx4 v[24:25], v[18:21], off
	global_store_dwordx4 v[0:1], v[14:17], off
	;; [unrolled: 1-line block ×5, first 2 shown]
.LBB34_381:
	s_endpgm
	.section	.rodata,"a",@progbits
	.p2align	6, 0x0
	.amdhsa_kernel _ZN9rocsolver6v33100L18getf2_small_kernelILi18E19rocblas_complex_numIdEiiPS3_EEvT1_T3_lS5_lPS5_llPT2_S5_S5_S7_l
		.amdhsa_group_segment_fixed_size 0
		.amdhsa_private_segment_fixed_size 0
		.amdhsa_kernarg_size 352
		.amdhsa_user_sgpr_count 6
		.amdhsa_user_sgpr_private_segment_buffer 1
		.amdhsa_user_sgpr_dispatch_ptr 0
		.amdhsa_user_sgpr_queue_ptr 0
		.amdhsa_user_sgpr_kernarg_segment_ptr 1
		.amdhsa_user_sgpr_dispatch_id 0
		.amdhsa_user_sgpr_flat_scratch_init 0
		.amdhsa_user_sgpr_private_segment_size 0
		.amdhsa_wavefront_size32 1
		.amdhsa_uses_dynamic_stack 0
		.amdhsa_system_sgpr_private_segment_wavefront_offset 0
		.amdhsa_system_sgpr_workgroup_id_x 1
		.amdhsa_system_sgpr_workgroup_id_y 1
		.amdhsa_system_sgpr_workgroup_id_z 0
		.amdhsa_system_sgpr_workgroup_info 0
		.amdhsa_system_vgpr_workitem_id 1
		.amdhsa_next_free_vgpr 107
		.amdhsa_next_free_sgpr 19
		.amdhsa_reserve_vcc 1
		.amdhsa_reserve_flat_scratch 0
		.amdhsa_float_round_mode_32 0
		.amdhsa_float_round_mode_16_64 0
		.amdhsa_float_denorm_mode_32 3
		.amdhsa_float_denorm_mode_16_64 3
		.amdhsa_dx10_clamp 1
		.amdhsa_ieee_mode 1
		.amdhsa_fp16_overflow 0
		.amdhsa_workgroup_processor_mode 1
		.amdhsa_memory_ordered 1
		.amdhsa_forward_progress 1
		.amdhsa_shared_vgpr_count 0
		.amdhsa_exception_fp_ieee_invalid_op 0
		.amdhsa_exception_fp_denorm_src 0
		.amdhsa_exception_fp_ieee_div_zero 0
		.amdhsa_exception_fp_ieee_overflow 0
		.amdhsa_exception_fp_ieee_underflow 0
		.amdhsa_exception_fp_ieee_inexact 0
		.amdhsa_exception_int_div_zero 0
	.end_amdhsa_kernel
	.section	.text._ZN9rocsolver6v33100L18getf2_small_kernelILi18E19rocblas_complex_numIdEiiPS3_EEvT1_T3_lS5_lPS5_llPT2_S5_S5_S7_l,"axG",@progbits,_ZN9rocsolver6v33100L18getf2_small_kernelILi18E19rocblas_complex_numIdEiiPS3_EEvT1_T3_lS5_lPS5_llPT2_S5_S5_S7_l,comdat
.Lfunc_end34:
	.size	_ZN9rocsolver6v33100L18getf2_small_kernelILi18E19rocblas_complex_numIdEiiPS3_EEvT1_T3_lS5_lPS5_llPT2_S5_S5_S7_l, .Lfunc_end34-_ZN9rocsolver6v33100L18getf2_small_kernelILi18E19rocblas_complex_numIdEiiPS3_EEvT1_T3_lS5_lPS5_llPT2_S5_S5_S7_l
                                        ; -- End function
	.set _ZN9rocsolver6v33100L18getf2_small_kernelILi18E19rocblas_complex_numIdEiiPS3_EEvT1_T3_lS5_lPS5_llPT2_S5_S5_S7_l.num_vgpr, 107
	.set _ZN9rocsolver6v33100L18getf2_small_kernelILi18E19rocblas_complex_numIdEiiPS3_EEvT1_T3_lS5_lPS5_llPT2_S5_S5_S7_l.num_agpr, 0
	.set _ZN9rocsolver6v33100L18getf2_small_kernelILi18E19rocblas_complex_numIdEiiPS3_EEvT1_T3_lS5_lPS5_llPT2_S5_S5_S7_l.numbered_sgpr, 19
	.set _ZN9rocsolver6v33100L18getf2_small_kernelILi18E19rocblas_complex_numIdEiiPS3_EEvT1_T3_lS5_lPS5_llPT2_S5_S5_S7_l.num_named_barrier, 0
	.set _ZN9rocsolver6v33100L18getf2_small_kernelILi18E19rocblas_complex_numIdEiiPS3_EEvT1_T3_lS5_lPS5_llPT2_S5_S5_S7_l.private_seg_size, 0
	.set _ZN9rocsolver6v33100L18getf2_small_kernelILi18E19rocblas_complex_numIdEiiPS3_EEvT1_T3_lS5_lPS5_llPT2_S5_S5_S7_l.uses_vcc, 1
	.set _ZN9rocsolver6v33100L18getf2_small_kernelILi18E19rocblas_complex_numIdEiiPS3_EEvT1_T3_lS5_lPS5_llPT2_S5_S5_S7_l.uses_flat_scratch, 0
	.set _ZN9rocsolver6v33100L18getf2_small_kernelILi18E19rocblas_complex_numIdEiiPS3_EEvT1_T3_lS5_lPS5_llPT2_S5_S5_S7_l.has_dyn_sized_stack, 0
	.set _ZN9rocsolver6v33100L18getf2_small_kernelILi18E19rocblas_complex_numIdEiiPS3_EEvT1_T3_lS5_lPS5_llPT2_S5_S5_S7_l.has_recursion, 0
	.set _ZN9rocsolver6v33100L18getf2_small_kernelILi18E19rocblas_complex_numIdEiiPS3_EEvT1_T3_lS5_lPS5_llPT2_S5_S5_S7_l.has_indirect_call, 0
	.section	.AMDGPU.csdata,"",@progbits
; Kernel info:
; codeLenInByte = 30080
; TotalNumSgprs: 21
; NumVgprs: 107
; ScratchSize: 0
; MemoryBound: 0
; FloatMode: 240
; IeeeMode: 1
; LDSByteSize: 0 bytes/workgroup (compile time only)
; SGPRBlocks: 0
; VGPRBlocks: 13
; NumSGPRsForWavesPerEU: 21
; NumVGPRsForWavesPerEU: 107
; Occupancy: 9
; WaveLimiterHint : 0
; COMPUTE_PGM_RSRC2:SCRATCH_EN: 0
; COMPUTE_PGM_RSRC2:USER_SGPR: 6
; COMPUTE_PGM_RSRC2:TRAP_HANDLER: 0
; COMPUTE_PGM_RSRC2:TGID_X_EN: 1
; COMPUTE_PGM_RSRC2:TGID_Y_EN: 1
; COMPUTE_PGM_RSRC2:TGID_Z_EN: 0
; COMPUTE_PGM_RSRC2:TIDIG_COMP_CNT: 1
	.section	.text._ZN9rocsolver6v33100L23getf2_npvt_small_kernelILi18E19rocblas_complex_numIdEiiPS3_EEvT1_T3_lS5_lPT2_S5_S5_,"axG",@progbits,_ZN9rocsolver6v33100L23getf2_npvt_small_kernelILi18E19rocblas_complex_numIdEiiPS3_EEvT1_T3_lS5_lPT2_S5_S5_,comdat
	.globl	_ZN9rocsolver6v33100L23getf2_npvt_small_kernelILi18E19rocblas_complex_numIdEiiPS3_EEvT1_T3_lS5_lPT2_S5_S5_ ; -- Begin function _ZN9rocsolver6v33100L23getf2_npvt_small_kernelILi18E19rocblas_complex_numIdEiiPS3_EEvT1_T3_lS5_lPT2_S5_S5_
	.p2align	8
	.type	_ZN9rocsolver6v33100L23getf2_npvt_small_kernelILi18E19rocblas_complex_numIdEiiPS3_EEvT1_T3_lS5_lPT2_S5_S5_,@function
_ZN9rocsolver6v33100L23getf2_npvt_small_kernelILi18E19rocblas_complex_numIdEiiPS3_EEvT1_T3_lS5_lPT2_S5_S5_: ; @_ZN9rocsolver6v33100L23getf2_npvt_small_kernelILi18E19rocblas_complex_numIdEiiPS3_EEvT1_T3_lS5_lPT2_S5_S5_
; %bb.0:
	s_clause 0x1
	s_load_dword s0, s[4:5], 0x44
	s_load_dwordx2 s[12:13], s[4:5], 0x30
	s_waitcnt lgkmcnt(0)
	s_lshr_b32 s14, s0, 16
	s_mov_b32 s0, exec_lo
	v_mad_u64_u32 v[168:169], null, s7, s14, v[1:2]
	v_cmpx_gt_i32_e64 s12, v168
	s_cbranch_execz .LBB35_167
; %bb.1:
	s_clause 0x2
	s_load_dwordx4 s[8:11], s[4:5], 0x20
	s_load_dword s6, s[4:5], 0x18
	s_load_dwordx4 s[0:3], s[4:5], 0x8
	v_ashrrev_i32_e32 v169, 31, v168
	v_lshlrev_b32_e32 v13, 4, v0
	v_lshlrev_b32_e32 v74, 4, v1
	s_mulk_i32 s14, 0x120
	v_mad_u32_u24 v184, 0x120, v1, 0
	v_add3_u32 v1, 0, s14, v74
	s_waitcnt lgkmcnt(0)
	v_mul_lo_u32 v5, s9, v168
	v_mul_lo_u32 v7, s8, v169
	v_mad_u64_u32 v[2:3], null, s8, v168, 0
	v_add3_u32 v4, s6, s6, v0
	s_lshl_b64 s[2:3], s[2:3], 4
	s_ashr_i32 s7, s6, 31
	s_lshl_b64 s[4:5], s[6:7], 4
	v_add_nc_u32_e32 v6, s6, v4
	v_add3_u32 v3, v3, v7, v5
	v_ashrrev_i32_e32 v5, 31, v4
	v_add_nc_u32_e32 v8, s6, v6
	v_lshlrev_b64 v[2:3], 4, v[2:3]
	v_ashrrev_i32_e32 v7, 31, v6
	v_lshlrev_b64 v[4:5], 4, v[4:5]
	v_ashrrev_i32_e32 v9, 31, v8
	v_add_nc_u32_e32 v10, s6, v8
	v_add_co_u32 v12, vcc_lo, s0, v2
	v_add_co_ci_u32_e64 v14, null, s1, v3, vcc_lo
	v_lshlrev_b64 v[2:3], 4, v[8:9]
	v_add_co_u32 v18, vcc_lo, v12, s2
	v_add_nc_u32_e32 v8, s6, v10
	v_add_co_ci_u32_e64 v19, null, s3, v14, vcc_lo
	v_lshlrev_b64 v[6:7], 4, v[6:7]
	v_ashrrev_i32_e32 v11, 31, v10
	v_add_co_u32 v152, vcc_lo, v18, v13
	v_add_nc_u32_e32 v12, s6, v8
	v_add_co_ci_u32_e64 v153, null, 0, v19, vcc_lo
	v_add_co_u32 v150, vcc_lo, v18, v4
	v_lshlrev_b64 v[10:11], 4, v[10:11]
	v_ashrrev_i32_e32 v9, 31, v8
	v_add_co_ci_u32_e64 v151, null, v19, v5, vcc_lo
	v_add_co_u32 v148, vcc_lo, v18, v6
	v_add_co_ci_u32_e64 v149, null, v19, v7, vcc_lo
	v_add_co_u32 v154, vcc_lo, v152, s4
	v_ashrrev_i32_e32 v13, 31, v12
	v_add_nc_u32_e32 v16, s6, v12
	v_add_co_ci_u32_e64 v155, null, s5, v153, vcc_lo
	v_add_co_u32 v146, vcc_lo, v18, v2
	v_lshlrev_b64 v[14:15], 4, v[8:9]
	v_add_co_ci_u32_e64 v147, null, v19, v3, vcc_lo
	v_add_co_u32 v156, vcc_lo, v18, v10
	v_add_co_ci_u32_e64 v157, null, v19, v11, vcc_lo
	v_lshlrev_b64 v[10:11], 4, v[12:13]
	v_ashrrev_i32_e32 v17, 31, v16
	v_add_nc_u32_e32 v12, s6, v16
	v_add_co_u32 v158, vcc_lo, v18, v14
	v_add_co_ci_u32_e64 v159, null, v19, v15, vcc_lo
	v_lshlrev_b64 v[14:15], 4, v[16:17]
	v_ashrrev_i32_e32 v13, 31, v12
	v_add_nc_u32_e32 v16, s6, v12
	;; [unrolled: 5-line block ×8, first 2 shown]
	v_add_co_u32 v174, vcc_lo, v18, v10
	v_add_co_ci_u32_e64 v175, null, v19, v11, vcc_lo
	v_lshlrev_b64 v[10:11], 4, v[12:13]
	v_add_nc_u32_e32 v12, s6, v16
	v_ashrrev_i32_e32 v17, 31, v16
	v_add_co_u32 v180, vcc_lo, v18, v14
	v_add_co_ci_u32_e64 v181, null, v19, v15, vcc_lo
	v_ashrrev_i32_e32 v13, 31, v12
	v_lshlrev_b64 v[14:15], 4, v[16:17]
	v_add_co_u32 v176, vcc_lo, v18, v10
	v_add_co_ci_u32_e64 v177, null, v19, v11, vcc_lo
	v_lshlrev_b64 v[10:11], 4, v[12:13]
	v_add_co_u32 v178, vcc_lo, v18, v14
	v_add_co_ci_u32_e64 v179, null, v19, v15, vcc_lo
	s_clause 0x1
	global_load_dwordx4 v[6:9], v[152:153], off
	global_load_dwordx4 v[2:5], v[154:155], off
	v_add_co_u32 v182, vcc_lo, v18, v10
	v_add_co_ci_u32_e64 v183, null, v19, v11, vcc_lo
	s_clause 0xf
	global_load_dwordx4 v[70:73], v[150:151], off
	global_load_dwordx4 v[66:69], v[148:149], off
	;; [unrolled: 1-line block ×16, first 2 shown]
	v_cmp_ne_u32_e64 s1, 0, v0
	v_cmp_eq_u32_e64 s0, 0, v0
	s_and_saveexec_b32 s3, s0
	s_cbranch_execz .LBB35_8
; %bb.2:
	s_waitcnt vmcnt(17)
	ds_write2_b64 v1, v[6:7], v[8:9] offset1:1
	s_waitcnt vmcnt(16)
	ds_write2_b64 v184, v[2:3], v[4:5] offset0:2 offset1:3
	s_waitcnt vmcnt(15)
	ds_write2_b64 v184, v[70:71], v[72:73] offset0:4 offset1:5
	;; [unrolled: 2-line block ×17, first 2 shown]
	ds_read2_b64 v[74:77], v1 offset1:1
	s_waitcnt lgkmcnt(0)
	v_cmp_neq_f64_e32 vcc_lo, 0, v[74:75]
	v_cmp_neq_f64_e64 s2, 0, v[76:77]
	s_or_b32 s2, vcc_lo, s2
	s_and_b32 exec_lo, exec_lo, s2
	s_cbranch_execz .LBB35_8
; %bb.3:
	v_cmp_ngt_f64_e64 s2, |v[74:75]|, |v[76:77]|
                                        ; implicit-def: $vgpr78_vgpr79
	s_and_saveexec_b32 s4, s2
	s_xor_b32 s2, exec_lo, s4
                                        ; implicit-def: $vgpr80_vgpr81
	s_cbranch_execz .LBB35_5
; %bb.4:
	v_div_scale_f64 v[78:79], null, v[76:77], v[76:77], v[74:75]
	v_div_scale_f64 v[84:85], vcc_lo, v[74:75], v[76:77], v[74:75]
	v_rcp_f64_e32 v[80:81], v[78:79]
	v_fma_f64 v[82:83], -v[78:79], v[80:81], 1.0
	v_fma_f64 v[80:81], v[80:81], v[82:83], v[80:81]
	v_fma_f64 v[82:83], -v[78:79], v[80:81], 1.0
	v_fma_f64 v[80:81], v[80:81], v[82:83], v[80:81]
	v_mul_f64 v[82:83], v[84:85], v[80:81]
	v_fma_f64 v[78:79], -v[78:79], v[82:83], v[84:85]
	v_div_fmas_f64 v[78:79], v[78:79], v[80:81], v[82:83]
	v_div_fixup_f64 v[78:79], v[78:79], v[76:77], v[74:75]
	v_fma_f64 v[74:75], v[74:75], v[78:79], v[76:77]
	v_div_scale_f64 v[76:77], null, v[74:75], v[74:75], 1.0
	v_rcp_f64_e32 v[80:81], v[76:77]
	v_fma_f64 v[82:83], -v[76:77], v[80:81], 1.0
	v_fma_f64 v[80:81], v[80:81], v[82:83], v[80:81]
	v_fma_f64 v[82:83], -v[76:77], v[80:81], 1.0
	v_fma_f64 v[80:81], v[80:81], v[82:83], v[80:81]
	v_div_scale_f64 v[82:83], vcc_lo, 1.0, v[74:75], 1.0
	v_mul_f64 v[84:85], v[82:83], v[80:81]
	v_fma_f64 v[76:77], -v[76:77], v[84:85], v[82:83]
	v_div_fmas_f64 v[76:77], v[76:77], v[80:81], v[84:85]
	v_div_fixup_f64 v[80:81], v[76:77], v[74:75], 1.0
                                        ; implicit-def: $vgpr74_vgpr75
	v_mul_f64 v[78:79], v[78:79], v[80:81]
	v_xor_b32_e32 v81, 0x80000000, v81
.LBB35_5:
	s_andn2_saveexec_b32 s2, s2
	s_cbranch_execz .LBB35_7
; %bb.6:
	v_div_scale_f64 v[78:79], null, v[74:75], v[74:75], v[76:77]
	v_div_scale_f64 v[84:85], vcc_lo, v[76:77], v[74:75], v[76:77]
	v_rcp_f64_e32 v[80:81], v[78:79]
	v_fma_f64 v[82:83], -v[78:79], v[80:81], 1.0
	v_fma_f64 v[80:81], v[80:81], v[82:83], v[80:81]
	v_fma_f64 v[82:83], -v[78:79], v[80:81], 1.0
	v_fma_f64 v[80:81], v[80:81], v[82:83], v[80:81]
	v_mul_f64 v[82:83], v[84:85], v[80:81]
	v_fma_f64 v[78:79], -v[78:79], v[82:83], v[84:85]
	v_div_fmas_f64 v[78:79], v[78:79], v[80:81], v[82:83]
	v_div_fixup_f64 v[80:81], v[78:79], v[74:75], v[76:77]
	v_fma_f64 v[74:75], v[76:77], v[80:81], v[74:75]
	v_div_scale_f64 v[76:77], null, v[74:75], v[74:75], 1.0
	v_rcp_f64_e32 v[78:79], v[76:77]
	v_fma_f64 v[82:83], -v[76:77], v[78:79], 1.0
	v_fma_f64 v[78:79], v[78:79], v[82:83], v[78:79]
	v_fma_f64 v[82:83], -v[76:77], v[78:79], 1.0
	v_fma_f64 v[78:79], v[78:79], v[82:83], v[78:79]
	v_div_scale_f64 v[82:83], vcc_lo, 1.0, v[74:75], 1.0
	v_mul_f64 v[84:85], v[82:83], v[78:79]
	v_fma_f64 v[76:77], -v[76:77], v[84:85], v[82:83]
	v_div_fmas_f64 v[76:77], v[76:77], v[78:79], v[84:85]
	v_div_fixup_f64 v[78:79], v[76:77], v[74:75], 1.0
	v_mul_f64 v[80:81], v[80:81], -v[78:79]
.LBB35_7:
	s_or_b32 exec_lo, exec_lo, s2
	ds_write2_b64 v1, v[78:79], v[80:81] offset1:1
.LBB35_8:
	s_or_b32 exec_lo, exec_lo, s3
	s_waitcnt vmcnt(0) lgkmcnt(0)
	s_barrier
	buffer_gl0_inv
	ds_read2_b64 v[74:77], v1 offset1:1
	s_and_saveexec_b32 s2, s1
	s_cbranch_execz .LBB35_10
; %bb.9:
	s_waitcnt lgkmcnt(0)
	v_mul_f64 v[78:79], v[74:75], v[8:9]
	v_mul_f64 v[185:186], v[76:77], v[8:9]
	v_fma_f64 v[8:9], v[76:77], v[6:7], v[78:79]
	ds_read2_b64 v[78:81], v184 offset0:2 offset1:3
	ds_read2_b64 v[82:85], v184 offset0:4 offset1:5
	;; [unrolled: 1-line block ×17, first 2 shown]
	v_fma_f64 v[6:7], v[74:75], v[6:7], -v[185:186]
	s_waitcnt lgkmcnt(16)
	v_mul_f64 v[185:186], v[80:81], v[8:9]
	v_mul_f64 v[187:188], v[78:79], v[8:9]
	s_waitcnt lgkmcnt(15)
	v_mul_f64 v[189:190], v[84:85], v[8:9]
	v_mul_f64 v[191:192], v[82:83], v[8:9]
	;; [unrolled: 3-line block ×17, first 2 shown]
	v_fma_f64 v[78:79], v[78:79], v[6:7], -v[185:186]
	v_fma_f64 v[80:81], v[80:81], v[6:7], v[187:188]
	v_fma_f64 v[82:83], v[82:83], v[6:7], -v[189:190]
	v_fma_f64 v[84:85], v[84:85], v[6:7], v[191:192]
	;; [unrolled: 2-line block ×17, first 2 shown]
	v_add_f64 v[2:3], v[2:3], -v[78:79]
	v_add_f64 v[4:5], v[4:5], -v[80:81]
	;; [unrolled: 1-line block ×34, first 2 shown]
.LBB35_10:
	s_or_b32 exec_lo, exec_lo, s2
	s_mov_b32 s2, exec_lo
	s_waitcnt lgkmcnt(0)
	s_barrier
	buffer_gl0_inv
	v_cmpx_eq_u32_e32 1, v0
	s_cbranch_execz .LBB35_17
; %bb.11:
	ds_write2_b64 v1, v[2:3], v[4:5] offset1:1
	ds_write2_b64 v184, v[70:71], v[72:73] offset0:4 offset1:5
	ds_write2_b64 v184, v[66:67], v[68:69] offset0:6 offset1:7
	;; [unrolled: 1-line block ×16, first 2 shown]
	ds_read2_b64 v[78:81], v1 offset1:1
	s_waitcnt lgkmcnt(0)
	v_cmp_neq_f64_e32 vcc_lo, 0, v[78:79]
	v_cmp_neq_f64_e64 s1, 0, v[80:81]
	s_or_b32 s1, vcc_lo, s1
	s_and_b32 exec_lo, exec_lo, s1
	s_cbranch_execz .LBB35_17
; %bb.12:
	v_cmp_ngt_f64_e64 s1, |v[78:79]|, |v[80:81]|
                                        ; implicit-def: $vgpr82_vgpr83
	s_and_saveexec_b32 s3, s1
	s_xor_b32 s1, exec_lo, s3
                                        ; implicit-def: $vgpr84_vgpr85
	s_cbranch_execz .LBB35_14
; %bb.13:
	v_div_scale_f64 v[82:83], null, v[80:81], v[80:81], v[78:79]
	v_div_scale_f64 v[88:89], vcc_lo, v[78:79], v[80:81], v[78:79]
	v_rcp_f64_e32 v[84:85], v[82:83]
	v_fma_f64 v[86:87], -v[82:83], v[84:85], 1.0
	v_fma_f64 v[84:85], v[84:85], v[86:87], v[84:85]
	v_fma_f64 v[86:87], -v[82:83], v[84:85], 1.0
	v_fma_f64 v[84:85], v[84:85], v[86:87], v[84:85]
	v_mul_f64 v[86:87], v[88:89], v[84:85]
	v_fma_f64 v[82:83], -v[82:83], v[86:87], v[88:89]
	v_div_fmas_f64 v[82:83], v[82:83], v[84:85], v[86:87]
	v_div_fixup_f64 v[82:83], v[82:83], v[80:81], v[78:79]
	v_fma_f64 v[78:79], v[78:79], v[82:83], v[80:81]
	v_div_scale_f64 v[80:81], null, v[78:79], v[78:79], 1.0
	v_rcp_f64_e32 v[84:85], v[80:81]
	v_fma_f64 v[86:87], -v[80:81], v[84:85], 1.0
	v_fma_f64 v[84:85], v[84:85], v[86:87], v[84:85]
	v_fma_f64 v[86:87], -v[80:81], v[84:85], 1.0
	v_fma_f64 v[84:85], v[84:85], v[86:87], v[84:85]
	v_div_scale_f64 v[86:87], vcc_lo, 1.0, v[78:79], 1.0
	v_mul_f64 v[88:89], v[86:87], v[84:85]
	v_fma_f64 v[80:81], -v[80:81], v[88:89], v[86:87]
	v_div_fmas_f64 v[80:81], v[80:81], v[84:85], v[88:89]
	v_div_fixup_f64 v[84:85], v[80:81], v[78:79], 1.0
                                        ; implicit-def: $vgpr78_vgpr79
	v_mul_f64 v[82:83], v[82:83], v[84:85]
	v_xor_b32_e32 v85, 0x80000000, v85
.LBB35_14:
	s_andn2_saveexec_b32 s1, s1
	s_cbranch_execz .LBB35_16
; %bb.15:
	v_div_scale_f64 v[82:83], null, v[78:79], v[78:79], v[80:81]
	v_div_scale_f64 v[88:89], vcc_lo, v[80:81], v[78:79], v[80:81]
	v_rcp_f64_e32 v[84:85], v[82:83]
	v_fma_f64 v[86:87], -v[82:83], v[84:85], 1.0
	v_fma_f64 v[84:85], v[84:85], v[86:87], v[84:85]
	v_fma_f64 v[86:87], -v[82:83], v[84:85], 1.0
	v_fma_f64 v[84:85], v[84:85], v[86:87], v[84:85]
	v_mul_f64 v[86:87], v[88:89], v[84:85]
	v_fma_f64 v[82:83], -v[82:83], v[86:87], v[88:89]
	v_div_fmas_f64 v[82:83], v[82:83], v[84:85], v[86:87]
	v_div_fixup_f64 v[84:85], v[82:83], v[78:79], v[80:81]
	v_fma_f64 v[78:79], v[80:81], v[84:85], v[78:79]
	v_div_scale_f64 v[80:81], null, v[78:79], v[78:79], 1.0
	v_rcp_f64_e32 v[82:83], v[80:81]
	v_fma_f64 v[86:87], -v[80:81], v[82:83], 1.0
	v_fma_f64 v[82:83], v[82:83], v[86:87], v[82:83]
	v_fma_f64 v[86:87], -v[80:81], v[82:83], 1.0
	v_fma_f64 v[82:83], v[82:83], v[86:87], v[82:83]
	v_div_scale_f64 v[86:87], vcc_lo, 1.0, v[78:79], 1.0
	v_mul_f64 v[88:89], v[86:87], v[82:83]
	v_fma_f64 v[80:81], -v[80:81], v[88:89], v[86:87]
	v_div_fmas_f64 v[80:81], v[80:81], v[82:83], v[88:89]
	v_div_fixup_f64 v[82:83], v[80:81], v[78:79], 1.0
	v_mul_f64 v[84:85], v[84:85], -v[82:83]
.LBB35_16:
	s_or_b32 exec_lo, exec_lo, s1
	ds_write2_b64 v1, v[82:83], v[84:85] offset1:1
.LBB35_17:
	s_or_b32 exec_lo, exec_lo, s2
	s_waitcnt lgkmcnt(0)
	s_barrier
	buffer_gl0_inv
	ds_read2_b64 v[78:81], v1 offset1:1
	s_mov_b32 s1, exec_lo
	v_cmpx_lt_u32_e32 1, v0
	s_cbranch_execz .LBB35_19
; %bb.18:
	s_waitcnt lgkmcnt(0)
	v_mul_f64 v[82:83], v[78:79], v[4:5]
	v_mul_f64 v[4:5], v[80:81], v[4:5]
	v_fma_f64 v[185:186], v[80:81], v[2:3], v[82:83]
	ds_read2_b64 v[82:85], v184 offset0:4 offset1:5
	ds_read2_b64 v[86:89], v184 offset0:6 offset1:7
	;; [unrolled: 1-line block ×16, first 2 shown]
	v_fma_f64 v[2:3], v[78:79], v[2:3], -v[4:5]
	s_waitcnt lgkmcnt(15)
	v_mul_f64 v[4:5], v[84:85], v[185:186]
	v_mul_f64 v[187:188], v[82:83], v[185:186]
	s_waitcnt lgkmcnt(14)
	v_mul_f64 v[189:190], v[88:89], v[185:186]
	v_mul_f64 v[191:192], v[86:87], v[185:186]
	;; [unrolled: 3-line block ×16, first 2 shown]
	v_fma_f64 v[4:5], v[82:83], v[2:3], -v[4:5]
	v_fma_f64 v[82:83], v[84:85], v[2:3], v[187:188]
	v_fma_f64 v[84:85], v[86:87], v[2:3], -v[189:190]
	v_fma_f64 v[86:87], v[88:89], v[2:3], v[191:192]
	v_fma_f64 v[88:89], v[90:91], v[2:3], -v[193:194]
	v_fma_f64 v[90:91], v[92:93], v[2:3], v[195:196]
	v_fma_f64 v[92:93], v[94:95], v[2:3], -v[197:198]
	v_fma_f64 v[94:95], v[96:97], v[2:3], v[199:200]
	v_fma_f64 v[96:97], v[98:99], v[2:3], -v[201:202]
	v_fma_f64 v[98:99], v[100:101], v[2:3], v[203:204]
	v_fma_f64 v[100:101], v[102:103], v[2:3], -v[205:206]
	v_fma_f64 v[102:103], v[104:105], v[2:3], v[207:208]
	v_fma_f64 v[104:105], v[106:107], v[2:3], -v[209:210]
	v_fma_f64 v[106:107], v[108:109], v[2:3], v[211:212]
	v_fma_f64 v[108:109], v[110:111], v[2:3], -v[213:214]
	v_fma_f64 v[110:111], v[112:113], v[2:3], v[215:216]
	v_fma_f64 v[112:113], v[114:115], v[2:3], -v[217:218]
	v_fma_f64 v[114:115], v[116:117], v[2:3], v[219:220]
	v_fma_f64 v[116:117], v[118:119], v[2:3], -v[221:222]
	v_fma_f64 v[118:119], v[120:121], v[2:3], v[223:224]
	v_fma_f64 v[120:121], v[122:123], v[2:3], -v[225:226]
	v_fma_f64 v[122:123], v[124:125], v[2:3], v[227:228]
	v_fma_f64 v[124:125], v[126:127], v[2:3], -v[229:230]
	v_fma_f64 v[126:127], v[128:129], v[2:3], v[231:232]
	v_fma_f64 v[128:129], v[130:131], v[2:3], -v[233:234]
	v_fma_f64 v[130:131], v[132:133], v[2:3], v[235:236]
	v_fma_f64 v[132:133], v[134:135], v[2:3], -v[237:238]
	v_add_f64 v[70:71], v[70:71], -v[4:5]
	v_add_f64 v[72:73], v[72:73], -v[82:83]
	;; [unrolled: 1-line block ×5, first 2 shown]
	v_fma_f64 v[4:5], v[136:137], v[2:3], v[239:240]
	v_fma_f64 v[82:83], v[138:139], v[2:3], -v[241:242]
	v_fma_f64 v[84:85], v[140:141], v[2:3], v[243:244]
	v_fma_f64 v[86:87], v[142:143], v[2:3], -v[245:246]
	v_fma_f64 v[88:89], v[144:145], v[2:3], v[247:248]
	v_add_f64 v[64:65], v[64:65], -v[90:91]
	v_add_f64 v[58:59], v[58:59], -v[92:93]
	;; [unrolled: 1-line block ×27, first 2 shown]
	v_mov_b32_e32 v4, v185
	v_mov_b32_e32 v5, v186
.LBB35_19:
	s_or_b32 exec_lo, exec_lo, s1
	s_mov_b32 s2, exec_lo
	s_waitcnt lgkmcnt(0)
	s_barrier
	buffer_gl0_inv
	v_cmpx_eq_u32_e32 2, v0
	s_cbranch_execz .LBB35_26
; %bb.20:
	ds_write2_b64 v1, v[70:71], v[72:73] offset1:1
	ds_write2_b64 v184, v[66:67], v[68:69] offset0:6 offset1:7
	ds_write2_b64 v184, v[62:63], v[64:65] offset0:8 offset1:9
	;; [unrolled: 1-line block ×15, first 2 shown]
	ds_read2_b64 v[82:85], v1 offset1:1
	s_waitcnt lgkmcnt(0)
	v_cmp_neq_f64_e32 vcc_lo, 0, v[82:83]
	v_cmp_neq_f64_e64 s1, 0, v[84:85]
	s_or_b32 s1, vcc_lo, s1
	s_and_b32 exec_lo, exec_lo, s1
	s_cbranch_execz .LBB35_26
; %bb.21:
	v_cmp_ngt_f64_e64 s1, |v[82:83]|, |v[84:85]|
                                        ; implicit-def: $vgpr86_vgpr87
	s_and_saveexec_b32 s3, s1
	s_xor_b32 s1, exec_lo, s3
                                        ; implicit-def: $vgpr88_vgpr89
	s_cbranch_execz .LBB35_23
; %bb.22:
	v_div_scale_f64 v[86:87], null, v[84:85], v[84:85], v[82:83]
	v_div_scale_f64 v[92:93], vcc_lo, v[82:83], v[84:85], v[82:83]
	v_rcp_f64_e32 v[88:89], v[86:87]
	v_fma_f64 v[90:91], -v[86:87], v[88:89], 1.0
	v_fma_f64 v[88:89], v[88:89], v[90:91], v[88:89]
	v_fma_f64 v[90:91], -v[86:87], v[88:89], 1.0
	v_fma_f64 v[88:89], v[88:89], v[90:91], v[88:89]
	v_mul_f64 v[90:91], v[92:93], v[88:89]
	v_fma_f64 v[86:87], -v[86:87], v[90:91], v[92:93]
	v_div_fmas_f64 v[86:87], v[86:87], v[88:89], v[90:91]
	v_div_fixup_f64 v[86:87], v[86:87], v[84:85], v[82:83]
	v_fma_f64 v[82:83], v[82:83], v[86:87], v[84:85]
	v_div_scale_f64 v[84:85], null, v[82:83], v[82:83], 1.0
	v_rcp_f64_e32 v[88:89], v[84:85]
	v_fma_f64 v[90:91], -v[84:85], v[88:89], 1.0
	v_fma_f64 v[88:89], v[88:89], v[90:91], v[88:89]
	v_fma_f64 v[90:91], -v[84:85], v[88:89], 1.0
	v_fma_f64 v[88:89], v[88:89], v[90:91], v[88:89]
	v_div_scale_f64 v[90:91], vcc_lo, 1.0, v[82:83], 1.0
	v_mul_f64 v[92:93], v[90:91], v[88:89]
	v_fma_f64 v[84:85], -v[84:85], v[92:93], v[90:91]
	v_div_fmas_f64 v[84:85], v[84:85], v[88:89], v[92:93]
	v_div_fixup_f64 v[88:89], v[84:85], v[82:83], 1.0
                                        ; implicit-def: $vgpr82_vgpr83
	v_mul_f64 v[86:87], v[86:87], v[88:89]
	v_xor_b32_e32 v89, 0x80000000, v89
.LBB35_23:
	s_andn2_saveexec_b32 s1, s1
	s_cbranch_execz .LBB35_25
; %bb.24:
	v_div_scale_f64 v[86:87], null, v[82:83], v[82:83], v[84:85]
	v_div_scale_f64 v[92:93], vcc_lo, v[84:85], v[82:83], v[84:85]
	v_rcp_f64_e32 v[88:89], v[86:87]
	v_fma_f64 v[90:91], -v[86:87], v[88:89], 1.0
	v_fma_f64 v[88:89], v[88:89], v[90:91], v[88:89]
	v_fma_f64 v[90:91], -v[86:87], v[88:89], 1.0
	v_fma_f64 v[88:89], v[88:89], v[90:91], v[88:89]
	v_mul_f64 v[90:91], v[92:93], v[88:89]
	v_fma_f64 v[86:87], -v[86:87], v[90:91], v[92:93]
	v_div_fmas_f64 v[86:87], v[86:87], v[88:89], v[90:91]
	v_div_fixup_f64 v[88:89], v[86:87], v[82:83], v[84:85]
	v_fma_f64 v[82:83], v[84:85], v[88:89], v[82:83]
	v_div_scale_f64 v[84:85], null, v[82:83], v[82:83], 1.0
	v_rcp_f64_e32 v[86:87], v[84:85]
	v_fma_f64 v[90:91], -v[84:85], v[86:87], 1.0
	v_fma_f64 v[86:87], v[86:87], v[90:91], v[86:87]
	v_fma_f64 v[90:91], -v[84:85], v[86:87], 1.0
	v_fma_f64 v[86:87], v[86:87], v[90:91], v[86:87]
	v_div_scale_f64 v[90:91], vcc_lo, 1.0, v[82:83], 1.0
	v_mul_f64 v[92:93], v[90:91], v[86:87]
	v_fma_f64 v[84:85], -v[84:85], v[92:93], v[90:91]
	v_div_fmas_f64 v[84:85], v[84:85], v[86:87], v[92:93]
	v_div_fixup_f64 v[86:87], v[84:85], v[82:83], 1.0
	v_mul_f64 v[88:89], v[88:89], -v[86:87]
.LBB35_25:
	s_or_b32 exec_lo, exec_lo, s1
	ds_write2_b64 v1, v[86:87], v[88:89] offset1:1
.LBB35_26:
	s_or_b32 exec_lo, exec_lo, s2
	s_waitcnt lgkmcnt(0)
	s_barrier
	buffer_gl0_inv
	ds_read2_b64 v[82:85], v1 offset1:1
	s_mov_b32 s1, exec_lo
	v_cmpx_lt_u32_e32 2, v0
	s_cbranch_execz .LBB35_28
; %bb.27:
	s_waitcnt lgkmcnt(0)
	v_mul_f64 v[86:87], v[82:83], v[72:73]
	v_mul_f64 v[72:73], v[84:85], v[72:73]
	v_fma_f64 v[185:186], v[84:85], v[70:71], v[86:87]
	ds_read2_b64 v[86:89], v184 offset0:6 offset1:7
	ds_read2_b64 v[90:93], v184 offset0:8 offset1:9
	;; [unrolled: 1-line block ×15, first 2 shown]
	v_fma_f64 v[70:71], v[82:83], v[70:71], -v[72:73]
	s_waitcnt lgkmcnt(14)
	v_mul_f64 v[72:73], v[88:89], v[185:186]
	v_mul_f64 v[187:188], v[86:87], v[185:186]
	s_waitcnt lgkmcnt(13)
	v_mul_f64 v[189:190], v[92:93], v[185:186]
	v_mul_f64 v[191:192], v[90:91], v[185:186]
	;; [unrolled: 3-line block ×15, first 2 shown]
	v_fma_f64 v[72:73], v[86:87], v[70:71], -v[72:73]
	v_fma_f64 v[86:87], v[88:89], v[70:71], v[187:188]
	v_fma_f64 v[88:89], v[90:91], v[70:71], -v[189:190]
	v_fma_f64 v[90:91], v[92:93], v[70:71], v[191:192]
	;; [unrolled: 2-line block ×15, first 2 shown]
	v_add_f64 v[66:67], v[66:67], -v[72:73]
	v_add_f64 v[68:69], v[68:69], -v[86:87]
	;; [unrolled: 1-line block ×30, first 2 shown]
	v_mov_b32_e32 v72, v185
	v_mov_b32_e32 v73, v186
.LBB35_28:
	s_or_b32 exec_lo, exec_lo, s1
	s_mov_b32 s2, exec_lo
	s_waitcnt lgkmcnt(0)
	s_barrier
	buffer_gl0_inv
	v_cmpx_eq_u32_e32 3, v0
	s_cbranch_execz .LBB35_35
; %bb.29:
	ds_write2_b64 v1, v[66:67], v[68:69] offset1:1
	ds_write2_b64 v184, v[62:63], v[64:65] offset0:8 offset1:9
	ds_write2_b64 v184, v[58:59], v[60:61] offset0:10 offset1:11
	ds_write2_b64 v184, v[54:55], v[56:57] offset0:12 offset1:13
	ds_write2_b64 v184, v[50:51], v[52:53] offset0:14 offset1:15
	ds_write2_b64 v184, v[46:47], v[48:49] offset0:16 offset1:17
	ds_write2_b64 v184, v[42:43], v[44:45] offset0:18 offset1:19
	ds_write2_b64 v184, v[38:39], v[40:41] offset0:20 offset1:21
	ds_write2_b64 v184, v[34:35], v[36:37] offset0:22 offset1:23
	ds_write2_b64 v184, v[30:31], v[32:33] offset0:24 offset1:25
	ds_write2_b64 v184, v[26:27], v[28:29] offset0:26 offset1:27
	ds_write2_b64 v184, v[22:23], v[24:25] offset0:28 offset1:29
	ds_write2_b64 v184, v[18:19], v[20:21] offset0:30 offset1:31
	ds_write2_b64 v184, v[14:15], v[16:17] offset0:32 offset1:33
	ds_write2_b64 v184, v[10:11], v[12:13] offset0:34 offset1:35
	ds_read2_b64 v[86:89], v1 offset1:1
	s_waitcnt lgkmcnt(0)
	v_cmp_neq_f64_e32 vcc_lo, 0, v[86:87]
	v_cmp_neq_f64_e64 s1, 0, v[88:89]
	s_or_b32 s1, vcc_lo, s1
	s_and_b32 exec_lo, exec_lo, s1
	s_cbranch_execz .LBB35_35
; %bb.30:
	v_cmp_ngt_f64_e64 s1, |v[86:87]|, |v[88:89]|
                                        ; implicit-def: $vgpr90_vgpr91
	s_and_saveexec_b32 s3, s1
	s_xor_b32 s1, exec_lo, s3
                                        ; implicit-def: $vgpr92_vgpr93
	s_cbranch_execz .LBB35_32
; %bb.31:
	v_div_scale_f64 v[90:91], null, v[88:89], v[88:89], v[86:87]
	v_div_scale_f64 v[96:97], vcc_lo, v[86:87], v[88:89], v[86:87]
	v_rcp_f64_e32 v[92:93], v[90:91]
	v_fma_f64 v[94:95], -v[90:91], v[92:93], 1.0
	v_fma_f64 v[92:93], v[92:93], v[94:95], v[92:93]
	v_fma_f64 v[94:95], -v[90:91], v[92:93], 1.0
	v_fma_f64 v[92:93], v[92:93], v[94:95], v[92:93]
	v_mul_f64 v[94:95], v[96:97], v[92:93]
	v_fma_f64 v[90:91], -v[90:91], v[94:95], v[96:97]
	v_div_fmas_f64 v[90:91], v[90:91], v[92:93], v[94:95]
	v_div_fixup_f64 v[90:91], v[90:91], v[88:89], v[86:87]
	v_fma_f64 v[86:87], v[86:87], v[90:91], v[88:89]
	v_div_scale_f64 v[88:89], null, v[86:87], v[86:87], 1.0
	v_rcp_f64_e32 v[92:93], v[88:89]
	v_fma_f64 v[94:95], -v[88:89], v[92:93], 1.0
	v_fma_f64 v[92:93], v[92:93], v[94:95], v[92:93]
	v_fma_f64 v[94:95], -v[88:89], v[92:93], 1.0
	v_fma_f64 v[92:93], v[92:93], v[94:95], v[92:93]
	v_div_scale_f64 v[94:95], vcc_lo, 1.0, v[86:87], 1.0
	v_mul_f64 v[96:97], v[94:95], v[92:93]
	v_fma_f64 v[88:89], -v[88:89], v[96:97], v[94:95]
	v_div_fmas_f64 v[88:89], v[88:89], v[92:93], v[96:97]
	v_div_fixup_f64 v[92:93], v[88:89], v[86:87], 1.0
                                        ; implicit-def: $vgpr86_vgpr87
	v_mul_f64 v[90:91], v[90:91], v[92:93]
	v_xor_b32_e32 v93, 0x80000000, v93
.LBB35_32:
	s_andn2_saveexec_b32 s1, s1
	s_cbranch_execz .LBB35_34
; %bb.33:
	v_div_scale_f64 v[90:91], null, v[86:87], v[86:87], v[88:89]
	v_div_scale_f64 v[96:97], vcc_lo, v[88:89], v[86:87], v[88:89]
	v_rcp_f64_e32 v[92:93], v[90:91]
	v_fma_f64 v[94:95], -v[90:91], v[92:93], 1.0
	v_fma_f64 v[92:93], v[92:93], v[94:95], v[92:93]
	v_fma_f64 v[94:95], -v[90:91], v[92:93], 1.0
	v_fma_f64 v[92:93], v[92:93], v[94:95], v[92:93]
	v_mul_f64 v[94:95], v[96:97], v[92:93]
	v_fma_f64 v[90:91], -v[90:91], v[94:95], v[96:97]
	v_div_fmas_f64 v[90:91], v[90:91], v[92:93], v[94:95]
	v_div_fixup_f64 v[92:93], v[90:91], v[86:87], v[88:89]
	v_fma_f64 v[86:87], v[88:89], v[92:93], v[86:87]
	v_div_scale_f64 v[88:89], null, v[86:87], v[86:87], 1.0
	v_rcp_f64_e32 v[90:91], v[88:89]
	v_fma_f64 v[94:95], -v[88:89], v[90:91], 1.0
	v_fma_f64 v[90:91], v[90:91], v[94:95], v[90:91]
	v_fma_f64 v[94:95], -v[88:89], v[90:91], 1.0
	v_fma_f64 v[90:91], v[90:91], v[94:95], v[90:91]
	v_div_scale_f64 v[94:95], vcc_lo, 1.0, v[86:87], 1.0
	v_mul_f64 v[96:97], v[94:95], v[90:91]
	v_fma_f64 v[88:89], -v[88:89], v[96:97], v[94:95]
	v_div_fmas_f64 v[88:89], v[88:89], v[90:91], v[96:97]
	v_div_fixup_f64 v[90:91], v[88:89], v[86:87], 1.0
	v_mul_f64 v[92:93], v[92:93], -v[90:91]
.LBB35_34:
	s_or_b32 exec_lo, exec_lo, s1
	ds_write2_b64 v1, v[90:91], v[92:93] offset1:1
.LBB35_35:
	s_or_b32 exec_lo, exec_lo, s2
	s_waitcnt lgkmcnt(0)
	s_barrier
	buffer_gl0_inv
	ds_read2_b64 v[86:89], v1 offset1:1
	s_mov_b32 s1, exec_lo
	v_cmpx_lt_u32_e32 3, v0
	s_cbranch_execz .LBB35_37
; %bb.36:
	s_waitcnt lgkmcnt(0)
	v_mul_f64 v[90:91], v[86:87], v[68:69]
	v_mul_f64 v[68:69], v[88:89], v[68:69]
	v_fma_f64 v[185:186], v[88:89], v[66:67], v[90:91]
	ds_read2_b64 v[90:93], v184 offset0:8 offset1:9
	ds_read2_b64 v[94:97], v184 offset0:10 offset1:11
	;; [unrolled: 1-line block ×14, first 2 shown]
	v_fma_f64 v[66:67], v[86:87], v[66:67], -v[68:69]
	s_waitcnt lgkmcnt(13)
	v_mul_f64 v[68:69], v[92:93], v[185:186]
	v_mul_f64 v[187:188], v[90:91], v[185:186]
	s_waitcnt lgkmcnt(12)
	v_mul_f64 v[189:190], v[96:97], v[185:186]
	v_mul_f64 v[191:192], v[94:95], v[185:186]
	;; [unrolled: 3-line block ×14, first 2 shown]
	v_fma_f64 v[68:69], v[90:91], v[66:67], -v[68:69]
	v_fma_f64 v[90:91], v[92:93], v[66:67], v[187:188]
	v_fma_f64 v[92:93], v[94:95], v[66:67], -v[189:190]
	v_fma_f64 v[94:95], v[96:97], v[66:67], v[191:192]
	v_fma_f64 v[96:97], v[98:99], v[66:67], -v[193:194]
	v_fma_f64 v[98:99], v[100:101], v[66:67], v[195:196]
	v_fma_f64 v[100:101], v[102:103], v[66:67], -v[197:198]
	v_fma_f64 v[102:103], v[104:105], v[66:67], v[199:200]
	v_fma_f64 v[104:105], v[106:107], v[66:67], -v[201:202]
	v_fma_f64 v[106:107], v[108:109], v[66:67], v[203:204]
	v_fma_f64 v[108:109], v[110:111], v[66:67], -v[205:206]
	v_fma_f64 v[110:111], v[112:113], v[66:67], v[207:208]
	v_fma_f64 v[112:113], v[114:115], v[66:67], -v[209:210]
	v_fma_f64 v[114:115], v[116:117], v[66:67], v[211:212]
	v_fma_f64 v[116:117], v[118:119], v[66:67], -v[213:214]
	v_fma_f64 v[118:119], v[120:121], v[66:67], v[215:216]
	v_fma_f64 v[120:121], v[122:123], v[66:67], -v[217:218]
	v_fma_f64 v[122:123], v[124:125], v[66:67], v[219:220]
	v_fma_f64 v[124:125], v[126:127], v[66:67], -v[221:222]
	v_fma_f64 v[126:127], v[128:129], v[66:67], v[223:224]
	v_fma_f64 v[128:129], v[130:131], v[66:67], -v[225:226]
	v_fma_f64 v[130:131], v[132:133], v[66:67], v[227:228]
	v_fma_f64 v[132:133], v[134:135], v[66:67], -v[229:230]
	v_fma_f64 v[134:135], v[136:137], v[66:67], v[231:232]
	v_fma_f64 v[136:137], v[138:139], v[66:67], -v[233:234]
	v_fma_f64 v[138:139], v[140:141], v[66:67], v[235:236]
	v_fma_f64 v[140:141], v[142:143], v[66:67], -v[237:238]
	v_fma_f64 v[142:143], v[144:145], v[66:67], v[239:240]
	v_add_f64 v[62:63], v[62:63], -v[68:69]
	v_add_f64 v[64:65], v[64:65], -v[90:91]
	;; [unrolled: 1-line block ×28, first 2 shown]
	v_mov_b32_e32 v68, v185
	v_mov_b32_e32 v69, v186
.LBB35_37:
	s_or_b32 exec_lo, exec_lo, s1
	s_mov_b32 s2, exec_lo
	s_waitcnt lgkmcnt(0)
	s_barrier
	buffer_gl0_inv
	v_cmpx_eq_u32_e32 4, v0
	s_cbranch_execz .LBB35_44
; %bb.38:
	ds_write2_b64 v1, v[62:63], v[64:65] offset1:1
	ds_write2_b64 v184, v[58:59], v[60:61] offset0:10 offset1:11
	ds_write2_b64 v184, v[54:55], v[56:57] offset0:12 offset1:13
	;; [unrolled: 1-line block ×13, first 2 shown]
	ds_read2_b64 v[90:93], v1 offset1:1
	s_waitcnt lgkmcnt(0)
	v_cmp_neq_f64_e32 vcc_lo, 0, v[90:91]
	v_cmp_neq_f64_e64 s1, 0, v[92:93]
	s_or_b32 s1, vcc_lo, s1
	s_and_b32 exec_lo, exec_lo, s1
	s_cbranch_execz .LBB35_44
; %bb.39:
	v_cmp_ngt_f64_e64 s1, |v[90:91]|, |v[92:93]|
                                        ; implicit-def: $vgpr94_vgpr95
	s_and_saveexec_b32 s3, s1
	s_xor_b32 s1, exec_lo, s3
                                        ; implicit-def: $vgpr96_vgpr97
	s_cbranch_execz .LBB35_41
; %bb.40:
	v_div_scale_f64 v[94:95], null, v[92:93], v[92:93], v[90:91]
	v_div_scale_f64 v[100:101], vcc_lo, v[90:91], v[92:93], v[90:91]
	v_rcp_f64_e32 v[96:97], v[94:95]
	v_fma_f64 v[98:99], -v[94:95], v[96:97], 1.0
	v_fma_f64 v[96:97], v[96:97], v[98:99], v[96:97]
	v_fma_f64 v[98:99], -v[94:95], v[96:97], 1.0
	v_fma_f64 v[96:97], v[96:97], v[98:99], v[96:97]
	v_mul_f64 v[98:99], v[100:101], v[96:97]
	v_fma_f64 v[94:95], -v[94:95], v[98:99], v[100:101]
	v_div_fmas_f64 v[94:95], v[94:95], v[96:97], v[98:99]
	v_div_fixup_f64 v[94:95], v[94:95], v[92:93], v[90:91]
	v_fma_f64 v[90:91], v[90:91], v[94:95], v[92:93]
	v_div_scale_f64 v[92:93], null, v[90:91], v[90:91], 1.0
	v_rcp_f64_e32 v[96:97], v[92:93]
	v_fma_f64 v[98:99], -v[92:93], v[96:97], 1.0
	v_fma_f64 v[96:97], v[96:97], v[98:99], v[96:97]
	v_fma_f64 v[98:99], -v[92:93], v[96:97], 1.0
	v_fma_f64 v[96:97], v[96:97], v[98:99], v[96:97]
	v_div_scale_f64 v[98:99], vcc_lo, 1.0, v[90:91], 1.0
	v_mul_f64 v[100:101], v[98:99], v[96:97]
	v_fma_f64 v[92:93], -v[92:93], v[100:101], v[98:99]
	v_div_fmas_f64 v[92:93], v[92:93], v[96:97], v[100:101]
	v_div_fixup_f64 v[96:97], v[92:93], v[90:91], 1.0
                                        ; implicit-def: $vgpr90_vgpr91
	v_mul_f64 v[94:95], v[94:95], v[96:97]
	v_xor_b32_e32 v97, 0x80000000, v97
.LBB35_41:
	s_andn2_saveexec_b32 s1, s1
	s_cbranch_execz .LBB35_43
; %bb.42:
	v_div_scale_f64 v[94:95], null, v[90:91], v[90:91], v[92:93]
	v_div_scale_f64 v[100:101], vcc_lo, v[92:93], v[90:91], v[92:93]
	v_rcp_f64_e32 v[96:97], v[94:95]
	v_fma_f64 v[98:99], -v[94:95], v[96:97], 1.0
	v_fma_f64 v[96:97], v[96:97], v[98:99], v[96:97]
	v_fma_f64 v[98:99], -v[94:95], v[96:97], 1.0
	v_fma_f64 v[96:97], v[96:97], v[98:99], v[96:97]
	v_mul_f64 v[98:99], v[100:101], v[96:97]
	v_fma_f64 v[94:95], -v[94:95], v[98:99], v[100:101]
	v_div_fmas_f64 v[94:95], v[94:95], v[96:97], v[98:99]
	v_div_fixup_f64 v[96:97], v[94:95], v[90:91], v[92:93]
	v_fma_f64 v[90:91], v[92:93], v[96:97], v[90:91]
	v_div_scale_f64 v[92:93], null, v[90:91], v[90:91], 1.0
	v_rcp_f64_e32 v[94:95], v[92:93]
	v_fma_f64 v[98:99], -v[92:93], v[94:95], 1.0
	v_fma_f64 v[94:95], v[94:95], v[98:99], v[94:95]
	v_fma_f64 v[98:99], -v[92:93], v[94:95], 1.0
	v_fma_f64 v[94:95], v[94:95], v[98:99], v[94:95]
	v_div_scale_f64 v[98:99], vcc_lo, 1.0, v[90:91], 1.0
	v_mul_f64 v[100:101], v[98:99], v[94:95]
	v_fma_f64 v[92:93], -v[92:93], v[100:101], v[98:99]
	v_div_fmas_f64 v[92:93], v[92:93], v[94:95], v[100:101]
	v_div_fixup_f64 v[94:95], v[92:93], v[90:91], 1.0
	v_mul_f64 v[96:97], v[96:97], -v[94:95]
.LBB35_43:
	s_or_b32 exec_lo, exec_lo, s1
	ds_write2_b64 v1, v[94:95], v[96:97] offset1:1
.LBB35_44:
	s_or_b32 exec_lo, exec_lo, s2
	s_waitcnt lgkmcnt(0)
	s_barrier
	buffer_gl0_inv
	ds_read2_b64 v[90:93], v1 offset1:1
	s_mov_b32 s1, exec_lo
	v_cmpx_lt_u32_e32 4, v0
	s_cbranch_execz .LBB35_46
; %bb.45:
	s_waitcnt lgkmcnt(0)
	v_mul_f64 v[94:95], v[90:91], v[64:65]
	v_mul_f64 v[64:65], v[92:93], v[64:65]
	v_fma_f64 v[185:186], v[92:93], v[62:63], v[94:95]
	ds_read2_b64 v[94:97], v184 offset0:10 offset1:11
	ds_read2_b64 v[98:101], v184 offset0:12 offset1:13
	;; [unrolled: 1-line block ×13, first 2 shown]
	v_fma_f64 v[62:63], v[90:91], v[62:63], -v[64:65]
	s_waitcnt lgkmcnt(12)
	v_mul_f64 v[64:65], v[96:97], v[185:186]
	v_mul_f64 v[187:188], v[94:95], v[185:186]
	s_waitcnt lgkmcnt(11)
	v_mul_f64 v[189:190], v[100:101], v[185:186]
	v_mul_f64 v[191:192], v[98:99], v[185:186]
	;; [unrolled: 3-line block ×13, first 2 shown]
	v_fma_f64 v[64:65], v[94:95], v[62:63], -v[64:65]
	v_fma_f64 v[94:95], v[96:97], v[62:63], v[187:188]
	v_fma_f64 v[96:97], v[98:99], v[62:63], -v[189:190]
	v_fma_f64 v[98:99], v[100:101], v[62:63], v[191:192]
	;; [unrolled: 2-line block ×13, first 2 shown]
	v_add_f64 v[58:59], v[58:59], -v[64:65]
	v_add_f64 v[60:61], v[60:61], -v[94:95]
	;; [unrolled: 1-line block ×26, first 2 shown]
	v_mov_b32_e32 v64, v185
	v_mov_b32_e32 v65, v186
.LBB35_46:
	s_or_b32 exec_lo, exec_lo, s1
	s_mov_b32 s2, exec_lo
	s_waitcnt lgkmcnt(0)
	s_barrier
	buffer_gl0_inv
	v_cmpx_eq_u32_e32 5, v0
	s_cbranch_execz .LBB35_53
; %bb.47:
	ds_write2_b64 v1, v[58:59], v[60:61] offset1:1
	ds_write2_b64 v184, v[54:55], v[56:57] offset0:12 offset1:13
	ds_write2_b64 v184, v[50:51], v[52:53] offset0:14 offset1:15
	;; [unrolled: 1-line block ×12, first 2 shown]
	ds_read2_b64 v[94:97], v1 offset1:1
	s_waitcnt lgkmcnt(0)
	v_cmp_neq_f64_e32 vcc_lo, 0, v[94:95]
	v_cmp_neq_f64_e64 s1, 0, v[96:97]
	s_or_b32 s1, vcc_lo, s1
	s_and_b32 exec_lo, exec_lo, s1
	s_cbranch_execz .LBB35_53
; %bb.48:
	v_cmp_ngt_f64_e64 s1, |v[94:95]|, |v[96:97]|
                                        ; implicit-def: $vgpr98_vgpr99
	s_and_saveexec_b32 s3, s1
	s_xor_b32 s1, exec_lo, s3
                                        ; implicit-def: $vgpr100_vgpr101
	s_cbranch_execz .LBB35_50
; %bb.49:
	v_div_scale_f64 v[98:99], null, v[96:97], v[96:97], v[94:95]
	v_div_scale_f64 v[104:105], vcc_lo, v[94:95], v[96:97], v[94:95]
	v_rcp_f64_e32 v[100:101], v[98:99]
	v_fma_f64 v[102:103], -v[98:99], v[100:101], 1.0
	v_fma_f64 v[100:101], v[100:101], v[102:103], v[100:101]
	v_fma_f64 v[102:103], -v[98:99], v[100:101], 1.0
	v_fma_f64 v[100:101], v[100:101], v[102:103], v[100:101]
	v_mul_f64 v[102:103], v[104:105], v[100:101]
	v_fma_f64 v[98:99], -v[98:99], v[102:103], v[104:105]
	v_div_fmas_f64 v[98:99], v[98:99], v[100:101], v[102:103]
	v_div_fixup_f64 v[98:99], v[98:99], v[96:97], v[94:95]
	v_fma_f64 v[94:95], v[94:95], v[98:99], v[96:97]
	v_div_scale_f64 v[96:97], null, v[94:95], v[94:95], 1.0
	v_rcp_f64_e32 v[100:101], v[96:97]
	v_fma_f64 v[102:103], -v[96:97], v[100:101], 1.0
	v_fma_f64 v[100:101], v[100:101], v[102:103], v[100:101]
	v_fma_f64 v[102:103], -v[96:97], v[100:101], 1.0
	v_fma_f64 v[100:101], v[100:101], v[102:103], v[100:101]
	v_div_scale_f64 v[102:103], vcc_lo, 1.0, v[94:95], 1.0
	v_mul_f64 v[104:105], v[102:103], v[100:101]
	v_fma_f64 v[96:97], -v[96:97], v[104:105], v[102:103]
	v_div_fmas_f64 v[96:97], v[96:97], v[100:101], v[104:105]
	v_div_fixup_f64 v[100:101], v[96:97], v[94:95], 1.0
                                        ; implicit-def: $vgpr94_vgpr95
	v_mul_f64 v[98:99], v[98:99], v[100:101]
	v_xor_b32_e32 v101, 0x80000000, v101
.LBB35_50:
	s_andn2_saveexec_b32 s1, s1
	s_cbranch_execz .LBB35_52
; %bb.51:
	v_div_scale_f64 v[98:99], null, v[94:95], v[94:95], v[96:97]
	v_div_scale_f64 v[104:105], vcc_lo, v[96:97], v[94:95], v[96:97]
	v_rcp_f64_e32 v[100:101], v[98:99]
	v_fma_f64 v[102:103], -v[98:99], v[100:101], 1.0
	v_fma_f64 v[100:101], v[100:101], v[102:103], v[100:101]
	v_fma_f64 v[102:103], -v[98:99], v[100:101], 1.0
	v_fma_f64 v[100:101], v[100:101], v[102:103], v[100:101]
	v_mul_f64 v[102:103], v[104:105], v[100:101]
	v_fma_f64 v[98:99], -v[98:99], v[102:103], v[104:105]
	v_div_fmas_f64 v[98:99], v[98:99], v[100:101], v[102:103]
	v_div_fixup_f64 v[100:101], v[98:99], v[94:95], v[96:97]
	v_fma_f64 v[94:95], v[96:97], v[100:101], v[94:95]
	v_div_scale_f64 v[96:97], null, v[94:95], v[94:95], 1.0
	v_rcp_f64_e32 v[98:99], v[96:97]
	v_fma_f64 v[102:103], -v[96:97], v[98:99], 1.0
	v_fma_f64 v[98:99], v[98:99], v[102:103], v[98:99]
	v_fma_f64 v[102:103], -v[96:97], v[98:99], 1.0
	v_fma_f64 v[98:99], v[98:99], v[102:103], v[98:99]
	v_div_scale_f64 v[102:103], vcc_lo, 1.0, v[94:95], 1.0
	v_mul_f64 v[104:105], v[102:103], v[98:99]
	v_fma_f64 v[96:97], -v[96:97], v[104:105], v[102:103]
	v_div_fmas_f64 v[96:97], v[96:97], v[98:99], v[104:105]
	v_div_fixup_f64 v[98:99], v[96:97], v[94:95], 1.0
	v_mul_f64 v[100:101], v[100:101], -v[98:99]
.LBB35_52:
	s_or_b32 exec_lo, exec_lo, s1
	ds_write2_b64 v1, v[98:99], v[100:101] offset1:1
.LBB35_53:
	s_or_b32 exec_lo, exec_lo, s2
	s_waitcnt lgkmcnt(0)
	s_barrier
	buffer_gl0_inv
	ds_read2_b64 v[94:97], v1 offset1:1
	s_mov_b32 s1, exec_lo
	v_cmpx_lt_u32_e32 5, v0
	s_cbranch_execz .LBB35_55
; %bb.54:
	s_waitcnt lgkmcnt(0)
	v_mul_f64 v[98:99], v[94:95], v[60:61]
	v_mul_f64 v[60:61], v[96:97], v[60:61]
	v_fma_f64 v[185:186], v[96:97], v[58:59], v[98:99]
	ds_read2_b64 v[98:101], v184 offset0:12 offset1:13
	ds_read2_b64 v[102:105], v184 offset0:14 offset1:15
	;; [unrolled: 1-line block ×12, first 2 shown]
	v_fma_f64 v[58:59], v[94:95], v[58:59], -v[60:61]
	s_waitcnt lgkmcnt(11)
	v_mul_f64 v[60:61], v[100:101], v[185:186]
	v_mul_f64 v[187:188], v[98:99], v[185:186]
	s_waitcnt lgkmcnt(10)
	v_mul_f64 v[189:190], v[104:105], v[185:186]
	v_mul_f64 v[191:192], v[102:103], v[185:186]
	;; [unrolled: 3-line block ×12, first 2 shown]
	v_fma_f64 v[60:61], v[98:99], v[58:59], -v[60:61]
	v_fma_f64 v[98:99], v[100:101], v[58:59], v[187:188]
	v_fma_f64 v[100:101], v[102:103], v[58:59], -v[189:190]
	v_fma_f64 v[102:103], v[104:105], v[58:59], v[191:192]
	;; [unrolled: 2-line block ×12, first 2 shown]
	v_add_f64 v[54:55], v[54:55], -v[60:61]
	v_add_f64 v[56:57], v[56:57], -v[98:99]
	;; [unrolled: 1-line block ×24, first 2 shown]
	v_mov_b32_e32 v60, v185
	v_mov_b32_e32 v61, v186
.LBB35_55:
	s_or_b32 exec_lo, exec_lo, s1
	s_mov_b32 s2, exec_lo
	s_waitcnt lgkmcnt(0)
	s_barrier
	buffer_gl0_inv
	v_cmpx_eq_u32_e32 6, v0
	s_cbranch_execz .LBB35_62
; %bb.56:
	ds_write2_b64 v1, v[54:55], v[56:57] offset1:1
	ds_write2_b64 v184, v[50:51], v[52:53] offset0:14 offset1:15
	ds_write2_b64 v184, v[46:47], v[48:49] offset0:16 offset1:17
	;; [unrolled: 1-line block ×11, first 2 shown]
	ds_read2_b64 v[98:101], v1 offset1:1
	s_waitcnt lgkmcnt(0)
	v_cmp_neq_f64_e32 vcc_lo, 0, v[98:99]
	v_cmp_neq_f64_e64 s1, 0, v[100:101]
	s_or_b32 s1, vcc_lo, s1
	s_and_b32 exec_lo, exec_lo, s1
	s_cbranch_execz .LBB35_62
; %bb.57:
	v_cmp_ngt_f64_e64 s1, |v[98:99]|, |v[100:101]|
                                        ; implicit-def: $vgpr102_vgpr103
	s_and_saveexec_b32 s3, s1
	s_xor_b32 s1, exec_lo, s3
                                        ; implicit-def: $vgpr104_vgpr105
	s_cbranch_execz .LBB35_59
; %bb.58:
	v_div_scale_f64 v[102:103], null, v[100:101], v[100:101], v[98:99]
	v_div_scale_f64 v[108:109], vcc_lo, v[98:99], v[100:101], v[98:99]
	v_rcp_f64_e32 v[104:105], v[102:103]
	v_fma_f64 v[106:107], -v[102:103], v[104:105], 1.0
	v_fma_f64 v[104:105], v[104:105], v[106:107], v[104:105]
	v_fma_f64 v[106:107], -v[102:103], v[104:105], 1.0
	v_fma_f64 v[104:105], v[104:105], v[106:107], v[104:105]
	v_mul_f64 v[106:107], v[108:109], v[104:105]
	v_fma_f64 v[102:103], -v[102:103], v[106:107], v[108:109]
	v_div_fmas_f64 v[102:103], v[102:103], v[104:105], v[106:107]
	v_div_fixup_f64 v[102:103], v[102:103], v[100:101], v[98:99]
	v_fma_f64 v[98:99], v[98:99], v[102:103], v[100:101]
	v_div_scale_f64 v[100:101], null, v[98:99], v[98:99], 1.0
	v_rcp_f64_e32 v[104:105], v[100:101]
	v_fma_f64 v[106:107], -v[100:101], v[104:105], 1.0
	v_fma_f64 v[104:105], v[104:105], v[106:107], v[104:105]
	v_fma_f64 v[106:107], -v[100:101], v[104:105], 1.0
	v_fma_f64 v[104:105], v[104:105], v[106:107], v[104:105]
	v_div_scale_f64 v[106:107], vcc_lo, 1.0, v[98:99], 1.0
	v_mul_f64 v[108:109], v[106:107], v[104:105]
	v_fma_f64 v[100:101], -v[100:101], v[108:109], v[106:107]
	v_div_fmas_f64 v[100:101], v[100:101], v[104:105], v[108:109]
	v_div_fixup_f64 v[104:105], v[100:101], v[98:99], 1.0
                                        ; implicit-def: $vgpr98_vgpr99
	v_mul_f64 v[102:103], v[102:103], v[104:105]
	v_xor_b32_e32 v105, 0x80000000, v105
.LBB35_59:
	s_andn2_saveexec_b32 s1, s1
	s_cbranch_execz .LBB35_61
; %bb.60:
	v_div_scale_f64 v[102:103], null, v[98:99], v[98:99], v[100:101]
	v_div_scale_f64 v[108:109], vcc_lo, v[100:101], v[98:99], v[100:101]
	v_rcp_f64_e32 v[104:105], v[102:103]
	v_fma_f64 v[106:107], -v[102:103], v[104:105], 1.0
	v_fma_f64 v[104:105], v[104:105], v[106:107], v[104:105]
	v_fma_f64 v[106:107], -v[102:103], v[104:105], 1.0
	v_fma_f64 v[104:105], v[104:105], v[106:107], v[104:105]
	v_mul_f64 v[106:107], v[108:109], v[104:105]
	v_fma_f64 v[102:103], -v[102:103], v[106:107], v[108:109]
	v_div_fmas_f64 v[102:103], v[102:103], v[104:105], v[106:107]
	v_div_fixup_f64 v[104:105], v[102:103], v[98:99], v[100:101]
	v_fma_f64 v[98:99], v[100:101], v[104:105], v[98:99]
	v_div_scale_f64 v[100:101], null, v[98:99], v[98:99], 1.0
	v_rcp_f64_e32 v[102:103], v[100:101]
	v_fma_f64 v[106:107], -v[100:101], v[102:103], 1.0
	v_fma_f64 v[102:103], v[102:103], v[106:107], v[102:103]
	v_fma_f64 v[106:107], -v[100:101], v[102:103], 1.0
	v_fma_f64 v[102:103], v[102:103], v[106:107], v[102:103]
	v_div_scale_f64 v[106:107], vcc_lo, 1.0, v[98:99], 1.0
	v_mul_f64 v[108:109], v[106:107], v[102:103]
	v_fma_f64 v[100:101], -v[100:101], v[108:109], v[106:107]
	v_div_fmas_f64 v[100:101], v[100:101], v[102:103], v[108:109]
	v_div_fixup_f64 v[102:103], v[100:101], v[98:99], 1.0
	v_mul_f64 v[104:105], v[104:105], -v[102:103]
.LBB35_61:
	s_or_b32 exec_lo, exec_lo, s1
	ds_write2_b64 v1, v[102:103], v[104:105] offset1:1
.LBB35_62:
	s_or_b32 exec_lo, exec_lo, s2
	s_waitcnt lgkmcnt(0)
	s_barrier
	buffer_gl0_inv
	ds_read2_b64 v[98:101], v1 offset1:1
	s_mov_b32 s1, exec_lo
	v_cmpx_lt_u32_e32 6, v0
	s_cbranch_execz .LBB35_64
; %bb.63:
	s_waitcnt lgkmcnt(0)
	v_mul_f64 v[102:103], v[98:99], v[56:57]
	v_mul_f64 v[56:57], v[100:101], v[56:57]
	v_fma_f64 v[185:186], v[100:101], v[54:55], v[102:103]
	ds_read2_b64 v[102:105], v184 offset0:14 offset1:15
	ds_read2_b64 v[106:109], v184 offset0:16 offset1:17
	;; [unrolled: 1-line block ×11, first 2 shown]
	v_fma_f64 v[54:55], v[98:99], v[54:55], -v[56:57]
	s_waitcnt lgkmcnt(10)
	v_mul_f64 v[56:57], v[104:105], v[185:186]
	v_mul_f64 v[187:188], v[102:103], v[185:186]
	s_waitcnt lgkmcnt(9)
	v_mul_f64 v[189:190], v[108:109], v[185:186]
	v_mul_f64 v[191:192], v[106:107], v[185:186]
	;; [unrolled: 3-line block ×11, first 2 shown]
	v_fma_f64 v[56:57], v[102:103], v[54:55], -v[56:57]
	v_fma_f64 v[102:103], v[104:105], v[54:55], v[187:188]
	v_fma_f64 v[104:105], v[106:107], v[54:55], -v[189:190]
	v_fma_f64 v[106:107], v[108:109], v[54:55], v[191:192]
	;; [unrolled: 2-line block ×11, first 2 shown]
	v_add_f64 v[50:51], v[50:51], -v[56:57]
	v_add_f64 v[52:53], v[52:53], -v[102:103]
	v_add_f64 v[46:47], v[46:47], -v[104:105]
	v_add_f64 v[48:49], v[48:49], -v[106:107]
	v_add_f64 v[42:43], v[42:43], -v[108:109]
	v_add_f64 v[44:45], v[44:45], -v[110:111]
	v_add_f64 v[38:39], v[38:39], -v[112:113]
	v_add_f64 v[40:41], v[40:41], -v[114:115]
	v_add_f64 v[34:35], v[34:35], -v[116:117]
	v_add_f64 v[36:37], v[36:37], -v[118:119]
	v_add_f64 v[30:31], v[30:31], -v[120:121]
	v_add_f64 v[32:33], v[32:33], -v[122:123]
	v_add_f64 v[26:27], v[26:27], -v[124:125]
	v_add_f64 v[28:29], v[28:29], -v[126:127]
	v_add_f64 v[22:23], v[22:23], -v[128:129]
	v_add_f64 v[24:25], v[24:25], -v[130:131]
	v_add_f64 v[18:19], v[18:19], -v[132:133]
	v_add_f64 v[20:21], v[20:21], -v[134:135]
	v_add_f64 v[14:15], v[14:15], -v[136:137]
	v_add_f64 v[16:17], v[16:17], -v[138:139]
	v_add_f64 v[10:11], v[10:11], -v[140:141]
	v_add_f64 v[12:13], v[12:13], -v[142:143]
	v_mov_b32_e32 v56, v185
	v_mov_b32_e32 v57, v186
.LBB35_64:
	s_or_b32 exec_lo, exec_lo, s1
	s_mov_b32 s2, exec_lo
	s_waitcnt lgkmcnt(0)
	s_barrier
	buffer_gl0_inv
	v_cmpx_eq_u32_e32 7, v0
	s_cbranch_execz .LBB35_71
; %bb.65:
	ds_write2_b64 v1, v[50:51], v[52:53] offset1:1
	ds_write2_b64 v184, v[46:47], v[48:49] offset0:16 offset1:17
	ds_write2_b64 v184, v[42:43], v[44:45] offset0:18 offset1:19
	;; [unrolled: 1-line block ×10, first 2 shown]
	ds_read2_b64 v[102:105], v1 offset1:1
	s_waitcnt lgkmcnt(0)
	v_cmp_neq_f64_e32 vcc_lo, 0, v[102:103]
	v_cmp_neq_f64_e64 s1, 0, v[104:105]
	s_or_b32 s1, vcc_lo, s1
	s_and_b32 exec_lo, exec_lo, s1
	s_cbranch_execz .LBB35_71
; %bb.66:
	v_cmp_ngt_f64_e64 s1, |v[102:103]|, |v[104:105]|
                                        ; implicit-def: $vgpr106_vgpr107
	s_and_saveexec_b32 s3, s1
	s_xor_b32 s1, exec_lo, s3
                                        ; implicit-def: $vgpr108_vgpr109
	s_cbranch_execz .LBB35_68
; %bb.67:
	v_div_scale_f64 v[106:107], null, v[104:105], v[104:105], v[102:103]
	v_div_scale_f64 v[112:113], vcc_lo, v[102:103], v[104:105], v[102:103]
	v_rcp_f64_e32 v[108:109], v[106:107]
	v_fma_f64 v[110:111], -v[106:107], v[108:109], 1.0
	v_fma_f64 v[108:109], v[108:109], v[110:111], v[108:109]
	v_fma_f64 v[110:111], -v[106:107], v[108:109], 1.0
	v_fma_f64 v[108:109], v[108:109], v[110:111], v[108:109]
	v_mul_f64 v[110:111], v[112:113], v[108:109]
	v_fma_f64 v[106:107], -v[106:107], v[110:111], v[112:113]
	v_div_fmas_f64 v[106:107], v[106:107], v[108:109], v[110:111]
	v_div_fixup_f64 v[106:107], v[106:107], v[104:105], v[102:103]
	v_fma_f64 v[102:103], v[102:103], v[106:107], v[104:105]
	v_div_scale_f64 v[104:105], null, v[102:103], v[102:103], 1.0
	v_rcp_f64_e32 v[108:109], v[104:105]
	v_fma_f64 v[110:111], -v[104:105], v[108:109], 1.0
	v_fma_f64 v[108:109], v[108:109], v[110:111], v[108:109]
	v_fma_f64 v[110:111], -v[104:105], v[108:109], 1.0
	v_fma_f64 v[108:109], v[108:109], v[110:111], v[108:109]
	v_div_scale_f64 v[110:111], vcc_lo, 1.0, v[102:103], 1.0
	v_mul_f64 v[112:113], v[110:111], v[108:109]
	v_fma_f64 v[104:105], -v[104:105], v[112:113], v[110:111]
	v_div_fmas_f64 v[104:105], v[104:105], v[108:109], v[112:113]
	v_div_fixup_f64 v[108:109], v[104:105], v[102:103], 1.0
                                        ; implicit-def: $vgpr102_vgpr103
	v_mul_f64 v[106:107], v[106:107], v[108:109]
	v_xor_b32_e32 v109, 0x80000000, v109
.LBB35_68:
	s_andn2_saveexec_b32 s1, s1
	s_cbranch_execz .LBB35_70
; %bb.69:
	v_div_scale_f64 v[106:107], null, v[102:103], v[102:103], v[104:105]
	v_div_scale_f64 v[112:113], vcc_lo, v[104:105], v[102:103], v[104:105]
	v_rcp_f64_e32 v[108:109], v[106:107]
	v_fma_f64 v[110:111], -v[106:107], v[108:109], 1.0
	v_fma_f64 v[108:109], v[108:109], v[110:111], v[108:109]
	v_fma_f64 v[110:111], -v[106:107], v[108:109], 1.0
	v_fma_f64 v[108:109], v[108:109], v[110:111], v[108:109]
	v_mul_f64 v[110:111], v[112:113], v[108:109]
	v_fma_f64 v[106:107], -v[106:107], v[110:111], v[112:113]
	v_div_fmas_f64 v[106:107], v[106:107], v[108:109], v[110:111]
	v_div_fixup_f64 v[108:109], v[106:107], v[102:103], v[104:105]
	v_fma_f64 v[102:103], v[104:105], v[108:109], v[102:103]
	v_div_scale_f64 v[104:105], null, v[102:103], v[102:103], 1.0
	v_rcp_f64_e32 v[106:107], v[104:105]
	v_fma_f64 v[110:111], -v[104:105], v[106:107], 1.0
	v_fma_f64 v[106:107], v[106:107], v[110:111], v[106:107]
	v_fma_f64 v[110:111], -v[104:105], v[106:107], 1.0
	v_fma_f64 v[106:107], v[106:107], v[110:111], v[106:107]
	v_div_scale_f64 v[110:111], vcc_lo, 1.0, v[102:103], 1.0
	v_mul_f64 v[112:113], v[110:111], v[106:107]
	v_fma_f64 v[104:105], -v[104:105], v[112:113], v[110:111]
	v_div_fmas_f64 v[104:105], v[104:105], v[106:107], v[112:113]
	v_div_fixup_f64 v[106:107], v[104:105], v[102:103], 1.0
	v_mul_f64 v[108:109], v[108:109], -v[106:107]
.LBB35_70:
	s_or_b32 exec_lo, exec_lo, s1
	ds_write2_b64 v1, v[106:107], v[108:109] offset1:1
.LBB35_71:
	s_or_b32 exec_lo, exec_lo, s2
	s_waitcnt lgkmcnt(0)
	s_barrier
	buffer_gl0_inv
	ds_read2_b64 v[102:105], v1 offset1:1
	s_mov_b32 s1, exec_lo
	v_cmpx_lt_u32_e32 7, v0
	s_cbranch_execz .LBB35_73
; %bb.72:
	s_waitcnt lgkmcnt(0)
	v_mul_f64 v[106:107], v[102:103], v[52:53]
	v_mul_f64 v[52:53], v[104:105], v[52:53]
	v_fma_f64 v[185:186], v[104:105], v[50:51], v[106:107]
	ds_read2_b64 v[106:109], v184 offset0:16 offset1:17
	ds_read2_b64 v[110:113], v184 offset0:18 offset1:19
	;; [unrolled: 1-line block ×10, first 2 shown]
	v_fma_f64 v[50:51], v[102:103], v[50:51], -v[52:53]
	s_waitcnt lgkmcnt(9)
	v_mul_f64 v[52:53], v[108:109], v[185:186]
	v_mul_f64 v[187:188], v[106:107], v[185:186]
	s_waitcnt lgkmcnt(8)
	v_mul_f64 v[189:190], v[112:113], v[185:186]
	v_mul_f64 v[191:192], v[110:111], v[185:186]
	;; [unrolled: 3-line block ×10, first 2 shown]
	v_fma_f64 v[52:53], v[106:107], v[50:51], -v[52:53]
	v_fma_f64 v[106:107], v[108:109], v[50:51], v[187:188]
	v_fma_f64 v[108:109], v[110:111], v[50:51], -v[189:190]
	v_fma_f64 v[110:111], v[112:113], v[50:51], v[191:192]
	;; [unrolled: 2-line block ×10, first 2 shown]
	v_add_f64 v[46:47], v[46:47], -v[52:53]
	v_add_f64 v[48:49], v[48:49], -v[106:107]
	v_add_f64 v[42:43], v[42:43], -v[108:109]
	v_add_f64 v[44:45], v[44:45], -v[110:111]
	v_add_f64 v[38:39], v[38:39], -v[112:113]
	v_add_f64 v[40:41], v[40:41], -v[114:115]
	v_add_f64 v[34:35], v[34:35], -v[116:117]
	v_add_f64 v[36:37], v[36:37], -v[118:119]
	v_add_f64 v[30:31], v[30:31], -v[120:121]
	v_add_f64 v[32:33], v[32:33], -v[122:123]
	v_add_f64 v[26:27], v[26:27], -v[124:125]
	v_add_f64 v[28:29], v[28:29], -v[126:127]
	v_add_f64 v[22:23], v[22:23], -v[128:129]
	v_add_f64 v[24:25], v[24:25], -v[130:131]
	v_add_f64 v[18:19], v[18:19], -v[132:133]
	v_add_f64 v[20:21], v[20:21], -v[134:135]
	v_add_f64 v[14:15], v[14:15], -v[136:137]
	v_add_f64 v[16:17], v[16:17], -v[138:139]
	v_add_f64 v[10:11], v[10:11], -v[140:141]
	v_add_f64 v[12:13], v[12:13], -v[142:143]
	v_mov_b32_e32 v52, v185
	v_mov_b32_e32 v53, v186
.LBB35_73:
	s_or_b32 exec_lo, exec_lo, s1
	s_mov_b32 s2, exec_lo
	s_waitcnt lgkmcnt(0)
	s_barrier
	buffer_gl0_inv
	v_cmpx_eq_u32_e32 8, v0
	s_cbranch_execz .LBB35_80
; %bb.74:
	ds_write2_b64 v1, v[46:47], v[48:49] offset1:1
	ds_write2_b64 v184, v[42:43], v[44:45] offset0:18 offset1:19
	ds_write2_b64 v184, v[38:39], v[40:41] offset0:20 offset1:21
	;; [unrolled: 1-line block ×9, first 2 shown]
	ds_read2_b64 v[106:109], v1 offset1:1
	s_waitcnt lgkmcnt(0)
	v_cmp_neq_f64_e32 vcc_lo, 0, v[106:107]
	v_cmp_neq_f64_e64 s1, 0, v[108:109]
	s_or_b32 s1, vcc_lo, s1
	s_and_b32 exec_lo, exec_lo, s1
	s_cbranch_execz .LBB35_80
; %bb.75:
	v_cmp_ngt_f64_e64 s1, |v[106:107]|, |v[108:109]|
                                        ; implicit-def: $vgpr110_vgpr111
	s_and_saveexec_b32 s3, s1
	s_xor_b32 s1, exec_lo, s3
                                        ; implicit-def: $vgpr112_vgpr113
	s_cbranch_execz .LBB35_77
; %bb.76:
	v_div_scale_f64 v[110:111], null, v[108:109], v[108:109], v[106:107]
	v_div_scale_f64 v[116:117], vcc_lo, v[106:107], v[108:109], v[106:107]
	v_rcp_f64_e32 v[112:113], v[110:111]
	v_fma_f64 v[114:115], -v[110:111], v[112:113], 1.0
	v_fma_f64 v[112:113], v[112:113], v[114:115], v[112:113]
	v_fma_f64 v[114:115], -v[110:111], v[112:113], 1.0
	v_fma_f64 v[112:113], v[112:113], v[114:115], v[112:113]
	v_mul_f64 v[114:115], v[116:117], v[112:113]
	v_fma_f64 v[110:111], -v[110:111], v[114:115], v[116:117]
	v_div_fmas_f64 v[110:111], v[110:111], v[112:113], v[114:115]
	v_div_fixup_f64 v[110:111], v[110:111], v[108:109], v[106:107]
	v_fma_f64 v[106:107], v[106:107], v[110:111], v[108:109]
	v_div_scale_f64 v[108:109], null, v[106:107], v[106:107], 1.0
	v_rcp_f64_e32 v[112:113], v[108:109]
	v_fma_f64 v[114:115], -v[108:109], v[112:113], 1.0
	v_fma_f64 v[112:113], v[112:113], v[114:115], v[112:113]
	v_fma_f64 v[114:115], -v[108:109], v[112:113], 1.0
	v_fma_f64 v[112:113], v[112:113], v[114:115], v[112:113]
	v_div_scale_f64 v[114:115], vcc_lo, 1.0, v[106:107], 1.0
	v_mul_f64 v[116:117], v[114:115], v[112:113]
	v_fma_f64 v[108:109], -v[108:109], v[116:117], v[114:115]
	v_div_fmas_f64 v[108:109], v[108:109], v[112:113], v[116:117]
	v_div_fixup_f64 v[112:113], v[108:109], v[106:107], 1.0
                                        ; implicit-def: $vgpr106_vgpr107
	v_mul_f64 v[110:111], v[110:111], v[112:113]
	v_xor_b32_e32 v113, 0x80000000, v113
.LBB35_77:
	s_andn2_saveexec_b32 s1, s1
	s_cbranch_execz .LBB35_79
; %bb.78:
	v_div_scale_f64 v[110:111], null, v[106:107], v[106:107], v[108:109]
	v_div_scale_f64 v[116:117], vcc_lo, v[108:109], v[106:107], v[108:109]
	v_rcp_f64_e32 v[112:113], v[110:111]
	v_fma_f64 v[114:115], -v[110:111], v[112:113], 1.0
	v_fma_f64 v[112:113], v[112:113], v[114:115], v[112:113]
	v_fma_f64 v[114:115], -v[110:111], v[112:113], 1.0
	v_fma_f64 v[112:113], v[112:113], v[114:115], v[112:113]
	v_mul_f64 v[114:115], v[116:117], v[112:113]
	v_fma_f64 v[110:111], -v[110:111], v[114:115], v[116:117]
	v_div_fmas_f64 v[110:111], v[110:111], v[112:113], v[114:115]
	v_div_fixup_f64 v[112:113], v[110:111], v[106:107], v[108:109]
	v_fma_f64 v[106:107], v[108:109], v[112:113], v[106:107]
	v_div_scale_f64 v[108:109], null, v[106:107], v[106:107], 1.0
	v_rcp_f64_e32 v[110:111], v[108:109]
	v_fma_f64 v[114:115], -v[108:109], v[110:111], 1.0
	v_fma_f64 v[110:111], v[110:111], v[114:115], v[110:111]
	v_fma_f64 v[114:115], -v[108:109], v[110:111], 1.0
	v_fma_f64 v[110:111], v[110:111], v[114:115], v[110:111]
	v_div_scale_f64 v[114:115], vcc_lo, 1.0, v[106:107], 1.0
	v_mul_f64 v[116:117], v[114:115], v[110:111]
	v_fma_f64 v[108:109], -v[108:109], v[116:117], v[114:115]
	v_div_fmas_f64 v[108:109], v[108:109], v[110:111], v[116:117]
	v_div_fixup_f64 v[110:111], v[108:109], v[106:107], 1.0
	v_mul_f64 v[112:113], v[112:113], -v[110:111]
.LBB35_79:
	s_or_b32 exec_lo, exec_lo, s1
	ds_write2_b64 v1, v[110:111], v[112:113] offset1:1
.LBB35_80:
	s_or_b32 exec_lo, exec_lo, s2
	s_waitcnt lgkmcnt(0)
	s_barrier
	buffer_gl0_inv
	ds_read2_b64 v[106:109], v1 offset1:1
	s_mov_b32 s1, exec_lo
	v_cmpx_lt_u32_e32 8, v0
	s_cbranch_execz .LBB35_82
; %bb.81:
	s_waitcnt lgkmcnt(0)
	v_mul_f64 v[110:111], v[106:107], v[48:49]
	v_mul_f64 v[48:49], v[108:109], v[48:49]
	v_fma_f64 v[185:186], v[108:109], v[46:47], v[110:111]
	ds_read2_b64 v[110:113], v184 offset0:18 offset1:19
	ds_read2_b64 v[114:117], v184 offset0:20 offset1:21
	;; [unrolled: 1-line block ×9, first 2 shown]
	v_fma_f64 v[46:47], v[106:107], v[46:47], -v[48:49]
	s_waitcnt lgkmcnt(8)
	v_mul_f64 v[48:49], v[112:113], v[185:186]
	v_mul_f64 v[187:188], v[110:111], v[185:186]
	s_waitcnt lgkmcnt(7)
	v_mul_f64 v[189:190], v[116:117], v[185:186]
	v_mul_f64 v[191:192], v[114:115], v[185:186]
	s_waitcnt lgkmcnt(6)
	v_mul_f64 v[193:194], v[120:121], v[185:186]
	v_mul_f64 v[195:196], v[118:119], v[185:186]
	s_waitcnt lgkmcnt(5)
	v_mul_f64 v[197:198], v[124:125], v[185:186]
	v_mul_f64 v[199:200], v[122:123], v[185:186]
	s_waitcnt lgkmcnt(4)
	v_mul_f64 v[201:202], v[128:129], v[185:186]
	v_mul_f64 v[203:204], v[126:127], v[185:186]
	s_waitcnt lgkmcnt(3)
	v_mul_f64 v[205:206], v[132:133], v[185:186]
	v_mul_f64 v[207:208], v[130:131], v[185:186]
	s_waitcnt lgkmcnt(2)
	v_mul_f64 v[209:210], v[136:137], v[185:186]
	v_mul_f64 v[211:212], v[134:135], v[185:186]
	s_waitcnt lgkmcnt(1)
	v_mul_f64 v[213:214], v[140:141], v[185:186]
	v_mul_f64 v[215:216], v[138:139], v[185:186]
	s_waitcnt lgkmcnt(0)
	v_mul_f64 v[217:218], v[144:145], v[185:186]
	v_mul_f64 v[219:220], v[142:143], v[185:186]
	v_fma_f64 v[48:49], v[110:111], v[46:47], -v[48:49]
	v_fma_f64 v[110:111], v[112:113], v[46:47], v[187:188]
	v_fma_f64 v[112:113], v[114:115], v[46:47], -v[189:190]
	v_fma_f64 v[114:115], v[116:117], v[46:47], v[191:192]
	;; [unrolled: 2-line block ×9, first 2 shown]
	v_add_f64 v[42:43], v[42:43], -v[48:49]
	v_add_f64 v[44:45], v[44:45], -v[110:111]
	;; [unrolled: 1-line block ×18, first 2 shown]
	v_mov_b32_e32 v48, v185
	v_mov_b32_e32 v49, v186
.LBB35_82:
	s_or_b32 exec_lo, exec_lo, s1
	s_mov_b32 s2, exec_lo
	s_waitcnt lgkmcnt(0)
	s_barrier
	buffer_gl0_inv
	v_cmpx_eq_u32_e32 9, v0
	s_cbranch_execz .LBB35_89
; %bb.83:
	ds_write2_b64 v1, v[42:43], v[44:45] offset1:1
	ds_write2_b64 v184, v[38:39], v[40:41] offset0:20 offset1:21
	ds_write2_b64 v184, v[34:35], v[36:37] offset0:22 offset1:23
	;; [unrolled: 1-line block ×8, first 2 shown]
	ds_read2_b64 v[110:113], v1 offset1:1
	s_waitcnt lgkmcnt(0)
	v_cmp_neq_f64_e32 vcc_lo, 0, v[110:111]
	v_cmp_neq_f64_e64 s1, 0, v[112:113]
	s_or_b32 s1, vcc_lo, s1
	s_and_b32 exec_lo, exec_lo, s1
	s_cbranch_execz .LBB35_89
; %bb.84:
	v_cmp_ngt_f64_e64 s1, |v[110:111]|, |v[112:113]|
                                        ; implicit-def: $vgpr114_vgpr115
	s_and_saveexec_b32 s3, s1
	s_xor_b32 s1, exec_lo, s3
                                        ; implicit-def: $vgpr116_vgpr117
	s_cbranch_execz .LBB35_86
; %bb.85:
	v_div_scale_f64 v[114:115], null, v[112:113], v[112:113], v[110:111]
	v_div_scale_f64 v[120:121], vcc_lo, v[110:111], v[112:113], v[110:111]
	v_rcp_f64_e32 v[116:117], v[114:115]
	v_fma_f64 v[118:119], -v[114:115], v[116:117], 1.0
	v_fma_f64 v[116:117], v[116:117], v[118:119], v[116:117]
	v_fma_f64 v[118:119], -v[114:115], v[116:117], 1.0
	v_fma_f64 v[116:117], v[116:117], v[118:119], v[116:117]
	v_mul_f64 v[118:119], v[120:121], v[116:117]
	v_fma_f64 v[114:115], -v[114:115], v[118:119], v[120:121]
	v_div_fmas_f64 v[114:115], v[114:115], v[116:117], v[118:119]
	v_div_fixup_f64 v[114:115], v[114:115], v[112:113], v[110:111]
	v_fma_f64 v[110:111], v[110:111], v[114:115], v[112:113]
	v_div_scale_f64 v[112:113], null, v[110:111], v[110:111], 1.0
	v_rcp_f64_e32 v[116:117], v[112:113]
	v_fma_f64 v[118:119], -v[112:113], v[116:117], 1.0
	v_fma_f64 v[116:117], v[116:117], v[118:119], v[116:117]
	v_fma_f64 v[118:119], -v[112:113], v[116:117], 1.0
	v_fma_f64 v[116:117], v[116:117], v[118:119], v[116:117]
	v_div_scale_f64 v[118:119], vcc_lo, 1.0, v[110:111], 1.0
	v_mul_f64 v[120:121], v[118:119], v[116:117]
	v_fma_f64 v[112:113], -v[112:113], v[120:121], v[118:119]
	v_div_fmas_f64 v[112:113], v[112:113], v[116:117], v[120:121]
	v_div_fixup_f64 v[116:117], v[112:113], v[110:111], 1.0
                                        ; implicit-def: $vgpr110_vgpr111
	v_mul_f64 v[114:115], v[114:115], v[116:117]
	v_xor_b32_e32 v117, 0x80000000, v117
.LBB35_86:
	s_andn2_saveexec_b32 s1, s1
	s_cbranch_execz .LBB35_88
; %bb.87:
	v_div_scale_f64 v[114:115], null, v[110:111], v[110:111], v[112:113]
	v_div_scale_f64 v[120:121], vcc_lo, v[112:113], v[110:111], v[112:113]
	v_rcp_f64_e32 v[116:117], v[114:115]
	v_fma_f64 v[118:119], -v[114:115], v[116:117], 1.0
	v_fma_f64 v[116:117], v[116:117], v[118:119], v[116:117]
	v_fma_f64 v[118:119], -v[114:115], v[116:117], 1.0
	v_fma_f64 v[116:117], v[116:117], v[118:119], v[116:117]
	v_mul_f64 v[118:119], v[120:121], v[116:117]
	v_fma_f64 v[114:115], -v[114:115], v[118:119], v[120:121]
	v_div_fmas_f64 v[114:115], v[114:115], v[116:117], v[118:119]
	v_div_fixup_f64 v[116:117], v[114:115], v[110:111], v[112:113]
	v_fma_f64 v[110:111], v[112:113], v[116:117], v[110:111]
	v_div_scale_f64 v[112:113], null, v[110:111], v[110:111], 1.0
	v_rcp_f64_e32 v[114:115], v[112:113]
	v_fma_f64 v[118:119], -v[112:113], v[114:115], 1.0
	v_fma_f64 v[114:115], v[114:115], v[118:119], v[114:115]
	v_fma_f64 v[118:119], -v[112:113], v[114:115], 1.0
	v_fma_f64 v[114:115], v[114:115], v[118:119], v[114:115]
	v_div_scale_f64 v[118:119], vcc_lo, 1.0, v[110:111], 1.0
	v_mul_f64 v[120:121], v[118:119], v[114:115]
	v_fma_f64 v[112:113], -v[112:113], v[120:121], v[118:119]
	v_div_fmas_f64 v[112:113], v[112:113], v[114:115], v[120:121]
	v_div_fixup_f64 v[114:115], v[112:113], v[110:111], 1.0
	v_mul_f64 v[116:117], v[116:117], -v[114:115]
.LBB35_88:
	s_or_b32 exec_lo, exec_lo, s1
	ds_write2_b64 v1, v[114:115], v[116:117] offset1:1
.LBB35_89:
	s_or_b32 exec_lo, exec_lo, s2
	s_waitcnt lgkmcnt(0)
	s_barrier
	buffer_gl0_inv
	ds_read2_b64 v[110:113], v1 offset1:1
	s_mov_b32 s1, exec_lo
	v_cmpx_lt_u32_e32 9, v0
	s_cbranch_execz .LBB35_91
; %bb.90:
	s_waitcnt lgkmcnt(0)
	v_mul_f64 v[114:115], v[110:111], v[44:45]
	v_mul_f64 v[44:45], v[112:113], v[44:45]
	v_fma_f64 v[185:186], v[112:113], v[42:43], v[114:115]
	ds_read2_b64 v[114:117], v184 offset0:20 offset1:21
	ds_read2_b64 v[118:121], v184 offset0:22 offset1:23
	;; [unrolled: 1-line block ×8, first 2 shown]
	v_fma_f64 v[42:43], v[110:111], v[42:43], -v[44:45]
	s_waitcnt lgkmcnt(7)
	v_mul_f64 v[44:45], v[116:117], v[185:186]
	v_mul_f64 v[187:188], v[114:115], v[185:186]
	s_waitcnt lgkmcnt(6)
	v_mul_f64 v[189:190], v[120:121], v[185:186]
	v_mul_f64 v[191:192], v[118:119], v[185:186]
	;; [unrolled: 3-line block ×8, first 2 shown]
	v_fma_f64 v[44:45], v[114:115], v[42:43], -v[44:45]
	v_fma_f64 v[114:115], v[116:117], v[42:43], v[187:188]
	v_fma_f64 v[116:117], v[118:119], v[42:43], -v[189:190]
	v_fma_f64 v[118:119], v[120:121], v[42:43], v[191:192]
	;; [unrolled: 2-line block ×8, first 2 shown]
	v_add_f64 v[38:39], v[38:39], -v[44:45]
	v_add_f64 v[40:41], v[40:41], -v[114:115]
	;; [unrolled: 1-line block ×16, first 2 shown]
	v_mov_b32_e32 v44, v185
	v_mov_b32_e32 v45, v186
.LBB35_91:
	s_or_b32 exec_lo, exec_lo, s1
	s_mov_b32 s2, exec_lo
	s_waitcnt lgkmcnt(0)
	s_barrier
	buffer_gl0_inv
	v_cmpx_eq_u32_e32 10, v0
	s_cbranch_execz .LBB35_98
; %bb.92:
	ds_write2_b64 v1, v[38:39], v[40:41] offset1:1
	ds_write2_b64 v184, v[34:35], v[36:37] offset0:22 offset1:23
	ds_write2_b64 v184, v[30:31], v[32:33] offset0:24 offset1:25
	;; [unrolled: 1-line block ×7, first 2 shown]
	ds_read2_b64 v[114:117], v1 offset1:1
	s_waitcnt lgkmcnt(0)
	v_cmp_neq_f64_e32 vcc_lo, 0, v[114:115]
	v_cmp_neq_f64_e64 s1, 0, v[116:117]
	s_or_b32 s1, vcc_lo, s1
	s_and_b32 exec_lo, exec_lo, s1
	s_cbranch_execz .LBB35_98
; %bb.93:
	v_cmp_ngt_f64_e64 s1, |v[114:115]|, |v[116:117]|
                                        ; implicit-def: $vgpr118_vgpr119
	s_and_saveexec_b32 s3, s1
	s_xor_b32 s1, exec_lo, s3
                                        ; implicit-def: $vgpr120_vgpr121
	s_cbranch_execz .LBB35_95
; %bb.94:
	v_div_scale_f64 v[118:119], null, v[116:117], v[116:117], v[114:115]
	v_div_scale_f64 v[124:125], vcc_lo, v[114:115], v[116:117], v[114:115]
	v_rcp_f64_e32 v[120:121], v[118:119]
	v_fma_f64 v[122:123], -v[118:119], v[120:121], 1.0
	v_fma_f64 v[120:121], v[120:121], v[122:123], v[120:121]
	v_fma_f64 v[122:123], -v[118:119], v[120:121], 1.0
	v_fma_f64 v[120:121], v[120:121], v[122:123], v[120:121]
	v_mul_f64 v[122:123], v[124:125], v[120:121]
	v_fma_f64 v[118:119], -v[118:119], v[122:123], v[124:125]
	v_div_fmas_f64 v[118:119], v[118:119], v[120:121], v[122:123]
	v_div_fixup_f64 v[118:119], v[118:119], v[116:117], v[114:115]
	v_fma_f64 v[114:115], v[114:115], v[118:119], v[116:117]
	v_div_scale_f64 v[116:117], null, v[114:115], v[114:115], 1.0
	v_rcp_f64_e32 v[120:121], v[116:117]
	v_fma_f64 v[122:123], -v[116:117], v[120:121], 1.0
	v_fma_f64 v[120:121], v[120:121], v[122:123], v[120:121]
	v_fma_f64 v[122:123], -v[116:117], v[120:121], 1.0
	v_fma_f64 v[120:121], v[120:121], v[122:123], v[120:121]
	v_div_scale_f64 v[122:123], vcc_lo, 1.0, v[114:115], 1.0
	v_mul_f64 v[124:125], v[122:123], v[120:121]
	v_fma_f64 v[116:117], -v[116:117], v[124:125], v[122:123]
	v_div_fmas_f64 v[116:117], v[116:117], v[120:121], v[124:125]
	v_div_fixup_f64 v[120:121], v[116:117], v[114:115], 1.0
                                        ; implicit-def: $vgpr114_vgpr115
	v_mul_f64 v[118:119], v[118:119], v[120:121]
	v_xor_b32_e32 v121, 0x80000000, v121
.LBB35_95:
	s_andn2_saveexec_b32 s1, s1
	s_cbranch_execz .LBB35_97
; %bb.96:
	v_div_scale_f64 v[118:119], null, v[114:115], v[114:115], v[116:117]
	v_div_scale_f64 v[124:125], vcc_lo, v[116:117], v[114:115], v[116:117]
	v_rcp_f64_e32 v[120:121], v[118:119]
	v_fma_f64 v[122:123], -v[118:119], v[120:121], 1.0
	v_fma_f64 v[120:121], v[120:121], v[122:123], v[120:121]
	v_fma_f64 v[122:123], -v[118:119], v[120:121], 1.0
	v_fma_f64 v[120:121], v[120:121], v[122:123], v[120:121]
	v_mul_f64 v[122:123], v[124:125], v[120:121]
	v_fma_f64 v[118:119], -v[118:119], v[122:123], v[124:125]
	v_div_fmas_f64 v[118:119], v[118:119], v[120:121], v[122:123]
	v_div_fixup_f64 v[120:121], v[118:119], v[114:115], v[116:117]
	v_fma_f64 v[114:115], v[116:117], v[120:121], v[114:115]
	v_div_scale_f64 v[116:117], null, v[114:115], v[114:115], 1.0
	v_rcp_f64_e32 v[118:119], v[116:117]
	v_fma_f64 v[122:123], -v[116:117], v[118:119], 1.0
	v_fma_f64 v[118:119], v[118:119], v[122:123], v[118:119]
	v_fma_f64 v[122:123], -v[116:117], v[118:119], 1.0
	v_fma_f64 v[118:119], v[118:119], v[122:123], v[118:119]
	v_div_scale_f64 v[122:123], vcc_lo, 1.0, v[114:115], 1.0
	v_mul_f64 v[124:125], v[122:123], v[118:119]
	v_fma_f64 v[116:117], -v[116:117], v[124:125], v[122:123]
	v_div_fmas_f64 v[116:117], v[116:117], v[118:119], v[124:125]
	v_div_fixup_f64 v[118:119], v[116:117], v[114:115], 1.0
	v_mul_f64 v[120:121], v[120:121], -v[118:119]
.LBB35_97:
	s_or_b32 exec_lo, exec_lo, s1
	ds_write2_b64 v1, v[118:119], v[120:121] offset1:1
.LBB35_98:
	s_or_b32 exec_lo, exec_lo, s2
	s_waitcnt lgkmcnt(0)
	s_barrier
	buffer_gl0_inv
	ds_read2_b64 v[114:117], v1 offset1:1
	s_mov_b32 s1, exec_lo
	v_cmpx_lt_u32_e32 10, v0
	s_cbranch_execz .LBB35_100
; %bb.99:
	s_waitcnt lgkmcnt(0)
	v_mul_f64 v[118:119], v[114:115], v[40:41]
	v_mul_f64 v[40:41], v[116:117], v[40:41]
	v_fma_f64 v[185:186], v[116:117], v[38:39], v[118:119]
	ds_read2_b64 v[118:121], v184 offset0:22 offset1:23
	ds_read2_b64 v[122:125], v184 offset0:24 offset1:25
	;; [unrolled: 1-line block ×7, first 2 shown]
	v_fma_f64 v[38:39], v[114:115], v[38:39], -v[40:41]
	s_waitcnt lgkmcnt(6)
	v_mul_f64 v[40:41], v[120:121], v[185:186]
	v_mul_f64 v[187:188], v[118:119], v[185:186]
	s_waitcnt lgkmcnt(5)
	v_mul_f64 v[189:190], v[124:125], v[185:186]
	v_mul_f64 v[191:192], v[122:123], v[185:186]
	;; [unrolled: 3-line block ×7, first 2 shown]
	v_fma_f64 v[40:41], v[118:119], v[38:39], -v[40:41]
	v_fma_f64 v[118:119], v[120:121], v[38:39], v[187:188]
	v_fma_f64 v[120:121], v[122:123], v[38:39], -v[189:190]
	v_fma_f64 v[122:123], v[124:125], v[38:39], v[191:192]
	;; [unrolled: 2-line block ×7, first 2 shown]
	v_add_f64 v[34:35], v[34:35], -v[40:41]
	v_add_f64 v[36:37], v[36:37], -v[118:119]
	;; [unrolled: 1-line block ×14, first 2 shown]
	v_mov_b32_e32 v40, v185
	v_mov_b32_e32 v41, v186
.LBB35_100:
	s_or_b32 exec_lo, exec_lo, s1
	s_mov_b32 s2, exec_lo
	s_waitcnt lgkmcnt(0)
	s_barrier
	buffer_gl0_inv
	v_cmpx_eq_u32_e32 11, v0
	s_cbranch_execz .LBB35_107
; %bb.101:
	ds_write2_b64 v1, v[34:35], v[36:37] offset1:1
	ds_write2_b64 v184, v[30:31], v[32:33] offset0:24 offset1:25
	ds_write2_b64 v184, v[26:27], v[28:29] offset0:26 offset1:27
	;; [unrolled: 1-line block ×6, first 2 shown]
	ds_read2_b64 v[118:121], v1 offset1:1
	s_waitcnt lgkmcnt(0)
	v_cmp_neq_f64_e32 vcc_lo, 0, v[118:119]
	v_cmp_neq_f64_e64 s1, 0, v[120:121]
	s_or_b32 s1, vcc_lo, s1
	s_and_b32 exec_lo, exec_lo, s1
	s_cbranch_execz .LBB35_107
; %bb.102:
	v_cmp_ngt_f64_e64 s1, |v[118:119]|, |v[120:121]|
                                        ; implicit-def: $vgpr122_vgpr123
	s_and_saveexec_b32 s3, s1
	s_xor_b32 s1, exec_lo, s3
                                        ; implicit-def: $vgpr124_vgpr125
	s_cbranch_execz .LBB35_104
; %bb.103:
	v_div_scale_f64 v[122:123], null, v[120:121], v[120:121], v[118:119]
	v_div_scale_f64 v[128:129], vcc_lo, v[118:119], v[120:121], v[118:119]
	v_rcp_f64_e32 v[124:125], v[122:123]
	v_fma_f64 v[126:127], -v[122:123], v[124:125], 1.0
	v_fma_f64 v[124:125], v[124:125], v[126:127], v[124:125]
	v_fma_f64 v[126:127], -v[122:123], v[124:125], 1.0
	v_fma_f64 v[124:125], v[124:125], v[126:127], v[124:125]
	v_mul_f64 v[126:127], v[128:129], v[124:125]
	v_fma_f64 v[122:123], -v[122:123], v[126:127], v[128:129]
	v_div_fmas_f64 v[122:123], v[122:123], v[124:125], v[126:127]
	v_div_fixup_f64 v[122:123], v[122:123], v[120:121], v[118:119]
	v_fma_f64 v[118:119], v[118:119], v[122:123], v[120:121]
	v_div_scale_f64 v[120:121], null, v[118:119], v[118:119], 1.0
	v_rcp_f64_e32 v[124:125], v[120:121]
	v_fma_f64 v[126:127], -v[120:121], v[124:125], 1.0
	v_fma_f64 v[124:125], v[124:125], v[126:127], v[124:125]
	v_fma_f64 v[126:127], -v[120:121], v[124:125], 1.0
	v_fma_f64 v[124:125], v[124:125], v[126:127], v[124:125]
	v_div_scale_f64 v[126:127], vcc_lo, 1.0, v[118:119], 1.0
	v_mul_f64 v[128:129], v[126:127], v[124:125]
	v_fma_f64 v[120:121], -v[120:121], v[128:129], v[126:127]
	v_div_fmas_f64 v[120:121], v[120:121], v[124:125], v[128:129]
	v_div_fixup_f64 v[124:125], v[120:121], v[118:119], 1.0
                                        ; implicit-def: $vgpr118_vgpr119
	v_mul_f64 v[122:123], v[122:123], v[124:125]
	v_xor_b32_e32 v125, 0x80000000, v125
.LBB35_104:
	s_andn2_saveexec_b32 s1, s1
	s_cbranch_execz .LBB35_106
; %bb.105:
	v_div_scale_f64 v[122:123], null, v[118:119], v[118:119], v[120:121]
	v_div_scale_f64 v[128:129], vcc_lo, v[120:121], v[118:119], v[120:121]
	v_rcp_f64_e32 v[124:125], v[122:123]
	v_fma_f64 v[126:127], -v[122:123], v[124:125], 1.0
	v_fma_f64 v[124:125], v[124:125], v[126:127], v[124:125]
	v_fma_f64 v[126:127], -v[122:123], v[124:125], 1.0
	v_fma_f64 v[124:125], v[124:125], v[126:127], v[124:125]
	v_mul_f64 v[126:127], v[128:129], v[124:125]
	v_fma_f64 v[122:123], -v[122:123], v[126:127], v[128:129]
	v_div_fmas_f64 v[122:123], v[122:123], v[124:125], v[126:127]
	v_div_fixup_f64 v[124:125], v[122:123], v[118:119], v[120:121]
	v_fma_f64 v[118:119], v[120:121], v[124:125], v[118:119]
	v_div_scale_f64 v[120:121], null, v[118:119], v[118:119], 1.0
	v_rcp_f64_e32 v[122:123], v[120:121]
	v_fma_f64 v[126:127], -v[120:121], v[122:123], 1.0
	v_fma_f64 v[122:123], v[122:123], v[126:127], v[122:123]
	v_fma_f64 v[126:127], -v[120:121], v[122:123], 1.0
	v_fma_f64 v[122:123], v[122:123], v[126:127], v[122:123]
	v_div_scale_f64 v[126:127], vcc_lo, 1.0, v[118:119], 1.0
	v_mul_f64 v[128:129], v[126:127], v[122:123]
	v_fma_f64 v[120:121], -v[120:121], v[128:129], v[126:127]
	v_div_fmas_f64 v[120:121], v[120:121], v[122:123], v[128:129]
	v_div_fixup_f64 v[122:123], v[120:121], v[118:119], 1.0
	v_mul_f64 v[124:125], v[124:125], -v[122:123]
.LBB35_106:
	s_or_b32 exec_lo, exec_lo, s1
	ds_write2_b64 v1, v[122:123], v[124:125] offset1:1
.LBB35_107:
	s_or_b32 exec_lo, exec_lo, s2
	s_waitcnt lgkmcnt(0)
	s_barrier
	buffer_gl0_inv
	ds_read2_b64 v[118:121], v1 offset1:1
	s_mov_b32 s1, exec_lo
	v_cmpx_lt_u32_e32 11, v0
	s_cbranch_execz .LBB35_109
; %bb.108:
	s_waitcnt lgkmcnt(0)
	v_mul_f64 v[122:123], v[118:119], v[36:37]
	v_mul_f64 v[36:37], v[120:121], v[36:37]
	v_fma_f64 v[185:186], v[120:121], v[34:35], v[122:123]
	ds_read2_b64 v[122:125], v184 offset0:24 offset1:25
	ds_read2_b64 v[126:129], v184 offset0:26 offset1:27
	;; [unrolled: 1-line block ×6, first 2 shown]
	v_fma_f64 v[34:35], v[118:119], v[34:35], -v[36:37]
	s_waitcnt lgkmcnt(5)
	v_mul_f64 v[36:37], v[124:125], v[185:186]
	v_mul_f64 v[187:188], v[122:123], v[185:186]
	s_waitcnt lgkmcnt(4)
	v_mul_f64 v[189:190], v[128:129], v[185:186]
	v_mul_f64 v[191:192], v[126:127], v[185:186]
	;; [unrolled: 3-line block ×6, first 2 shown]
	v_fma_f64 v[36:37], v[122:123], v[34:35], -v[36:37]
	v_fma_f64 v[122:123], v[124:125], v[34:35], v[187:188]
	v_fma_f64 v[124:125], v[126:127], v[34:35], -v[189:190]
	v_fma_f64 v[126:127], v[128:129], v[34:35], v[191:192]
	;; [unrolled: 2-line block ×6, first 2 shown]
	v_add_f64 v[30:31], v[30:31], -v[36:37]
	v_add_f64 v[32:33], v[32:33], -v[122:123]
	;; [unrolled: 1-line block ×12, first 2 shown]
	v_mov_b32_e32 v36, v185
	v_mov_b32_e32 v37, v186
.LBB35_109:
	s_or_b32 exec_lo, exec_lo, s1
	s_mov_b32 s2, exec_lo
	s_waitcnt lgkmcnt(0)
	s_barrier
	buffer_gl0_inv
	v_cmpx_eq_u32_e32 12, v0
	s_cbranch_execz .LBB35_116
; %bb.110:
	ds_write2_b64 v1, v[30:31], v[32:33] offset1:1
	ds_write2_b64 v184, v[26:27], v[28:29] offset0:26 offset1:27
	ds_write2_b64 v184, v[22:23], v[24:25] offset0:28 offset1:29
	;; [unrolled: 1-line block ×5, first 2 shown]
	ds_read2_b64 v[122:125], v1 offset1:1
	s_waitcnt lgkmcnt(0)
	v_cmp_neq_f64_e32 vcc_lo, 0, v[122:123]
	v_cmp_neq_f64_e64 s1, 0, v[124:125]
	s_or_b32 s1, vcc_lo, s1
	s_and_b32 exec_lo, exec_lo, s1
	s_cbranch_execz .LBB35_116
; %bb.111:
	v_cmp_ngt_f64_e64 s1, |v[122:123]|, |v[124:125]|
                                        ; implicit-def: $vgpr126_vgpr127
	s_and_saveexec_b32 s3, s1
	s_xor_b32 s1, exec_lo, s3
                                        ; implicit-def: $vgpr128_vgpr129
	s_cbranch_execz .LBB35_113
; %bb.112:
	v_div_scale_f64 v[126:127], null, v[124:125], v[124:125], v[122:123]
	v_div_scale_f64 v[132:133], vcc_lo, v[122:123], v[124:125], v[122:123]
	v_rcp_f64_e32 v[128:129], v[126:127]
	v_fma_f64 v[130:131], -v[126:127], v[128:129], 1.0
	v_fma_f64 v[128:129], v[128:129], v[130:131], v[128:129]
	v_fma_f64 v[130:131], -v[126:127], v[128:129], 1.0
	v_fma_f64 v[128:129], v[128:129], v[130:131], v[128:129]
	v_mul_f64 v[130:131], v[132:133], v[128:129]
	v_fma_f64 v[126:127], -v[126:127], v[130:131], v[132:133]
	v_div_fmas_f64 v[126:127], v[126:127], v[128:129], v[130:131]
	v_div_fixup_f64 v[126:127], v[126:127], v[124:125], v[122:123]
	v_fma_f64 v[122:123], v[122:123], v[126:127], v[124:125]
	v_div_scale_f64 v[124:125], null, v[122:123], v[122:123], 1.0
	v_rcp_f64_e32 v[128:129], v[124:125]
	v_fma_f64 v[130:131], -v[124:125], v[128:129], 1.0
	v_fma_f64 v[128:129], v[128:129], v[130:131], v[128:129]
	v_fma_f64 v[130:131], -v[124:125], v[128:129], 1.0
	v_fma_f64 v[128:129], v[128:129], v[130:131], v[128:129]
	v_div_scale_f64 v[130:131], vcc_lo, 1.0, v[122:123], 1.0
	v_mul_f64 v[132:133], v[130:131], v[128:129]
	v_fma_f64 v[124:125], -v[124:125], v[132:133], v[130:131]
	v_div_fmas_f64 v[124:125], v[124:125], v[128:129], v[132:133]
	v_div_fixup_f64 v[128:129], v[124:125], v[122:123], 1.0
                                        ; implicit-def: $vgpr122_vgpr123
	v_mul_f64 v[126:127], v[126:127], v[128:129]
	v_xor_b32_e32 v129, 0x80000000, v129
.LBB35_113:
	s_andn2_saveexec_b32 s1, s1
	s_cbranch_execz .LBB35_115
; %bb.114:
	v_div_scale_f64 v[126:127], null, v[122:123], v[122:123], v[124:125]
	v_div_scale_f64 v[132:133], vcc_lo, v[124:125], v[122:123], v[124:125]
	v_rcp_f64_e32 v[128:129], v[126:127]
	v_fma_f64 v[130:131], -v[126:127], v[128:129], 1.0
	v_fma_f64 v[128:129], v[128:129], v[130:131], v[128:129]
	v_fma_f64 v[130:131], -v[126:127], v[128:129], 1.0
	v_fma_f64 v[128:129], v[128:129], v[130:131], v[128:129]
	v_mul_f64 v[130:131], v[132:133], v[128:129]
	v_fma_f64 v[126:127], -v[126:127], v[130:131], v[132:133]
	v_div_fmas_f64 v[126:127], v[126:127], v[128:129], v[130:131]
	v_div_fixup_f64 v[128:129], v[126:127], v[122:123], v[124:125]
	v_fma_f64 v[122:123], v[124:125], v[128:129], v[122:123]
	v_div_scale_f64 v[124:125], null, v[122:123], v[122:123], 1.0
	v_rcp_f64_e32 v[126:127], v[124:125]
	v_fma_f64 v[130:131], -v[124:125], v[126:127], 1.0
	v_fma_f64 v[126:127], v[126:127], v[130:131], v[126:127]
	v_fma_f64 v[130:131], -v[124:125], v[126:127], 1.0
	v_fma_f64 v[126:127], v[126:127], v[130:131], v[126:127]
	v_div_scale_f64 v[130:131], vcc_lo, 1.0, v[122:123], 1.0
	v_mul_f64 v[132:133], v[130:131], v[126:127]
	v_fma_f64 v[124:125], -v[124:125], v[132:133], v[130:131]
	v_div_fmas_f64 v[124:125], v[124:125], v[126:127], v[132:133]
	v_div_fixup_f64 v[126:127], v[124:125], v[122:123], 1.0
	v_mul_f64 v[128:129], v[128:129], -v[126:127]
.LBB35_115:
	s_or_b32 exec_lo, exec_lo, s1
	ds_write2_b64 v1, v[126:127], v[128:129] offset1:1
.LBB35_116:
	s_or_b32 exec_lo, exec_lo, s2
	s_waitcnt lgkmcnt(0)
	s_barrier
	buffer_gl0_inv
	ds_read2_b64 v[122:125], v1 offset1:1
	s_mov_b32 s1, exec_lo
	v_cmpx_lt_u32_e32 12, v0
	s_cbranch_execz .LBB35_118
; %bb.117:
	s_waitcnt lgkmcnt(0)
	v_mul_f64 v[126:127], v[122:123], v[32:33]
	v_mul_f64 v[32:33], v[124:125], v[32:33]
	v_fma_f64 v[185:186], v[124:125], v[30:31], v[126:127]
	ds_read2_b64 v[126:129], v184 offset0:26 offset1:27
	ds_read2_b64 v[130:133], v184 offset0:28 offset1:29
	;; [unrolled: 1-line block ×5, first 2 shown]
	v_fma_f64 v[30:31], v[122:123], v[30:31], -v[32:33]
	s_waitcnt lgkmcnt(4)
	v_mul_f64 v[32:33], v[128:129], v[185:186]
	v_mul_f64 v[187:188], v[126:127], v[185:186]
	s_waitcnt lgkmcnt(3)
	v_mul_f64 v[189:190], v[132:133], v[185:186]
	v_mul_f64 v[191:192], v[130:131], v[185:186]
	;; [unrolled: 3-line block ×5, first 2 shown]
	v_fma_f64 v[32:33], v[126:127], v[30:31], -v[32:33]
	v_fma_f64 v[126:127], v[128:129], v[30:31], v[187:188]
	v_fma_f64 v[128:129], v[130:131], v[30:31], -v[189:190]
	v_fma_f64 v[130:131], v[132:133], v[30:31], v[191:192]
	;; [unrolled: 2-line block ×5, first 2 shown]
	v_add_f64 v[26:27], v[26:27], -v[32:33]
	v_add_f64 v[28:29], v[28:29], -v[126:127]
	;; [unrolled: 1-line block ×10, first 2 shown]
	v_mov_b32_e32 v32, v185
	v_mov_b32_e32 v33, v186
.LBB35_118:
	s_or_b32 exec_lo, exec_lo, s1
	s_mov_b32 s2, exec_lo
	s_waitcnt lgkmcnt(0)
	s_barrier
	buffer_gl0_inv
	v_cmpx_eq_u32_e32 13, v0
	s_cbranch_execz .LBB35_125
; %bb.119:
	ds_write2_b64 v1, v[26:27], v[28:29] offset1:1
	ds_write2_b64 v184, v[22:23], v[24:25] offset0:28 offset1:29
	ds_write2_b64 v184, v[18:19], v[20:21] offset0:30 offset1:31
	;; [unrolled: 1-line block ×4, first 2 shown]
	ds_read2_b64 v[126:129], v1 offset1:1
	s_waitcnt lgkmcnt(0)
	v_cmp_neq_f64_e32 vcc_lo, 0, v[126:127]
	v_cmp_neq_f64_e64 s1, 0, v[128:129]
	s_or_b32 s1, vcc_lo, s1
	s_and_b32 exec_lo, exec_lo, s1
	s_cbranch_execz .LBB35_125
; %bb.120:
	v_cmp_ngt_f64_e64 s1, |v[126:127]|, |v[128:129]|
                                        ; implicit-def: $vgpr130_vgpr131
	s_and_saveexec_b32 s3, s1
	s_xor_b32 s1, exec_lo, s3
                                        ; implicit-def: $vgpr132_vgpr133
	s_cbranch_execz .LBB35_122
; %bb.121:
	v_div_scale_f64 v[130:131], null, v[128:129], v[128:129], v[126:127]
	v_div_scale_f64 v[136:137], vcc_lo, v[126:127], v[128:129], v[126:127]
	v_rcp_f64_e32 v[132:133], v[130:131]
	v_fma_f64 v[134:135], -v[130:131], v[132:133], 1.0
	v_fma_f64 v[132:133], v[132:133], v[134:135], v[132:133]
	v_fma_f64 v[134:135], -v[130:131], v[132:133], 1.0
	v_fma_f64 v[132:133], v[132:133], v[134:135], v[132:133]
	v_mul_f64 v[134:135], v[136:137], v[132:133]
	v_fma_f64 v[130:131], -v[130:131], v[134:135], v[136:137]
	v_div_fmas_f64 v[130:131], v[130:131], v[132:133], v[134:135]
	v_div_fixup_f64 v[130:131], v[130:131], v[128:129], v[126:127]
	v_fma_f64 v[126:127], v[126:127], v[130:131], v[128:129]
	v_div_scale_f64 v[128:129], null, v[126:127], v[126:127], 1.0
	v_rcp_f64_e32 v[132:133], v[128:129]
	v_fma_f64 v[134:135], -v[128:129], v[132:133], 1.0
	v_fma_f64 v[132:133], v[132:133], v[134:135], v[132:133]
	v_fma_f64 v[134:135], -v[128:129], v[132:133], 1.0
	v_fma_f64 v[132:133], v[132:133], v[134:135], v[132:133]
	v_div_scale_f64 v[134:135], vcc_lo, 1.0, v[126:127], 1.0
	v_mul_f64 v[136:137], v[134:135], v[132:133]
	v_fma_f64 v[128:129], -v[128:129], v[136:137], v[134:135]
	v_div_fmas_f64 v[128:129], v[128:129], v[132:133], v[136:137]
	v_div_fixup_f64 v[132:133], v[128:129], v[126:127], 1.0
                                        ; implicit-def: $vgpr126_vgpr127
	v_mul_f64 v[130:131], v[130:131], v[132:133]
	v_xor_b32_e32 v133, 0x80000000, v133
.LBB35_122:
	s_andn2_saveexec_b32 s1, s1
	s_cbranch_execz .LBB35_124
; %bb.123:
	v_div_scale_f64 v[130:131], null, v[126:127], v[126:127], v[128:129]
	v_div_scale_f64 v[136:137], vcc_lo, v[128:129], v[126:127], v[128:129]
	v_rcp_f64_e32 v[132:133], v[130:131]
	v_fma_f64 v[134:135], -v[130:131], v[132:133], 1.0
	v_fma_f64 v[132:133], v[132:133], v[134:135], v[132:133]
	v_fma_f64 v[134:135], -v[130:131], v[132:133], 1.0
	v_fma_f64 v[132:133], v[132:133], v[134:135], v[132:133]
	v_mul_f64 v[134:135], v[136:137], v[132:133]
	v_fma_f64 v[130:131], -v[130:131], v[134:135], v[136:137]
	v_div_fmas_f64 v[130:131], v[130:131], v[132:133], v[134:135]
	v_div_fixup_f64 v[132:133], v[130:131], v[126:127], v[128:129]
	v_fma_f64 v[126:127], v[128:129], v[132:133], v[126:127]
	v_div_scale_f64 v[128:129], null, v[126:127], v[126:127], 1.0
	v_rcp_f64_e32 v[130:131], v[128:129]
	v_fma_f64 v[134:135], -v[128:129], v[130:131], 1.0
	v_fma_f64 v[130:131], v[130:131], v[134:135], v[130:131]
	v_fma_f64 v[134:135], -v[128:129], v[130:131], 1.0
	v_fma_f64 v[130:131], v[130:131], v[134:135], v[130:131]
	v_div_scale_f64 v[134:135], vcc_lo, 1.0, v[126:127], 1.0
	v_mul_f64 v[136:137], v[134:135], v[130:131]
	v_fma_f64 v[128:129], -v[128:129], v[136:137], v[134:135]
	v_div_fmas_f64 v[128:129], v[128:129], v[130:131], v[136:137]
	v_div_fixup_f64 v[130:131], v[128:129], v[126:127], 1.0
	v_mul_f64 v[132:133], v[132:133], -v[130:131]
.LBB35_124:
	s_or_b32 exec_lo, exec_lo, s1
	ds_write2_b64 v1, v[130:131], v[132:133] offset1:1
.LBB35_125:
	s_or_b32 exec_lo, exec_lo, s2
	s_waitcnt lgkmcnt(0)
	s_barrier
	buffer_gl0_inv
	ds_read2_b64 v[126:129], v1 offset1:1
	s_mov_b32 s1, exec_lo
	v_cmpx_lt_u32_e32 13, v0
	s_cbranch_execz .LBB35_127
; %bb.126:
	s_waitcnt lgkmcnt(0)
	v_mul_f64 v[130:131], v[126:127], v[28:29]
	v_mul_f64 v[28:29], v[128:129], v[28:29]
	v_fma_f64 v[185:186], v[128:129], v[26:27], v[130:131]
	ds_read2_b64 v[130:133], v184 offset0:28 offset1:29
	ds_read2_b64 v[134:137], v184 offset0:30 offset1:31
	;; [unrolled: 1-line block ×4, first 2 shown]
	v_fma_f64 v[26:27], v[126:127], v[26:27], -v[28:29]
	s_waitcnt lgkmcnt(3)
	v_mul_f64 v[28:29], v[132:133], v[185:186]
	v_mul_f64 v[187:188], v[130:131], v[185:186]
	s_waitcnt lgkmcnt(2)
	v_mul_f64 v[189:190], v[136:137], v[185:186]
	v_mul_f64 v[191:192], v[134:135], v[185:186]
	;; [unrolled: 3-line block ×4, first 2 shown]
	v_fma_f64 v[28:29], v[130:131], v[26:27], -v[28:29]
	v_fma_f64 v[130:131], v[132:133], v[26:27], v[187:188]
	v_fma_f64 v[132:133], v[134:135], v[26:27], -v[189:190]
	v_fma_f64 v[134:135], v[136:137], v[26:27], v[191:192]
	;; [unrolled: 2-line block ×4, first 2 shown]
	v_add_f64 v[22:23], v[22:23], -v[28:29]
	v_add_f64 v[24:25], v[24:25], -v[130:131]
	;; [unrolled: 1-line block ×8, first 2 shown]
	v_mov_b32_e32 v28, v185
	v_mov_b32_e32 v29, v186
.LBB35_127:
	s_or_b32 exec_lo, exec_lo, s1
	s_mov_b32 s2, exec_lo
	s_waitcnt lgkmcnt(0)
	s_barrier
	buffer_gl0_inv
	v_cmpx_eq_u32_e32 14, v0
	s_cbranch_execz .LBB35_134
; %bb.128:
	ds_write2_b64 v1, v[22:23], v[24:25] offset1:1
	ds_write2_b64 v184, v[18:19], v[20:21] offset0:30 offset1:31
	ds_write2_b64 v184, v[14:15], v[16:17] offset0:32 offset1:33
	ds_write2_b64 v184, v[10:11], v[12:13] offset0:34 offset1:35
	ds_read2_b64 v[130:133], v1 offset1:1
	s_waitcnt lgkmcnt(0)
	v_cmp_neq_f64_e32 vcc_lo, 0, v[130:131]
	v_cmp_neq_f64_e64 s1, 0, v[132:133]
	s_or_b32 s1, vcc_lo, s1
	s_and_b32 exec_lo, exec_lo, s1
	s_cbranch_execz .LBB35_134
; %bb.129:
	v_cmp_ngt_f64_e64 s1, |v[130:131]|, |v[132:133]|
                                        ; implicit-def: $vgpr134_vgpr135
	s_and_saveexec_b32 s3, s1
	s_xor_b32 s1, exec_lo, s3
                                        ; implicit-def: $vgpr136_vgpr137
	s_cbranch_execz .LBB35_131
; %bb.130:
	v_div_scale_f64 v[134:135], null, v[132:133], v[132:133], v[130:131]
	v_div_scale_f64 v[140:141], vcc_lo, v[130:131], v[132:133], v[130:131]
	v_rcp_f64_e32 v[136:137], v[134:135]
	v_fma_f64 v[138:139], -v[134:135], v[136:137], 1.0
	v_fma_f64 v[136:137], v[136:137], v[138:139], v[136:137]
	v_fma_f64 v[138:139], -v[134:135], v[136:137], 1.0
	v_fma_f64 v[136:137], v[136:137], v[138:139], v[136:137]
	v_mul_f64 v[138:139], v[140:141], v[136:137]
	v_fma_f64 v[134:135], -v[134:135], v[138:139], v[140:141]
	v_div_fmas_f64 v[134:135], v[134:135], v[136:137], v[138:139]
	v_div_fixup_f64 v[134:135], v[134:135], v[132:133], v[130:131]
	v_fma_f64 v[130:131], v[130:131], v[134:135], v[132:133]
	v_div_scale_f64 v[132:133], null, v[130:131], v[130:131], 1.0
	v_rcp_f64_e32 v[136:137], v[132:133]
	v_fma_f64 v[138:139], -v[132:133], v[136:137], 1.0
	v_fma_f64 v[136:137], v[136:137], v[138:139], v[136:137]
	v_fma_f64 v[138:139], -v[132:133], v[136:137], 1.0
	v_fma_f64 v[136:137], v[136:137], v[138:139], v[136:137]
	v_div_scale_f64 v[138:139], vcc_lo, 1.0, v[130:131], 1.0
	v_mul_f64 v[140:141], v[138:139], v[136:137]
	v_fma_f64 v[132:133], -v[132:133], v[140:141], v[138:139]
	v_div_fmas_f64 v[132:133], v[132:133], v[136:137], v[140:141]
	v_div_fixup_f64 v[136:137], v[132:133], v[130:131], 1.0
                                        ; implicit-def: $vgpr130_vgpr131
	v_mul_f64 v[134:135], v[134:135], v[136:137]
	v_xor_b32_e32 v137, 0x80000000, v137
.LBB35_131:
	s_andn2_saveexec_b32 s1, s1
	s_cbranch_execz .LBB35_133
; %bb.132:
	v_div_scale_f64 v[134:135], null, v[130:131], v[130:131], v[132:133]
	v_div_scale_f64 v[140:141], vcc_lo, v[132:133], v[130:131], v[132:133]
	v_rcp_f64_e32 v[136:137], v[134:135]
	v_fma_f64 v[138:139], -v[134:135], v[136:137], 1.0
	v_fma_f64 v[136:137], v[136:137], v[138:139], v[136:137]
	v_fma_f64 v[138:139], -v[134:135], v[136:137], 1.0
	v_fma_f64 v[136:137], v[136:137], v[138:139], v[136:137]
	v_mul_f64 v[138:139], v[140:141], v[136:137]
	v_fma_f64 v[134:135], -v[134:135], v[138:139], v[140:141]
	v_div_fmas_f64 v[134:135], v[134:135], v[136:137], v[138:139]
	v_div_fixup_f64 v[136:137], v[134:135], v[130:131], v[132:133]
	v_fma_f64 v[130:131], v[132:133], v[136:137], v[130:131]
	v_div_scale_f64 v[132:133], null, v[130:131], v[130:131], 1.0
	v_rcp_f64_e32 v[134:135], v[132:133]
	v_fma_f64 v[138:139], -v[132:133], v[134:135], 1.0
	v_fma_f64 v[134:135], v[134:135], v[138:139], v[134:135]
	v_fma_f64 v[138:139], -v[132:133], v[134:135], 1.0
	v_fma_f64 v[134:135], v[134:135], v[138:139], v[134:135]
	v_div_scale_f64 v[138:139], vcc_lo, 1.0, v[130:131], 1.0
	v_mul_f64 v[140:141], v[138:139], v[134:135]
	v_fma_f64 v[132:133], -v[132:133], v[140:141], v[138:139]
	v_div_fmas_f64 v[132:133], v[132:133], v[134:135], v[140:141]
	v_div_fixup_f64 v[134:135], v[132:133], v[130:131], 1.0
	v_mul_f64 v[136:137], v[136:137], -v[134:135]
.LBB35_133:
	s_or_b32 exec_lo, exec_lo, s1
	ds_write2_b64 v1, v[134:135], v[136:137] offset1:1
.LBB35_134:
	s_or_b32 exec_lo, exec_lo, s2
	s_waitcnt lgkmcnt(0)
	s_barrier
	buffer_gl0_inv
	ds_read2_b64 v[130:133], v1 offset1:1
	s_mov_b32 s1, exec_lo
	v_cmpx_lt_u32_e32 14, v0
	s_cbranch_execz .LBB35_136
; %bb.135:
	s_waitcnt lgkmcnt(0)
	v_mul_f64 v[134:135], v[130:131], v[24:25]
	v_mul_f64 v[24:25], v[132:133], v[24:25]
	v_fma_f64 v[185:186], v[132:133], v[22:23], v[134:135]
	ds_read2_b64 v[134:137], v184 offset0:30 offset1:31
	ds_read2_b64 v[138:141], v184 offset0:32 offset1:33
	;; [unrolled: 1-line block ×3, first 2 shown]
	v_fma_f64 v[22:23], v[130:131], v[22:23], -v[24:25]
	s_waitcnt lgkmcnt(2)
	v_mul_f64 v[24:25], v[136:137], v[185:186]
	v_mul_f64 v[187:188], v[134:135], v[185:186]
	s_waitcnt lgkmcnt(1)
	v_mul_f64 v[189:190], v[140:141], v[185:186]
	v_mul_f64 v[191:192], v[138:139], v[185:186]
	;; [unrolled: 3-line block ×3, first 2 shown]
	v_fma_f64 v[24:25], v[134:135], v[22:23], -v[24:25]
	v_fma_f64 v[134:135], v[136:137], v[22:23], v[187:188]
	v_fma_f64 v[136:137], v[138:139], v[22:23], -v[189:190]
	v_fma_f64 v[138:139], v[140:141], v[22:23], v[191:192]
	;; [unrolled: 2-line block ×3, first 2 shown]
	v_add_f64 v[18:19], v[18:19], -v[24:25]
	v_add_f64 v[20:21], v[20:21], -v[134:135]
	;; [unrolled: 1-line block ×6, first 2 shown]
	v_mov_b32_e32 v24, v185
	v_mov_b32_e32 v25, v186
.LBB35_136:
	s_or_b32 exec_lo, exec_lo, s1
	s_mov_b32 s2, exec_lo
	s_waitcnt lgkmcnt(0)
	s_barrier
	buffer_gl0_inv
	v_cmpx_eq_u32_e32 15, v0
	s_cbranch_execz .LBB35_143
; %bb.137:
	ds_write2_b64 v1, v[18:19], v[20:21] offset1:1
	ds_write2_b64 v184, v[14:15], v[16:17] offset0:32 offset1:33
	ds_write2_b64 v184, v[10:11], v[12:13] offset0:34 offset1:35
	ds_read2_b64 v[134:137], v1 offset1:1
	s_waitcnt lgkmcnt(0)
	v_cmp_neq_f64_e32 vcc_lo, 0, v[134:135]
	v_cmp_neq_f64_e64 s1, 0, v[136:137]
	s_or_b32 s1, vcc_lo, s1
	s_and_b32 exec_lo, exec_lo, s1
	s_cbranch_execz .LBB35_143
; %bb.138:
	v_cmp_ngt_f64_e64 s1, |v[134:135]|, |v[136:137]|
                                        ; implicit-def: $vgpr138_vgpr139
	s_and_saveexec_b32 s3, s1
	s_xor_b32 s1, exec_lo, s3
                                        ; implicit-def: $vgpr140_vgpr141
	s_cbranch_execz .LBB35_140
; %bb.139:
	v_div_scale_f64 v[138:139], null, v[136:137], v[136:137], v[134:135]
	v_div_scale_f64 v[144:145], vcc_lo, v[134:135], v[136:137], v[134:135]
	v_rcp_f64_e32 v[140:141], v[138:139]
	v_fma_f64 v[142:143], -v[138:139], v[140:141], 1.0
	v_fma_f64 v[140:141], v[140:141], v[142:143], v[140:141]
	v_fma_f64 v[142:143], -v[138:139], v[140:141], 1.0
	v_fma_f64 v[140:141], v[140:141], v[142:143], v[140:141]
	v_mul_f64 v[142:143], v[144:145], v[140:141]
	v_fma_f64 v[138:139], -v[138:139], v[142:143], v[144:145]
	v_div_fmas_f64 v[138:139], v[138:139], v[140:141], v[142:143]
	v_div_fixup_f64 v[138:139], v[138:139], v[136:137], v[134:135]
	v_fma_f64 v[134:135], v[134:135], v[138:139], v[136:137]
	v_div_scale_f64 v[136:137], null, v[134:135], v[134:135], 1.0
	v_rcp_f64_e32 v[140:141], v[136:137]
	v_fma_f64 v[142:143], -v[136:137], v[140:141], 1.0
	v_fma_f64 v[140:141], v[140:141], v[142:143], v[140:141]
	v_fma_f64 v[142:143], -v[136:137], v[140:141], 1.0
	v_fma_f64 v[140:141], v[140:141], v[142:143], v[140:141]
	v_div_scale_f64 v[142:143], vcc_lo, 1.0, v[134:135], 1.0
	v_mul_f64 v[144:145], v[142:143], v[140:141]
	v_fma_f64 v[136:137], -v[136:137], v[144:145], v[142:143]
	v_div_fmas_f64 v[136:137], v[136:137], v[140:141], v[144:145]
	v_div_fixup_f64 v[140:141], v[136:137], v[134:135], 1.0
                                        ; implicit-def: $vgpr134_vgpr135
	v_mul_f64 v[138:139], v[138:139], v[140:141]
	v_xor_b32_e32 v141, 0x80000000, v141
.LBB35_140:
	s_andn2_saveexec_b32 s1, s1
	s_cbranch_execz .LBB35_142
; %bb.141:
	v_div_scale_f64 v[138:139], null, v[134:135], v[134:135], v[136:137]
	v_div_scale_f64 v[144:145], vcc_lo, v[136:137], v[134:135], v[136:137]
	v_rcp_f64_e32 v[140:141], v[138:139]
	v_fma_f64 v[142:143], -v[138:139], v[140:141], 1.0
	v_fma_f64 v[140:141], v[140:141], v[142:143], v[140:141]
	v_fma_f64 v[142:143], -v[138:139], v[140:141], 1.0
	v_fma_f64 v[140:141], v[140:141], v[142:143], v[140:141]
	v_mul_f64 v[142:143], v[144:145], v[140:141]
	v_fma_f64 v[138:139], -v[138:139], v[142:143], v[144:145]
	v_div_fmas_f64 v[138:139], v[138:139], v[140:141], v[142:143]
	v_div_fixup_f64 v[140:141], v[138:139], v[134:135], v[136:137]
	v_fma_f64 v[134:135], v[136:137], v[140:141], v[134:135]
	v_div_scale_f64 v[136:137], null, v[134:135], v[134:135], 1.0
	v_rcp_f64_e32 v[138:139], v[136:137]
	v_fma_f64 v[142:143], -v[136:137], v[138:139], 1.0
	v_fma_f64 v[138:139], v[138:139], v[142:143], v[138:139]
	v_fma_f64 v[142:143], -v[136:137], v[138:139], 1.0
	v_fma_f64 v[138:139], v[138:139], v[142:143], v[138:139]
	v_div_scale_f64 v[142:143], vcc_lo, 1.0, v[134:135], 1.0
	v_mul_f64 v[144:145], v[142:143], v[138:139]
	v_fma_f64 v[136:137], -v[136:137], v[144:145], v[142:143]
	v_div_fmas_f64 v[136:137], v[136:137], v[138:139], v[144:145]
	v_div_fixup_f64 v[138:139], v[136:137], v[134:135], 1.0
	v_mul_f64 v[140:141], v[140:141], -v[138:139]
.LBB35_142:
	s_or_b32 exec_lo, exec_lo, s1
	ds_write2_b64 v1, v[138:139], v[140:141] offset1:1
.LBB35_143:
	s_or_b32 exec_lo, exec_lo, s2
	s_waitcnt lgkmcnt(0)
	s_barrier
	buffer_gl0_inv
	ds_read2_b64 v[134:137], v1 offset1:1
	s_mov_b32 s1, exec_lo
	v_cmpx_lt_u32_e32 15, v0
	s_cbranch_execz .LBB35_145
; %bb.144:
	s_waitcnt lgkmcnt(0)
	v_mul_f64 v[138:139], v[134:135], v[20:21]
	v_mul_f64 v[20:21], v[136:137], v[20:21]
	v_fma_f64 v[185:186], v[136:137], v[18:19], v[138:139]
	ds_read2_b64 v[138:141], v184 offset0:32 offset1:33
	ds_read2_b64 v[142:145], v184 offset0:34 offset1:35
	v_fma_f64 v[18:19], v[134:135], v[18:19], -v[20:21]
	s_waitcnt lgkmcnt(1)
	v_mul_f64 v[20:21], v[140:141], v[185:186]
	v_mul_f64 v[187:188], v[138:139], v[185:186]
	s_waitcnt lgkmcnt(0)
	v_mul_f64 v[189:190], v[144:145], v[185:186]
	v_mul_f64 v[191:192], v[142:143], v[185:186]
	v_fma_f64 v[20:21], v[138:139], v[18:19], -v[20:21]
	v_fma_f64 v[138:139], v[140:141], v[18:19], v[187:188]
	v_fma_f64 v[140:141], v[142:143], v[18:19], -v[189:190]
	v_fma_f64 v[142:143], v[144:145], v[18:19], v[191:192]
	v_add_f64 v[14:15], v[14:15], -v[20:21]
	v_add_f64 v[16:17], v[16:17], -v[138:139]
	;; [unrolled: 1-line block ×4, first 2 shown]
	v_mov_b32_e32 v20, v185
	v_mov_b32_e32 v21, v186
.LBB35_145:
	s_or_b32 exec_lo, exec_lo, s1
	s_mov_b32 s2, exec_lo
	s_waitcnt lgkmcnt(0)
	s_barrier
	buffer_gl0_inv
	v_cmpx_eq_u32_e32 16, v0
	s_cbranch_execz .LBB35_152
; %bb.146:
	ds_write2_b64 v1, v[14:15], v[16:17] offset1:1
	ds_write2_b64 v184, v[10:11], v[12:13] offset0:34 offset1:35
	ds_read2_b64 v[138:141], v1 offset1:1
	s_waitcnt lgkmcnt(0)
	v_cmp_neq_f64_e32 vcc_lo, 0, v[138:139]
	v_cmp_neq_f64_e64 s1, 0, v[140:141]
	s_or_b32 s1, vcc_lo, s1
	s_and_b32 exec_lo, exec_lo, s1
	s_cbranch_execz .LBB35_152
; %bb.147:
	v_cmp_ngt_f64_e64 s1, |v[138:139]|, |v[140:141]|
                                        ; implicit-def: $vgpr142_vgpr143
	s_and_saveexec_b32 s3, s1
	s_xor_b32 s1, exec_lo, s3
                                        ; implicit-def: $vgpr144_vgpr145
	s_cbranch_execz .LBB35_149
; %bb.148:
	v_div_scale_f64 v[142:143], null, v[140:141], v[140:141], v[138:139]
	v_div_scale_f64 v[187:188], vcc_lo, v[138:139], v[140:141], v[138:139]
	v_rcp_f64_e32 v[144:145], v[142:143]
	v_fma_f64 v[185:186], -v[142:143], v[144:145], 1.0
	v_fma_f64 v[144:145], v[144:145], v[185:186], v[144:145]
	v_fma_f64 v[185:186], -v[142:143], v[144:145], 1.0
	v_fma_f64 v[144:145], v[144:145], v[185:186], v[144:145]
	v_mul_f64 v[185:186], v[187:188], v[144:145]
	v_fma_f64 v[142:143], -v[142:143], v[185:186], v[187:188]
	v_div_fmas_f64 v[142:143], v[142:143], v[144:145], v[185:186]
	v_div_fixup_f64 v[142:143], v[142:143], v[140:141], v[138:139]
	v_fma_f64 v[138:139], v[138:139], v[142:143], v[140:141]
	v_div_scale_f64 v[140:141], null, v[138:139], v[138:139], 1.0
	v_rcp_f64_e32 v[144:145], v[140:141]
	v_fma_f64 v[185:186], -v[140:141], v[144:145], 1.0
	v_fma_f64 v[144:145], v[144:145], v[185:186], v[144:145]
	v_fma_f64 v[185:186], -v[140:141], v[144:145], 1.0
	v_fma_f64 v[144:145], v[144:145], v[185:186], v[144:145]
	v_div_scale_f64 v[185:186], vcc_lo, 1.0, v[138:139], 1.0
	v_mul_f64 v[187:188], v[185:186], v[144:145]
	v_fma_f64 v[140:141], -v[140:141], v[187:188], v[185:186]
	v_div_fmas_f64 v[140:141], v[140:141], v[144:145], v[187:188]
	v_div_fixup_f64 v[144:145], v[140:141], v[138:139], 1.0
                                        ; implicit-def: $vgpr138_vgpr139
	v_mul_f64 v[142:143], v[142:143], v[144:145]
	v_xor_b32_e32 v145, 0x80000000, v145
.LBB35_149:
	s_andn2_saveexec_b32 s1, s1
	s_cbranch_execz .LBB35_151
; %bb.150:
	v_div_scale_f64 v[142:143], null, v[138:139], v[138:139], v[140:141]
	v_div_scale_f64 v[187:188], vcc_lo, v[140:141], v[138:139], v[140:141]
	v_rcp_f64_e32 v[144:145], v[142:143]
	v_fma_f64 v[185:186], -v[142:143], v[144:145], 1.0
	v_fma_f64 v[144:145], v[144:145], v[185:186], v[144:145]
	v_fma_f64 v[185:186], -v[142:143], v[144:145], 1.0
	v_fma_f64 v[144:145], v[144:145], v[185:186], v[144:145]
	v_mul_f64 v[185:186], v[187:188], v[144:145]
	v_fma_f64 v[142:143], -v[142:143], v[185:186], v[187:188]
	v_div_fmas_f64 v[142:143], v[142:143], v[144:145], v[185:186]
	v_div_fixup_f64 v[144:145], v[142:143], v[138:139], v[140:141]
	v_fma_f64 v[138:139], v[140:141], v[144:145], v[138:139]
	v_div_scale_f64 v[140:141], null, v[138:139], v[138:139], 1.0
	v_rcp_f64_e32 v[142:143], v[140:141]
	v_fma_f64 v[185:186], -v[140:141], v[142:143], 1.0
	v_fma_f64 v[142:143], v[142:143], v[185:186], v[142:143]
	v_fma_f64 v[185:186], -v[140:141], v[142:143], 1.0
	v_fma_f64 v[142:143], v[142:143], v[185:186], v[142:143]
	v_div_scale_f64 v[185:186], vcc_lo, 1.0, v[138:139], 1.0
	v_mul_f64 v[187:188], v[185:186], v[142:143]
	v_fma_f64 v[140:141], -v[140:141], v[187:188], v[185:186]
	v_div_fmas_f64 v[140:141], v[140:141], v[142:143], v[187:188]
	v_div_fixup_f64 v[142:143], v[140:141], v[138:139], 1.0
	v_mul_f64 v[144:145], v[144:145], -v[142:143]
.LBB35_151:
	s_or_b32 exec_lo, exec_lo, s1
	ds_write2_b64 v1, v[142:143], v[144:145] offset1:1
.LBB35_152:
	s_or_b32 exec_lo, exec_lo, s2
	s_waitcnt lgkmcnt(0)
	s_barrier
	buffer_gl0_inv
	ds_read2_b64 v[138:141], v1 offset1:1
	s_mov_b32 s1, exec_lo
	v_cmpx_lt_u32_e32 16, v0
	s_cbranch_execz .LBB35_154
; %bb.153:
	s_waitcnt lgkmcnt(0)
	v_mul_f64 v[142:143], v[138:139], v[16:17]
	v_mul_f64 v[16:17], v[140:141], v[16:17]
	v_fma_f64 v[185:186], v[140:141], v[14:15], v[142:143]
	ds_read2_b64 v[142:145], v184 offset0:34 offset1:35
	v_fma_f64 v[14:15], v[138:139], v[14:15], -v[16:17]
	s_waitcnt lgkmcnt(0)
	v_mul_f64 v[16:17], v[144:145], v[185:186]
	v_mul_f64 v[187:188], v[142:143], v[185:186]
	v_fma_f64 v[16:17], v[142:143], v[14:15], -v[16:17]
	v_fma_f64 v[142:143], v[144:145], v[14:15], v[187:188]
	v_add_f64 v[10:11], v[10:11], -v[16:17]
	v_add_f64 v[12:13], v[12:13], -v[142:143]
	v_mov_b32_e32 v16, v185
	v_mov_b32_e32 v17, v186
.LBB35_154:
	s_or_b32 exec_lo, exec_lo, s1
	s_mov_b32 s2, exec_lo
	s_waitcnt lgkmcnt(0)
	s_barrier
	buffer_gl0_inv
	v_cmpx_eq_u32_e32 17, v0
	s_cbranch_execz .LBB35_161
; %bb.155:
	v_cmp_neq_f64_e32 vcc_lo, 0, v[10:11]
	v_cmp_neq_f64_e64 s1, 0, v[12:13]
	ds_write2_b64 v1, v[10:11], v[12:13] offset1:1
	s_or_b32 s1, vcc_lo, s1
	s_and_b32 exec_lo, exec_lo, s1
	s_cbranch_execz .LBB35_161
; %bb.156:
	v_cmp_ngt_f64_e64 s1, |v[10:11]|, |v[12:13]|
                                        ; implicit-def: $vgpr142_vgpr143
	s_and_saveexec_b32 s3, s1
	s_xor_b32 s1, exec_lo, s3
                                        ; implicit-def: $vgpr144_vgpr145
	s_cbranch_execz .LBB35_158
; %bb.157:
	v_div_scale_f64 v[142:143], null, v[12:13], v[12:13], v[10:11]
	v_div_scale_f64 v[186:187], vcc_lo, v[10:11], v[12:13], v[10:11]
	v_rcp_f64_e32 v[144:145], v[142:143]
	v_fma_f64 v[184:185], -v[142:143], v[144:145], 1.0
	v_fma_f64 v[144:145], v[144:145], v[184:185], v[144:145]
	v_fma_f64 v[184:185], -v[142:143], v[144:145], 1.0
	v_fma_f64 v[144:145], v[144:145], v[184:185], v[144:145]
	v_mul_f64 v[184:185], v[186:187], v[144:145]
	v_fma_f64 v[142:143], -v[142:143], v[184:185], v[186:187]
	v_div_fmas_f64 v[142:143], v[142:143], v[144:145], v[184:185]
	v_div_fixup_f64 v[142:143], v[142:143], v[12:13], v[10:11]
	v_fma_f64 v[144:145], v[10:11], v[142:143], v[12:13]
	v_div_scale_f64 v[184:185], null, v[144:145], v[144:145], 1.0
	v_rcp_f64_e32 v[186:187], v[184:185]
	v_fma_f64 v[188:189], -v[184:185], v[186:187], 1.0
	v_fma_f64 v[186:187], v[186:187], v[188:189], v[186:187]
	v_fma_f64 v[188:189], -v[184:185], v[186:187], 1.0
	v_fma_f64 v[186:187], v[186:187], v[188:189], v[186:187]
	v_div_scale_f64 v[188:189], vcc_lo, 1.0, v[144:145], 1.0
	v_mul_f64 v[190:191], v[188:189], v[186:187]
	v_fma_f64 v[184:185], -v[184:185], v[190:191], v[188:189]
	v_div_fmas_f64 v[184:185], v[184:185], v[186:187], v[190:191]
	v_div_fixup_f64 v[144:145], v[184:185], v[144:145], 1.0
	v_mul_f64 v[142:143], v[142:143], v[144:145]
	v_xor_b32_e32 v145, 0x80000000, v145
.LBB35_158:
	s_andn2_saveexec_b32 s1, s1
	s_cbranch_execz .LBB35_160
; %bb.159:
	v_div_scale_f64 v[142:143], null, v[10:11], v[10:11], v[12:13]
	v_div_scale_f64 v[186:187], vcc_lo, v[12:13], v[10:11], v[12:13]
	v_rcp_f64_e32 v[144:145], v[142:143]
	v_fma_f64 v[184:185], -v[142:143], v[144:145], 1.0
	v_fma_f64 v[144:145], v[144:145], v[184:185], v[144:145]
	v_fma_f64 v[184:185], -v[142:143], v[144:145], 1.0
	v_fma_f64 v[144:145], v[144:145], v[184:185], v[144:145]
	v_mul_f64 v[184:185], v[186:187], v[144:145]
	v_fma_f64 v[142:143], -v[142:143], v[184:185], v[186:187]
	v_div_fmas_f64 v[142:143], v[142:143], v[144:145], v[184:185]
	v_div_fixup_f64 v[144:145], v[142:143], v[10:11], v[12:13]
	v_fma_f64 v[142:143], v[12:13], v[144:145], v[10:11]
	v_div_scale_f64 v[184:185], null, v[142:143], v[142:143], 1.0
	v_rcp_f64_e32 v[186:187], v[184:185]
	v_fma_f64 v[188:189], -v[184:185], v[186:187], 1.0
	v_fma_f64 v[186:187], v[186:187], v[188:189], v[186:187]
	v_fma_f64 v[188:189], -v[184:185], v[186:187], 1.0
	v_fma_f64 v[186:187], v[186:187], v[188:189], v[186:187]
	v_div_scale_f64 v[188:189], vcc_lo, 1.0, v[142:143], 1.0
	v_mul_f64 v[190:191], v[188:189], v[186:187]
	v_fma_f64 v[184:185], -v[184:185], v[190:191], v[188:189]
	v_div_fmas_f64 v[184:185], v[184:185], v[186:187], v[190:191]
	v_div_fixup_f64 v[142:143], v[184:185], v[142:143], 1.0
	v_mul_f64 v[144:145], v[144:145], -v[142:143]
.LBB35_160:
	s_or_b32 exec_lo, exec_lo, s1
	ds_write2_b64 v1, v[142:143], v[144:145] offset1:1
.LBB35_161:
	s_or_b32 exec_lo, exec_lo, s2
	s_waitcnt lgkmcnt(0)
	s_barrier
	buffer_gl0_inv
	ds_read2_b64 v[142:145], v1 offset1:1
	s_mov_b32 s1, exec_lo
	v_cmpx_lt_u32_e32 17, v0
	s_cbranch_execz .LBB35_163
; %bb.162:
	s_waitcnt lgkmcnt(0)
	v_mul_f64 v[0:1], v[144:145], v[12:13]
	v_mul_f64 v[12:13], v[142:143], v[12:13]
	v_fma_f64 v[0:1], v[142:143], v[10:11], -v[0:1]
	v_fma_f64 v[12:13], v[144:145], v[10:11], v[12:13]
	v_mov_b32_e32 v11, v1
	v_mov_b32_e32 v10, v0
.LBB35_163:
	s_or_b32 exec_lo, exec_lo, s1
	s_waitcnt lgkmcnt(0)
	s_barrier
	buffer_gl0_inv
	s_and_saveexec_b32 s6, s0
	s_cbranch_execz .LBB35_166
; %bb.164:
	v_lshlrev_b64 v[0:1], 2, v[168:169]
	v_cmp_eq_f64_e64 s0, 0, v[76:77]
	v_cmp_neq_f64_e64 s1, 0, v[78:79]
	v_cmp_neq_f64_e64 s2, 0, v[80:81]
	v_cmp_eq_f64_e64 s3, 0, v[82:83]
	v_cmp_eq_f64_e64 s4, 0, v[84:85]
	v_add_co_u32 v0, vcc_lo, s10, v0
	v_add_co_ci_u32_e64 v1, null, s11, v1, vcc_lo
	v_cmp_eq_f64_e32 vcc_lo, 0, v[74:75]
	v_cmp_eq_f64_e64 s5, 0, v[86:87]
	global_load_dword v168, v[0:1], off
	s_or_b32 s1, s1, s2
	v_cmp_eq_f64_e64 s2, 0, v[92:93]
	s_and_b32 s3, s3, s4
	v_cmp_eq_f64_e64 s4, 0, v[96:97]
	s_and_b32 s0, vcc_lo, s0
	v_cmp_eq_f64_e32 vcc_lo, 0, v[88:89]
	v_cndmask_b32_e64 v74, 0, 1, s0
	s_or_b32 s0, s1, s0
	v_cmp_eq_f64_e64 s1, 0, v[90:91]
	v_cndmask_b32_e64 v74, 2, v74, s0
	v_cmp_eq_u32_e64 s0, 0, v74
	s_and_b32 s0, s3, s0
	v_cmp_eq_f64_e64 s3, 0, v[94:95]
	v_cndmask_b32_e64 v74, v74, 3, s0
	s_and_b32 s5, s5, vcc_lo
	v_cmp_eq_u32_e64 s0, 0, v74
	s_and_b32 s1, s1, s2
	v_cmp_eq_f64_e64 s2, 0, v[104:105]
	s_and_b32 s0, s5, s0
	v_cmp_eq_f64_e64 s5, 0, v[100:101]
	v_cndmask_b32_e64 v74, v74, 4, s0
	v_cmp_eq_f64_e64 s0, 0, v[98:99]
	v_cmp_eq_u32_e32 vcc_lo, 0, v74
	s_and_b32 s3, s3, s4
	s_and_b32 s1, s1, vcc_lo
	v_cmp_eq_f64_e64 s4, 0, v[108:109]
	v_cndmask_b32_e64 v74, v74, 5, s1
	v_cmp_eq_f64_e64 s1, 0, v[102:103]
	v_cmp_eq_u32_e32 vcc_lo, 0, v74
	s_and_b32 s3, s3, vcc_lo
	s_and_b32 s0, s0, s5
	v_cndmask_b32_e64 v74, v74, 6, s3
	v_cmp_eq_f64_e64 s3, 0, v[106:107]
	v_cmp_eq_f64_e64 s5, 0, v[112:113]
	v_cmp_eq_u32_e32 vcc_lo, 0, v74
	s_and_b32 s0, s0, vcc_lo
	s_and_b32 s1, s1, s2
	v_cndmask_b32_e64 v74, v74, 7, s0
	v_cmp_eq_f64_e64 s0, 0, v[110:111]
	;; [unrolled: 6-line block ×10, first 2 shown]
	v_cmp_eq_u32_e32 vcc_lo, 0, v74
	s_and_b32 s0, s0, vcc_lo
	v_cndmask_b32_e64 v74, v74, 16, s0
	s_and_b32 s0, s1, s2
	v_cmp_eq_u32_e32 vcc_lo, 0, v74
	s_and_b32 s0, s0, vcc_lo
	v_cndmask_b32_e64 v74, v74, 17, s0
	s_and_b32 s0, s3, s4
	v_cmp_eq_u32_e32 vcc_lo, 0, v74
	s_and_b32 s0, s0, vcc_lo
	v_cndmask_b32_e64 v74, v74, 18, s0
	v_cmp_ne_u32_e64 s0, 0, v74
	s_waitcnt vmcnt(0)
	v_cmp_eq_u32_e32 vcc_lo, 0, v168
	s_and_b32 s0, vcc_lo, s0
	s_and_b32 exec_lo, exec_lo, s0
	s_cbranch_execz .LBB35_166
; %bb.165:
	v_add_nc_u32_e32 v74, s13, v74
	global_store_dword v[0:1], v74, off
.LBB35_166:
	s_or_b32 exec_lo, exec_lo, s6
	global_store_dwordx4 v[152:153], v[6:9], off
	global_store_dwordx4 v[154:155], v[2:5], off
	global_store_dwordx4 v[150:151], v[70:73], off
	global_store_dwordx4 v[148:149], v[66:69], off
	global_store_dwordx4 v[146:147], v[62:65], off
	global_store_dwordx4 v[156:157], v[58:61], off
	global_store_dwordx4 v[158:159], v[54:57], off
	global_store_dwordx4 v[160:161], v[50:53], off
	global_store_dwordx4 v[162:163], v[46:49], off
	global_store_dwordx4 v[164:165], v[42:45], off
	global_store_dwordx4 v[166:167], v[38:41], off
	global_store_dwordx4 v[170:171], v[34:37], off
	global_store_dwordx4 v[172:173], v[30:33], off
	global_store_dwordx4 v[174:175], v[26:29], off
	global_store_dwordx4 v[180:181], v[22:25], off
	global_store_dwordx4 v[176:177], v[18:21], off
	global_store_dwordx4 v[178:179], v[14:17], off
	global_store_dwordx4 v[182:183], v[10:13], off
.LBB35_167:
	s_endpgm
	.section	.rodata,"a",@progbits
	.p2align	6, 0x0
	.amdhsa_kernel _ZN9rocsolver6v33100L23getf2_npvt_small_kernelILi18E19rocblas_complex_numIdEiiPS3_EEvT1_T3_lS5_lPT2_S5_S5_
		.amdhsa_group_segment_fixed_size 0
		.amdhsa_private_segment_fixed_size 0
		.amdhsa_kernarg_size 312
		.amdhsa_user_sgpr_count 6
		.amdhsa_user_sgpr_private_segment_buffer 1
		.amdhsa_user_sgpr_dispatch_ptr 0
		.amdhsa_user_sgpr_queue_ptr 0
		.amdhsa_user_sgpr_kernarg_segment_ptr 1
		.amdhsa_user_sgpr_dispatch_id 0
		.amdhsa_user_sgpr_flat_scratch_init 0
		.amdhsa_user_sgpr_private_segment_size 0
		.amdhsa_wavefront_size32 1
		.amdhsa_uses_dynamic_stack 0
		.amdhsa_system_sgpr_private_segment_wavefront_offset 0
		.amdhsa_system_sgpr_workgroup_id_x 1
		.amdhsa_system_sgpr_workgroup_id_y 1
		.amdhsa_system_sgpr_workgroup_id_z 0
		.amdhsa_system_sgpr_workgroup_info 0
		.amdhsa_system_vgpr_workitem_id 1
		.amdhsa_next_free_vgpr 253
		.amdhsa_next_free_sgpr 15
		.amdhsa_reserve_vcc 1
		.amdhsa_reserve_flat_scratch 0
		.amdhsa_float_round_mode_32 0
		.amdhsa_float_round_mode_16_64 0
		.amdhsa_float_denorm_mode_32 3
		.amdhsa_float_denorm_mode_16_64 3
		.amdhsa_dx10_clamp 1
		.amdhsa_ieee_mode 1
		.amdhsa_fp16_overflow 0
		.amdhsa_workgroup_processor_mode 1
		.amdhsa_memory_ordered 1
		.amdhsa_forward_progress 1
		.amdhsa_shared_vgpr_count 0
		.amdhsa_exception_fp_ieee_invalid_op 0
		.amdhsa_exception_fp_denorm_src 0
		.amdhsa_exception_fp_ieee_div_zero 0
		.amdhsa_exception_fp_ieee_overflow 0
		.amdhsa_exception_fp_ieee_underflow 0
		.amdhsa_exception_fp_ieee_inexact 0
		.amdhsa_exception_int_div_zero 0
	.end_amdhsa_kernel
	.section	.text._ZN9rocsolver6v33100L23getf2_npvt_small_kernelILi18E19rocblas_complex_numIdEiiPS3_EEvT1_T3_lS5_lPT2_S5_S5_,"axG",@progbits,_ZN9rocsolver6v33100L23getf2_npvt_small_kernelILi18E19rocblas_complex_numIdEiiPS3_EEvT1_T3_lS5_lPT2_S5_S5_,comdat
.Lfunc_end35:
	.size	_ZN9rocsolver6v33100L23getf2_npvt_small_kernelILi18E19rocblas_complex_numIdEiiPS3_EEvT1_T3_lS5_lPT2_S5_S5_, .Lfunc_end35-_ZN9rocsolver6v33100L23getf2_npvt_small_kernelILi18E19rocblas_complex_numIdEiiPS3_EEvT1_T3_lS5_lPT2_S5_S5_
                                        ; -- End function
	.set _ZN9rocsolver6v33100L23getf2_npvt_small_kernelILi18E19rocblas_complex_numIdEiiPS3_EEvT1_T3_lS5_lPT2_S5_S5_.num_vgpr, 253
	.set _ZN9rocsolver6v33100L23getf2_npvt_small_kernelILi18E19rocblas_complex_numIdEiiPS3_EEvT1_T3_lS5_lPT2_S5_S5_.num_agpr, 0
	.set _ZN9rocsolver6v33100L23getf2_npvt_small_kernelILi18E19rocblas_complex_numIdEiiPS3_EEvT1_T3_lS5_lPT2_S5_S5_.numbered_sgpr, 15
	.set _ZN9rocsolver6v33100L23getf2_npvt_small_kernelILi18E19rocblas_complex_numIdEiiPS3_EEvT1_T3_lS5_lPT2_S5_S5_.num_named_barrier, 0
	.set _ZN9rocsolver6v33100L23getf2_npvt_small_kernelILi18E19rocblas_complex_numIdEiiPS3_EEvT1_T3_lS5_lPT2_S5_S5_.private_seg_size, 0
	.set _ZN9rocsolver6v33100L23getf2_npvt_small_kernelILi18E19rocblas_complex_numIdEiiPS3_EEvT1_T3_lS5_lPT2_S5_S5_.uses_vcc, 1
	.set _ZN9rocsolver6v33100L23getf2_npvt_small_kernelILi18E19rocblas_complex_numIdEiiPS3_EEvT1_T3_lS5_lPT2_S5_S5_.uses_flat_scratch, 0
	.set _ZN9rocsolver6v33100L23getf2_npvt_small_kernelILi18E19rocblas_complex_numIdEiiPS3_EEvT1_T3_lS5_lPT2_S5_S5_.has_dyn_sized_stack, 0
	.set _ZN9rocsolver6v33100L23getf2_npvt_small_kernelILi18E19rocblas_complex_numIdEiiPS3_EEvT1_T3_lS5_lPT2_S5_S5_.has_recursion, 0
	.set _ZN9rocsolver6v33100L23getf2_npvt_small_kernelILi18E19rocblas_complex_numIdEiiPS3_EEvT1_T3_lS5_lPT2_S5_S5_.has_indirect_call, 0
	.section	.AMDGPU.csdata,"",@progbits
; Kernel info:
; codeLenInByte = 22604
; TotalNumSgprs: 17
; NumVgprs: 253
; ScratchSize: 0
; MemoryBound: 1
; FloatMode: 240
; IeeeMode: 1
; LDSByteSize: 0 bytes/workgroup (compile time only)
; SGPRBlocks: 0
; VGPRBlocks: 31
; NumSGPRsForWavesPerEU: 17
; NumVGPRsForWavesPerEU: 253
; Occupancy: 4
; WaveLimiterHint : 0
; COMPUTE_PGM_RSRC2:SCRATCH_EN: 0
; COMPUTE_PGM_RSRC2:USER_SGPR: 6
; COMPUTE_PGM_RSRC2:TRAP_HANDLER: 0
; COMPUTE_PGM_RSRC2:TGID_X_EN: 1
; COMPUTE_PGM_RSRC2:TGID_Y_EN: 1
; COMPUTE_PGM_RSRC2:TGID_Z_EN: 0
; COMPUTE_PGM_RSRC2:TIDIG_COMP_CNT: 1
	.section	.text._ZN9rocsolver6v33100L18getf2_small_kernelILi19E19rocblas_complex_numIdEiiPS3_EEvT1_T3_lS5_lPS5_llPT2_S5_S5_S7_l,"axG",@progbits,_ZN9rocsolver6v33100L18getf2_small_kernelILi19E19rocblas_complex_numIdEiiPS3_EEvT1_T3_lS5_lPS5_llPT2_S5_S5_S7_l,comdat
	.globl	_ZN9rocsolver6v33100L18getf2_small_kernelILi19E19rocblas_complex_numIdEiiPS3_EEvT1_T3_lS5_lPS5_llPT2_S5_S5_S7_l ; -- Begin function _ZN9rocsolver6v33100L18getf2_small_kernelILi19E19rocblas_complex_numIdEiiPS3_EEvT1_T3_lS5_lPS5_llPT2_S5_S5_S7_l
	.p2align	8
	.type	_ZN9rocsolver6v33100L18getf2_small_kernelILi19E19rocblas_complex_numIdEiiPS3_EEvT1_T3_lS5_lPS5_llPT2_S5_S5_S7_l,@function
_ZN9rocsolver6v33100L18getf2_small_kernelILi19E19rocblas_complex_numIdEiiPS3_EEvT1_T3_lS5_lPS5_llPT2_S5_S5_S7_l: ; @_ZN9rocsolver6v33100L18getf2_small_kernelILi19E19rocblas_complex_numIdEiiPS3_EEvT1_T3_lS5_lPS5_llPT2_S5_S5_S7_l
; %bb.0:
	s_clause 0x1
	s_load_dword s0, s[4:5], 0x6c
	s_load_dwordx2 s[16:17], s[4:5], 0x48
	s_waitcnt lgkmcnt(0)
	s_lshr_b32 s0, s0, 16
	v_mad_u64_u32 v[82:83], null, s7, s0, v[1:2]
	s_mov_b32 s0, exec_lo
	v_cmpx_gt_i32_e64 s16, v82
	s_cbranch_execz .LBB36_402
; %bb.1:
	s_load_dwordx4 s[0:3], s[4:5], 0x50
	v_mov_b32_e32 v84, 0
	v_ashrrev_i32_e32 v83, 31, v82
	v_mov_b32_e32 v85, 0
	s_waitcnt lgkmcnt(0)
	s_cmp_eq_u64 s[0:1], 0
	s_cselect_b32 s16, -1, 0
	s_and_b32 vcc_lo, exec_lo, s16
	s_cbranch_vccnz .LBB36_3
; %bb.2:
	v_mul_lo_u32 v4, s3, v82
	v_mul_lo_u32 v5, s2, v83
	v_mad_u64_u32 v[2:3], null, s2, v82, 0
	v_add3_u32 v3, v3, v5, v4
	v_lshlrev_b64 v[2:3], 2, v[2:3]
	v_add_co_u32 v84, vcc_lo, s0, v2
	v_add_co_ci_u32_e64 v85, null, s1, v3, vcc_lo
.LBB36_3:
	s_clause 0x2
	s_load_dwordx8 s[8:15], s[4:5], 0x20
	s_load_dword s6, s[4:5], 0x18
	s_load_dwordx4 s[0:3], s[4:5], 0x8
	v_lshlrev_b32_e32 v88, 4, v0
	s_clause 0x1
	s_load_dword s18, s[4:5], 0x0
	s_load_dwordx2 s[4:5], s[4:5], 0x40
	s_waitcnt lgkmcnt(0)
	v_mul_lo_u32 v5, s9, v82
	v_mul_lo_u32 v7, s8, v83
	v_mad_u64_u32 v[2:3], null, s8, v82, 0
	v_add3_u32 v4, s6, s6, v0
	s_lshl_b64 s[2:3], s[2:3], 4
	s_ashr_i32 s7, s6, 31
	s_lshl_b64 s[8:9], s[6:7], 4
	v_add_nc_u32_e32 v6, s6, v4
	v_add3_u32 v3, v3, v7, v5
	v_ashrrev_i32_e32 v5, 31, v4
	v_add_nc_u32_e32 v8, s6, v6
	v_lshlrev_b64 v[2:3], 4, v[2:3]
	v_ashrrev_i32_e32 v7, 31, v6
	v_lshlrev_b64 v[4:5], 4, v[4:5]
	v_add_nc_u32_e32 v10, s6, v8
	v_ashrrev_i32_e32 v9, 31, v8
	v_add_co_u32 v12, vcc_lo, s0, v2
	v_add_co_ci_u32_e64 v3, null, s1, v3, vcc_lo
	v_add_nc_u32_e32 v2, s6, v10
	v_add_co_u32 v89, vcc_lo, v12, s2
	v_add_co_ci_u32_e64 v90, null, s3, v3, vcc_lo
	v_lshlrev_b64 v[6:7], 4, v[6:7]
	v_ashrrev_i32_e32 v11, 31, v10
	v_add_nc_u32_e32 v12, s6, v2
	v_add_co_u32 v14, vcc_lo, v89, v88
	v_lshlrev_b64 v[8:9], 4, v[8:9]
	v_add_co_ci_u32_e64 v15, null, 0, v90, vcc_lo
	v_add_co_u32 v4, vcc_lo, v89, v4
	v_lshlrev_b64 v[10:11], 4, v[10:11]
	v_add_co_ci_u32_e64 v5, null, v90, v5, vcc_lo
	v_add_co_u32 v6, vcc_lo, v89, v6
	v_add_nc_u32_e32 v16, s6, v12
	v_add_co_ci_u32_e64 v7, null, v90, v7, vcc_lo
	v_add_co_u32 v8, vcc_lo, v89, v8
	v_add_co_ci_u32_e64 v9, null, v90, v9, vcc_lo
	v_add_co_u32 v10, vcc_lo, v89, v10
	s_clause 0x1
	global_load_dwordx4 v[62:65], v[4:5], off
	global_load_dwordx4 v[58:61], v[6:7], off
	v_add_nc_u32_e32 v6, s6, v16
	v_add_co_ci_u32_e64 v11, null, v90, v11, vcc_lo
	v_ashrrev_i32_e32 v13, 31, v12
	s_clause 0x1
	global_load_dwordx4 v[46:49], v[8:9], off
	global_load_dwordx4 v[42:45], v[10:11], off
	v_add_nc_u32_e32 v10, s6, v6
	v_add_co_u32 v18, vcc_lo, v14, s8
	v_lshlrev_b64 v[4:5], 4, v[12:13]
	v_add_co_ci_u32_e64 v19, null, s9, v15, vcc_lo
	v_add_nc_u32_e32 v12, s6, v10
	v_ashrrev_i32_e32 v17, 31, v16
	s_clause 0x1
	global_load_dwordx4 v[74:77], v[14:15], off
	global_load_dwordx4 v[70:73], v[18:19], off
	v_ashrrev_i32_e32 v3, 31, v2
	v_ashrrev_i32_e32 v7, 31, v6
	v_add_nc_u32_e32 v14, s6, v12
	v_lshlrev_b64 v[8:9], 4, v[16:17]
	v_ashrrev_i32_e32 v11, 31, v10
	v_lshlrev_b64 v[2:3], 4, v[2:3]
	v_ashrrev_i32_e32 v13, 31, v12
	v_add_nc_u32_e32 v16, s6, v14
	v_lshlrev_b64 v[6:7], 4, v[6:7]
	v_ashrrev_i32_e32 v15, 31, v14
	v_lshlrev_b64 v[10:11], 4, v[10:11]
	v_add_co_u32 v2, vcc_lo, v89, v2
	v_add_nc_u32_e32 v18, s6, v16
	v_add_co_ci_u32_e64 v3, null, v90, v3, vcc_lo
	v_add_co_u32 v4, vcc_lo, v89, v4
	v_add_nc_u32_e32 v20, s6, v18
	v_ashrrev_i32_e32 v17, 31, v16
	v_add_co_ci_u32_e64 v5, null, v90, v5, vcc_lo
	v_add_co_u32 v8, vcc_lo, v89, v8
	v_add_nc_u32_e32 v22, s6, v20
	v_lshlrev_b64 v[12:13], 4, v[12:13]
	v_ashrrev_i32_e32 v19, 31, v18
	v_add_co_ci_u32_e64 v9, null, v90, v9, vcc_lo
	v_add_co_u32 v6, vcc_lo, v89, v6
	v_lshlrev_b64 v[14:15], 4, v[14:15]
	v_ashrrev_i32_e32 v21, 31, v20
	v_add_nc_u32_e32 v24, s6, v22
	v_add_co_ci_u32_e64 v7, null, v90, v7, vcc_lo
	v_add_co_u32 v10, vcc_lo, v89, v10
	v_lshlrev_b64 v[16:17], 4, v[16:17]
	v_ashrrev_i32_e32 v23, 31, v22
	v_add_co_ci_u32_e64 v11, null, v90, v11, vcc_lo
	v_add_co_u32 v12, vcc_lo, v89, v12
	v_lshlrev_b64 v[18:19], 4, v[18:19]
	v_add_co_ci_u32_e64 v13, null, v90, v13, vcc_lo
	v_add_co_u32 v14, vcc_lo, v89, v14
	v_lshlrev_b64 v[20:21], 4, v[20:21]
	v_add_nc_u32_e32 v26, s6, v24
	v_add_co_ci_u32_e64 v15, null, v90, v15, vcc_lo
	v_add_co_u32 v16, vcc_lo, v89, v16
	v_lshlrev_b64 v[22:23], 4, v[22:23]
	v_ashrrev_i32_e32 v25, 31, v24
	v_add_co_ci_u32_e64 v17, null, v90, v17, vcc_lo
	v_add_co_u32 v18, vcc_lo, v89, v18
	v_ashrrev_i32_e32 v27, 31, v26
	v_add_co_ci_u32_e64 v19, null, v90, v19, vcc_lo
	v_add_co_u32 v78, vcc_lo, v89, v20
	v_add_co_ci_u32_e64 v79, null, v90, v21, vcc_lo
	v_lshlrev_b64 v[20:21], 4, v[24:25]
	v_add_co_u32 v80, vcc_lo, v89, v22
	v_add_co_ci_u32_e64 v81, null, v90, v23, vcc_lo
	v_lshlrev_b64 v[22:23], 4, v[26:27]
	v_add_co_u32 v86, vcc_lo, v89, v20
	v_add_co_ci_u32_e64 v87, null, v90, v21, vcc_lo
	s_max_i32 s0, s18, 19
	v_add_co_u32 v91, vcc_lo, v89, v22
	v_add_co_ci_u32_e64 v92, null, v90, v23, vcc_lo
	s_clause 0xc
	global_load_dwordx4 v[66:69], v[2:3], off
	global_load_dwordx4 v[54:57], v[4:5], off
	global_load_dwordx4 v[50:53], v[8:9], off
	global_load_dwordx4 v[38:41], v[6:7], off
	global_load_dwordx4 v[34:37], v[10:11], off
	global_load_dwordx4 v[30:33], v[12:13], off
	global_load_dwordx4 v[26:29], v[14:15], off
	global_load_dwordx4 v[22:25], v[16:17], off
	global_load_dwordx4 v[18:21], v[18:19], off
	global_load_dwordx4 v[14:17], v[78:79], off
	global_load_dwordx4 v[10:13], v[80:81], off
	global_load_dwordx4 v[6:9], v[86:87], off
	global_load_dwordx4 v[2:5], v[91:92], off
	v_mul_lo_u32 v86, s0, v1
	s_cmp_lt_i32 s18, 2
	v_lshl_add_u32 v1, v86, 4, 0
	v_add_nc_u32_e32 v78, v1, v88
	v_lshlrev_b32_e32 v88, 4, v86
	v_mov_b32_e32 v86, 0
	s_waitcnt vmcnt(14)
	ds_write2_b64 v78, v[74:75], v[76:77] offset1:1
	s_waitcnt vmcnt(0) lgkmcnt(0)
	s_barrier
	buffer_gl0_inv
	ds_read2_b64 v[78:81], v1 offset1:1
	s_cbranch_scc1 .LBB36_6
; %bb.4:
	v_add3_u32 v87, v88, 0, 16
	v_mov_b32_e32 v86, 0
	s_mov_b32 s3, 1
	s_inst_prefetch 0x1
	.p2align	6
.LBB36_5:                               ; =>This Inner Loop Header: Depth=1
	ds_read2_b64 v[91:94], v87 offset1:1
	s_waitcnt lgkmcnt(1)
	v_cmp_gt_f64_e32 vcc_lo, 0, v[78:79]
	v_cmp_gt_f64_e64 s0, 0, v[80:81]
	v_xor_b32_e32 v96, 0x80000000, v79
	v_xor_b32_e32 v98, 0x80000000, v81
	v_mov_b32_e32 v95, v78
	v_mov_b32_e32 v97, v80
	v_add_nc_u32_e32 v87, 16, v87
	s_waitcnt lgkmcnt(0)
	v_cmp_gt_f64_e64 s1, 0, v[91:92]
	v_cmp_gt_f64_e64 s2, 0, v[93:94]
	v_xor_b32_e32 v100, 0x80000000, v92
	v_xor_b32_e32 v102, 0x80000000, v94
	v_mov_b32_e32 v99, v91
	v_mov_b32_e32 v101, v93
	v_cndmask_b32_e32 v96, v79, v96, vcc_lo
	v_cndmask_b32_e64 v98, v81, v98, s0
	v_add_f64 v[95:96], v[95:96], v[97:98]
	v_cndmask_b32_e64 v100, v92, v100, s1
	v_cndmask_b32_e64 v102, v94, v102, s2
	v_add_f64 v[97:98], v[99:100], v[101:102]
	v_cmp_lt_f64_e32 vcc_lo, v[95:96], v[97:98]
	v_cndmask_b32_e32 v79, v79, v92, vcc_lo
	v_cndmask_b32_e32 v78, v78, v91, vcc_lo
	;; [unrolled: 1-line block ×4, first 2 shown]
	v_cndmask_b32_e64 v86, v86, s3, vcc_lo
	s_add_i32 s3, s3, 1
	s_cmp_eq_u32 s18, s3
	s_cbranch_scc0 .LBB36_5
.LBB36_6:
	s_inst_prefetch 0x2
	s_waitcnt lgkmcnt(0)
	v_cmp_neq_f64_e32 vcc_lo, 0, v[78:79]
	v_cmp_neq_f64_e64 s0, 0, v[80:81]
	v_mov_b32_e32 v91, 1
	v_mov_b32_e32 v93, 1
	s_or_b32 s1, vcc_lo, s0
	s_and_saveexec_b32 s0, s1
	s_cbranch_execz .LBB36_12
; %bb.7:
	v_cmp_ngt_f64_e64 s1, |v[78:79]|, |v[80:81]|
	s_and_saveexec_b32 s2, s1
	s_xor_b32 s1, exec_lo, s2
	s_cbranch_execz .LBB36_9
; %bb.8:
	v_div_scale_f64 v[91:92], null, v[80:81], v[80:81], v[78:79]
	v_div_scale_f64 v[97:98], vcc_lo, v[78:79], v[80:81], v[78:79]
	v_rcp_f64_e32 v[93:94], v[91:92]
	v_fma_f64 v[95:96], -v[91:92], v[93:94], 1.0
	v_fma_f64 v[93:94], v[93:94], v[95:96], v[93:94]
	v_fma_f64 v[95:96], -v[91:92], v[93:94], 1.0
	v_fma_f64 v[93:94], v[93:94], v[95:96], v[93:94]
	v_mul_f64 v[95:96], v[97:98], v[93:94]
	v_fma_f64 v[91:92], -v[91:92], v[95:96], v[97:98]
	v_div_fmas_f64 v[91:92], v[91:92], v[93:94], v[95:96]
	v_div_fixup_f64 v[91:92], v[91:92], v[80:81], v[78:79]
	v_fma_f64 v[78:79], v[78:79], v[91:92], v[80:81]
	v_div_scale_f64 v[80:81], null, v[78:79], v[78:79], 1.0
	v_rcp_f64_e32 v[93:94], v[80:81]
	v_fma_f64 v[95:96], -v[80:81], v[93:94], 1.0
	v_fma_f64 v[93:94], v[93:94], v[95:96], v[93:94]
	v_fma_f64 v[95:96], -v[80:81], v[93:94], 1.0
	v_fma_f64 v[93:94], v[93:94], v[95:96], v[93:94]
	v_div_scale_f64 v[95:96], vcc_lo, 1.0, v[78:79], 1.0
	v_mul_f64 v[97:98], v[95:96], v[93:94]
	v_fma_f64 v[80:81], -v[80:81], v[97:98], v[95:96]
	v_div_fmas_f64 v[80:81], v[80:81], v[93:94], v[97:98]
	v_div_fixup_f64 v[80:81], v[80:81], v[78:79], 1.0
	v_mul_f64 v[78:79], v[91:92], v[80:81]
	v_xor_b32_e32 v81, 0x80000000, v81
.LBB36_9:
	s_andn2_saveexec_b32 s1, s1
	s_cbranch_execz .LBB36_11
; %bb.10:
	v_div_scale_f64 v[91:92], null, v[78:79], v[78:79], v[80:81]
	v_div_scale_f64 v[97:98], vcc_lo, v[80:81], v[78:79], v[80:81]
	v_rcp_f64_e32 v[93:94], v[91:92]
	v_fma_f64 v[95:96], -v[91:92], v[93:94], 1.0
	v_fma_f64 v[93:94], v[93:94], v[95:96], v[93:94]
	v_fma_f64 v[95:96], -v[91:92], v[93:94], 1.0
	v_fma_f64 v[93:94], v[93:94], v[95:96], v[93:94]
	v_mul_f64 v[95:96], v[97:98], v[93:94]
	v_fma_f64 v[91:92], -v[91:92], v[95:96], v[97:98]
	v_div_fmas_f64 v[91:92], v[91:92], v[93:94], v[95:96]
	v_div_fixup_f64 v[91:92], v[91:92], v[78:79], v[80:81]
	v_fma_f64 v[78:79], v[80:81], v[91:92], v[78:79]
	v_div_scale_f64 v[80:81], null, v[78:79], v[78:79], 1.0
	v_rcp_f64_e32 v[93:94], v[80:81]
	v_fma_f64 v[95:96], -v[80:81], v[93:94], 1.0
	v_fma_f64 v[93:94], v[93:94], v[95:96], v[93:94]
	v_fma_f64 v[95:96], -v[80:81], v[93:94], 1.0
	v_fma_f64 v[93:94], v[93:94], v[95:96], v[93:94]
	v_div_scale_f64 v[95:96], vcc_lo, 1.0, v[78:79], 1.0
	v_mul_f64 v[97:98], v[95:96], v[93:94]
	v_fma_f64 v[80:81], -v[80:81], v[97:98], v[95:96]
	v_div_fmas_f64 v[80:81], v[80:81], v[93:94], v[97:98]
	v_div_fixup_f64 v[78:79], v[80:81], v[78:79], 1.0
	v_mul_f64 v[80:81], v[91:92], -v[78:79]
.LBB36_11:
	s_or_b32 exec_lo, exec_lo, s1
	v_mov_b32_e32 v93, 0
	v_mov_b32_e32 v91, 2
.LBB36_12:
	s_or_b32 exec_lo, exec_lo, s0
	s_mov_b32 s0, exec_lo
	v_cmpx_ne_u32_e64 v0, v86
	s_xor_b32 s0, exec_lo, s0
	s_cbranch_execz .LBB36_18
; %bb.13:
	s_mov_b32 s1, exec_lo
	v_cmpx_eq_u32_e32 0, v0
	s_cbranch_execz .LBB36_17
; %bb.14:
	v_cmp_ne_u32_e32 vcc_lo, 0, v86
	s_xor_b32 s2, s16, -1
	s_and_b32 s3, s2, vcc_lo
	s_and_saveexec_b32 s2, s3
	s_cbranch_execz .LBB36_16
; %bb.15:
	v_ashrrev_i32_e32 v87, 31, v86
	v_lshlrev_b64 v[94:95], 2, v[86:87]
	v_add_co_u32 v94, vcc_lo, v84, v94
	v_add_co_ci_u32_e64 v95, null, v85, v95, vcc_lo
	s_clause 0x1
	global_load_dword v0, v[94:95], off
	global_load_dword v87, v[84:85], off
	s_waitcnt vmcnt(1)
	global_store_dword v[84:85], v0, off
	s_waitcnt vmcnt(0)
	global_store_dword v[94:95], v87, off
.LBB36_16:
	s_or_b32 exec_lo, exec_lo, s2
	v_mov_b32_e32 v0, v86
.LBB36_17:
	s_or_b32 exec_lo, exec_lo, s1
.LBB36_18:
	s_or_saveexec_b32 s0, s0
	v_mov_b32_e32 v92, v0
	s_xor_b32 exec_lo, exec_lo, s0
	s_cbranch_execz .LBB36_20
; %bb.19:
	v_mov_b32_e32 v92, 0
	ds_write2_b64 v1, v[70:71], v[72:73] offset0:2 offset1:3
	ds_write2_b64 v1, v[62:63], v[64:65] offset0:4 offset1:5
	;; [unrolled: 1-line block ×18, first 2 shown]
.LBB36_20:
	s_or_b32 exec_lo, exec_lo, s0
	s_mov_b32 s0, exec_lo
	s_waitcnt lgkmcnt(0)
	s_waitcnt_vscnt null, 0x0
	s_barrier
	buffer_gl0_inv
	v_cmpx_lt_i32_e32 0, v92
	s_cbranch_execz .LBB36_22
; %bb.21:
	v_mul_f64 v[86:87], v[80:81], v[76:77]
	v_mul_f64 v[76:77], v[78:79], v[76:77]
	v_fma_f64 v[86:87], v[78:79], v[74:75], -v[86:87]
	v_fma_f64 v[76:77], v[80:81], v[74:75], v[76:77]
	ds_read2_b64 v[78:81], v1 offset0:2 offset1:3
	s_waitcnt lgkmcnt(0)
	v_mul_f64 v[74:75], v[80:81], v[76:77]
	v_fma_f64 v[74:75], v[78:79], v[86:87], -v[74:75]
	v_mul_f64 v[78:79], v[78:79], v[76:77]
	v_add_f64 v[70:71], v[70:71], -v[74:75]
	v_fma_f64 v[78:79], v[80:81], v[86:87], v[78:79]
	v_add_f64 v[72:73], v[72:73], -v[78:79]
	ds_read2_b64 v[78:81], v1 offset0:4 offset1:5
	s_waitcnt lgkmcnt(0)
	v_mul_f64 v[74:75], v[80:81], v[76:77]
	v_fma_f64 v[74:75], v[78:79], v[86:87], -v[74:75]
	v_mul_f64 v[78:79], v[78:79], v[76:77]
	v_add_f64 v[62:63], v[62:63], -v[74:75]
	v_fma_f64 v[78:79], v[80:81], v[86:87], v[78:79]
	v_add_f64 v[64:65], v[64:65], -v[78:79]
	;; [unrolled: 8-line block ×17, first 2 shown]
	ds_read2_b64 v[78:81], v1 offset0:36 offset1:37
	s_waitcnt lgkmcnt(0)
	v_mul_f64 v[74:75], v[80:81], v[76:77]
	v_fma_f64 v[74:75], v[78:79], v[86:87], -v[74:75]
	v_mul_f64 v[78:79], v[78:79], v[76:77]
	v_add_f64 v[2:3], v[2:3], -v[74:75]
	v_fma_f64 v[78:79], v[80:81], v[86:87], v[78:79]
	v_mov_b32_e32 v74, v86
	v_mov_b32_e32 v75, v87
	v_add_f64 v[4:5], v[4:5], -v[78:79]
.LBB36_22:
	s_or_b32 exec_lo, exec_lo, s0
	v_lshl_add_u32 v78, v92, 4, v1
	s_barrier
	buffer_gl0_inv
	v_mov_b32_e32 v86, 1
	ds_write2_b64 v78, v[70:71], v[72:73] offset1:1
	s_waitcnt lgkmcnt(0)
	s_barrier
	buffer_gl0_inv
	ds_read2_b64 v[78:81], v1 offset0:2 offset1:3
	s_cmp_lt_i32 s18, 3
	s_cbranch_scc1 .LBB36_25
; %bb.23:
	v_add3_u32 v87, v88, 0, 32
	v_mov_b32_e32 v86, 1
	s_mov_b32 s1, 2
	s_inst_prefetch 0x1
	.p2align	6
.LBB36_24:                              ; =>This Inner Loop Header: Depth=1
	s_waitcnt lgkmcnt(0)
	v_cmp_gt_f64_e32 vcc_lo, 0, v[80:81]
	v_cmp_gt_f64_e64 s0, 0, v[78:79]
	ds_read2_b64 v[94:97], v87 offset1:1
	v_xor_b32_e32 v99, 0x80000000, v79
	v_xor_b32_e32 v101, 0x80000000, v81
	v_mov_b32_e32 v98, v78
	v_mov_b32_e32 v100, v80
	v_add_nc_u32_e32 v87, 16, v87
	s_waitcnt lgkmcnt(0)
	v_xor_b32_e32 v103, 0x80000000, v97
	v_cndmask_b32_e64 v99, v79, v99, s0
	v_cndmask_b32_e32 v101, v81, v101, vcc_lo
	v_cmp_gt_f64_e32 vcc_lo, 0, v[96:97]
	v_cmp_gt_f64_e64 s0, 0, v[94:95]
	v_mov_b32_e32 v102, v96
	v_add_f64 v[98:99], v[98:99], v[100:101]
	v_xor_b32_e32 v101, 0x80000000, v95
	v_mov_b32_e32 v100, v94
	v_cndmask_b32_e32 v103, v97, v103, vcc_lo
	v_cndmask_b32_e64 v101, v95, v101, s0
	v_add_f64 v[100:101], v[100:101], v[102:103]
	v_cmp_lt_f64_e32 vcc_lo, v[98:99], v[100:101]
	v_cndmask_b32_e32 v79, v79, v95, vcc_lo
	v_cndmask_b32_e32 v78, v78, v94, vcc_lo
	;; [unrolled: 1-line block ×4, first 2 shown]
	v_cndmask_b32_e64 v86, v86, s1, vcc_lo
	s_add_i32 s1, s1, 1
	s_cmp_lg_u32 s18, s1
	s_cbranch_scc1 .LBB36_24
.LBB36_25:
	s_inst_prefetch 0x2
	s_waitcnt lgkmcnt(0)
	v_cmp_neq_f64_e32 vcc_lo, 0, v[78:79]
	v_cmp_neq_f64_e64 s0, 0, v[80:81]
	s_or_b32 s1, vcc_lo, s0
	s_and_saveexec_b32 s0, s1
	s_cbranch_execz .LBB36_31
; %bb.26:
	v_cmp_ngt_f64_e64 s1, |v[78:79]|, |v[80:81]|
	s_and_saveexec_b32 s2, s1
	s_xor_b32 s1, exec_lo, s2
	s_cbranch_execz .LBB36_28
; %bb.27:
	v_div_scale_f64 v[94:95], null, v[80:81], v[80:81], v[78:79]
	v_div_scale_f64 v[100:101], vcc_lo, v[78:79], v[80:81], v[78:79]
	v_rcp_f64_e32 v[96:97], v[94:95]
	v_fma_f64 v[98:99], -v[94:95], v[96:97], 1.0
	v_fma_f64 v[96:97], v[96:97], v[98:99], v[96:97]
	v_fma_f64 v[98:99], -v[94:95], v[96:97], 1.0
	v_fma_f64 v[96:97], v[96:97], v[98:99], v[96:97]
	v_mul_f64 v[98:99], v[100:101], v[96:97]
	v_fma_f64 v[94:95], -v[94:95], v[98:99], v[100:101]
	v_div_fmas_f64 v[94:95], v[94:95], v[96:97], v[98:99]
	v_div_fixup_f64 v[94:95], v[94:95], v[80:81], v[78:79]
	v_fma_f64 v[78:79], v[78:79], v[94:95], v[80:81]
	v_div_scale_f64 v[80:81], null, v[78:79], v[78:79], 1.0
	v_rcp_f64_e32 v[96:97], v[80:81]
	v_fma_f64 v[98:99], -v[80:81], v[96:97], 1.0
	v_fma_f64 v[96:97], v[96:97], v[98:99], v[96:97]
	v_fma_f64 v[98:99], -v[80:81], v[96:97], 1.0
	v_fma_f64 v[96:97], v[96:97], v[98:99], v[96:97]
	v_div_scale_f64 v[98:99], vcc_lo, 1.0, v[78:79], 1.0
	v_mul_f64 v[100:101], v[98:99], v[96:97]
	v_fma_f64 v[80:81], -v[80:81], v[100:101], v[98:99]
	v_div_fmas_f64 v[80:81], v[80:81], v[96:97], v[100:101]
	v_div_fixup_f64 v[80:81], v[80:81], v[78:79], 1.0
	v_mul_f64 v[78:79], v[94:95], v[80:81]
	v_xor_b32_e32 v81, 0x80000000, v81
.LBB36_28:
	s_andn2_saveexec_b32 s1, s1
	s_cbranch_execz .LBB36_30
; %bb.29:
	v_div_scale_f64 v[94:95], null, v[78:79], v[78:79], v[80:81]
	v_div_scale_f64 v[100:101], vcc_lo, v[80:81], v[78:79], v[80:81]
	v_rcp_f64_e32 v[96:97], v[94:95]
	v_fma_f64 v[98:99], -v[94:95], v[96:97], 1.0
	v_fma_f64 v[96:97], v[96:97], v[98:99], v[96:97]
	v_fma_f64 v[98:99], -v[94:95], v[96:97], 1.0
	v_fma_f64 v[96:97], v[96:97], v[98:99], v[96:97]
	v_mul_f64 v[98:99], v[100:101], v[96:97]
	v_fma_f64 v[94:95], -v[94:95], v[98:99], v[100:101]
	v_div_fmas_f64 v[94:95], v[94:95], v[96:97], v[98:99]
	v_div_fixup_f64 v[94:95], v[94:95], v[78:79], v[80:81]
	v_fma_f64 v[78:79], v[80:81], v[94:95], v[78:79]
	v_div_scale_f64 v[80:81], null, v[78:79], v[78:79], 1.0
	v_rcp_f64_e32 v[96:97], v[80:81]
	v_fma_f64 v[98:99], -v[80:81], v[96:97], 1.0
	v_fma_f64 v[96:97], v[96:97], v[98:99], v[96:97]
	v_fma_f64 v[98:99], -v[80:81], v[96:97], 1.0
	v_fma_f64 v[96:97], v[96:97], v[98:99], v[96:97]
	v_div_scale_f64 v[98:99], vcc_lo, 1.0, v[78:79], 1.0
	v_mul_f64 v[100:101], v[98:99], v[96:97]
	v_fma_f64 v[80:81], -v[80:81], v[100:101], v[98:99]
	v_div_fmas_f64 v[80:81], v[80:81], v[96:97], v[100:101]
	v_div_fixup_f64 v[78:79], v[80:81], v[78:79], 1.0
	v_mul_f64 v[80:81], v[94:95], -v[78:79]
.LBB36_30:
	s_or_b32 exec_lo, exec_lo, s1
	v_mov_b32_e32 v91, v93
.LBB36_31:
	s_or_b32 exec_lo, exec_lo, s0
	s_mov_b32 s0, exec_lo
	v_cmpx_ne_u32_e64 v92, v86
	s_xor_b32 s0, exec_lo, s0
	s_cbranch_execz .LBB36_37
; %bb.32:
	s_mov_b32 s1, exec_lo
	v_cmpx_eq_u32_e32 1, v92
	s_cbranch_execz .LBB36_36
; %bb.33:
	v_cmp_ne_u32_e32 vcc_lo, 1, v86
	s_xor_b32 s2, s16, -1
	s_and_b32 s3, s2, vcc_lo
	s_and_saveexec_b32 s2, s3
	s_cbranch_execz .LBB36_35
; %bb.34:
	v_ashrrev_i32_e32 v87, 31, v86
	v_lshlrev_b64 v[92:93], 2, v[86:87]
	v_add_co_u32 v92, vcc_lo, v84, v92
	v_add_co_ci_u32_e64 v93, null, v85, v93, vcc_lo
	s_clause 0x1
	global_load_dword v0, v[92:93], off
	global_load_dword v87, v[84:85], off offset:4
	s_waitcnt vmcnt(1)
	global_store_dword v[84:85], v0, off offset:4
	s_waitcnt vmcnt(0)
	global_store_dword v[92:93], v87, off
.LBB36_35:
	s_or_b32 exec_lo, exec_lo, s2
	v_mov_b32_e32 v92, v86
	v_mov_b32_e32 v0, v86
.LBB36_36:
	s_or_b32 exec_lo, exec_lo, s1
.LBB36_37:
	s_andn2_saveexec_b32 s0, s0
	s_cbranch_execz .LBB36_39
; %bb.38:
	v_mov_b32_e32 v92, 1
	ds_write2_b64 v1, v[62:63], v[64:65] offset0:4 offset1:5
	ds_write2_b64 v1, v[58:59], v[60:61] offset0:6 offset1:7
	;; [unrolled: 1-line block ×17, first 2 shown]
.LBB36_39:
	s_or_b32 exec_lo, exec_lo, s0
	s_mov_b32 s0, exec_lo
	s_waitcnt lgkmcnt(0)
	s_waitcnt_vscnt null, 0x0
	s_barrier
	buffer_gl0_inv
	v_cmpx_lt_i32_e32 1, v92
	s_cbranch_execz .LBB36_41
; %bb.40:
	v_mul_f64 v[86:87], v[80:81], v[72:73]
	v_mul_f64 v[72:73], v[78:79], v[72:73]
	v_fma_f64 v[86:87], v[78:79], v[70:71], -v[86:87]
	v_fma_f64 v[72:73], v[80:81], v[70:71], v[72:73]
	ds_read2_b64 v[78:81], v1 offset0:4 offset1:5
	s_waitcnt lgkmcnt(0)
	v_mul_f64 v[70:71], v[80:81], v[72:73]
	v_fma_f64 v[70:71], v[78:79], v[86:87], -v[70:71]
	v_mul_f64 v[78:79], v[78:79], v[72:73]
	v_add_f64 v[62:63], v[62:63], -v[70:71]
	v_fma_f64 v[78:79], v[80:81], v[86:87], v[78:79]
	v_add_f64 v[64:65], v[64:65], -v[78:79]
	ds_read2_b64 v[78:81], v1 offset0:6 offset1:7
	s_waitcnt lgkmcnt(0)
	v_mul_f64 v[70:71], v[80:81], v[72:73]
	v_fma_f64 v[70:71], v[78:79], v[86:87], -v[70:71]
	v_mul_f64 v[78:79], v[78:79], v[72:73]
	v_add_f64 v[58:59], v[58:59], -v[70:71]
	v_fma_f64 v[78:79], v[80:81], v[86:87], v[78:79]
	v_add_f64 v[60:61], v[60:61], -v[78:79]
	;; [unrolled: 8-line block ×16, first 2 shown]
	ds_read2_b64 v[78:81], v1 offset0:36 offset1:37
	s_waitcnt lgkmcnt(0)
	v_mul_f64 v[70:71], v[80:81], v[72:73]
	v_fma_f64 v[70:71], v[78:79], v[86:87], -v[70:71]
	v_mul_f64 v[78:79], v[78:79], v[72:73]
	v_add_f64 v[2:3], v[2:3], -v[70:71]
	v_fma_f64 v[78:79], v[80:81], v[86:87], v[78:79]
	v_mov_b32_e32 v70, v86
	v_mov_b32_e32 v71, v87
	v_add_f64 v[4:5], v[4:5], -v[78:79]
.LBB36_41:
	s_or_b32 exec_lo, exec_lo, s0
	v_lshl_add_u32 v78, v92, 4, v1
	s_barrier
	buffer_gl0_inv
	v_mov_b32_e32 v86, 2
	ds_write2_b64 v78, v[62:63], v[64:65] offset1:1
	s_waitcnt lgkmcnt(0)
	s_barrier
	buffer_gl0_inv
	ds_read2_b64 v[78:81], v1 offset0:4 offset1:5
	s_cmp_lt_i32 s18, 4
	s_cbranch_scc1 .LBB36_44
; %bb.42:
	v_add3_u32 v87, v88, 0, 48
	v_mov_b32_e32 v86, 2
	s_mov_b32 s1, 3
	s_inst_prefetch 0x1
	.p2align	6
.LBB36_43:                              ; =>This Inner Loop Header: Depth=1
	s_waitcnt lgkmcnt(0)
	v_cmp_gt_f64_e32 vcc_lo, 0, v[80:81]
	v_cmp_gt_f64_e64 s0, 0, v[78:79]
	ds_read2_b64 v[93:96], v87 offset1:1
	v_xor_b32_e32 v98, 0x80000000, v79
	v_xor_b32_e32 v100, 0x80000000, v81
	v_mov_b32_e32 v97, v78
	v_mov_b32_e32 v99, v80
	v_add_nc_u32_e32 v87, 16, v87
	s_waitcnt lgkmcnt(0)
	v_xor_b32_e32 v102, 0x80000000, v96
	v_cndmask_b32_e64 v98, v79, v98, s0
	v_cndmask_b32_e32 v100, v81, v100, vcc_lo
	v_cmp_gt_f64_e32 vcc_lo, 0, v[95:96]
	v_cmp_gt_f64_e64 s0, 0, v[93:94]
	v_mov_b32_e32 v101, v95
	v_add_f64 v[97:98], v[97:98], v[99:100]
	v_xor_b32_e32 v100, 0x80000000, v94
	v_mov_b32_e32 v99, v93
	v_cndmask_b32_e32 v102, v96, v102, vcc_lo
	v_cndmask_b32_e64 v100, v94, v100, s0
	v_add_f64 v[99:100], v[99:100], v[101:102]
	v_cmp_lt_f64_e32 vcc_lo, v[97:98], v[99:100]
	v_cndmask_b32_e32 v79, v79, v94, vcc_lo
	v_cndmask_b32_e32 v78, v78, v93, vcc_lo
	;; [unrolled: 1-line block ×4, first 2 shown]
	v_cndmask_b32_e64 v86, v86, s1, vcc_lo
	s_add_i32 s1, s1, 1
	s_cmp_lg_u32 s18, s1
	s_cbranch_scc1 .LBB36_43
.LBB36_44:
	s_inst_prefetch 0x2
	s_waitcnt lgkmcnt(0)
	v_cmp_eq_f64_e32 vcc_lo, 0, v[78:79]
	v_cmp_eq_f64_e64 s0, 0, v[80:81]
	s_and_b32 s0, vcc_lo, s0
	s_and_saveexec_b32 s1, s0
	s_xor_b32 s0, exec_lo, s1
; %bb.45:
	v_cmp_ne_u32_e32 vcc_lo, 0, v91
	v_cndmask_b32_e32 v91, 3, v91, vcc_lo
; %bb.46:
	s_andn2_saveexec_b32 s0, s0
	s_cbranch_execz .LBB36_52
; %bb.47:
	v_cmp_ngt_f64_e64 s1, |v[78:79]|, |v[80:81]|
	s_and_saveexec_b32 s2, s1
	s_xor_b32 s1, exec_lo, s2
	s_cbranch_execz .LBB36_49
; %bb.48:
	v_div_scale_f64 v[93:94], null, v[80:81], v[80:81], v[78:79]
	v_div_scale_f64 v[99:100], vcc_lo, v[78:79], v[80:81], v[78:79]
	v_rcp_f64_e32 v[95:96], v[93:94]
	v_fma_f64 v[97:98], -v[93:94], v[95:96], 1.0
	v_fma_f64 v[95:96], v[95:96], v[97:98], v[95:96]
	v_fma_f64 v[97:98], -v[93:94], v[95:96], 1.0
	v_fma_f64 v[95:96], v[95:96], v[97:98], v[95:96]
	v_mul_f64 v[97:98], v[99:100], v[95:96]
	v_fma_f64 v[93:94], -v[93:94], v[97:98], v[99:100]
	v_div_fmas_f64 v[93:94], v[93:94], v[95:96], v[97:98]
	v_div_fixup_f64 v[93:94], v[93:94], v[80:81], v[78:79]
	v_fma_f64 v[78:79], v[78:79], v[93:94], v[80:81]
	v_div_scale_f64 v[80:81], null, v[78:79], v[78:79], 1.0
	v_rcp_f64_e32 v[95:96], v[80:81]
	v_fma_f64 v[97:98], -v[80:81], v[95:96], 1.0
	v_fma_f64 v[95:96], v[95:96], v[97:98], v[95:96]
	v_fma_f64 v[97:98], -v[80:81], v[95:96], 1.0
	v_fma_f64 v[95:96], v[95:96], v[97:98], v[95:96]
	v_div_scale_f64 v[97:98], vcc_lo, 1.0, v[78:79], 1.0
	v_mul_f64 v[99:100], v[97:98], v[95:96]
	v_fma_f64 v[80:81], -v[80:81], v[99:100], v[97:98]
	v_div_fmas_f64 v[80:81], v[80:81], v[95:96], v[99:100]
	v_div_fixup_f64 v[80:81], v[80:81], v[78:79], 1.0
	v_mul_f64 v[78:79], v[93:94], v[80:81]
	v_xor_b32_e32 v81, 0x80000000, v81
.LBB36_49:
	s_andn2_saveexec_b32 s1, s1
	s_cbranch_execz .LBB36_51
; %bb.50:
	v_div_scale_f64 v[93:94], null, v[78:79], v[78:79], v[80:81]
	v_div_scale_f64 v[99:100], vcc_lo, v[80:81], v[78:79], v[80:81]
	v_rcp_f64_e32 v[95:96], v[93:94]
	v_fma_f64 v[97:98], -v[93:94], v[95:96], 1.0
	v_fma_f64 v[95:96], v[95:96], v[97:98], v[95:96]
	v_fma_f64 v[97:98], -v[93:94], v[95:96], 1.0
	v_fma_f64 v[95:96], v[95:96], v[97:98], v[95:96]
	v_mul_f64 v[97:98], v[99:100], v[95:96]
	v_fma_f64 v[93:94], -v[93:94], v[97:98], v[99:100]
	v_div_fmas_f64 v[93:94], v[93:94], v[95:96], v[97:98]
	v_div_fixup_f64 v[93:94], v[93:94], v[78:79], v[80:81]
	v_fma_f64 v[78:79], v[80:81], v[93:94], v[78:79]
	v_div_scale_f64 v[80:81], null, v[78:79], v[78:79], 1.0
	v_rcp_f64_e32 v[95:96], v[80:81]
	v_fma_f64 v[97:98], -v[80:81], v[95:96], 1.0
	v_fma_f64 v[95:96], v[95:96], v[97:98], v[95:96]
	v_fma_f64 v[97:98], -v[80:81], v[95:96], 1.0
	v_fma_f64 v[95:96], v[95:96], v[97:98], v[95:96]
	v_div_scale_f64 v[97:98], vcc_lo, 1.0, v[78:79], 1.0
	v_mul_f64 v[99:100], v[97:98], v[95:96]
	v_fma_f64 v[80:81], -v[80:81], v[99:100], v[97:98]
	v_div_fmas_f64 v[80:81], v[80:81], v[95:96], v[99:100]
	v_div_fixup_f64 v[78:79], v[80:81], v[78:79], 1.0
	v_mul_f64 v[80:81], v[93:94], -v[78:79]
.LBB36_51:
	s_or_b32 exec_lo, exec_lo, s1
.LBB36_52:
	s_or_b32 exec_lo, exec_lo, s0
	s_mov_b32 s0, exec_lo
	v_cmpx_ne_u32_e64 v92, v86
	s_xor_b32 s0, exec_lo, s0
	s_cbranch_execz .LBB36_58
; %bb.53:
	s_mov_b32 s1, exec_lo
	v_cmpx_eq_u32_e32 2, v92
	s_cbranch_execz .LBB36_57
; %bb.54:
	v_cmp_ne_u32_e32 vcc_lo, 2, v86
	s_xor_b32 s2, s16, -1
	s_and_b32 s3, s2, vcc_lo
	s_and_saveexec_b32 s2, s3
	s_cbranch_execz .LBB36_56
; %bb.55:
	v_ashrrev_i32_e32 v87, 31, v86
	v_lshlrev_b64 v[92:93], 2, v[86:87]
	v_add_co_u32 v92, vcc_lo, v84, v92
	v_add_co_ci_u32_e64 v93, null, v85, v93, vcc_lo
	s_clause 0x1
	global_load_dword v0, v[92:93], off
	global_load_dword v87, v[84:85], off offset:8
	s_waitcnt vmcnt(1)
	global_store_dword v[84:85], v0, off offset:8
	s_waitcnt vmcnt(0)
	global_store_dword v[92:93], v87, off
.LBB36_56:
	s_or_b32 exec_lo, exec_lo, s2
	v_mov_b32_e32 v92, v86
	v_mov_b32_e32 v0, v86
.LBB36_57:
	s_or_b32 exec_lo, exec_lo, s1
.LBB36_58:
	s_andn2_saveexec_b32 s0, s0
	s_cbranch_execz .LBB36_60
; %bb.59:
	v_mov_b32_e32 v92, 2
	ds_write2_b64 v1, v[58:59], v[60:61] offset0:6 offset1:7
	ds_write2_b64 v1, v[46:47], v[48:49] offset0:8 offset1:9
	;; [unrolled: 1-line block ×16, first 2 shown]
.LBB36_60:
	s_or_b32 exec_lo, exec_lo, s0
	s_mov_b32 s0, exec_lo
	s_waitcnt lgkmcnt(0)
	s_waitcnt_vscnt null, 0x0
	s_barrier
	buffer_gl0_inv
	v_cmpx_lt_i32_e32 2, v92
	s_cbranch_execz .LBB36_62
; %bb.61:
	v_mul_f64 v[86:87], v[78:79], v[64:65]
	v_mul_f64 v[64:65], v[80:81], v[64:65]
	v_fma_f64 v[86:87], v[80:81], v[62:63], v[86:87]
	v_fma_f64 v[62:63], v[78:79], v[62:63], -v[64:65]
	ds_read2_b64 v[78:81], v1 offset0:6 offset1:7
	s_waitcnt lgkmcnt(0)
	v_mul_f64 v[64:65], v[80:81], v[86:87]
	v_fma_f64 v[64:65], v[78:79], v[62:63], -v[64:65]
	v_mul_f64 v[78:79], v[78:79], v[86:87]
	v_add_f64 v[58:59], v[58:59], -v[64:65]
	v_fma_f64 v[78:79], v[80:81], v[62:63], v[78:79]
	v_add_f64 v[60:61], v[60:61], -v[78:79]
	ds_read2_b64 v[78:81], v1 offset0:8 offset1:9
	s_waitcnt lgkmcnt(0)
	v_mul_f64 v[64:65], v[80:81], v[86:87]
	v_fma_f64 v[64:65], v[78:79], v[62:63], -v[64:65]
	v_mul_f64 v[78:79], v[78:79], v[86:87]
	v_add_f64 v[46:47], v[46:47], -v[64:65]
	v_fma_f64 v[78:79], v[80:81], v[62:63], v[78:79]
	v_add_f64 v[48:49], v[48:49], -v[78:79]
	;; [unrolled: 8-line block ×15, first 2 shown]
	ds_read2_b64 v[78:81], v1 offset0:36 offset1:37
	s_waitcnt lgkmcnt(0)
	v_mul_f64 v[64:65], v[80:81], v[86:87]
	v_fma_f64 v[64:65], v[78:79], v[62:63], -v[64:65]
	v_mul_f64 v[78:79], v[78:79], v[86:87]
	v_add_f64 v[2:3], v[2:3], -v[64:65]
	v_fma_f64 v[78:79], v[80:81], v[62:63], v[78:79]
	v_mov_b32_e32 v64, v86
	v_mov_b32_e32 v65, v87
	v_add_f64 v[4:5], v[4:5], -v[78:79]
.LBB36_62:
	s_or_b32 exec_lo, exec_lo, s0
	v_lshl_add_u32 v78, v92, 4, v1
	s_barrier
	buffer_gl0_inv
	v_mov_b32_e32 v86, 3
	ds_write2_b64 v78, v[58:59], v[60:61] offset1:1
	s_waitcnt lgkmcnt(0)
	s_barrier
	buffer_gl0_inv
	ds_read2_b64 v[78:81], v1 offset0:6 offset1:7
	s_cmp_lt_i32 s18, 5
	s_mov_b32 s1, 4
	s_cbranch_scc1 .LBB36_65
; %bb.63:
	v_add3_u32 v87, v88, 0, 64
	v_mov_b32_e32 v86, 3
	s_inst_prefetch 0x1
	.p2align	6
.LBB36_64:                              ; =>This Inner Loop Header: Depth=1
	s_waitcnt lgkmcnt(0)
	v_cmp_gt_f64_e32 vcc_lo, 0, v[80:81]
	v_cmp_gt_f64_e64 s0, 0, v[78:79]
	ds_read2_b64 v[93:96], v87 offset1:1
	v_xor_b32_e32 v98, 0x80000000, v79
	v_xor_b32_e32 v100, 0x80000000, v81
	v_mov_b32_e32 v97, v78
	v_mov_b32_e32 v99, v80
	v_add_nc_u32_e32 v87, 16, v87
	s_waitcnt lgkmcnt(0)
	v_xor_b32_e32 v102, 0x80000000, v96
	v_cndmask_b32_e64 v98, v79, v98, s0
	v_cndmask_b32_e32 v100, v81, v100, vcc_lo
	v_cmp_gt_f64_e32 vcc_lo, 0, v[95:96]
	v_cmp_gt_f64_e64 s0, 0, v[93:94]
	v_mov_b32_e32 v101, v95
	v_add_f64 v[97:98], v[97:98], v[99:100]
	v_xor_b32_e32 v100, 0x80000000, v94
	v_mov_b32_e32 v99, v93
	v_cndmask_b32_e32 v102, v96, v102, vcc_lo
	v_cndmask_b32_e64 v100, v94, v100, s0
	v_add_f64 v[99:100], v[99:100], v[101:102]
	v_cmp_lt_f64_e32 vcc_lo, v[97:98], v[99:100]
	v_cndmask_b32_e32 v79, v79, v94, vcc_lo
	v_cndmask_b32_e32 v78, v78, v93, vcc_lo
	;; [unrolled: 1-line block ×4, first 2 shown]
	v_cndmask_b32_e64 v86, v86, s1, vcc_lo
	s_add_i32 s1, s1, 1
	s_cmp_lg_u32 s18, s1
	s_cbranch_scc1 .LBB36_64
.LBB36_65:
	s_inst_prefetch 0x2
	s_waitcnt lgkmcnt(0)
	v_cmp_eq_f64_e32 vcc_lo, 0, v[78:79]
	v_cmp_eq_f64_e64 s0, 0, v[80:81]
	s_and_b32 s0, vcc_lo, s0
	s_and_saveexec_b32 s1, s0
	s_xor_b32 s0, exec_lo, s1
; %bb.66:
	v_cmp_ne_u32_e32 vcc_lo, 0, v91
	v_cndmask_b32_e32 v91, 4, v91, vcc_lo
; %bb.67:
	s_andn2_saveexec_b32 s0, s0
	s_cbranch_execz .LBB36_73
; %bb.68:
	v_cmp_ngt_f64_e64 s1, |v[78:79]|, |v[80:81]|
	s_and_saveexec_b32 s2, s1
	s_xor_b32 s1, exec_lo, s2
	s_cbranch_execz .LBB36_70
; %bb.69:
	v_div_scale_f64 v[93:94], null, v[80:81], v[80:81], v[78:79]
	v_div_scale_f64 v[99:100], vcc_lo, v[78:79], v[80:81], v[78:79]
	v_rcp_f64_e32 v[95:96], v[93:94]
	v_fma_f64 v[97:98], -v[93:94], v[95:96], 1.0
	v_fma_f64 v[95:96], v[95:96], v[97:98], v[95:96]
	v_fma_f64 v[97:98], -v[93:94], v[95:96], 1.0
	v_fma_f64 v[95:96], v[95:96], v[97:98], v[95:96]
	v_mul_f64 v[97:98], v[99:100], v[95:96]
	v_fma_f64 v[93:94], -v[93:94], v[97:98], v[99:100]
	v_div_fmas_f64 v[93:94], v[93:94], v[95:96], v[97:98]
	v_div_fixup_f64 v[93:94], v[93:94], v[80:81], v[78:79]
	v_fma_f64 v[78:79], v[78:79], v[93:94], v[80:81]
	v_div_scale_f64 v[80:81], null, v[78:79], v[78:79], 1.0
	v_rcp_f64_e32 v[95:96], v[80:81]
	v_fma_f64 v[97:98], -v[80:81], v[95:96], 1.0
	v_fma_f64 v[95:96], v[95:96], v[97:98], v[95:96]
	v_fma_f64 v[97:98], -v[80:81], v[95:96], 1.0
	v_fma_f64 v[95:96], v[95:96], v[97:98], v[95:96]
	v_div_scale_f64 v[97:98], vcc_lo, 1.0, v[78:79], 1.0
	v_mul_f64 v[99:100], v[97:98], v[95:96]
	v_fma_f64 v[80:81], -v[80:81], v[99:100], v[97:98]
	v_div_fmas_f64 v[80:81], v[80:81], v[95:96], v[99:100]
	v_div_fixup_f64 v[80:81], v[80:81], v[78:79], 1.0
	v_mul_f64 v[78:79], v[93:94], v[80:81]
	v_xor_b32_e32 v81, 0x80000000, v81
.LBB36_70:
	s_andn2_saveexec_b32 s1, s1
	s_cbranch_execz .LBB36_72
; %bb.71:
	v_div_scale_f64 v[93:94], null, v[78:79], v[78:79], v[80:81]
	v_div_scale_f64 v[99:100], vcc_lo, v[80:81], v[78:79], v[80:81]
	v_rcp_f64_e32 v[95:96], v[93:94]
	v_fma_f64 v[97:98], -v[93:94], v[95:96], 1.0
	v_fma_f64 v[95:96], v[95:96], v[97:98], v[95:96]
	v_fma_f64 v[97:98], -v[93:94], v[95:96], 1.0
	v_fma_f64 v[95:96], v[95:96], v[97:98], v[95:96]
	v_mul_f64 v[97:98], v[99:100], v[95:96]
	v_fma_f64 v[93:94], -v[93:94], v[97:98], v[99:100]
	v_div_fmas_f64 v[93:94], v[93:94], v[95:96], v[97:98]
	v_div_fixup_f64 v[93:94], v[93:94], v[78:79], v[80:81]
	v_fma_f64 v[78:79], v[80:81], v[93:94], v[78:79]
	v_div_scale_f64 v[80:81], null, v[78:79], v[78:79], 1.0
	v_rcp_f64_e32 v[95:96], v[80:81]
	v_fma_f64 v[97:98], -v[80:81], v[95:96], 1.0
	v_fma_f64 v[95:96], v[95:96], v[97:98], v[95:96]
	v_fma_f64 v[97:98], -v[80:81], v[95:96], 1.0
	v_fma_f64 v[95:96], v[95:96], v[97:98], v[95:96]
	v_div_scale_f64 v[97:98], vcc_lo, 1.0, v[78:79], 1.0
	v_mul_f64 v[99:100], v[97:98], v[95:96]
	v_fma_f64 v[80:81], -v[80:81], v[99:100], v[97:98]
	v_div_fmas_f64 v[80:81], v[80:81], v[95:96], v[99:100]
	v_div_fixup_f64 v[78:79], v[80:81], v[78:79], 1.0
	v_mul_f64 v[80:81], v[93:94], -v[78:79]
.LBB36_72:
	s_or_b32 exec_lo, exec_lo, s1
.LBB36_73:
	s_or_b32 exec_lo, exec_lo, s0
	s_mov_b32 s0, exec_lo
	v_cmpx_ne_u32_e64 v92, v86
	s_xor_b32 s0, exec_lo, s0
	s_cbranch_execz .LBB36_79
; %bb.74:
	s_mov_b32 s1, exec_lo
	v_cmpx_eq_u32_e32 3, v92
	s_cbranch_execz .LBB36_78
; %bb.75:
	v_cmp_ne_u32_e32 vcc_lo, 3, v86
	s_xor_b32 s2, s16, -1
	s_and_b32 s3, s2, vcc_lo
	s_and_saveexec_b32 s2, s3
	s_cbranch_execz .LBB36_77
; %bb.76:
	v_ashrrev_i32_e32 v87, 31, v86
	v_lshlrev_b64 v[92:93], 2, v[86:87]
	v_add_co_u32 v92, vcc_lo, v84, v92
	v_add_co_ci_u32_e64 v93, null, v85, v93, vcc_lo
	s_clause 0x1
	global_load_dword v0, v[92:93], off
	global_load_dword v87, v[84:85], off offset:12
	s_waitcnt vmcnt(1)
	global_store_dword v[84:85], v0, off offset:12
	s_waitcnt vmcnt(0)
	global_store_dword v[92:93], v87, off
.LBB36_77:
	s_or_b32 exec_lo, exec_lo, s2
	v_mov_b32_e32 v92, v86
	v_mov_b32_e32 v0, v86
.LBB36_78:
	s_or_b32 exec_lo, exec_lo, s1
.LBB36_79:
	s_andn2_saveexec_b32 s0, s0
	s_cbranch_execz .LBB36_81
; %bb.80:
	v_mov_b32_e32 v92, 3
	ds_write2_b64 v1, v[46:47], v[48:49] offset0:8 offset1:9
	ds_write2_b64 v1, v[42:43], v[44:45] offset0:10 offset1:11
	;; [unrolled: 1-line block ×15, first 2 shown]
.LBB36_81:
	s_or_b32 exec_lo, exec_lo, s0
	s_mov_b32 s0, exec_lo
	s_waitcnt lgkmcnt(0)
	s_waitcnt_vscnt null, 0x0
	s_barrier
	buffer_gl0_inv
	v_cmpx_lt_i32_e32 3, v92
	s_cbranch_execz .LBB36_83
; %bb.82:
	v_mul_f64 v[86:87], v[78:79], v[60:61]
	v_mul_f64 v[60:61], v[80:81], v[60:61]
	v_fma_f64 v[86:87], v[80:81], v[58:59], v[86:87]
	v_fma_f64 v[58:59], v[78:79], v[58:59], -v[60:61]
	ds_read2_b64 v[78:81], v1 offset0:8 offset1:9
	s_waitcnt lgkmcnt(0)
	v_mul_f64 v[60:61], v[80:81], v[86:87]
	v_fma_f64 v[60:61], v[78:79], v[58:59], -v[60:61]
	v_mul_f64 v[78:79], v[78:79], v[86:87]
	v_add_f64 v[46:47], v[46:47], -v[60:61]
	v_fma_f64 v[78:79], v[80:81], v[58:59], v[78:79]
	v_add_f64 v[48:49], v[48:49], -v[78:79]
	ds_read2_b64 v[78:81], v1 offset0:10 offset1:11
	s_waitcnt lgkmcnt(0)
	v_mul_f64 v[60:61], v[80:81], v[86:87]
	v_fma_f64 v[60:61], v[78:79], v[58:59], -v[60:61]
	v_mul_f64 v[78:79], v[78:79], v[86:87]
	v_add_f64 v[42:43], v[42:43], -v[60:61]
	v_fma_f64 v[78:79], v[80:81], v[58:59], v[78:79]
	v_add_f64 v[44:45], v[44:45], -v[78:79]
	;; [unrolled: 8-line block ×14, first 2 shown]
	ds_read2_b64 v[78:81], v1 offset0:36 offset1:37
	s_waitcnt lgkmcnt(0)
	v_mul_f64 v[60:61], v[80:81], v[86:87]
	v_fma_f64 v[60:61], v[78:79], v[58:59], -v[60:61]
	v_mul_f64 v[78:79], v[78:79], v[86:87]
	v_add_f64 v[2:3], v[2:3], -v[60:61]
	v_fma_f64 v[78:79], v[80:81], v[58:59], v[78:79]
	v_mov_b32_e32 v60, v86
	v_mov_b32_e32 v61, v87
	v_add_f64 v[4:5], v[4:5], -v[78:79]
.LBB36_83:
	s_or_b32 exec_lo, exec_lo, s0
	v_lshl_add_u32 v78, v92, 4, v1
	s_barrier
	buffer_gl0_inv
	v_mov_b32_e32 v86, 4
	ds_write2_b64 v78, v[46:47], v[48:49] offset1:1
	s_waitcnt lgkmcnt(0)
	s_barrier
	buffer_gl0_inv
	ds_read2_b64 v[78:81], v1 offset0:8 offset1:9
	s_cmp_lt_i32 s18, 6
	s_cbranch_scc1 .LBB36_86
; %bb.84:
	v_mov_b32_e32 v86, 4
	v_add3_u32 v87, v88, 0, 0x50
	s_mov_b32 s1, 5
	s_inst_prefetch 0x1
	.p2align	6
.LBB36_85:                              ; =>This Inner Loop Header: Depth=1
	s_waitcnt lgkmcnt(0)
	v_cmp_gt_f64_e32 vcc_lo, 0, v[80:81]
	v_cmp_gt_f64_e64 s0, 0, v[78:79]
	ds_read2_b64 v[93:96], v87 offset1:1
	v_xor_b32_e32 v98, 0x80000000, v79
	v_xor_b32_e32 v100, 0x80000000, v81
	v_mov_b32_e32 v97, v78
	v_mov_b32_e32 v99, v80
	v_add_nc_u32_e32 v87, 16, v87
	s_waitcnt lgkmcnt(0)
	v_xor_b32_e32 v102, 0x80000000, v96
	v_cndmask_b32_e64 v98, v79, v98, s0
	v_cndmask_b32_e32 v100, v81, v100, vcc_lo
	v_cmp_gt_f64_e32 vcc_lo, 0, v[95:96]
	v_cmp_gt_f64_e64 s0, 0, v[93:94]
	v_mov_b32_e32 v101, v95
	v_add_f64 v[97:98], v[97:98], v[99:100]
	v_xor_b32_e32 v100, 0x80000000, v94
	v_mov_b32_e32 v99, v93
	v_cndmask_b32_e32 v102, v96, v102, vcc_lo
	v_cndmask_b32_e64 v100, v94, v100, s0
	v_add_f64 v[99:100], v[99:100], v[101:102]
	v_cmp_lt_f64_e32 vcc_lo, v[97:98], v[99:100]
	v_cndmask_b32_e32 v79, v79, v94, vcc_lo
	v_cndmask_b32_e32 v78, v78, v93, vcc_lo
	;; [unrolled: 1-line block ×4, first 2 shown]
	v_cndmask_b32_e64 v86, v86, s1, vcc_lo
	s_add_i32 s1, s1, 1
	s_cmp_lg_u32 s18, s1
	s_cbranch_scc1 .LBB36_85
.LBB36_86:
	s_inst_prefetch 0x2
	s_waitcnt lgkmcnt(0)
	v_cmp_eq_f64_e32 vcc_lo, 0, v[78:79]
	v_cmp_eq_f64_e64 s0, 0, v[80:81]
	s_and_b32 s0, vcc_lo, s0
	s_and_saveexec_b32 s1, s0
	s_xor_b32 s0, exec_lo, s1
; %bb.87:
	v_cmp_ne_u32_e32 vcc_lo, 0, v91
	v_cndmask_b32_e32 v91, 5, v91, vcc_lo
; %bb.88:
	s_andn2_saveexec_b32 s0, s0
	s_cbranch_execz .LBB36_94
; %bb.89:
	v_cmp_ngt_f64_e64 s1, |v[78:79]|, |v[80:81]|
	s_and_saveexec_b32 s2, s1
	s_xor_b32 s1, exec_lo, s2
	s_cbranch_execz .LBB36_91
; %bb.90:
	v_div_scale_f64 v[93:94], null, v[80:81], v[80:81], v[78:79]
	v_div_scale_f64 v[99:100], vcc_lo, v[78:79], v[80:81], v[78:79]
	v_rcp_f64_e32 v[95:96], v[93:94]
	v_fma_f64 v[97:98], -v[93:94], v[95:96], 1.0
	v_fma_f64 v[95:96], v[95:96], v[97:98], v[95:96]
	v_fma_f64 v[97:98], -v[93:94], v[95:96], 1.0
	v_fma_f64 v[95:96], v[95:96], v[97:98], v[95:96]
	v_mul_f64 v[97:98], v[99:100], v[95:96]
	v_fma_f64 v[93:94], -v[93:94], v[97:98], v[99:100]
	v_div_fmas_f64 v[93:94], v[93:94], v[95:96], v[97:98]
	v_div_fixup_f64 v[93:94], v[93:94], v[80:81], v[78:79]
	v_fma_f64 v[78:79], v[78:79], v[93:94], v[80:81]
	v_div_scale_f64 v[80:81], null, v[78:79], v[78:79], 1.0
	v_rcp_f64_e32 v[95:96], v[80:81]
	v_fma_f64 v[97:98], -v[80:81], v[95:96], 1.0
	v_fma_f64 v[95:96], v[95:96], v[97:98], v[95:96]
	v_fma_f64 v[97:98], -v[80:81], v[95:96], 1.0
	v_fma_f64 v[95:96], v[95:96], v[97:98], v[95:96]
	v_div_scale_f64 v[97:98], vcc_lo, 1.0, v[78:79], 1.0
	v_mul_f64 v[99:100], v[97:98], v[95:96]
	v_fma_f64 v[80:81], -v[80:81], v[99:100], v[97:98]
	v_div_fmas_f64 v[80:81], v[80:81], v[95:96], v[99:100]
	v_div_fixup_f64 v[80:81], v[80:81], v[78:79], 1.0
	v_mul_f64 v[78:79], v[93:94], v[80:81]
	v_xor_b32_e32 v81, 0x80000000, v81
.LBB36_91:
	s_andn2_saveexec_b32 s1, s1
	s_cbranch_execz .LBB36_93
; %bb.92:
	v_div_scale_f64 v[93:94], null, v[78:79], v[78:79], v[80:81]
	v_div_scale_f64 v[99:100], vcc_lo, v[80:81], v[78:79], v[80:81]
	v_rcp_f64_e32 v[95:96], v[93:94]
	v_fma_f64 v[97:98], -v[93:94], v[95:96], 1.0
	v_fma_f64 v[95:96], v[95:96], v[97:98], v[95:96]
	v_fma_f64 v[97:98], -v[93:94], v[95:96], 1.0
	v_fma_f64 v[95:96], v[95:96], v[97:98], v[95:96]
	v_mul_f64 v[97:98], v[99:100], v[95:96]
	v_fma_f64 v[93:94], -v[93:94], v[97:98], v[99:100]
	v_div_fmas_f64 v[93:94], v[93:94], v[95:96], v[97:98]
	v_div_fixup_f64 v[93:94], v[93:94], v[78:79], v[80:81]
	v_fma_f64 v[78:79], v[80:81], v[93:94], v[78:79]
	v_div_scale_f64 v[80:81], null, v[78:79], v[78:79], 1.0
	v_rcp_f64_e32 v[95:96], v[80:81]
	v_fma_f64 v[97:98], -v[80:81], v[95:96], 1.0
	v_fma_f64 v[95:96], v[95:96], v[97:98], v[95:96]
	v_fma_f64 v[97:98], -v[80:81], v[95:96], 1.0
	v_fma_f64 v[95:96], v[95:96], v[97:98], v[95:96]
	v_div_scale_f64 v[97:98], vcc_lo, 1.0, v[78:79], 1.0
	v_mul_f64 v[99:100], v[97:98], v[95:96]
	v_fma_f64 v[80:81], -v[80:81], v[99:100], v[97:98]
	v_div_fmas_f64 v[80:81], v[80:81], v[95:96], v[99:100]
	v_div_fixup_f64 v[78:79], v[80:81], v[78:79], 1.0
	v_mul_f64 v[80:81], v[93:94], -v[78:79]
.LBB36_93:
	s_or_b32 exec_lo, exec_lo, s1
.LBB36_94:
	s_or_b32 exec_lo, exec_lo, s0
	s_mov_b32 s0, exec_lo
	v_cmpx_ne_u32_e64 v92, v86
	s_xor_b32 s0, exec_lo, s0
	s_cbranch_execz .LBB36_100
; %bb.95:
	s_mov_b32 s1, exec_lo
	v_cmpx_eq_u32_e32 4, v92
	s_cbranch_execz .LBB36_99
; %bb.96:
	v_cmp_ne_u32_e32 vcc_lo, 4, v86
	s_xor_b32 s2, s16, -1
	s_and_b32 s3, s2, vcc_lo
	s_and_saveexec_b32 s2, s3
	s_cbranch_execz .LBB36_98
; %bb.97:
	v_ashrrev_i32_e32 v87, 31, v86
	v_lshlrev_b64 v[92:93], 2, v[86:87]
	v_add_co_u32 v92, vcc_lo, v84, v92
	v_add_co_ci_u32_e64 v93, null, v85, v93, vcc_lo
	s_clause 0x1
	global_load_dword v0, v[92:93], off
	global_load_dword v87, v[84:85], off offset:16
	s_waitcnt vmcnt(1)
	global_store_dword v[84:85], v0, off offset:16
	s_waitcnt vmcnt(0)
	global_store_dword v[92:93], v87, off
.LBB36_98:
	s_or_b32 exec_lo, exec_lo, s2
	v_mov_b32_e32 v92, v86
	v_mov_b32_e32 v0, v86
.LBB36_99:
	s_or_b32 exec_lo, exec_lo, s1
.LBB36_100:
	s_andn2_saveexec_b32 s0, s0
	s_cbranch_execz .LBB36_102
; %bb.101:
	v_mov_b32_e32 v92, 4
	ds_write2_b64 v1, v[42:43], v[44:45] offset0:10 offset1:11
	ds_write2_b64 v1, v[66:67], v[68:69] offset0:12 offset1:13
	;; [unrolled: 1-line block ×14, first 2 shown]
.LBB36_102:
	s_or_b32 exec_lo, exec_lo, s0
	s_mov_b32 s0, exec_lo
	s_waitcnt lgkmcnt(0)
	s_waitcnt_vscnt null, 0x0
	s_barrier
	buffer_gl0_inv
	v_cmpx_lt_i32_e32 4, v92
	s_cbranch_execz .LBB36_104
; %bb.103:
	v_mul_f64 v[86:87], v[78:79], v[48:49]
	v_mul_f64 v[48:49], v[80:81], v[48:49]
	v_fma_f64 v[86:87], v[80:81], v[46:47], v[86:87]
	v_fma_f64 v[46:47], v[78:79], v[46:47], -v[48:49]
	ds_read2_b64 v[78:81], v1 offset0:10 offset1:11
	s_waitcnt lgkmcnt(0)
	v_mul_f64 v[48:49], v[80:81], v[86:87]
	v_fma_f64 v[48:49], v[78:79], v[46:47], -v[48:49]
	v_mul_f64 v[78:79], v[78:79], v[86:87]
	v_add_f64 v[42:43], v[42:43], -v[48:49]
	v_fma_f64 v[78:79], v[80:81], v[46:47], v[78:79]
	v_add_f64 v[44:45], v[44:45], -v[78:79]
	ds_read2_b64 v[78:81], v1 offset0:12 offset1:13
	s_waitcnt lgkmcnt(0)
	v_mul_f64 v[48:49], v[80:81], v[86:87]
	v_fma_f64 v[48:49], v[78:79], v[46:47], -v[48:49]
	v_mul_f64 v[78:79], v[78:79], v[86:87]
	v_add_f64 v[66:67], v[66:67], -v[48:49]
	v_fma_f64 v[78:79], v[80:81], v[46:47], v[78:79]
	v_add_f64 v[68:69], v[68:69], -v[78:79]
	;; [unrolled: 8-line block ×13, first 2 shown]
	ds_read2_b64 v[78:81], v1 offset0:36 offset1:37
	s_waitcnt lgkmcnt(0)
	v_mul_f64 v[48:49], v[80:81], v[86:87]
	v_fma_f64 v[48:49], v[78:79], v[46:47], -v[48:49]
	v_mul_f64 v[78:79], v[78:79], v[86:87]
	v_add_f64 v[2:3], v[2:3], -v[48:49]
	v_fma_f64 v[78:79], v[80:81], v[46:47], v[78:79]
	v_mov_b32_e32 v48, v86
	v_mov_b32_e32 v49, v87
	v_add_f64 v[4:5], v[4:5], -v[78:79]
.LBB36_104:
	s_or_b32 exec_lo, exec_lo, s0
	v_lshl_add_u32 v78, v92, 4, v1
	s_barrier
	buffer_gl0_inv
	v_mov_b32_e32 v86, 5
	ds_write2_b64 v78, v[42:43], v[44:45] offset1:1
	s_waitcnt lgkmcnt(0)
	s_barrier
	buffer_gl0_inv
	ds_read2_b64 v[78:81], v1 offset0:10 offset1:11
	s_cmp_lt_i32 s18, 7
	s_cbranch_scc1 .LBB36_107
; %bb.105:
	v_add3_u32 v87, v88, 0, 0x60
	v_mov_b32_e32 v86, 5
	s_mov_b32 s1, 6
	s_inst_prefetch 0x1
	.p2align	6
.LBB36_106:                             ; =>This Inner Loop Header: Depth=1
	s_waitcnt lgkmcnt(0)
	v_cmp_gt_f64_e32 vcc_lo, 0, v[80:81]
	v_cmp_gt_f64_e64 s0, 0, v[78:79]
	ds_read2_b64 v[93:96], v87 offset1:1
	v_xor_b32_e32 v98, 0x80000000, v79
	v_xor_b32_e32 v100, 0x80000000, v81
	v_mov_b32_e32 v97, v78
	v_mov_b32_e32 v99, v80
	v_add_nc_u32_e32 v87, 16, v87
	s_waitcnt lgkmcnt(0)
	v_xor_b32_e32 v102, 0x80000000, v96
	v_cndmask_b32_e64 v98, v79, v98, s0
	v_cndmask_b32_e32 v100, v81, v100, vcc_lo
	v_cmp_gt_f64_e32 vcc_lo, 0, v[95:96]
	v_cmp_gt_f64_e64 s0, 0, v[93:94]
	v_mov_b32_e32 v101, v95
	v_add_f64 v[97:98], v[97:98], v[99:100]
	v_xor_b32_e32 v100, 0x80000000, v94
	v_mov_b32_e32 v99, v93
	v_cndmask_b32_e32 v102, v96, v102, vcc_lo
	v_cndmask_b32_e64 v100, v94, v100, s0
	v_add_f64 v[99:100], v[99:100], v[101:102]
	v_cmp_lt_f64_e32 vcc_lo, v[97:98], v[99:100]
	v_cndmask_b32_e32 v79, v79, v94, vcc_lo
	v_cndmask_b32_e32 v78, v78, v93, vcc_lo
	v_cndmask_b32_e32 v81, v81, v96, vcc_lo
	v_cndmask_b32_e32 v80, v80, v95, vcc_lo
	v_cndmask_b32_e64 v86, v86, s1, vcc_lo
	s_add_i32 s1, s1, 1
	s_cmp_lg_u32 s18, s1
	s_cbranch_scc1 .LBB36_106
.LBB36_107:
	s_inst_prefetch 0x2
	s_waitcnt lgkmcnt(0)
	v_cmp_eq_f64_e32 vcc_lo, 0, v[78:79]
	v_cmp_eq_f64_e64 s0, 0, v[80:81]
	s_and_b32 s0, vcc_lo, s0
	s_and_saveexec_b32 s1, s0
	s_xor_b32 s0, exec_lo, s1
; %bb.108:
	v_cmp_ne_u32_e32 vcc_lo, 0, v91
	v_cndmask_b32_e32 v91, 6, v91, vcc_lo
; %bb.109:
	s_andn2_saveexec_b32 s0, s0
	s_cbranch_execz .LBB36_115
; %bb.110:
	v_cmp_ngt_f64_e64 s1, |v[78:79]|, |v[80:81]|
	s_and_saveexec_b32 s2, s1
	s_xor_b32 s1, exec_lo, s2
	s_cbranch_execz .LBB36_112
; %bb.111:
	v_div_scale_f64 v[93:94], null, v[80:81], v[80:81], v[78:79]
	v_div_scale_f64 v[99:100], vcc_lo, v[78:79], v[80:81], v[78:79]
	v_rcp_f64_e32 v[95:96], v[93:94]
	v_fma_f64 v[97:98], -v[93:94], v[95:96], 1.0
	v_fma_f64 v[95:96], v[95:96], v[97:98], v[95:96]
	v_fma_f64 v[97:98], -v[93:94], v[95:96], 1.0
	v_fma_f64 v[95:96], v[95:96], v[97:98], v[95:96]
	v_mul_f64 v[97:98], v[99:100], v[95:96]
	v_fma_f64 v[93:94], -v[93:94], v[97:98], v[99:100]
	v_div_fmas_f64 v[93:94], v[93:94], v[95:96], v[97:98]
	v_div_fixup_f64 v[93:94], v[93:94], v[80:81], v[78:79]
	v_fma_f64 v[78:79], v[78:79], v[93:94], v[80:81]
	v_div_scale_f64 v[80:81], null, v[78:79], v[78:79], 1.0
	v_rcp_f64_e32 v[95:96], v[80:81]
	v_fma_f64 v[97:98], -v[80:81], v[95:96], 1.0
	v_fma_f64 v[95:96], v[95:96], v[97:98], v[95:96]
	v_fma_f64 v[97:98], -v[80:81], v[95:96], 1.0
	v_fma_f64 v[95:96], v[95:96], v[97:98], v[95:96]
	v_div_scale_f64 v[97:98], vcc_lo, 1.0, v[78:79], 1.0
	v_mul_f64 v[99:100], v[97:98], v[95:96]
	v_fma_f64 v[80:81], -v[80:81], v[99:100], v[97:98]
	v_div_fmas_f64 v[80:81], v[80:81], v[95:96], v[99:100]
	v_div_fixup_f64 v[80:81], v[80:81], v[78:79], 1.0
	v_mul_f64 v[78:79], v[93:94], v[80:81]
	v_xor_b32_e32 v81, 0x80000000, v81
.LBB36_112:
	s_andn2_saveexec_b32 s1, s1
	s_cbranch_execz .LBB36_114
; %bb.113:
	v_div_scale_f64 v[93:94], null, v[78:79], v[78:79], v[80:81]
	v_div_scale_f64 v[99:100], vcc_lo, v[80:81], v[78:79], v[80:81]
	v_rcp_f64_e32 v[95:96], v[93:94]
	v_fma_f64 v[97:98], -v[93:94], v[95:96], 1.0
	v_fma_f64 v[95:96], v[95:96], v[97:98], v[95:96]
	v_fma_f64 v[97:98], -v[93:94], v[95:96], 1.0
	v_fma_f64 v[95:96], v[95:96], v[97:98], v[95:96]
	v_mul_f64 v[97:98], v[99:100], v[95:96]
	v_fma_f64 v[93:94], -v[93:94], v[97:98], v[99:100]
	v_div_fmas_f64 v[93:94], v[93:94], v[95:96], v[97:98]
	v_div_fixup_f64 v[93:94], v[93:94], v[78:79], v[80:81]
	v_fma_f64 v[78:79], v[80:81], v[93:94], v[78:79]
	v_div_scale_f64 v[80:81], null, v[78:79], v[78:79], 1.0
	v_rcp_f64_e32 v[95:96], v[80:81]
	v_fma_f64 v[97:98], -v[80:81], v[95:96], 1.0
	v_fma_f64 v[95:96], v[95:96], v[97:98], v[95:96]
	v_fma_f64 v[97:98], -v[80:81], v[95:96], 1.0
	v_fma_f64 v[95:96], v[95:96], v[97:98], v[95:96]
	v_div_scale_f64 v[97:98], vcc_lo, 1.0, v[78:79], 1.0
	v_mul_f64 v[99:100], v[97:98], v[95:96]
	v_fma_f64 v[80:81], -v[80:81], v[99:100], v[97:98]
	v_div_fmas_f64 v[80:81], v[80:81], v[95:96], v[99:100]
	v_div_fixup_f64 v[78:79], v[80:81], v[78:79], 1.0
	v_mul_f64 v[80:81], v[93:94], -v[78:79]
.LBB36_114:
	s_or_b32 exec_lo, exec_lo, s1
.LBB36_115:
	s_or_b32 exec_lo, exec_lo, s0
	s_mov_b32 s0, exec_lo
	v_cmpx_ne_u32_e64 v92, v86
	s_xor_b32 s0, exec_lo, s0
	s_cbranch_execz .LBB36_121
; %bb.116:
	s_mov_b32 s1, exec_lo
	v_cmpx_eq_u32_e32 5, v92
	s_cbranch_execz .LBB36_120
; %bb.117:
	v_cmp_ne_u32_e32 vcc_lo, 5, v86
	s_xor_b32 s2, s16, -1
	s_and_b32 s3, s2, vcc_lo
	s_and_saveexec_b32 s2, s3
	s_cbranch_execz .LBB36_119
; %bb.118:
	v_ashrrev_i32_e32 v87, 31, v86
	v_lshlrev_b64 v[92:93], 2, v[86:87]
	v_add_co_u32 v92, vcc_lo, v84, v92
	v_add_co_ci_u32_e64 v93, null, v85, v93, vcc_lo
	s_clause 0x1
	global_load_dword v0, v[92:93], off
	global_load_dword v87, v[84:85], off offset:20
	s_waitcnt vmcnt(1)
	global_store_dword v[84:85], v0, off offset:20
	s_waitcnt vmcnt(0)
	global_store_dword v[92:93], v87, off
.LBB36_119:
	s_or_b32 exec_lo, exec_lo, s2
	v_mov_b32_e32 v92, v86
	v_mov_b32_e32 v0, v86
.LBB36_120:
	s_or_b32 exec_lo, exec_lo, s1
.LBB36_121:
	s_andn2_saveexec_b32 s0, s0
	s_cbranch_execz .LBB36_123
; %bb.122:
	v_mov_b32_e32 v92, 5
	ds_write2_b64 v1, v[66:67], v[68:69] offset0:12 offset1:13
	ds_write2_b64 v1, v[54:55], v[56:57] offset0:14 offset1:15
	ds_write2_b64 v1, v[50:51], v[52:53] offset0:16 offset1:17
	ds_write2_b64 v1, v[38:39], v[40:41] offset0:18 offset1:19
	ds_write2_b64 v1, v[34:35], v[36:37] offset0:20 offset1:21
	ds_write2_b64 v1, v[30:31], v[32:33] offset0:22 offset1:23
	ds_write2_b64 v1, v[26:27], v[28:29] offset0:24 offset1:25
	ds_write2_b64 v1, v[22:23], v[24:25] offset0:26 offset1:27
	ds_write2_b64 v1, v[18:19], v[20:21] offset0:28 offset1:29
	ds_write2_b64 v1, v[14:15], v[16:17] offset0:30 offset1:31
	ds_write2_b64 v1, v[10:11], v[12:13] offset0:32 offset1:33
	ds_write2_b64 v1, v[6:7], v[8:9] offset0:34 offset1:35
	ds_write2_b64 v1, v[2:3], v[4:5] offset0:36 offset1:37
.LBB36_123:
	s_or_b32 exec_lo, exec_lo, s0
	s_mov_b32 s0, exec_lo
	s_waitcnt lgkmcnt(0)
	s_waitcnt_vscnt null, 0x0
	s_barrier
	buffer_gl0_inv
	v_cmpx_lt_i32_e32 5, v92
	s_cbranch_execz .LBB36_125
; %bb.124:
	v_mul_f64 v[86:87], v[78:79], v[44:45]
	v_mul_f64 v[44:45], v[80:81], v[44:45]
	v_fma_f64 v[86:87], v[80:81], v[42:43], v[86:87]
	v_fma_f64 v[42:43], v[78:79], v[42:43], -v[44:45]
	ds_read2_b64 v[78:81], v1 offset0:12 offset1:13
	s_waitcnt lgkmcnt(0)
	v_mul_f64 v[44:45], v[80:81], v[86:87]
	v_fma_f64 v[44:45], v[78:79], v[42:43], -v[44:45]
	v_mul_f64 v[78:79], v[78:79], v[86:87]
	v_add_f64 v[66:67], v[66:67], -v[44:45]
	v_fma_f64 v[78:79], v[80:81], v[42:43], v[78:79]
	v_add_f64 v[68:69], v[68:69], -v[78:79]
	ds_read2_b64 v[78:81], v1 offset0:14 offset1:15
	s_waitcnt lgkmcnt(0)
	v_mul_f64 v[44:45], v[80:81], v[86:87]
	v_fma_f64 v[44:45], v[78:79], v[42:43], -v[44:45]
	v_mul_f64 v[78:79], v[78:79], v[86:87]
	v_add_f64 v[54:55], v[54:55], -v[44:45]
	v_fma_f64 v[78:79], v[80:81], v[42:43], v[78:79]
	v_add_f64 v[56:57], v[56:57], -v[78:79]
	;; [unrolled: 8-line block ×12, first 2 shown]
	ds_read2_b64 v[78:81], v1 offset0:36 offset1:37
	s_waitcnt lgkmcnt(0)
	v_mul_f64 v[44:45], v[80:81], v[86:87]
	v_fma_f64 v[44:45], v[78:79], v[42:43], -v[44:45]
	v_mul_f64 v[78:79], v[78:79], v[86:87]
	v_add_f64 v[2:3], v[2:3], -v[44:45]
	v_fma_f64 v[78:79], v[80:81], v[42:43], v[78:79]
	v_mov_b32_e32 v44, v86
	v_mov_b32_e32 v45, v87
	v_add_f64 v[4:5], v[4:5], -v[78:79]
.LBB36_125:
	s_or_b32 exec_lo, exec_lo, s0
	v_lshl_add_u32 v78, v92, 4, v1
	s_barrier
	buffer_gl0_inv
	v_mov_b32_e32 v86, 6
	ds_write2_b64 v78, v[66:67], v[68:69] offset1:1
	s_waitcnt lgkmcnt(0)
	s_barrier
	buffer_gl0_inv
	ds_read2_b64 v[78:81], v1 offset0:12 offset1:13
	s_cmp_lt_i32 s18, 8
	s_cbranch_scc1 .LBB36_128
; %bb.126:
	v_add3_u32 v87, v88, 0, 0x70
	v_mov_b32_e32 v86, 6
	s_mov_b32 s1, 7
	s_inst_prefetch 0x1
	.p2align	6
.LBB36_127:                             ; =>This Inner Loop Header: Depth=1
	s_waitcnt lgkmcnt(0)
	v_cmp_gt_f64_e32 vcc_lo, 0, v[80:81]
	v_cmp_gt_f64_e64 s0, 0, v[78:79]
	ds_read2_b64 v[93:96], v87 offset1:1
	v_xor_b32_e32 v98, 0x80000000, v79
	v_xor_b32_e32 v100, 0x80000000, v81
	v_mov_b32_e32 v97, v78
	v_mov_b32_e32 v99, v80
	v_add_nc_u32_e32 v87, 16, v87
	s_waitcnt lgkmcnt(0)
	v_xor_b32_e32 v102, 0x80000000, v96
	v_cndmask_b32_e64 v98, v79, v98, s0
	v_cndmask_b32_e32 v100, v81, v100, vcc_lo
	v_cmp_gt_f64_e32 vcc_lo, 0, v[95:96]
	v_cmp_gt_f64_e64 s0, 0, v[93:94]
	v_mov_b32_e32 v101, v95
	v_add_f64 v[97:98], v[97:98], v[99:100]
	v_xor_b32_e32 v100, 0x80000000, v94
	v_mov_b32_e32 v99, v93
	v_cndmask_b32_e32 v102, v96, v102, vcc_lo
	v_cndmask_b32_e64 v100, v94, v100, s0
	v_add_f64 v[99:100], v[99:100], v[101:102]
	v_cmp_lt_f64_e32 vcc_lo, v[97:98], v[99:100]
	v_cndmask_b32_e32 v79, v79, v94, vcc_lo
	v_cndmask_b32_e32 v78, v78, v93, vcc_lo
	;; [unrolled: 1-line block ×4, first 2 shown]
	v_cndmask_b32_e64 v86, v86, s1, vcc_lo
	s_add_i32 s1, s1, 1
	s_cmp_lg_u32 s18, s1
	s_cbranch_scc1 .LBB36_127
.LBB36_128:
	s_inst_prefetch 0x2
	s_waitcnt lgkmcnt(0)
	v_cmp_eq_f64_e32 vcc_lo, 0, v[78:79]
	v_cmp_eq_f64_e64 s0, 0, v[80:81]
	s_and_b32 s0, vcc_lo, s0
	s_and_saveexec_b32 s1, s0
	s_xor_b32 s0, exec_lo, s1
; %bb.129:
	v_cmp_ne_u32_e32 vcc_lo, 0, v91
	v_cndmask_b32_e32 v91, 7, v91, vcc_lo
; %bb.130:
	s_andn2_saveexec_b32 s0, s0
	s_cbranch_execz .LBB36_136
; %bb.131:
	v_cmp_ngt_f64_e64 s1, |v[78:79]|, |v[80:81]|
	s_and_saveexec_b32 s2, s1
	s_xor_b32 s1, exec_lo, s2
	s_cbranch_execz .LBB36_133
; %bb.132:
	v_div_scale_f64 v[93:94], null, v[80:81], v[80:81], v[78:79]
	v_div_scale_f64 v[99:100], vcc_lo, v[78:79], v[80:81], v[78:79]
	v_rcp_f64_e32 v[95:96], v[93:94]
	v_fma_f64 v[97:98], -v[93:94], v[95:96], 1.0
	v_fma_f64 v[95:96], v[95:96], v[97:98], v[95:96]
	v_fma_f64 v[97:98], -v[93:94], v[95:96], 1.0
	v_fma_f64 v[95:96], v[95:96], v[97:98], v[95:96]
	v_mul_f64 v[97:98], v[99:100], v[95:96]
	v_fma_f64 v[93:94], -v[93:94], v[97:98], v[99:100]
	v_div_fmas_f64 v[93:94], v[93:94], v[95:96], v[97:98]
	v_div_fixup_f64 v[93:94], v[93:94], v[80:81], v[78:79]
	v_fma_f64 v[78:79], v[78:79], v[93:94], v[80:81]
	v_div_scale_f64 v[80:81], null, v[78:79], v[78:79], 1.0
	v_rcp_f64_e32 v[95:96], v[80:81]
	v_fma_f64 v[97:98], -v[80:81], v[95:96], 1.0
	v_fma_f64 v[95:96], v[95:96], v[97:98], v[95:96]
	v_fma_f64 v[97:98], -v[80:81], v[95:96], 1.0
	v_fma_f64 v[95:96], v[95:96], v[97:98], v[95:96]
	v_div_scale_f64 v[97:98], vcc_lo, 1.0, v[78:79], 1.0
	v_mul_f64 v[99:100], v[97:98], v[95:96]
	v_fma_f64 v[80:81], -v[80:81], v[99:100], v[97:98]
	v_div_fmas_f64 v[80:81], v[80:81], v[95:96], v[99:100]
	v_div_fixup_f64 v[80:81], v[80:81], v[78:79], 1.0
	v_mul_f64 v[78:79], v[93:94], v[80:81]
	v_xor_b32_e32 v81, 0x80000000, v81
.LBB36_133:
	s_andn2_saveexec_b32 s1, s1
	s_cbranch_execz .LBB36_135
; %bb.134:
	v_div_scale_f64 v[93:94], null, v[78:79], v[78:79], v[80:81]
	v_div_scale_f64 v[99:100], vcc_lo, v[80:81], v[78:79], v[80:81]
	v_rcp_f64_e32 v[95:96], v[93:94]
	v_fma_f64 v[97:98], -v[93:94], v[95:96], 1.0
	v_fma_f64 v[95:96], v[95:96], v[97:98], v[95:96]
	v_fma_f64 v[97:98], -v[93:94], v[95:96], 1.0
	v_fma_f64 v[95:96], v[95:96], v[97:98], v[95:96]
	v_mul_f64 v[97:98], v[99:100], v[95:96]
	v_fma_f64 v[93:94], -v[93:94], v[97:98], v[99:100]
	v_div_fmas_f64 v[93:94], v[93:94], v[95:96], v[97:98]
	v_div_fixup_f64 v[93:94], v[93:94], v[78:79], v[80:81]
	v_fma_f64 v[78:79], v[80:81], v[93:94], v[78:79]
	v_div_scale_f64 v[80:81], null, v[78:79], v[78:79], 1.0
	v_rcp_f64_e32 v[95:96], v[80:81]
	v_fma_f64 v[97:98], -v[80:81], v[95:96], 1.0
	v_fma_f64 v[95:96], v[95:96], v[97:98], v[95:96]
	v_fma_f64 v[97:98], -v[80:81], v[95:96], 1.0
	v_fma_f64 v[95:96], v[95:96], v[97:98], v[95:96]
	v_div_scale_f64 v[97:98], vcc_lo, 1.0, v[78:79], 1.0
	v_mul_f64 v[99:100], v[97:98], v[95:96]
	v_fma_f64 v[80:81], -v[80:81], v[99:100], v[97:98]
	v_div_fmas_f64 v[80:81], v[80:81], v[95:96], v[99:100]
	v_div_fixup_f64 v[78:79], v[80:81], v[78:79], 1.0
	v_mul_f64 v[80:81], v[93:94], -v[78:79]
.LBB36_135:
	s_or_b32 exec_lo, exec_lo, s1
.LBB36_136:
	s_or_b32 exec_lo, exec_lo, s0
	s_mov_b32 s0, exec_lo
	v_cmpx_ne_u32_e64 v92, v86
	s_xor_b32 s0, exec_lo, s0
	s_cbranch_execz .LBB36_142
; %bb.137:
	s_mov_b32 s1, exec_lo
	v_cmpx_eq_u32_e32 6, v92
	s_cbranch_execz .LBB36_141
; %bb.138:
	v_cmp_ne_u32_e32 vcc_lo, 6, v86
	s_xor_b32 s2, s16, -1
	s_and_b32 s3, s2, vcc_lo
	s_and_saveexec_b32 s2, s3
	s_cbranch_execz .LBB36_140
; %bb.139:
	v_ashrrev_i32_e32 v87, 31, v86
	v_lshlrev_b64 v[92:93], 2, v[86:87]
	v_add_co_u32 v92, vcc_lo, v84, v92
	v_add_co_ci_u32_e64 v93, null, v85, v93, vcc_lo
	s_clause 0x1
	global_load_dword v0, v[92:93], off
	global_load_dword v87, v[84:85], off offset:24
	s_waitcnt vmcnt(1)
	global_store_dword v[84:85], v0, off offset:24
	s_waitcnt vmcnt(0)
	global_store_dword v[92:93], v87, off
.LBB36_140:
	s_or_b32 exec_lo, exec_lo, s2
	v_mov_b32_e32 v92, v86
	v_mov_b32_e32 v0, v86
.LBB36_141:
	s_or_b32 exec_lo, exec_lo, s1
.LBB36_142:
	s_andn2_saveexec_b32 s0, s0
	s_cbranch_execz .LBB36_144
; %bb.143:
	v_mov_b32_e32 v92, 6
	ds_write2_b64 v1, v[54:55], v[56:57] offset0:14 offset1:15
	ds_write2_b64 v1, v[50:51], v[52:53] offset0:16 offset1:17
	;; [unrolled: 1-line block ×12, first 2 shown]
.LBB36_144:
	s_or_b32 exec_lo, exec_lo, s0
	s_mov_b32 s0, exec_lo
	s_waitcnt lgkmcnt(0)
	s_waitcnt_vscnt null, 0x0
	s_barrier
	buffer_gl0_inv
	v_cmpx_lt_i32_e32 6, v92
	s_cbranch_execz .LBB36_146
; %bb.145:
	v_mul_f64 v[86:87], v[78:79], v[68:69]
	v_mul_f64 v[68:69], v[80:81], v[68:69]
	v_fma_f64 v[86:87], v[80:81], v[66:67], v[86:87]
	v_fma_f64 v[66:67], v[78:79], v[66:67], -v[68:69]
	ds_read2_b64 v[78:81], v1 offset0:14 offset1:15
	s_waitcnt lgkmcnt(0)
	v_mul_f64 v[68:69], v[80:81], v[86:87]
	v_fma_f64 v[68:69], v[78:79], v[66:67], -v[68:69]
	v_mul_f64 v[78:79], v[78:79], v[86:87]
	v_add_f64 v[54:55], v[54:55], -v[68:69]
	v_fma_f64 v[78:79], v[80:81], v[66:67], v[78:79]
	v_add_f64 v[56:57], v[56:57], -v[78:79]
	ds_read2_b64 v[78:81], v1 offset0:16 offset1:17
	s_waitcnt lgkmcnt(0)
	v_mul_f64 v[68:69], v[80:81], v[86:87]
	v_fma_f64 v[68:69], v[78:79], v[66:67], -v[68:69]
	v_mul_f64 v[78:79], v[78:79], v[86:87]
	v_add_f64 v[50:51], v[50:51], -v[68:69]
	v_fma_f64 v[78:79], v[80:81], v[66:67], v[78:79]
	v_add_f64 v[52:53], v[52:53], -v[78:79]
	;; [unrolled: 8-line block ×11, first 2 shown]
	ds_read2_b64 v[78:81], v1 offset0:36 offset1:37
	s_waitcnt lgkmcnt(0)
	v_mul_f64 v[68:69], v[80:81], v[86:87]
	v_fma_f64 v[68:69], v[78:79], v[66:67], -v[68:69]
	v_mul_f64 v[78:79], v[78:79], v[86:87]
	v_add_f64 v[2:3], v[2:3], -v[68:69]
	v_fma_f64 v[78:79], v[80:81], v[66:67], v[78:79]
	v_mov_b32_e32 v68, v86
	v_mov_b32_e32 v69, v87
	v_add_f64 v[4:5], v[4:5], -v[78:79]
.LBB36_146:
	s_or_b32 exec_lo, exec_lo, s0
	v_lshl_add_u32 v78, v92, 4, v1
	s_barrier
	buffer_gl0_inv
	v_mov_b32_e32 v86, 7
	ds_write2_b64 v78, v[54:55], v[56:57] offset1:1
	s_waitcnt lgkmcnt(0)
	s_barrier
	buffer_gl0_inv
	ds_read2_b64 v[78:81], v1 offset0:14 offset1:15
	s_cmp_lt_i32 s18, 9
	s_cbranch_scc1 .LBB36_149
; %bb.147:
	v_add3_u32 v87, v88, 0, 0x80
	v_mov_b32_e32 v86, 7
	s_mov_b32 s1, 8
	s_inst_prefetch 0x1
	.p2align	6
.LBB36_148:                             ; =>This Inner Loop Header: Depth=1
	s_waitcnt lgkmcnt(0)
	v_cmp_gt_f64_e32 vcc_lo, 0, v[80:81]
	v_cmp_gt_f64_e64 s0, 0, v[78:79]
	ds_read2_b64 v[93:96], v87 offset1:1
	v_xor_b32_e32 v98, 0x80000000, v79
	v_xor_b32_e32 v100, 0x80000000, v81
	v_mov_b32_e32 v97, v78
	v_mov_b32_e32 v99, v80
	v_add_nc_u32_e32 v87, 16, v87
	s_waitcnt lgkmcnt(0)
	v_xor_b32_e32 v102, 0x80000000, v96
	v_cndmask_b32_e64 v98, v79, v98, s0
	v_cndmask_b32_e32 v100, v81, v100, vcc_lo
	v_cmp_gt_f64_e32 vcc_lo, 0, v[95:96]
	v_cmp_gt_f64_e64 s0, 0, v[93:94]
	v_mov_b32_e32 v101, v95
	v_add_f64 v[97:98], v[97:98], v[99:100]
	v_xor_b32_e32 v100, 0x80000000, v94
	v_mov_b32_e32 v99, v93
	v_cndmask_b32_e32 v102, v96, v102, vcc_lo
	v_cndmask_b32_e64 v100, v94, v100, s0
	v_add_f64 v[99:100], v[99:100], v[101:102]
	v_cmp_lt_f64_e32 vcc_lo, v[97:98], v[99:100]
	v_cndmask_b32_e32 v79, v79, v94, vcc_lo
	v_cndmask_b32_e32 v78, v78, v93, vcc_lo
	;; [unrolled: 1-line block ×4, first 2 shown]
	v_cndmask_b32_e64 v86, v86, s1, vcc_lo
	s_add_i32 s1, s1, 1
	s_cmp_lg_u32 s18, s1
	s_cbranch_scc1 .LBB36_148
.LBB36_149:
	s_inst_prefetch 0x2
	s_waitcnt lgkmcnt(0)
	v_cmp_eq_f64_e32 vcc_lo, 0, v[78:79]
	v_cmp_eq_f64_e64 s0, 0, v[80:81]
	s_and_b32 s0, vcc_lo, s0
	s_and_saveexec_b32 s1, s0
	s_xor_b32 s0, exec_lo, s1
; %bb.150:
	v_cmp_ne_u32_e32 vcc_lo, 0, v91
	v_cndmask_b32_e32 v91, 8, v91, vcc_lo
; %bb.151:
	s_andn2_saveexec_b32 s0, s0
	s_cbranch_execz .LBB36_157
; %bb.152:
	v_cmp_ngt_f64_e64 s1, |v[78:79]|, |v[80:81]|
	s_and_saveexec_b32 s2, s1
	s_xor_b32 s1, exec_lo, s2
	s_cbranch_execz .LBB36_154
; %bb.153:
	v_div_scale_f64 v[93:94], null, v[80:81], v[80:81], v[78:79]
	v_div_scale_f64 v[99:100], vcc_lo, v[78:79], v[80:81], v[78:79]
	v_rcp_f64_e32 v[95:96], v[93:94]
	v_fma_f64 v[97:98], -v[93:94], v[95:96], 1.0
	v_fma_f64 v[95:96], v[95:96], v[97:98], v[95:96]
	v_fma_f64 v[97:98], -v[93:94], v[95:96], 1.0
	v_fma_f64 v[95:96], v[95:96], v[97:98], v[95:96]
	v_mul_f64 v[97:98], v[99:100], v[95:96]
	v_fma_f64 v[93:94], -v[93:94], v[97:98], v[99:100]
	v_div_fmas_f64 v[93:94], v[93:94], v[95:96], v[97:98]
	v_div_fixup_f64 v[93:94], v[93:94], v[80:81], v[78:79]
	v_fma_f64 v[78:79], v[78:79], v[93:94], v[80:81]
	v_div_scale_f64 v[80:81], null, v[78:79], v[78:79], 1.0
	v_rcp_f64_e32 v[95:96], v[80:81]
	v_fma_f64 v[97:98], -v[80:81], v[95:96], 1.0
	v_fma_f64 v[95:96], v[95:96], v[97:98], v[95:96]
	v_fma_f64 v[97:98], -v[80:81], v[95:96], 1.0
	v_fma_f64 v[95:96], v[95:96], v[97:98], v[95:96]
	v_div_scale_f64 v[97:98], vcc_lo, 1.0, v[78:79], 1.0
	v_mul_f64 v[99:100], v[97:98], v[95:96]
	v_fma_f64 v[80:81], -v[80:81], v[99:100], v[97:98]
	v_div_fmas_f64 v[80:81], v[80:81], v[95:96], v[99:100]
	v_div_fixup_f64 v[80:81], v[80:81], v[78:79], 1.0
	v_mul_f64 v[78:79], v[93:94], v[80:81]
	v_xor_b32_e32 v81, 0x80000000, v81
.LBB36_154:
	s_andn2_saveexec_b32 s1, s1
	s_cbranch_execz .LBB36_156
; %bb.155:
	v_div_scale_f64 v[93:94], null, v[78:79], v[78:79], v[80:81]
	v_div_scale_f64 v[99:100], vcc_lo, v[80:81], v[78:79], v[80:81]
	v_rcp_f64_e32 v[95:96], v[93:94]
	v_fma_f64 v[97:98], -v[93:94], v[95:96], 1.0
	v_fma_f64 v[95:96], v[95:96], v[97:98], v[95:96]
	v_fma_f64 v[97:98], -v[93:94], v[95:96], 1.0
	v_fma_f64 v[95:96], v[95:96], v[97:98], v[95:96]
	v_mul_f64 v[97:98], v[99:100], v[95:96]
	v_fma_f64 v[93:94], -v[93:94], v[97:98], v[99:100]
	v_div_fmas_f64 v[93:94], v[93:94], v[95:96], v[97:98]
	v_div_fixup_f64 v[93:94], v[93:94], v[78:79], v[80:81]
	v_fma_f64 v[78:79], v[80:81], v[93:94], v[78:79]
	v_div_scale_f64 v[80:81], null, v[78:79], v[78:79], 1.0
	v_rcp_f64_e32 v[95:96], v[80:81]
	v_fma_f64 v[97:98], -v[80:81], v[95:96], 1.0
	v_fma_f64 v[95:96], v[95:96], v[97:98], v[95:96]
	v_fma_f64 v[97:98], -v[80:81], v[95:96], 1.0
	v_fma_f64 v[95:96], v[95:96], v[97:98], v[95:96]
	v_div_scale_f64 v[97:98], vcc_lo, 1.0, v[78:79], 1.0
	v_mul_f64 v[99:100], v[97:98], v[95:96]
	v_fma_f64 v[80:81], -v[80:81], v[99:100], v[97:98]
	v_div_fmas_f64 v[80:81], v[80:81], v[95:96], v[99:100]
	v_div_fixup_f64 v[78:79], v[80:81], v[78:79], 1.0
	v_mul_f64 v[80:81], v[93:94], -v[78:79]
.LBB36_156:
	s_or_b32 exec_lo, exec_lo, s1
.LBB36_157:
	s_or_b32 exec_lo, exec_lo, s0
	s_mov_b32 s0, exec_lo
	v_cmpx_ne_u32_e64 v92, v86
	s_xor_b32 s0, exec_lo, s0
	s_cbranch_execz .LBB36_163
; %bb.158:
	s_mov_b32 s1, exec_lo
	v_cmpx_eq_u32_e32 7, v92
	s_cbranch_execz .LBB36_162
; %bb.159:
	v_cmp_ne_u32_e32 vcc_lo, 7, v86
	s_xor_b32 s2, s16, -1
	s_and_b32 s3, s2, vcc_lo
	s_and_saveexec_b32 s2, s3
	s_cbranch_execz .LBB36_161
; %bb.160:
	v_ashrrev_i32_e32 v87, 31, v86
	v_lshlrev_b64 v[92:93], 2, v[86:87]
	v_add_co_u32 v92, vcc_lo, v84, v92
	v_add_co_ci_u32_e64 v93, null, v85, v93, vcc_lo
	s_clause 0x1
	global_load_dword v0, v[92:93], off
	global_load_dword v87, v[84:85], off offset:28
	s_waitcnt vmcnt(1)
	global_store_dword v[84:85], v0, off offset:28
	s_waitcnt vmcnt(0)
	global_store_dword v[92:93], v87, off
.LBB36_161:
	s_or_b32 exec_lo, exec_lo, s2
	v_mov_b32_e32 v92, v86
	v_mov_b32_e32 v0, v86
.LBB36_162:
	s_or_b32 exec_lo, exec_lo, s1
.LBB36_163:
	s_andn2_saveexec_b32 s0, s0
	s_cbranch_execz .LBB36_165
; %bb.164:
	v_mov_b32_e32 v92, 7
	ds_write2_b64 v1, v[50:51], v[52:53] offset0:16 offset1:17
	ds_write2_b64 v1, v[38:39], v[40:41] offset0:18 offset1:19
	;; [unrolled: 1-line block ×11, first 2 shown]
.LBB36_165:
	s_or_b32 exec_lo, exec_lo, s0
	s_mov_b32 s0, exec_lo
	s_waitcnt lgkmcnt(0)
	s_waitcnt_vscnt null, 0x0
	s_barrier
	buffer_gl0_inv
	v_cmpx_lt_i32_e32 7, v92
	s_cbranch_execz .LBB36_167
; %bb.166:
	v_mul_f64 v[86:87], v[78:79], v[56:57]
	v_mul_f64 v[56:57], v[80:81], v[56:57]
	v_fma_f64 v[86:87], v[80:81], v[54:55], v[86:87]
	v_fma_f64 v[54:55], v[78:79], v[54:55], -v[56:57]
	ds_read2_b64 v[78:81], v1 offset0:16 offset1:17
	s_waitcnt lgkmcnt(0)
	v_mul_f64 v[56:57], v[80:81], v[86:87]
	v_fma_f64 v[56:57], v[78:79], v[54:55], -v[56:57]
	v_mul_f64 v[78:79], v[78:79], v[86:87]
	v_add_f64 v[50:51], v[50:51], -v[56:57]
	v_fma_f64 v[78:79], v[80:81], v[54:55], v[78:79]
	v_add_f64 v[52:53], v[52:53], -v[78:79]
	ds_read2_b64 v[78:81], v1 offset0:18 offset1:19
	s_waitcnt lgkmcnt(0)
	v_mul_f64 v[56:57], v[80:81], v[86:87]
	v_fma_f64 v[56:57], v[78:79], v[54:55], -v[56:57]
	v_mul_f64 v[78:79], v[78:79], v[86:87]
	v_add_f64 v[38:39], v[38:39], -v[56:57]
	v_fma_f64 v[78:79], v[80:81], v[54:55], v[78:79]
	v_add_f64 v[40:41], v[40:41], -v[78:79]
	;; [unrolled: 8-line block ×10, first 2 shown]
	ds_read2_b64 v[78:81], v1 offset0:36 offset1:37
	s_waitcnt lgkmcnt(0)
	v_mul_f64 v[56:57], v[80:81], v[86:87]
	v_fma_f64 v[56:57], v[78:79], v[54:55], -v[56:57]
	v_mul_f64 v[78:79], v[78:79], v[86:87]
	v_add_f64 v[2:3], v[2:3], -v[56:57]
	v_fma_f64 v[78:79], v[80:81], v[54:55], v[78:79]
	v_mov_b32_e32 v56, v86
	v_mov_b32_e32 v57, v87
	v_add_f64 v[4:5], v[4:5], -v[78:79]
.LBB36_167:
	s_or_b32 exec_lo, exec_lo, s0
	v_lshl_add_u32 v78, v92, 4, v1
	s_barrier
	buffer_gl0_inv
	v_mov_b32_e32 v86, 8
	ds_write2_b64 v78, v[50:51], v[52:53] offset1:1
	s_waitcnt lgkmcnt(0)
	s_barrier
	buffer_gl0_inv
	ds_read2_b64 v[78:81], v1 offset0:16 offset1:17
	s_cmp_lt_i32 s18, 10
	s_cbranch_scc1 .LBB36_170
; %bb.168:
	v_add3_u32 v87, v88, 0, 0x90
	v_mov_b32_e32 v86, 8
	s_mov_b32 s1, 9
	s_inst_prefetch 0x1
	.p2align	6
.LBB36_169:                             ; =>This Inner Loop Header: Depth=1
	s_waitcnt lgkmcnt(0)
	v_cmp_gt_f64_e32 vcc_lo, 0, v[80:81]
	v_cmp_gt_f64_e64 s0, 0, v[78:79]
	ds_read2_b64 v[93:96], v87 offset1:1
	v_xor_b32_e32 v98, 0x80000000, v79
	v_xor_b32_e32 v100, 0x80000000, v81
	v_mov_b32_e32 v97, v78
	v_mov_b32_e32 v99, v80
	v_add_nc_u32_e32 v87, 16, v87
	s_waitcnt lgkmcnt(0)
	v_xor_b32_e32 v102, 0x80000000, v96
	v_cndmask_b32_e64 v98, v79, v98, s0
	v_cndmask_b32_e32 v100, v81, v100, vcc_lo
	v_cmp_gt_f64_e32 vcc_lo, 0, v[95:96]
	v_cmp_gt_f64_e64 s0, 0, v[93:94]
	v_mov_b32_e32 v101, v95
	v_add_f64 v[97:98], v[97:98], v[99:100]
	v_xor_b32_e32 v100, 0x80000000, v94
	v_mov_b32_e32 v99, v93
	v_cndmask_b32_e32 v102, v96, v102, vcc_lo
	v_cndmask_b32_e64 v100, v94, v100, s0
	v_add_f64 v[99:100], v[99:100], v[101:102]
	v_cmp_lt_f64_e32 vcc_lo, v[97:98], v[99:100]
	v_cndmask_b32_e32 v79, v79, v94, vcc_lo
	v_cndmask_b32_e32 v78, v78, v93, vcc_lo
	;; [unrolled: 1-line block ×4, first 2 shown]
	v_cndmask_b32_e64 v86, v86, s1, vcc_lo
	s_add_i32 s1, s1, 1
	s_cmp_lg_u32 s18, s1
	s_cbranch_scc1 .LBB36_169
.LBB36_170:
	s_inst_prefetch 0x2
	s_waitcnt lgkmcnt(0)
	v_cmp_eq_f64_e32 vcc_lo, 0, v[78:79]
	v_cmp_eq_f64_e64 s0, 0, v[80:81]
	s_and_b32 s0, vcc_lo, s0
	s_and_saveexec_b32 s1, s0
	s_xor_b32 s0, exec_lo, s1
; %bb.171:
	v_cmp_ne_u32_e32 vcc_lo, 0, v91
	v_cndmask_b32_e32 v91, 9, v91, vcc_lo
; %bb.172:
	s_andn2_saveexec_b32 s0, s0
	s_cbranch_execz .LBB36_178
; %bb.173:
	v_cmp_ngt_f64_e64 s1, |v[78:79]|, |v[80:81]|
	s_and_saveexec_b32 s2, s1
	s_xor_b32 s1, exec_lo, s2
	s_cbranch_execz .LBB36_175
; %bb.174:
	v_div_scale_f64 v[93:94], null, v[80:81], v[80:81], v[78:79]
	v_div_scale_f64 v[99:100], vcc_lo, v[78:79], v[80:81], v[78:79]
	v_rcp_f64_e32 v[95:96], v[93:94]
	v_fma_f64 v[97:98], -v[93:94], v[95:96], 1.0
	v_fma_f64 v[95:96], v[95:96], v[97:98], v[95:96]
	v_fma_f64 v[97:98], -v[93:94], v[95:96], 1.0
	v_fma_f64 v[95:96], v[95:96], v[97:98], v[95:96]
	v_mul_f64 v[97:98], v[99:100], v[95:96]
	v_fma_f64 v[93:94], -v[93:94], v[97:98], v[99:100]
	v_div_fmas_f64 v[93:94], v[93:94], v[95:96], v[97:98]
	v_div_fixup_f64 v[93:94], v[93:94], v[80:81], v[78:79]
	v_fma_f64 v[78:79], v[78:79], v[93:94], v[80:81]
	v_div_scale_f64 v[80:81], null, v[78:79], v[78:79], 1.0
	v_rcp_f64_e32 v[95:96], v[80:81]
	v_fma_f64 v[97:98], -v[80:81], v[95:96], 1.0
	v_fma_f64 v[95:96], v[95:96], v[97:98], v[95:96]
	v_fma_f64 v[97:98], -v[80:81], v[95:96], 1.0
	v_fma_f64 v[95:96], v[95:96], v[97:98], v[95:96]
	v_div_scale_f64 v[97:98], vcc_lo, 1.0, v[78:79], 1.0
	v_mul_f64 v[99:100], v[97:98], v[95:96]
	v_fma_f64 v[80:81], -v[80:81], v[99:100], v[97:98]
	v_div_fmas_f64 v[80:81], v[80:81], v[95:96], v[99:100]
	v_div_fixup_f64 v[80:81], v[80:81], v[78:79], 1.0
	v_mul_f64 v[78:79], v[93:94], v[80:81]
	v_xor_b32_e32 v81, 0x80000000, v81
.LBB36_175:
	s_andn2_saveexec_b32 s1, s1
	s_cbranch_execz .LBB36_177
; %bb.176:
	v_div_scale_f64 v[93:94], null, v[78:79], v[78:79], v[80:81]
	v_div_scale_f64 v[99:100], vcc_lo, v[80:81], v[78:79], v[80:81]
	v_rcp_f64_e32 v[95:96], v[93:94]
	v_fma_f64 v[97:98], -v[93:94], v[95:96], 1.0
	v_fma_f64 v[95:96], v[95:96], v[97:98], v[95:96]
	v_fma_f64 v[97:98], -v[93:94], v[95:96], 1.0
	v_fma_f64 v[95:96], v[95:96], v[97:98], v[95:96]
	v_mul_f64 v[97:98], v[99:100], v[95:96]
	v_fma_f64 v[93:94], -v[93:94], v[97:98], v[99:100]
	v_div_fmas_f64 v[93:94], v[93:94], v[95:96], v[97:98]
	v_div_fixup_f64 v[93:94], v[93:94], v[78:79], v[80:81]
	v_fma_f64 v[78:79], v[80:81], v[93:94], v[78:79]
	v_div_scale_f64 v[80:81], null, v[78:79], v[78:79], 1.0
	v_rcp_f64_e32 v[95:96], v[80:81]
	v_fma_f64 v[97:98], -v[80:81], v[95:96], 1.0
	v_fma_f64 v[95:96], v[95:96], v[97:98], v[95:96]
	v_fma_f64 v[97:98], -v[80:81], v[95:96], 1.0
	v_fma_f64 v[95:96], v[95:96], v[97:98], v[95:96]
	v_div_scale_f64 v[97:98], vcc_lo, 1.0, v[78:79], 1.0
	v_mul_f64 v[99:100], v[97:98], v[95:96]
	v_fma_f64 v[80:81], -v[80:81], v[99:100], v[97:98]
	v_div_fmas_f64 v[80:81], v[80:81], v[95:96], v[99:100]
	v_div_fixup_f64 v[78:79], v[80:81], v[78:79], 1.0
	v_mul_f64 v[80:81], v[93:94], -v[78:79]
.LBB36_177:
	s_or_b32 exec_lo, exec_lo, s1
.LBB36_178:
	s_or_b32 exec_lo, exec_lo, s0
	s_mov_b32 s0, exec_lo
	v_cmpx_ne_u32_e64 v92, v86
	s_xor_b32 s0, exec_lo, s0
	s_cbranch_execz .LBB36_184
; %bb.179:
	s_mov_b32 s1, exec_lo
	v_cmpx_eq_u32_e32 8, v92
	s_cbranch_execz .LBB36_183
; %bb.180:
	v_cmp_ne_u32_e32 vcc_lo, 8, v86
	s_xor_b32 s2, s16, -1
	s_and_b32 s3, s2, vcc_lo
	s_and_saveexec_b32 s2, s3
	s_cbranch_execz .LBB36_182
; %bb.181:
	v_ashrrev_i32_e32 v87, 31, v86
	v_lshlrev_b64 v[92:93], 2, v[86:87]
	v_add_co_u32 v92, vcc_lo, v84, v92
	v_add_co_ci_u32_e64 v93, null, v85, v93, vcc_lo
	s_clause 0x1
	global_load_dword v0, v[92:93], off
	global_load_dword v87, v[84:85], off offset:32
	s_waitcnt vmcnt(1)
	global_store_dword v[84:85], v0, off offset:32
	s_waitcnt vmcnt(0)
	global_store_dword v[92:93], v87, off
.LBB36_182:
	s_or_b32 exec_lo, exec_lo, s2
	v_mov_b32_e32 v92, v86
	v_mov_b32_e32 v0, v86
.LBB36_183:
	s_or_b32 exec_lo, exec_lo, s1
.LBB36_184:
	s_andn2_saveexec_b32 s0, s0
	s_cbranch_execz .LBB36_186
; %bb.185:
	v_mov_b32_e32 v92, 8
	ds_write2_b64 v1, v[38:39], v[40:41] offset0:18 offset1:19
	ds_write2_b64 v1, v[34:35], v[36:37] offset0:20 offset1:21
	;; [unrolled: 1-line block ×10, first 2 shown]
.LBB36_186:
	s_or_b32 exec_lo, exec_lo, s0
	s_mov_b32 s0, exec_lo
	s_waitcnt lgkmcnt(0)
	s_waitcnt_vscnt null, 0x0
	s_barrier
	buffer_gl0_inv
	v_cmpx_lt_i32_e32 8, v92
	s_cbranch_execz .LBB36_188
; %bb.187:
	v_mul_f64 v[86:87], v[78:79], v[52:53]
	v_mul_f64 v[52:53], v[80:81], v[52:53]
	v_fma_f64 v[86:87], v[80:81], v[50:51], v[86:87]
	v_fma_f64 v[50:51], v[78:79], v[50:51], -v[52:53]
	ds_read2_b64 v[78:81], v1 offset0:18 offset1:19
	s_waitcnt lgkmcnt(0)
	v_mul_f64 v[52:53], v[80:81], v[86:87]
	v_fma_f64 v[52:53], v[78:79], v[50:51], -v[52:53]
	v_mul_f64 v[78:79], v[78:79], v[86:87]
	v_add_f64 v[38:39], v[38:39], -v[52:53]
	v_fma_f64 v[78:79], v[80:81], v[50:51], v[78:79]
	v_add_f64 v[40:41], v[40:41], -v[78:79]
	ds_read2_b64 v[78:81], v1 offset0:20 offset1:21
	s_waitcnt lgkmcnt(0)
	v_mul_f64 v[52:53], v[80:81], v[86:87]
	v_fma_f64 v[52:53], v[78:79], v[50:51], -v[52:53]
	v_mul_f64 v[78:79], v[78:79], v[86:87]
	v_add_f64 v[34:35], v[34:35], -v[52:53]
	v_fma_f64 v[78:79], v[80:81], v[50:51], v[78:79]
	v_add_f64 v[36:37], v[36:37], -v[78:79]
	;; [unrolled: 8-line block ×9, first 2 shown]
	ds_read2_b64 v[78:81], v1 offset0:36 offset1:37
	s_waitcnt lgkmcnt(0)
	v_mul_f64 v[52:53], v[80:81], v[86:87]
	v_fma_f64 v[52:53], v[78:79], v[50:51], -v[52:53]
	v_mul_f64 v[78:79], v[78:79], v[86:87]
	v_add_f64 v[2:3], v[2:3], -v[52:53]
	v_fma_f64 v[78:79], v[80:81], v[50:51], v[78:79]
	v_mov_b32_e32 v52, v86
	v_mov_b32_e32 v53, v87
	v_add_f64 v[4:5], v[4:5], -v[78:79]
.LBB36_188:
	s_or_b32 exec_lo, exec_lo, s0
	v_lshl_add_u32 v78, v92, 4, v1
	s_barrier
	buffer_gl0_inv
	v_mov_b32_e32 v86, 9
	ds_write2_b64 v78, v[38:39], v[40:41] offset1:1
	s_waitcnt lgkmcnt(0)
	s_barrier
	buffer_gl0_inv
	ds_read2_b64 v[78:81], v1 offset0:18 offset1:19
	s_cmp_lt_i32 s18, 11
	s_cbranch_scc1 .LBB36_191
; %bb.189:
	v_add3_u32 v87, v88, 0, 0xa0
	v_mov_b32_e32 v86, 9
	s_mov_b32 s1, 10
	s_inst_prefetch 0x1
	.p2align	6
.LBB36_190:                             ; =>This Inner Loop Header: Depth=1
	s_waitcnt lgkmcnt(0)
	v_cmp_gt_f64_e32 vcc_lo, 0, v[80:81]
	v_cmp_gt_f64_e64 s0, 0, v[78:79]
	ds_read2_b64 v[93:96], v87 offset1:1
	v_xor_b32_e32 v98, 0x80000000, v79
	v_xor_b32_e32 v100, 0x80000000, v81
	v_mov_b32_e32 v97, v78
	v_mov_b32_e32 v99, v80
	v_add_nc_u32_e32 v87, 16, v87
	s_waitcnt lgkmcnt(0)
	v_xor_b32_e32 v102, 0x80000000, v96
	v_cndmask_b32_e64 v98, v79, v98, s0
	v_cndmask_b32_e32 v100, v81, v100, vcc_lo
	v_cmp_gt_f64_e32 vcc_lo, 0, v[95:96]
	v_cmp_gt_f64_e64 s0, 0, v[93:94]
	v_mov_b32_e32 v101, v95
	v_add_f64 v[97:98], v[97:98], v[99:100]
	v_xor_b32_e32 v100, 0x80000000, v94
	v_mov_b32_e32 v99, v93
	v_cndmask_b32_e32 v102, v96, v102, vcc_lo
	v_cndmask_b32_e64 v100, v94, v100, s0
	v_add_f64 v[99:100], v[99:100], v[101:102]
	v_cmp_lt_f64_e32 vcc_lo, v[97:98], v[99:100]
	v_cndmask_b32_e32 v79, v79, v94, vcc_lo
	v_cndmask_b32_e32 v78, v78, v93, vcc_lo
	;; [unrolled: 1-line block ×4, first 2 shown]
	v_cndmask_b32_e64 v86, v86, s1, vcc_lo
	s_add_i32 s1, s1, 1
	s_cmp_lg_u32 s18, s1
	s_cbranch_scc1 .LBB36_190
.LBB36_191:
	s_inst_prefetch 0x2
	s_waitcnt lgkmcnt(0)
	v_cmp_eq_f64_e32 vcc_lo, 0, v[78:79]
	v_cmp_eq_f64_e64 s0, 0, v[80:81]
	s_and_b32 s0, vcc_lo, s0
	s_and_saveexec_b32 s1, s0
	s_xor_b32 s0, exec_lo, s1
; %bb.192:
	v_cmp_ne_u32_e32 vcc_lo, 0, v91
	v_cndmask_b32_e32 v91, 10, v91, vcc_lo
; %bb.193:
	s_andn2_saveexec_b32 s0, s0
	s_cbranch_execz .LBB36_199
; %bb.194:
	v_cmp_ngt_f64_e64 s1, |v[78:79]|, |v[80:81]|
	s_and_saveexec_b32 s2, s1
	s_xor_b32 s1, exec_lo, s2
	s_cbranch_execz .LBB36_196
; %bb.195:
	v_div_scale_f64 v[93:94], null, v[80:81], v[80:81], v[78:79]
	v_div_scale_f64 v[99:100], vcc_lo, v[78:79], v[80:81], v[78:79]
	v_rcp_f64_e32 v[95:96], v[93:94]
	v_fma_f64 v[97:98], -v[93:94], v[95:96], 1.0
	v_fma_f64 v[95:96], v[95:96], v[97:98], v[95:96]
	v_fma_f64 v[97:98], -v[93:94], v[95:96], 1.0
	v_fma_f64 v[95:96], v[95:96], v[97:98], v[95:96]
	v_mul_f64 v[97:98], v[99:100], v[95:96]
	v_fma_f64 v[93:94], -v[93:94], v[97:98], v[99:100]
	v_div_fmas_f64 v[93:94], v[93:94], v[95:96], v[97:98]
	v_div_fixup_f64 v[93:94], v[93:94], v[80:81], v[78:79]
	v_fma_f64 v[78:79], v[78:79], v[93:94], v[80:81]
	v_div_scale_f64 v[80:81], null, v[78:79], v[78:79], 1.0
	v_rcp_f64_e32 v[95:96], v[80:81]
	v_fma_f64 v[97:98], -v[80:81], v[95:96], 1.0
	v_fma_f64 v[95:96], v[95:96], v[97:98], v[95:96]
	v_fma_f64 v[97:98], -v[80:81], v[95:96], 1.0
	v_fma_f64 v[95:96], v[95:96], v[97:98], v[95:96]
	v_div_scale_f64 v[97:98], vcc_lo, 1.0, v[78:79], 1.0
	v_mul_f64 v[99:100], v[97:98], v[95:96]
	v_fma_f64 v[80:81], -v[80:81], v[99:100], v[97:98]
	v_div_fmas_f64 v[80:81], v[80:81], v[95:96], v[99:100]
	v_div_fixup_f64 v[80:81], v[80:81], v[78:79], 1.0
	v_mul_f64 v[78:79], v[93:94], v[80:81]
	v_xor_b32_e32 v81, 0x80000000, v81
.LBB36_196:
	s_andn2_saveexec_b32 s1, s1
	s_cbranch_execz .LBB36_198
; %bb.197:
	v_div_scale_f64 v[93:94], null, v[78:79], v[78:79], v[80:81]
	v_div_scale_f64 v[99:100], vcc_lo, v[80:81], v[78:79], v[80:81]
	v_rcp_f64_e32 v[95:96], v[93:94]
	v_fma_f64 v[97:98], -v[93:94], v[95:96], 1.0
	v_fma_f64 v[95:96], v[95:96], v[97:98], v[95:96]
	v_fma_f64 v[97:98], -v[93:94], v[95:96], 1.0
	v_fma_f64 v[95:96], v[95:96], v[97:98], v[95:96]
	v_mul_f64 v[97:98], v[99:100], v[95:96]
	v_fma_f64 v[93:94], -v[93:94], v[97:98], v[99:100]
	v_div_fmas_f64 v[93:94], v[93:94], v[95:96], v[97:98]
	v_div_fixup_f64 v[93:94], v[93:94], v[78:79], v[80:81]
	v_fma_f64 v[78:79], v[80:81], v[93:94], v[78:79]
	v_div_scale_f64 v[80:81], null, v[78:79], v[78:79], 1.0
	v_rcp_f64_e32 v[95:96], v[80:81]
	v_fma_f64 v[97:98], -v[80:81], v[95:96], 1.0
	v_fma_f64 v[95:96], v[95:96], v[97:98], v[95:96]
	v_fma_f64 v[97:98], -v[80:81], v[95:96], 1.0
	v_fma_f64 v[95:96], v[95:96], v[97:98], v[95:96]
	v_div_scale_f64 v[97:98], vcc_lo, 1.0, v[78:79], 1.0
	v_mul_f64 v[99:100], v[97:98], v[95:96]
	v_fma_f64 v[80:81], -v[80:81], v[99:100], v[97:98]
	v_div_fmas_f64 v[80:81], v[80:81], v[95:96], v[99:100]
	v_div_fixup_f64 v[78:79], v[80:81], v[78:79], 1.0
	v_mul_f64 v[80:81], v[93:94], -v[78:79]
.LBB36_198:
	s_or_b32 exec_lo, exec_lo, s1
.LBB36_199:
	s_or_b32 exec_lo, exec_lo, s0
	s_mov_b32 s0, exec_lo
	v_cmpx_ne_u32_e64 v92, v86
	s_xor_b32 s0, exec_lo, s0
	s_cbranch_execz .LBB36_205
; %bb.200:
	s_mov_b32 s1, exec_lo
	v_cmpx_eq_u32_e32 9, v92
	s_cbranch_execz .LBB36_204
; %bb.201:
	v_cmp_ne_u32_e32 vcc_lo, 9, v86
	s_xor_b32 s2, s16, -1
	s_and_b32 s3, s2, vcc_lo
	s_and_saveexec_b32 s2, s3
	s_cbranch_execz .LBB36_203
; %bb.202:
	v_ashrrev_i32_e32 v87, 31, v86
	v_lshlrev_b64 v[92:93], 2, v[86:87]
	v_add_co_u32 v92, vcc_lo, v84, v92
	v_add_co_ci_u32_e64 v93, null, v85, v93, vcc_lo
	s_clause 0x1
	global_load_dword v0, v[92:93], off
	global_load_dword v87, v[84:85], off offset:36
	s_waitcnt vmcnt(1)
	global_store_dword v[84:85], v0, off offset:36
	s_waitcnt vmcnt(0)
	global_store_dword v[92:93], v87, off
.LBB36_203:
	s_or_b32 exec_lo, exec_lo, s2
	v_mov_b32_e32 v92, v86
	v_mov_b32_e32 v0, v86
.LBB36_204:
	s_or_b32 exec_lo, exec_lo, s1
.LBB36_205:
	s_andn2_saveexec_b32 s0, s0
	s_cbranch_execz .LBB36_207
; %bb.206:
	v_mov_b32_e32 v92, 9
	ds_write2_b64 v1, v[34:35], v[36:37] offset0:20 offset1:21
	ds_write2_b64 v1, v[30:31], v[32:33] offset0:22 offset1:23
	;; [unrolled: 1-line block ×9, first 2 shown]
.LBB36_207:
	s_or_b32 exec_lo, exec_lo, s0
	s_mov_b32 s0, exec_lo
	s_waitcnt lgkmcnt(0)
	s_waitcnt_vscnt null, 0x0
	s_barrier
	buffer_gl0_inv
	v_cmpx_lt_i32_e32 9, v92
	s_cbranch_execz .LBB36_209
; %bb.208:
	v_mul_f64 v[86:87], v[78:79], v[40:41]
	v_mul_f64 v[40:41], v[80:81], v[40:41]
	v_fma_f64 v[86:87], v[80:81], v[38:39], v[86:87]
	v_fma_f64 v[38:39], v[78:79], v[38:39], -v[40:41]
	ds_read2_b64 v[78:81], v1 offset0:20 offset1:21
	s_waitcnt lgkmcnt(0)
	v_mul_f64 v[40:41], v[80:81], v[86:87]
	v_fma_f64 v[40:41], v[78:79], v[38:39], -v[40:41]
	v_mul_f64 v[78:79], v[78:79], v[86:87]
	v_add_f64 v[34:35], v[34:35], -v[40:41]
	v_fma_f64 v[78:79], v[80:81], v[38:39], v[78:79]
	v_add_f64 v[36:37], v[36:37], -v[78:79]
	ds_read2_b64 v[78:81], v1 offset0:22 offset1:23
	s_waitcnt lgkmcnt(0)
	v_mul_f64 v[40:41], v[80:81], v[86:87]
	v_fma_f64 v[40:41], v[78:79], v[38:39], -v[40:41]
	v_mul_f64 v[78:79], v[78:79], v[86:87]
	v_add_f64 v[30:31], v[30:31], -v[40:41]
	v_fma_f64 v[78:79], v[80:81], v[38:39], v[78:79]
	v_add_f64 v[32:33], v[32:33], -v[78:79]
	ds_read2_b64 v[78:81], v1 offset0:24 offset1:25
	s_waitcnt lgkmcnt(0)
	v_mul_f64 v[40:41], v[80:81], v[86:87]
	v_fma_f64 v[40:41], v[78:79], v[38:39], -v[40:41]
	v_mul_f64 v[78:79], v[78:79], v[86:87]
	v_add_f64 v[26:27], v[26:27], -v[40:41]
	v_fma_f64 v[78:79], v[80:81], v[38:39], v[78:79]
	v_add_f64 v[28:29], v[28:29], -v[78:79]
	ds_read2_b64 v[78:81], v1 offset0:26 offset1:27
	s_waitcnt lgkmcnt(0)
	v_mul_f64 v[40:41], v[80:81], v[86:87]
	v_fma_f64 v[40:41], v[78:79], v[38:39], -v[40:41]
	v_mul_f64 v[78:79], v[78:79], v[86:87]
	v_add_f64 v[22:23], v[22:23], -v[40:41]
	v_fma_f64 v[78:79], v[80:81], v[38:39], v[78:79]
	v_add_f64 v[24:25], v[24:25], -v[78:79]
	ds_read2_b64 v[78:81], v1 offset0:28 offset1:29
	s_waitcnt lgkmcnt(0)
	v_mul_f64 v[40:41], v[80:81], v[86:87]
	v_fma_f64 v[40:41], v[78:79], v[38:39], -v[40:41]
	v_mul_f64 v[78:79], v[78:79], v[86:87]
	v_add_f64 v[18:19], v[18:19], -v[40:41]
	v_fma_f64 v[78:79], v[80:81], v[38:39], v[78:79]
	v_add_f64 v[20:21], v[20:21], -v[78:79]
	ds_read2_b64 v[78:81], v1 offset0:30 offset1:31
	s_waitcnt lgkmcnt(0)
	v_mul_f64 v[40:41], v[80:81], v[86:87]
	v_fma_f64 v[40:41], v[78:79], v[38:39], -v[40:41]
	v_mul_f64 v[78:79], v[78:79], v[86:87]
	v_add_f64 v[14:15], v[14:15], -v[40:41]
	v_fma_f64 v[78:79], v[80:81], v[38:39], v[78:79]
	v_add_f64 v[16:17], v[16:17], -v[78:79]
	ds_read2_b64 v[78:81], v1 offset0:32 offset1:33
	s_waitcnt lgkmcnt(0)
	v_mul_f64 v[40:41], v[80:81], v[86:87]
	v_fma_f64 v[40:41], v[78:79], v[38:39], -v[40:41]
	v_mul_f64 v[78:79], v[78:79], v[86:87]
	v_add_f64 v[10:11], v[10:11], -v[40:41]
	v_fma_f64 v[78:79], v[80:81], v[38:39], v[78:79]
	v_add_f64 v[12:13], v[12:13], -v[78:79]
	ds_read2_b64 v[78:81], v1 offset0:34 offset1:35
	s_waitcnt lgkmcnt(0)
	v_mul_f64 v[40:41], v[80:81], v[86:87]
	v_fma_f64 v[40:41], v[78:79], v[38:39], -v[40:41]
	v_mul_f64 v[78:79], v[78:79], v[86:87]
	v_add_f64 v[6:7], v[6:7], -v[40:41]
	v_fma_f64 v[78:79], v[80:81], v[38:39], v[78:79]
	v_add_f64 v[8:9], v[8:9], -v[78:79]
	ds_read2_b64 v[78:81], v1 offset0:36 offset1:37
	s_waitcnt lgkmcnt(0)
	v_mul_f64 v[40:41], v[80:81], v[86:87]
	v_fma_f64 v[40:41], v[78:79], v[38:39], -v[40:41]
	v_mul_f64 v[78:79], v[78:79], v[86:87]
	v_add_f64 v[2:3], v[2:3], -v[40:41]
	v_fma_f64 v[78:79], v[80:81], v[38:39], v[78:79]
	v_mov_b32_e32 v40, v86
	v_mov_b32_e32 v41, v87
	v_add_f64 v[4:5], v[4:5], -v[78:79]
.LBB36_209:
	s_or_b32 exec_lo, exec_lo, s0
	v_lshl_add_u32 v78, v92, 4, v1
	s_barrier
	buffer_gl0_inv
	v_mov_b32_e32 v86, 10
	ds_write2_b64 v78, v[34:35], v[36:37] offset1:1
	s_waitcnt lgkmcnt(0)
	s_barrier
	buffer_gl0_inv
	ds_read2_b64 v[78:81], v1 offset0:20 offset1:21
	s_cmp_lt_i32 s18, 12
	s_cbranch_scc1 .LBB36_212
; %bb.210:
	v_add3_u32 v87, v88, 0, 0xb0
	v_mov_b32_e32 v86, 10
	s_mov_b32 s1, 11
	s_inst_prefetch 0x1
	.p2align	6
.LBB36_211:                             ; =>This Inner Loop Header: Depth=1
	s_waitcnt lgkmcnt(0)
	v_cmp_gt_f64_e32 vcc_lo, 0, v[80:81]
	v_cmp_gt_f64_e64 s0, 0, v[78:79]
	ds_read2_b64 v[93:96], v87 offset1:1
	v_xor_b32_e32 v98, 0x80000000, v79
	v_xor_b32_e32 v100, 0x80000000, v81
	v_mov_b32_e32 v97, v78
	v_mov_b32_e32 v99, v80
	v_add_nc_u32_e32 v87, 16, v87
	s_waitcnt lgkmcnt(0)
	v_xor_b32_e32 v102, 0x80000000, v96
	v_cndmask_b32_e64 v98, v79, v98, s0
	v_cndmask_b32_e32 v100, v81, v100, vcc_lo
	v_cmp_gt_f64_e32 vcc_lo, 0, v[95:96]
	v_cmp_gt_f64_e64 s0, 0, v[93:94]
	v_mov_b32_e32 v101, v95
	v_add_f64 v[97:98], v[97:98], v[99:100]
	v_xor_b32_e32 v100, 0x80000000, v94
	v_mov_b32_e32 v99, v93
	v_cndmask_b32_e32 v102, v96, v102, vcc_lo
	v_cndmask_b32_e64 v100, v94, v100, s0
	v_add_f64 v[99:100], v[99:100], v[101:102]
	v_cmp_lt_f64_e32 vcc_lo, v[97:98], v[99:100]
	v_cndmask_b32_e32 v79, v79, v94, vcc_lo
	v_cndmask_b32_e32 v78, v78, v93, vcc_lo
	;; [unrolled: 1-line block ×4, first 2 shown]
	v_cndmask_b32_e64 v86, v86, s1, vcc_lo
	s_add_i32 s1, s1, 1
	s_cmp_lg_u32 s18, s1
	s_cbranch_scc1 .LBB36_211
.LBB36_212:
	s_inst_prefetch 0x2
	s_waitcnt lgkmcnt(0)
	v_cmp_eq_f64_e32 vcc_lo, 0, v[78:79]
	v_cmp_eq_f64_e64 s0, 0, v[80:81]
	s_and_b32 s0, vcc_lo, s0
	s_and_saveexec_b32 s1, s0
	s_xor_b32 s0, exec_lo, s1
; %bb.213:
	v_cmp_ne_u32_e32 vcc_lo, 0, v91
	v_cndmask_b32_e32 v91, 11, v91, vcc_lo
; %bb.214:
	s_andn2_saveexec_b32 s0, s0
	s_cbranch_execz .LBB36_220
; %bb.215:
	v_cmp_ngt_f64_e64 s1, |v[78:79]|, |v[80:81]|
	s_and_saveexec_b32 s2, s1
	s_xor_b32 s1, exec_lo, s2
	s_cbranch_execz .LBB36_217
; %bb.216:
	v_div_scale_f64 v[93:94], null, v[80:81], v[80:81], v[78:79]
	v_div_scale_f64 v[99:100], vcc_lo, v[78:79], v[80:81], v[78:79]
	v_rcp_f64_e32 v[95:96], v[93:94]
	v_fma_f64 v[97:98], -v[93:94], v[95:96], 1.0
	v_fma_f64 v[95:96], v[95:96], v[97:98], v[95:96]
	v_fma_f64 v[97:98], -v[93:94], v[95:96], 1.0
	v_fma_f64 v[95:96], v[95:96], v[97:98], v[95:96]
	v_mul_f64 v[97:98], v[99:100], v[95:96]
	v_fma_f64 v[93:94], -v[93:94], v[97:98], v[99:100]
	v_div_fmas_f64 v[93:94], v[93:94], v[95:96], v[97:98]
	v_div_fixup_f64 v[93:94], v[93:94], v[80:81], v[78:79]
	v_fma_f64 v[78:79], v[78:79], v[93:94], v[80:81]
	v_div_scale_f64 v[80:81], null, v[78:79], v[78:79], 1.0
	v_rcp_f64_e32 v[95:96], v[80:81]
	v_fma_f64 v[97:98], -v[80:81], v[95:96], 1.0
	v_fma_f64 v[95:96], v[95:96], v[97:98], v[95:96]
	v_fma_f64 v[97:98], -v[80:81], v[95:96], 1.0
	v_fma_f64 v[95:96], v[95:96], v[97:98], v[95:96]
	v_div_scale_f64 v[97:98], vcc_lo, 1.0, v[78:79], 1.0
	v_mul_f64 v[99:100], v[97:98], v[95:96]
	v_fma_f64 v[80:81], -v[80:81], v[99:100], v[97:98]
	v_div_fmas_f64 v[80:81], v[80:81], v[95:96], v[99:100]
	v_div_fixup_f64 v[80:81], v[80:81], v[78:79], 1.0
	v_mul_f64 v[78:79], v[93:94], v[80:81]
	v_xor_b32_e32 v81, 0x80000000, v81
.LBB36_217:
	s_andn2_saveexec_b32 s1, s1
	s_cbranch_execz .LBB36_219
; %bb.218:
	v_div_scale_f64 v[93:94], null, v[78:79], v[78:79], v[80:81]
	v_div_scale_f64 v[99:100], vcc_lo, v[80:81], v[78:79], v[80:81]
	v_rcp_f64_e32 v[95:96], v[93:94]
	v_fma_f64 v[97:98], -v[93:94], v[95:96], 1.0
	v_fma_f64 v[95:96], v[95:96], v[97:98], v[95:96]
	v_fma_f64 v[97:98], -v[93:94], v[95:96], 1.0
	v_fma_f64 v[95:96], v[95:96], v[97:98], v[95:96]
	v_mul_f64 v[97:98], v[99:100], v[95:96]
	v_fma_f64 v[93:94], -v[93:94], v[97:98], v[99:100]
	v_div_fmas_f64 v[93:94], v[93:94], v[95:96], v[97:98]
	v_div_fixup_f64 v[93:94], v[93:94], v[78:79], v[80:81]
	v_fma_f64 v[78:79], v[80:81], v[93:94], v[78:79]
	v_div_scale_f64 v[80:81], null, v[78:79], v[78:79], 1.0
	v_rcp_f64_e32 v[95:96], v[80:81]
	v_fma_f64 v[97:98], -v[80:81], v[95:96], 1.0
	v_fma_f64 v[95:96], v[95:96], v[97:98], v[95:96]
	v_fma_f64 v[97:98], -v[80:81], v[95:96], 1.0
	v_fma_f64 v[95:96], v[95:96], v[97:98], v[95:96]
	v_div_scale_f64 v[97:98], vcc_lo, 1.0, v[78:79], 1.0
	v_mul_f64 v[99:100], v[97:98], v[95:96]
	v_fma_f64 v[80:81], -v[80:81], v[99:100], v[97:98]
	v_div_fmas_f64 v[80:81], v[80:81], v[95:96], v[99:100]
	v_div_fixup_f64 v[78:79], v[80:81], v[78:79], 1.0
	v_mul_f64 v[80:81], v[93:94], -v[78:79]
.LBB36_219:
	s_or_b32 exec_lo, exec_lo, s1
.LBB36_220:
	s_or_b32 exec_lo, exec_lo, s0
	s_mov_b32 s0, exec_lo
	v_cmpx_ne_u32_e64 v92, v86
	s_xor_b32 s0, exec_lo, s0
	s_cbranch_execz .LBB36_226
; %bb.221:
	s_mov_b32 s1, exec_lo
	v_cmpx_eq_u32_e32 10, v92
	s_cbranch_execz .LBB36_225
; %bb.222:
	v_cmp_ne_u32_e32 vcc_lo, 10, v86
	s_xor_b32 s2, s16, -1
	s_and_b32 s3, s2, vcc_lo
	s_and_saveexec_b32 s2, s3
	s_cbranch_execz .LBB36_224
; %bb.223:
	v_ashrrev_i32_e32 v87, 31, v86
	v_lshlrev_b64 v[92:93], 2, v[86:87]
	v_add_co_u32 v92, vcc_lo, v84, v92
	v_add_co_ci_u32_e64 v93, null, v85, v93, vcc_lo
	s_clause 0x1
	global_load_dword v0, v[92:93], off
	global_load_dword v87, v[84:85], off offset:40
	s_waitcnt vmcnt(1)
	global_store_dword v[84:85], v0, off offset:40
	s_waitcnt vmcnt(0)
	global_store_dword v[92:93], v87, off
.LBB36_224:
	s_or_b32 exec_lo, exec_lo, s2
	v_mov_b32_e32 v92, v86
	v_mov_b32_e32 v0, v86
.LBB36_225:
	s_or_b32 exec_lo, exec_lo, s1
.LBB36_226:
	s_andn2_saveexec_b32 s0, s0
	s_cbranch_execz .LBB36_228
; %bb.227:
	v_mov_b32_e32 v92, 10
	ds_write2_b64 v1, v[30:31], v[32:33] offset0:22 offset1:23
	ds_write2_b64 v1, v[26:27], v[28:29] offset0:24 offset1:25
	;; [unrolled: 1-line block ×8, first 2 shown]
.LBB36_228:
	s_or_b32 exec_lo, exec_lo, s0
	s_mov_b32 s0, exec_lo
	s_waitcnt lgkmcnt(0)
	s_waitcnt_vscnt null, 0x0
	s_barrier
	buffer_gl0_inv
	v_cmpx_lt_i32_e32 10, v92
	s_cbranch_execz .LBB36_230
; %bb.229:
	v_mul_f64 v[86:87], v[78:79], v[36:37]
	v_mul_f64 v[36:37], v[80:81], v[36:37]
	v_fma_f64 v[86:87], v[80:81], v[34:35], v[86:87]
	v_fma_f64 v[34:35], v[78:79], v[34:35], -v[36:37]
	ds_read2_b64 v[78:81], v1 offset0:22 offset1:23
	s_waitcnt lgkmcnt(0)
	v_mul_f64 v[36:37], v[80:81], v[86:87]
	v_fma_f64 v[36:37], v[78:79], v[34:35], -v[36:37]
	v_mul_f64 v[78:79], v[78:79], v[86:87]
	v_add_f64 v[30:31], v[30:31], -v[36:37]
	v_fma_f64 v[78:79], v[80:81], v[34:35], v[78:79]
	v_add_f64 v[32:33], v[32:33], -v[78:79]
	ds_read2_b64 v[78:81], v1 offset0:24 offset1:25
	s_waitcnt lgkmcnt(0)
	v_mul_f64 v[36:37], v[80:81], v[86:87]
	v_fma_f64 v[36:37], v[78:79], v[34:35], -v[36:37]
	v_mul_f64 v[78:79], v[78:79], v[86:87]
	v_add_f64 v[26:27], v[26:27], -v[36:37]
	v_fma_f64 v[78:79], v[80:81], v[34:35], v[78:79]
	v_add_f64 v[28:29], v[28:29], -v[78:79]
	;; [unrolled: 8-line block ×7, first 2 shown]
	ds_read2_b64 v[78:81], v1 offset0:36 offset1:37
	s_waitcnt lgkmcnt(0)
	v_mul_f64 v[36:37], v[80:81], v[86:87]
	v_fma_f64 v[36:37], v[78:79], v[34:35], -v[36:37]
	v_mul_f64 v[78:79], v[78:79], v[86:87]
	v_add_f64 v[2:3], v[2:3], -v[36:37]
	v_fma_f64 v[78:79], v[80:81], v[34:35], v[78:79]
	v_mov_b32_e32 v36, v86
	v_mov_b32_e32 v37, v87
	v_add_f64 v[4:5], v[4:5], -v[78:79]
.LBB36_230:
	s_or_b32 exec_lo, exec_lo, s0
	v_lshl_add_u32 v78, v92, 4, v1
	s_barrier
	buffer_gl0_inv
	v_mov_b32_e32 v86, 11
	ds_write2_b64 v78, v[30:31], v[32:33] offset1:1
	s_waitcnt lgkmcnt(0)
	s_barrier
	buffer_gl0_inv
	ds_read2_b64 v[78:81], v1 offset0:22 offset1:23
	s_cmp_lt_i32 s18, 13
	s_cbranch_scc1 .LBB36_233
; %bb.231:
	v_add3_u32 v87, v88, 0, 0xc0
	v_mov_b32_e32 v86, 11
	s_mov_b32 s1, 12
	s_inst_prefetch 0x1
	.p2align	6
.LBB36_232:                             ; =>This Inner Loop Header: Depth=1
	s_waitcnt lgkmcnt(0)
	v_cmp_gt_f64_e32 vcc_lo, 0, v[80:81]
	v_cmp_gt_f64_e64 s0, 0, v[78:79]
	ds_read2_b64 v[93:96], v87 offset1:1
	v_xor_b32_e32 v98, 0x80000000, v79
	v_xor_b32_e32 v100, 0x80000000, v81
	v_mov_b32_e32 v97, v78
	v_mov_b32_e32 v99, v80
	v_add_nc_u32_e32 v87, 16, v87
	s_waitcnt lgkmcnt(0)
	v_xor_b32_e32 v102, 0x80000000, v96
	v_cndmask_b32_e64 v98, v79, v98, s0
	v_cndmask_b32_e32 v100, v81, v100, vcc_lo
	v_cmp_gt_f64_e32 vcc_lo, 0, v[95:96]
	v_cmp_gt_f64_e64 s0, 0, v[93:94]
	v_mov_b32_e32 v101, v95
	v_add_f64 v[97:98], v[97:98], v[99:100]
	v_xor_b32_e32 v100, 0x80000000, v94
	v_mov_b32_e32 v99, v93
	v_cndmask_b32_e32 v102, v96, v102, vcc_lo
	v_cndmask_b32_e64 v100, v94, v100, s0
	v_add_f64 v[99:100], v[99:100], v[101:102]
	v_cmp_lt_f64_e32 vcc_lo, v[97:98], v[99:100]
	v_cndmask_b32_e32 v79, v79, v94, vcc_lo
	v_cndmask_b32_e32 v78, v78, v93, vcc_lo
	;; [unrolled: 1-line block ×4, first 2 shown]
	v_cndmask_b32_e64 v86, v86, s1, vcc_lo
	s_add_i32 s1, s1, 1
	s_cmp_lg_u32 s18, s1
	s_cbranch_scc1 .LBB36_232
.LBB36_233:
	s_inst_prefetch 0x2
	s_waitcnt lgkmcnt(0)
	v_cmp_eq_f64_e32 vcc_lo, 0, v[78:79]
	v_cmp_eq_f64_e64 s0, 0, v[80:81]
	s_and_b32 s0, vcc_lo, s0
	s_and_saveexec_b32 s1, s0
	s_xor_b32 s0, exec_lo, s1
; %bb.234:
	v_cmp_ne_u32_e32 vcc_lo, 0, v91
	v_cndmask_b32_e32 v91, 12, v91, vcc_lo
; %bb.235:
	s_andn2_saveexec_b32 s0, s0
	s_cbranch_execz .LBB36_241
; %bb.236:
	v_cmp_ngt_f64_e64 s1, |v[78:79]|, |v[80:81]|
	s_and_saveexec_b32 s2, s1
	s_xor_b32 s1, exec_lo, s2
	s_cbranch_execz .LBB36_238
; %bb.237:
	v_div_scale_f64 v[93:94], null, v[80:81], v[80:81], v[78:79]
	v_div_scale_f64 v[99:100], vcc_lo, v[78:79], v[80:81], v[78:79]
	v_rcp_f64_e32 v[95:96], v[93:94]
	v_fma_f64 v[97:98], -v[93:94], v[95:96], 1.0
	v_fma_f64 v[95:96], v[95:96], v[97:98], v[95:96]
	v_fma_f64 v[97:98], -v[93:94], v[95:96], 1.0
	v_fma_f64 v[95:96], v[95:96], v[97:98], v[95:96]
	v_mul_f64 v[97:98], v[99:100], v[95:96]
	v_fma_f64 v[93:94], -v[93:94], v[97:98], v[99:100]
	v_div_fmas_f64 v[93:94], v[93:94], v[95:96], v[97:98]
	v_div_fixup_f64 v[93:94], v[93:94], v[80:81], v[78:79]
	v_fma_f64 v[78:79], v[78:79], v[93:94], v[80:81]
	v_div_scale_f64 v[80:81], null, v[78:79], v[78:79], 1.0
	v_rcp_f64_e32 v[95:96], v[80:81]
	v_fma_f64 v[97:98], -v[80:81], v[95:96], 1.0
	v_fma_f64 v[95:96], v[95:96], v[97:98], v[95:96]
	v_fma_f64 v[97:98], -v[80:81], v[95:96], 1.0
	v_fma_f64 v[95:96], v[95:96], v[97:98], v[95:96]
	v_div_scale_f64 v[97:98], vcc_lo, 1.0, v[78:79], 1.0
	v_mul_f64 v[99:100], v[97:98], v[95:96]
	v_fma_f64 v[80:81], -v[80:81], v[99:100], v[97:98]
	v_div_fmas_f64 v[80:81], v[80:81], v[95:96], v[99:100]
	v_div_fixup_f64 v[80:81], v[80:81], v[78:79], 1.0
	v_mul_f64 v[78:79], v[93:94], v[80:81]
	v_xor_b32_e32 v81, 0x80000000, v81
.LBB36_238:
	s_andn2_saveexec_b32 s1, s1
	s_cbranch_execz .LBB36_240
; %bb.239:
	v_div_scale_f64 v[93:94], null, v[78:79], v[78:79], v[80:81]
	v_div_scale_f64 v[99:100], vcc_lo, v[80:81], v[78:79], v[80:81]
	v_rcp_f64_e32 v[95:96], v[93:94]
	v_fma_f64 v[97:98], -v[93:94], v[95:96], 1.0
	v_fma_f64 v[95:96], v[95:96], v[97:98], v[95:96]
	v_fma_f64 v[97:98], -v[93:94], v[95:96], 1.0
	v_fma_f64 v[95:96], v[95:96], v[97:98], v[95:96]
	v_mul_f64 v[97:98], v[99:100], v[95:96]
	v_fma_f64 v[93:94], -v[93:94], v[97:98], v[99:100]
	v_div_fmas_f64 v[93:94], v[93:94], v[95:96], v[97:98]
	v_div_fixup_f64 v[93:94], v[93:94], v[78:79], v[80:81]
	v_fma_f64 v[78:79], v[80:81], v[93:94], v[78:79]
	v_div_scale_f64 v[80:81], null, v[78:79], v[78:79], 1.0
	v_rcp_f64_e32 v[95:96], v[80:81]
	v_fma_f64 v[97:98], -v[80:81], v[95:96], 1.0
	v_fma_f64 v[95:96], v[95:96], v[97:98], v[95:96]
	v_fma_f64 v[97:98], -v[80:81], v[95:96], 1.0
	v_fma_f64 v[95:96], v[95:96], v[97:98], v[95:96]
	v_div_scale_f64 v[97:98], vcc_lo, 1.0, v[78:79], 1.0
	v_mul_f64 v[99:100], v[97:98], v[95:96]
	v_fma_f64 v[80:81], -v[80:81], v[99:100], v[97:98]
	v_div_fmas_f64 v[80:81], v[80:81], v[95:96], v[99:100]
	v_div_fixup_f64 v[78:79], v[80:81], v[78:79], 1.0
	v_mul_f64 v[80:81], v[93:94], -v[78:79]
.LBB36_240:
	s_or_b32 exec_lo, exec_lo, s1
.LBB36_241:
	s_or_b32 exec_lo, exec_lo, s0
	s_mov_b32 s0, exec_lo
	v_cmpx_ne_u32_e64 v92, v86
	s_xor_b32 s0, exec_lo, s0
	s_cbranch_execz .LBB36_247
; %bb.242:
	s_mov_b32 s1, exec_lo
	v_cmpx_eq_u32_e32 11, v92
	s_cbranch_execz .LBB36_246
; %bb.243:
	v_cmp_ne_u32_e32 vcc_lo, 11, v86
	s_xor_b32 s2, s16, -1
	s_and_b32 s3, s2, vcc_lo
	s_and_saveexec_b32 s2, s3
	s_cbranch_execz .LBB36_245
; %bb.244:
	v_ashrrev_i32_e32 v87, 31, v86
	v_lshlrev_b64 v[92:93], 2, v[86:87]
	v_add_co_u32 v92, vcc_lo, v84, v92
	v_add_co_ci_u32_e64 v93, null, v85, v93, vcc_lo
	s_clause 0x1
	global_load_dword v0, v[92:93], off
	global_load_dword v87, v[84:85], off offset:44
	s_waitcnt vmcnt(1)
	global_store_dword v[84:85], v0, off offset:44
	s_waitcnt vmcnt(0)
	global_store_dword v[92:93], v87, off
.LBB36_245:
	s_or_b32 exec_lo, exec_lo, s2
	v_mov_b32_e32 v92, v86
	v_mov_b32_e32 v0, v86
.LBB36_246:
	s_or_b32 exec_lo, exec_lo, s1
.LBB36_247:
	s_andn2_saveexec_b32 s0, s0
	s_cbranch_execz .LBB36_249
; %bb.248:
	v_mov_b32_e32 v92, 11
	ds_write2_b64 v1, v[26:27], v[28:29] offset0:24 offset1:25
	ds_write2_b64 v1, v[22:23], v[24:25] offset0:26 offset1:27
	;; [unrolled: 1-line block ×7, first 2 shown]
.LBB36_249:
	s_or_b32 exec_lo, exec_lo, s0
	s_mov_b32 s0, exec_lo
	s_waitcnt lgkmcnt(0)
	s_waitcnt_vscnt null, 0x0
	s_barrier
	buffer_gl0_inv
	v_cmpx_lt_i32_e32 11, v92
	s_cbranch_execz .LBB36_251
; %bb.250:
	v_mul_f64 v[86:87], v[78:79], v[32:33]
	v_mul_f64 v[32:33], v[80:81], v[32:33]
	v_fma_f64 v[86:87], v[80:81], v[30:31], v[86:87]
	v_fma_f64 v[30:31], v[78:79], v[30:31], -v[32:33]
	ds_read2_b64 v[78:81], v1 offset0:24 offset1:25
	s_waitcnt lgkmcnt(0)
	v_mul_f64 v[32:33], v[80:81], v[86:87]
	v_fma_f64 v[32:33], v[78:79], v[30:31], -v[32:33]
	v_mul_f64 v[78:79], v[78:79], v[86:87]
	v_add_f64 v[26:27], v[26:27], -v[32:33]
	v_fma_f64 v[78:79], v[80:81], v[30:31], v[78:79]
	v_add_f64 v[28:29], v[28:29], -v[78:79]
	ds_read2_b64 v[78:81], v1 offset0:26 offset1:27
	s_waitcnt lgkmcnt(0)
	v_mul_f64 v[32:33], v[80:81], v[86:87]
	v_fma_f64 v[32:33], v[78:79], v[30:31], -v[32:33]
	v_mul_f64 v[78:79], v[78:79], v[86:87]
	v_add_f64 v[22:23], v[22:23], -v[32:33]
	v_fma_f64 v[78:79], v[80:81], v[30:31], v[78:79]
	v_add_f64 v[24:25], v[24:25], -v[78:79]
	;; [unrolled: 8-line block ×6, first 2 shown]
	ds_read2_b64 v[78:81], v1 offset0:36 offset1:37
	s_waitcnt lgkmcnt(0)
	v_mul_f64 v[32:33], v[80:81], v[86:87]
	v_fma_f64 v[32:33], v[78:79], v[30:31], -v[32:33]
	v_mul_f64 v[78:79], v[78:79], v[86:87]
	v_add_f64 v[2:3], v[2:3], -v[32:33]
	v_fma_f64 v[78:79], v[80:81], v[30:31], v[78:79]
	v_mov_b32_e32 v32, v86
	v_mov_b32_e32 v33, v87
	v_add_f64 v[4:5], v[4:5], -v[78:79]
.LBB36_251:
	s_or_b32 exec_lo, exec_lo, s0
	v_lshl_add_u32 v78, v92, 4, v1
	s_barrier
	buffer_gl0_inv
	v_mov_b32_e32 v86, 12
	ds_write2_b64 v78, v[26:27], v[28:29] offset1:1
	s_waitcnt lgkmcnt(0)
	s_barrier
	buffer_gl0_inv
	ds_read2_b64 v[78:81], v1 offset0:24 offset1:25
	s_cmp_lt_i32 s18, 14
	s_cbranch_scc1 .LBB36_254
; %bb.252:
	v_add3_u32 v87, v88, 0, 0xd0
	v_mov_b32_e32 v86, 12
	s_mov_b32 s1, 13
	s_inst_prefetch 0x1
	.p2align	6
.LBB36_253:                             ; =>This Inner Loop Header: Depth=1
	s_waitcnt lgkmcnt(0)
	v_cmp_gt_f64_e32 vcc_lo, 0, v[80:81]
	v_cmp_gt_f64_e64 s0, 0, v[78:79]
	ds_read2_b64 v[93:96], v87 offset1:1
	v_xor_b32_e32 v98, 0x80000000, v79
	v_xor_b32_e32 v100, 0x80000000, v81
	v_mov_b32_e32 v97, v78
	v_mov_b32_e32 v99, v80
	v_add_nc_u32_e32 v87, 16, v87
	s_waitcnt lgkmcnt(0)
	v_xor_b32_e32 v102, 0x80000000, v96
	v_cndmask_b32_e64 v98, v79, v98, s0
	v_cndmask_b32_e32 v100, v81, v100, vcc_lo
	v_cmp_gt_f64_e32 vcc_lo, 0, v[95:96]
	v_cmp_gt_f64_e64 s0, 0, v[93:94]
	v_mov_b32_e32 v101, v95
	v_add_f64 v[97:98], v[97:98], v[99:100]
	v_xor_b32_e32 v100, 0x80000000, v94
	v_mov_b32_e32 v99, v93
	v_cndmask_b32_e32 v102, v96, v102, vcc_lo
	v_cndmask_b32_e64 v100, v94, v100, s0
	v_add_f64 v[99:100], v[99:100], v[101:102]
	v_cmp_lt_f64_e32 vcc_lo, v[97:98], v[99:100]
	v_cndmask_b32_e32 v79, v79, v94, vcc_lo
	v_cndmask_b32_e32 v78, v78, v93, vcc_lo
	;; [unrolled: 1-line block ×4, first 2 shown]
	v_cndmask_b32_e64 v86, v86, s1, vcc_lo
	s_add_i32 s1, s1, 1
	s_cmp_lg_u32 s18, s1
	s_cbranch_scc1 .LBB36_253
.LBB36_254:
	s_inst_prefetch 0x2
	s_waitcnt lgkmcnt(0)
	v_cmp_eq_f64_e32 vcc_lo, 0, v[78:79]
	v_cmp_eq_f64_e64 s0, 0, v[80:81]
	s_and_b32 s0, vcc_lo, s0
	s_and_saveexec_b32 s1, s0
	s_xor_b32 s0, exec_lo, s1
; %bb.255:
	v_cmp_ne_u32_e32 vcc_lo, 0, v91
	v_cndmask_b32_e32 v91, 13, v91, vcc_lo
; %bb.256:
	s_andn2_saveexec_b32 s0, s0
	s_cbranch_execz .LBB36_262
; %bb.257:
	v_cmp_ngt_f64_e64 s1, |v[78:79]|, |v[80:81]|
	s_and_saveexec_b32 s2, s1
	s_xor_b32 s1, exec_lo, s2
	s_cbranch_execz .LBB36_259
; %bb.258:
	v_div_scale_f64 v[93:94], null, v[80:81], v[80:81], v[78:79]
	v_div_scale_f64 v[99:100], vcc_lo, v[78:79], v[80:81], v[78:79]
	v_rcp_f64_e32 v[95:96], v[93:94]
	v_fma_f64 v[97:98], -v[93:94], v[95:96], 1.0
	v_fma_f64 v[95:96], v[95:96], v[97:98], v[95:96]
	v_fma_f64 v[97:98], -v[93:94], v[95:96], 1.0
	v_fma_f64 v[95:96], v[95:96], v[97:98], v[95:96]
	v_mul_f64 v[97:98], v[99:100], v[95:96]
	v_fma_f64 v[93:94], -v[93:94], v[97:98], v[99:100]
	v_div_fmas_f64 v[93:94], v[93:94], v[95:96], v[97:98]
	v_div_fixup_f64 v[93:94], v[93:94], v[80:81], v[78:79]
	v_fma_f64 v[78:79], v[78:79], v[93:94], v[80:81]
	v_div_scale_f64 v[80:81], null, v[78:79], v[78:79], 1.0
	v_rcp_f64_e32 v[95:96], v[80:81]
	v_fma_f64 v[97:98], -v[80:81], v[95:96], 1.0
	v_fma_f64 v[95:96], v[95:96], v[97:98], v[95:96]
	v_fma_f64 v[97:98], -v[80:81], v[95:96], 1.0
	v_fma_f64 v[95:96], v[95:96], v[97:98], v[95:96]
	v_div_scale_f64 v[97:98], vcc_lo, 1.0, v[78:79], 1.0
	v_mul_f64 v[99:100], v[97:98], v[95:96]
	v_fma_f64 v[80:81], -v[80:81], v[99:100], v[97:98]
	v_div_fmas_f64 v[80:81], v[80:81], v[95:96], v[99:100]
	v_div_fixup_f64 v[80:81], v[80:81], v[78:79], 1.0
	v_mul_f64 v[78:79], v[93:94], v[80:81]
	v_xor_b32_e32 v81, 0x80000000, v81
.LBB36_259:
	s_andn2_saveexec_b32 s1, s1
	s_cbranch_execz .LBB36_261
; %bb.260:
	v_div_scale_f64 v[93:94], null, v[78:79], v[78:79], v[80:81]
	v_div_scale_f64 v[99:100], vcc_lo, v[80:81], v[78:79], v[80:81]
	v_rcp_f64_e32 v[95:96], v[93:94]
	v_fma_f64 v[97:98], -v[93:94], v[95:96], 1.0
	v_fma_f64 v[95:96], v[95:96], v[97:98], v[95:96]
	v_fma_f64 v[97:98], -v[93:94], v[95:96], 1.0
	v_fma_f64 v[95:96], v[95:96], v[97:98], v[95:96]
	v_mul_f64 v[97:98], v[99:100], v[95:96]
	v_fma_f64 v[93:94], -v[93:94], v[97:98], v[99:100]
	v_div_fmas_f64 v[93:94], v[93:94], v[95:96], v[97:98]
	v_div_fixup_f64 v[93:94], v[93:94], v[78:79], v[80:81]
	v_fma_f64 v[78:79], v[80:81], v[93:94], v[78:79]
	v_div_scale_f64 v[80:81], null, v[78:79], v[78:79], 1.0
	v_rcp_f64_e32 v[95:96], v[80:81]
	v_fma_f64 v[97:98], -v[80:81], v[95:96], 1.0
	v_fma_f64 v[95:96], v[95:96], v[97:98], v[95:96]
	v_fma_f64 v[97:98], -v[80:81], v[95:96], 1.0
	v_fma_f64 v[95:96], v[95:96], v[97:98], v[95:96]
	v_div_scale_f64 v[97:98], vcc_lo, 1.0, v[78:79], 1.0
	v_mul_f64 v[99:100], v[97:98], v[95:96]
	v_fma_f64 v[80:81], -v[80:81], v[99:100], v[97:98]
	v_div_fmas_f64 v[80:81], v[80:81], v[95:96], v[99:100]
	v_div_fixup_f64 v[78:79], v[80:81], v[78:79], 1.0
	v_mul_f64 v[80:81], v[93:94], -v[78:79]
.LBB36_261:
	s_or_b32 exec_lo, exec_lo, s1
.LBB36_262:
	s_or_b32 exec_lo, exec_lo, s0
	s_mov_b32 s0, exec_lo
	v_cmpx_ne_u32_e64 v92, v86
	s_xor_b32 s0, exec_lo, s0
	s_cbranch_execz .LBB36_268
; %bb.263:
	s_mov_b32 s1, exec_lo
	v_cmpx_eq_u32_e32 12, v92
	s_cbranch_execz .LBB36_267
; %bb.264:
	v_cmp_ne_u32_e32 vcc_lo, 12, v86
	s_xor_b32 s2, s16, -1
	s_and_b32 s3, s2, vcc_lo
	s_and_saveexec_b32 s2, s3
	s_cbranch_execz .LBB36_266
; %bb.265:
	v_ashrrev_i32_e32 v87, 31, v86
	v_lshlrev_b64 v[92:93], 2, v[86:87]
	v_add_co_u32 v92, vcc_lo, v84, v92
	v_add_co_ci_u32_e64 v93, null, v85, v93, vcc_lo
	s_clause 0x1
	global_load_dword v0, v[92:93], off
	global_load_dword v87, v[84:85], off offset:48
	s_waitcnt vmcnt(1)
	global_store_dword v[84:85], v0, off offset:48
	s_waitcnt vmcnt(0)
	global_store_dword v[92:93], v87, off
.LBB36_266:
	s_or_b32 exec_lo, exec_lo, s2
	v_mov_b32_e32 v92, v86
	v_mov_b32_e32 v0, v86
.LBB36_267:
	s_or_b32 exec_lo, exec_lo, s1
.LBB36_268:
	s_andn2_saveexec_b32 s0, s0
	s_cbranch_execz .LBB36_270
; %bb.269:
	v_mov_b32_e32 v92, 12
	ds_write2_b64 v1, v[22:23], v[24:25] offset0:26 offset1:27
	ds_write2_b64 v1, v[18:19], v[20:21] offset0:28 offset1:29
	;; [unrolled: 1-line block ×6, first 2 shown]
.LBB36_270:
	s_or_b32 exec_lo, exec_lo, s0
	s_mov_b32 s0, exec_lo
	s_waitcnt lgkmcnt(0)
	s_waitcnt_vscnt null, 0x0
	s_barrier
	buffer_gl0_inv
	v_cmpx_lt_i32_e32 12, v92
	s_cbranch_execz .LBB36_272
; %bb.271:
	v_mul_f64 v[86:87], v[78:79], v[28:29]
	v_mul_f64 v[28:29], v[80:81], v[28:29]
	v_fma_f64 v[86:87], v[80:81], v[26:27], v[86:87]
	v_fma_f64 v[26:27], v[78:79], v[26:27], -v[28:29]
	ds_read2_b64 v[78:81], v1 offset0:26 offset1:27
	s_waitcnt lgkmcnt(0)
	v_mul_f64 v[28:29], v[80:81], v[86:87]
	v_fma_f64 v[28:29], v[78:79], v[26:27], -v[28:29]
	v_mul_f64 v[78:79], v[78:79], v[86:87]
	v_add_f64 v[22:23], v[22:23], -v[28:29]
	v_fma_f64 v[78:79], v[80:81], v[26:27], v[78:79]
	v_add_f64 v[24:25], v[24:25], -v[78:79]
	ds_read2_b64 v[78:81], v1 offset0:28 offset1:29
	s_waitcnt lgkmcnt(0)
	v_mul_f64 v[28:29], v[80:81], v[86:87]
	v_fma_f64 v[28:29], v[78:79], v[26:27], -v[28:29]
	v_mul_f64 v[78:79], v[78:79], v[86:87]
	v_add_f64 v[18:19], v[18:19], -v[28:29]
	v_fma_f64 v[78:79], v[80:81], v[26:27], v[78:79]
	v_add_f64 v[20:21], v[20:21], -v[78:79]
	;; [unrolled: 8-line block ×5, first 2 shown]
	ds_read2_b64 v[78:81], v1 offset0:36 offset1:37
	s_waitcnt lgkmcnt(0)
	v_mul_f64 v[28:29], v[80:81], v[86:87]
	v_fma_f64 v[28:29], v[78:79], v[26:27], -v[28:29]
	v_mul_f64 v[78:79], v[78:79], v[86:87]
	v_add_f64 v[2:3], v[2:3], -v[28:29]
	v_fma_f64 v[78:79], v[80:81], v[26:27], v[78:79]
	v_mov_b32_e32 v28, v86
	v_mov_b32_e32 v29, v87
	v_add_f64 v[4:5], v[4:5], -v[78:79]
.LBB36_272:
	s_or_b32 exec_lo, exec_lo, s0
	v_lshl_add_u32 v78, v92, 4, v1
	s_barrier
	buffer_gl0_inv
	v_mov_b32_e32 v86, 13
	ds_write2_b64 v78, v[22:23], v[24:25] offset1:1
	s_waitcnt lgkmcnt(0)
	s_barrier
	buffer_gl0_inv
	ds_read2_b64 v[78:81], v1 offset0:26 offset1:27
	s_cmp_lt_i32 s18, 15
	s_cbranch_scc1 .LBB36_275
; %bb.273:
	v_add3_u32 v87, v88, 0, 0xe0
	v_mov_b32_e32 v86, 13
	s_mov_b32 s1, 14
	s_inst_prefetch 0x1
	.p2align	6
.LBB36_274:                             ; =>This Inner Loop Header: Depth=1
	s_waitcnt lgkmcnt(0)
	v_cmp_gt_f64_e32 vcc_lo, 0, v[80:81]
	v_cmp_gt_f64_e64 s0, 0, v[78:79]
	ds_read2_b64 v[93:96], v87 offset1:1
	v_xor_b32_e32 v98, 0x80000000, v79
	v_xor_b32_e32 v100, 0x80000000, v81
	v_mov_b32_e32 v97, v78
	v_mov_b32_e32 v99, v80
	v_add_nc_u32_e32 v87, 16, v87
	s_waitcnt lgkmcnt(0)
	v_xor_b32_e32 v102, 0x80000000, v96
	v_cndmask_b32_e64 v98, v79, v98, s0
	v_cndmask_b32_e32 v100, v81, v100, vcc_lo
	v_cmp_gt_f64_e32 vcc_lo, 0, v[95:96]
	v_cmp_gt_f64_e64 s0, 0, v[93:94]
	v_mov_b32_e32 v101, v95
	v_add_f64 v[97:98], v[97:98], v[99:100]
	v_xor_b32_e32 v100, 0x80000000, v94
	v_mov_b32_e32 v99, v93
	v_cndmask_b32_e32 v102, v96, v102, vcc_lo
	v_cndmask_b32_e64 v100, v94, v100, s0
	v_add_f64 v[99:100], v[99:100], v[101:102]
	v_cmp_lt_f64_e32 vcc_lo, v[97:98], v[99:100]
	v_cndmask_b32_e32 v79, v79, v94, vcc_lo
	v_cndmask_b32_e32 v78, v78, v93, vcc_lo
	;; [unrolled: 1-line block ×4, first 2 shown]
	v_cndmask_b32_e64 v86, v86, s1, vcc_lo
	s_add_i32 s1, s1, 1
	s_cmp_lg_u32 s18, s1
	s_cbranch_scc1 .LBB36_274
.LBB36_275:
	s_inst_prefetch 0x2
	s_waitcnt lgkmcnt(0)
	v_cmp_eq_f64_e32 vcc_lo, 0, v[78:79]
	v_cmp_eq_f64_e64 s0, 0, v[80:81]
	s_and_b32 s0, vcc_lo, s0
	s_and_saveexec_b32 s1, s0
	s_xor_b32 s0, exec_lo, s1
; %bb.276:
	v_cmp_ne_u32_e32 vcc_lo, 0, v91
	v_cndmask_b32_e32 v91, 14, v91, vcc_lo
; %bb.277:
	s_andn2_saveexec_b32 s0, s0
	s_cbranch_execz .LBB36_283
; %bb.278:
	v_cmp_ngt_f64_e64 s1, |v[78:79]|, |v[80:81]|
	s_and_saveexec_b32 s2, s1
	s_xor_b32 s1, exec_lo, s2
	s_cbranch_execz .LBB36_280
; %bb.279:
	v_div_scale_f64 v[93:94], null, v[80:81], v[80:81], v[78:79]
	v_div_scale_f64 v[99:100], vcc_lo, v[78:79], v[80:81], v[78:79]
	v_rcp_f64_e32 v[95:96], v[93:94]
	v_fma_f64 v[97:98], -v[93:94], v[95:96], 1.0
	v_fma_f64 v[95:96], v[95:96], v[97:98], v[95:96]
	v_fma_f64 v[97:98], -v[93:94], v[95:96], 1.0
	v_fma_f64 v[95:96], v[95:96], v[97:98], v[95:96]
	v_mul_f64 v[97:98], v[99:100], v[95:96]
	v_fma_f64 v[93:94], -v[93:94], v[97:98], v[99:100]
	v_div_fmas_f64 v[93:94], v[93:94], v[95:96], v[97:98]
	v_div_fixup_f64 v[93:94], v[93:94], v[80:81], v[78:79]
	v_fma_f64 v[78:79], v[78:79], v[93:94], v[80:81]
	v_div_scale_f64 v[80:81], null, v[78:79], v[78:79], 1.0
	v_rcp_f64_e32 v[95:96], v[80:81]
	v_fma_f64 v[97:98], -v[80:81], v[95:96], 1.0
	v_fma_f64 v[95:96], v[95:96], v[97:98], v[95:96]
	v_fma_f64 v[97:98], -v[80:81], v[95:96], 1.0
	v_fma_f64 v[95:96], v[95:96], v[97:98], v[95:96]
	v_div_scale_f64 v[97:98], vcc_lo, 1.0, v[78:79], 1.0
	v_mul_f64 v[99:100], v[97:98], v[95:96]
	v_fma_f64 v[80:81], -v[80:81], v[99:100], v[97:98]
	v_div_fmas_f64 v[80:81], v[80:81], v[95:96], v[99:100]
	v_div_fixup_f64 v[80:81], v[80:81], v[78:79], 1.0
	v_mul_f64 v[78:79], v[93:94], v[80:81]
	v_xor_b32_e32 v81, 0x80000000, v81
.LBB36_280:
	s_andn2_saveexec_b32 s1, s1
	s_cbranch_execz .LBB36_282
; %bb.281:
	v_div_scale_f64 v[93:94], null, v[78:79], v[78:79], v[80:81]
	v_div_scale_f64 v[99:100], vcc_lo, v[80:81], v[78:79], v[80:81]
	v_rcp_f64_e32 v[95:96], v[93:94]
	v_fma_f64 v[97:98], -v[93:94], v[95:96], 1.0
	v_fma_f64 v[95:96], v[95:96], v[97:98], v[95:96]
	v_fma_f64 v[97:98], -v[93:94], v[95:96], 1.0
	v_fma_f64 v[95:96], v[95:96], v[97:98], v[95:96]
	v_mul_f64 v[97:98], v[99:100], v[95:96]
	v_fma_f64 v[93:94], -v[93:94], v[97:98], v[99:100]
	v_div_fmas_f64 v[93:94], v[93:94], v[95:96], v[97:98]
	v_div_fixup_f64 v[93:94], v[93:94], v[78:79], v[80:81]
	v_fma_f64 v[78:79], v[80:81], v[93:94], v[78:79]
	v_div_scale_f64 v[80:81], null, v[78:79], v[78:79], 1.0
	v_rcp_f64_e32 v[95:96], v[80:81]
	v_fma_f64 v[97:98], -v[80:81], v[95:96], 1.0
	v_fma_f64 v[95:96], v[95:96], v[97:98], v[95:96]
	v_fma_f64 v[97:98], -v[80:81], v[95:96], 1.0
	v_fma_f64 v[95:96], v[95:96], v[97:98], v[95:96]
	v_div_scale_f64 v[97:98], vcc_lo, 1.0, v[78:79], 1.0
	v_mul_f64 v[99:100], v[97:98], v[95:96]
	v_fma_f64 v[80:81], -v[80:81], v[99:100], v[97:98]
	v_div_fmas_f64 v[80:81], v[80:81], v[95:96], v[99:100]
	v_div_fixup_f64 v[78:79], v[80:81], v[78:79], 1.0
	v_mul_f64 v[80:81], v[93:94], -v[78:79]
.LBB36_282:
	s_or_b32 exec_lo, exec_lo, s1
.LBB36_283:
	s_or_b32 exec_lo, exec_lo, s0
	s_mov_b32 s0, exec_lo
	v_cmpx_ne_u32_e64 v92, v86
	s_xor_b32 s0, exec_lo, s0
	s_cbranch_execz .LBB36_289
; %bb.284:
	s_mov_b32 s1, exec_lo
	v_cmpx_eq_u32_e32 13, v92
	s_cbranch_execz .LBB36_288
; %bb.285:
	v_cmp_ne_u32_e32 vcc_lo, 13, v86
	s_xor_b32 s2, s16, -1
	s_and_b32 s3, s2, vcc_lo
	s_and_saveexec_b32 s2, s3
	s_cbranch_execz .LBB36_287
; %bb.286:
	v_ashrrev_i32_e32 v87, 31, v86
	v_lshlrev_b64 v[92:93], 2, v[86:87]
	v_add_co_u32 v92, vcc_lo, v84, v92
	v_add_co_ci_u32_e64 v93, null, v85, v93, vcc_lo
	s_clause 0x1
	global_load_dword v0, v[92:93], off
	global_load_dword v87, v[84:85], off offset:52
	s_waitcnt vmcnt(1)
	global_store_dword v[84:85], v0, off offset:52
	s_waitcnt vmcnt(0)
	global_store_dword v[92:93], v87, off
.LBB36_287:
	s_or_b32 exec_lo, exec_lo, s2
	v_mov_b32_e32 v92, v86
	v_mov_b32_e32 v0, v86
.LBB36_288:
	s_or_b32 exec_lo, exec_lo, s1
.LBB36_289:
	s_andn2_saveexec_b32 s0, s0
	s_cbranch_execz .LBB36_291
; %bb.290:
	v_mov_b32_e32 v92, 13
	ds_write2_b64 v1, v[18:19], v[20:21] offset0:28 offset1:29
	ds_write2_b64 v1, v[14:15], v[16:17] offset0:30 offset1:31
	;; [unrolled: 1-line block ×5, first 2 shown]
.LBB36_291:
	s_or_b32 exec_lo, exec_lo, s0
	s_mov_b32 s0, exec_lo
	s_waitcnt lgkmcnt(0)
	s_waitcnt_vscnt null, 0x0
	s_barrier
	buffer_gl0_inv
	v_cmpx_lt_i32_e32 13, v92
	s_cbranch_execz .LBB36_293
; %bb.292:
	v_mul_f64 v[86:87], v[78:79], v[24:25]
	v_mul_f64 v[24:25], v[80:81], v[24:25]
	v_fma_f64 v[86:87], v[80:81], v[22:23], v[86:87]
	v_fma_f64 v[22:23], v[78:79], v[22:23], -v[24:25]
	ds_read2_b64 v[78:81], v1 offset0:28 offset1:29
	s_waitcnt lgkmcnt(0)
	v_mul_f64 v[24:25], v[80:81], v[86:87]
	v_fma_f64 v[24:25], v[78:79], v[22:23], -v[24:25]
	v_mul_f64 v[78:79], v[78:79], v[86:87]
	v_add_f64 v[18:19], v[18:19], -v[24:25]
	v_fma_f64 v[78:79], v[80:81], v[22:23], v[78:79]
	v_add_f64 v[20:21], v[20:21], -v[78:79]
	ds_read2_b64 v[78:81], v1 offset0:30 offset1:31
	s_waitcnt lgkmcnt(0)
	v_mul_f64 v[24:25], v[80:81], v[86:87]
	v_fma_f64 v[24:25], v[78:79], v[22:23], -v[24:25]
	v_mul_f64 v[78:79], v[78:79], v[86:87]
	v_add_f64 v[14:15], v[14:15], -v[24:25]
	v_fma_f64 v[78:79], v[80:81], v[22:23], v[78:79]
	v_add_f64 v[16:17], v[16:17], -v[78:79]
	;; [unrolled: 8-line block ×4, first 2 shown]
	ds_read2_b64 v[78:81], v1 offset0:36 offset1:37
	s_waitcnt lgkmcnt(0)
	v_mul_f64 v[24:25], v[80:81], v[86:87]
	v_fma_f64 v[24:25], v[78:79], v[22:23], -v[24:25]
	v_mul_f64 v[78:79], v[78:79], v[86:87]
	v_add_f64 v[2:3], v[2:3], -v[24:25]
	v_fma_f64 v[78:79], v[80:81], v[22:23], v[78:79]
	v_mov_b32_e32 v24, v86
	v_mov_b32_e32 v25, v87
	v_add_f64 v[4:5], v[4:5], -v[78:79]
.LBB36_293:
	s_or_b32 exec_lo, exec_lo, s0
	v_lshl_add_u32 v78, v92, 4, v1
	s_barrier
	buffer_gl0_inv
	v_mov_b32_e32 v86, 14
	ds_write2_b64 v78, v[18:19], v[20:21] offset1:1
	s_waitcnt lgkmcnt(0)
	s_barrier
	buffer_gl0_inv
	ds_read2_b64 v[78:81], v1 offset0:28 offset1:29
	s_cmp_lt_i32 s18, 16
	s_cbranch_scc1 .LBB36_296
; %bb.294:
	v_add3_u32 v87, v88, 0, 0xf0
	v_mov_b32_e32 v86, 14
	s_mov_b32 s1, 15
	s_inst_prefetch 0x1
	.p2align	6
.LBB36_295:                             ; =>This Inner Loop Header: Depth=1
	s_waitcnt lgkmcnt(0)
	v_cmp_gt_f64_e32 vcc_lo, 0, v[80:81]
	v_cmp_gt_f64_e64 s0, 0, v[78:79]
	ds_read2_b64 v[93:96], v87 offset1:1
	v_xor_b32_e32 v98, 0x80000000, v79
	v_xor_b32_e32 v100, 0x80000000, v81
	v_mov_b32_e32 v97, v78
	v_mov_b32_e32 v99, v80
	v_add_nc_u32_e32 v87, 16, v87
	s_waitcnt lgkmcnt(0)
	v_xor_b32_e32 v102, 0x80000000, v96
	v_cndmask_b32_e64 v98, v79, v98, s0
	v_cndmask_b32_e32 v100, v81, v100, vcc_lo
	v_cmp_gt_f64_e32 vcc_lo, 0, v[95:96]
	v_cmp_gt_f64_e64 s0, 0, v[93:94]
	v_mov_b32_e32 v101, v95
	v_add_f64 v[97:98], v[97:98], v[99:100]
	v_xor_b32_e32 v100, 0x80000000, v94
	v_mov_b32_e32 v99, v93
	v_cndmask_b32_e32 v102, v96, v102, vcc_lo
	v_cndmask_b32_e64 v100, v94, v100, s0
	v_add_f64 v[99:100], v[99:100], v[101:102]
	v_cmp_lt_f64_e32 vcc_lo, v[97:98], v[99:100]
	v_cndmask_b32_e32 v79, v79, v94, vcc_lo
	v_cndmask_b32_e32 v78, v78, v93, vcc_lo
	v_cndmask_b32_e32 v81, v81, v96, vcc_lo
	v_cndmask_b32_e32 v80, v80, v95, vcc_lo
	v_cndmask_b32_e64 v86, v86, s1, vcc_lo
	s_add_i32 s1, s1, 1
	s_cmp_lg_u32 s18, s1
	s_cbranch_scc1 .LBB36_295
.LBB36_296:
	s_inst_prefetch 0x2
	s_waitcnt lgkmcnt(0)
	v_cmp_eq_f64_e32 vcc_lo, 0, v[78:79]
	v_cmp_eq_f64_e64 s0, 0, v[80:81]
	s_and_b32 s0, vcc_lo, s0
	s_and_saveexec_b32 s1, s0
	s_xor_b32 s0, exec_lo, s1
; %bb.297:
	v_cmp_ne_u32_e32 vcc_lo, 0, v91
	v_cndmask_b32_e32 v91, 15, v91, vcc_lo
; %bb.298:
	s_andn2_saveexec_b32 s0, s0
	s_cbranch_execz .LBB36_304
; %bb.299:
	v_cmp_ngt_f64_e64 s1, |v[78:79]|, |v[80:81]|
	s_and_saveexec_b32 s2, s1
	s_xor_b32 s1, exec_lo, s2
	s_cbranch_execz .LBB36_301
; %bb.300:
	v_div_scale_f64 v[93:94], null, v[80:81], v[80:81], v[78:79]
	v_div_scale_f64 v[99:100], vcc_lo, v[78:79], v[80:81], v[78:79]
	v_rcp_f64_e32 v[95:96], v[93:94]
	v_fma_f64 v[97:98], -v[93:94], v[95:96], 1.0
	v_fma_f64 v[95:96], v[95:96], v[97:98], v[95:96]
	v_fma_f64 v[97:98], -v[93:94], v[95:96], 1.0
	v_fma_f64 v[95:96], v[95:96], v[97:98], v[95:96]
	v_mul_f64 v[97:98], v[99:100], v[95:96]
	v_fma_f64 v[93:94], -v[93:94], v[97:98], v[99:100]
	v_div_fmas_f64 v[93:94], v[93:94], v[95:96], v[97:98]
	v_div_fixup_f64 v[93:94], v[93:94], v[80:81], v[78:79]
	v_fma_f64 v[78:79], v[78:79], v[93:94], v[80:81]
	v_div_scale_f64 v[80:81], null, v[78:79], v[78:79], 1.0
	v_rcp_f64_e32 v[95:96], v[80:81]
	v_fma_f64 v[97:98], -v[80:81], v[95:96], 1.0
	v_fma_f64 v[95:96], v[95:96], v[97:98], v[95:96]
	v_fma_f64 v[97:98], -v[80:81], v[95:96], 1.0
	v_fma_f64 v[95:96], v[95:96], v[97:98], v[95:96]
	v_div_scale_f64 v[97:98], vcc_lo, 1.0, v[78:79], 1.0
	v_mul_f64 v[99:100], v[97:98], v[95:96]
	v_fma_f64 v[80:81], -v[80:81], v[99:100], v[97:98]
	v_div_fmas_f64 v[80:81], v[80:81], v[95:96], v[99:100]
	v_div_fixup_f64 v[80:81], v[80:81], v[78:79], 1.0
	v_mul_f64 v[78:79], v[93:94], v[80:81]
	v_xor_b32_e32 v81, 0x80000000, v81
.LBB36_301:
	s_andn2_saveexec_b32 s1, s1
	s_cbranch_execz .LBB36_303
; %bb.302:
	v_div_scale_f64 v[93:94], null, v[78:79], v[78:79], v[80:81]
	v_div_scale_f64 v[99:100], vcc_lo, v[80:81], v[78:79], v[80:81]
	v_rcp_f64_e32 v[95:96], v[93:94]
	v_fma_f64 v[97:98], -v[93:94], v[95:96], 1.0
	v_fma_f64 v[95:96], v[95:96], v[97:98], v[95:96]
	v_fma_f64 v[97:98], -v[93:94], v[95:96], 1.0
	v_fma_f64 v[95:96], v[95:96], v[97:98], v[95:96]
	v_mul_f64 v[97:98], v[99:100], v[95:96]
	v_fma_f64 v[93:94], -v[93:94], v[97:98], v[99:100]
	v_div_fmas_f64 v[93:94], v[93:94], v[95:96], v[97:98]
	v_div_fixup_f64 v[93:94], v[93:94], v[78:79], v[80:81]
	v_fma_f64 v[78:79], v[80:81], v[93:94], v[78:79]
	v_div_scale_f64 v[80:81], null, v[78:79], v[78:79], 1.0
	v_rcp_f64_e32 v[95:96], v[80:81]
	v_fma_f64 v[97:98], -v[80:81], v[95:96], 1.0
	v_fma_f64 v[95:96], v[95:96], v[97:98], v[95:96]
	v_fma_f64 v[97:98], -v[80:81], v[95:96], 1.0
	v_fma_f64 v[95:96], v[95:96], v[97:98], v[95:96]
	v_div_scale_f64 v[97:98], vcc_lo, 1.0, v[78:79], 1.0
	v_mul_f64 v[99:100], v[97:98], v[95:96]
	v_fma_f64 v[80:81], -v[80:81], v[99:100], v[97:98]
	v_div_fmas_f64 v[80:81], v[80:81], v[95:96], v[99:100]
	v_div_fixup_f64 v[78:79], v[80:81], v[78:79], 1.0
	v_mul_f64 v[80:81], v[93:94], -v[78:79]
.LBB36_303:
	s_or_b32 exec_lo, exec_lo, s1
.LBB36_304:
	s_or_b32 exec_lo, exec_lo, s0
	s_mov_b32 s0, exec_lo
	v_cmpx_ne_u32_e64 v92, v86
	s_xor_b32 s0, exec_lo, s0
	s_cbranch_execz .LBB36_310
; %bb.305:
	s_mov_b32 s1, exec_lo
	v_cmpx_eq_u32_e32 14, v92
	s_cbranch_execz .LBB36_309
; %bb.306:
	v_cmp_ne_u32_e32 vcc_lo, 14, v86
	s_xor_b32 s2, s16, -1
	s_and_b32 s3, s2, vcc_lo
	s_and_saveexec_b32 s2, s3
	s_cbranch_execz .LBB36_308
; %bb.307:
	v_ashrrev_i32_e32 v87, 31, v86
	v_lshlrev_b64 v[92:93], 2, v[86:87]
	v_add_co_u32 v92, vcc_lo, v84, v92
	v_add_co_ci_u32_e64 v93, null, v85, v93, vcc_lo
	s_clause 0x1
	global_load_dword v0, v[92:93], off
	global_load_dword v87, v[84:85], off offset:56
	s_waitcnt vmcnt(1)
	global_store_dword v[84:85], v0, off offset:56
	s_waitcnt vmcnt(0)
	global_store_dword v[92:93], v87, off
.LBB36_308:
	s_or_b32 exec_lo, exec_lo, s2
	v_mov_b32_e32 v92, v86
	v_mov_b32_e32 v0, v86
.LBB36_309:
	s_or_b32 exec_lo, exec_lo, s1
.LBB36_310:
	s_andn2_saveexec_b32 s0, s0
	s_cbranch_execz .LBB36_312
; %bb.311:
	v_mov_b32_e32 v92, 14
	ds_write2_b64 v1, v[14:15], v[16:17] offset0:30 offset1:31
	ds_write2_b64 v1, v[10:11], v[12:13] offset0:32 offset1:33
	ds_write2_b64 v1, v[6:7], v[8:9] offset0:34 offset1:35
	ds_write2_b64 v1, v[2:3], v[4:5] offset0:36 offset1:37
.LBB36_312:
	s_or_b32 exec_lo, exec_lo, s0
	s_mov_b32 s0, exec_lo
	s_waitcnt lgkmcnt(0)
	s_waitcnt_vscnt null, 0x0
	s_barrier
	buffer_gl0_inv
	v_cmpx_lt_i32_e32 14, v92
	s_cbranch_execz .LBB36_314
; %bb.313:
	v_mul_f64 v[86:87], v[78:79], v[20:21]
	v_mul_f64 v[20:21], v[80:81], v[20:21]
	v_fma_f64 v[86:87], v[80:81], v[18:19], v[86:87]
	v_fma_f64 v[18:19], v[78:79], v[18:19], -v[20:21]
	ds_read2_b64 v[78:81], v1 offset0:30 offset1:31
	s_waitcnt lgkmcnt(0)
	v_mul_f64 v[20:21], v[80:81], v[86:87]
	v_fma_f64 v[20:21], v[78:79], v[18:19], -v[20:21]
	v_mul_f64 v[78:79], v[78:79], v[86:87]
	v_add_f64 v[14:15], v[14:15], -v[20:21]
	v_fma_f64 v[78:79], v[80:81], v[18:19], v[78:79]
	v_add_f64 v[16:17], v[16:17], -v[78:79]
	ds_read2_b64 v[78:81], v1 offset0:32 offset1:33
	s_waitcnt lgkmcnt(0)
	v_mul_f64 v[20:21], v[80:81], v[86:87]
	v_fma_f64 v[20:21], v[78:79], v[18:19], -v[20:21]
	v_mul_f64 v[78:79], v[78:79], v[86:87]
	v_add_f64 v[10:11], v[10:11], -v[20:21]
	v_fma_f64 v[78:79], v[80:81], v[18:19], v[78:79]
	v_add_f64 v[12:13], v[12:13], -v[78:79]
	;; [unrolled: 8-line block ×3, first 2 shown]
	ds_read2_b64 v[78:81], v1 offset0:36 offset1:37
	s_waitcnt lgkmcnt(0)
	v_mul_f64 v[20:21], v[80:81], v[86:87]
	v_fma_f64 v[20:21], v[78:79], v[18:19], -v[20:21]
	v_mul_f64 v[78:79], v[78:79], v[86:87]
	v_add_f64 v[2:3], v[2:3], -v[20:21]
	v_fma_f64 v[78:79], v[80:81], v[18:19], v[78:79]
	v_mov_b32_e32 v20, v86
	v_mov_b32_e32 v21, v87
	v_add_f64 v[4:5], v[4:5], -v[78:79]
.LBB36_314:
	s_or_b32 exec_lo, exec_lo, s0
	v_lshl_add_u32 v78, v92, 4, v1
	s_barrier
	buffer_gl0_inv
	v_mov_b32_e32 v86, 15
	ds_write2_b64 v78, v[14:15], v[16:17] offset1:1
	s_waitcnt lgkmcnt(0)
	s_barrier
	buffer_gl0_inv
	ds_read2_b64 v[78:81], v1 offset0:30 offset1:31
	s_cmp_lt_i32 s18, 17
	s_cbranch_scc1 .LBB36_317
; %bb.315:
	v_add3_u32 v87, v88, 0, 0x100
	v_mov_b32_e32 v86, 15
	s_mov_b32 s1, 16
	s_inst_prefetch 0x1
	.p2align	6
.LBB36_316:                             ; =>This Inner Loop Header: Depth=1
	s_waitcnt lgkmcnt(0)
	v_cmp_gt_f64_e32 vcc_lo, 0, v[80:81]
	v_cmp_gt_f64_e64 s0, 0, v[78:79]
	ds_read2_b64 v[93:96], v87 offset1:1
	v_xor_b32_e32 v98, 0x80000000, v79
	v_xor_b32_e32 v100, 0x80000000, v81
	v_mov_b32_e32 v97, v78
	v_mov_b32_e32 v99, v80
	v_add_nc_u32_e32 v87, 16, v87
	s_waitcnt lgkmcnt(0)
	v_xor_b32_e32 v102, 0x80000000, v96
	v_cndmask_b32_e64 v98, v79, v98, s0
	v_cndmask_b32_e32 v100, v81, v100, vcc_lo
	v_cmp_gt_f64_e32 vcc_lo, 0, v[95:96]
	v_cmp_gt_f64_e64 s0, 0, v[93:94]
	v_mov_b32_e32 v101, v95
	v_add_f64 v[97:98], v[97:98], v[99:100]
	v_xor_b32_e32 v100, 0x80000000, v94
	v_mov_b32_e32 v99, v93
	v_cndmask_b32_e32 v102, v96, v102, vcc_lo
	v_cndmask_b32_e64 v100, v94, v100, s0
	v_add_f64 v[99:100], v[99:100], v[101:102]
	v_cmp_lt_f64_e32 vcc_lo, v[97:98], v[99:100]
	v_cndmask_b32_e32 v79, v79, v94, vcc_lo
	v_cndmask_b32_e32 v78, v78, v93, vcc_lo
	v_cndmask_b32_e32 v81, v81, v96, vcc_lo
	v_cndmask_b32_e32 v80, v80, v95, vcc_lo
	v_cndmask_b32_e64 v86, v86, s1, vcc_lo
	s_add_i32 s1, s1, 1
	s_cmp_lg_u32 s18, s1
	s_cbranch_scc1 .LBB36_316
.LBB36_317:
	s_inst_prefetch 0x2
	s_waitcnt lgkmcnt(0)
	v_cmp_eq_f64_e32 vcc_lo, 0, v[78:79]
	v_cmp_eq_f64_e64 s0, 0, v[80:81]
	s_and_b32 s0, vcc_lo, s0
	s_and_saveexec_b32 s1, s0
	s_xor_b32 s0, exec_lo, s1
; %bb.318:
	v_cmp_ne_u32_e32 vcc_lo, 0, v91
	v_cndmask_b32_e32 v91, 16, v91, vcc_lo
; %bb.319:
	s_andn2_saveexec_b32 s0, s0
	s_cbranch_execz .LBB36_325
; %bb.320:
	v_cmp_ngt_f64_e64 s1, |v[78:79]|, |v[80:81]|
	s_and_saveexec_b32 s2, s1
	s_xor_b32 s1, exec_lo, s2
	s_cbranch_execz .LBB36_322
; %bb.321:
	v_div_scale_f64 v[93:94], null, v[80:81], v[80:81], v[78:79]
	v_div_scale_f64 v[99:100], vcc_lo, v[78:79], v[80:81], v[78:79]
	v_rcp_f64_e32 v[95:96], v[93:94]
	v_fma_f64 v[97:98], -v[93:94], v[95:96], 1.0
	v_fma_f64 v[95:96], v[95:96], v[97:98], v[95:96]
	v_fma_f64 v[97:98], -v[93:94], v[95:96], 1.0
	v_fma_f64 v[95:96], v[95:96], v[97:98], v[95:96]
	v_mul_f64 v[97:98], v[99:100], v[95:96]
	v_fma_f64 v[93:94], -v[93:94], v[97:98], v[99:100]
	v_div_fmas_f64 v[93:94], v[93:94], v[95:96], v[97:98]
	v_div_fixup_f64 v[93:94], v[93:94], v[80:81], v[78:79]
	v_fma_f64 v[78:79], v[78:79], v[93:94], v[80:81]
	v_div_scale_f64 v[80:81], null, v[78:79], v[78:79], 1.0
	v_rcp_f64_e32 v[95:96], v[80:81]
	v_fma_f64 v[97:98], -v[80:81], v[95:96], 1.0
	v_fma_f64 v[95:96], v[95:96], v[97:98], v[95:96]
	v_fma_f64 v[97:98], -v[80:81], v[95:96], 1.0
	v_fma_f64 v[95:96], v[95:96], v[97:98], v[95:96]
	v_div_scale_f64 v[97:98], vcc_lo, 1.0, v[78:79], 1.0
	v_mul_f64 v[99:100], v[97:98], v[95:96]
	v_fma_f64 v[80:81], -v[80:81], v[99:100], v[97:98]
	v_div_fmas_f64 v[80:81], v[80:81], v[95:96], v[99:100]
	v_div_fixup_f64 v[80:81], v[80:81], v[78:79], 1.0
	v_mul_f64 v[78:79], v[93:94], v[80:81]
	v_xor_b32_e32 v81, 0x80000000, v81
.LBB36_322:
	s_andn2_saveexec_b32 s1, s1
	s_cbranch_execz .LBB36_324
; %bb.323:
	v_div_scale_f64 v[93:94], null, v[78:79], v[78:79], v[80:81]
	v_div_scale_f64 v[99:100], vcc_lo, v[80:81], v[78:79], v[80:81]
	v_rcp_f64_e32 v[95:96], v[93:94]
	v_fma_f64 v[97:98], -v[93:94], v[95:96], 1.0
	v_fma_f64 v[95:96], v[95:96], v[97:98], v[95:96]
	v_fma_f64 v[97:98], -v[93:94], v[95:96], 1.0
	v_fma_f64 v[95:96], v[95:96], v[97:98], v[95:96]
	v_mul_f64 v[97:98], v[99:100], v[95:96]
	v_fma_f64 v[93:94], -v[93:94], v[97:98], v[99:100]
	v_div_fmas_f64 v[93:94], v[93:94], v[95:96], v[97:98]
	v_div_fixup_f64 v[93:94], v[93:94], v[78:79], v[80:81]
	v_fma_f64 v[78:79], v[80:81], v[93:94], v[78:79]
	v_div_scale_f64 v[80:81], null, v[78:79], v[78:79], 1.0
	v_rcp_f64_e32 v[95:96], v[80:81]
	v_fma_f64 v[97:98], -v[80:81], v[95:96], 1.0
	v_fma_f64 v[95:96], v[95:96], v[97:98], v[95:96]
	v_fma_f64 v[97:98], -v[80:81], v[95:96], 1.0
	v_fma_f64 v[95:96], v[95:96], v[97:98], v[95:96]
	v_div_scale_f64 v[97:98], vcc_lo, 1.0, v[78:79], 1.0
	v_mul_f64 v[99:100], v[97:98], v[95:96]
	v_fma_f64 v[80:81], -v[80:81], v[99:100], v[97:98]
	v_div_fmas_f64 v[80:81], v[80:81], v[95:96], v[99:100]
	v_div_fixup_f64 v[78:79], v[80:81], v[78:79], 1.0
	v_mul_f64 v[80:81], v[93:94], -v[78:79]
.LBB36_324:
	s_or_b32 exec_lo, exec_lo, s1
.LBB36_325:
	s_or_b32 exec_lo, exec_lo, s0
	s_mov_b32 s0, exec_lo
	v_cmpx_ne_u32_e64 v92, v86
	s_xor_b32 s0, exec_lo, s0
	s_cbranch_execz .LBB36_331
; %bb.326:
	s_mov_b32 s1, exec_lo
	v_cmpx_eq_u32_e32 15, v92
	s_cbranch_execz .LBB36_330
; %bb.327:
	v_cmp_ne_u32_e32 vcc_lo, 15, v86
	s_xor_b32 s2, s16, -1
	s_and_b32 s3, s2, vcc_lo
	s_and_saveexec_b32 s2, s3
	s_cbranch_execz .LBB36_329
; %bb.328:
	v_ashrrev_i32_e32 v87, 31, v86
	v_lshlrev_b64 v[92:93], 2, v[86:87]
	v_add_co_u32 v92, vcc_lo, v84, v92
	v_add_co_ci_u32_e64 v93, null, v85, v93, vcc_lo
	s_clause 0x1
	global_load_dword v0, v[92:93], off
	global_load_dword v87, v[84:85], off offset:60
	s_waitcnt vmcnt(1)
	global_store_dword v[84:85], v0, off offset:60
	s_waitcnt vmcnt(0)
	global_store_dword v[92:93], v87, off
.LBB36_329:
	s_or_b32 exec_lo, exec_lo, s2
	v_mov_b32_e32 v92, v86
	v_mov_b32_e32 v0, v86
.LBB36_330:
	s_or_b32 exec_lo, exec_lo, s1
.LBB36_331:
	s_andn2_saveexec_b32 s0, s0
	s_cbranch_execz .LBB36_333
; %bb.332:
	v_mov_b32_e32 v92, 15
	ds_write2_b64 v1, v[10:11], v[12:13] offset0:32 offset1:33
	ds_write2_b64 v1, v[6:7], v[8:9] offset0:34 offset1:35
	;; [unrolled: 1-line block ×3, first 2 shown]
.LBB36_333:
	s_or_b32 exec_lo, exec_lo, s0
	s_mov_b32 s0, exec_lo
	s_waitcnt lgkmcnt(0)
	s_waitcnt_vscnt null, 0x0
	s_barrier
	buffer_gl0_inv
	v_cmpx_lt_i32_e32 15, v92
	s_cbranch_execz .LBB36_335
; %bb.334:
	v_mul_f64 v[86:87], v[78:79], v[16:17]
	v_mul_f64 v[16:17], v[80:81], v[16:17]
	v_fma_f64 v[86:87], v[80:81], v[14:15], v[86:87]
	v_fma_f64 v[14:15], v[78:79], v[14:15], -v[16:17]
	ds_read2_b64 v[78:81], v1 offset0:32 offset1:33
	s_waitcnt lgkmcnt(0)
	v_mul_f64 v[16:17], v[80:81], v[86:87]
	v_fma_f64 v[16:17], v[78:79], v[14:15], -v[16:17]
	v_mul_f64 v[78:79], v[78:79], v[86:87]
	v_add_f64 v[10:11], v[10:11], -v[16:17]
	v_fma_f64 v[78:79], v[80:81], v[14:15], v[78:79]
	v_add_f64 v[12:13], v[12:13], -v[78:79]
	ds_read2_b64 v[78:81], v1 offset0:34 offset1:35
	s_waitcnt lgkmcnt(0)
	v_mul_f64 v[16:17], v[80:81], v[86:87]
	v_fma_f64 v[16:17], v[78:79], v[14:15], -v[16:17]
	v_mul_f64 v[78:79], v[78:79], v[86:87]
	v_add_f64 v[6:7], v[6:7], -v[16:17]
	v_fma_f64 v[78:79], v[80:81], v[14:15], v[78:79]
	v_add_f64 v[8:9], v[8:9], -v[78:79]
	ds_read2_b64 v[78:81], v1 offset0:36 offset1:37
	s_waitcnt lgkmcnt(0)
	v_mul_f64 v[16:17], v[80:81], v[86:87]
	v_fma_f64 v[16:17], v[78:79], v[14:15], -v[16:17]
	v_mul_f64 v[78:79], v[78:79], v[86:87]
	v_add_f64 v[2:3], v[2:3], -v[16:17]
	v_fma_f64 v[78:79], v[80:81], v[14:15], v[78:79]
	v_mov_b32_e32 v16, v86
	v_mov_b32_e32 v17, v87
	v_add_f64 v[4:5], v[4:5], -v[78:79]
.LBB36_335:
	s_or_b32 exec_lo, exec_lo, s0
	v_lshl_add_u32 v78, v92, 4, v1
	s_barrier
	buffer_gl0_inv
	v_mov_b32_e32 v86, 16
	ds_write2_b64 v78, v[10:11], v[12:13] offset1:1
	s_waitcnt lgkmcnt(0)
	s_barrier
	buffer_gl0_inv
	ds_read2_b64 v[78:81], v1 offset0:32 offset1:33
	s_cmp_lt_i32 s18, 18
	s_cbranch_scc1 .LBB36_338
; %bb.336:
	v_add3_u32 v87, v88, 0, 0x110
	v_mov_b32_e32 v86, 16
	s_mov_b32 s1, 17
	s_inst_prefetch 0x1
	.p2align	6
.LBB36_337:                             ; =>This Inner Loop Header: Depth=1
	s_waitcnt lgkmcnt(0)
	v_cmp_gt_f64_e32 vcc_lo, 0, v[80:81]
	v_cmp_gt_f64_e64 s0, 0, v[78:79]
	ds_read2_b64 v[93:96], v87 offset1:1
	v_xor_b32_e32 v98, 0x80000000, v79
	v_xor_b32_e32 v100, 0x80000000, v81
	v_mov_b32_e32 v97, v78
	v_mov_b32_e32 v99, v80
	v_add_nc_u32_e32 v87, 16, v87
	s_waitcnt lgkmcnt(0)
	v_xor_b32_e32 v102, 0x80000000, v96
	v_cndmask_b32_e64 v98, v79, v98, s0
	v_cndmask_b32_e32 v100, v81, v100, vcc_lo
	v_cmp_gt_f64_e32 vcc_lo, 0, v[95:96]
	v_cmp_gt_f64_e64 s0, 0, v[93:94]
	v_mov_b32_e32 v101, v95
	v_add_f64 v[97:98], v[97:98], v[99:100]
	v_xor_b32_e32 v100, 0x80000000, v94
	v_mov_b32_e32 v99, v93
	v_cndmask_b32_e32 v102, v96, v102, vcc_lo
	v_cndmask_b32_e64 v100, v94, v100, s0
	v_add_f64 v[99:100], v[99:100], v[101:102]
	v_cmp_lt_f64_e32 vcc_lo, v[97:98], v[99:100]
	v_cndmask_b32_e32 v79, v79, v94, vcc_lo
	v_cndmask_b32_e32 v78, v78, v93, vcc_lo
	;; [unrolled: 1-line block ×4, first 2 shown]
	v_cndmask_b32_e64 v86, v86, s1, vcc_lo
	s_add_i32 s1, s1, 1
	s_cmp_lg_u32 s18, s1
	s_cbranch_scc1 .LBB36_337
.LBB36_338:
	s_inst_prefetch 0x2
	s_waitcnt lgkmcnt(0)
	v_cmp_eq_f64_e32 vcc_lo, 0, v[78:79]
	v_cmp_eq_f64_e64 s0, 0, v[80:81]
	s_and_b32 s0, vcc_lo, s0
	s_and_saveexec_b32 s1, s0
	s_xor_b32 s0, exec_lo, s1
; %bb.339:
	v_cmp_ne_u32_e32 vcc_lo, 0, v91
	v_cndmask_b32_e32 v91, 17, v91, vcc_lo
; %bb.340:
	s_andn2_saveexec_b32 s0, s0
	s_cbranch_execz .LBB36_346
; %bb.341:
	v_cmp_ngt_f64_e64 s1, |v[78:79]|, |v[80:81]|
	s_and_saveexec_b32 s2, s1
	s_xor_b32 s1, exec_lo, s2
	s_cbranch_execz .LBB36_343
; %bb.342:
	v_div_scale_f64 v[93:94], null, v[80:81], v[80:81], v[78:79]
	v_div_scale_f64 v[99:100], vcc_lo, v[78:79], v[80:81], v[78:79]
	v_rcp_f64_e32 v[95:96], v[93:94]
	v_fma_f64 v[97:98], -v[93:94], v[95:96], 1.0
	v_fma_f64 v[95:96], v[95:96], v[97:98], v[95:96]
	v_fma_f64 v[97:98], -v[93:94], v[95:96], 1.0
	v_fma_f64 v[95:96], v[95:96], v[97:98], v[95:96]
	v_mul_f64 v[97:98], v[99:100], v[95:96]
	v_fma_f64 v[93:94], -v[93:94], v[97:98], v[99:100]
	v_div_fmas_f64 v[93:94], v[93:94], v[95:96], v[97:98]
	v_div_fixup_f64 v[93:94], v[93:94], v[80:81], v[78:79]
	v_fma_f64 v[78:79], v[78:79], v[93:94], v[80:81]
	v_div_scale_f64 v[80:81], null, v[78:79], v[78:79], 1.0
	v_rcp_f64_e32 v[95:96], v[80:81]
	v_fma_f64 v[97:98], -v[80:81], v[95:96], 1.0
	v_fma_f64 v[95:96], v[95:96], v[97:98], v[95:96]
	v_fma_f64 v[97:98], -v[80:81], v[95:96], 1.0
	v_fma_f64 v[95:96], v[95:96], v[97:98], v[95:96]
	v_div_scale_f64 v[97:98], vcc_lo, 1.0, v[78:79], 1.0
	v_mul_f64 v[99:100], v[97:98], v[95:96]
	v_fma_f64 v[80:81], -v[80:81], v[99:100], v[97:98]
	v_div_fmas_f64 v[80:81], v[80:81], v[95:96], v[99:100]
	v_div_fixup_f64 v[80:81], v[80:81], v[78:79], 1.0
	v_mul_f64 v[78:79], v[93:94], v[80:81]
	v_xor_b32_e32 v81, 0x80000000, v81
.LBB36_343:
	s_andn2_saveexec_b32 s1, s1
	s_cbranch_execz .LBB36_345
; %bb.344:
	v_div_scale_f64 v[93:94], null, v[78:79], v[78:79], v[80:81]
	v_div_scale_f64 v[99:100], vcc_lo, v[80:81], v[78:79], v[80:81]
	v_rcp_f64_e32 v[95:96], v[93:94]
	v_fma_f64 v[97:98], -v[93:94], v[95:96], 1.0
	v_fma_f64 v[95:96], v[95:96], v[97:98], v[95:96]
	v_fma_f64 v[97:98], -v[93:94], v[95:96], 1.0
	v_fma_f64 v[95:96], v[95:96], v[97:98], v[95:96]
	v_mul_f64 v[97:98], v[99:100], v[95:96]
	v_fma_f64 v[93:94], -v[93:94], v[97:98], v[99:100]
	v_div_fmas_f64 v[93:94], v[93:94], v[95:96], v[97:98]
	v_div_fixup_f64 v[93:94], v[93:94], v[78:79], v[80:81]
	v_fma_f64 v[78:79], v[80:81], v[93:94], v[78:79]
	v_div_scale_f64 v[80:81], null, v[78:79], v[78:79], 1.0
	v_rcp_f64_e32 v[95:96], v[80:81]
	v_fma_f64 v[97:98], -v[80:81], v[95:96], 1.0
	v_fma_f64 v[95:96], v[95:96], v[97:98], v[95:96]
	v_fma_f64 v[97:98], -v[80:81], v[95:96], 1.0
	v_fma_f64 v[95:96], v[95:96], v[97:98], v[95:96]
	v_div_scale_f64 v[97:98], vcc_lo, 1.0, v[78:79], 1.0
	v_mul_f64 v[99:100], v[97:98], v[95:96]
	v_fma_f64 v[80:81], -v[80:81], v[99:100], v[97:98]
	v_div_fmas_f64 v[80:81], v[80:81], v[95:96], v[99:100]
	v_div_fixup_f64 v[78:79], v[80:81], v[78:79], 1.0
	v_mul_f64 v[80:81], v[93:94], -v[78:79]
.LBB36_345:
	s_or_b32 exec_lo, exec_lo, s1
.LBB36_346:
	s_or_b32 exec_lo, exec_lo, s0
	s_mov_b32 s0, exec_lo
	v_cmpx_ne_u32_e64 v92, v86
	s_xor_b32 s0, exec_lo, s0
	s_cbranch_execz .LBB36_352
; %bb.347:
	s_mov_b32 s1, exec_lo
	v_cmpx_eq_u32_e32 16, v92
	s_cbranch_execz .LBB36_351
; %bb.348:
	v_cmp_ne_u32_e32 vcc_lo, 16, v86
	s_xor_b32 s2, s16, -1
	s_and_b32 s3, s2, vcc_lo
	s_and_saveexec_b32 s2, s3
	s_cbranch_execz .LBB36_350
; %bb.349:
	v_ashrrev_i32_e32 v87, 31, v86
	v_lshlrev_b64 v[92:93], 2, v[86:87]
	v_add_co_u32 v92, vcc_lo, v84, v92
	v_add_co_ci_u32_e64 v93, null, v85, v93, vcc_lo
	s_clause 0x1
	global_load_dword v0, v[92:93], off
	global_load_dword v87, v[84:85], off offset:64
	s_waitcnt vmcnt(1)
	global_store_dword v[84:85], v0, off offset:64
	s_waitcnt vmcnt(0)
	global_store_dword v[92:93], v87, off
.LBB36_350:
	s_or_b32 exec_lo, exec_lo, s2
	v_mov_b32_e32 v92, v86
	v_mov_b32_e32 v0, v86
.LBB36_351:
	s_or_b32 exec_lo, exec_lo, s1
.LBB36_352:
	s_andn2_saveexec_b32 s0, s0
	s_cbranch_execz .LBB36_354
; %bb.353:
	v_mov_b32_e32 v92, 16
	ds_write2_b64 v1, v[6:7], v[8:9] offset0:34 offset1:35
	ds_write2_b64 v1, v[2:3], v[4:5] offset0:36 offset1:37
.LBB36_354:
	s_or_b32 exec_lo, exec_lo, s0
	s_mov_b32 s0, exec_lo
	s_waitcnt lgkmcnt(0)
	s_waitcnt_vscnt null, 0x0
	s_barrier
	buffer_gl0_inv
	v_cmpx_lt_i32_e32 16, v92
	s_cbranch_execz .LBB36_356
; %bb.355:
	v_mul_f64 v[86:87], v[78:79], v[12:13]
	v_mul_f64 v[12:13], v[80:81], v[12:13]
	ds_read2_b64 v[93:96], v1 offset0:34 offset1:35
	ds_read2_b64 v[97:100], v1 offset0:36 offset1:37
	v_fma_f64 v[80:81], v[80:81], v[10:11], v[86:87]
	v_fma_f64 v[10:11], v[78:79], v[10:11], -v[12:13]
	s_waitcnt lgkmcnt(1)
	v_mul_f64 v[12:13], v[95:96], v[80:81]
	v_mul_f64 v[78:79], v[93:94], v[80:81]
	s_waitcnt lgkmcnt(0)
	v_mul_f64 v[86:87], v[99:100], v[80:81]
	v_mul_f64 v[101:102], v[97:98], v[80:81]
	v_fma_f64 v[12:13], v[93:94], v[10:11], -v[12:13]
	v_fma_f64 v[78:79], v[95:96], v[10:11], v[78:79]
	v_fma_f64 v[86:87], v[97:98], v[10:11], -v[86:87]
	v_fma_f64 v[93:94], v[99:100], v[10:11], v[101:102]
	v_add_f64 v[6:7], v[6:7], -v[12:13]
	v_add_f64 v[8:9], v[8:9], -v[78:79]
	;; [unrolled: 1-line block ×4, first 2 shown]
	v_mov_b32_e32 v12, v80
	v_mov_b32_e32 v13, v81
.LBB36_356:
	s_or_b32 exec_lo, exec_lo, s0
	v_lshl_add_u32 v78, v92, 4, v1
	s_barrier
	buffer_gl0_inv
	v_mov_b32_e32 v86, 17
	ds_write2_b64 v78, v[6:7], v[8:9] offset1:1
	s_waitcnt lgkmcnt(0)
	s_barrier
	buffer_gl0_inv
	ds_read2_b64 v[78:81], v1 offset0:34 offset1:35
	s_cmp_lt_i32 s18, 19
	s_cbranch_scc1 .LBB36_359
; %bb.357:
	v_add3_u32 v87, v88, 0, 0x120
	v_mov_b32_e32 v86, 17
	s_mov_b32 s1, 18
	s_inst_prefetch 0x1
	.p2align	6
.LBB36_358:                             ; =>This Inner Loop Header: Depth=1
	s_waitcnt lgkmcnt(0)
	v_cmp_gt_f64_e32 vcc_lo, 0, v[80:81]
	v_cmp_gt_f64_e64 s0, 0, v[78:79]
	ds_read2_b64 v[93:96], v87 offset1:1
	v_xor_b32_e32 v98, 0x80000000, v79
	v_xor_b32_e32 v100, 0x80000000, v81
	v_mov_b32_e32 v97, v78
	v_mov_b32_e32 v99, v80
	v_add_nc_u32_e32 v87, 16, v87
	s_waitcnt lgkmcnt(0)
	v_xor_b32_e32 v102, 0x80000000, v96
	v_cndmask_b32_e64 v98, v79, v98, s0
	v_cndmask_b32_e32 v100, v81, v100, vcc_lo
	v_cmp_gt_f64_e32 vcc_lo, 0, v[95:96]
	v_cmp_gt_f64_e64 s0, 0, v[93:94]
	v_mov_b32_e32 v101, v95
	v_add_f64 v[97:98], v[97:98], v[99:100]
	v_xor_b32_e32 v100, 0x80000000, v94
	v_mov_b32_e32 v99, v93
	v_cndmask_b32_e32 v102, v96, v102, vcc_lo
	v_cndmask_b32_e64 v100, v94, v100, s0
	v_add_f64 v[99:100], v[99:100], v[101:102]
	v_cmp_lt_f64_e32 vcc_lo, v[97:98], v[99:100]
	v_cndmask_b32_e32 v79, v79, v94, vcc_lo
	v_cndmask_b32_e32 v78, v78, v93, vcc_lo
	;; [unrolled: 1-line block ×4, first 2 shown]
	v_cndmask_b32_e64 v86, v86, s1, vcc_lo
	s_add_i32 s1, s1, 1
	s_cmp_lg_u32 s18, s1
	s_cbranch_scc1 .LBB36_358
.LBB36_359:
	s_inst_prefetch 0x2
	s_waitcnt lgkmcnt(0)
	v_cmp_eq_f64_e32 vcc_lo, 0, v[78:79]
	v_cmp_eq_f64_e64 s0, 0, v[80:81]
	s_and_b32 s0, vcc_lo, s0
	s_and_saveexec_b32 s1, s0
	s_xor_b32 s0, exec_lo, s1
; %bb.360:
	v_cmp_ne_u32_e32 vcc_lo, 0, v91
	v_cndmask_b32_e32 v91, 18, v91, vcc_lo
; %bb.361:
	s_andn2_saveexec_b32 s0, s0
	s_cbranch_execz .LBB36_367
; %bb.362:
	v_cmp_ngt_f64_e64 s1, |v[78:79]|, |v[80:81]|
	s_and_saveexec_b32 s2, s1
	s_xor_b32 s1, exec_lo, s2
	s_cbranch_execz .LBB36_364
; %bb.363:
	v_div_scale_f64 v[93:94], null, v[80:81], v[80:81], v[78:79]
	v_div_scale_f64 v[99:100], vcc_lo, v[78:79], v[80:81], v[78:79]
	v_rcp_f64_e32 v[95:96], v[93:94]
	v_fma_f64 v[97:98], -v[93:94], v[95:96], 1.0
	v_fma_f64 v[95:96], v[95:96], v[97:98], v[95:96]
	v_fma_f64 v[97:98], -v[93:94], v[95:96], 1.0
	v_fma_f64 v[95:96], v[95:96], v[97:98], v[95:96]
	v_mul_f64 v[97:98], v[99:100], v[95:96]
	v_fma_f64 v[93:94], -v[93:94], v[97:98], v[99:100]
	v_div_fmas_f64 v[93:94], v[93:94], v[95:96], v[97:98]
	v_div_fixup_f64 v[93:94], v[93:94], v[80:81], v[78:79]
	v_fma_f64 v[78:79], v[78:79], v[93:94], v[80:81]
	v_div_scale_f64 v[80:81], null, v[78:79], v[78:79], 1.0
	v_rcp_f64_e32 v[95:96], v[80:81]
	v_fma_f64 v[97:98], -v[80:81], v[95:96], 1.0
	v_fma_f64 v[95:96], v[95:96], v[97:98], v[95:96]
	v_fma_f64 v[97:98], -v[80:81], v[95:96], 1.0
	v_fma_f64 v[95:96], v[95:96], v[97:98], v[95:96]
	v_div_scale_f64 v[97:98], vcc_lo, 1.0, v[78:79], 1.0
	v_mul_f64 v[99:100], v[97:98], v[95:96]
	v_fma_f64 v[80:81], -v[80:81], v[99:100], v[97:98]
	v_div_fmas_f64 v[80:81], v[80:81], v[95:96], v[99:100]
	v_div_fixup_f64 v[80:81], v[80:81], v[78:79], 1.0
	v_mul_f64 v[78:79], v[93:94], v[80:81]
	v_xor_b32_e32 v81, 0x80000000, v81
.LBB36_364:
	s_andn2_saveexec_b32 s1, s1
	s_cbranch_execz .LBB36_366
; %bb.365:
	v_div_scale_f64 v[93:94], null, v[78:79], v[78:79], v[80:81]
	v_div_scale_f64 v[99:100], vcc_lo, v[80:81], v[78:79], v[80:81]
	v_rcp_f64_e32 v[95:96], v[93:94]
	v_fma_f64 v[97:98], -v[93:94], v[95:96], 1.0
	v_fma_f64 v[95:96], v[95:96], v[97:98], v[95:96]
	v_fma_f64 v[97:98], -v[93:94], v[95:96], 1.0
	v_fma_f64 v[95:96], v[95:96], v[97:98], v[95:96]
	v_mul_f64 v[97:98], v[99:100], v[95:96]
	v_fma_f64 v[93:94], -v[93:94], v[97:98], v[99:100]
	v_div_fmas_f64 v[93:94], v[93:94], v[95:96], v[97:98]
	v_div_fixup_f64 v[93:94], v[93:94], v[78:79], v[80:81]
	v_fma_f64 v[78:79], v[80:81], v[93:94], v[78:79]
	v_div_scale_f64 v[80:81], null, v[78:79], v[78:79], 1.0
	v_rcp_f64_e32 v[95:96], v[80:81]
	v_fma_f64 v[97:98], -v[80:81], v[95:96], 1.0
	v_fma_f64 v[95:96], v[95:96], v[97:98], v[95:96]
	v_fma_f64 v[97:98], -v[80:81], v[95:96], 1.0
	v_fma_f64 v[95:96], v[95:96], v[97:98], v[95:96]
	v_div_scale_f64 v[97:98], vcc_lo, 1.0, v[78:79], 1.0
	v_mul_f64 v[99:100], v[97:98], v[95:96]
	v_fma_f64 v[80:81], -v[80:81], v[99:100], v[97:98]
	v_div_fmas_f64 v[80:81], v[80:81], v[95:96], v[99:100]
	v_div_fixup_f64 v[78:79], v[80:81], v[78:79], 1.0
	v_mul_f64 v[80:81], v[93:94], -v[78:79]
.LBB36_366:
	s_or_b32 exec_lo, exec_lo, s1
.LBB36_367:
	s_or_b32 exec_lo, exec_lo, s0
	s_mov_b32 s0, exec_lo
	v_cmpx_ne_u32_e64 v92, v86
	s_xor_b32 s0, exec_lo, s0
	s_cbranch_execz .LBB36_373
; %bb.368:
	s_mov_b32 s1, exec_lo
	v_cmpx_eq_u32_e32 17, v92
	s_cbranch_execz .LBB36_372
; %bb.369:
	v_cmp_ne_u32_e32 vcc_lo, 17, v86
	s_xor_b32 s2, s16, -1
	s_and_b32 s3, s2, vcc_lo
	s_and_saveexec_b32 s2, s3
	s_cbranch_execz .LBB36_371
; %bb.370:
	v_ashrrev_i32_e32 v87, 31, v86
	v_lshlrev_b64 v[92:93], 2, v[86:87]
	v_add_co_u32 v92, vcc_lo, v84, v92
	v_add_co_ci_u32_e64 v93, null, v85, v93, vcc_lo
	s_clause 0x1
	global_load_dword v0, v[92:93], off
	global_load_dword v87, v[84:85], off offset:68
	s_waitcnt vmcnt(1)
	global_store_dword v[84:85], v0, off offset:68
	s_waitcnt vmcnt(0)
	global_store_dword v[92:93], v87, off
.LBB36_371:
	s_or_b32 exec_lo, exec_lo, s2
	v_mov_b32_e32 v92, v86
	v_mov_b32_e32 v0, v86
.LBB36_372:
	s_or_b32 exec_lo, exec_lo, s1
.LBB36_373:
	s_andn2_saveexec_b32 s0, s0
; %bb.374:
	v_mov_b32_e32 v92, 17
	ds_write2_b64 v1, v[2:3], v[4:5] offset0:36 offset1:37
; %bb.375:
	s_or_b32 exec_lo, exec_lo, s0
	s_mov_b32 s0, exec_lo
	s_waitcnt lgkmcnt(0)
	s_waitcnt_vscnt null, 0x0
	s_barrier
	buffer_gl0_inv
	v_cmpx_lt_i32_e32 17, v92
	s_cbranch_execz .LBB36_377
; %bb.376:
	v_mul_f64 v[86:87], v[78:79], v[8:9]
	v_mul_f64 v[8:9], v[80:81], v[8:9]
	ds_read2_b64 v[93:96], v1 offset0:36 offset1:37
	v_fma_f64 v[80:81], v[80:81], v[6:7], v[86:87]
	v_fma_f64 v[6:7], v[78:79], v[6:7], -v[8:9]
	s_waitcnt lgkmcnt(0)
	v_mul_f64 v[8:9], v[95:96], v[80:81]
	v_mul_f64 v[78:79], v[93:94], v[80:81]
	v_fma_f64 v[8:9], v[93:94], v[6:7], -v[8:9]
	v_fma_f64 v[78:79], v[95:96], v[6:7], v[78:79]
	v_add_f64 v[2:3], v[2:3], -v[8:9]
	v_add_f64 v[4:5], v[4:5], -v[78:79]
	v_mov_b32_e32 v8, v80
	v_mov_b32_e32 v9, v81
.LBB36_377:
	s_or_b32 exec_lo, exec_lo, s0
	v_lshl_add_u32 v78, v92, 4, v1
	s_barrier
	buffer_gl0_inv
	v_mov_b32_e32 v86, 18
	ds_write2_b64 v78, v[2:3], v[4:5] offset1:1
	s_waitcnt lgkmcnt(0)
	s_barrier
	buffer_gl0_inv
	ds_read2_b64 v[78:81], v1 offset0:36 offset1:37
	s_cmp_lt_i32 s18, 20
	s_cbranch_scc1 .LBB36_380
; %bb.378:
	v_add3_u32 v1, v88, 0, 0x130
	v_mov_b32_e32 v86, 18
	s_mov_b32 s1, 19
	s_inst_prefetch 0x1
	.p2align	6
.LBB36_379:                             ; =>This Inner Loop Header: Depth=1
	s_waitcnt lgkmcnt(0)
	v_cmp_gt_f64_e32 vcc_lo, 0, v[80:81]
	v_cmp_gt_f64_e64 s0, 0, v[78:79]
	ds_read2_b64 v[93:96], v1 offset1:1
	v_xor_b32_e32 v88, 0x80000000, v79
	v_xor_b32_e32 v98, 0x80000000, v81
	v_mov_b32_e32 v87, v78
	v_mov_b32_e32 v97, v80
	v_add_nc_u32_e32 v1, 16, v1
	s_waitcnt lgkmcnt(0)
	v_xor_b32_e32 v100, 0x80000000, v96
	v_cndmask_b32_e64 v88, v79, v88, s0
	v_cndmask_b32_e32 v98, v81, v98, vcc_lo
	v_cmp_gt_f64_e32 vcc_lo, 0, v[95:96]
	v_cmp_gt_f64_e64 s0, 0, v[93:94]
	v_mov_b32_e32 v99, v95
	v_add_f64 v[87:88], v[87:88], v[97:98]
	v_xor_b32_e32 v98, 0x80000000, v94
	v_mov_b32_e32 v97, v93
	v_cndmask_b32_e32 v100, v96, v100, vcc_lo
	v_cndmask_b32_e64 v98, v94, v98, s0
	v_add_f64 v[97:98], v[97:98], v[99:100]
	v_cmp_lt_f64_e32 vcc_lo, v[87:88], v[97:98]
	v_cndmask_b32_e32 v79, v79, v94, vcc_lo
	v_cndmask_b32_e32 v78, v78, v93, vcc_lo
	;; [unrolled: 1-line block ×4, first 2 shown]
	v_cndmask_b32_e64 v86, v86, s1, vcc_lo
	s_add_i32 s1, s1, 1
	s_cmp_lg_u32 s18, s1
	s_cbranch_scc1 .LBB36_379
.LBB36_380:
	s_inst_prefetch 0x2
	s_waitcnt lgkmcnt(0)
	v_cmp_eq_f64_e32 vcc_lo, 0, v[78:79]
	v_cmp_eq_f64_e64 s0, 0, v[80:81]
	s_and_b32 s0, vcc_lo, s0
	s_and_saveexec_b32 s1, s0
	s_xor_b32 s0, exec_lo, s1
; %bb.381:
	v_cmp_ne_u32_e32 vcc_lo, 0, v91
	v_cndmask_b32_e32 v91, 19, v91, vcc_lo
; %bb.382:
	s_andn2_saveexec_b32 s0, s0
	s_cbranch_execz .LBB36_388
; %bb.383:
	v_cmp_ngt_f64_e64 s1, |v[78:79]|, |v[80:81]|
	s_and_saveexec_b32 s2, s1
	s_xor_b32 s1, exec_lo, s2
	s_cbranch_execz .LBB36_385
; %bb.384:
	v_div_scale_f64 v[87:88], null, v[80:81], v[80:81], v[78:79]
	v_div_scale_f64 v[97:98], vcc_lo, v[78:79], v[80:81], v[78:79]
	v_rcp_f64_e32 v[93:94], v[87:88]
	v_fma_f64 v[95:96], -v[87:88], v[93:94], 1.0
	v_fma_f64 v[93:94], v[93:94], v[95:96], v[93:94]
	v_fma_f64 v[95:96], -v[87:88], v[93:94], 1.0
	v_fma_f64 v[93:94], v[93:94], v[95:96], v[93:94]
	v_mul_f64 v[95:96], v[97:98], v[93:94]
	v_fma_f64 v[87:88], -v[87:88], v[95:96], v[97:98]
	v_div_fmas_f64 v[87:88], v[87:88], v[93:94], v[95:96]
	v_div_fixup_f64 v[87:88], v[87:88], v[80:81], v[78:79]
	v_fma_f64 v[78:79], v[78:79], v[87:88], v[80:81]
	v_div_scale_f64 v[80:81], null, v[78:79], v[78:79], 1.0
	v_rcp_f64_e32 v[93:94], v[80:81]
	v_fma_f64 v[95:96], -v[80:81], v[93:94], 1.0
	v_fma_f64 v[93:94], v[93:94], v[95:96], v[93:94]
	v_fma_f64 v[95:96], -v[80:81], v[93:94], 1.0
	v_fma_f64 v[93:94], v[93:94], v[95:96], v[93:94]
	v_div_scale_f64 v[95:96], vcc_lo, 1.0, v[78:79], 1.0
	v_mul_f64 v[97:98], v[95:96], v[93:94]
	v_fma_f64 v[80:81], -v[80:81], v[97:98], v[95:96]
	v_div_fmas_f64 v[80:81], v[80:81], v[93:94], v[97:98]
	v_div_fixup_f64 v[80:81], v[80:81], v[78:79], 1.0
	v_mul_f64 v[78:79], v[87:88], v[80:81]
	v_xor_b32_e32 v81, 0x80000000, v81
.LBB36_385:
	s_andn2_saveexec_b32 s1, s1
	s_cbranch_execz .LBB36_387
; %bb.386:
	v_div_scale_f64 v[87:88], null, v[78:79], v[78:79], v[80:81]
	v_div_scale_f64 v[97:98], vcc_lo, v[80:81], v[78:79], v[80:81]
	v_rcp_f64_e32 v[93:94], v[87:88]
	v_fma_f64 v[95:96], -v[87:88], v[93:94], 1.0
	v_fma_f64 v[93:94], v[93:94], v[95:96], v[93:94]
	v_fma_f64 v[95:96], -v[87:88], v[93:94], 1.0
	v_fma_f64 v[93:94], v[93:94], v[95:96], v[93:94]
	v_mul_f64 v[95:96], v[97:98], v[93:94]
	v_fma_f64 v[87:88], -v[87:88], v[95:96], v[97:98]
	v_div_fmas_f64 v[87:88], v[87:88], v[93:94], v[95:96]
	v_div_fixup_f64 v[87:88], v[87:88], v[78:79], v[80:81]
	v_fma_f64 v[78:79], v[80:81], v[87:88], v[78:79]
	v_div_scale_f64 v[80:81], null, v[78:79], v[78:79], 1.0
	v_rcp_f64_e32 v[93:94], v[80:81]
	v_fma_f64 v[95:96], -v[80:81], v[93:94], 1.0
	v_fma_f64 v[93:94], v[93:94], v[95:96], v[93:94]
	v_fma_f64 v[95:96], -v[80:81], v[93:94], 1.0
	v_fma_f64 v[93:94], v[93:94], v[95:96], v[93:94]
	v_div_scale_f64 v[95:96], vcc_lo, 1.0, v[78:79], 1.0
	v_mul_f64 v[97:98], v[95:96], v[93:94]
	v_fma_f64 v[80:81], -v[80:81], v[97:98], v[95:96]
	v_div_fmas_f64 v[80:81], v[80:81], v[93:94], v[97:98]
	v_div_fixup_f64 v[78:79], v[80:81], v[78:79], 1.0
	v_mul_f64 v[80:81], v[87:88], -v[78:79]
.LBB36_387:
	s_or_b32 exec_lo, exec_lo, s1
.LBB36_388:
	s_or_b32 exec_lo, exec_lo, s0
	v_mov_b32_e32 v87, 18
	s_mov_b32 s0, exec_lo
	v_cmpx_ne_u32_e64 v92, v86
	s_cbranch_execz .LBB36_394
; %bb.389:
	s_mov_b32 s1, exec_lo
	v_cmpx_eq_u32_e32 18, v92
	s_cbranch_execz .LBB36_393
; %bb.390:
	v_cmp_ne_u32_e32 vcc_lo, 18, v86
	s_xor_b32 s2, s16, -1
	s_and_b32 s3, s2, vcc_lo
	s_and_saveexec_b32 s2, s3
	s_cbranch_execz .LBB36_392
; %bb.391:
	v_ashrrev_i32_e32 v87, 31, v86
	v_lshlrev_b64 v[0:1], 2, v[86:87]
	v_add_co_u32 v0, vcc_lo, v84, v0
	v_add_co_ci_u32_e64 v1, null, v85, v1, vcc_lo
	s_clause 0x1
	global_load_dword v87, v[0:1], off
	global_load_dword v88, v[84:85], off offset:72
	s_waitcnt vmcnt(1)
	global_store_dword v[84:85], v87, off offset:72
	s_waitcnt vmcnt(0)
	global_store_dword v[0:1], v88, off
.LBB36_392:
	s_or_b32 exec_lo, exec_lo, s2
	v_mov_b32_e32 v92, v86
	v_mov_b32_e32 v0, v86
.LBB36_393:
	s_or_b32 exec_lo, exec_lo, s1
	v_mov_b32_e32 v87, v92
.LBB36_394:
	s_or_b32 exec_lo, exec_lo, s0
	s_mov_b32 s0, exec_lo
	s_waitcnt_vscnt null, 0x0
	s_barrier
	buffer_gl0_inv
	v_cmpx_lt_i32_e32 18, v87
	s_cbranch_execz .LBB36_396
; %bb.395:
	v_mul_f64 v[84:85], v[80:81], v[4:5]
	v_mul_f64 v[4:5], v[78:79], v[4:5]
	v_fma_f64 v[78:79], v[78:79], v[2:3], -v[84:85]
	v_fma_f64 v[4:5], v[80:81], v[2:3], v[4:5]
	v_mov_b32_e32 v2, v78
	v_mov_b32_e32 v3, v79
.LBB36_396:
	s_or_b32 exec_lo, exec_lo, s0
	v_ashrrev_i32_e32 v88, 31, v87
	s_mov_b32 s0, exec_lo
	s_barrier
	buffer_gl0_inv
	v_cmpx_gt_i32_e32 19, v87
	s_cbranch_execz .LBB36_398
; %bb.397:
	v_mul_lo_u32 v1, s15, v82
	v_mul_lo_u32 v80, s14, v83
	v_mad_u64_u32 v[78:79], null, s14, v82, 0
	s_lshl_b64 s[2:3], s[12:13], 2
	v_add3_u32 v0, v0, s17, 1
	v_add3_u32 v79, v79, v80, v1
	v_lshlrev_b64 v[78:79], 2, v[78:79]
	v_add_co_u32 v1, vcc_lo, s10, v78
	v_add_co_ci_u32_e64 v80, null, s11, v79, vcc_lo
	v_lshlrev_b64 v[78:79], 2, v[87:88]
	v_add_co_u32 v1, vcc_lo, v1, s2
	v_add_co_ci_u32_e64 v80, null, s3, v80, vcc_lo
	v_add_co_u32 v78, vcc_lo, v1, v78
	v_add_co_ci_u32_e64 v79, null, v80, v79, vcc_lo
	global_store_dword v[78:79], v0, off
.LBB36_398:
	s_or_b32 exec_lo, exec_lo, s0
	s_mov_b32 s1, exec_lo
	v_cmpx_eq_u32_e32 0, v87
	s_cbranch_execz .LBB36_401
; %bb.399:
	v_lshlrev_b64 v[0:1], 2, v[82:83]
	v_cmp_ne_u32_e64 s0, 0, v91
	v_add_co_u32 v0, vcc_lo, s4, v0
	v_add_co_ci_u32_e64 v1, null, s5, v1, vcc_lo
	global_load_dword v78, v[0:1], off
	s_waitcnt vmcnt(0)
	v_cmp_eq_u32_e32 vcc_lo, 0, v78
	s_and_b32 s0, vcc_lo, s0
	s_and_b32 exec_lo, exec_lo, s0
	s_cbranch_execz .LBB36_401
; %bb.400:
	v_add_nc_u32_e32 v78, s17, v91
	global_store_dword v[0:1], v78, off
.LBB36_401:
	s_or_b32 exec_lo, exec_lo, s1
	v_lshlrev_b64 v[78:79], 4, v[87:88]
	v_add3_u32 v0, s6, s6, v87
	v_add_nc_u32_e32 v80, s6, v0
	v_add_co_u32 v78, vcc_lo, v89, v78
	v_add_co_ci_u32_e64 v79, null, v90, v79, vcc_lo
	v_ashrrev_i32_e32 v1, 31, v0
	v_add_co_u32 v82, vcc_lo, v78, s8
	v_add_co_ci_u32_e64 v83, null, s9, v79, vcc_lo
	global_store_dwordx4 v[78:79], v[74:77], off
	v_ashrrev_i32_e32 v81, 31, v80
	v_lshlrev_b64 v[0:1], 4, v[0:1]
	global_store_dwordx4 v[82:83], v[70:73], off
	v_add_nc_u32_e32 v70, s6, v80
	v_lshlrev_b64 v[74:75], 4, v[80:81]
	v_add_co_u32 v0, vcc_lo, v89, v0
	v_add_nc_u32_e32 v72, s6, v70
	v_ashrrev_i32_e32 v71, 31, v70
	v_add_co_ci_u32_e64 v1, null, v90, v1, vcc_lo
	v_add_co_u32 v74, vcc_lo, v89, v74
	v_add_nc_u32_e32 v76, s6, v72
	v_ashrrev_i32_e32 v73, 31, v72
	v_add_co_ci_u32_e64 v75, null, v90, v75, vcc_lo
	v_lshlrev_b64 v[70:71], 4, v[70:71]
	v_ashrrev_i32_e32 v77, 31, v76
	global_store_dwordx4 v[0:1], v[62:65], off
	global_store_dwordx4 v[74:75], v[58:61], off
	v_lshlrev_b64 v[0:1], 4, v[72:73]
	v_add_nc_u32_e32 v62, s6, v76
	v_lshlrev_b64 v[60:61], 4, v[76:77]
	v_add_co_u32 v58, vcc_lo, v89, v70
	v_add_co_ci_u32_e64 v59, null, v90, v71, vcc_lo
	v_add_co_u32 v0, vcc_lo, v89, v0
	v_add_co_ci_u32_e64 v1, null, v90, v1, vcc_lo
	v_ashrrev_i32_e32 v63, 31, v62
	v_add_co_u32 v60, vcc_lo, v89, v60
	v_add_nc_u32_e32 v64, s6, v62
	v_add_co_ci_u32_e64 v61, null, v90, v61, vcc_lo
	global_store_dwordx4 v[58:59], v[46:49], off
	v_lshlrev_b64 v[46:47], 4, v[62:63]
	global_store_dwordx4 v[0:1], v[42:45], off
	global_store_dwordx4 v[60:61], v[66:69], off
	v_add_nc_u32_e32 v42, s6, v64
	v_ashrrev_i32_e32 v65, 31, v64
	v_add_co_u32 v44, vcc_lo, v89, v46
	v_add_nc_u32_e32 v46, s6, v42
	v_lshlrev_b64 v[0:1], 4, v[64:65]
	v_ashrrev_i32_e32 v43, 31, v42
	v_add_co_ci_u32_e64 v45, null, v90, v47, vcc_lo
	v_add_nc_u32_e32 v48, s6, v46
	v_ashrrev_i32_e32 v47, 31, v46
	v_add_co_u32 v0, vcc_lo, v89, v0
	v_add_co_ci_u32_e64 v1, null, v90, v1, vcc_lo
	v_ashrrev_i32_e32 v49, 31, v48
	v_lshlrev_b64 v[42:43], 4, v[42:43]
	global_store_dwordx4 v[44:45], v[54:57], off
	global_store_dwordx4 v[0:1], v[50:53], off
	v_lshlrev_b64 v[0:1], 4, v[46:47]
	v_add_nc_u32_e32 v46, s6, v48
	v_lshlrev_b64 v[44:45], 4, v[48:49]
	v_add_co_u32 v42, vcc_lo, v89, v42
	v_add_co_ci_u32_e64 v43, null, v90, v43, vcc_lo
	v_add_co_u32 v0, vcc_lo, v89, v0
	v_add_nc_u32_e32 v48, s6, v46
	v_add_co_ci_u32_e64 v1, null, v90, v1, vcc_lo
	v_add_co_u32 v44, vcc_lo, v89, v44
	v_ashrrev_i32_e32 v47, 31, v46
	v_add_co_ci_u32_e64 v45, null, v90, v45, vcc_lo
	v_ashrrev_i32_e32 v49, 31, v48
	global_store_dwordx4 v[42:43], v[38:41], off
	v_lshlrev_b64 v[38:39], 4, v[46:47]
	global_store_dwordx4 v[0:1], v[34:37], off
	global_store_dwordx4 v[44:45], v[30:33], off
	v_add_nc_u32_e32 v30, s6, v48
	v_lshlrev_b64 v[0:1], 4, v[48:49]
	v_add_co_u32 v32, vcc_lo, v89, v38
	v_add_nc_u32_e32 v34, s6, v30
	v_add_co_ci_u32_e64 v33, null, v90, v39, vcc_lo
	v_add_co_u32 v0, vcc_lo, v89, v0
	v_add_co_ci_u32_e64 v1, null, v90, v1, vcc_lo
	v_add_nc_u32_e32 v36, s6, v34
	v_ashrrev_i32_e32 v31, 31, v30
	global_store_dwordx4 v[32:33], v[26:29], off
	global_store_dwordx4 v[0:1], v[22:25], off
	v_ashrrev_i32_e32 v35, 31, v34
	v_add_nc_u32_e32 v22, s6, v36
	v_lshlrev_b64 v[26:27], 4, v[30:31]
	v_ashrrev_i32_e32 v37, 31, v36
	v_lshlrev_b64 v[0:1], 4, v[34:35]
	v_add_nc_u32_e32 v28, s6, v22
	v_ashrrev_i32_e32 v23, 31, v22
	v_add_co_u32 v24, vcc_lo, v89, v26
	v_add_co_ci_u32_e64 v25, null, v90, v27, vcc_lo
	v_ashrrev_i32_e32 v29, 31, v28
	v_lshlrev_b64 v[26:27], 4, v[36:37]
	v_lshlrev_b64 v[22:23], 4, v[22:23]
	v_add_co_u32 v0, vcc_lo, v89, v0
	v_lshlrev_b64 v[28:29], 4, v[28:29]
	v_add_co_ci_u32_e64 v1, null, v90, v1, vcc_lo
	v_add_co_u32 v26, vcc_lo, v89, v26
	v_add_co_ci_u32_e64 v27, null, v90, v27, vcc_lo
	v_add_co_u32 v22, vcc_lo, v89, v22
	;; [unrolled: 2-line block ×3, first 2 shown]
	v_add_co_ci_u32_e64 v29, null, v90, v29, vcc_lo
	global_store_dwordx4 v[24:25], v[18:21], off
	global_store_dwordx4 v[0:1], v[14:17], off
	;; [unrolled: 1-line block ×5, first 2 shown]
.LBB36_402:
	s_endpgm
	.section	.rodata,"a",@progbits
	.p2align	6, 0x0
	.amdhsa_kernel _ZN9rocsolver6v33100L18getf2_small_kernelILi19E19rocblas_complex_numIdEiiPS3_EEvT1_T3_lS5_lPS5_llPT2_S5_S5_S7_l
		.amdhsa_group_segment_fixed_size 0
		.amdhsa_private_segment_fixed_size 0
		.amdhsa_kernarg_size 352
		.amdhsa_user_sgpr_count 6
		.amdhsa_user_sgpr_private_segment_buffer 1
		.amdhsa_user_sgpr_dispatch_ptr 0
		.amdhsa_user_sgpr_queue_ptr 0
		.amdhsa_user_sgpr_kernarg_segment_ptr 1
		.amdhsa_user_sgpr_dispatch_id 0
		.amdhsa_user_sgpr_flat_scratch_init 0
		.amdhsa_user_sgpr_private_segment_size 0
		.amdhsa_wavefront_size32 1
		.amdhsa_uses_dynamic_stack 0
		.amdhsa_system_sgpr_private_segment_wavefront_offset 0
		.amdhsa_system_sgpr_workgroup_id_x 1
		.amdhsa_system_sgpr_workgroup_id_y 1
		.amdhsa_system_sgpr_workgroup_id_z 0
		.amdhsa_system_sgpr_workgroup_info 0
		.amdhsa_system_vgpr_workitem_id 1
		.amdhsa_next_free_vgpr 104
		.amdhsa_next_free_sgpr 19
		.amdhsa_reserve_vcc 1
		.amdhsa_reserve_flat_scratch 0
		.amdhsa_float_round_mode_32 0
		.amdhsa_float_round_mode_16_64 0
		.amdhsa_float_denorm_mode_32 3
		.amdhsa_float_denorm_mode_16_64 3
		.amdhsa_dx10_clamp 1
		.amdhsa_ieee_mode 1
		.amdhsa_fp16_overflow 0
		.amdhsa_workgroup_processor_mode 1
		.amdhsa_memory_ordered 1
		.amdhsa_forward_progress 1
		.amdhsa_shared_vgpr_count 0
		.amdhsa_exception_fp_ieee_invalid_op 0
		.amdhsa_exception_fp_denorm_src 0
		.amdhsa_exception_fp_ieee_div_zero 0
		.amdhsa_exception_fp_ieee_overflow 0
		.amdhsa_exception_fp_ieee_underflow 0
		.amdhsa_exception_fp_ieee_inexact 0
		.amdhsa_exception_int_div_zero 0
	.end_amdhsa_kernel
	.section	.text._ZN9rocsolver6v33100L18getf2_small_kernelILi19E19rocblas_complex_numIdEiiPS3_EEvT1_T3_lS5_lPS5_llPT2_S5_S5_S7_l,"axG",@progbits,_ZN9rocsolver6v33100L18getf2_small_kernelILi19E19rocblas_complex_numIdEiiPS3_EEvT1_T3_lS5_lPS5_llPT2_S5_S5_S7_l,comdat
.Lfunc_end36:
	.size	_ZN9rocsolver6v33100L18getf2_small_kernelILi19E19rocblas_complex_numIdEiiPS3_EEvT1_T3_lS5_lPS5_llPT2_S5_S5_S7_l, .Lfunc_end36-_ZN9rocsolver6v33100L18getf2_small_kernelILi19E19rocblas_complex_numIdEiiPS3_EEvT1_T3_lS5_lPS5_llPT2_S5_S5_S7_l
                                        ; -- End function
	.set _ZN9rocsolver6v33100L18getf2_small_kernelILi19E19rocblas_complex_numIdEiiPS3_EEvT1_T3_lS5_lPS5_llPT2_S5_S5_S7_l.num_vgpr, 104
	.set _ZN9rocsolver6v33100L18getf2_small_kernelILi19E19rocblas_complex_numIdEiiPS3_EEvT1_T3_lS5_lPS5_llPT2_S5_S5_S7_l.num_agpr, 0
	.set _ZN9rocsolver6v33100L18getf2_small_kernelILi19E19rocblas_complex_numIdEiiPS3_EEvT1_T3_lS5_lPS5_llPT2_S5_S5_S7_l.numbered_sgpr, 19
	.set _ZN9rocsolver6v33100L18getf2_small_kernelILi19E19rocblas_complex_numIdEiiPS3_EEvT1_T3_lS5_lPS5_llPT2_S5_S5_S7_l.num_named_barrier, 0
	.set _ZN9rocsolver6v33100L18getf2_small_kernelILi19E19rocblas_complex_numIdEiiPS3_EEvT1_T3_lS5_lPS5_llPT2_S5_S5_S7_l.private_seg_size, 0
	.set _ZN9rocsolver6v33100L18getf2_small_kernelILi19E19rocblas_complex_numIdEiiPS3_EEvT1_T3_lS5_lPS5_llPT2_S5_S5_S7_l.uses_vcc, 1
	.set _ZN9rocsolver6v33100L18getf2_small_kernelILi19E19rocblas_complex_numIdEiiPS3_EEvT1_T3_lS5_lPS5_llPT2_S5_S5_S7_l.uses_flat_scratch, 0
	.set _ZN9rocsolver6v33100L18getf2_small_kernelILi19E19rocblas_complex_numIdEiiPS3_EEvT1_T3_lS5_lPS5_llPT2_S5_S5_S7_l.has_dyn_sized_stack, 0
	.set _ZN9rocsolver6v33100L18getf2_small_kernelILi19E19rocblas_complex_numIdEiiPS3_EEvT1_T3_lS5_lPS5_llPT2_S5_S5_S7_l.has_recursion, 0
	.set _ZN9rocsolver6v33100L18getf2_small_kernelILi19E19rocblas_complex_numIdEiiPS3_EEvT1_T3_lS5_lPS5_llPT2_S5_S5_S7_l.has_indirect_call, 0
	.section	.AMDGPU.csdata,"",@progbits
; Kernel info:
; codeLenInByte = 32296
; TotalNumSgprs: 21
; NumVgprs: 104
; ScratchSize: 0
; MemoryBound: 0
; FloatMode: 240
; IeeeMode: 1
; LDSByteSize: 0 bytes/workgroup (compile time only)
; SGPRBlocks: 0
; VGPRBlocks: 12
; NumSGPRsForWavesPerEU: 21
; NumVGPRsForWavesPerEU: 104
; Occupancy: 9
; WaveLimiterHint : 0
; COMPUTE_PGM_RSRC2:SCRATCH_EN: 0
; COMPUTE_PGM_RSRC2:USER_SGPR: 6
; COMPUTE_PGM_RSRC2:TRAP_HANDLER: 0
; COMPUTE_PGM_RSRC2:TGID_X_EN: 1
; COMPUTE_PGM_RSRC2:TGID_Y_EN: 1
; COMPUTE_PGM_RSRC2:TGID_Z_EN: 0
; COMPUTE_PGM_RSRC2:TIDIG_COMP_CNT: 1
	.section	.text._ZN9rocsolver6v33100L23getf2_npvt_small_kernelILi19E19rocblas_complex_numIdEiiPS3_EEvT1_T3_lS5_lPT2_S5_S5_,"axG",@progbits,_ZN9rocsolver6v33100L23getf2_npvt_small_kernelILi19E19rocblas_complex_numIdEiiPS3_EEvT1_T3_lS5_lPT2_S5_S5_,comdat
	.globl	_ZN9rocsolver6v33100L23getf2_npvt_small_kernelILi19E19rocblas_complex_numIdEiiPS3_EEvT1_T3_lS5_lPT2_S5_S5_ ; -- Begin function _ZN9rocsolver6v33100L23getf2_npvt_small_kernelILi19E19rocblas_complex_numIdEiiPS3_EEvT1_T3_lS5_lPT2_S5_S5_
	.p2align	8
	.type	_ZN9rocsolver6v33100L23getf2_npvt_small_kernelILi19E19rocblas_complex_numIdEiiPS3_EEvT1_T3_lS5_lPT2_S5_S5_,@function
_ZN9rocsolver6v33100L23getf2_npvt_small_kernelILi19E19rocblas_complex_numIdEiiPS3_EEvT1_T3_lS5_lPT2_S5_S5_: ; @_ZN9rocsolver6v33100L23getf2_npvt_small_kernelILi19E19rocblas_complex_numIdEiiPS3_EEvT1_T3_lS5_lPT2_S5_S5_
; %bb.0:
	s_clause 0x1
	s_load_dword s0, s[4:5], 0x44
	s_load_dwordx2 s[12:13], s[4:5], 0x30
	s_waitcnt lgkmcnt(0)
	s_lshr_b32 s14, s0, 16
	s_mov_b32 s0, exec_lo
	v_mad_u64_u32 v[178:179], null, s7, s14, v[1:2]
	v_cmpx_gt_i32_e64 s12, v178
	s_cbranch_execz .LBB37_176
; %bb.1:
	s_clause 0x2
	s_load_dwordx4 s[8:11], s[4:5], 0x20
	s_load_dword s6, s[4:5], 0x18
	s_load_dwordx4 s[0:3], s[4:5], 0x8
	v_ashrrev_i32_e32 v179, 31, v178
	v_lshlrev_b32_e32 v13, 4, v0
	v_lshlrev_b32_e32 v78, 4, v1
	s_mulk_i32 s14, 0x130
	v_mad_u32_u24 v194, 0x130, v1, 0
	v_add3_u32 v1, 0, s14, v78
	s_waitcnt lgkmcnt(0)
	v_mul_lo_u32 v5, s9, v178
	v_mul_lo_u32 v7, s8, v179
	v_mad_u64_u32 v[2:3], null, s8, v178, 0
	v_add3_u32 v4, s6, s6, v0
	s_lshl_b64 s[2:3], s[2:3], 4
	s_ashr_i32 s7, s6, 31
	s_lshl_b64 s[4:5], s[6:7], 4
	v_add_nc_u32_e32 v6, s6, v4
	v_add3_u32 v3, v3, v7, v5
	v_ashrrev_i32_e32 v5, 31, v4
	v_add_nc_u32_e32 v8, s6, v6
	v_lshlrev_b64 v[2:3], 4, v[2:3]
	v_ashrrev_i32_e32 v7, 31, v6
	v_lshlrev_b64 v[4:5], 4, v[4:5]
	v_ashrrev_i32_e32 v9, 31, v8
	v_add_nc_u32_e32 v10, s6, v8
	v_add_co_u32 v12, vcc_lo, s0, v2
	v_add_co_ci_u32_e64 v14, null, s1, v3, vcc_lo
	v_lshlrev_b64 v[2:3], 4, v[8:9]
	v_add_co_u32 v18, vcc_lo, v12, s2
	v_add_nc_u32_e32 v8, s6, v10
	v_add_co_ci_u32_e64 v19, null, s3, v14, vcc_lo
	v_lshlrev_b64 v[6:7], 4, v[6:7]
	v_ashrrev_i32_e32 v11, 31, v10
	v_add_co_u32 v160, vcc_lo, v18, v13
	v_add_nc_u32_e32 v12, s6, v8
	v_add_co_ci_u32_e64 v161, null, 0, v19, vcc_lo
	v_add_co_u32 v158, vcc_lo, v18, v4
	v_lshlrev_b64 v[10:11], 4, v[10:11]
	v_ashrrev_i32_e32 v9, 31, v8
	v_add_co_ci_u32_e64 v159, null, v19, v5, vcc_lo
	v_add_co_u32 v156, vcc_lo, v18, v6
	v_add_co_ci_u32_e64 v157, null, v19, v7, vcc_lo
	v_add_co_u32 v162, vcc_lo, v160, s4
	v_ashrrev_i32_e32 v13, 31, v12
	v_add_nc_u32_e32 v16, s6, v12
	v_add_co_ci_u32_e64 v163, null, s5, v161, vcc_lo
	v_add_co_u32 v154, vcc_lo, v18, v2
	v_lshlrev_b64 v[14:15], 4, v[8:9]
	v_add_co_ci_u32_e64 v155, null, v19, v3, vcc_lo
	v_add_co_u32 v164, vcc_lo, v18, v10
	v_add_co_ci_u32_e64 v165, null, v19, v11, vcc_lo
	v_lshlrev_b64 v[10:11], 4, v[12:13]
	v_ashrrev_i32_e32 v17, 31, v16
	v_add_nc_u32_e32 v12, s6, v16
	v_add_co_u32 v166, vcc_lo, v18, v14
	v_add_co_ci_u32_e64 v167, null, v19, v15, vcc_lo
	v_lshlrev_b64 v[14:15], 4, v[16:17]
	v_ashrrev_i32_e32 v13, 31, v12
	v_add_nc_u32_e32 v16, s6, v12
	;; [unrolled: 5-line block ×9, first 2 shown]
	v_add_co_u32 v184, vcc_lo, v18, v14
	v_add_co_ci_u32_e64 v185, null, v19, v15, vcc_lo
	v_lshlrev_b64 v[14:15], 4, v[16:17]
	v_add_nc_u32_e32 v16, s6, v12
	v_ashrrev_i32_e32 v13, 31, v12
	v_add_co_u32 v190, vcc_lo, v18, v10
	v_add_co_ci_u32_e64 v191, null, v19, v11, vcc_lo
	v_ashrrev_i32_e32 v17, 31, v16
	v_lshlrev_b64 v[10:11], 4, v[12:13]
	v_add_co_u32 v186, vcc_lo, v18, v14
	v_add_co_ci_u32_e64 v187, null, v19, v15, vcc_lo
	v_lshlrev_b64 v[12:13], 4, v[16:17]
	v_add_co_u32 v188, vcc_lo, v18, v10
	v_add_co_ci_u32_e64 v189, null, v19, v11, vcc_lo
	s_clause 0x1
	global_load_dwordx4 v[6:9], v[160:161], off
	global_load_dwordx4 v[2:5], v[162:163], off
	v_add_co_u32 v192, vcc_lo, v18, v12
	v_add_co_ci_u32_e64 v193, null, v19, v13, vcc_lo
	s_clause 0x10
	global_load_dwordx4 v[74:77], v[158:159], off
	global_load_dwordx4 v[70:73], v[156:157], off
	;; [unrolled: 1-line block ×17, first 2 shown]
	v_cmp_ne_u32_e64 s1, 0, v0
	v_cmp_eq_u32_e64 s0, 0, v0
	s_and_saveexec_b32 s3, s0
	s_cbranch_execz .LBB37_8
; %bb.2:
	s_waitcnt vmcnt(18)
	ds_write2_b64 v1, v[6:7], v[8:9] offset1:1
	s_waitcnt vmcnt(17)
	ds_write2_b64 v194, v[2:3], v[4:5] offset0:2 offset1:3
	s_waitcnt vmcnt(16)
	ds_write2_b64 v194, v[74:75], v[76:77] offset0:4 offset1:5
	;; [unrolled: 2-line block ×18, first 2 shown]
	ds_read2_b64 v[78:81], v1 offset1:1
	s_waitcnt lgkmcnt(0)
	v_cmp_neq_f64_e32 vcc_lo, 0, v[78:79]
	v_cmp_neq_f64_e64 s2, 0, v[80:81]
	s_or_b32 s2, vcc_lo, s2
	s_and_b32 exec_lo, exec_lo, s2
	s_cbranch_execz .LBB37_8
; %bb.3:
	v_cmp_ngt_f64_e64 s2, |v[78:79]|, |v[80:81]|
                                        ; implicit-def: $vgpr82_vgpr83
	s_and_saveexec_b32 s4, s2
	s_xor_b32 s2, exec_lo, s4
                                        ; implicit-def: $vgpr84_vgpr85
	s_cbranch_execz .LBB37_5
; %bb.4:
	v_div_scale_f64 v[82:83], null, v[80:81], v[80:81], v[78:79]
	v_div_scale_f64 v[88:89], vcc_lo, v[78:79], v[80:81], v[78:79]
	v_rcp_f64_e32 v[84:85], v[82:83]
	v_fma_f64 v[86:87], -v[82:83], v[84:85], 1.0
	v_fma_f64 v[84:85], v[84:85], v[86:87], v[84:85]
	v_fma_f64 v[86:87], -v[82:83], v[84:85], 1.0
	v_fma_f64 v[84:85], v[84:85], v[86:87], v[84:85]
	v_mul_f64 v[86:87], v[88:89], v[84:85]
	v_fma_f64 v[82:83], -v[82:83], v[86:87], v[88:89]
	v_div_fmas_f64 v[82:83], v[82:83], v[84:85], v[86:87]
	v_div_fixup_f64 v[82:83], v[82:83], v[80:81], v[78:79]
	v_fma_f64 v[78:79], v[78:79], v[82:83], v[80:81]
	v_div_scale_f64 v[80:81], null, v[78:79], v[78:79], 1.0
	v_rcp_f64_e32 v[84:85], v[80:81]
	v_fma_f64 v[86:87], -v[80:81], v[84:85], 1.0
	v_fma_f64 v[84:85], v[84:85], v[86:87], v[84:85]
	v_fma_f64 v[86:87], -v[80:81], v[84:85], 1.0
	v_fma_f64 v[84:85], v[84:85], v[86:87], v[84:85]
	v_div_scale_f64 v[86:87], vcc_lo, 1.0, v[78:79], 1.0
	v_mul_f64 v[88:89], v[86:87], v[84:85]
	v_fma_f64 v[80:81], -v[80:81], v[88:89], v[86:87]
	v_div_fmas_f64 v[80:81], v[80:81], v[84:85], v[88:89]
	v_div_fixup_f64 v[84:85], v[80:81], v[78:79], 1.0
                                        ; implicit-def: $vgpr78_vgpr79
	v_mul_f64 v[82:83], v[82:83], v[84:85]
	v_xor_b32_e32 v85, 0x80000000, v85
.LBB37_5:
	s_andn2_saveexec_b32 s2, s2
	s_cbranch_execz .LBB37_7
; %bb.6:
	v_div_scale_f64 v[82:83], null, v[78:79], v[78:79], v[80:81]
	v_div_scale_f64 v[88:89], vcc_lo, v[80:81], v[78:79], v[80:81]
	v_rcp_f64_e32 v[84:85], v[82:83]
	v_fma_f64 v[86:87], -v[82:83], v[84:85], 1.0
	v_fma_f64 v[84:85], v[84:85], v[86:87], v[84:85]
	v_fma_f64 v[86:87], -v[82:83], v[84:85], 1.0
	v_fma_f64 v[84:85], v[84:85], v[86:87], v[84:85]
	v_mul_f64 v[86:87], v[88:89], v[84:85]
	v_fma_f64 v[82:83], -v[82:83], v[86:87], v[88:89]
	v_div_fmas_f64 v[82:83], v[82:83], v[84:85], v[86:87]
	v_div_fixup_f64 v[84:85], v[82:83], v[78:79], v[80:81]
	v_fma_f64 v[78:79], v[80:81], v[84:85], v[78:79]
	v_div_scale_f64 v[80:81], null, v[78:79], v[78:79], 1.0
	v_rcp_f64_e32 v[82:83], v[80:81]
	v_fma_f64 v[86:87], -v[80:81], v[82:83], 1.0
	v_fma_f64 v[82:83], v[82:83], v[86:87], v[82:83]
	v_fma_f64 v[86:87], -v[80:81], v[82:83], 1.0
	v_fma_f64 v[82:83], v[82:83], v[86:87], v[82:83]
	v_div_scale_f64 v[86:87], vcc_lo, 1.0, v[78:79], 1.0
	v_mul_f64 v[88:89], v[86:87], v[82:83]
	v_fma_f64 v[80:81], -v[80:81], v[88:89], v[86:87]
	v_div_fmas_f64 v[80:81], v[80:81], v[82:83], v[88:89]
	v_div_fixup_f64 v[82:83], v[80:81], v[78:79], 1.0
	v_mul_f64 v[84:85], v[84:85], -v[82:83]
.LBB37_7:
	s_or_b32 exec_lo, exec_lo, s2
	ds_write2_b64 v1, v[82:83], v[84:85] offset1:1
.LBB37_8:
	s_or_b32 exec_lo, exec_lo, s3
	s_waitcnt vmcnt(0) lgkmcnt(0)
	s_barrier
	buffer_gl0_inv
	ds_read2_b64 v[78:81], v1 offset1:1
	s_and_saveexec_b32 s2, s1
	s_cbranch_execz .LBB37_10
; %bb.9:
	s_waitcnt lgkmcnt(0)
	v_mul_f64 v[82:83], v[78:79], v[8:9]
	v_mul_f64 v[98:99], v[80:81], v[8:9]
	v_fma_f64 v[8:9], v[80:81], v[6:7], v[82:83]
	ds_read2_b64 v[82:85], v194 offset0:2 offset1:3
	ds_read2_b64 v[86:89], v194 offset0:4 offset1:5
	;; [unrolled: 1-line block ×4, first 2 shown]
	v_fma_f64 v[6:7], v[78:79], v[6:7], -v[98:99]
	ds_read2_b64 v[106:109], v194 offset0:14 offset1:15
	ds_read2_b64 v[98:101], v194 offset0:10 offset1:11
	;; [unrolled: 1-line block ×6, first 2 shown]
	s_waitcnt lgkmcnt(7)
	v_mul_f64 v[130:131], v[92:93], v[8:9]
	v_mul_f64 v[132:133], v[90:91], v[8:9]
	;; [unrolled: 1-line block ×6, first 2 shown]
	s_waitcnt lgkmcnt(6)
	v_mul_f64 v[134:135], v[96:97], v[8:9]
	v_mul_f64 v[136:137], v[94:95], v[8:9]
	s_waitcnt lgkmcnt(1)
	v_mul_f64 v[138:139], v[116:117], v[8:9]
	v_mul_f64 v[140:141], v[114:115], v[8:9]
	v_fma_f64 v[130:131], v[90:91], v[6:7], -v[130:131]
	v_fma_f64 v[132:133], v[92:93], v[6:7], v[132:133]
	v_mul_f64 v[90:91], v[108:109], v[8:9]
	v_mul_f64 v[92:93], v[106:107], v[8:9]
	v_fma_f64 v[122:123], v[82:83], v[6:7], -v[122:123]
	v_fma_f64 v[124:125], v[84:85], v[6:7], v[124:125]
	;; [unrolled: 4-line block ×5, first 2 shown]
	v_add_f64 v[70:71], v[70:71], -v[130:131]
	v_add_f64 v[72:73], v[72:73], -v[132:133]
	v_fma_f64 v[106:107], v[106:107], v[6:7], -v[90:91]
	v_fma_f64 v[108:109], v[108:109], v[6:7], v[92:93]
	s_waitcnt lgkmcnt(0)
	v_mul_f64 v[90:91], v[120:121], v[8:9]
	v_mul_f64 v[92:93], v[118:119], v[8:9]
	v_fma_f64 v[98:99], v[98:99], v[6:7], -v[82:83]
	v_fma_f64 v[100:101], v[100:101], v[6:7], v[84:85]
	ds_read2_b64 v[82:85], v194 offset0:22 offset1:23
	v_add_f64 v[2:3], v[2:3], -v[122:123]
	v_fma_f64 v[102:103], v[102:103], v[6:7], -v[86:87]
	v_fma_f64 v[104:105], v[104:105], v[6:7], v[88:89]
	ds_read2_b64 v[86:89], v194 offset0:24 offset1:25
	v_add_f64 v[4:5], v[4:5], -v[124:125]
	v_fma_f64 v[110:111], v[110:111], v[6:7], -v[94:95]
	v_fma_f64 v[112:113], v[112:113], v[6:7], v[96:97]
	v_add_f64 v[74:75], v[74:75], -v[126:127]
	v_add_f64 v[76:77], v[76:77], -v[128:129]
	;; [unrolled: 1-line block ×8, first 2 shown]
	v_fma_f64 v[118:119], v[118:119], v[6:7], -v[90:91]
	v_fma_f64 v[120:121], v[120:121], v[6:7], v[92:93]
	s_waitcnt lgkmcnt(1)
	v_mul_f64 v[94:95], v[84:85], v[8:9]
	v_mul_f64 v[96:97], v[82:83], v[8:9]
	v_add_f64 v[62:63], v[62:63], -v[98:99]
	v_add_f64 v[64:65], v[64:65], -v[100:101]
	s_waitcnt lgkmcnt(0)
	v_mul_f64 v[90:91], v[88:89], v[8:9]
	v_mul_f64 v[92:93], v[86:87], v[8:9]
	v_add_f64 v[58:59], v[58:59], -v[102:103]
	v_add_f64 v[60:61], v[60:61], -v[104:105]
	ds_read2_b64 v[98:101], v194 offset0:34 offset1:35
	ds_read2_b64 v[102:105], v194 offset0:36 offset1:37
	v_add_f64 v[50:51], v[50:51], -v[110:111]
	v_add_f64 v[52:53], v[52:53], -v[112:113]
	;; [unrolled: 1-line block ×4, first 2 shown]
	v_fma_f64 v[138:139], v[82:83], v[6:7], -v[94:95]
	v_fma_f64 v[140:141], v[84:85], v[6:7], v[96:97]
	ds_read2_b64 v[82:85], v194 offset0:26 offset1:27
	ds_read2_b64 v[94:97], v194 offset0:32 offset1:33
	v_fma_f64 v[142:143], v[86:87], v[6:7], -v[90:91]
	v_fma_f64 v[144:145], v[88:89], v[6:7], v[92:93]
	ds_read2_b64 v[86:89], v194 offset0:28 offset1:29
	ds_read2_b64 v[90:93], v194 offset0:30 offset1:31
	s_waitcnt lgkmcnt(3)
	v_mul_f64 v[122:123], v[84:85], v[8:9]
	v_mul_f64 v[124:125], v[82:83], v[8:9]
	s_waitcnt lgkmcnt(2)
	v_mul_f64 v[106:107], v[96:97], v[8:9]
	v_mul_f64 v[108:109], v[94:95], v[8:9]
	;; [unrolled: 3-line block ×4, first 2 shown]
	v_add_f64 v[38:39], v[38:39], -v[138:139]
	v_add_f64 v[40:41], v[40:41], -v[140:141]
	;; [unrolled: 1-line block ×4, first 2 shown]
	v_fma_f64 v[82:83], v[82:83], v[6:7], -v[122:123]
	v_fma_f64 v[84:85], v[84:85], v[6:7], v[124:125]
	v_mul_f64 v[122:123], v[100:101], v[8:9]
	v_mul_f64 v[124:125], v[98:99], v[8:9]
	v_fma_f64 v[86:87], v[86:87], v[6:7], -v[126:127]
	v_fma_f64 v[88:89], v[88:89], v[6:7], v[128:129]
	v_mul_f64 v[126:127], v[104:105], v[8:9]
	v_mul_f64 v[128:129], v[102:103], v[8:9]
	v_fma_f64 v[90:91], v[90:91], v[6:7], -v[130:131]
	v_fma_f64 v[92:93], v[92:93], v[6:7], v[132:133]
	v_fma_f64 v[94:95], v[94:95], v[6:7], -v[106:107]
	v_fma_f64 v[96:97], v[96:97], v[6:7], v[108:109]
	v_add_f64 v[30:31], v[30:31], -v[82:83]
	v_add_f64 v[32:33], v[32:33], -v[84:85]
	v_fma_f64 v[98:99], v[98:99], v[6:7], -v[122:123]
	v_fma_f64 v[100:101], v[100:101], v[6:7], v[124:125]
	v_add_f64 v[26:27], v[26:27], -v[86:87]
	v_add_f64 v[28:29], v[28:29], -v[88:89]
	;; [unrolled: 4-line block ×3, first 2 shown]
	v_add_f64 v[18:19], v[18:19], -v[94:95]
	v_add_f64 v[20:21], v[20:21], -v[96:97]
	;; [unrolled: 1-line block ×6, first 2 shown]
.LBB37_10:
	s_or_b32 exec_lo, exec_lo, s2
	s_mov_b32 s2, exec_lo
	s_waitcnt lgkmcnt(0)
	s_barrier
	buffer_gl0_inv
	v_cmpx_eq_u32_e32 1, v0
	s_cbranch_execz .LBB37_17
; %bb.11:
	ds_write2_b64 v1, v[2:3], v[4:5] offset1:1
	ds_write2_b64 v194, v[74:75], v[76:77] offset0:4 offset1:5
	ds_write2_b64 v194, v[70:71], v[72:73] offset0:6 offset1:7
	;; [unrolled: 1-line block ×17, first 2 shown]
	ds_read2_b64 v[82:85], v1 offset1:1
	s_waitcnt lgkmcnt(0)
	v_cmp_neq_f64_e32 vcc_lo, 0, v[82:83]
	v_cmp_neq_f64_e64 s1, 0, v[84:85]
	s_or_b32 s1, vcc_lo, s1
	s_and_b32 exec_lo, exec_lo, s1
	s_cbranch_execz .LBB37_17
; %bb.12:
	v_cmp_ngt_f64_e64 s1, |v[82:83]|, |v[84:85]|
                                        ; implicit-def: $vgpr86_vgpr87
	s_and_saveexec_b32 s3, s1
	s_xor_b32 s1, exec_lo, s3
                                        ; implicit-def: $vgpr88_vgpr89
	s_cbranch_execz .LBB37_14
; %bb.13:
	v_div_scale_f64 v[86:87], null, v[84:85], v[84:85], v[82:83]
	v_div_scale_f64 v[92:93], vcc_lo, v[82:83], v[84:85], v[82:83]
	v_rcp_f64_e32 v[88:89], v[86:87]
	v_fma_f64 v[90:91], -v[86:87], v[88:89], 1.0
	v_fma_f64 v[88:89], v[88:89], v[90:91], v[88:89]
	v_fma_f64 v[90:91], -v[86:87], v[88:89], 1.0
	v_fma_f64 v[88:89], v[88:89], v[90:91], v[88:89]
	v_mul_f64 v[90:91], v[92:93], v[88:89]
	v_fma_f64 v[86:87], -v[86:87], v[90:91], v[92:93]
	v_div_fmas_f64 v[86:87], v[86:87], v[88:89], v[90:91]
	v_div_fixup_f64 v[86:87], v[86:87], v[84:85], v[82:83]
	v_fma_f64 v[82:83], v[82:83], v[86:87], v[84:85]
	v_div_scale_f64 v[84:85], null, v[82:83], v[82:83], 1.0
	v_rcp_f64_e32 v[88:89], v[84:85]
	v_fma_f64 v[90:91], -v[84:85], v[88:89], 1.0
	v_fma_f64 v[88:89], v[88:89], v[90:91], v[88:89]
	v_fma_f64 v[90:91], -v[84:85], v[88:89], 1.0
	v_fma_f64 v[88:89], v[88:89], v[90:91], v[88:89]
	v_div_scale_f64 v[90:91], vcc_lo, 1.0, v[82:83], 1.0
	v_mul_f64 v[92:93], v[90:91], v[88:89]
	v_fma_f64 v[84:85], -v[84:85], v[92:93], v[90:91]
	v_div_fmas_f64 v[84:85], v[84:85], v[88:89], v[92:93]
	v_div_fixup_f64 v[88:89], v[84:85], v[82:83], 1.0
                                        ; implicit-def: $vgpr82_vgpr83
	v_mul_f64 v[86:87], v[86:87], v[88:89]
	v_xor_b32_e32 v89, 0x80000000, v89
.LBB37_14:
	s_andn2_saveexec_b32 s1, s1
	s_cbranch_execz .LBB37_16
; %bb.15:
	v_div_scale_f64 v[86:87], null, v[82:83], v[82:83], v[84:85]
	v_div_scale_f64 v[92:93], vcc_lo, v[84:85], v[82:83], v[84:85]
	v_rcp_f64_e32 v[88:89], v[86:87]
	v_fma_f64 v[90:91], -v[86:87], v[88:89], 1.0
	v_fma_f64 v[88:89], v[88:89], v[90:91], v[88:89]
	v_fma_f64 v[90:91], -v[86:87], v[88:89], 1.0
	v_fma_f64 v[88:89], v[88:89], v[90:91], v[88:89]
	v_mul_f64 v[90:91], v[92:93], v[88:89]
	v_fma_f64 v[86:87], -v[86:87], v[90:91], v[92:93]
	v_div_fmas_f64 v[86:87], v[86:87], v[88:89], v[90:91]
	v_div_fixup_f64 v[88:89], v[86:87], v[82:83], v[84:85]
	v_fma_f64 v[82:83], v[84:85], v[88:89], v[82:83]
	v_div_scale_f64 v[84:85], null, v[82:83], v[82:83], 1.0
	v_rcp_f64_e32 v[86:87], v[84:85]
	v_fma_f64 v[90:91], -v[84:85], v[86:87], 1.0
	v_fma_f64 v[86:87], v[86:87], v[90:91], v[86:87]
	v_fma_f64 v[90:91], -v[84:85], v[86:87], 1.0
	v_fma_f64 v[86:87], v[86:87], v[90:91], v[86:87]
	v_div_scale_f64 v[90:91], vcc_lo, 1.0, v[82:83], 1.0
	v_mul_f64 v[92:93], v[90:91], v[86:87]
	v_fma_f64 v[84:85], -v[84:85], v[92:93], v[90:91]
	v_div_fmas_f64 v[84:85], v[84:85], v[86:87], v[92:93]
	v_div_fixup_f64 v[86:87], v[84:85], v[82:83], 1.0
	v_mul_f64 v[88:89], v[88:89], -v[86:87]
.LBB37_16:
	s_or_b32 exec_lo, exec_lo, s1
	ds_write2_b64 v1, v[86:87], v[88:89] offset1:1
.LBB37_17:
	s_or_b32 exec_lo, exec_lo, s2
	s_waitcnt lgkmcnt(0)
	s_barrier
	buffer_gl0_inv
	ds_read2_b64 v[82:85], v1 offset1:1
	s_mov_b32 s1, exec_lo
	v_cmpx_lt_u32_e32 1, v0
	s_cbranch_execz .LBB37_19
; %bb.18:
	s_waitcnt lgkmcnt(0)
	v_mul_f64 v[86:87], v[82:83], v[4:5]
	v_mul_f64 v[134:135], v[84:85], v[4:5]
	v_fma_f64 v[4:5], v[84:85], v[2:3], v[86:87]
	ds_read2_b64 v[86:89], v194 offset0:4 offset1:5
	ds_read2_b64 v[90:93], v194 offset0:6 offset1:7
	;; [unrolled: 1-line block ×12, first 2 shown]
	v_fma_f64 v[2:3], v[82:83], v[2:3], -v[134:135]
	ds_read2_b64 v[134:137], v194 offset0:28 offset1:29
	ds_read2_b64 v[138:141], v194 offset0:30 offset1:31
	;; [unrolled: 1-line block ×5, first 2 shown]
	s_waitcnt lgkmcnt(16)
	v_mul_f64 v[195:196], v[88:89], v[4:5]
	v_mul_f64 v[197:198], v[86:87], v[4:5]
	s_waitcnt lgkmcnt(15)
	v_mul_f64 v[199:200], v[92:93], v[4:5]
	v_mul_f64 v[201:202], v[90:91], v[4:5]
	;; [unrolled: 3-line block ×8, first 2 shown]
	s_waitcnt lgkmcnt(8)
	v_mul_f64 v[227:228], v[120:121], v[4:5]
	v_fma_f64 v[86:87], v[86:87], v[2:3], -v[195:196]
	v_mul_f64 v[195:196], v[118:119], v[4:5]
	v_fma_f64 v[88:89], v[88:89], v[2:3], v[197:198]
	s_waitcnt lgkmcnt(7)
	v_mul_f64 v[197:198], v[124:125], v[4:5]
	v_fma_f64 v[90:91], v[90:91], v[2:3], -v[199:200]
	v_fma_f64 v[92:93], v[92:93], v[2:3], v[201:202]
	v_mul_f64 v[199:200], v[122:123], v[4:5]
	s_waitcnt lgkmcnt(6)
	v_mul_f64 v[201:202], v[128:129], v[4:5]
	v_fma_f64 v[94:95], v[94:95], v[2:3], -v[203:204]
	v_fma_f64 v[96:97], v[96:97], v[2:3], v[205:206]
	v_mul_f64 v[203:204], v[126:127], v[4:5]
	s_waitcnt lgkmcnt(5)
	v_mul_f64 v[205:206], v[132:133], v[4:5]
	v_fma_f64 v[98:99], v[98:99], v[2:3], -v[207:208]
	v_fma_f64 v[100:101], v[100:101], v[2:3], v[209:210]
	v_mul_f64 v[207:208], v[130:131], v[4:5]
	s_waitcnt lgkmcnt(4)
	v_mul_f64 v[209:210], v[136:137], v[4:5]
	v_fma_f64 v[102:103], v[102:103], v[2:3], -v[211:212]
	v_fma_f64 v[104:105], v[104:105], v[2:3], v[213:214]
	v_mul_f64 v[211:212], v[134:135], v[4:5]
	s_waitcnt lgkmcnt(3)
	v_mul_f64 v[213:214], v[140:141], v[4:5]
	v_fma_f64 v[106:107], v[106:107], v[2:3], -v[215:216]
	v_fma_f64 v[108:109], v[108:109], v[2:3], v[217:218]
	v_mul_f64 v[215:216], v[138:139], v[4:5]
	s_waitcnt lgkmcnt(2)
	v_mul_f64 v[217:218], v[144:145], v[4:5]
	v_fma_f64 v[110:111], v[110:111], v[2:3], -v[219:220]
	v_fma_f64 v[112:113], v[112:113], v[2:3], v[221:222]
	v_mul_f64 v[219:220], v[142:143], v[4:5]
	s_waitcnt lgkmcnt(1)
	v_mul_f64 v[221:222], v[148:149], v[4:5]
	v_fma_f64 v[114:115], v[114:115], v[2:3], -v[223:224]
	v_fma_f64 v[116:117], v[116:117], v[2:3], v[225:226]
	v_mul_f64 v[223:224], v[146:147], v[4:5]
	s_waitcnt lgkmcnt(0)
	v_mul_f64 v[225:226], v[152:153], v[4:5]
	v_fma_f64 v[120:121], v[120:121], v[2:3], v[195:196]
	v_mul_f64 v[195:196], v[150:151], v[4:5]
	v_fma_f64 v[118:119], v[118:119], v[2:3], -v[227:228]
	v_fma_f64 v[122:123], v[122:123], v[2:3], -v[197:198]
	v_fma_f64 v[124:125], v[124:125], v[2:3], v[199:200]
	v_fma_f64 v[126:127], v[126:127], v[2:3], -v[201:202]
	v_fma_f64 v[128:129], v[128:129], v[2:3], v[203:204]
	v_add_f64 v[74:75], v[74:75], -v[86:87]
	v_add_f64 v[76:77], v[76:77], -v[88:89]
	v_add_f64 v[70:71], v[70:71], -v[90:91]
	v_add_f64 v[72:73], v[72:73], -v[92:93]
	v_add_f64 v[66:67], v[66:67], -v[94:95]
	v_add_f64 v[68:69], v[68:69], -v[96:97]
	v_add_f64 v[62:63], v[62:63], -v[98:99]
	v_add_f64 v[64:65], v[64:65], -v[100:101]
	v_add_f64 v[58:59], v[58:59], -v[102:103]
	v_add_f64 v[60:61], v[60:61], -v[104:105]
	v_add_f64 v[54:55], v[54:55], -v[106:107]
	v_add_f64 v[56:57], v[56:57], -v[108:109]
	v_fma_f64 v[86:87], v[130:131], v[2:3], -v[205:206]
	v_fma_f64 v[88:89], v[132:133], v[2:3], v[207:208]
	v_fma_f64 v[90:91], v[134:135], v[2:3], -v[209:210]
	v_fma_f64 v[92:93], v[136:137], v[2:3], v[211:212]
	v_fma_f64 v[94:95], v[138:139], v[2:3], -v[213:214]
	v_fma_f64 v[96:97], v[140:141], v[2:3], v[215:216]
	v_fma_f64 v[98:99], v[142:143], v[2:3], -v[217:218]
	v_fma_f64 v[100:101], v[144:145], v[2:3], v[219:220]
	v_fma_f64 v[102:103], v[146:147], v[2:3], -v[221:222]
	v_fma_f64 v[104:105], v[148:149], v[2:3], v[223:224]
	v_fma_f64 v[106:107], v[150:151], v[2:3], -v[225:226]
	v_fma_f64 v[108:109], v[152:153], v[2:3], v[195:196]
	v_add_f64 v[50:51], v[50:51], -v[110:111]
	v_add_f64 v[52:53], v[52:53], -v[112:113]
	;; [unrolled: 1-line block ×22, first 2 shown]
.LBB37_19:
	s_or_b32 exec_lo, exec_lo, s1
	s_mov_b32 s2, exec_lo
	s_waitcnt lgkmcnt(0)
	s_barrier
	buffer_gl0_inv
	v_cmpx_eq_u32_e32 2, v0
	s_cbranch_execz .LBB37_26
; %bb.20:
	ds_write2_b64 v1, v[74:75], v[76:77] offset1:1
	ds_write2_b64 v194, v[70:71], v[72:73] offset0:6 offset1:7
	ds_write2_b64 v194, v[66:67], v[68:69] offset0:8 offset1:9
	;; [unrolled: 1-line block ×16, first 2 shown]
	ds_read2_b64 v[86:89], v1 offset1:1
	s_waitcnt lgkmcnt(0)
	v_cmp_neq_f64_e32 vcc_lo, 0, v[86:87]
	v_cmp_neq_f64_e64 s1, 0, v[88:89]
	s_or_b32 s1, vcc_lo, s1
	s_and_b32 exec_lo, exec_lo, s1
	s_cbranch_execz .LBB37_26
; %bb.21:
	v_cmp_ngt_f64_e64 s1, |v[86:87]|, |v[88:89]|
                                        ; implicit-def: $vgpr90_vgpr91
	s_and_saveexec_b32 s3, s1
	s_xor_b32 s1, exec_lo, s3
                                        ; implicit-def: $vgpr92_vgpr93
	s_cbranch_execz .LBB37_23
; %bb.22:
	v_div_scale_f64 v[90:91], null, v[88:89], v[88:89], v[86:87]
	v_div_scale_f64 v[96:97], vcc_lo, v[86:87], v[88:89], v[86:87]
	v_rcp_f64_e32 v[92:93], v[90:91]
	v_fma_f64 v[94:95], -v[90:91], v[92:93], 1.0
	v_fma_f64 v[92:93], v[92:93], v[94:95], v[92:93]
	v_fma_f64 v[94:95], -v[90:91], v[92:93], 1.0
	v_fma_f64 v[92:93], v[92:93], v[94:95], v[92:93]
	v_mul_f64 v[94:95], v[96:97], v[92:93]
	v_fma_f64 v[90:91], -v[90:91], v[94:95], v[96:97]
	v_div_fmas_f64 v[90:91], v[90:91], v[92:93], v[94:95]
	v_div_fixup_f64 v[90:91], v[90:91], v[88:89], v[86:87]
	v_fma_f64 v[86:87], v[86:87], v[90:91], v[88:89]
	v_div_scale_f64 v[88:89], null, v[86:87], v[86:87], 1.0
	v_rcp_f64_e32 v[92:93], v[88:89]
	v_fma_f64 v[94:95], -v[88:89], v[92:93], 1.0
	v_fma_f64 v[92:93], v[92:93], v[94:95], v[92:93]
	v_fma_f64 v[94:95], -v[88:89], v[92:93], 1.0
	v_fma_f64 v[92:93], v[92:93], v[94:95], v[92:93]
	v_div_scale_f64 v[94:95], vcc_lo, 1.0, v[86:87], 1.0
	v_mul_f64 v[96:97], v[94:95], v[92:93]
	v_fma_f64 v[88:89], -v[88:89], v[96:97], v[94:95]
	v_div_fmas_f64 v[88:89], v[88:89], v[92:93], v[96:97]
	v_div_fixup_f64 v[92:93], v[88:89], v[86:87], 1.0
                                        ; implicit-def: $vgpr86_vgpr87
	v_mul_f64 v[90:91], v[90:91], v[92:93]
	v_xor_b32_e32 v93, 0x80000000, v93
.LBB37_23:
	s_andn2_saveexec_b32 s1, s1
	s_cbranch_execz .LBB37_25
; %bb.24:
	v_div_scale_f64 v[90:91], null, v[86:87], v[86:87], v[88:89]
	v_div_scale_f64 v[96:97], vcc_lo, v[88:89], v[86:87], v[88:89]
	v_rcp_f64_e32 v[92:93], v[90:91]
	v_fma_f64 v[94:95], -v[90:91], v[92:93], 1.0
	v_fma_f64 v[92:93], v[92:93], v[94:95], v[92:93]
	v_fma_f64 v[94:95], -v[90:91], v[92:93], 1.0
	v_fma_f64 v[92:93], v[92:93], v[94:95], v[92:93]
	v_mul_f64 v[94:95], v[96:97], v[92:93]
	v_fma_f64 v[90:91], -v[90:91], v[94:95], v[96:97]
	v_div_fmas_f64 v[90:91], v[90:91], v[92:93], v[94:95]
	v_div_fixup_f64 v[92:93], v[90:91], v[86:87], v[88:89]
	v_fma_f64 v[86:87], v[88:89], v[92:93], v[86:87]
	v_div_scale_f64 v[88:89], null, v[86:87], v[86:87], 1.0
	v_rcp_f64_e32 v[90:91], v[88:89]
	v_fma_f64 v[94:95], -v[88:89], v[90:91], 1.0
	v_fma_f64 v[90:91], v[90:91], v[94:95], v[90:91]
	v_fma_f64 v[94:95], -v[88:89], v[90:91], 1.0
	v_fma_f64 v[90:91], v[90:91], v[94:95], v[90:91]
	v_div_scale_f64 v[94:95], vcc_lo, 1.0, v[86:87], 1.0
	v_mul_f64 v[96:97], v[94:95], v[90:91]
	v_fma_f64 v[88:89], -v[88:89], v[96:97], v[94:95]
	v_div_fmas_f64 v[88:89], v[88:89], v[90:91], v[96:97]
	v_div_fixup_f64 v[90:91], v[88:89], v[86:87], 1.0
	v_mul_f64 v[92:93], v[92:93], -v[90:91]
.LBB37_25:
	s_or_b32 exec_lo, exec_lo, s1
	ds_write2_b64 v1, v[90:91], v[92:93] offset1:1
.LBB37_26:
	s_or_b32 exec_lo, exec_lo, s2
	s_waitcnt lgkmcnt(0)
	s_barrier
	buffer_gl0_inv
	ds_read2_b64 v[86:89], v1 offset1:1
	s_mov_b32 s1, exec_lo
	v_cmpx_lt_u32_e32 2, v0
	s_cbranch_execz .LBB37_28
; %bb.27:
	s_waitcnt lgkmcnt(0)
	v_mul_f64 v[90:91], v[86:87], v[76:77]
	v_mul_f64 v[76:77], v[88:89], v[76:77]
	ds_read2_b64 v[92:95], v194 offset0:6 offset1:7
	v_fma_f64 v[90:91], v[88:89], v[74:75], v[90:91]
	v_fma_f64 v[74:75], v[86:87], v[74:75], -v[76:77]
	s_waitcnt lgkmcnt(0)
	v_mul_f64 v[76:77], v[94:95], v[90:91]
	v_fma_f64 v[76:77], v[92:93], v[74:75], -v[76:77]
	v_mul_f64 v[92:93], v[92:93], v[90:91]
	v_add_f64 v[70:71], v[70:71], -v[76:77]
	v_fma_f64 v[92:93], v[94:95], v[74:75], v[92:93]
	v_add_f64 v[72:73], v[72:73], -v[92:93]
	ds_read2_b64 v[92:95], v194 offset0:8 offset1:9
	s_waitcnt lgkmcnt(0)
	v_mul_f64 v[76:77], v[94:95], v[90:91]
	v_fma_f64 v[76:77], v[92:93], v[74:75], -v[76:77]
	v_mul_f64 v[92:93], v[92:93], v[90:91]
	v_add_f64 v[66:67], v[66:67], -v[76:77]
	v_fma_f64 v[92:93], v[94:95], v[74:75], v[92:93]
	v_add_f64 v[68:69], v[68:69], -v[92:93]
	ds_read2_b64 v[92:95], v194 offset0:10 offset1:11
	;; [unrolled: 8-line block ×15, first 2 shown]
	s_waitcnt lgkmcnt(0)
	v_mul_f64 v[76:77], v[94:95], v[90:91]
	v_fma_f64 v[76:77], v[92:93], v[74:75], -v[76:77]
	v_mul_f64 v[92:93], v[92:93], v[90:91]
	v_add_f64 v[10:11], v[10:11], -v[76:77]
	v_fma_f64 v[92:93], v[94:95], v[74:75], v[92:93]
	v_mov_b32_e32 v76, v90
	v_mov_b32_e32 v77, v91
	v_add_f64 v[12:13], v[12:13], -v[92:93]
.LBB37_28:
	s_or_b32 exec_lo, exec_lo, s1
	s_mov_b32 s2, exec_lo
	s_waitcnt lgkmcnt(0)
	s_barrier
	buffer_gl0_inv
	v_cmpx_eq_u32_e32 3, v0
	s_cbranch_execz .LBB37_35
; %bb.29:
	ds_write2_b64 v1, v[70:71], v[72:73] offset1:1
	ds_write2_b64 v194, v[66:67], v[68:69] offset0:8 offset1:9
	ds_write2_b64 v194, v[62:63], v[64:65] offset0:10 offset1:11
	;; [unrolled: 1-line block ×15, first 2 shown]
	ds_read2_b64 v[90:93], v1 offset1:1
	s_waitcnt lgkmcnt(0)
	v_cmp_neq_f64_e32 vcc_lo, 0, v[90:91]
	v_cmp_neq_f64_e64 s1, 0, v[92:93]
	s_or_b32 s1, vcc_lo, s1
	s_and_b32 exec_lo, exec_lo, s1
	s_cbranch_execz .LBB37_35
; %bb.30:
	v_cmp_ngt_f64_e64 s1, |v[90:91]|, |v[92:93]|
                                        ; implicit-def: $vgpr94_vgpr95
	s_and_saveexec_b32 s3, s1
	s_xor_b32 s1, exec_lo, s3
                                        ; implicit-def: $vgpr96_vgpr97
	s_cbranch_execz .LBB37_32
; %bb.31:
	v_div_scale_f64 v[94:95], null, v[92:93], v[92:93], v[90:91]
	v_div_scale_f64 v[100:101], vcc_lo, v[90:91], v[92:93], v[90:91]
	v_rcp_f64_e32 v[96:97], v[94:95]
	v_fma_f64 v[98:99], -v[94:95], v[96:97], 1.0
	v_fma_f64 v[96:97], v[96:97], v[98:99], v[96:97]
	v_fma_f64 v[98:99], -v[94:95], v[96:97], 1.0
	v_fma_f64 v[96:97], v[96:97], v[98:99], v[96:97]
	v_mul_f64 v[98:99], v[100:101], v[96:97]
	v_fma_f64 v[94:95], -v[94:95], v[98:99], v[100:101]
	v_div_fmas_f64 v[94:95], v[94:95], v[96:97], v[98:99]
	v_div_fixup_f64 v[94:95], v[94:95], v[92:93], v[90:91]
	v_fma_f64 v[90:91], v[90:91], v[94:95], v[92:93]
	v_div_scale_f64 v[92:93], null, v[90:91], v[90:91], 1.0
	v_rcp_f64_e32 v[96:97], v[92:93]
	v_fma_f64 v[98:99], -v[92:93], v[96:97], 1.0
	v_fma_f64 v[96:97], v[96:97], v[98:99], v[96:97]
	v_fma_f64 v[98:99], -v[92:93], v[96:97], 1.0
	v_fma_f64 v[96:97], v[96:97], v[98:99], v[96:97]
	v_div_scale_f64 v[98:99], vcc_lo, 1.0, v[90:91], 1.0
	v_mul_f64 v[100:101], v[98:99], v[96:97]
	v_fma_f64 v[92:93], -v[92:93], v[100:101], v[98:99]
	v_div_fmas_f64 v[92:93], v[92:93], v[96:97], v[100:101]
	v_div_fixup_f64 v[96:97], v[92:93], v[90:91], 1.0
                                        ; implicit-def: $vgpr90_vgpr91
	v_mul_f64 v[94:95], v[94:95], v[96:97]
	v_xor_b32_e32 v97, 0x80000000, v97
.LBB37_32:
	s_andn2_saveexec_b32 s1, s1
	s_cbranch_execz .LBB37_34
; %bb.33:
	v_div_scale_f64 v[94:95], null, v[90:91], v[90:91], v[92:93]
	v_div_scale_f64 v[100:101], vcc_lo, v[92:93], v[90:91], v[92:93]
	v_rcp_f64_e32 v[96:97], v[94:95]
	v_fma_f64 v[98:99], -v[94:95], v[96:97], 1.0
	v_fma_f64 v[96:97], v[96:97], v[98:99], v[96:97]
	v_fma_f64 v[98:99], -v[94:95], v[96:97], 1.0
	v_fma_f64 v[96:97], v[96:97], v[98:99], v[96:97]
	v_mul_f64 v[98:99], v[100:101], v[96:97]
	v_fma_f64 v[94:95], -v[94:95], v[98:99], v[100:101]
	v_div_fmas_f64 v[94:95], v[94:95], v[96:97], v[98:99]
	v_div_fixup_f64 v[96:97], v[94:95], v[90:91], v[92:93]
	v_fma_f64 v[90:91], v[92:93], v[96:97], v[90:91]
	v_div_scale_f64 v[92:93], null, v[90:91], v[90:91], 1.0
	v_rcp_f64_e32 v[94:95], v[92:93]
	v_fma_f64 v[98:99], -v[92:93], v[94:95], 1.0
	v_fma_f64 v[94:95], v[94:95], v[98:99], v[94:95]
	v_fma_f64 v[98:99], -v[92:93], v[94:95], 1.0
	v_fma_f64 v[94:95], v[94:95], v[98:99], v[94:95]
	v_div_scale_f64 v[98:99], vcc_lo, 1.0, v[90:91], 1.0
	v_mul_f64 v[100:101], v[98:99], v[94:95]
	v_fma_f64 v[92:93], -v[92:93], v[100:101], v[98:99]
	v_div_fmas_f64 v[92:93], v[92:93], v[94:95], v[100:101]
	v_div_fixup_f64 v[94:95], v[92:93], v[90:91], 1.0
	v_mul_f64 v[96:97], v[96:97], -v[94:95]
.LBB37_34:
	s_or_b32 exec_lo, exec_lo, s1
	ds_write2_b64 v1, v[94:95], v[96:97] offset1:1
.LBB37_35:
	s_or_b32 exec_lo, exec_lo, s2
	s_waitcnt lgkmcnt(0)
	s_barrier
	buffer_gl0_inv
	ds_read2_b64 v[90:93], v1 offset1:1
	s_mov_b32 s1, exec_lo
	v_cmpx_lt_u32_e32 3, v0
	s_cbranch_execz .LBB37_37
; %bb.36:
	s_waitcnt lgkmcnt(0)
	v_mul_f64 v[94:95], v[90:91], v[72:73]
	v_mul_f64 v[72:73], v[92:93], v[72:73]
	ds_read2_b64 v[96:99], v194 offset0:8 offset1:9
	v_fma_f64 v[94:95], v[92:93], v[70:71], v[94:95]
	v_fma_f64 v[70:71], v[90:91], v[70:71], -v[72:73]
	s_waitcnt lgkmcnt(0)
	v_mul_f64 v[72:73], v[98:99], v[94:95]
	v_fma_f64 v[72:73], v[96:97], v[70:71], -v[72:73]
	v_mul_f64 v[96:97], v[96:97], v[94:95]
	v_add_f64 v[66:67], v[66:67], -v[72:73]
	v_fma_f64 v[96:97], v[98:99], v[70:71], v[96:97]
	v_add_f64 v[68:69], v[68:69], -v[96:97]
	ds_read2_b64 v[96:99], v194 offset0:10 offset1:11
	s_waitcnt lgkmcnt(0)
	v_mul_f64 v[72:73], v[98:99], v[94:95]
	v_fma_f64 v[72:73], v[96:97], v[70:71], -v[72:73]
	v_mul_f64 v[96:97], v[96:97], v[94:95]
	v_add_f64 v[62:63], v[62:63], -v[72:73]
	v_fma_f64 v[96:97], v[98:99], v[70:71], v[96:97]
	v_add_f64 v[64:65], v[64:65], -v[96:97]
	ds_read2_b64 v[96:99], v194 offset0:12 offset1:13
	;; [unrolled: 8-line block ×14, first 2 shown]
	s_waitcnt lgkmcnt(0)
	v_mul_f64 v[72:73], v[98:99], v[94:95]
	v_fma_f64 v[72:73], v[96:97], v[70:71], -v[72:73]
	v_mul_f64 v[96:97], v[96:97], v[94:95]
	v_add_f64 v[10:11], v[10:11], -v[72:73]
	v_fma_f64 v[96:97], v[98:99], v[70:71], v[96:97]
	v_mov_b32_e32 v72, v94
	v_mov_b32_e32 v73, v95
	v_add_f64 v[12:13], v[12:13], -v[96:97]
.LBB37_37:
	s_or_b32 exec_lo, exec_lo, s1
	s_mov_b32 s2, exec_lo
	s_waitcnt lgkmcnt(0)
	s_barrier
	buffer_gl0_inv
	v_cmpx_eq_u32_e32 4, v0
	s_cbranch_execz .LBB37_44
; %bb.38:
	ds_write2_b64 v1, v[66:67], v[68:69] offset1:1
	ds_write2_b64 v194, v[62:63], v[64:65] offset0:10 offset1:11
	ds_write2_b64 v194, v[58:59], v[60:61] offset0:12 offset1:13
	;; [unrolled: 1-line block ×14, first 2 shown]
	ds_read2_b64 v[94:97], v1 offset1:1
	s_waitcnt lgkmcnt(0)
	v_cmp_neq_f64_e32 vcc_lo, 0, v[94:95]
	v_cmp_neq_f64_e64 s1, 0, v[96:97]
	s_or_b32 s1, vcc_lo, s1
	s_and_b32 exec_lo, exec_lo, s1
	s_cbranch_execz .LBB37_44
; %bb.39:
	v_cmp_ngt_f64_e64 s1, |v[94:95]|, |v[96:97]|
                                        ; implicit-def: $vgpr98_vgpr99
	s_and_saveexec_b32 s3, s1
	s_xor_b32 s1, exec_lo, s3
                                        ; implicit-def: $vgpr100_vgpr101
	s_cbranch_execz .LBB37_41
; %bb.40:
	v_div_scale_f64 v[98:99], null, v[96:97], v[96:97], v[94:95]
	v_div_scale_f64 v[104:105], vcc_lo, v[94:95], v[96:97], v[94:95]
	v_rcp_f64_e32 v[100:101], v[98:99]
	v_fma_f64 v[102:103], -v[98:99], v[100:101], 1.0
	v_fma_f64 v[100:101], v[100:101], v[102:103], v[100:101]
	v_fma_f64 v[102:103], -v[98:99], v[100:101], 1.0
	v_fma_f64 v[100:101], v[100:101], v[102:103], v[100:101]
	v_mul_f64 v[102:103], v[104:105], v[100:101]
	v_fma_f64 v[98:99], -v[98:99], v[102:103], v[104:105]
	v_div_fmas_f64 v[98:99], v[98:99], v[100:101], v[102:103]
	v_div_fixup_f64 v[98:99], v[98:99], v[96:97], v[94:95]
	v_fma_f64 v[94:95], v[94:95], v[98:99], v[96:97]
	v_div_scale_f64 v[96:97], null, v[94:95], v[94:95], 1.0
	v_rcp_f64_e32 v[100:101], v[96:97]
	v_fma_f64 v[102:103], -v[96:97], v[100:101], 1.0
	v_fma_f64 v[100:101], v[100:101], v[102:103], v[100:101]
	v_fma_f64 v[102:103], -v[96:97], v[100:101], 1.0
	v_fma_f64 v[100:101], v[100:101], v[102:103], v[100:101]
	v_div_scale_f64 v[102:103], vcc_lo, 1.0, v[94:95], 1.0
	v_mul_f64 v[104:105], v[102:103], v[100:101]
	v_fma_f64 v[96:97], -v[96:97], v[104:105], v[102:103]
	v_div_fmas_f64 v[96:97], v[96:97], v[100:101], v[104:105]
	v_div_fixup_f64 v[100:101], v[96:97], v[94:95], 1.0
                                        ; implicit-def: $vgpr94_vgpr95
	v_mul_f64 v[98:99], v[98:99], v[100:101]
	v_xor_b32_e32 v101, 0x80000000, v101
.LBB37_41:
	s_andn2_saveexec_b32 s1, s1
	s_cbranch_execz .LBB37_43
; %bb.42:
	v_div_scale_f64 v[98:99], null, v[94:95], v[94:95], v[96:97]
	v_div_scale_f64 v[104:105], vcc_lo, v[96:97], v[94:95], v[96:97]
	v_rcp_f64_e32 v[100:101], v[98:99]
	v_fma_f64 v[102:103], -v[98:99], v[100:101], 1.0
	v_fma_f64 v[100:101], v[100:101], v[102:103], v[100:101]
	v_fma_f64 v[102:103], -v[98:99], v[100:101], 1.0
	v_fma_f64 v[100:101], v[100:101], v[102:103], v[100:101]
	v_mul_f64 v[102:103], v[104:105], v[100:101]
	v_fma_f64 v[98:99], -v[98:99], v[102:103], v[104:105]
	v_div_fmas_f64 v[98:99], v[98:99], v[100:101], v[102:103]
	v_div_fixup_f64 v[100:101], v[98:99], v[94:95], v[96:97]
	v_fma_f64 v[94:95], v[96:97], v[100:101], v[94:95]
	v_div_scale_f64 v[96:97], null, v[94:95], v[94:95], 1.0
	v_rcp_f64_e32 v[98:99], v[96:97]
	v_fma_f64 v[102:103], -v[96:97], v[98:99], 1.0
	v_fma_f64 v[98:99], v[98:99], v[102:103], v[98:99]
	v_fma_f64 v[102:103], -v[96:97], v[98:99], 1.0
	v_fma_f64 v[98:99], v[98:99], v[102:103], v[98:99]
	v_div_scale_f64 v[102:103], vcc_lo, 1.0, v[94:95], 1.0
	v_mul_f64 v[104:105], v[102:103], v[98:99]
	v_fma_f64 v[96:97], -v[96:97], v[104:105], v[102:103]
	v_div_fmas_f64 v[96:97], v[96:97], v[98:99], v[104:105]
	v_div_fixup_f64 v[98:99], v[96:97], v[94:95], 1.0
	v_mul_f64 v[100:101], v[100:101], -v[98:99]
.LBB37_43:
	s_or_b32 exec_lo, exec_lo, s1
	ds_write2_b64 v1, v[98:99], v[100:101] offset1:1
.LBB37_44:
	s_or_b32 exec_lo, exec_lo, s2
	s_waitcnt lgkmcnt(0)
	s_barrier
	buffer_gl0_inv
	ds_read2_b64 v[94:97], v1 offset1:1
	s_mov_b32 s1, exec_lo
	v_cmpx_lt_u32_e32 4, v0
	s_cbranch_execz .LBB37_46
; %bb.45:
	s_waitcnt lgkmcnt(0)
	v_mul_f64 v[98:99], v[94:95], v[68:69]
	v_mul_f64 v[68:69], v[96:97], v[68:69]
	v_fma_f64 v[195:196], v[96:97], v[66:67], v[98:99]
	ds_read2_b64 v[98:101], v194 offset0:10 offset1:11
	ds_read2_b64 v[102:105], v194 offset0:12 offset1:13
	;; [unrolled: 1-line block ×14, first 2 shown]
	v_fma_f64 v[66:67], v[94:95], v[66:67], -v[68:69]
	s_waitcnt lgkmcnt(13)
	v_mul_f64 v[68:69], v[100:101], v[195:196]
	v_mul_f64 v[197:198], v[98:99], v[195:196]
	s_waitcnt lgkmcnt(12)
	v_mul_f64 v[199:200], v[104:105], v[195:196]
	v_mul_f64 v[201:202], v[102:103], v[195:196]
	;; [unrolled: 3-line block ×14, first 2 shown]
	v_fma_f64 v[68:69], v[98:99], v[66:67], -v[68:69]
	v_fma_f64 v[98:99], v[100:101], v[66:67], v[197:198]
	v_fma_f64 v[100:101], v[102:103], v[66:67], -v[199:200]
	v_fma_f64 v[102:103], v[104:105], v[66:67], v[201:202]
	;; [unrolled: 2-line block ×14, first 2 shown]
	v_add_f64 v[62:63], v[62:63], -v[68:69]
	v_add_f64 v[64:65], v[64:65], -v[98:99]
	;; [unrolled: 1-line block ×28, first 2 shown]
	v_mov_b32_e32 v68, v195
	v_mov_b32_e32 v69, v196
.LBB37_46:
	s_or_b32 exec_lo, exec_lo, s1
	s_mov_b32 s2, exec_lo
	s_waitcnt lgkmcnt(0)
	s_barrier
	buffer_gl0_inv
	v_cmpx_eq_u32_e32 5, v0
	s_cbranch_execz .LBB37_53
; %bb.47:
	ds_write2_b64 v1, v[62:63], v[64:65] offset1:1
	ds_write2_b64 v194, v[58:59], v[60:61] offset0:12 offset1:13
	ds_write2_b64 v194, v[54:55], v[56:57] offset0:14 offset1:15
	;; [unrolled: 1-line block ×13, first 2 shown]
	ds_read2_b64 v[98:101], v1 offset1:1
	s_waitcnt lgkmcnt(0)
	v_cmp_neq_f64_e32 vcc_lo, 0, v[98:99]
	v_cmp_neq_f64_e64 s1, 0, v[100:101]
	s_or_b32 s1, vcc_lo, s1
	s_and_b32 exec_lo, exec_lo, s1
	s_cbranch_execz .LBB37_53
; %bb.48:
	v_cmp_ngt_f64_e64 s1, |v[98:99]|, |v[100:101]|
                                        ; implicit-def: $vgpr102_vgpr103
	s_and_saveexec_b32 s3, s1
	s_xor_b32 s1, exec_lo, s3
                                        ; implicit-def: $vgpr104_vgpr105
	s_cbranch_execz .LBB37_50
; %bb.49:
	v_div_scale_f64 v[102:103], null, v[100:101], v[100:101], v[98:99]
	v_div_scale_f64 v[108:109], vcc_lo, v[98:99], v[100:101], v[98:99]
	v_rcp_f64_e32 v[104:105], v[102:103]
	v_fma_f64 v[106:107], -v[102:103], v[104:105], 1.0
	v_fma_f64 v[104:105], v[104:105], v[106:107], v[104:105]
	v_fma_f64 v[106:107], -v[102:103], v[104:105], 1.0
	v_fma_f64 v[104:105], v[104:105], v[106:107], v[104:105]
	v_mul_f64 v[106:107], v[108:109], v[104:105]
	v_fma_f64 v[102:103], -v[102:103], v[106:107], v[108:109]
	v_div_fmas_f64 v[102:103], v[102:103], v[104:105], v[106:107]
	v_div_fixup_f64 v[102:103], v[102:103], v[100:101], v[98:99]
	v_fma_f64 v[98:99], v[98:99], v[102:103], v[100:101]
	v_div_scale_f64 v[100:101], null, v[98:99], v[98:99], 1.0
	v_rcp_f64_e32 v[104:105], v[100:101]
	v_fma_f64 v[106:107], -v[100:101], v[104:105], 1.0
	v_fma_f64 v[104:105], v[104:105], v[106:107], v[104:105]
	v_fma_f64 v[106:107], -v[100:101], v[104:105], 1.0
	v_fma_f64 v[104:105], v[104:105], v[106:107], v[104:105]
	v_div_scale_f64 v[106:107], vcc_lo, 1.0, v[98:99], 1.0
	v_mul_f64 v[108:109], v[106:107], v[104:105]
	v_fma_f64 v[100:101], -v[100:101], v[108:109], v[106:107]
	v_div_fmas_f64 v[100:101], v[100:101], v[104:105], v[108:109]
	v_div_fixup_f64 v[104:105], v[100:101], v[98:99], 1.0
                                        ; implicit-def: $vgpr98_vgpr99
	v_mul_f64 v[102:103], v[102:103], v[104:105]
	v_xor_b32_e32 v105, 0x80000000, v105
.LBB37_50:
	s_andn2_saveexec_b32 s1, s1
	s_cbranch_execz .LBB37_52
; %bb.51:
	v_div_scale_f64 v[102:103], null, v[98:99], v[98:99], v[100:101]
	v_div_scale_f64 v[108:109], vcc_lo, v[100:101], v[98:99], v[100:101]
	v_rcp_f64_e32 v[104:105], v[102:103]
	v_fma_f64 v[106:107], -v[102:103], v[104:105], 1.0
	v_fma_f64 v[104:105], v[104:105], v[106:107], v[104:105]
	v_fma_f64 v[106:107], -v[102:103], v[104:105], 1.0
	v_fma_f64 v[104:105], v[104:105], v[106:107], v[104:105]
	v_mul_f64 v[106:107], v[108:109], v[104:105]
	v_fma_f64 v[102:103], -v[102:103], v[106:107], v[108:109]
	v_div_fmas_f64 v[102:103], v[102:103], v[104:105], v[106:107]
	v_div_fixup_f64 v[104:105], v[102:103], v[98:99], v[100:101]
	v_fma_f64 v[98:99], v[100:101], v[104:105], v[98:99]
	v_div_scale_f64 v[100:101], null, v[98:99], v[98:99], 1.0
	v_rcp_f64_e32 v[102:103], v[100:101]
	v_fma_f64 v[106:107], -v[100:101], v[102:103], 1.0
	v_fma_f64 v[102:103], v[102:103], v[106:107], v[102:103]
	v_fma_f64 v[106:107], -v[100:101], v[102:103], 1.0
	v_fma_f64 v[102:103], v[102:103], v[106:107], v[102:103]
	v_div_scale_f64 v[106:107], vcc_lo, 1.0, v[98:99], 1.0
	v_mul_f64 v[108:109], v[106:107], v[102:103]
	v_fma_f64 v[100:101], -v[100:101], v[108:109], v[106:107]
	v_div_fmas_f64 v[100:101], v[100:101], v[102:103], v[108:109]
	v_div_fixup_f64 v[102:103], v[100:101], v[98:99], 1.0
	v_mul_f64 v[104:105], v[104:105], -v[102:103]
.LBB37_52:
	s_or_b32 exec_lo, exec_lo, s1
	ds_write2_b64 v1, v[102:103], v[104:105] offset1:1
.LBB37_53:
	s_or_b32 exec_lo, exec_lo, s2
	s_waitcnt lgkmcnt(0)
	s_barrier
	buffer_gl0_inv
	ds_read2_b64 v[98:101], v1 offset1:1
	s_mov_b32 s1, exec_lo
	v_cmpx_lt_u32_e32 5, v0
	s_cbranch_execz .LBB37_55
; %bb.54:
	s_waitcnt lgkmcnt(0)
	v_mul_f64 v[102:103], v[98:99], v[64:65]
	v_mul_f64 v[64:65], v[100:101], v[64:65]
	v_fma_f64 v[195:196], v[100:101], v[62:63], v[102:103]
	ds_read2_b64 v[102:105], v194 offset0:12 offset1:13
	ds_read2_b64 v[106:109], v194 offset0:14 offset1:15
	;; [unrolled: 1-line block ×13, first 2 shown]
	v_fma_f64 v[62:63], v[98:99], v[62:63], -v[64:65]
	s_waitcnt lgkmcnt(12)
	v_mul_f64 v[64:65], v[104:105], v[195:196]
	v_mul_f64 v[197:198], v[102:103], v[195:196]
	s_waitcnt lgkmcnt(11)
	v_mul_f64 v[199:200], v[108:109], v[195:196]
	v_mul_f64 v[201:202], v[106:107], v[195:196]
	;; [unrolled: 3-line block ×13, first 2 shown]
	v_fma_f64 v[64:65], v[102:103], v[62:63], -v[64:65]
	v_fma_f64 v[102:103], v[104:105], v[62:63], v[197:198]
	v_fma_f64 v[104:105], v[106:107], v[62:63], -v[199:200]
	v_fma_f64 v[106:107], v[108:109], v[62:63], v[201:202]
	v_fma_f64 v[108:109], v[110:111], v[62:63], -v[203:204]
	v_fma_f64 v[110:111], v[112:113], v[62:63], v[205:206]
	v_fma_f64 v[112:113], v[114:115], v[62:63], -v[207:208]
	v_fma_f64 v[114:115], v[116:117], v[62:63], v[209:210]
	v_fma_f64 v[116:117], v[118:119], v[62:63], -v[211:212]
	v_fma_f64 v[118:119], v[120:121], v[62:63], v[213:214]
	v_fma_f64 v[120:121], v[122:123], v[62:63], -v[215:216]
	v_fma_f64 v[122:123], v[124:125], v[62:63], v[217:218]
	v_fma_f64 v[124:125], v[126:127], v[62:63], -v[219:220]
	v_fma_f64 v[126:127], v[128:129], v[62:63], v[221:222]
	v_fma_f64 v[128:129], v[130:131], v[62:63], -v[223:224]
	v_fma_f64 v[130:131], v[132:133], v[62:63], v[225:226]
	v_fma_f64 v[132:133], v[134:135], v[62:63], -v[227:228]
	v_fma_f64 v[134:135], v[136:137], v[62:63], v[229:230]
	v_fma_f64 v[136:137], v[138:139], v[62:63], -v[231:232]
	v_fma_f64 v[138:139], v[140:141], v[62:63], v[233:234]
	v_fma_f64 v[140:141], v[142:143], v[62:63], -v[235:236]
	v_fma_f64 v[142:143], v[144:145], v[62:63], v[237:238]
	v_fma_f64 v[144:145], v[146:147], v[62:63], -v[239:240]
	v_fma_f64 v[146:147], v[148:149], v[62:63], v[241:242]
	v_fma_f64 v[148:149], v[150:151], v[62:63], -v[243:244]
	v_fma_f64 v[150:151], v[152:153], v[62:63], v[245:246]
	v_add_f64 v[58:59], v[58:59], -v[64:65]
	v_add_f64 v[60:61], v[60:61], -v[102:103]
	;; [unrolled: 1-line block ×26, first 2 shown]
	v_mov_b32_e32 v64, v195
	v_mov_b32_e32 v65, v196
.LBB37_55:
	s_or_b32 exec_lo, exec_lo, s1
	s_mov_b32 s2, exec_lo
	s_waitcnt lgkmcnt(0)
	s_barrier
	buffer_gl0_inv
	v_cmpx_eq_u32_e32 6, v0
	s_cbranch_execz .LBB37_62
; %bb.56:
	ds_write2_b64 v1, v[58:59], v[60:61] offset1:1
	ds_write2_b64 v194, v[54:55], v[56:57] offset0:14 offset1:15
	ds_write2_b64 v194, v[50:51], v[52:53] offset0:16 offset1:17
	;; [unrolled: 1-line block ×12, first 2 shown]
	ds_read2_b64 v[102:105], v1 offset1:1
	s_waitcnt lgkmcnt(0)
	v_cmp_neq_f64_e32 vcc_lo, 0, v[102:103]
	v_cmp_neq_f64_e64 s1, 0, v[104:105]
	s_or_b32 s1, vcc_lo, s1
	s_and_b32 exec_lo, exec_lo, s1
	s_cbranch_execz .LBB37_62
; %bb.57:
	v_cmp_ngt_f64_e64 s1, |v[102:103]|, |v[104:105]|
                                        ; implicit-def: $vgpr106_vgpr107
	s_and_saveexec_b32 s3, s1
	s_xor_b32 s1, exec_lo, s3
                                        ; implicit-def: $vgpr108_vgpr109
	s_cbranch_execz .LBB37_59
; %bb.58:
	v_div_scale_f64 v[106:107], null, v[104:105], v[104:105], v[102:103]
	v_div_scale_f64 v[112:113], vcc_lo, v[102:103], v[104:105], v[102:103]
	v_rcp_f64_e32 v[108:109], v[106:107]
	v_fma_f64 v[110:111], -v[106:107], v[108:109], 1.0
	v_fma_f64 v[108:109], v[108:109], v[110:111], v[108:109]
	v_fma_f64 v[110:111], -v[106:107], v[108:109], 1.0
	v_fma_f64 v[108:109], v[108:109], v[110:111], v[108:109]
	v_mul_f64 v[110:111], v[112:113], v[108:109]
	v_fma_f64 v[106:107], -v[106:107], v[110:111], v[112:113]
	v_div_fmas_f64 v[106:107], v[106:107], v[108:109], v[110:111]
	v_div_fixup_f64 v[106:107], v[106:107], v[104:105], v[102:103]
	v_fma_f64 v[102:103], v[102:103], v[106:107], v[104:105]
	v_div_scale_f64 v[104:105], null, v[102:103], v[102:103], 1.0
	v_rcp_f64_e32 v[108:109], v[104:105]
	v_fma_f64 v[110:111], -v[104:105], v[108:109], 1.0
	v_fma_f64 v[108:109], v[108:109], v[110:111], v[108:109]
	v_fma_f64 v[110:111], -v[104:105], v[108:109], 1.0
	v_fma_f64 v[108:109], v[108:109], v[110:111], v[108:109]
	v_div_scale_f64 v[110:111], vcc_lo, 1.0, v[102:103], 1.0
	v_mul_f64 v[112:113], v[110:111], v[108:109]
	v_fma_f64 v[104:105], -v[104:105], v[112:113], v[110:111]
	v_div_fmas_f64 v[104:105], v[104:105], v[108:109], v[112:113]
	v_div_fixup_f64 v[108:109], v[104:105], v[102:103], 1.0
                                        ; implicit-def: $vgpr102_vgpr103
	v_mul_f64 v[106:107], v[106:107], v[108:109]
	v_xor_b32_e32 v109, 0x80000000, v109
.LBB37_59:
	s_andn2_saveexec_b32 s1, s1
	s_cbranch_execz .LBB37_61
; %bb.60:
	v_div_scale_f64 v[106:107], null, v[102:103], v[102:103], v[104:105]
	v_div_scale_f64 v[112:113], vcc_lo, v[104:105], v[102:103], v[104:105]
	v_rcp_f64_e32 v[108:109], v[106:107]
	v_fma_f64 v[110:111], -v[106:107], v[108:109], 1.0
	v_fma_f64 v[108:109], v[108:109], v[110:111], v[108:109]
	v_fma_f64 v[110:111], -v[106:107], v[108:109], 1.0
	v_fma_f64 v[108:109], v[108:109], v[110:111], v[108:109]
	v_mul_f64 v[110:111], v[112:113], v[108:109]
	v_fma_f64 v[106:107], -v[106:107], v[110:111], v[112:113]
	v_div_fmas_f64 v[106:107], v[106:107], v[108:109], v[110:111]
	v_div_fixup_f64 v[108:109], v[106:107], v[102:103], v[104:105]
	v_fma_f64 v[102:103], v[104:105], v[108:109], v[102:103]
	v_div_scale_f64 v[104:105], null, v[102:103], v[102:103], 1.0
	v_rcp_f64_e32 v[106:107], v[104:105]
	v_fma_f64 v[110:111], -v[104:105], v[106:107], 1.0
	v_fma_f64 v[106:107], v[106:107], v[110:111], v[106:107]
	v_fma_f64 v[110:111], -v[104:105], v[106:107], 1.0
	v_fma_f64 v[106:107], v[106:107], v[110:111], v[106:107]
	v_div_scale_f64 v[110:111], vcc_lo, 1.0, v[102:103], 1.0
	v_mul_f64 v[112:113], v[110:111], v[106:107]
	v_fma_f64 v[104:105], -v[104:105], v[112:113], v[110:111]
	v_div_fmas_f64 v[104:105], v[104:105], v[106:107], v[112:113]
	v_div_fixup_f64 v[106:107], v[104:105], v[102:103], 1.0
	v_mul_f64 v[108:109], v[108:109], -v[106:107]
.LBB37_61:
	s_or_b32 exec_lo, exec_lo, s1
	ds_write2_b64 v1, v[106:107], v[108:109] offset1:1
.LBB37_62:
	s_or_b32 exec_lo, exec_lo, s2
	s_waitcnt lgkmcnt(0)
	s_barrier
	buffer_gl0_inv
	ds_read2_b64 v[102:105], v1 offset1:1
	s_mov_b32 s1, exec_lo
	v_cmpx_lt_u32_e32 6, v0
	s_cbranch_execz .LBB37_64
; %bb.63:
	s_waitcnt lgkmcnt(0)
	v_mul_f64 v[106:107], v[102:103], v[60:61]
	v_mul_f64 v[60:61], v[104:105], v[60:61]
	v_fma_f64 v[195:196], v[104:105], v[58:59], v[106:107]
	ds_read2_b64 v[106:109], v194 offset0:14 offset1:15
	ds_read2_b64 v[110:113], v194 offset0:16 offset1:17
	;; [unrolled: 1-line block ×12, first 2 shown]
	v_fma_f64 v[58:59], v[102:103], v[58:59], -v[60:61]
	s_waitcnt lgkmcnt(11)
	v_mul_f64 v[60:61], v[108:109], v[195:196]
	v_mul_f64 v[197:198], v[106:107], v[195:196]
	s_waitcnt lgkmcnt(10)
	v_mul_f64 v[199:200], v[112:113], v[195:196]
	v_mul_f64 v[201:202], v[110:111], v[195:196]
	;; [unrolled: 3-line block ×12, first 2 shown]
	v_fma_f64 v[60:61], v[106:107], v[58:59], -v[60:61]
	v_fma_f64 v[106:107], v[108:109], v[58:59], v[197:198]
	v_fma_f64 v[108:109], v[110:111], v[58:59], -v[199:200]
	v_fma_f64 v[110:111], v[112:113], v[58:59], v[201:202]
	;; [unrolled: 2-line block ×12, first 2 shown]
	v_add_f64 v[54:55], v[54:55], -v[60:61]
	v_add_f64 v[56:57], v[56:57], -v[106:107]
	;; [unrolled: 1-line block ×24, first 2 shown]
	v_mov_b32_e32 v60, v195
	v_mov_b32_e32 v61, v196
.LBB37_64:
	s_or_b32 exec_lo, exec_lo, s1
	s_mov_b32 s2, exec_lo
	s_waitcnt lgkmcnt(0)
	s_barrier
	buffer_gl0_inv
	v_cmpx_eq_u32_e32 7, v0
	s_cbranch_execz .LBB37_71
; %bb.65:
	ds_write2_b64 v1, v[54:55], v[56:57] offset1:1
	ds_write2_b64 v194, v[50:51], v[52:53] offset0:16 offset1:17
	ds_write2_b64 v194, v[46:47], v[48:49] offset0:18 offset1:19
	;; [unrolled: 1-line block ×11, first 2 shown]
	ds_read2_b64 v[106:109], v1 offset1:1
	s_waitcnt lgkmcnt(0)
	v_cmp_neq_f64_e32 vcc_lo, 0, v[106:107]
	v_cmp_neq_f64_e64 s1, 0, v[108:109]
	s_or_b32 s1, vcc_lo, s1
	s_and_b32 exec_lo, exec_lo, s1
	s_cbranch_execz .LBB37_71
; %bb.66:
	v_cmp_ngt_f64_e64 s1, |v[106:107]|, |v[108:109]|
                                        ; implicit-def: $vgpr110_vgpr111
	s_and_saveexec_b32 s3, s1
	s_xor_b32 s1, exec_lo, s3
                                        ; implicit-def: $vgpr112_vgpr113
	s_cbranch_execz .LBB37_68
; %bb.67:
	v_div_scale_f64 v[110:111], null, v[108:109], v[108:109], v[106:107]
	v_div_scale_f64 v[116:117], vcc_lo, v[106:107], v[108:109], v[106:107]
	v_rcp_f64_e32 v[112:113], v[110:111]
	v_fma_f64 v[114:115], -v[110:111], v[112:113], 1.0
	v_fma_f64 v[112:113], v[112:113], v[114:115], v[112:113]
	v_fma_f64 v[114:115], -v[110:111], v[112:113], 1.0
	v_fma_f64 v[112:113], v[112:113], v[114:115], v[112:113]
	v_mul_f64 v[114:115], v[116:117], v[112:113]
	v_fma_f64 v[110:111], -v[110:111], v[114:115], v[116:117]
	v_div_fmas_f64 v[110:111], v[110:111], v[112:113], v[114:115]
	v_div_fixup_f64 v[110:111], v[110:111], v[108:109], v[106:107]
	v_fma_f64 v[106:107], v[106:107], v[110:111], v[108:109]
	v_div_scale_f64 v[108:109], null, v[106:107], v[106:107], 1.0
	v_rcp_f64_e32 v[112:113], v[108:109]
	v_fma_f64 v[114:115], -v[108:109], v[112:113], 1.0
	v_fma_f64 v[112:113], v[112:113], v[114:115], v[112:113]
	v_fma_f64 v[114:115], -v[108:109], v[112:113], 1.0
	v_fma_f64 v[112:113], v[112:113], v[114:115], v[112:113]
	v_div_scale_f64 v[114:115], vcc_lo, 1.0, v[106:107], 1.0
	v_mul_f64 v[116:117], v[114:115], v[112:113]
	v_fma_f64 v[108:109], -v[108:109], v[116:117], v[114:115]
	v_div_fmas_f64 v[108:109], v[108:109], v[112:113], v[116:117]
	v_div_fixup_f64 v[112:113], v[108:109], v[106:107], 1.0
                                        ; implicit-def: $vgpr106_vgpr107
	v_mul_f64 v[110:111], v[110:111], v[112:113]
	v_xor_b32_e32 v113, 0x80000000, v113
.LBB37_68:
	s_andn2_saveexec_b32 s1, s1
	s_cbranch_execz .LBB37_70
; %bb.69:
	v_div_scale_f64 v[110:111], null, v[106:107], v[106:107], v[108:109]
	v_div_scale_f64 v[116:117], vcc_lo, v[108:109], v[106:107], v[108:109]
	v_rcp_f64_e32 v[112:113], v[110:111]
	v_fma_f64 v[114:115], -v[110:111], v[112:113], 1.0
	v_fma_f64 v[112:113], v[112:113], v[114:115], v[112:113]
	v_fma_f64 v[114:115], -v[110:111], v[112:113], 1.0
	v_fma_f64 v[112:113], v[112:113], v[114:115], v[112:113]
	v_mul_f64 v[114:115], v[116:117], v[112:113]
	v_fma_f64 v[110:111], -v[110:111], v[114:115], v[116:117]
	v_div_fmas_f64 v[110:111], v[110:111], v[112:113], v[114:115]
	v_div_fixup_f64 v[112:113], v[110:111], v[106:107], v[108:109]
	v_fma_f64 v[106:107], v[108:109], v[112:113], v[106:107]
	v_div_scale_f64 v[108:109], null, v[106:107], v[106:107], 1.0
	v_rcp_f64_e32 v[110:111], v[108:109]
	v_fma_f64 v[114:115], -v[108:109], v[110:111], 1.0
	v_fma_f64 v[110:111], v[110:111], v[114:115], v[110:111]
	v_fma_f64 v[114:115], -v[108:109], v[110:111], 1.0
	v_fma_f64 v[110:111], v[110:111], v[114:115], v[110:111]
	v_div_scale_f64 v[114:115], vcc_lo, 1.0, v[106:107], 1.0
	v_mul_f64 v[116:117], v[114:115], v[110:111]
	v_fma_f64 v[108:109], -v[108:109], v[116:117], v[114:115]
	v_div_fmas_f64 v[108:109], v[108:109], v[110:111], v[116:117]
	v_div_fixup_f64 v[110:111], v[108:109], v[106:107], 1.0
	v_mul_f64 v[112:113], v[112:113], -v[110:111]
.LBB37_70:
	s_or_b32 exec_lo, exec_lo, s1
	ds_write2_b64 v1, v[110:111], v[112:113] offset1:1
.LBB37_71:
	s_or_b32 exec_lo, exec_lo, s2
	s_waitcnt lgkmcnt(0)
	s_barrier
	buffer_gl0_inv
	ds_read2_b64 v[106:109], v1 offset1:1
	s_mov_b32 s1, exec_lo
	v_cmpx_lt_u32_e32 7, v0
	s_cbranch_execz .LBB37_73
; %bb.72:
	s_waitcnt lgkmcnt(0)
	v_mul_f64 v[110:111], v[106:107], v[56:57]
	v_mul_f64 v[56:57], v[108:109], v[56:57]
	v_fma_f64 v[195:196], v[108:109], v[54:55], v[110:111]
	ds_read2_b64 v[110:113], v194 offset0:16 offset1:17
	ds_read2_b64 v[114:117], v194 offset0:18 offset1:19
	;; [unrolled: 1-line block ×11, first 2 shown]
	v_fma_f64 v[54:55], v[106:107], v[54:55], -v[56:57]
	s_waitcnt lgkmcnt(10)
	v_mul_f64 v[56:57], v[112:113], v[195:196]
	v_mul_f64 v[197:198], v[110:111], v[195:196]
	s_waitcnt lgkmcnt(9)
	v_mul_f64 v[199:200], v[116:117], v[195:196]
	v_mul_f64 v[201:202], v[114:115], v[195:196]
	s_waitcnt lgkmcnt(8)
	v_mul_f64 v[203:204], v[120:121], v[195:196]
	v_mul_f64 v[205:206], v[118:119], v[195:196]
	s_waitcnt lgkmcnt(7)
	v_mul_f64 v[207:208], v[124:125], v[195:196]
	v_mul_f64 v[209:210], v[122:123], v[195:196]
	s_waitcnt lgkmcnt(6)
	v_mul_f64 v[211:212], v[128:129], v[195:196]
	v_mul_f64 v[213:214], v[126:127], v[195:196]
	s_waitcnt lgkmcnt(5)
	v_mul_f64 v[215:216], v[132:133], v[195:196]
	v_mul_f64 v[217:218], v[130:131], v[195:196]
	s_waitcnt lgkmcnt(4)
	v_mul_f64 v[219:220], v[136:137], v[195:196]
	v_mul_f64 v[221:222], v[134:135], v[195:196]
	s_waitcnt lgkmcnt(3)
	v_mul_f64 v[223:224], v[140:141], v[195:196]
	v_mul_f64 v[225:226], v[138:139], v[195:196]
	s_waitcnt lgkmcnt(2)
	v_mul_f64 v[227:228], v[144:145], v[195:196]
	v_mul_f64 v[229:230], v[142:143], v[195:196]
	s_waitcnt lgkmcnt(1)
	v_mul_f64 v[231:232], v[148:149], v[195:196]
	v_mul_f64 v[233:234], v[146:147], v[195:196]
	s_waitcnt lgkmcnt(0)
	v_mul_f64 v[235:236], v[152:153], v[195:196]
	v_mul_f64 v[237:238], v[150:151], v[195:196]
	v_fma_f64 v[56:57], v[110:111], v[54:55], -v[56:57]
	v_fma_f64 v[110:111], v[112:113], v[54:55], v[197:198]
	v_fma_f64 v[112:113], v[114:115], v[54:55], -v[199:200]
	v_fma_f64 v[114:115], v[116:117], v[54:55], v[201:202]
	;; [unrolled: 2-line block ×11, first 2 shown]
	v_add_f64 v[50:51], v[50:51], -v[56:57]
	v_add_f64 v[52:53], v[52:53], -v[110:111]
	;; [unrolled: 1-line block ×22, first 2 shown]
	v_mov_b32_e32 v56, v195
	v_mov_b32_e32 v57, v196
.LBB37_73:
	s_or_b32 exec_lo, exec_lo, s1
	s_mov_b32 s2, exec_lo
	s_waitcnt lgkmcnt(0)
	s_barrier
	buffer_gl0_inv
	v_cmpx_eq_u32_e32 8, v0
	s_cbranch_execz .LBB37_80
; %bb.74:
	ds_write2_b64 v1, v[50:51], v[52:53] offset1:1
	ds_write2_b64 v194, v[46:47], v[48:49] offset0:18 offset1:19
	ds_write2_b64 v194, v[42:43], v[44:45] offset0:20 offset1:21
	ds_write2_b64 v194, v[38:39], v[40:41] offset0:22 offset1:23
	ds_write2_b64 v194, v[34:35], v[36:37] offset0:24 offset1:25
	ds_write2_b64 v194, v[30:31], v[32:33] offset0:26 offset1:27
	ds_write2_b64 v194, v[26:27], v[28:29] offset0:28 offset1:29
	ds_write2_b64 v194, v[22:23], v[24:25] offset0:30 offset1:31
	ds_write2_b64 v194, v[18:19], v[20:21] offset0:32 offset1:33
	ds_write2_b64 v194, v[14:15], v[16:17] offset0:34 offset1:35
	ds_write2_b64 v194, v[10:11], v[12:13] offset0:36 offset1:37
	ds_read2_b64 v[110:113], v1 offset1:1
	s_waitcnt lgkmcnt(0)
	v_cmp_neq_f64_e32 vcc_lo, 0, v[110:111]
	v_cmp_neq_f64_e64 s1, 0, v[112:113]
	s_or_b32 s1, vcc_lo, s1
	s_and_b32 exec_lo, exec_lo, s1
	s_cbranch_execz .LBB37_80
; %bb.75:
	v_cmp_ngt_f64_e64 s1, |v[110:111]|, |v[112:113]|
                                        ; implicit-def: $vgpr114_vgpr115
	s_and_saveexec_b32 s3, s1
	s_xor_b32 s1, exec_lo, s3
                                        ; implicit-def: $vgpr116_vgpr117
	s_cbranch_execz .LBB37_77
; %bb.76:
	v_div_scale_f64 v[114:115], null, v[112:113], v[112:113], v[110:111]
	v_div_scale_f64 v[120:121], vcc_lo, v[110:111], v[112:113], v[110:111]
	v_rcp_f64_e32 v[116:117], v[114:115]
	v_fma_f64 v[118:119], -v[114:115], v[116:117], 1.0
	v_fma_f64 v[116:117], v[116:117], v[118:119], v[116:117]
	v_fma_f64 v[118:119], -v[114:115], v[116:117], 1.0
	v_fma_f64 v[116:117], v[116:117], v[118:119], v[116:117]
	v_mul_f64 v[118:119], v[120:121], v[116:117]
	v_fma_f64 v[114:115], -v[114:115], v[118:119], v[120:121]
	v_div_fmas_f64 v[114:115], v[114:115], v[116:117], v[118:119]
	v_div_fixup_f64 v[114:115], v[114:115], v[112:113], v[110:111]
	v_fma_f64 v[110:111], v[110:111], v[114:115], v[112:113]
	v_div_scale_f64 v[112:113], null, v[110:111], v[110:111], 1.0
	v_rcp_f64_e32 v[116:117], v[112:113]
	v_fma_f64 v[118:119], -v[112:113], v[116:117], 1.0
	v_fma_f64 v[116:117], v[116:117], v[118:119], v[116:117]
	v_fma_f64 v[118:119], -v[112:113], v[116:117], 1.0
	v_fma_f64 v[116:117], v[116:117], v[118:119], v[116:117]
	v_div_scale_f64 v[118:119], vcc_lo, 1.0, v[110:111], 1.0
	v_mul_f64 v[120:121], v[118:119], v[116:117]
	v_fma_f64 v[112:113], -v[112:113], v[120:121], v[118:119]
	v_div_fmas_f64 v[112:113], v[112:113], v[116:117], v[120:121]
	v_div_fixup_f64 v[116:117], v[112:113], v[110:111], 1.0
                                        ; implicit-def: $vgpr110_vgpr111
	v_mul_f64 v[114:115], v[114:115], v[116:117]
	v_xor_b32_e32 v117, 0x80000000, v117
.LBB37_77:
	s_andn2_saveexec_b32 s1, s1
	s_cbranch_execz .LBB37_79
; %bb.78:
	v_div_scale_f64 v[114:115], null, v[110:111], v[110:111], v[112:113]
	v_div_scale_f64 v[120:121], vcc_lo, v[112:113], v[110:111], v[112:113]
	v_rcp_f64_e32 v[116:117], v[114:115]
	v_fma_f64 v[118:119], -v[114:115], v[116:117], 1.0
	v_fma_f64 v[116:117], v[116:117], v[118:119], v[116:117]
	v_fma_f64 v[118:119], -v[114:115], v[116:117], 1.0
	v_fma_f64 v[116:117], v[116:117], v[118:119], v[116:117]
	v_mul_f64 v[118:119], v[120:121], v[116:117]
	v_fma_f64 v[114:115], -v[114:115], v[118:119], v[120:121]
	v_div_fmas_f64 v[114:115], v[114:115], v[116:117], v[118:119]
	v_div_fixup_f64 v[116:117], v[114:115], v[110:111], v[112:113]
	v_fma_f64 v[110:111], v[112:113], v[116:117], v[110:111]
	v_div_scale_f64 v[112:113], null, v[110:111], v[110:111], 1.0
	v_rcp_f64_e32 v[114:115], v[112:113]
	v_fma_f64 v[118:119], -v[112:113], v[114:115], 1.0
	v_fma_f64 v[114:115], v[114:115], v[118:119], v[114:115]
	v_fma_f64 v[118:119], -v[112:113], v[114:115], 1.0
	v_fma_f64 v[114:115], v[114:115], v[118:119], v[114:115]
	v_div_scale_f64 v[118:119], vcc_lo, 1.0, v[110:111], 1.0
	v_mul_f64 v[120:121], v[118:119], v[114:115]
	v_fma_f64 v[112:113], -v[112:113], v[120:121], v[118:119]
	v_div_fmas_f64 v[112:113], v[112:113], v[114:115], v[120:121]
	v_div_fixup_f64 v[114:115], v[112:113], v[110:111], 1.0
	v_mul_f64 v[116:117], v[116:117], -v[114:115]
.LBB37_79:
	s_or_b32 exec_lo, exec_lo, s1
	ds_write2_b64 v1, v[114:115], v[116:117] offset1:1
.LBB37_80:
	s_or_b32 exec_lo, exec_lo, s2
	s_waitcnt lgkmcnt(0)
	s_barrier
	buffer_gl0_inv
	ds_read2_b64 v[110:113], v1 offset1:1
	s_mov_b32 s1, exec_lo
	v_cmpx_lt_u32_e32 8, v0
	s_cbranch_execz .LBB37_82
; %bb.81:
	s_waitcnt lgkmcnt(0)
	v_mul_f64 v[114:115], v[110:111], v[52:53]
	v_mul_f64 v[52:53], v[112:113], v[52:53]
	v_fma_f64 v[195:196], v[112:113], v[50:51], v[114:115]
	ds_read2_b64 v[114:117], v194 offset0:18 offset1:19
	ds_read2_b64 v[118:121], v194 offset0:20 offset1:21
	;; [unrolled: 1-line block ×10, first 2 shown]
	v_fma_f64 v[50:51], v[110:111], v[50:51], -v[52:53]
	s_waitcnt lgkmcnt(9)
	v_mul_f64 v[52:53], v[116:117], v[195:196]
	v_mul_f64 v[197:198], v[114:115], v[195:196]
	s_waitcnt lgkmcnt(8)
	v_mul_f64 v[199:200], v[120:121], v[195:196]
	v_mul_f64 v[201:202], v[118:119], v[195:196]
	;; [unrolled: 3-line block ×10, first 2 shown]
	v_fma_f64 v[52:53], v[114:115], v[50:51], -v[52:53]
	v_fma_f64 v[114:115], v[116:117], v[50:51], v[197:198]
	v_fma_f64 v[116:117], v[118:119], v[50:51], -v[199:200]
	v_fma_f64 v[118:119], v[120:121], v[50:51], v[201:202]
	;; [unrolled: 2-line block ×10, first 2 shown]
	v_add_f64 v[46:47], v[46:47], -v[52:53]
	v_add_f64 v[48:49], v[48:49], -v[114:115]
	;; [unrolled: 1-line block ×20, first 2 shown]
	v_mov_b32_e32 v52, v195
	v_mov_b32_e32 v53, v196
.LBB37_82:
	s_or_b32 exec_lo, exec_lo, s1
	s_mov_b32 s2, exec_lo
	s_waitcnt lgkmcnt(0)
	s_barrier
	buffer_gl0_inv
	v_cmpx_eq_u32_e32 9, v0
	s_cbranch_execz .LBB37_89
; %bb.83:
	ds_write2_b64 v1, v[46:47], v[48:49] offset1:1
	ds_write2_b64 v194, v[42:43], v[44:45] offset0:20 offset1:21
	ds_write2_b64 v194, v[38:39], v[40:41] offset0:22 offset1:23
	;; [unrolled: 1-line block ×9, first 2 shown]
	ds_read2_b64 v[114:117], v1 offset1:1
	s_waitcnt lgkmcnt(0)
	v_cmp_neq_f64_e32 vcc_lo, 0, v[114:115]
	v_cmp_neq_f64_e64 s1, 0, v[116:117]
	s_or_b32 s1, vcc_lo, s1
	s_and_b32 exec_lo, exec_lo, s1
	s_cbranch_execz .LBB37_89
; %bb.84:
	v_cmp_ngt_f64_e64 s1, |v[114:115]|, |v[116:117]|
                                        ; implicit-def: $vgpr118_vgpr119
	s_and_saveexec_b32 s3, s1
	s_xor_b32 s1, exec_lo, s3
                                        ; implicit-def: $vgpr120_vgpr121
	s_cbranch_execz .LBB37_86
; %bb.85:
	v_div_scale_f64 v[118:119], null, v[116:117], v[116:117], v[114:115]
	v_div_scale_f64 v[124:125], vcc_lo, v[114:115], v[116:117], v[114:115]
	v_rcp_f64_e32 v[120:121], v[118:119]
	v_fma_f64 v[122:123], -v[118:119], v[120:121], 1.0
	v_fma_f64 v[120:121], v[120:121], v[122:123], v[120:121]
	v_fma_f64 v[122:123], -v[118:119], v[120:121], 1.0
	v_fma_f64 v[120:121], v[120:121], v[122:123], v[120:121]
	v_mul_f64 v[122:123], v[124:125], v[120:121]
	v_fma_f64 v[118:119], -v[118:119], v[122:123], v[124:125]
	v_div_fmas_f64 v[118:119], v[118:119], v[120:121], v[122:123]
	v_div_fixup_f64 v[118:119], v[118:119], v[116:117], v[114:115]
	v_fma_f64 v[114:115], v[114:115], v[118:119], v[116:117]
	v_div_scale_f64 v[116:117], null, v[114:115], v[114:115], 1.0
	v_rcp_f64_e32 v[120:121], v[116:117]
	v_fma_f64 v[122:123], -v[116:117], v[120:121], 1.0
	v_fma_f64 v[120:121], v[120:121], v[122:123], v[120:121]
	v_fma_f64 v[122:123], -v[116:117], v[120:121], 1.0
	v_fma_f64 v[120:121], v[120:121], v[122:123], v[120:121]
	v_div_scale_f64 v[122:123], vcc_lo, 1.0, v[114:115], 1.0
	v_mul_f64 v[124:125], v[122:123], v[120:121]
	v_fma_f64 v[116:117], -v[116:117], v[124:125], v[122:123]
	v_div_fmas_f64 v[116:117], v[116:117], v[120:121], v[124:125]
	v_div_fixup_f64 v[120:121], v[116:117], v[114:115], 1.0
                                        ; implicit-def: $vgpr114_vgpr115
	v_mul_f64 v[118:119], v[118:119], v[120:121]
	v_xor_b32_e32 v121, 0x80000000, v121
.LBB37_86:
	s_andn2_saveexec_b32 s1, s1
	s_cbranch_execz .LBB37_88
; %bb.87:
	v_div_scale_f64 v[118:119], null, v[114:115], v[114:115], v[116:117]
	v_div_scale_f64 v[124:125], vcc_lo, v[116:117], v[114:115], v[116:117]
	v_rcp_f64_e32 v[120:121], v[118:119]
	v_fma_f64 v[122:123], -v[118:119], v[120:121], 1.0
	v_fma_f64 v[120:121], v[120:121], v[122:123], v[120:121]
	v_fma_f64 v[122:123], -v[118:119], v[120:121], 1.0
	v_fma_f64 v[120:121], v[120:121], v[122:123], v[120:121]
	v_mul_f64 v[122:123], v[124:125], v[120:121]
	v_fma_f64 v[118:119], -v[118:119], v[122:123], v[124:125]
	v_div_fmas_f64 v[118:119], v[118:119], v[120:121], v[122:123]
	v_div_fixup_f64 v[120:121], v[118:119], v[114:115], v[116:117]
	v_fma_f64 v[114:115], v[116:117], v[120:121], v[114:115]
	v_div_scale_f64 v[116:117], null, v[114:115], v[114:115], 1.0
	v_rcp_f64_e32 v[118:119], v[116:117]
	v_fma_f64 v[122:123], -v[116:117], v[118:119], 1.0
	v_fma_f64 v[118:119], v[118:119], v[122:123], v[118:119]
	v_fma_f64 v[122:123], -v[116:117], v[118:119], 1.0
	v_fma_f64 v[118:119], v[118:119], v[122:123], v[118:119]
	v_div_scale_f64 v[122:123], vcc_lo, 1.0, v[114:115], 1.0
	v_mul_f64 v[124:125], v[122:123], v[118:119]
	v_fma_f64 v[116:117], -v[116:117], v[124:125], v[122:123]
	v_div_fmas_f64 v[116:117], v[116:117], v[118:119], v[124:125]
	v_div_fixup_f64 v[118:119], v[116:117], v[114:115], 1.0
	v_mul_f64 v[120:121], v[120:121], -v[118:119]
.LBB37_88:
	s_or_b32 exec_lo, exec_lo, s1
	ds_write2_b64 v1, v[118:119], v[120:121] offset1:1
.LBB37_89:
	s_or_b32 exec_lo, exec_lo, s2
	s_waitcnt lgkmcnt(0)
	s_barrier
	buffer_gl0_inv
	ds_read2_b64 v[114:117], v1 offset1:1
	s_mov_b32 s1, exec_lo
	v_cmpx_lt_u32_e32 9, v0
	s_cbranch_execz .LBB37_91
; %bb.90:
	s_waitcnt lgkmcnt(0)
	v_mul_f64 v[118:119], v[114:115], v[48:49]
	v_mul_f64 v[48:49], v[116:117], v[48:49]
	v_fma_f64 v[195:196], v[116:117], v[46:47], v[118:119]
	ds_read2_b64 v[118:121], v194 offset0:20 offset1:21
	ds_read2_b64 v[122:125], v194 offset0:22 offset1:23
	;; [unrolled: 1-line block ×9, first 2 shown]
	v_fma_f64 v[46:47], v[114:115], v[46:47], -v[48:49]
	s_waitcnt lgkmcnt(8)
	v_mul_f64 v[48:49], v[120:121], v[195:196]
	v_mul_f64 v[197:198], v[118:119], v[195:196]
	s_waitcnt lgkmcnt(7)
	v_mul_f64 v[199:200], v[124:125], v[195:196]
	v_mul_f64 v[201:202], v[122:123], v[195:196]
	;; [unrolled: 3-line block ×9, first 2 shown]
	v_fma_f64 v[48:49], v[118:119], v[46:47], -v[48:49]
	v_fma_f64 v[118:119], v[120:121], v[46:47], v[197:198]
	v_fma_f64 v[120:121], v[122:123], v[46:47], -v[199:200]
	v_fma_f64 v[122:123], v[124:125], v[46:47], v[201:202]
	;; [unrolled: 2-line block ×9, first 2 shown]
	v_add_f64 v[42:43], v[42:43], -v[48:49]
	v_add_f64 v[44:45], v[44:45], -v[118:119]
	;; [unrolled: 1-line block ×18, first 2 shown]
	v_mov_b32_e32 v48, v195
	v_mov_b32_e32 v49, v196
.LBB37_91:
	s_or_b32 exec_lo, exec_lo, s1
	s_mov_b32 s2, exec_lo
	s_waitcnt lgkmcnt(0)
	s_barrier
	buffer_gl0_inv
	v_cmpx_eq_u32_e32 10, v0
	s_cbranch_execz .LBB37_98
; %bb.92:
	ds_write2_b64 v1, v[42:43], v[44:45] offset1:1
	ds_write2_b64 v194, v[38:39], v[40:41] offset0:22 offset1:23
	ds_write2_b64 v194, v[34:35], v[36:37] offset0:24 offset1:25
	;; [unrolled: 1-line block ×8, first 2 shown]
	ds_read2_b64 v[118:121], v1 offset1:1
	s_waitcnt lgkmcnt(0)
	v_cmp_neq_f64_e32 vcc_lo, 0, v[118:119]
	v_cmp_neq_f64_e64 s1, 0, v[120:121]
	s_or_b32 s1, vcc_lo, s1
	s_and_b32 exec_lo, exec_lo, s1
	s_cbranch_execz .LBB37_98
; %bb.93:
	v_cmp_ngt_f64_e64 s1, |v[118:119]|, |v[120:121]|
                                        ; implicit-def: $vgpr122_vgpr123
	s_and_saveexec_b32 s3, s1
	s_xor_b32 s1, exec_lo, s3
                                        ; implicit-def: $vgpr124_vgpr125
	s_cbranch_execz .LBB37_95
; %bb.94:
	v_div_scale_f64 v[122:123], null, v[120:121], v[120:121], v[118:119]
	v_div_scale_f64 v[128:129], vcc_lo, v[118:119], v[120:121], v[118:119]
	v_rcp_f64_e32 v[124:125], v[122:123]
	v_fma_f64 v[126:127], -v[122:123], v[124:125], 1.0
	v_fma_f64 v[124:125], v[124:125], v[126:127], v[124:125]
	v_fma_f64 v[126:127], -v[122:123], v[124:125], 1.0
	v_fma_f64 v[124:125], v[124:125], v[126:127], v[124:125]
	v_mul_f64 v[126:127], v[128:129], v[124:125]
	v_fma_f64 v[122:123], -v[122:123], v[126:127], v[128:129]
	v_div_fmas_f64 v[122:123], v[122:123], v[124:125], v[126:127]
	v_div_fixup_f64 v[122:123], v[122:123], v[120:121], v[118:119]
	v_fma_f64 v[118:119], v[118:119], v[122:123], v[120:121]
	v_div_scale_f64 v[120:121], null, v[118:119], v[118:119], 1.0
	v_rcp_f64_e32 v[124:125], v[120:121]
	v_fma_f64 v[126:127], -v[120:121], v[124:125], 1.0
	v_fma_f64 v[124:125], v[124:125], v[126:127], v[124:125]
	v_fma_f64 v[126:127], -v[120:121], v[124:125], 1.0
	v_fma_f64 v[124:125], v[124:125], v[126:127], v[124:125]
	v_div_scale_f64 v[126:127], vcc_lo, 1.0, v[118:119], 1.0
	v_mul_f64 v[128:129], v[126:127], v[124:125]
	v_fma_f64 v[120:121], -v[120:121], v[128:129], v[126:127]
	v_div_fmas_f64 v[120:121], v[120:121], v[124:125], v[128:129]
	v_div_fixup_f64 v[124:125], v[120:121], v[118:119], 1.0
                                        ; implicit-def: $vgpr118_vgpr119
	v_mul_f64 v[122:123], v[122:123], v[124:125]
	v_xor_b32_e32 v125, 0x80000000, v125
.LBB37_95:
	s_andn2_saveexec_b32 s1, s1
	s_cbranch_execz .LBB37_97
; %bb.96:
	v_div_scale_f64 v[122:123], null, v[118:119], v[118:119], v[120:121]
	v_div_scale_f64 v[128:129], vcc_lo, v[120:121], v[118:119], v[120:121]
	v_rcp_f64_e32 v[124:125], v[122:123]
	v_fma_f64 v[126:127], -v[122:123], v[124:125], 1.0
	v_fma_f64 v[124:125], v[124:125], v[126:127], v[124:125]
	v_fma_f64 v[126:127], -v[122:123], v[124:125], 1.0
	v_fma_f64 v[124:125], v[124:125], v[126:127], v[124:125]
	v_mul_f64 v[126:127], v[128:129], v[124:125]
	v_fma_f64 v[122:123], -v[122:123], v[126:127], v[128:129]
	v_div_fmas_f64 v[122:123], v[122:123], v[124:125], v[126:127]
	v_div_fixup_f64 v[124:125], v[122:123], v[118:119], v[120:121]
	v_fma_f64 v[118:119], v[120:121], v[124:125], v[118:119]
	v_div_scale_f64 v[120:121], null, v[118:119], v[118:119], 1.0
	v_rcp_f64_e32 v[122:123], v[120:121]
	v_fma_f64 v[126:127], -v[120:121], v[122:123], 1.0
	v_fma_f64 v[122:123], v[122:123], v[126:127], v[122:123]
	v_fma_f64 v[126:127], -v[120:121], v[122:123], 1.0
	v_fma_f64 v[122:123], v[122:123], v[126:127], v[122:123]
	v_div_scale_f64 v[126:127], vcc_lo, 1.0, v[118:119], 1.0
	v_mul_f64 v[128:129], v[126:127], v[122:123]
	v_fma_f64 v[120:121], -v[120:121], v[128:129], v[126:127]
	v_div_fmas_f64 v[120:121], v[120:121], v[122:123], v[128:129]
	v_div_fixup_f64 v[122:123], v[120:121], v[118:119], 1.0
	v_mul_f64 v[124:125], v[124:125], -v[122:123]
.LBB37_97:
	s_or_b32 exec_lo, exec_lo, s1
	ds_write2_b64 v1, v[122:123], v[124:125] offset1:1
.LBB37_98:
	s_or_b32 exec_lo, exec_lo, s2
	s_waitcnt lgkmcnt(0)
	s_barrier
	buffer_gl0_inv
	ds_read2_b64 v[118:121], v1 offset1:1
	s_mov_b32 s1, exec_lo
	v_cmpx_lt_u32_e32 10, v0
	s_cbranch_execz .LBB37_100
; %bb.99:
	s_waitcnt lgkmcnt(0)
	v_mul_f64 v[122:123], v[118:119], v[44:45]
	v_mul_f64 v[44:45], v[120:121], v[44:45]
	v_fma_f64 v[195:196], v[120:121], v[42:43], v[122:123]
	ds_read2_b64 v[122:125], v194 offset0:22 offset1:23
	ds_read2_b64 v[126:129], v194 offset0:24 offset1:25
	;; [unrolled: 1-line block ×8, first 2 shown]
	v_fma_f64 v[42:43], v[118:119], v[42:43], -v[44:45]
	s_waitcnt lgkmcnt(7)
	v_mul_f64 v[44:45], v[124:125], v[195:196]
	v_mul_f64 v[197:198], v[122:123], v[195:196]
	s_waitcnt lgkmcnt(6)
	v_mul_f64 v[199:200], v[128:129], v[195:196]
	v_mul_f64 v[201:202], v[126:127], v[195:196]
	;; [unrolled: 3-line block ×8, first 2 shown]
	v_fma_f64 v[44:45], v[122:123], v[42:43], -v[44:45]
	v_fma_f64 v[122:123], v[124:125], v[42:43], v[197:198]
	v_fma_f64 v[124:125], v[126:127], v[42:43], -v[199:200]
	v_fma_f64 v[126:127], v[128:129], v[42:43], v[201:202]
	;; [unrolled: 2-line block ×8, first 2 shown]
	v_add_f64 v[38:39], v[38:39], -v[44:45]
	v_add_f64 v[40:41], v[40:41], -v[122:123]
	;; [unrolled: 1-line block ×16, first 2 shown]
	v_mov_b32_e32 v44, v195
	v_mov_b32_e32 v45, v196
.LBB37_100:
	s_or_b32 exec_lo, exec_lo, s1
	s_mov_b32 s2, exec_lo
	s_waitcnt lgkmcnt(0)
	s_barrier
	buffer_gl0_inv
	v_cmpx_eq_u32_e32 11, v0
	s_cbranch_execz .LBB37_107
; %bb.101:
	ds_write2_b64 v1, v[38:39], v[40:41] offset1:1
	ds_write2_b64 v194, v[34:35], v[36:37] offset0:24 offset1:25
	ds_write2_b64 v194, v[30:31], v[32:33] offset0:26 offset1:27
	;; [unrolled: 1-line block ×7, first 2 shown]
	ds_read2_b64 v[122:125], v1 offset1:1
	s_waitcnt lgkmcnt(0)
	v_cmp_neq_f64_e32 vcc_lo, 0, v[122:123]
	v_cmp_neq_f64_e64 s1, 0, v[124:125]
	s_or_b32 s1, vcc_lo, s1
	s_and_b32 exec_lo, exec_lo, s1
	s_cbranch_execz .LBB37_107
; %bb.102:
	v_cmp_ngt_f64_e64 s1, |v[122:123]|, |v[124:125]|
                                        ; implicit-def: $vgpr126_vgpr127
	s_and_saveexec_b32 s3, s1
	s_xor_b32 s1, exec_lo, s3
                                        ; implicit-def: $vgpr128_vgpr129
	s_cbranch_execz .LBB37_104
; %bb.103:
	v_div_scale_f64 v[126:127], null, v[124:125], v[124:125], v[122:123]
	v_div_scale_f64 v[132:133], vcc_lo, v[122:123], v[124:125], v[122:123]
	v_rcp_f64_e32 v[128:129], v[126:127]
	v_fma_f64 v[130:131], -v[126:127], v[128:129], 1.0
	v_fma_f64 v[128:129], v[128:129], v[130:131], v[128:129]
	v_fma_f64 v[130:131], -v[126:127], v[128:129], 1.0
	v_fma_f64 v[128:129], v[128:129], v[130:131], v[128:129]
	v_mul_f64 v[130:131], v[132:133], v[128:129]
	v_fma_f64 v[126:127], -v[126:127], v[130:131], v[132:133]
	v_div_fmas_f64 v[126:127], v[126:127], v[128:129], v[130:131]
	v_div_fixup_f64 v[126:127], v[126:127], v[124:125], v[122:123]
	v_fma_f64 v[122:123], v[122:123], v[126:127], v[124:125]
	v_div_scale_f64 v[124:125], null, v[122:123], v[122:123], 1.0
	v_rcp_f64_e32 v[128:129], v[124:125]
	v_fma_f64 v[130:131], -v[124:125], v[128:129], 1.0
	v_fma_f64 v[128:129], v[128:129], v[130:131], v[128:129]
	v_fma_f64 v[130:131], -v[124:125], v[128:129], 1.0
	v_fma_f64 v[128:129], v[128:129], v[130:131], v[128:129]
	v_div_scale_f64 v[130:131], vcc_lo, 1.0, v[122:123], 1.0
	v_mul_f64 v[132:133], v[130:131], v[128:129]
	v_fma_f64 v[124:125], -v[124:125], v[132:133], v[130:131]
	v_div_fmas_f64 v[124:125], v[124:125], v[128:129], v[132:133]
	v_div_fixup_f64 v[128:129], v[124:125], v[122:123], 1.0
                                        ; implicit-def: $vgpr122_vgpr123
	v_mul_f64 v[126:127], v[126:127], v[128:129]
	v_xor_b32_e32 v129, 0x80000000, v129
.LBB37_104:
	s_andn2_saveexec_b32 s1, s1
	s_cbranch_execz .LBB37_106
; %bb.105:
	v_div_scale_f64 v[126:127], null, v[122:123], v[122:123], v[124:125]
	v_div_scale_f64 v[132:133], vcc_lo, v[124:125], v[122:123], v[124:125]
	v_rcp_f64_e32 v[128:129], v[126:127]
	v_fma_f64 v[130:131], -v[126:127], v[128:129], 1.0
	v_fma_f64 v[128:129], v[128:129], v[130:131], v[128:129]
	v_fma_f64 v[130:131], -v[126:127], v[128:129], 1.0
	v_fma_f64 v[128:129], v[128:129], v[130:131], v[128:129]
	v_mul_f64 v[130:131], v[132:133], v[128:129]
	v_fma_f64 v[126:127], -v[126:127], v[130:131], v[132:133]
	v_div_fmas_f64 v[126:127], v[126:127], v[128:129], v[130:131]
	v_div_fixup_f64 v[128:129], v[126:127], v[122:123], v[124:125]
	v_fma_f64 v[122:123], v[124:125], v[128:129], v[122:123]
	v_div_scale_f64 v[124:125], null, v[122:123], v[122:123], 1.0
	v_rcp_f64_e32 v[126:127], v[124:125]
	v_fma_f64 v[130:131], -v[124:125], v[126:127], 1.0
	v_fma_f64 v[126:127], v[126:127], v[130:131], v[126:127]
	v_fma_f64 v[130:131], -v[124:125], v[126:127], 1.0
	v_fma_f64 v[126:127], v[126:127], v[130:131], v[126:127]
	v_div_scale_f64 v[130:131], vcc_lo, 1.0, v[122:123], 1.0
	v_mul_f64 v[132:133], v[130:131], v[126:127]
	v_fma_f64 v[124:125], -v[124:125], v[132:133], v[130:131]
	v_div_fmas_f64 v[124:125], v[124:125], v[126:127], v[132:133]
	v_div_fixup_f64 v[126:127], v[124:125], v[122:123], 1.0
	v_mul_f64 v[128:129], v[128:129], -v[126:127]
.LBB37_106:
	s_or_b32 exec_lo, exec_lo, s1
	ds_write2_b64 v1, v[126:127], v[128:129] offset1:1
.LBB37_107:
	s_or_b32 exec_lo, exec_lo, s2
	s_waitcnt lgkmcnt(0)
	s_barrier
	buffer_gl0_inv
	ds_read2_b64 v[122:125], v1 offset1:1
	s_mov_b32 s1, exec_lo
	v_cmpx_lt_u32_e32 11, v0
	s_cbranch_execz .LBB37_109
; %bb.108:
	s_waitcnt lgkmcnt(0)
	v_mul_f64 v[126:127], v[122:123], v[40:41]
	v_mul_f64 v[40:41], v[124:125], v[40:41]
	v_fma_f64 v[195:196], v[124:125], v[38:39], v[126:127]
	ds_read2_b64 v[126:129], v194 offset0:24 offset1:25
	ds_read2_b64 v[130:133], v194 offset0:26 offset1:27
	;; [unrolled: 1-line block ×7, first 2 shown]
	v_fma_f64 v[38:39], v[122:123], v[38:39], -v[40:41]
	s_waitcnt lgkmcnt(6)
	v_mul_f64 v[40:41], v[128:129], v[195:196]
	v_mul_f64 v[197:198], v[126:127], v[195:196]
	s_waitcnt lgkmcnt(5)
	v_mul_f64 v[199:200], v[132:133], v[195:196]
	v_mul_f64 v[201:202], v[130:131], v[195:196]
	;; [unrolled: 3-line block ×7, first 2 shown]
	v_fma_f64 v[40:41], v[126:127], v[38:39], -v[40:41]
	v_fma_f64 v[126:127], v[128:129], v[38:39], v[197:198]
	v_fma_f64 v[128:129], v[130:131], v[38:39], -v[199:200]
	v_fma_f64 v[130:131], v[132:133], v[38:39], v[201:202]
	;; [unrolled: 2-line block ×7, first 2 shown]
	v_add_f64 v[34:35], v[34:35], -v[40:41]
	v_add_f64 v[36:37], v[36:37], -v[126:127]
	;; [unrolled: 1-line block ×14, first 2 shown]
	v_mov_b32_e32 v40, v195
	v_mov_b32_e32 v41, v196
.LBB37_109:
	s_or_b32 exec_lo, exec_lo, s1
	s_mov_b32 s2, exec_lo
	s_waitcnt lgkmcnt(0)
	s_barrier
	buffer_gl0_inv
	v_cmpx_eq_u32_e32 12, v0
	s_cbranch_execz .LBB37_116
; %bb.110:
	ds_write2_b64 v1, v[34:35], v[36:37] offset1:1
	ds_write2_b64 v194, v[30:31], v[32:33] offset0:26 offset1:27
	ds_write2_b64 v194, v[26:27], v[28:29] offset0:28 offset1:29
	;; [unrolled: 1-line block ×6, first 2 shown]
	ds_read2_b64 v[126:129], v1 offset1:1
	s_waitcnt lgkmcnt(0)
	v_cmp_neq_f64_e32 vcc_lo, 0, v[126:127]
	v_cmp_neq_f64_e64 s1, 0, v[128:129]
	s_or_b32 s1, vcc_lo, s1
	s_and_b32 exec_lo, exec_lo, s1
	s_cbranch_execz .LBB37_116
; %bb.111:
	v_cmp_ngt_f64_e64 s1, |v[126:127]|, |v[128:129]|
                                        ; implicit-def: $vgpr130_vgpr131
	s_and_saveexec_b32 s3, s1
	s_xor_b32 s1, exec_lo, s3
                                        ; implicit-def: $vgpr132_vgpr133
	s_cbranch_execz .LBB37_113
; %bb.112:
	v_div_scale_f64 v[130:131], null, v[128:129], v[128:129], v[126:127]
	v_div_scale_f64 v[136:137], vcc_lo, v[126:127], v[128:129], v[126:127]
	v_rcp_f64_e32 v[132:133], v[130:131]
	v_fma_f64 v[134:135], -v[130:131], v[132:133], 1.0
	v_fma_f64 v[132:133], v[132:133], v[134:135], v[132:133]
	v_fma_f64 v[134:135], -v[130:131], v[132:133], 1.0
	v_fma_f64 v[132:133], v[132:133], v[134:135], v[132:133]
	v_mul_f64 v[134:135], v[136:137], v[132:133]
	v_fma_f64 v[130:131], -v[130:131], v[134:135], v[136:137]
	v_div_fmas_f64 v[130:131], v[130:131], v[132:133], v[134:135]
	v_div_fixup_f64 v[130:131], v[130:131], v[128:129], v[126:127]
	v_fma_f64 v[126:127], v[126:127], v[130:131], v[128:129]
	v_div_scale_f64 v[128:129], null, v[126:127], v[126:127], 1.0
	v_rcp_f64_e32 v[132:133], v[128:129]
	v_fma_f64 v[134:135], -v[128:129], v[132:133], 1.0
	v_fma_f64 v[132:133], v[132:133], v[134:135], v[132:133]
	v_fma_f64 v[134:135], -v[128:129], v[132:133], 1.0
	v_fma_f64 v[132:133], v[132:133], v[134:135], v[132:133]
	v_div_scale_f64 v[134:135], vcc_lo, 1.0, v[126:127], 1.0
	v_mul_f64 v[136:137], v[134:135], v[132:133]
	v_fma_f64 v[128:129], -v[128:129], v[136:137], v[134:135]
	v_div_fmas_f64 v[128:129], v[128:129], v[132:133], v[136:137]
	v_div_fixup_f64 v[132:133], v[128:129], v[126:127], 1.0
                                        ; implicit-def: $vgpr126_vgpr127
	v_mul_f64 v[130:131], v[130:131], v[132:133]
	v_xor_b32_e32 v133, 0x80000000, v133
.LBB37_113:
	s_andn2_saveexec_b32 s1, s1
	s_cbranch_execz .LBB37_115
; %bb.114:
	v_div_scale_f64 v[130:131], null, v[126:127], v[126:127], v[128:129]
	v_div_scale_f64 v[136:137], vcc_lo, v[128:129], v[126:127], v[128:129]
	v_rcp_f64_e32 v[132:133], v[130:131]
	v_fma_f64 v[134:135], -v[130:131], v[132:133], 1.0
	v_fma_f64 v[132:133], v[132:133], v[134:135], v[132:133]
	v_fma_f64 v[134:135], -v[130:131], v[132:133], 1.0
	v_fma_f64 v[132:133], v[132:133], v[134:135], v[132:133]
	v_mul_f64 v[134:135], v[136:137], v[132:133]
	v_fma_f64 v[130:131], -v[130:131], v[134:135], v[136:137]
	v_div_fmas_f64 v[130:131], v[130:131], v[132:133], v[134:135]
	v_div_fixup_f64 v[132:133], v[130:131], v[126:127], v[128:129]
	v_fma_f64 v[126:127], v[128:129], v[132:133], v[126:127]
	v_div_scale_f64 v[128:129], null, v[126:127], v[126:127], 1.0
	v_rcp_f64_e32 v[130:131], v[128:129]
	v_fma_f64 v[134:135], -v[128:129], v[130:131], 1.0
	v_fma_f64 v[130:131], v[130:131], v[134:135], v[130:131]
	v_fma_f64 v[134:135], -v[128:129], v[130:131], 1.0
	v_fma_f64 v[130:131], v[130:131], v[134:135], v[130:131]
	v_div_scale_f64 v[134:135], vcc_lo, 1.0, v[126:127], 1.0
	v_mul_f64 v[136:137], v[134:135], v[130:131]
	v_fma_f64 v[128:129], -v[128:129], v[136:137], v[134:135]
	v_div_fmas_f64 v[128:129], v[128:129], v[130:131], v[136:137]
	v_div_fixup_f64 v[130:131], v[128:129], v[126:127], 1.0
	v_mul_f64 v[132:133], v[132:133], -v[130:131]
.LBB37_115:
	s_or_b32 exec_lo, exec_lo, s1
	ds_write2_b64 v1, v[130:131], v[132:133] offset1:1
.LBB37_116:
	s_or_b32 exec_lo, exec_lo, s2
	s_waitcnt lgkmcnt(0)
	s_barrier
	buffer_gl0_inv
	ds_read2_b64 v[126:129], v1 offset1:1
	s_mov_b32 s1, exec_lo
	v_cmpx_lt_u32_e32 12, v0
	s_cbranch_execz .LBB37_118
; %bb.117:
	s_waitcnt lgkmcnt(0)
	v_mul_f64 v[130:131], v[126:127], v[36:37]
	v_mul_f64 v[36:37], v[128:129], v[36:37]
	v_fma_f64 v[195:196], v[128:129], v[34:35], v[130:131]
	ds_read2_b64 v[130:133], v194 offset0:26 offset1:27
	ds_read2_b64 v[134:137], v194 offset0:28 offset1:29
	ds_read2_b64 v[138:141], v194 offset0:30 offset1:31
	ds_read2_b64 v[142:145], v194 offset0:32 offset1:33
	ds_read2_b64 v[146:149], v194 offset0:34 offset1:35
	ds_read2_b64 v[150:153], v194 offset0:36 offset1:37
	v_fma_f64 v[34:35], v[126:127], v[34:35], -v[36:37]
	s_waitcnt lgkmcnt(5)
	v_mul_f64 v[36:37], v[132:133], v[195:196]
	v_mul_f64 v[197:198], v[130:131], v[195:196]
	s_waitcnt lgkmcnt(4)
	v_mul_f64 v[199:200], v[136:137], v[195:196]
	v_mul_f64 v[201:202], v[134:135], v[195:196]
	;; [unrolled: 3-line block ×6, first 2 shown]
	v_fma_f64 v[36:37], v[130:131], v[34:35], -v[36:37]
	v_fma_f64 v[130:131], v[132:133], v[34:35], v[197:198]
	v_fma_f64 v[132:133], v[134:135], v[34:35], -v[199:200]
	v_fma_f64 v[134:135], v[136:137], v[34:35], v[201:202]
	;; [unrolled: 2-line block ×6, first 2 shown]
	v_add_f64 v[30:31], v[30:31], -v[36:37]
	v_add_f64 v[32:33], v[32:33], -v[130:131]
	;; [unrolled: 1-line block ×12, first 2 shown]
	v_mov_b32_e32 v36, v195
	v_mov_b32_e32 v37, v196
.LBB37_118:
	s_or_b32 exec_lo, exec_lo, s1
	s_mov_b32 s2, exec_lo
	s_waitcnt lgkmcnt(0)
	s_barrier
	buffer_gl0_inv
	v_cmpx_eq_u32_e32 13, v0
	s_cbranch_execz .LBB37_125
; %bb.119:
	ds_write2_b64 v1, v[30:31], v[32:33] offset1:1
	ds_write2_b64 v194, v[26:27], v[28:29] offset0:28 offset1:29
	ds_write2_b64 v194, v[22:23], v[24:25] offset0:30 offset1:31
	;; [unrolled: 1-line block ×5, first 2 shown]
	ds_read2_b64 v[130:133], v1 offset1:1
	s_waitcnt lgkmcnt(0)
	v_cmp_neq_f64_e32 vcc_lo, 0, v[130:131]
	v_cmp_neq_f64_e64 s1, 0, v[132:133]
	s_or_b32 s1, vcc_lo, s1
	s_and_b32 exec_lo, exec_lo, s1
	s_cbranch_execz .LBB37_125
; %bb.120:
	v_cmp_ngt_f64_e64 s1, |v[130:131]|, |v[132:133]|
                                        ; implicit-def: $vgpr134_vgpr135
	s_and_saveexec_b32 s3, s1
	s_xor_b32 s1, exec_lo, s3
                                        ; implicit-def: $vgpr136_vgpr137
	s_cbranch_execz .LBB37_122
; %bb.121:
	v_div_scale_f64 v[134:135], null, v[132:133], v[132:133], v[130:131]
	v_div_scale_f64 v[140:141], vcc_lo, v[130:131], v[132:133], v[130:131]
	v_rcp_f64_e32 v[136:137], v[134:135]
	v_fma_f64 v[138:139], -v[134:135], v[136:137], 1.0
	v_fma_f64 v[136:137], v[136:137], v[138:139], v[136:137]
	v_fma_f64 v[138:139], -v[134:135], v[136:137], 1.0
	v_fma_f64 v[136:137], v[136:137], v[138:139], v[136:137]
	v_mul_f64 v[138:139], v[140:141], v[136:137]
	v_fma_f64 v[134:135], -v[134:135], v[138:139], v[140:141]
	v_div_fmas_f64 v[134:135], v[134:135], v[136:137], v[138:139]
	v_div_fixup_f64 v[134:135], v[134:135], v[132:133], v[130:131]
	v_fma_f64 v[130:131], v[130:131], v[134:135], v[132:133]
	v_div_scale_f64 v[132:133], null, v[130:131], v[130:131], 1.0
	v_rcp_f64_e32 v[136:137], v[132:133]
	v_fma_f64 v[138:139], -v[132:133], v[136:137], 1.0
	v_fma_f64 v[136:137], v[136:137], v[138:139], v[136:137]
	v_fma_f64 v[138:139], -v[132:133], v[136:137], 1.0
	v_fma_f64 v[136:137], v[136:137], v[138:139], v[136:137]
	v_div_scale_f64 v[138:139], vcc_lo, 1.0, v[130:131], 1.0
	v_mul_f64 v[140:141], v[138:139], v[136:137]
	v_fma_f64 v[132:133], -v[132:133], v[140:141], v[138:139]
	v_div_fmas_f64 v[132:133], v[132:133], v[136:137], v[140:141]
	v_div_fixup_f64 v[136:137], v[132:133], v[130:131], 1.0
                                        ; implicit-def: $vgpr130_vgpr131
	v_mul_f64 v[134:135], v[134:135], v[136:137]
	v_xor_b32_e32 v137, 0x80000000, v137
.LBB37_122:
	s_andn2_saveexec_b32 s1, s1
	s_cbranch_execz .LBB37_124
; %bb.123:
	v_div_scale_f64 v[134:135], null, v[130:131], v[130:131], v[132:133]
	v_div_scale_f64 v[140:141], vcc_lo, v[132:133], v[130:131], v[132:133]
	v_rcp_f64_e32 v[136:137], v[134:135]
	v_fma_f64 v[138:139], -v[134:135], v[136:137], 1.0
	v_fma_f64 v[136:137], v[136:137], v[138:139], v[136:137]
	v_fma_f64 v[138:139], -v[134:135], v[136:137], 1.0
	v_fma_f64 v[136:137], v[136:137], v[138:139], v[136:137]
	v_mul_f64 v[138:139], v[140:141], v[136:137]
	v_fma_f64 v[134:135], -v[134:135], v[138:139], v[140:141]
	v_div_fmas_f64 v[134:135], v[134:135], v[136:137], v[138:139]
	v_div_fixup_f64 v[136:137], v[134:135], v[130:131], v[132:133]
	v_fma_f64 v[130:131], v[132:133], v[136:137], v[130:131]
	v_div_scale_f64 v[132:133], null, v[130:131], v[130:131], 1.0
	v_rcp_f64_e32 v[134:135], v[132:133]
	v_fma_f64 v[138:139], -v[132:133], v[134:135], 1.0
	v_fma_f64 v[134:135], v[134:135], v[138:139], v[134:135]
	v_fma_f64 v[138:139], -v[132:133], v[134:135], 1.0
	v_fma_f64 v[134:135], v[134:135], v[138:139], v[134:135]
	v_div_scale_f64 v[138:139], vcc_lo, 1.0, v[130:131], 1.0
	v_mul_f64 v[140:141], v[138:139], v[134:135]
	v_fma_f64 v[132:133], -v[132:133], v[140:141], v[138:139]
	v_div_fmas_f64 v[132:133], v[132:133], v[134:135], v[140:141]
	v_div_fixup_f64 v[134:135], v[132:133], v[130:131], 1.0
	v_mul_f64 v[136:137], v[136:137], -v[134:135]
.LBB37_124:
	s_or_b32 exec_lo, exec_lo, s1
	ds_write2_b64 v1, v[134:135], v[136:137] offset1:1
.LBB37_125:
	s_or_b32 exec_lo, exec_lo, s2
	s_waitcnt lgkmcnt(0)
	s_barrier
	buffer_gl0_inv
	ds_read2_b64 v[130:133], v1 offset1:1
	s_mov_b32 s1, exec_lo
	v_cmpx_lt_u32_e32 13, v0
	s_cbranch_execz .LBB37_127
; %bb.126:
	s_waitcnt lgkmcnt(0)
	v_mul_f64 v[134:135], v[130:131], v[32:33]
	v_mul_f64 v[32:33], v[132:133], v[32:33]
	v_fma_f64 v[195:196], v[132:133], v[30:31], v[134:135]
	ds_read2_b64 v[134:137], v194 offset0:28 offset1:29
	ds_read2_b64 v[138:141], v194 offset0:30 offset1:31
	;; [unrolled: 1-line block ×5, first 2 shown]
	v_fma_f64 v[30:31], v[130:131], v[30:31], -v[32:33]
	s_waitcnt lgkmcnt(4)
	v_mul_f64 v[32:33], v[136:137], v[195:196]
	v_mul_f64 v[197:198], v[134:135], v[195:196]
	s_waitcnt lgkmcnt(3)
	v_mul_f64 v[199:200], v[140:141], v[195:196]
	v_mul_f64 v[201:202], v[138:139], v[195:196]
	;; [unrolled: 3-line block ×5, first 2 shown]
	v_fma_f64 v[32:33], v[134:135], v[30:31], -v[32:33]
	v_fma_f64 v[134:135], v[136:137], v[30:31], v[197:198]
	v_fma_f64 v[136:137], v[138:139], v[30:31], -v[199:200]
	v_fma_f64 v[138:139], v[140:141], v[30:31], v[201:202]
	;; [unrolled: 2-line block ×5, first 2 shown]
	v_add_f64 v[26:27], v[26:27], -v[32:33]
	v_add_f64 v[28:29], v[28:29], -v[134:135]
	v_add_f64 v[22:23], v[22:23], -v[136:137]
	v_add_f64 v[24:25], v[24:25], -v[138:139]
	v_add_f64 v[18:19], v[18:19], -v[140:141]
	v_add_f64 v[20:21], v[20:21], -v[142:143]
	v_add_f64 v[14:15], v[14:15], -v[144:145]
	v_add_f64 v[16:17], v[16:17], -v[146:147]
	v_add_f64 v[10:11], v[10:11], -v[148:149]
	v_add_f64 v[12:13], v[12:13], -v[150:151]
	v_mov_b32_e32 v32, v195
	v_mov_b32_e32 v33, v196
.LBB37_127:
	s_or_b32 exec_lo, exec_lo, s1
	s_mov_b32 s2, exec_lo
	s_waitcnt lgkmcnt(0)
	s_barrier
	buffer_gl0_inv
	v_cmpx_eq_u32_e32 14, v0
	s_cbranch_execz .LBB37_134
; %bb.128:
	ds_write2_b64 v1, v[26:27], v[28:29] offset1:1
	ds_write2_b64 v194, v[22:23], v[24:25] offset0:30 offset1:31
	ds_write2_b64 v194, v[18:19], v[20:21] offset0:32 offset1:33
	;; [unrolled: 1-line block ×4, first 2 shown]
	ds_read2_b64 v[134:137], v1 offset1:1
	s_waitcnt lgkmcnt(0)
	v_cmp_neq_f64_e32 vcc_lo, 0, v[134:135]
	v_cmp_neq_f64_e64 s1, 0, v[136:137]
	s_or_b32 s1, vcc_lo, s1
	s_and_b32 exec_lo, exec_lo, s1
	s_cbranch_execz .LBB37_134
; %bb.129:
	v_cmp_ngt_f64_e64 s1, |v[134:135]|, |v[136:137]|
                                        ; implicit-def: $vgpr138_vgpr139
	s_and_saveexec_b32 s3, s1
	s_xor_b32 s1, exec_lo, s3
                                        ; implicit-def: $vgpr140_vgpr141
	s_cbranch_execz .LBB37_131
; %bb.130:
	v_div_scale_f64 v[138:139], null, v[136:137], v[136:137], v[134:135]
	v_div_scale_f64 v[144:145], vcc_lo, v[134:135], v[136:137], v[134:135]
	v_rcp_f64_e32 v[140:141], v[138:139]
	v_fma_f64 v[142:143], -v[138:139], v[140:141], 1.0
	v_fma_f64 v[140:141], v[140:141], v[142:143], v[140:141]
	v_fma_f64 v[142:143], -v[138:139], v[140:141], 1.0
	v_fma_f64 v[140:141], v[140:141], v[142:143], v[140:141]
	v_mul_f64 v[142:143], v[144:145], v[140:141]
	v_fma_f64 v[138:139], -v[138:139], v[142:143], v[144:145]
	v_div_fmas_f64 v[138:139], v[138:139], v[140:141], v[142:143]
	v_div_fixup_f64 v[138:139], v[138:139], v[136:137], v[134:135]
	v_fma_f64 v[134:135], v[134:135], v[138:139], v[136:137]
	v_div_scale_f64 v[136:137], null, v[134:135], v[134:135], 1.0
	v_rcp_f64_e32 v[140:141], v[136:137]
	v_fma_f64 v[142:143], -v[136:137], v[140:141], 1.0
	v_fma_f64 v[140:141], v[140:141], v[142:143], v[140:141]
	v_fma_f64 v[142:143], -v[136:137], v[140:141], 1.0
	v_fma_f64 v[140:141], v[140:141], v[142:143], v[140:141]
	v_div_scale_f64 v[142:143], vcc_lo, 1.0, v[134:135], 1.0
	v_mul_f64 v[144:145], v[142:143], v[140:141]
	v_fma_f64 v[136:137], -v[136:137], v[144:145], v[142:143]
	v_div_fmas_f64 v[136:137], v[136:137], v[140:141], v[144:145]
	v_div_fixup_f64 v[140:141], v[136:137], v[134:135], 1.0
                                        ; implicit-def: $vgpr134_vgpr135
	v_mul_f64 v[138:139], v[138:139], v[140:141]
	v_xor_b32_e32 v141, 0x80000000, v141
.LBB37_131:
	s_andn2_saveexec_b32 s1, s1
	s_cbranch_execz .LBB37_133
; %bb.132:
	v_div_scale_f64 v[138:139], null, v[134:135], v[134:135], v[136:137]
	v_div_scale_f64 v[144:145], vcc_lo, v[136:137], v[134:135], v[136:137]
	v_rcp_f64_e32 v[140:141], v[138:139]
	v_fma_f64 v[142:143], -v[138:139], v[140:141], 1.0
	v_fma_f64 v[140:141], v[140:141], v[142:143], v[140:141]
	v_fma_f64 v[142:143], -v[138:139], v[140:141], 1.0
	v_fma_f64 v[140:141], v[140:141], v[142:143], v[140:141]
	v_mul_f64 v[142:143], v[144:145], v[140:141]
	v_fma_f64 v[138:139], -v[138:139], v[142:143], v[144:145]
	v_div_fmas_f64 v[138:139], v[138:139], v[140:141], v[142:143]
	v_div_fixup_f64 v[140:141], v[138:139], v[134:135], v[136:137]
	v_fma_f64 v[134:135], v[136:137], v[140:141], v[134:135]
	v_div_scale_f64 v[136:137], null, v[134:135], v[134:135], 1.0
	v_rcp_f64_e32 v[138:139], v[136:137]
	v_fma_f64 v[142:143], -v[136:137], v[138:139], 1.0
	v_fma_f64 v[138:139], v[138:139], v[142:143], v[138:139]
	v_fma_f64 v[142:143], -v[136:137], v[138:139], 1.0
	v_fma_f64 v[138:139], v[138:139], v[142:143], v[138:139]
	v_div_scale_f64 v[142:143], vcc_lo, 1.0, v[134:135], 1.0
	v_mul_f64 v[144:145], v[142:143], v[138:139]
	v_fma_f64 v[136:137], -v[136:137], v[144:145], v[142:143]
	v_div_fmas_f64 v[136:137], v[136:137], v[138:139], v[144:145]
	v_div_fixup_f64 v[138:139], v[136:137], v[134:135], 1.0
	v_mul_f64 v[140:141], v[140:141], -v[138:139]
.LBB37_133:
	s_or_b32 exec_lo, exec_lo, s1
	ds_write2_b64 v1, v[138:139], v[140:141] offset1:1
.LBB37_134:
	s_or_b32 exec_lo, exec_lo, s2
	s_waitcnt lgkmcnt(0)
	s_barrier
	buffer_gl0_inv
	ds_read2_b64 v[134:137], v1 offset1:1
	s_mov_b32 s1, exec_lo
	v_cmpx_lt_u32_e32 14, v0
	s_cbranch_execz .LBB37_136
; %bb.135:
	s_waitcnt lgkmcnt(0)
	v_mul_f64 v[138:139], v[134:135], v[28:29]
	v_mul_f64 v[28:29], v[136:137], v[28:29]
	v_fma_f64 v[195:196], v[136:137], v[26:27], v[138:139]
	ds_read2_b64 v[138:141], v194 offset0:30 offset1:31
	ds_read2_b64 v[142:145], v194 offset0:32 offset1:33
	;; [unrolled: 1-line block ×4, first 2 shown]
	v_fma_f64 v[26:27], v[134:135], v[26:27], -v[28:29]
	s_waitcnt lgkmcnt(3)
	v_mul_f64 v[28:29], v[140:141], v[195:196]
	v_mul_f64 v[197:198], v[138:139], v[195:196]
	s_waitcnt lgkmcnt(2)
	v_mul_f64 v[199:200], v[144:145], v[195:196]
	v_mul_f64 v[201:202], v[142:143], v[195:196]
	;; [unrolled: 3-line block ×4, first 2 shown]
	v_fma_f64 v[28:29], v[138:139], v[26:27], -v[28:29]
	v_fma_f64 v[138:139], v[140:141], v[26:27], v[197:198]
	v_fma_f64 v[140:141], v[142:143], v[26:27], -v[199:200]
	v_fma_f64 v[142:143], v[144:145], v[26:27], v[201:202]
	;; [unrolled: 2-line block ×4, first 2 shown]
	v_add_f64 v[22:23], v[22:23], -v[28:29]
	v_add_f64 v[24:25], v[24:25], -v[138:139]
	;; [unrolled: 1-line block ×8, first 2 shown]
	v_mov_b32_e32 v28, v195
	v_mov_b32_e32 v29, v196
.LBB37_136:
	s_or_b32 exec_lo, exec_lo, s1
	s_mov_b32 s2, exec_lo
	s_waitcnt lgkmcnt(0)
	s_barrier
	buffer_gl0_inv
	v_cmpx_eq_u32_e32 15, v0
	s_cbranch_execz .LBB37_143
; %bb.137:
	ds_write2_b64 v1, v[22:23], v[24:25] offset1:1
	ds_write2_b64 v194, v[18:19], v[20:21] offset0:32 offset1:33
	ds_write2_b64 v194, v[14:15], v[16:17] offset0:34 offset1:35
	;; [unrolled: 1-line block ×3, first 2 shown]
	ds_read2_b64 v[138:141], v1 offset1:1
	s_waitcnt lgkmcnt(0)
	v_cmp_neq_f64_e32 vcc_lo, 0, v[138:139]
	v_cmp_neq_f64_e64 s1, 0, v[140:141]
	s_or_b32 s1, vcc_lo, s1
	s_and_b32 exec_lo, exec_lo, s1
	s_cbranch_execz .LBB37_143
; %bb.138:
	v_cmp_ngt_f64_e64 s1, |v[138:139]|, |v[140:141]|
                                        ; implicit-def: $vgpr142_vgpr143
	s_and_saveexec_b32 s3, s1
	s_xor_b32 s1, exec_lo, s3
                                        ; implicit-def: $vgpr144_vgpr145
	s_cbranch_execz .LBB37_140
; %bb.139:
	v_div_scale_f64 v[142:143], null, v[140:141], v[140:141], v[138:139]
	v_div_scale_f64 v[148:149], vcc_lo, v[138:139], v[140:141], v[138:139]
	v_rcp_f64_e32 v[144:145], v[142:143]
	v_fma_f64 v[146:147], -v[142:143], v[144:145], 1.0
	v_fma_f64 v[144:145], v[144:145], v[146:147], v[144:145]
	v_fma_f64 v[146:147], -v[142:143], v[144:145], 1.0
	v_fma_f64 v[144:145], v[144:145], v[146:147], v[144:145]
	v_mul_f64 v[146:147], v[148:149], v[144:145]
	v_fma_f64 v[142:143], -v[142:143], v[146:147], v[148:149]
	v_div_fmas_f64 v[142:143], v[142:143], v[144:145], v[146:147]
	v_div_fixup_f64 v[142:143], v[142:143], v[140:141], v[138:139]
	v_fma_f64 v[138:139], v[138:139], v[142:143], v[140:141]
	v_div_scale_f64 v[140:141], null, v[138:139], v[138:139], 1.0
	v_rcp_f64_e32 v[144:145], v[140:141]
	v_fma_f64 v[146:147], -v[140:141], v[144:145], 1.0
	v_fma_f64 v[144:145], v[144:145], v[146:147], v[144:145]
	v_fma_f64 v[146:147], -v[140:141], v[144:145], 1.0
	v_fma_f64 v[144:145], v[144:145], v[146:147], v[144:145]
	v_div_scale_f64 v[146:147], vcc_lo, 1.0, v[138:139], 1.0
	v_mul_f64 v[148:149], v[146:147], v[144:145]
	v_fma_f64 v[140:141], -v[140:141], v[148:149], v[146:147]
	v_div_fmas_f64 v[140:141], v[140:141], v[144:145], v[148:149]
	v_div_fixup_f64 v[144:145], v[140:141], v[138:139], 1.0
                                        ; implicit-def: $vgpr138_vgpr139
	v_mul_f64 v[142:143], v[142:143], v[144:145]
	v_xor_b32_e32 v145, 0x80000000, v145
.LBB37_140:
	s_andn2_saveexec_b32 s1, s1
	s_cbranch_execz .LBB37_142
; %bb.141:
	v_div_scale_f64 v[142:143], null, v[138:139], v[138:139], v[140:141]
	v_div_scale_f64 v[148:149], vcc_lo, v[140:141], v[138:139], v[140:141]
	v_rcp_f64_e32 v[144:145], v[142:143]
	v_fma_f64 v[146:147], -v[142:143], v[144:145], 1.0
	v_fma_f64 v[144:145], v[144:145], v[146:147], v[144:145]
	v_fma_f64 v[146:147], -v[142:143], v[144:145], 1.0
	v_fma_f64 v[144:145], v[144:145], v[146:147], v[144:145]
	v_mul_f64 v[146:147], v[148:149], v[144:145]
	v_fma_f64 v[142:143], -v[142:143], v[146:147], v[148:149]
	v_div_fmas_f64 v[142:143], v[142:143], v[144:145], v[146:147]
	v_div_fixup_f64 v[144:145], v[142:143], v[138:139], v[140:141]
	v_fma_f64 v[138:139], v[140:141], v[144:145], v[138:139]
	v_div_scale_f64 v[140:141], null, v[138:139], v[138:139], 1.0
	v_rcp_f64_e32 v[142:143], v[140:141]
	v_fma_f64 v[146:147], -v[140:141], v[142:143], 1.0
	v_fma_f64 v[142:143], v[142:143], v[146:147], v[142:143]
	v_fma_f64 v[146:147], -v[140:141], v[142:143], 1.0
	v_fma_f64 v[142:143], v[142:143], v[146:147], v[142:143]
	v_div_scale_f64 v[146:147], vcc_lo, 1.0, v[138:139], 1.0
	v_mul_f64 v[148:149], v[146:147], v[142:143]
	v_fma_f64 v[140:141], -v[140:141], v[148:149], v[146:147]
	v_div_fmas_f64 v[140:141], v[140:141], v[142:143], v[148:149]
	v_div_fixup_f64 v[142:143], v[140:141], v[138:139], 1.0
	v_mul_f64 v[144:145], v[144:145], -v[142:143]
.LBB37_142:
	s_or_b32 exec_lo, exec_lo, s1
	ds_write2_b64 v1, v[142:143], v[144:145] offset1:1
.LBB37_143:
	s_or_b32 exec_lo, exec_lo, s2
	s_waitcnt lgkmcnt(0)
	s_barrier
	buffer_gl0_inv
	ds_read2_b64 v[138:141], v1 offset1:1
	s_mov_b32 s1, exec_lo
	v_cmpx_lt_u32_e32 15, v0
	s_cbranch_execz .LBB37_145
; %bb.144:
	s_waitcnt lgkmcnt(0)
	v_mul_f64 v[142:143], v[138:139], v[24:25]
	v_mul_f64 v[24:25], v[140:141], v[24:25]
	v_fma_f64 v[195:196], v[140:141], v[22:23], v[142:143]
	ds_read2_b64 v[142:145], v194 offset0:32 offset1:33
	ds_read2_b64 v[146:149], v194 offset0:34 offset1:35
	ds_read2_b64 v[150:153], v194 offset0:36 offset1:37
	v_fma_f64 v[22:23], v[138:139], v[22:23], -v[24:25]
	s_waitcnt lgkmcnt(2)
	v_mul_f64 v[24:25], v[144:145], v[195:196]
	v_mul_f64 v[197:198], v[142:143], v[195:196]
	s_waitcnt lgkmcnt(1)
	v_mul_f64 v[199:200], v[148:149], v[195:196]
	v_mul_f64 v[201:202], v[146:147], v[195:196]
	s_waitcnt lgkmcnt(0)
	v_mul_f64 v[203:204], v[152:153], v[195:196]
	v_mul_f64 v[205:206], v[150:151], v[195:196]
	v_fma_f64 v[24:25], v[142:143], v[22:23], -v[24:25]
	v_fma_f64 v[142:143], v[144:145], v[22:23], v[197:198]
	v_fma_f64 v[144:145], v[146:147], v[22:23], -v[199:200]
	v_fma_f64 v[146:147], v[148:149], v[22:23], v[201:202]
	v_fma_f64 v[148:149], v[150:151], v[22:23], -v[203:204]
	v_fma_f64 v[150:151], v[152:153], v[22:23], v[205:206]
	v_add_f64 v[18:19], v[18:19], -v[24:25]
	v_add_f64 v[20:21], v[20:21], -v[142:143]
	v_add_f64 v[14:15], v[14:15], -v[144:145]
	v_add_f64 v[16:17], v[16:17], -v[146:147]
	v_add_f64 v[10:11], v[10:11], -v[148:149]
	v_add_f64 v[12:13], v[12:13], -v[150:151]
	v_mov_b32_e32 v24, v195
	v_mov_b32_e32 v25, v196
.LBB37_145:
	s_or_b32 exec_lo, exec_lo, s1
	s_mov_b32 s2, exec_lo
	s_waitcnt lgkmcnt(0)
	s_barrier
	buffer_gl0_inv
	v_cmpx_eq_u32_e32 16, v0
	s_cbranch_execz .LBB37_152
; %bb.146:
	ds_write2_b64 v1, v[18:19], v[20:21] offset1:1
	ds_write2_b64 v194, v[14:15], v[16:17] offset0:34 offset1:35
	ds_write2_b64 v194, v[10:11], v[12:13] offset0:36 offset1:37
	ds_read2_b64 v[142:145], v1 offset1:1
	s_waitcnt lgkmcnt(0)
	v_cmp_neq_f64_e32 vcc_lo, 0, v[142:143]
	v_cmp_neq_f64_e64 s1, 0, v[144:145]
	s_or_b32 s1, vcc_lo, s1
	s_and_b32 exec_lo, exec_lo, s1
	s_cbranch_execz .LBB37_152
; %bb.147:
	v_cmp_ngt_f64_e64 s1, |v[142:143]|, |v[144:145]|
                                        ; implicit-def: $vgpr146_vgpr147
	s_and_saveexec_b32 s3, s1
	s_xor_b32 s1, exec_lo, s3
                                        ; implicit-def: $vgpr148_vgpr149
	s_cbranch_execz .LBB37_149
; %bb.148:
	v_div_scale_f64 v[146:147], null, v[144:145], v[144:145], v[142:143]
	v_div_scale_f64 v[152:153], vcc_lo, v[142:143], v[144:145], v[142:143]
	v_rcp_f64_e32 v[148:149], v[146:147]
	v_fma_f64 v[150:151], -v[146:147], v[148:149], 1.0
	v_fma_f64 v[148:149], v[148:149], v[150:151], v[148:149]
	v_fma_f64 v[150:151], -v[146:147], v[148:149], 1.0
	v_fma_f64 v[148:149], v[148:149], v[150:151], v[148:149]
	v_mul_f64 v[150:151], v[152:153], v[148:149]
	v_fma_f64 v[146:147], -v[146:147], v[150:151], v[152:153]
	v_div_fmas_f64 v[146:147], v[146:147], v[148:149], v[150:151]
	v_div_fixup_f64 v[146:147], v[146:147], v[144:145], v[142:143]
	v_fma_f64 v[142:143], v[142:143], v[146:147], v[144:145]
	v_div_scale_f64 v[144:145], null, v[142:143], v[142:143], 1.0
	v_rcp_f64_e32 v[148:149], v[144:145]
	v_fma_f64 v[150:151], -v[144:145], v[148:149], 1.0
	v_fma_f64 v[148:149], v[148:149], v[150:151], v[148:149]
	v_fma_f64 v[150:151], -v[144:145], v[148:149], 1.0
	v_fma_f64 v[148:149], v[148:149], v[150:151], v[148:149]
	v_div_scale_f64 v[150:151], vcc_lo, 1.0, v[142:143], 1.0
	v_mul_f64 v[152:153], v[150:151], v[148:149]
	v_fma_f64 v[144:145], -v[144:145], v[152:153], v[150:151]
	v_div_fmas_f64 v[144:145], v[144:145], v[148:149], v[152:153]
	v_div_fixup_f64 v[148:149], v[144:145], v[142:143], 1.0
                                        ; implicit-def: $vgpr142_vgpr143
	v_mul_f64 v[146:147], v[146:147], v[148:149]
	v_xor_b32_e32 v149, 0x80000000, v149
.LBB37_149:
	s_andn2_saveexec_b32 s1, s1
	s_cbranch_execz .LBB37_151
; %bb.150:
	v_div_scale_f64 v[146:147], null, v[142:143], v[142:143], v[144:145]
	v_div_scale_f64 v[152:153], vcc_lo, v[144:145], v[142:143], v[144:145]
	v_rcp_f64_e32 v[148:149], v[146:147]
	v_fma_f64 v[150:151], -v[146:147], v[148:149], 1.0
	v_fma_f64 v[148:149], v[148:149], v[150:151], v[148:149]
	v_fma_f64 v[150:151], -v[146:147], v[148:149], 1.0
	v_fma_f64 v[148:149], v[148:149], v[150:151], v[148:149]
	v_mul_f64 v[150:151], v[152:153], v[148:149]
	v_fma_f64 v[146:147], -v[146:147], v[150:151], v[152:153]
	v_div_fmas_f64 v[146:147], v[146:147], v[148:149], v[150:151]
	v_div_fixup_f64 v[148:149], v[146:147], v[142:143], v[144:145]
	v_fma_f64 v[142:143], v[144:145], v[148:149], v[142:143]
	v_div_scale_f64 v[144:145], null, v[142:143], v[142:143], 1.0
	v_rcp_f64_e32 v[146:147], v[144:145]
	v_fma_f64 v[150:151], -v[144:145], v[146:147], 1.0
	v_fma_f64 v[146:147], v[146:147], v[150:151], v[146:147]
	v_fma_f64 v[150:151], -v[144:145], v[146:147], 1.0
	v_fma_f64 v[146:147], v[146:147], v[150:151], v[146:147]
	v_div_scale_f64 v[150:151], vcc_lo, 1.0, v[142:143], 1.0
	v_mul_f64 v[152:153], v[150:151], v[146:147]
	v_fma_f64 v[144:145], -v[144:145], v[152:153], v[150:151]
	v_div_fmas_f64 v[144:145], v[144:145], v[146:147], v[152:153]
	v_div_fixup_f64 v[146:147], v[144:145], v[142:143], 1.0
	v_mul_f64 v[148:149], v[148:149], -v[146:147]
.LBB37_151:
	s_or_b32 exec_lo, exec_lo, s1
	ds_write2_b64 v1, v[146:147], v[148:149] offset1:1
.LBB37_152:
	s_or_b32 exec_lo, exec_lo, s2
	s_waitcnt lgkmcnt(0)
	s_barrier
	buffer_gl0_inv
	ds_read2_b64 v[142:145], v1 offset1:1
	s_mov_b32 s1, exec_lo
	v_cmpx_lt_u32_e32 16, v0
	s_cbranch_execz .LBB37_154
; %bb.153:
	s_waitcnt lgkmcnt(0)
	v_mul_f64 v[146:147], v[142:143], v[20:21]
	v_mul_f64 v[20:21], v[144:145], v[20:21]
	v_fma_f64 v[195:196], v[144:145], v[18:19], v[146:147]
	ds_read2_b64 v[146:149], v194 offset0:34 offset1:35
	ds_read2_b64 v[150:153], v194 offset0:36 offset1:37
	v_fma_f64 v[18:19], v[142:143], v[18:19], -v[20:21]
	s_waitcnt lgkmcnt(1)
	v_mul_f64 v[20:21], v[148:149], v[195:196]
	v_mul_f64 v[197:198], v[146:147], v[195:196]
	s_waitcnt lgkmcnt(0)
	v_mul_f64 v[199:200], v[152:153], v[195:196]
	v_mul_f64 v[201:202], v[150:151], v[195:196]
	v_fma_f64 v[20:21], v[146:147], v[18:19], -v[20:21]
	v_fma_f64 v[146:147], v[148:149], v[18:19], v[197:198]
	v_fma_f64 v[148:149], v[150:151], v[18:19], -v[199:200]
	v_fma_f64 v[150:151], v[152:153], v[18:19], v[201:202]
	v_add_f64 v[14:15], v[14:15], -v[20:21]
	v_add_f64 v[16:17], v[16:17], -v[146:147]
	;; [unrolled: 1-line block ×4, first 2 shown]
	v_mov_b32_e32 v20, v195
	v_mov_b32_e32 v21, v196
.LBB37_154:
	s_or_b32 exec_lo, exec_lo, s1
	s_mov_b32 s2, exec_lo
	s_waitcnt lgkmcnt(0)
	s_barrier
	buffer_gl0_inv
	v_cmpx_eq_u32_e32 17, v0
	s_cbranch_execz .LBB37_161
; %bb.155:
	ds_write2_b64 v1, v[14:15], v[16:17] offset1:1
	ds_write2_b64 v194, v[10:11], v[12:13] offset0:36 offset1:37
	ds_read2_b64 v[146:149], v1 offset1:1
	s_waitcnt lgkmcnt(0)
	v_cmp_neq_f64_e32 vcc_lo, 0, v[146:147]
	v_cmp_neq_f64_e64 s1, 0, v[148:149]
	s_or_b32 s1, vcc_lo, s1
	s_and_b32 exec_lo, exec_lo, s1
	s_cbranch_execz .LBB37_161
; %bb.156:
	v_cmp_ngt_f64_e64 s1, |v[146:147]|, |v[148:149]|
                                        ; implicit-def: $vgpr150_vgpr151
	s_and_saveexec_b32 s3, s1
	s_xor_b32 s1, exec_lo, s3
                                        ; implicit-def: $vgpr152_vgpr153
	s_cbranch_execz .LBB37_158
; %bb.157:
	v_div_scale_f64 v[150:151], null, v[148:149], v[148:149], v[146:147]
	v_div_scale_f64 v[197:198], vcc_lo, v[146:147], v[148:149], v[146:147]
	v_rcp_f64_e32 v[152:153], v[150:151]
	v_fma_f64 v[195:196], -v[150:151], v[152:153], 1.0
	v_fma_f64 v[152:153], v[152:153], v[195:196], v[152:153]
	v_fma_f64 v[195:196], -v[150:151], v[152:153], 1.0
	v_fma_f64 v[152:153], v[152:153], v[195:196], v[152:153]
	v_mul_f64 v[195:196], v[197:198], v[152:153]
	v_fma_f64 v[150:151], -v[150:151], v[195:196], v[197:198]
	v_div_fmas_f64 v[150:151], v[150:151], v[152:153], v[195:196]
	v_div_fixup_f64 v[150:151], v[150:151], v[148:149], v[146:147]
	v_fma_f64 v[146:147], v[146:147], v[150:151], v[148:149]
	v_div_scale_f64 v[148:149], null, v[146:147], v[146:147], 1.0
	v_rcp_f64_e32 v[152:153], v[148:149]
	v_fma_f64 v[195:196], -v[148:149], v[152:153], 1.0
	v_fma_f64 v[152:153], v[152:153], v[195:196], v[152:153]
	v_fma_f64 v[195:196], -v[148:149], v[152:153], 1.0
	v_fma_f64 v[152:153], v[152:153], v[195:196], v[152:153]
	v_div_scale_f64 v[195:196], vcc_lo, 1.0, v[146:147], 1.0
	v_mul_f64 v[197:198], v[195:196], v[152:153]
	v_fma_f64 v[148:149], -v[148:149], v[197:198], v[195:196]
	v_div_fmas_f64 v[148:149], v[148:149], v[152:153], v[197:198]
	v_div_fixup_f64 v[152:153], v[148:149], v[146:147], 1.0
                                        ; implicit-def: $vgpr146_vgpr147
	v_mul_f64 v[150:151], v[150:151], v[152:153]
	v_xor_b32_e32 v153, 0x80000000, v153
.LBB37_158:
	s_andn2_saveexec_b32 s1, s1
	s_cbranch_execz .LBB37_160
; %bb.159:
	v_div_scale_f64 v[150:151], null, v[146:147], v[146:147], v[148:149]
	v_div_scale_f64 v[197:198], vcc_lo, v[148:149], v[146:147], v[148:149]
	v_rcp_f64_e32 v[152:153], v[150:151]
	v_fma_f64 v[195:196], -v[150:151], v[152:153], 1.0
	v_fma_f64 v[152:153], v[152:153], v[195:196], v[152:153]
	v_fma_f64 v[195:196], -v[150:151], v[152:153], 1.0
	v_fma_f64 v[152:153], v[152:153], v[195:196], v[152:153]
	v_mul_f64 v[195:196], v[197:198], v[152:153]
	v_fma_f64 v[150:151], -v[150:151], v[195:196], v[197:198]
	v_div_fmas_f64 v[150:151], v[150:151], v[152:153], v[195:196]
	v_div_fixup_f64 v[152:153], v[150:151], v[146:147], v[148:149]
	v_fma_f64 v[146:147], v[148:149], v[152:153], v[146:147]
	v_div_scale_f64 v[148:149], null, v[146:147], v[146:147], 1.0
	v_rcp_f64_e32 v[150:151], v[148:149]
	v_fma_f64 v[195:196], -v[148:149], v[150:151], 1.0
	v_fma_f64 v[150:151], v[150:151], v[195:196], v[150:151]
	v_fma_f64 v[195:196], -v[148:149], v[150:151], 1.0
	v_fma_f64 v[150:151], v[150:151], v[195:196], v[150:151]
	v_div_scale_f64 v[195:196], vcc_lo, 1.0, v[146:147], 1.0
	v_mul_f64 v[197:198], v[195:196], v[150:151]
	v_fma_f64 v[148:149], -v[148:149], v[197:198], v[195:196]
	v_div_fmas_f64 v[148:149], v[148:149], v[150:151], v[197:198]
	v_div_fixup_f64 v[150:151], v[148:149], v[146:147], 1.0
	v_mul_f64 v[152:153], v[152:153], -v[150:151]
.LBB37_160:
	s_or_b32 exec_lo, exec_lo, s1
	ds_write2_b64 v1, v[150:151], v[152:153] offset1:1
.LBB37_161:
	s_or_b32 exec_lo, exec_lo, s2
	s_waitcnt lgkmcnt(0)
	s_barrier
	buffer_gl0_inv
	ds_read2_b64 v[146:149], v1 offset1:1
	s_mov_b32 s1, exec_lo
	v_cmpx_lt_u32_e32 17, v0
	s_cbranch_execz .LBB37_163
; %bb.162:
	s_waitcnt lgkmcnt(0)
	v_mul_f64 v[150:151], v[146:147], v[16:17]
	v_mul_f64 v[16:17], v[148:149], v[16:17]
	v_fma_f64 v[195:196], v[148:149], v[14:15], v[150:151]
	ds_read2_b64 v[150:153], v194 offset0:36 offset1:37
	v_fma_f64 v[14:15], v[146:147], v[14:15], -v[16:17]
	s_waitcnt lgkmcnt(0)
	v_mul_f64 v[16:17], v[152:153], v[195:196]
	v_mul_f64 v[197:198], v[150:151], v[195:196]
	v_fma_f64 v[16:17], v[150:151], v[14:15], -v[16:17]
	v_fma_f64 v[150:151], v[152:153], v[14:15], v[197:198]
	v_add_f64 v[10:11], v[10:11], -v[16:17]
	v_add_f64 v[12:13], v[12:13], -v[150:151]
	v_mov_b32_e32 v16, v195
	v_mov_b32_e32 v17, v196
.LBB37_163:
	s_or_b32 exec_lo, exec_lo, s1
	s_mov_b32 s2, exec_lo
	s_waitcnt lgkmcnt(0)
	s_barrier
	buffer_gl0_inv
	v_cmpx_eq_u32_e32 18, v0
	s_cbranch_execz .LBB37_170
; %bb.164:
	v_cmp_neq_f64_e32 vcc_lo, 0, v[10:11]
	v_cmp_neq_f64_e64 s1, 0, v[12:13]
	ds_write2_b64 v1, v[10:11], v[12:13] offset1:1
	s_or_b32 s1, vcc_lo, s1
	s_and_b32 exec_lo, exec_lo, s1
	s_cbranch_execz .LBB37_170
; %bb.165:
	v_cmp_ngt_f64_e64 s1, |v[10:11]|, |v[12:13]|
                                        ; implicit-def: $vgpr150_vgpr151
	s_and_saveexec_b32 s3, s1
	s_xor_b32 s1, exec_lo, s3
                                        ; implicit-def: $vgpr152_vgpr153
	s_cbranch_execz .LBB37_167
; %bb.166:
	v_div_scale_f64 v[150:151], null, v[12:13], v[12:13], v[10:11]
	v_div_scale_f64 v[196:197], vcc_lo, v[10:11], v[12:13], v[10:11]
	v_rcp_f64_e32 v[152:153], v[150:151]
	v_fma_f64 v[194:195], -v[150:151], v[152:153], 1.0
	v_fma_f64 v[152:153], v[152:153], v[194:195], v[152:153]
	v_fma_f64 v[194:195], -v[150:151], v[152:153], 1.0
	v_fma_f64 v[152:153], v[152:153], v[194:195], v[152:153]
	v_mul_f64 v[194:195], v[196:197], v[152:153]
	v_fma_f64 v[150:151], -v[150:151], v[194:195], v[196:197]
	v_div_fmas_f64 v[150:151], v[150:151], v[152:153], v[194:195]
	v_div_fixup_f64 v[150:151], v[150:151], v[12:13], v[10:11]
	v_fma_f64 v[152:153], v[10:11], v[150:151], v[12:13]
	v_div_scale_f64 v[194:195], null, v[152:153], v[152:153], 1.0
	v_rcp_f64_e32 v[196:197], v[194:195]
	v_fma_f64 v[198:199], -v[194:195], v[196:197], 1.0
	v_fma_f64 v[196:197], v[196:197], v[198:199], v[196:197]
	v_fma_f64 v[198:199], -v[194:195], v[196:197], 1.0
	v_fma_f64 v[196:197], v[196:197], v[198:199], v[196:197]
	v_div_scale_f64 v[198:199], vcc_lo, 1.0, v[152:153], 1.0
	v_mul_f64 v[200:201], v[198:199], v[196:197]
	v_fma_f64 v[194:195], -v[194:195], v[200:201], v[198:199]
	v_div_fmas_f64 v[194:195], v[194:195], v[196:197], v[200:201]
	v_div_fixup_f64 v[152:153], v[194:195], v[152:153], 1.0
	v_mul_f64 v[150:151], v[150:151], v[152:153]
	v_xor_b32_e32 v153, 0x80000000, v153
.LBB37_167:
	s_andn2_saveexec_b32 s1, s1
	s_cbranch_execz .LBB37_169
; %bb.168:
	v_div_scale_f64 v[150:151], null, v[10:11], v[10:11], v[12:13]
	v_div_scale_f64 v[196:197], vcc_lo, v[12:13], v[10:11], v[12:13]
	v_rcp_f64_e32 v[152:153], v[150:151]
	v_fma_f64 v[194:195], -v[150:151], v[152:153], 1.0
	v_fma_f64 v[152:153], v[152:153], v[194:195], v[152:153]
	v_fma_f64 v[194:195], -v[150:151], v[152:153], 1.0
	v_fma_f64 v[152:153], v[152:153], v[194:195], v[152:153]
	v_mul_f64 v[194:195], v[196:197], v[152:153]
	v_fma_f64 v[150:151], -v[150:151], v[194:195], v[196:197]
	v_div_fmas_f64 v[150:151], v[150:151], v[152:153], v[194:195]
	v_div_fixup_f64 v[152:153], v[150:151], v[10:11], v[12:13]
	v_fma_f64 v[150:151], v[12:13], v[152:153], v[10:11]
	v_div_scale_f64 v[194:195], null, v[150:151], v[150:151], 1.0
	v_rcp_f64_e32 v[196:197], v[194:195]
	v_fma_f64 v[198:199], -v[194:195], v[196:197], 1.0
	v_fma_f64 v[196:197], v[196:197], v[198:199], v[196:197]
	v_fma_f64 v[198:199], -v[194:195], v[196:197], 1.0
	v_fma_f64 v[196:197], v[196:197], v[198:199], v[196:197]
	v_div_scale_f64 v[198:199], vcc_lo, 1.0, v[150:151], 1.0
	v_mul_f64 v[200:201], v[198:199], v[196:197]
	v_fma_f64 v[194:195], -v[194:195], v[200:201], v[198:199]
	v_div_fmas_f64 v[194:195], v[194:195], v[196:197], v[200:201]
	v_div_fixup_f64 v[150:151], v[194:195], v[150:151], 1.0
	v_mul_f64 v[152:153], v[152:153], -v[150:151]
.LBB37_169:
	s_or_b32 exec_lo, exec_lo, s1
	ds_write2_b64 v1, v[150:151], v[152:153] offset1:1
.LBB37_170:
	s_or_b32 exec_lo, exec_lo, s2
	s_waitcnt lgkmcnt(0)
	s_barrier
	buffer_gl0_inv
	ds_read2_b64 v[150:153], v1 offset1:1
	s_mov_b32 s1, exec_lo
	v_cmpx_lt_u32_e32 18, v0
	s_cbranch_execz .LBB37_172
; %bb.171:
	s_waitcnt lgkmcnt(0)
	v_mul_f64 v[0:1], v[152:153], v[12:13]
	v_mul_f64 v[12:13], v[150:151], v[12:13]
	v_fma_f64 v[0:1], v[150:151], v[10:11], -v[0:1]
	v_fma_f64 v[12:13], v[152:153], v[10:11], v[12:13]
	v_mov_b32_e32 v11, v1
	v_mov_b32_e32 v10, v0
.LBB37_172:
	s_or_b32 exec_lo, exec_lo, s1
	s_waitcnt lgkmcnt(0)
	s_barrier
	buffer_gl0_inv
	s_and_saveexec_b32 s6, s0
	s_cbranch_execz .LBB37_175
; %bb.173:
	v_lshlrev_b64 v[0:1], 2, v[178:179]
	v_cmp_eq_f64_e64 s0, 0, v[80:81]
	v_cmp_neq_f64_e64 s1, 0, v[82:83]
	v_cmp_neq_f64_e64 s2, 0, v[84:85]
	v_cmp_eq_f64_e64 s3, 0, v[86:87]
	v_cmp_eq_f64_e64 s4, 0, v[88:89]
	v_add_co_u32 v0, vcc_lo, s10, v0
	v_add_co_ci_u32_e64 v1, null, s11, v1, vcc_lo
	v_cmp_eq_f64_e32 vcc_lo, 0, v[78:79]
	v_cmp_eq_f64_e64 s5, 0, v[90:91]
	global_load_dword v178, v[0:1], off
	s_or_b32 s1, s1, s2
	v_cmp_eq_f64_e64 s2, 0, v[96:97]
	s_and_b32 s3, s3, s4
	v_cmp_eq_f64_e64 s4, 0, v[100:101]
	s_and_b32 s0, vcc_lo, s0
	v_cmp_eq_f64_e32 vcc_lo, 0, v[92:93]
	v_cndmask_b32_e64 v78, 0, 1, s0
	s_or_b32 s0, s1, s0
	v_cmp_eq_f64_e64 s1, 0, v[94:95]
	v_cndmask_b32_e64 v78, 2, v78, s0
	v_cmp_eq_u32_e64 s0, 0, v78
	s_and_b32 s0, s3, s0
	v_cmp_eq_f64_e64 s3, 0, v[98:99]
	v_cndmask_b32_e64 v78, v78, 3, s0
	s_and_b32 s5, s5, vcc_lo
	v_cmp_eq_u32_e64 s0, 0, v78
	s_and_b32 s1, s1, s2
	v_cmp_eq_f64_e64 s2, 0, v[108:109]
	s_and_b32 s0, s5, s0
	v_cmp_eq_f64_e64 s5, 0, v[104:105]
	v_cndmask_b32_e64 v78, v78, 4, s0
	v_cmp_eq_f64_e64 s0, 0, v[102:103]
	v_cmp_eq_u32_e32 vcc_lo, 0, v78
	s_and_b32 s3, s3, s4
	s_and_b32 s1, s1, vcc_lo
	v_cmp_eq_f64_e64 s4, 0, v[112:113]
	v_cndmask_b32_e64 v78, v78, 5, s1
	v_cmp_eq_f64_e64 s1, 0, v[106:107]
	v_cmp_eq_u32_e32 vcc_lo, 0, v78
	s_and_b32 s3, s3, vcc_lo
	s_and_b32 s0, s0, s5
	v_cndmask_b32_e64 v78, v78, 6, s3
	v_cmp_eq_f64_e64 s3, 0, v[110:111]
	v_cmp_eq_f64_e64 s5, 0, v[116:117]
	v_cmp_eq_u32_e32 vcc_lo, 0, v78
	s_and_b32 s0, s0, vcc_lo
	s_and_b32 s1, s1, s2
	v_cndmask_b32_e64 v78, v78, 7, s0
	v_cmp_eq_f64_e64 s0, 0, v[114:115]
	;; [unrolled: 6-line block ×11, first 2 shown]
	v_cmp_eq_u32_e32 vcc_lo, 0, v78
	s_and_b32 s1, s1, vcc_lo
	v_cndmask_b32_e64 v78, v78, 17, s1
	s_and_b32 s1, s3, s4
	v_cmp_eq_u32_e32 vcc_lo, 0, v78
	s_and_b32 s1, s1, vcc_lo
	s_and_b32 s0, s0, s5
	v_cndmask_b32_e64 v78, v78, 18, s1
	v_cmp_eq_u32_e32 vcc_lo, 0, v78
	s_and_b32 s0, s0, vcc_lo
	v_cndmask_b32_e64 v78, v78, 19, s0
	v_cmp_ne_u32_e64 s0, 0, v78
	s_waitcnt vmcnt(0)
	v_cmp_eq_u32_e32 vcc_lo, 0, v178
	s_and_b32 s0, vcc_lo, s0
	s_and_b32 exec_lo, exec_lo, s0
	s_cbranch_execz .LBB37_175
; %bb.174:
	v_add_nc_u32_e32 v78, s13, v78
	global_store_dword v[0:1], v78, off
.LBB37_175:
	s_or_b32 exec_lo, exec_lo, s6
	global_store_dwordx4 v[160:161], v[6:9], off
	global_store_dwordx4 v[162:163], v[2:5], off
	global_store_dwordx4 v[158:159], v[74:77], off
	global_store_dwordx4 v[156:157], v[70:73], off
	global_store_dwordx4 v[154:155], v[66:69], off
	global_store_dwordx4 v[164:165], v[62:65], off
	global_store_dwordx4 v[166:167], v[58:61], off
	global_store_dwordx4 v[168:169], v[54:57], off
	global_store_dwordx4 v[170:171], v[50:53], off
	global_store_dwordx4 v[172:173], v[46:49], off
	global_store_dwordx4 v[174:175], v[42:45], off
	global_store_dwordx4 v[176:177], v[38:41], off
	global_store_dwordx4 v[180:181], v[34:37], off
	global_store_dwordx4 v[182:183], v[30:33], off
	global_store_dwordx4 v[184:185], v[26:29], off
	global_store_dwordx4 v[190:191], v[22:25], off
	global_store_dwordx4 v[186:187], v[18:21], off
	global_store_dwordx4 v[188:189], v[14:17], off
	global_store_dwordx4 v[192:193], v[10:13], off
.LBB37_176:
	s_endpgm
	.section	.rodata,"a",@progbits
	.p2align	6, 0x0
	.amdhsa_kernel _ZN9rocsolver6v33100L23getf2_npvt_small_kernelILi19E19rocblas_complex_numIdEiiPS3_EEvT1_T3_lS5_lPT2_S5_S5_
		.amdhsa_group_segment_fixed_size 0
		.amdhsa_private_segment_fixed_size 0
		.amdhsa_kernarg_size 312
		.amdhsa_user_sgpr_count 6
		.amdhsa_user_sgpr_private_segment_buffer 1
		.amdhsa_user_sgpr_dispatch_ptr 0
		.amdhsa_user_sgpr_queue_ptr 0
		.amdhsa_user_sgpr_kernarg_segment_ptr 1
		.amdhsa_user_sgpr_dispatch_id 0
		.amdhsa_user_sgpr_flat_scratch_init 0
		.amdhsa_user_sgpr_private_segment_size 0
		.amdhsa_wavefront_size32 1
		.amdhsa_uses_dynamic_stack 0
		.amdhsa_system_sgpr_private_segment_wavefront_offset 0
		.amdhsa_system_sgpr_workgroup_id_x 1
		.amdhsa_system_sgpr_workgroup_id_y 1
		.amdhsa_system_sgpr_workgroup_id_z 0
		.amdhsa_system_sgpr_workgroup_info 0
		.amdhsa_system_vgpr_workitem_id 1
		.amdhsa_next_free_vgpr 251
		.amdhsa_next_free_sgpr 15
		.amdhsa_reserve_vcc 1
		.amdhsa_reserve_flat_scratch 0
		.amdhsa_float_round_mode_32 0
		.amdhsa_float_round_mode_16_64 0
		.amdhsa_float_denorm_mode_32 3
		.amdhsa_float_denorm_mode_16_64 3
		.amdhsa_dx10_clamp 1
		.amdhsa_ieee_mode 1
		.amdhsa_fp16_overflow 0
		.amdhsa_workgroup_processor_mode 1
		.amdhsa_memory_ordered 1
		.amdhsa_forward_progress 1
		.amdhsa_shared_vgpr_count 0
		.amdhsa_exception_fp_ieee_invalid_op 0
		.amdhsa_exception_fp_denorm_src 0
		.amdhsa_exception_fp_ieee_div_zero 0
		.amdhsa_exception_fp_ieee_overflow 0
		.amdhsa_exception_fp_ieee_underflow 0
		.amdhsa_exception_fp_ieee_inexact 0
		.amdhsa_exception_int_div_zero 0
	.end_amdhsa_kernel
	.section	.text._ZN9rocsolver6v33100L23getf2_npvt_small_kernelILi19E19rocblas_complex_numIdEiiPS3_EEvT1_T3_lS5_lPT2_S5_S5_,"axG",@progbits,_ZN9rocsolver6v33100L23getf2_npvt_small_kernelILi19E19rocblas_complex_numIdEiiPS3_EEvT1_T3_lS5_lPT2_S5_S5_,comdat
.Lfunc_end37:
	.size	_ZN9rocsolver6v33100L23getf2_npvt_small_kernelILi19E19rocblas_complex_numIdEiiPS3_EEvT1_T3_lS5_lPT2_S5_S5_, .Lfunc_end37-_ZN9rocsolver6v33100L23getf2_npvt_small_kernelILi19E19rocblas_complex_numIdEiiPS3_EEvT1_T3_lS5_lPT2_S5_S5_
                                        ; -- End function
	.set _ZN9rocsolver6v33100L23getf2_npvt_small_kernelILi19E19rocblas_complex_numIdEiiPS3_EEvT1_T3_lS5_lPT2_S5_S5_.num_vgpr, 251
	.set _ZN9rocsolver6v33100L23getf2_npvt_small_kernelILi19E19rocblas_complex_numIdEiiPS3_EEvT1_T3_lS5_lPT2_S5_S5_.num_agpr, 0
	.set _ZN9rocsolver6v33100L23getf2_npvt_small_kernelILi19E19rocblas_complex_numIdEiiPS3_EEvT1_T3_lS5_lPT2_S5_S5_.numbered_sgpr, 15
	.set _ZN9rocsolver6v33100L23getf2_npvt_small_kernelILi19E19rocblas_complex_numIdEiiPS3_EEvT1_T3_lS5_lPT2_S5_S5_.num_named_barrier, 0
	.set _ZN9rocsolver6v33100L23getf2_npvt_small_kernelILi19E19rocblas_complex_numIdEiiPS3_EEvT1_T3_lS5_lPT2_S5_S5_.private_seg_size, 0
	.set _ZN9rocsolver6v33100L23getf2_npvt_small_kernelILi19E19rocblas_complex_numIdEiiPS3_EEvT1_T3_lS5_lPT2_S5_S5_.uses_vcc, 1
	.set _ZN9rocsolver6v33100L23getf2_npvt_small_kernelILi19E19rocblas_complex_numIdEiiPS3_EEvT1_T3_lS5_lPT2_S5_S5_.uses_flat_scratch, 0
	.set _ZN9rocsolver6v33100L23getf2_npvt_small_kernelILi19E19rocblas_complex_numIdEiiPS3_EEvT1_T3_lS5_lPT2_S5_S5_.has_dyn_sized_stack, 0
	.set _ZN9rocsolver6v33100L23getf2_npvt_small_kernelILi19E19rocblas_complex_numIdEiiPS3_EEvT1_T3_lS5_lPT2_S5_S5_.has_recursion, 0
	.set _ZN9rocsolver6v33100L23getf2_npvt_small_kernelILi19E19rocblas_complex_numIdEiiPS3_EEvT1_T3_lS5_lPT2_S5_S5_.has_indirect_call, 0
	.section	.AMDGPU.csdata,"",@progbits
; Kernel info:
; codeLenInByte = 24452
; TotalNumSgprs: 17
; NumVgprs: 251
; ScratchSize: 0
; MemoryBound: 1
; FloatMode: 240
; IeeeMode: 1
; LDSByteSize: 0 bytes/workgroup (compile time only)
; SGPRBlocks: 0
; VGPRBlocks: 31
; NumSGPRsForWavesPerEU: 17
; NumVGPRsForWavesPerEU: 251
; Occupancy: 4
; WaveLimiterHint : 0
; COMPUTE_PGM_RSRC2:SCRATCH_EN: 0
; COMPUTE_PGM_RSRC2:USER_SGPR: 6
; COMPUTE_PGM_RSRC2:TRAP_HANDLER: 0
; COMPUTE_PGM_RSRC2:TGID_X_EN: 1
; COMPUTE_PGM_RSRC2:TGID_Y_EN: 1
; COMPUTE_PGM_RSRC2:TGID_Z_EN: 0
; COMPUTE_PGM_RSRC2:TIDIG_COMP_CNT: 1
	.section	.text._ZN9rocsolver6v33100L18getf2_small_kernelILi20E19rocblas_complex_numIdEiiPS3_EEvT1_T3_lS5_lPS5_llPT2_S5_S5_S7_l,"axG",@progbits,_ZN9rocsolver6v33100L18getf2_small_kernelILi20E19rocblas_complex_numIdEiiPS3_EEvT1_T3_lS5_lPS5_llPT2_S5_S5_S7_l,comdat
	.globl	_ZN9rocsolver6v33100L18getf2_small_kernelILi20E19rocblas_complex_numIdEiiPS3_EEvT1_T3_lS5_lPS5_llPT2_S5_S5_S7_l ; -- Begin function _ZN9rocsolver6v33100L18getf2_small_kernelILi20E19rocblas_complex_numIdEiiPS3_EEvT1_T3_lS5_lPS5_llPT2_S5_S5_S7_l
	.p2align	8
	.type	_ZN9rocsolver6v33100L18getf2_small_kernelILi20E19rocblas_complex_numIdEiiPS3_EEvT1_T3_lS5_lPS5_llPT2_S5_S5_S7_l,@function
_ZN9rocsolver6v33100L18getf2_small_kernelILi20E19rocblas_complex_numIdEiiPS3_EEvT1_T3_lS5_lPS5_llPT2_S5_S5_S7_l: ; @_ZN9rocsolver6v33100L18getf2_small_kernelILi20E19rocblas_complex_numIdEiiPS3_EEvT1_T3_lS5_lPS5_llPT2_S5_S5_S7_l
; %bb.0:
	s_clause 0x1
	s_load_dword s0, s[4:5], 0x6c
	s_load_dwordx2 s[16:17], s[4:5], 0x48
	s_waitcnt lgkmcnt(0)
	s_lshr_b32 s0, s0, 16
	v_mad_u64_u32 v[86:87], null, s7, s0, v[1:2]
	s_mov_b32 s0, exec_lo
	v_cmpx_gt_i32_e64 s16, v86
	s_cbranch_execz .LBB38_423
; %bb.1:
	s_load_dwordx4 s[0:3], s[4:5], 0x50
	v_mov_b32_e32 v88, 0
	v_ashrrev_i32_e32 v87, 31, v86
	v_mov_b32_e32 v89, 0
	s_waitcnt lgkmcnt(0)
	s_cmp_eq_u64 s[0:1], 0
	s_cselect_b32 s16, -1, 0
	s_and_b32 vcc_lo, exec_lo, s16
	s_cbranch_vccnz .LBB38_3
; %bb.2:
	v_mul_lo_u32 v4, s3, v86
	v_mul_lo_u32 v5, s2, v87
	v_mad_u64_u32 v[2:3], null, s2, v86, 0
	v_add3_u32 v3, v3, v5, v4
	v_lshlrev_b64 v[2:3], 2, v[2:3]
	v_add_co_u32 v88, vcc_lo, s0, v2
	v_add_co_ci_u32_e64 v89, null, s1, v3, vcc_lo
.LBB38_3:
	s_clause 0x2
	s_load_dwordx8 s[8:15], s[4:5], 0x20
	s_load_dword s6, s[4:5], 0x18
	s_load_dwordx4 s[0:3], s[4:5], 0x8
	v_lshlrev_b32_e32 v92, 4, v0
	s_clause 0x1
	s_load_dword s18, s[4:5], 0x0
	s_load_dwordx2 s[4:5], s[4:5], 0x40
	s_waitcnt lgkmcnt(0)
	v_mul_lo_u32 v5, s9, v86
	v_mul_lo_u32 v7, s8, v87
	v_mad_u64_u32 v[2:3], null, s8, v86, 0
	v_add3_u32 v4, s6, s6, v0
	s_lshl_b64 s[2:3], s[2:3], 4
	s_ashr_i32 s7, s6, 31
	s_lshl_b64 s[8:9], s[6:7], 4
	v_add_nc_u32_e32 v6, s6, v4
	v_add3_u32 v3, v3, v7, v5
	v_ashrrev_i32_e32 v5, 31, v4
	v_add_nc_u32_e32 v8, s6, v6
	v_lshlrev_b64 v[2:3], 4, v[2:3]
	v_ashrrev_i32_e32 v7, 31, v6
	v_lshlrev_b64 v[4:5], 4, v[4:5]
	v_add_nc_u32_e32 v10, s6, v8
	v_ashrrev_i32_e32 v9, 31, v8
	v_add_co_u32 v12, vcc_lo, s0, v2
	v_add_co_ci_u32_e64 v3, null, s1, v3, vcc_lo
	v_add_nc_u32_e32 v2, s6, v10
	v_add_co_u32 v93, vcc_lo, v12, s2
	v_add_co_ci_u32_e64 v94, null, s3, v3, vcc_lo
	v_lshlrev_b64 v[6:7], 4, v[6:7]
	v_ashrrev_i32_e32 v11, 31, v10
	v_add_nc_u32_e32 v12, s6, v2
	v_add_co_u32 v14, vcc_lo, v93, v92
	v_lshlrev_b64 v[8:9], 4, v[8:9]
	v_add_co_ci_u32_e64 v15, null, 0, v94, vcc_lo
	v_add_co_u32 v4, vcc_lo, v93, v4
	v_lshlrev_b64 v[10:11], 4, v[10:11]
	v_add_co_ci_u32_e64 v5, null, v94, v5, vcc_lo
	v_add_co_u32 v6, vcc_lo, v93, v6
	v_add_nc_u32_e32 v16, s6, v12
	v_add_co_ci_u32_e64 v7, null, v94, v7, vcc_lo
	v_add_co_u32 v8, vcc_lo, v93, v8
	v_add_co_ci_u32_e64 v9, null, v94, v9, vcc_lo
	v_add_co_u32 v10, vcc_lo, v93, v10
	s_clause 0x2
	global_load_dwordx4 v[70:73], v[14:15], off
	global_load_dwordx4 v[74:77], v[4:5], off
	;; [unrolled: 1-line block ×3, first 2 shown]
	v_add_nc_u32_e32 v6, s6, v16
	v_add_co_ci_u32_e64 v11, null, v94, v11, vcc_lo
	v_ashrrev_i32_e32 v13, 31, v12
	s_clause 0x1
	global_load_dwordx4 v[58:61], v[8:9], off
	global_load_dwordx4 v[42:45], v[10:11], off
	v_add_nc_u32_e32 v10, s6, v6
	v_ashrrev_i32_e32 v17, 31, v16
	v_lshlrev_b64 v[4:5], 4, v[12:13]
	v_ashrrev_i32_e32 v3, 31, v2
	v_ashrrev_i32_e32 v7, 31, v6
	v_add_nc_u32_e32 v12, s6, v10
	v_lshlrev_b64 v[8:9], 4, v[16:17]
	v_ashrrev_i32_e32 v11, 31, v10
	v_lshlrev_b64 v[2:3], 4, v[2:3]
	v_add_co_u32 v14, vcc_lo, v14, s8
	v_add_nc_u32_e32 v16, s6, v12
	v_ashrrev_i32_e32 v13, 31, v12
	v_add_co_ci_u32_e64 v15, null, s9, v15, vcc_lo
	v_add_co_u32 v2, vcc_lo, v93, v2
	v_add_nc_u32_e32 v18, s6, v16
	v_lshlrev_b64 v[6:7], 4, v[6:7]
	v_ashrrev_i32_e32 v17, 31, v16
	v_add_co_ci_u32_e64 v3, null, v94, v3, vcc_lo
	v_add_nc_u32_e32 v20, s6, v18
	v_add_co_u32 v4, vcc_lo, v93, v4
	v_lshlrev_b64 v[10:11], 4, v[10:11]
	v_ashrrev_i32_e32 v19, 31, v18
	v_add_nc_u32_e32 v22, s6, v20
	v_add_co_ci_u32_e64 v5, null, v94, v5, vcc_lo
	v_add_co_u32 v8, vcc_lo, v93, v8
	v_lshlrev_b64 v[12:13], 4, v[12:13]
	v_ashrrev_i32_e32 v21, 31, v20
	v_add_nc_u32_e32 v24, s6, v22
	v_add_co_ci_u32_e64 v9, null, v94, v9, vcc_lo
	v_add_co_u32 v6, vcc_lo, v93, v6
	v_lshlrev_b64 v[16:17], 4, v[16:17]
	v_ashrrev_i32_e32 v23, 31, v22
	v_add_co_ci_u32_e64 v7, null, v94, v7, vcc_lo
	v_add_co_u32 v10, vcc_lo, v93, v10
	v_lshlrev_b64 v[18:19], 4, v[18:19]
	v_add_co_ci_u32_e64 v11, null, v94, v11, vcc_lo
	v_add_co_u32 v12, vcc_lo, v93, v12
	v_lshlrev_b64 v[20:21], 4, v[20:21]
	v_add_nc_u32_e32 v26, s6, v24
	v_add_co_ci_u32_e64 v13, null, v94, v13, vcc_lo
	v_add_co_u32 v16, vcc_lo, v93, v16
	v_lshlrev_b64 v[22:23], 4, v[22:23]
	v_add_co_ci_u32_e64 v17, null, v94, v17, vcc_lo
	v_add_co_u32 v18, vcc_lo, v93, v18
	v_ashrrev_i32_e32 v25, 31, v24
	v_ashrrev_i32_e32 v27, 31, v26
	v_add_nc_u32_e32 v28, s6, v26
	v_add_co_ci_u32_e64 v19, null, v94, v19, vcc_lo
	v_add_co_u32 v20, vcc_lo, v93, v20
	v_add_co_ci_u32_e64 v21, null, v94, v21, vcc_lo
	v_add_co_u32 v82, vcc_lo, v93, v22
	v_lshlrev_b64 v[24:25], 4, v[24:25]
	v_add_co_ci_u32_e64 v83, null, v94, v23, vcc_lo
	v_lshlrev_b64 v[22:23], 4, v[26:27]
	v_add_nc_u32_e32 v26, s6, v28
	v_ashrrev_i32_e32 v29, 31, v28
	v_add_co_u32 v84, vcc_lo, v93, v24
	v_add_co_ci_u32_e64 v85, null, v94, v25, vcc_lo
	v_ashrrev_i32_e32 v27, 31, v26
	v_lshlrev_b64 v[24:25], 4, v[28:29]
	v_add_co_u32 v90, vcc_lo, v93, v22
	v_add_co_ci_u32_e64 v91, null, v94, v23, vcc_lo
	v_lshlrev_b64 v[22:23], 4, v[26:27]
	v_add_co_u32 v95, vcc_lo, v93, v24
	v_add_co_ci_u32_e64 v96, null, v94, v25, vcc_lo
	s_max_i32 s0, s18, 20
	v_add_co_u32 v97, vcc_lo, v93, v22
	v_add_co_ci_u32_e64 v98, null, v94, v23, vcc_lo
	s_clause 0xe
	global_load_dwordx4 v[78:81], v[14:15], off
	global_load_dwordx4 v[66:69], v[2:3], off
	;; [unrolled: 1-line block ×15, first 2 shown]
	v_mul_lo_u32 v90, s0, v1
	s_cmp_lt_i32 s18, 2
	v_lshl_add_u32 v1, v90, 4, 0
	v_add_nc_u32_e32 v82, v1, v92
	v_lshlrev_b32_e32 v92, 4, v90
	v_mov_b32_e32 v90, 0
	s_waitcnt vmcnt(19)
	ds_write2_b64 v82, v[70:71], v[72:73] offset1:1
	s_waitcnt vmcnt(0) lgkmcnt(0)
	s_barrier
	buffer_gl0_inv
	ds_read2_b64 v[82:85], v1 offset1:1
	s_cbranch_scc1 .LBB38_6
; %bb.4:
	v_add3_u32 v91, v92, 0, 16
	v_mov_b32_e32 v90, 0
	s_mov_b32 s3, 1
	s_inst_prefetch 0x1
	.p2align	6
.LBB38_5:                               ; =>This Inner Loop Header: Depth=1
	ds_read2_b64 v[95:98], v91 offset1:1
	s_waitcnt lgkmcnt(1)
	v_cmp_gt_f64_e32 vcc_lo, 0, v[82:83]
	v_cmp_gt_f64_e64 s0, 0, v[84:85]
	v_xor_b32_e32 v100, 0x80000000, v83
	v_xor_b32_e32 v102, 0x80000000, v85
	v_mov_b32_e32 v99, v82
	v_mov_b32_e32 v101, v84
	v_add_nc_u32_e32 v91, 16, v91
	s_waitcnt lgkmcnt(0)
	v_cmp_gt_f64_e64 s1, 0, v[95:96]
	v_cmp_gt_f64_e64 s2, 0, v[97:98]
	v_xor_b32_e32 v104, 0x80000000, v96
	v_xor_b32_e32 v106, 0x80000000, v98
	v_mov_b32_e32 v103, v95
	v_mov_b32_e32 v105, v97
	v_cndmask_b32_e32 v100, v83, v100, vcc_lo
	v_cndmask_b32_e64 v102, v85, v102, s0
	v_add_f64 v[99:100], v[99:100], v[101:102]
	v_cndmask_b32_e64 v104, v96, v104, s1
	v_cndmask_b32_e64 v106, v98, v106, s2
	v_add_f64 v[101:102], v[103:104], v[105:106]
	v_cmp_lt_f64_e32 vcc_lo, v[99:100], v[101:102]
	v_cndmask_b32_e32 v83, v83, v96, vcc_lo
	v_cndmask_b32_e32 v82, v82, v95, vcc_lo
	;; [unrolled: 1-line block ×4, first 2 shown]
	v_cndmask_b32_e64 v90, v90, s3, vcc_lo
	s_add_i32 s3, s3, 1
	s_cmp_eq_u32 s18, s3
	s_cbranch_scc0 .LBB38_5
.LBB38_6:
	s_inst_prefetch 0x2
	s_waitcnt lgkmcnt(0)
	v_cmp_neq_f64_e32 vcc_lo, 0, v[82:83]
	v_cmp_neq_f64_e64 s0, 0, v[84:85]
	v_mov_b32_e32 v95, 1
	v_mov_b32_e32 v97, 1
	s_or_b32 s1, vcc_lo, s0
	s_and_saveexec_b32 s0, s1
	s_cbranch_execz .LBB38_12
; %bb.7:
	v_cmp_ngt_f64_e64 s1, |v[82:83]|, |v[84:85]|
	s_and_saveexec_b32 s2, s1
	s_xor_b32 s1, exec_lo, s2
	s_cbranch_execz .LBB38_9
; %bb.8:
	v_div_scale_f64 v[95:96], null, v[84:85], v[84:85], v[82:83]
	v_div_scale_f64 v[101:102], vcc_lo, v[82:83], v[84:85], v[82:83]
	v_rcp_f64_e32 v[97:98], v[95:96]
	v_fma_f64 v[99:100], -v[95:96], v[97:98], 1.0
	v_fma_f64 v[97:98], v[97:98], v[99:100], v[97:98]
	v_fma_f64 v[99:100], -v[95:96], v[97:98], 1.0
	v_fma_f64 v[97:98], v[97:98], v[99:100], v[97:98]
	v_mul_f64 v[99:100], v[101:102], v[97:98]
	v_fma_f64 v[95:96], -v[95:96], v[99:100], v[101:102]
	v_div_fmas_f64 v[95:96], v[95:96], v[97:98], v[99:100]
	v_div_fixup_f64 v[95:96], v[95:96], v[84:85], v[82:83]
	v_fma_f64 v[82:83], v[82:83], v[95:96], v[84:85]
	v_div_scale_f64 v[84:85], null, v[82:83], v[82:83], 1.0
	v_rcp_f64_e32 v[97:98], v[84:85]
	v_fma_f64 v[99:100], -v[84:85], v[97:98], 1.0
	v_fma_f64 v[97:98], v[97:98], v[99:100], v[97:98]
	v_fma_f64 v[99:100], -v[84:85], v[97:98], 1.0
	v_fma_f64 v[97:98], v[97:98], v[99:100], v[97:98]
	v_div_scale_f64 v[99:100], vcc_lo, 1.0, v[82:83], 1.0
	v_mul_f64 v[101:102], v[99:100], v[97:98]
	v_fma_f64 v[84:85], -v[84:85], v[101:102], v[99:100]
	v_div_fmas_f64 v[84:85], v[84:85], v[97:98], v[101:102]
	v_div_fixup_f64 v[84:85], v[84:85], v[82:83], 1.0
	v_mul_f64 v[82:83], v[95:96], v[84:85]
	v_xor_b32_e32 v85, 0x80000000, v85
.LBB38_9:
	s_andn2_saveexec_b32 s1, s1
	s_cbranch_execz .LBB38_11
; %bb.10:
	v_div_scale_f64 v[95:96], null, v[82:83], v[82:83], v[84:85]
	v_div_scale_f64 v[101:102], vcc_lo, v[84:85], v[82:83], v[84:85]
	v_rcp_f64_e32 v[97:98], v[95:96]
	v_fma_f64 v[99:100], -v[95:96], v[97:98], 1.0
	v_fma_f64 v[97:98], v[97:98], v[99:100], v[97:98]
	v_fma_f64 v[99:100], -v[95:96], v[97:98], 1.0
	v_fma_f64 v[97:98], v[97:98], v[99:100], v[97:98]
	v_mul_f64 v[99:100], v[101:102], v[97:98]
	v_fma_f64 v[95:96], -v[95:96], v[99:100], v[101:102]
	v_div_fmas_f64 v[95:96], v[95:96], v[97:98], v[99:100]
	v_div_fixup_f64 v[95:96], v[95:96], v[82:83], v[84:85]
	v_fma_f64 v[82:83], v[84:85], v[95:96], v[82:83]
	v_div_scale_f64 v[84:85], null, v[82:83], v[82:83], 1.0
	v_rcp_f64_e32 v[97:98], v[84:85]
	v_fma_f64 v[99:100], -v[84:85], v[97:98], 1.0
	v_fma_f64 v[97:98], v[97:98], v[99:100], v[97:98]
	v_fma_f64 v[99:100], -v[84:85], v[97:98], 1.0
	v_fma_f64 v[97:98], v[97:98], v[99:100], v[97:98]
	v_div_scale_f64 v[99:100], vcc_lo, 1.0, v[82:83], 1.0
	v_mul_f64 v[101:102], v[99:100], v[97:98]
	v_fma_f64 v[84:85], -v[84:85], v[101:102], v[99:100]
	v_div_fmas_f64 v[84:85], v[84:85], v[97:98], v[101:102]
	v_div_fixup_f64 v[82:83], v[84:85], v[82:83], 1.0
	v_mul_f64 v[84:85], v[95:96], -v[82:83]
.LBB38_11:
	s_or_b32 exec_lo, exec_lo, s1
	v_mov_b32_e32 v97, 0
	v_mov_b32_e32 v95, 2
.LBB38_12:
	s_or_b32 exec_lo, exec_lo, s0
	s_mov_b32 s0, exec_lo
	v_cmpx_ne_u32_e64 v0, v90
	s_xor_b32 s0, exec_lo, s0
	s_cbranch_execz .LBB38_18
; %bb.13:
	s_mov_b32 s1, exec_lo
	v_cmpx_eq_u32_e32 0, v0
	s_cbranch_execz .LBB38_17
; %bb.14:
	v_cmp_ne_u32_e32 vcc_lo, 0, v90
	s_xor_b32 s2, s16, -1
	s_and_b32 s3, s2, vcc_lo
	s_and_saveexec_b32 s2, s3
	s_cbranch_execz .LBB38_16
; %bb.15:
	v_ashrrev_i32_e32 v91, 31, v90
	v_lshlrev_b64 v[98:99], 2, v[90:91]
	v_add_co_u32 v98, vcc_lo, v88, v98
	v_add_co_ci_u32_e64 v99, null, v89, v99, vcc_lo
	s_clause 0x1
	global_load_dword v0, v[98:99], off
	global_load_dword v91, v[88:89], off
	s_waitcnt vmcnt(1)
	global_store_dword v[88:89], v0, off
	s_waitcnt vmcnt(0)
	global_store_dword v[98:99], v91, off
.LBB38_16:
	s_or_b32 exec_lo, exec_lo, s2
	v_mov_b32_e32 v0, v90
.LBB38_17:
	s_or_b32 exec_lo, exec_lo, s1
.LBB38_18:
	s_or_saveexec_b32 s0, s0
	v_mov_b32_e32 v96, v0
	s_xor_b32 exec_lo, exec_lo, s0
	s_cbranch_execz .LBB38_20
; %bb.19:
	v_mov_b32_e32 v96, 0
	ds_write2_b64 v1, v[78:79], v[80:81] offset0:2 offset1:3
	ds_write2_b64 v1, v[74:75], v[76:77] offset0:4 offset1:5
	;; [unrolled: 1-line block ×19, first 2 shown]
.LBB38_20:
	s_or_b32 exec_lo, exec_lo, s0
	s_mov_b32 s0, exec_lo
	s_waitcnt lgkmcnt(0)
	s_waitcnt_vscnt null, 0x0
	s_barrier
	buffer_gl0_inv
	v_cmpx_lt_i32_e32 0, v96
	s_cbranch_execz .LBB38_22
; %bb.21:
	v_mul_f64 v[90:91], v[84:85], v[72:73]
	v_mul_f64 v[72:73], v[82:83], v[72:73]
	v_fma_f64 v[90:91], v[82:83], v[70:71], -v[90:91]
	v_fma_f64 v[72:73], v[84:85], v[70:71], v[72:73]
	ds_read2_b64 v[82:85], v1 offset0:2 offset1:3
	s_waitcnt lgkmcnt(0)
	v_mul_f64 v[70:71], v[84:85], v[72:73]
	v_fma_f64 v[70:71], v[82:83], v[90:91], -v[70:71]
	v_mul_f64 v[82:83], v[82:83], v[72:73]
	v_add_f64 v[78:79], v[78:79], -v[70:71]
	v_fma_f64 v[82:83], v[84:85], v[90:91], v[82:83]
	v_add_f64 v[80:81], v[80:81], -v[82:83]
	ds_read2_b64 v[82:85], v1 offset0:4 offset1:5
	s_waitcnt lgkmcnt(0)
	v_mul_f64 v[70:71], v[84:85], v[72:73]
	v_fma_f64 v[70:71], v[82:83], v[90:91], -v[70:71]
	v_mul_f64 v[82:83], v[82:83], v[72:73]
	v_add_f64 v[74:75], v[74:75], -v[70:71]
	v_fma_f64 v[82:83], v[84:85], v[90:91], v[82:83]
	v_add_f64 v[76:77], v[76:77], -v[82:83]
	ds_read2_b64 v[82:85], v1 offset0:6 offset1:7
	s_waitcnt lgkmcnt(0)
	v_mul_f64 v[70:71], v[84:85], v[72:73]
	v_fma_f64 v[70:71], v[82:83], v[90:91], -v[70:71]
	v_mul_f64 v[82:83], v[82:83], v[72:73]
	v_add_f64 v[54:55], v[54:55], -v[70:71]
	v_fma_f64 v[82:83], v[84:85], v[90:91], v[82:83]
	v_add_f64 v[56:57], v[56:57], -v[82:83]
	ds_read2_b64 v[82:85], v1 offset0:8 offset1:9
	s_waitcnt lgkmcnt(0)
	v_mul_f64 v[70:71], v[84:85], v[72:73]
	v_fma_f64 v[70:71], v[82:83], v[90:91], -v[70:71]
	v_mul_f64 v[82:83], v[82:83], v[72:73]
	v_add_f64 v[58:59], v[58:59], -v[70:71]
	v_fma_f64 v[82:83], v[84:85], v[90:91], v[82:83]
	v_add_f64 v[60:61], v[60:61], -v[82:83]
	ds_read2_b64 v[82:85], v1 offset0:10 offset1:11
	s_waitcnt lgkmcnt(0)
	v_mul_f64 v[70:71], v[84:85], v[72:73]
	v_fma_f64 v[70:71], v[82:83], v[90:91], -v[70:71]
	v_mul_f64 v[82:83], v[82:83], v[72:73]
	v_add_f64 v[42:43], v[42:43], -v[70:71]
	v_fma_f64 v[82:83], v[84:85], v[90:91], v[82:83]
	v_add_f64 v[44:45], v[44:45], -v[82:83]
	ds_read2_b64 v[82:85], v1 offset0:12 offset1:13
	s_waitcnt lgkmcnt(0)
	v_mul_f64 v[70:71], v[84:85], v[72:73]
	v_fma_f64 v[70:71], v[82:83], v[90:91], -v[70:71]
	v_mul_f64 v[82:83], v[82:83], v[72:73]
	v_add_f64 v[66:67], v[66:67], -v[70:71]
	v_fma_f64 v[82:83], v[84:85], v[90:91], v[82:83]
	v_add_f64 v[68:69], v[68:69], -v[82:83]
	ds_read2_b64 v[82:85], v1 offset0:14 offset1:15
	s_waitcnt lgkmcnt(0)
	v_mul_f64 v[70:71], v[84:85], v[72:73]
	v_fma_f64 v[70:71], v[82:83], v[90:91], -v[70:71]
	v_mul_f64 v[82:83], v[82:83], v[72:73]
	v_add_f64 v[62:63], v[62:63], -v[70:71]
	v_fma_f64 v[82:83], v[84:85], v[90:91], v[82:83]
	v_add_f64 v[64:65], v[64:65], -v[82:83]
	ds_read2_b64 v[82:85], v1 offset0:16 offset1:17
	s_waitcnt lgkmcnt(0)
	v_mul_f64 v[70:71], v[84:85], v[72:73]
	v_fma_f64 v[70:71], v[82:83], v[90:91], -v[70:71]
	v_mul_f64 v[82:83], v[82:83], v[72:73]
	v_add_f64 v[50:51], v[50:51], -v[70:71]
	v_fma_f64 v[82:83], v[84:85], v[90:91], v[82:83]
	v_add_f64 v[52:53], v[52:53], -v[82:83]
	ds_read2_b64 v[82:85], v1 offset0:18 offset1:19
	s_waitcnt lgkmcnt(0)
	v_mul_f64 v[70:71], v[84:85], v[72:73]
	v_fma_f64 v[70:71], v[82:83], v[90:91], -v[70:71]
	v_mul_f64 v[82:83], v[82:83], v[72:73]
	v_add_f64 v[46:47], v[46:47], -v[70:71]
	v_fma_f64 v[82:83], v[84:85], v[90:91], v[82:83]
	v_add_f64 v[48:49], v[48:49], -v[82:83]
	ds_read2_b64 v[82:85], v1 offset0:20 offset1:21
	s_waitcnt lgkmcnt(0)
	v_mul_f64 v[70:71], v[84:85], v[72:73]
	v_fma_f64 v[70:71], v[82:83], v[90:91], -v[70:71]
	v_mul_f64 v[82:83], v[82:83], v[72:73]
	v_add_f64 v[38:39], v[38:39], -v[70:71]
	v_fma_f64 v[82:83], v[84:85], v[90:91], v[82:83]
	v_add_f64 v[40:41], v[40:41], -v[82:83]
	ds_read2_b64 v[82:85], v1 offset0:22 offset1:23
	s_waitcnt lgkmcnt(0)
	v_mul_f64 v[70:71], v[84:85], v[72:73]
	v_fma_f64 v[70:71], v[82:83], v[90:91], -v[70:71]
	v_mul_f64 v[82:83], v[82:83], v[72:73]
	v_add_f64 v[34:35], v[34:35], -v[70:71]
	v_fma_f64 v[82:83], v[84:85], v[90:91], v[82:83]
	v_add_f64 v[36:37], v[36:37], -v[82:83]
	ds_read2_b64 v[82:85], v1 offset0:24 offset1:25
	s_waitcnt lgkmcnt(0)
	v_mul_f64 v[70:71], v[84:85], v[72:73]
	v_fma_f64 v[70:71], v[82:83], v[90:91], -v[70:71]
	v_mul_f64 v[82:83], v[82:83], v[72:73]
	v_add_f64 v[30:31], v[30:31], -v[70:71]
	v_fma_f64 v[82:83], v[84:85], v[90:91], v[82:83]
	v_add_f64 v[32:33], v[32:33], -v[82:83]
	ds_read2_b64 v[82:85], v1 offset0:26 offset1:27
	s_waitcnt lgkmcnt(0)
	v_mul_f64 v[70:71], v[84:85], v[72:73]
	v_fma_f64 v[70:71], v[82:83], v[90:91], -v[70:71]
	v_mul_f64 v[82:83], v[82:83], v[72:73]
	v_add_f64 v[26:27], v[26:27], -v[70:71]
	v_fma_f64 v[82:83], v[84:85], v[90:91], v[82:83]
	v_add_f64 v[28:29], v[28:29], -v[82:83]
	ds_read2_b64 v[82:85], v1 offset0:28 offset1:29
	s_waitcnt lgkmcnt(0)
	v_mul_f64 v[70:71], v[84:85], v[72:73]
	v_fma_f64 v[70:71], v[82:83], v[90:91], -v[70:71]
	v_mul_f64 v[82:83], v[82:83], v[72:73]
	v_add_f64 v[22:23], v[22:23], -v[70:71]
	v_fma_f64 v[82:83], v[84:85], v[90:91], v[82:83]
	v_add_f64 v[24:25], v[24:25], -v[82:83]
	ds_read2_b64 v[82:85], v1 offset0:30 offset1:31
	s_waitcnt lgkmcnt(0)
	v_mul_f64 v[70:71], v[84:85], v[72:73]
	v_fma_f64 v[70:71], v[82:83], v[90:91], -v[70:71]
	v_mul_f64 v[82:83], v[82:83], v[72:73]
	v_add_f64 v[18:19], v[18:19], -v[70:71]
	v_fma_f64 v[82:83], v[84:85], v[90:91], v[82:83]
	v_add_f64 v[20:21], v[20:21], -v[82:83]
	ds_read2_b64 v[82:85], v1 offset0:32 offset1:33
	s_waitcnt lgkmcnt(0)
	v_mul_f64 v[70:71], v[84:85], v[72:73]
	v_fma_f64 v[70:71], v[82:83], v[90:91], -v[70:71]
	v_mul_f64 v[82:83], v[82:83], v[72:73]
	v_add_f64 v[14:15], v[14:15], -v[70:71]
	v_fma_f64 v[82:83], v[84:85], v[90:91], v[82:83]
	v_add_f64 v[16:17], v[16:17], -v[82:83]
	ds_read2_b64 v[82:85], v1 offset0:34 offset1:35
	s_waitcnt lgkmcnt(0)
	v_mul_f64 v[70:71], v[84:85], v[72:73]
	v_fma_f64 v[70:71], v[82:83], v[90:91], -v[70:71]
	v_mul_f64 v[82:83], v[82:83], v[72:73]
	v_add_f64 v[10:11], v[10:11], -v[70:71]
	v_fma_f64 v[82:83], v[84:85], v[90:91], v[82:83]
	v_add_f64 v[12:13], v[12:13], -v[82:83]
	ds_read2_b64 v[82:85], v1 offset0:36 offset1:37
	s_waitcnt lgkmcnt(0)
	v_mul_f64 v[70:71], v[84:85], v[72:73]
	v_fma_f64 v[70:71], v[82:83], v[90:91], -v[70:71]
	v_mul_f64 v[82:83], v[82:83], v[72:73]
	v_add_f64 v[6:7], v[6:7], -v[70:71]
	v_fma_f64 v[82:83], v[84:85], v[90:91], v[82:83]
	v_add_f64 v[8:9], v[8:9], -v[82:83]
	ds_read2_b64 v[82:85], v1 offset0:38 offset1:39
	s_waitcnt lgkmcnt(0)
	v_mul_f64 v[70:71], v[84:85], v[72:73]
	v_fma_f64 v[70:71], v[82:83], v[90:91], -v[70:71]
	v_mul_f64 v[82:83], v[82:83], v[72:73]
	v_add_f64 v[2:3], v[2:3], -v[70:71]
	v_fma_f64 v[82:83], v[84:85], v[90:91], v[82:83]
	v_mov_b32_e32 v70, v90
	v_mov_b32_e32 v71, v91
	v_add_f64 v[4:5], v[4:5], -v[82:83]
.LBB38_22:
	s_or_b32 exec_lo, exec_lo, s0
	v_lshl_add_u32 v82, v96, 4, v1
	s_barrier
	buffer_gl0_inv
	v_mov_b32_e32 v90, 1
	ds_write2_b64 v82, v[78:79], v[80:81] offset1:1
	s_waitcnt lgkmcnt(0)
	s_barrier
	buffer_gl0_inv
	ds_read2_b64 v[82:85], v1 offset0:2 offset1:3
	s_cmp_lt_i32 s18, 3
	s_cbranch_scc1 .LBB38_25
; %bb.23:
	v_add3_u32 v91, v92, 0, 32
	v_mov_b32_e32 v90, 1
	s_mov_b32 s1, 2
	s_inst_prefetch 0x1
	.p2align	6
.LBB38_24:                              ; =>This Inner Loop Header: Depth=1
	s_waitcnt lgkmcnt(0)
	v_cmp_gt_f64_e32 vcc_lo, 0, v[84:85]
	v_cmp_gt_f64_e64 s0, 0, v[82:83]
	ds_read2_b64 v[98:101], v91 offset1:1
	v_xor_b32_e32 v103, 0x80000000, v83
	v_xor_b32_e32 v105, 0x80000000, v85
	v_mov_b32_e32 v102, v82
	v_mov_b32_e32 v104, v84
	v_add_nc_u32_e32 v91, 16, v91
	s_waitcnt lgkmcnt(0)
	v_xor_b32_e32 v107, 0x80000000, v101
	v_cndmask_b32_e64 v103, v83, v103, s0
	v_cndmask_b32_e32 v105, v85, v105, vcc_lo
	v_cmp_gt_f64_e32 vcc_lo, 0, v[100:101]
	v_cmp_gt_f64_e64 s0, 0, v[98:99]
	v_mov_b32_e32 v106, v100
	v_add_f64 v[102:103], v[102:103], v[104:105]
	v_xor_b32_e32 v105, 0x80000000, v99
	v_mov_b32_e32 v104, v98
	v_cndmask_b32_e32 v107, v101, v107, vcc_lo
	v_cndmask_b32_e64 v105, v99, v105, s0
	v_add_f64 v[104:105], v[104:105], v[106:107]
	v_cmp_lt_f64_e32 vcc_lo, v[102:103], v[104:105]
	v_cndmask_b32_e32 v83, v83, v99, vcc_lo
	v_cndmask_b32_e32 v82, v82, v98, vcc_lo
	;; [unrolled: 1-line block ×4, first 2 shown]
	v_cndmask_b32_e64 v90, v90, s1, vcc_lo
	s_add_i32 s1, s1, 1
	s_cmp_lg_u32 s18, s1
	s_cbranch_scc1 .LBB38_24
.LBB38_25:
	s_inst_prefetch 0x2
	s_waitcnt lgkmcnt(0)
	v_cmp_neq_f64_e32 vcc_lo, 0, v[82:83]
	v_cmp_neq_f64_e64 s0, 0, v[84:85]
	s_or_b32 s1, vcc_lo, s0
	s_and_saveexec_b32 s0, s1
	s_cbranch_execz .LBB38_31
; %bb.26:
	v_cmp_ngt_f64_e64 s1, |v[82:83]|, |v[84:85]|
	s_and_saveexec_b32 s2, s1
	s_xor_b32 s1, exec_lo, s2
	s_cbranch_execz .LBB38_28
; %bb.27:
	v_div_scale_f64 v[98:99], null, v[84:85], v[84:85], v[82:83]
	v_div_scale_f64 v[104:105], vcc_lo, v[82:83], v[84:85], v[82:83]
	v_rcp_f64_e32 v[100:101], v[98:99]
	v_fma_f64 v[102:103], -v[98:99], v[100:101], 1.0
	v_fma_f64 v[100:101], v[100:101], v[102:103], v[100:101]
	v_fma_f64 v[102:103], -v[98:99], v[100:101], 1.0
	v_fma_f64 v[100:101], v[100:101], v[102:103], v[100:101]
	v_mul_f64 v[102:103], v[104:105], v[100:101]
	v_fma_f64 v[98:99], -v[98:99], v[102:103], v[104:105]
	v_div_fmas_f64 v[98:99], v[98:99], v[100:101], v[102:103]
	v_div_fixup_f64 v[98:99], v[98:99], v[84:85], v[82:83]
	v_fma_f64 v[82:83], v[82:83], v[98:99], v[84:85]
	v_div_scale_f64 v[84:85], null, v[82:83], v[82:83], 1.0
	v_rcp_f64_e32 v[100:101], v[84:85]
	v_fma_f64 v[102:103], -v[84:85], v[100:101], 1.0
	v_fma_f64 v[100:101], v[100:101], v[102:103], v[100:101]
	v_fma_f64 v[102:103], -v[84:85], v[100:101], 1.0
	v_fma_f64 v[100:101], v[100:101], v[102:103], v[100:101]
	v_div_scale_f64 v[102:103], vcc_lo, 1.0, v[82:83], 1.0
	v_mul_f64 v[104:105], v[102:103], v[100:101]
	v_fma_f64 v[84:85], -v[84:85], v[104:105], v[102:103]
	v_div_fmas_f64 v[84:85], v[84:85], v[100:101], v[104:105]
	v_div_fixup_f64 v[84:85], v[84:85], v[82:83], 1.0
	v_mul_f64 v[82:83], v[98:99], v[84:85]
	v_xor_b32_e32 v85, 0x80000000, v85
.LBB38_28:
	s_andn2_saveexec_b32 s1, s1
	s_cbranch_execz .LBB38_30
; %bb.29:
	v_div_scale_f64 v[98:99], null, v[82:83], v[82:83], v[84:85]
	v_div_scale_f64 v[104:105], vcc_lo, v[84:85], v[82:83], v[84:85]
	v_rcp_f64_e32 v[100:101], v[98:99]
	v_fma_f64 v[102:103], -v[98:99], v[100:101], 1.0
	v_fma_f64 v[100:101], v[100:101], v[102:103], v[100:101]
	v_fma_f64 v[102:103], -v[98:99], v[100:101], 1.0
	v_fma_f64 v[100:101], v[100:101], v[102:103], v[100:101]
	v_mul_f64 v[102:103], v[104:105], v[100:101]
	v_fma_f64 v[98:99], -v[98:99], v[102:103], v[104:105]
	v_div_fmas_f64 v[98:99], v[98:99], v[100:101], v[102:103]
	v_div_fixup_f64 v[98:99], v[98:99], v[82:83], v[84:85]
	v_fma_f64 v[82:83], v[84:85], v[98:99], v[82:83]
	v_div_scale_f64 v[84:85], null, v[82:83], v[82:83], 1.0
	v_rcp_f64_e32 v[100:101], v[84:85]
	v_fma_f64 v[102:103], -v[84:85], v[100:101], 1.0
	v_fma_f64 v[100:101], v[100:101], v[102:103], v[100:101]
	v_fma_f64 v[102:103], -v[84:85], v[100:101], 1.0
	v_fma_f64 v[100:101], v[100:101], v[102:103], v[100:101]
	v_div_scale_f64 v[102:103], vcc_lo, 1.0, v[82:83], 1.0
	v_mul_f64 v[104:105], v[102:103], v[100:101]
	v_fma_f64 v[84:85], -v[84:85], v[104:105], v[102:103]
	v_div_fmas_f64 v[84:85], v[84:85], v[100:101], v[104:105]
	v_div_fixup_f64 v[82:83], v[84:85], v[82:83], 1.0
	v_mul_f64 v[84:85], v[98:99], -v[82:83]
.LBB38_30:
	s_or_b32 exec_lo, exec_lo, s1
	v_mov_b32_e32 v95, v97
.LBB38_31:
	s_or_b32 exec_lo, exec_lo, s0
	s_mov_b32 s0, exec_lo
	v_cmpx_ne_u32_e64 v96, v90
	s_xor_b32 s0, exec_lo, s0
	s_cbranch_execz .LBB38_37
; %bb.32:
	s_mov_b32 s1, exec_lo
	v_cmpx_eq_u32_e32 1, v96
	s_cbranch_execz .LBB38_36
; %bb.33:
	v_cmp_ne_u32_e32 vcc_lo, 1, v90
	s_xor_b32 s2, s16, -1
	s_and_b32 s3, s2, vcc_lo
	s_and_saveexec_b32 s2, s3
	s_cbranch_execz .LBB38_35
; %bb.34:
	v_ashrrev_i32_e32 v91, 31, v90
	v_lshlrev_b64 v[96:97], 2, v[90:91]
	v_add_co_u32 v96, vcc_lo, v88, v96
	v_add_co_ci_u32_e64 v97, null, v89, v97, vcc_lo
	s_clause 0x1
	global_load_dword v0, v[96:97], off
	global_load_dword v91, v[88:89], off offset:4
	s_waitcnt vmcnt(1)
	global_store_dword v[88:89], v0, off offset:4
	s_waitcnt vmcnt(0)
	global_store_dword v[96:97], v91, off
.LBB38_35:
	s_or_b32 exec_lo, exec_lo, s2
	v_mov_b32_e32 v96, v90
	v_mov_b32_e32 v0, v90
.LBB38_36:
	s_or_b32 exec_lo, exec_lo, s1
.LBB38_37:
	s_andn2_saveexec_b32 s0, s0
	s_cbranch_execz .LBB38_39
; %bb.38:
	v_mov_b32_e32 v96, 1
	ds_write2_b64 v1, v[74:75], v[76:77] offset0:4 offset1:5
	ds_write2_b64 v1, v[54:55], v[56:57] offset0:6 offset1:7
	;; [unrolled: 1-line block ×18, first 2 shown]
.LBB38_39:
	s_or_b32 exec_lo, exec_lo, s0
	s_mov_b32 s0, exec_lo
	s_waitcnt lgkmcnt(0)
	s_waitcnt_vscnt null, 0x0
	s_barrier
	buffer_gl0_inv
	v_cmpx_lt_i32_e32 1, v96
	s_cbranch_execz .LBB38_41
; %bb.40:
	v_mul_f64 v[90:91], v[84:85], v[80:81]
	v_mul_f64 v[80:81], v[82:83], v[80:81]
	v_fma_f64 v[90:91], v[82:83], v[78:79], -v[90:91]
	v_fma_f64 v[80:81], v[84:85], v[78:79], v[80:81]
	ds_read2_b64 v[82:85], v1 offset0:4 offset1:5
	s_waitcnt lgkmcnt(0)
	v_mul_f64 v[78:79], v[84:85], v[80:81]
	v_fma_f64 v[78:79], v[82:83], v[90:91], -v[78:79]
	v_mul_f64 v[82:83], v[82:83], v[80:81]
	v_add_f64 v[74:75], v[74:75], -v[78:79]
	v_fma_f64 v[82:83], v[84:85], v[90:91], v[82:83]
	v_add_f64 v[76:77], v[76:77], -v[82:83]
	ds_read2_b64 v[82:85], v1 offset0:6 offset1:7
	s_waitcnt lgkmcnt(0)
	v_mul_f64 v[78:79], v[84:85], v[80:81]
	v_fma_f64 v[78:79], v[82:83], v[90:91], -v[78:79]
	v_mul_f64 v[82:83], v[82:83], v[80:81]
	v_add_f64 v[54:55], v[54:55], -v[78:79]
	v_fma_f64 v[82:83], v[84:85], v[90:91], v[82:83]
	v_add_f64 v[56:57], v[56:57], -v[82:83]
	ds_read2_b64 v[82:85], v1 offset0:8 offset1:9
	s_waitcnt lgkmcnt(0)
	v_mul_f64 v[78:79], v[84:85], v[80:81]
	v_fma_f64 v[78:79], v[82:83], v[90:91], -v[78:79]
	v_mul_f64 v[82:83], v[82:83], v[80:81]
	v_add_f64 v[58:59], v[58:59], -v[78:79]
	v_fma_f64 v[82:83], v[84:85], v[90:91], v[82:83]
	v_add_f64 v[60:61], v[60:61], -v[82:83]
	ds_read2_b64 v[82:85], v1 offset0:10 offset1:11
	s_waitcnt lgkmcnt(0)
	v_mul_f64 v[78:79], v[84:85], v[80:81]
	v_fma_f64 v[78:79], v[82:83], v[90:91], -v[78:79]
	v_mul_f64 v[82:83], v[82:83], v[80:81]
	v_add_f64 v[42:43], v[42:43], -v[78:79]
	v_fma_f64 v[82:83], v[84:85], v[90:91], v[82:83]
	v_add_f64 v[44:45], v[44:45], -v[82:83]
	ds_read2_b64 v[82:85], v1 offset0:12 offset1:13
	s_waitcnt lgkmcnt(0)
	v_mul_f64 v[78:79], v[84:85], v[80:81]
	v_fma_f64 v[78:79], v[82:83], v[90:91], -v[78:79]
	v_mul_f64 v[82:83], v[82:83], v[80:81]
	v_add_f64 v[66:67], v[66:67], -v[78:79]
	v_fma_f64 v[82:83], v[84:85], v[90:91], v[82:83]
	v_add_f64 v[68:69], v[68:69], -v[82:83]
	ds_read2_b64 v[82:85], v1 offset0:14 offset1:15
	s_waitcnt lgkmcnt(0)
	v_mul_f64 v[78:79], v[84:85], v[80:81]
	v_fma_f64 v[78:79], v[82:83], v[90:91], -v[78:79]
	v_mul_f64 v[82:83], v[82:83], v[80:81]
	v_add_f64 v[62:63], v[62:63], -v[78:79]
	v_fma_f64 v[82:83], v[84:85], v[90:91], v[82:83]
	v_add_f64 v[64:65], v[64:65], -v[82:83]
	ds_read2_b64 v[82:85], v1 offset0:16 offset1:17
	s_waitcnt lgkmcnt(0)
	v_mul_f64 v[78:79], v[84:85], v[80:81]
	v_fma_f64 v[78:79], v[82:83], v[90:91], -v[78:79]
	v_mul_f64 v[82:83], v[82:83], v[80:81]
	v_add_f64 v[50:51], v[50:51], -v[78:79]
	v_fma_f64 v[82:83], v[84:85], v[90:91], v[82:83]
	v_add_f64 v[52:53], v[52:53], -v[82:83]
	ds_read2_b64 v[82:85], v1 offset0:18 offset1:19
	s_waitcnt lgkmcnt(0)
	v_mul_f64 v[78:79], v[84:85], v[80:81]
	v_fma_f64 v[78:79], v[82:83], v[90:91], -v[78:79]
	v_mul_f64 v[82:83], v[82:83], v[80:81]
	v_add_f64 v[46:47], v[46:47], -v[78:79]
	v_fma_f64 v[82:83], v[84:85], v[90:91], v[82:83]
	v_add_f64 v[48:49], v[48:49], -v[82:83]
	ds_read2_b64 v[82:85], v1 offset0:20 offset1:21
	s_waitcnt lgkmcnt(0)
	v_mul_f64 v[78:79], v[84:85], v[80:81]
	v_fma_f64 v[78:79], v[82:83], v[90:91], -v[78:79]
	v_mul_f64 v[82:83], v[82:83], v[80:81]
	v_add_f64 v[38:39], v[38:39], -v[78:79]
	v_fma_f64 v[82:83], v[84:85], v[90:91], v[82:83]
	v_add_f64 v[40:41], v[40:41], -v[82:83]
	ds_read2_b64 v[82:85], v1 offset0:22 offset1:23
	s_waitcnt lgkmcnt(0)
	v_mul_f64 v[78:79], v[84:85], v[80:81]
	v_fma_f64 v[78:79], v[82:83], v[90:91], -v[78:79]
	v_mul_f64 v[82:83], v[82:83], v[80:81]
	v_add_f64 v[34:35], v[34:35], -v[78:79]
	v_fma_f64 v[82:83], v[84:85], v[90:91], v[82:83]
	v_add_f64 v[36:37], v[36:37], -v[82:83]
	ds_read2_b64 v[82:85], v1 offset0:24 offset1:25
	s_waitcnt lgkmcnt(0)
	v_mul_f64 v[78:79], v[84:85], v[80:81]
	v_fma_f64 v[78:79], v[82:83], v[90:91], -v[78:79]
	v_mul_f64 v[82:83], v[82:83], v[80:81]
	v_add_f64 v[30:31], v[30:31], -v[78:79]
	v_fma_f64 v[82:83], v[84:85], v[90:91], v[82:83]
	v_add_f64 v[32:33], v[32:33], -v[82:83]
	ds_read2_b64 v[82:85], v1 offset0:26 offset1:27
	s_waitcnt lgkmcnt(0)
	v_mul_f64 v[78:79], v[84:85], v[80:81]
	v_fma_f64 v[78:79], v[82:83], v[90:91], -v[78:79]
	v_mul_f64 v[82:83], v[82:83], v[80:81]
	v_add_f64 v[26:27], v[26:27], -v[78:79]
	v_fma_f64 v[82:83], v[84:85], v[90:91], v[82:83]
	v_add_f64 v[28:29], v[28:29], -v[82:83]
	ds_read2_b64 v[82:85], v1 offset0:28 offset1:29
	s_waitcnt lgkmcnt(0)
	v_mul_f64 v[78:79], v[84:85], v[80:81]
	v_fma_f64 v[78:79], v[82:83], v[90:91], -v[78:79]
	v_mul_f64 v[82:83], v[82:83], v[80:81]
	v_add_f64 v[22:23], v[22:23], -v[78:79]
	v_fma_f64 v[82:83], v[84:85], v[90:91], v[82:83]
	v_add_f64 v[24:25], v[24:25], -v[82:83]
	ds_read2_b64 v[82:85], v1 offset0:30 offset1:31
	s_waitcnt lgkmcnt(0)
	v_mul_f64 v[78:79], v[84:85], v[80:81]
	v_fma_f64 v[78:79], v[82:83], v[90:91], -v[78:79]
	v_mul_f64 v[82:83], v[82:83], v[80:81]
	v_add_f64 v[18:19], v[18:19], -v[78:79]
	v_fma_f64 v[82:83], v[84:85], v[90:91], v[82:83]
	v_add_f64 v[20:21], v[20:21], -v[82:83]
	ds_read2_b64 v[82:85], v1 offset0:32 offset1:33
	s_waitcnt lgkmcnt(0)
	v_mul_f64 v[78:79], v[84:85], v[80:81]
	v_fma_f64 v[78:79], v[82:83], v[90:91], -v[78:79]
	v_mul_f64 v[82:83], v[82:83], v[80:81]
	v_add_f64 v[14:15], v[14:15], -v[78:79]
	v_fma_f64 v[82:83], v[84:85], v[90:91], v[82:83]
	v_add_f64 v[16:17], v[16:17], -v[82:83]
	ds_read2_b64 v[82:85], v1 offset0:34 offset1:35
	s_waitcnt lgkmcnt(0)
	v_mul_f64 v[78:79], v[84:85], v[80:81]
	v_fma_f64 v[78:79], v[82:83], v[90:91], -v[78:79]
	v_mul_f64 v[82:83], v[82:83], v[80:81]
	v_add_f64 v[10:11], v[10:11], -v[78:79]
	v_fma_f64 v[82:83], v[84:85], v[90:91], v[82:83]
	v_add_f64 v[12:13], v[12:13], -v[82:83]
	ds_read2_b64 v[82:85], v1 offset0:36 offset1:37
	s_waitcnt lgkmcnt(0)
	v_mul_f64 v[78:79], v[84:85], v[80:81]
	v_fma_f64 v[78:79], v[82:83], v[90:91], -v[78:79]
	v_mul_f64 v[82:83], v[82:83], v[80:81]
	v_add_f64 v[6:7], v[6:7], -v[78:79]
	v_fma_f64 v[82:83], v[84:85], v[90:91], v[82:83]
	v_add_f64 v[8:9], v[8:9], -v[82:83]
	ds_read2_b64 v[82:85], v1 offset0:38 offset1:39
	s_waitcnt lgkmcnt(0)
	v_mul_f64 v[78:79], v[84:85], v[80:81]
	v_fma_f64 v[78:79], v[82:83], v[90:91], -v[78:79]
	v_mul_f64 v[82:83], v[82:83], v[80:81]
	v_add_f64 v[2:3], v[2:3], -v[78:79]
	v_fma_f64 v[82:83], v[84:85], v[90:91], v[82:83]
	v_mov_b32_e32 v78, v90
	v_mov_b32_e32 v79, v91
	v_add_f64 v[4:5], v[4:5], -v[82:83]
.LBB38_41:
	s_or_b32 exec_lo, exec_lo, s0
	v_lshl_add_u32 v82, v96, 4, v1
	s_barrier
	buffer_gl0_inv
	v_mov_b32_e32 v90, 2
	ds_write2_b64 v82, v[74:75], v[76:77] offset1:1
	s_waitcnt lgkmcnt(0)
	s_barrier
	buffer_gl0_inv
	ds_read2_b64 v[82:85], v1 offset0:4 offset1:5
	s_cmp_lt_i32 s18, 4
	s_cbranch_scc1 .LBB38_44
; %bb.42:
	v_add3_u32 v91, v92, 0, 48
	v_mov_b32_e32 v90, 2
	s_mov_b32 s1, 3
	s_inst_prefetch 0x1
	.p2align	6
.LBB38_43:                              ; =>This Inner Loop Header: Depth=1
	s_waitcnt lgkmcnt(0)
	v_cmp_gt_f64_e32 vcc_lo, 0, v[84:85]
	v_cmp_gt_f64_e64 s0, 0, v[82:83]
	ds_read2_b64 v[97:100], v91 offset1:1
	v_xor_b32_e32 v102, 0x80000000, v83
	v_xor_b32_e32 v104, 0x80000000, v85
	v_mov_b32_e32 v101, v82
	v_mov_b32_e32 v103, v84
	v_add_nc_u32_e32 v91, 16, v91
	s_waitcnt lgkmcnt(0)
	v_xor_b32_e32 v106, 0x80000000, v100
	v_cndmask_b32_e64 v102, v83, v102, s0
	v_cndmask_b32_e32 v104, v85, v104, vcc_lo
	v_cmp_gt_f64_e32 vcc_lo, 0, v[99:100]
	v_cmp_gt_f64_e64 s0, 0, v[97:98]
	v_mov_b32_e32 v105, v99
	v_add_f64 v[101:102], v[101:102], v[103:104]
	v_xor_b32_e32 v104, 0x80000000, v98
	v_mov_b32_e32 v103, v97
	v_cndmask_b32_e32 v106, v100, v106, vcc_lo
	v_cndmask_b32_e64 v104, v98, v104, s0
	v_add_f64 v[103:104], v[103:104], v[105:106]
	v_cmp_lt_f64_e32 vcc_lo, v[101:102], v[103:104]
	v_cndmask_b32_e32 v83, v83, v98, vcc_lo
	v_cndmask_b32_e32 v82, v82, v97, vcc_lo
	;; [unrolled: 1-line block ×4, first 2 shown]
	v_cndmask_b32_e64 v90, v90, s1, vcc_lo
	s_add_i32 s1, s1, 1
	s_cmp_lg_u32 s18, s1
	s_cbranch_scc1 .LBB38_43
.LBB38_44:
	s_inst_prefetch 0x2
	s_waitcnt lgkmcnt(0)
	v_cmp_eq_f64_e32 vcc_lo, 0, v[82:83]
	v_cmp_eq_f64_e64 s0, 0, v[84:85]
	s_and_b32 s0, vcc_lo, s0
	s_and_saveexec_b32 s1, s0
	s_xor_b32 s0, exec_lo, s1
; %bb.45:
	v_cmp_ne_u32_e32 vcc_lo, 0, v95
	v_cndmask_b32_e32 v95, 3, v95, vcc_lo
; %bb.46:
	s_andn2_saveexec_b32 s0, s0
	s_cbranch_execz .LBB38_52
; %bb.47:
	v_cmp_ngt_f64_e64 s1, |v[82:83]|, |v[84:85]|
	s_and_saveexec_b32 s2, s1
	s_xor_b32 s1, exec_lo, s2
	s_cbranch_execz .LBB38_49
; %bb.48:
	v_div_scale_f64 v[97:98], null, v[84:85], v[84:85], v[82:83]
	v_div_scale_f64 v[103:104], vcc_lo, v[82:83], v[84:85], v[82:83]
	v_rcp_f64_e32 v[99:100], v[97:98]
	v_fma_f64 v[101:102], -v[97:98], v[99:100], 1.0
	v_fma_f64 v[99:100], v[99:100], v[101:102], v[99:100]
	v_fma_f64 v[101:102], -v[97:98], v[99:100], 1.0
	v_fma_f64 v[99:100], v[99:100], v[101:102], v[99:100]
	v_mul_f64 v[101:102], v[103:104], v[99:100]
	v_fma_f64 v[97:98], -v[97:98], v[101:102], v[103:104]
	v_div_fmas_f64 v[97:98], v[97:98], v[99:100], v[101:102]
	v_div_fixup_f64 v[97:98], v[97:98], v[84:85], v[82:83]
	v_fma_f64 v[82:83], v[82:83], v[97:98], v[84:85]
	v_div_scale_f64 v[84:85], null, v[82:83], v[82:83], 1.0
	v_rcp_f64_e32 v[99:100], v[84:85]
	v_fma_f64 v[101:102], -v[84:85], v[99:100], 1.0
	v_fma_f64 v[99:100], v[99:100], v[101:102], v[99:100]
	v_fma_f64 v[101:102], -v[84:85], v[99:100], 1.0
	v_fma_f64 v[99:100], v[99:100], v[101:102], v[99:100]
	v_div_scale_f64 v[101:102], vcc_lo, 1.0, v[82:83], 1.0
	v_mul_f64 v[103:104], v[101:102], v[99:100]
	v_fma_f64 v[84:85], -v[84:85], v[103:104], v[101:102]
	v_div_fmas_f64 v[84:85], v[84:85], v[99:100], v[103:104]
	v_div_fixup_f64 v[84:85], v[84:85], v[82:83], 1.0
	v_mul_f64 v[82:83], v[97:98], v[84:85]
	v_xor_b32_e32 v85, 0x80000000, v85
.LBB38_49:
	s_andn2_saveexec_b32 s1, s1
	s_cbranch_execz .LBB38_51
; %bb.50:
	v_div_scale_f64 v[97:98], null, v[82:83], v[82:83], v[84:85]
	v_div_scale_f64 v[103:104], vcc_lo, v[84:85], v[82:83], v[84:85]
	v_rcp_f64_e32 v[99:100], v[97:98]
	v_fma_f64 v[101:102], -v[97:98], v[99:100], 1.0
	v_fma_f64 v[99:100], v[99:100], v[101:102], v[99:100]
	v_fma_f64 v[101:102], -v[97:98], v[99:100], 1.0
	v_fma_f64 v[99:100], v[99:100], v[101:102], v[99:100]
	v_mul_f64 v[101:102], v[103:104], v[99:100]
	v_fma_f64 v[97:98], -v[97:98], v[101:102], v[103:104]
	v_div_fmas_f64 v[97:98], v[97:98], v[99:100], v[101:102]
	v_div_fixup_f64 v[97:98], v[97:98], v[82:83], v[84:85]
	v_fma_f64 v[82:83], v[84:85], v[97:98], v[82:83]
	v_div_scale_f64 v[84:85], null, v[82:83], v[82:83], 1.0
	v_rcp_f64_e32 v[99:100], v[84:85]
	v_fma_f64 v[101:102], -v[84:85], v[99:100], 1.0
	v_fma_f64 v[99:100], v[99:100], v[101:102], v[99:100]
	v_fma_f64 v[101:102], -v[84:85], v[99:100], 1.0
	v_fma_f64 v[99:100], v[99:100], v[101:102], v[99:100]
	v_div_scale_f64 v[101:102], vcc_lo, 1.0, v[82:83], 1.0
	v_mul_f64 v[103:104], v[101:102], v[99:100]
	v_fma_f64 v[84:85], -v[84:85], v[103:104], v[101:102]
	v_div_fmas_f64 v[84:85], v[84:85], v[99:100], v[103:104]
	v_div_fixup_f64 v[82:83], v[84:85], v[82:83], 1.0
	v_mul_f64 v[84:85], v[97:98], -v[82:83]
.LBB38_51:
	s_or_b32 exec_lo, exec_lo, s1
.LBB38_52:
	s_or_b32 exec_lo, exec_lo, s0
	s_mov_b32 s0, exec_lo
	v_cmpx_ne_u32_e64 v96, v90
	s_xor_b32 s0, exec_lo, s0
	s_cbranch_execz .LBB38_58
; %bb.53:
	s_mov_b32 s1, exec_lo
	v_cmpx_eq_u32_e32 2, v96
	s_cbranch_execz .LBB38_57
; %bb.54:
	v_cmp_ne_u32_e32 vcc_lo, 2, v90
	s_xor_b32 s2, s16, -1
	s_and_b32 s3, s2, vcc_lo
	s_and_saveexec_b32 s2, s3
	s_cbranch_execz .LBB38_56
; %bb.55:
	v_ashrrev_i32_e32 v91, 31, v90
	v_lshlrev_b64 v[96:97], 2, v[90:91]
	v_add_co_u32 v96, vcc_lo, v88, v96
	v_add_co_ci_u32_e64 v97, null, v89, v97, vcc_lo
	s_clause 0x1
	global_load_dword v0, v[96:97], off
	global_load_dword v91, v[88:89], off offset:8
	s_waitcnt vmcnt(1)
	global_store_dword v[88:89], v0, off offset:8
	s_waitcnt vmcnt(0)
	global_store_dword v[96:97], v91, off
.LBB38_56:
	s_or_b32 exec_lo, exec_lo, s2
	v_mov_b32_e32 v96, v90
	v_mov_b32_e32 v0, v90
.LBB38_57:
	s_or_b32 exec_lo, exec_lo, s1
.LBB38_58:
	s_andn2_saveexec_b32 s0, s0
	s_cbranch_execz .LBB38_60
; %bb.59:
	v_mov_b32_e32 v96, 2
	ds_write2_b64 v1, v[54:55], v[56:57] offset0:6 offset1:7
	ds_write2_b64 v1, v[58:59], v[60:61] offset0:8 offset1:9
	;; [unrolled: 1-line block ×17, first 2 shown]
.LBB38_60:
	s_or_b32 exec_lo, exec_lo, s0
	s_mov_b32 s0, exec_lo
	s_waitcnt lgkmcnt(0)
	s_waitcnt_vscnt null, 0x0
	s_barrier
	buffer_gl0_inv
	v_cmpx_lt_i32_e32 2, v96
	s_cbranch_execz .LBB38_62
; %bb.61:
	v_mul_f64 v[90:91], v[84:85], v[76:77]
	v_mul_f64 v[76:77], v[82:83], v[76:77]
	v_fma_f64 v[90:91], v[82:83], v[74:75], -v[90:91]
	v_fma_f64 v[76:77], v[84:85], v[74:75], v[76:77]
	ds_read2_b64 v[82:85], v1 offset0:6 offset1:7
	s_waitcnt lgkmcnt(0)
	v_mul_f64 v[74:75], v[84:85], v[76:77]
	v_fma_f64 v[74:75], v[82:83], v[90:91], -v[74:75]
	v_mul_f64 v[82:83], v[82:83], v[76:77]
	v_add_f64 v[54:55], v[54:55], -v[74:75]
	v_fma_f64 v[82:83], v[84:85], v[90:91], v[82:83]
	v_add_f64 v[56:57], v[56:57], -v[82:83]
	ds_read2_b64 v[82:85], v1 offset0:8 offset1:9
	s_waitcnt lgkmcnt(0)
	v_mul_f64 v[74:75], v[84:85], v[76:77]
	v_fma_f64 v[74:75], v[82:83], v[90:91], -v[74:75]
	v_mul_f64 v[82:83], v[82:83], v[76:77]
	v_add_f64 v[58:59], v[58:59], -v[74:75]
	v_fma_f64 v[82:83], v[84:85], v[90:91], v[82:83]
	v_add_f64 v[60:61], v[60:61], -v[82:83]
	;; [unrolled: 8-line block ×16, first 2 shown]
	ds_read2_b64 v[82:85], v1 offset0:38 offset1:39
	s_waitcnt lgkmcnt(0)
	v_mul_f64 v[74:75], v[84:85], v[76:77]
	v_fma_f64 v[74:75], v[82:83], v[90:91], -v[74:75]
	v_mul_f64 v[82:83], v[82:83], v[76:77]
	v_add_f64 v[2:3], v[2:3], -v[74:75]
	v_fma_f64 v[82:83], v[84:85], v[90:91], v[82:83]
	v_mov_b32_e32 v74, v90
	v_mov_b32_e32 v75, v91
	v_add_f64 v[4:5], v[4:5], -v[82:83]
.LBB38_62:
	s_or_b32 exec_lo, exec_lo, s0
	v_lshl_add_u32 v82, v96, 4, v1
	s_barrier
	buffer_gl0_inv
	v_mov_b32_e32 v90, 3
	ds_write2_b64 v82, v[54:55], v[56:57] offset1:1
	s_waitcnt lgkmcnt(0)
	s_barrier
	buffer_gl0_inv
	ds_read2_b64 v[82:85], v1 offset0:6 offset1:7
	s_cmp_lt_i32 s18, 5
	s_mov_b32 s1, 4
	s_cbranch_scc1 .LBB38_65
; %bb.63:
	v_add3_u32 v91, v92, 0, 64
	v_mov_b32_e32 v90, 3
	s_inst_prefetch 0x1
	.p2align	6
.LBB38_64:                              ; =>This Inner Loop Header: Depth=1
	s_waitcnt lgkmcnt(0)
	v_cmp_gt_f64_e32 vcc_lo, 0, v[84:85]
	v_cmp_gt_f64_e64 s0, 0, v[82:83]
	ds_read2_b64 v[97:100], v91 offset1:1
	v_xor_b32_e32 v102, 0x80000000, v83
	v_xor_b32_e32 v104, 0x80000000, v85
	v_mov_b32_e32 v101, v82
	v_mov_b32_e32 v103, v84
	v_add_nc_u32_e32 v91, 16, v91
	s_waitcnt lgkmcnt(0)
	v_xor_b32_e32 v106, 0x80000000, v100
	v_cndmask_b32_e64 v102, v83, v102, s0
	v_cndmask_b32_e32 v104, v85, v104, vcc_lo
	v_cmp_gt_f64_e32 vcc_lo, 0, v[99:100]
	v_cmp_gt_f64_e64 s0, 0, v[97:98]
	v_mov_b32_e32 v105, v99
	v_add_f64 v[101:102], v[101:102], v[103:104]
	v_xor_b32_e32 v104, 0x80000000, v98
	v_mov_b32_e32 v103, v97
	v_cndmask_b32_e32 v106, v100, v106, vcc_lo
	v_cndmask_b32_e64 v104, v98, v104, s0
	v_add_f64 v[103:104], v[103:104], v[105:106]
	v_cmp_lt_f64_e32 vcc_lo, v[101:102], v[103:104]
	v_cndmask_b32_e32 v83, v83, v98, vcc_lo
	v_cndmask_b32_e32 v82, v82, v97, vcc_lo
	;; [unrolled: 1-line block ×4, first 2 shown]
	v_cndmask_b32_e64 v90, v90, s1, vcc_lo
	s_add_i32 s1, s1, 1
	s_cmp_lg_u32 s18, s1
	s_cbranch_scc1 .LBB38_64
.LBB38_65:
	s_inst_prefetch 0x2
	s_waitcnt lgkmcnt(0)
	v_cmp_eq_f64_e32 vcc_lo, 0, v[82:83]
	v_cmp_eq_f64_e64 s0, 0, v[84:85]
	s_and_b32 s0, vcc_lo, s0
	s_and_saveexec_b32 s1, s0
	s_xor_b32 s0, exec_lo, s1
; %bb.66:
	v_cmp_ne_u32_e32 vcc_lo, 0, v95
	v_cndmask_b32_e32 v95, 4, v95, vcc_lo
; %bb.67:
	s_andn2_saveexec_b32 s0, s0
	s_cbranch_execz .LBB38_73
; %bb.68:
	v_cmp_ngt_f64_e64 s1, |v[82:83]|, |v[84:85]|
	s_and_saveexec_b32 s2, s1
	s_xor_b32 s1, exec_lo, s2
	s_cbranch_execz .LBB38_70
; %bb.69:
	v_div_scale_f64 v[97:98], null, v[84:85], v[84:85], v[82:83]
	v_div_scale_f64 v[103:104], vcc_lo, v[82:83], v[84:85], v[82:83]
	v_rcp_f64_e32 v[99:100], v[97:98]
	v_fma_f64 v[101:102], -v[97:98], v[99:100], 1.0
	v_fma_f64 v[99:100], v[99:100], v[101:102], v[99:100]
	v_fma_f64 v[101:102], -v[97:98], v[99:100], 1.0
	v_fma_f64 v[99:100], v[99:100], v[101:102], v[99:100]
	v_mul_f64 v[101:102], v[103:104], v[99:100]
	v_fma_f64 v[97:98], -v[97:98], v[101:102], v[103:104]
	v_div_fmas_f64 v[97:98], v[97:98], v[99:100], v[101:102]
	v_div_fixup_f64 v[97:98], v[97:98], v[84:85], v[82:83]
	v_fma_f64 v[82:83], v[82:83], v[97:98], v[84:85]
	v_div_scale_f64 v[84:85], null, v[82:83], v[82:83], 1.0
	v_rcp_f64_e32 v[99:100], v[84:85]
	v_fma_f64 v[101:102], -v[84:85], v[99:100], 1.0
	v_fma_f64 v[99:100], v[99:100], v[101:102], v[99:100]
	v_fma_f64 v[101:102], -v[84:85], v[99:100], 1.0
	v_fma_f64 v[99:100], v[99:100], v[101:102], v[99:100]
	v_div_scale_f64 v[101:102], vcc_lo, 1.0, v[82:83], 1.0
	v_mul_f64 v[103:104], v[101:102], v[99:100]
	v_fma_f64 v[84:85], -v[84:85], v[103:104], v[101:102]
	v_div_fmas_f64 v[84:85], v[84:85], v[99:100], v[103:104]
	v_div_fixup_f64 v[84:85], v[84:85], v[82:83], 1.0
	v_mul_f64 v[82:83], v[97:98], v[84:85]
	v_xor_b32_e32 v85, 0x80000000, v85
.LBB38_70:
	s_andn2_saveexec_b32 s1, s1
	s_cbranch_execz .LBB38_72
; %bb.71:
	v_div_scale_f64 v[97:98], null, v[82:83], v[82:83], v[84:85]
	v_div_scale_f64 v[103:104], vcc_lo, v[84:85], v[82:83], v[84:85]
	v_rcp_f64_e32 v[99:100], v[97:98]
	v_fma_f64 v[101:102], -v[97:98], v[99:100], 1.0
	v_fma_f64 v[99:100], v[99:100], v[101:102], v[99:100]
	v_fma_f64 v[101:102], -v[97:98], v[99:100], 1.0
	v_fma_f64 v[99:100], v[99:100], v[101:102], v[99:100]
	v_mul_f64 v[101:102], v[103:104], v[99:100]
	v_fma_f64 v[97:98], -v[97:98], v[101:102], v[103:104]
	v_div_fmas_f64 v[97:98], v[97:98], v[99:100], v[101:102]
	v_div_fixup_f64 v[97:98], v[97:98], v[82:83], v[84:85]
	v_fma_f64 v[82:83], v[84:85], v[97:98], v[82:83]
	v_div_scale_f64 v[84:85], null, v[82:83], v[82:83], 1.0
	v_rcp_f64_e32 v[99:100], v[84:85]
	v_fma_f64 v[101:102], -v[84:85], v[99:100], 1.0
	v_fma_f64 v[99:100], v[99:100], v[101:102], v[99:100]
	v_fma_f64 v[101:102], -v[84:85], v[99:100], 1.0
	v_fma_f64 v[99:100], v[99:100], v[101:102], v[99:100]
	v_div_scale_f64 v[101:102], vcc_lo, 1.0, v[82:83], 1.0
	v_mul_f64 v[103:104], v[101:102], v[99:100]
	v_fma_f64 v[84:85], -v[84:85], v[103:104], v[101:102]
	v_div_fmas_f64 v[84:85], v[84:85], v[99:100], v[103:104]
	v_div_fixup_f64 v[82:83], v[84:85], v[82:83], 1.0
	v_mul_f64 v[84:85], v[97:98], -v[82:83]
.LBB38_72:
	s_or_b32 exec_lo, exec_lo, s1
.LBB38_73:
	s_or_b32 exec_lo, exec_lo, s0
	s_mov_b32 s0, exec_lo
	v_cmpx_ne_u32_e64 v96, v90
	s_xor_b32 s0, exec_lo, s0
	s_cbranch_execz .LBB38_79
; %bb.74:
	s_mov_b32 s1, exec_lo
	v_cmpx_eq_u32_e32 3, v96
	s_cbranch_execz .LBB38_78
; %bb.75:
	v_cmp_ne_u32_e32 vcc_lo, 3, v90
	s_xor_b32 s2, s16, -1
	s_and_b32 s3, s2, vcc_lo
	s_and_saveexec_b32 s2, s3
	s_cbranch_execz .LBB38_77
; %bb.76:
	v_ashrrev_i32_e32 v91, 31, v90
	v_lshlrev_b64 v[96:97], 2, v[90:91]
	v_add_co_u32 v96, vcc_lo, v88, v96
	v_add_co_ci_u32_e64 v97, null, v89, v97, vcc_lo
	s_clause 0x1
	global_load_dword v0, v[96:97], off
	global_load_dword v91, v[88:89], off offset:12
	s_waitcnt vmcnt(1)
	global_store_dword v[88:89], v0, off offset:12
	s_waitcnt vmcnt(0)
	global_store_dword v[96:97], v91, off
.LBB38_77:
	s_or_b32 exec_lo, exec_lo, s2
	v_mov_b32_e32 v96, v90
	v_mov_b32_e32 v0, v90
.LBB38_78:
	s_or_b32 exec_lo, exec_lo, s1
.LBB38_79:
	s_andn2_saveexec_b32 s0, s0
	s_cbranch_execz .LBB38_81
; %bb.80:
	v_mov_b32_e32 v96, 3
	ds_write2_b64 v1, v[58:59], v[60:61] offset0:8 offset1:9
	ds_write2_b64 v1, v[42:43], v[44:45] offset0:10 offset1:11
	ds_write2_b64 v1, v[66:67], v[68:69] offset0:12 offset1:13
	ds_write2_b64 v1, v[62:63], v[64:65] offset0:14 offset1:15
	ds_write2_b64 v1, v[50:51], v[52:53] offset0:16 offset1:17
	ds_write2_b64 v1, v[46:47], v[48:49] offset0:18 offset1:19
	ds_write2_b64 v1, v[38:39], v[40:41] offset0:20 offset1:21
	ds_write2_b64 v1, v[34:35], v[36:37] offset0:22 offset1:23
	ds_write2_b64 v1, v[30:31], v[32:33] offset0:24 offset1:25
	ds_write2_b64 v1, v[26:27], v[28:29] offset0:26 offset1:27
	ds_write2_b64 v1, v[22:23], v[24:25] offset0:28 offset1:29
	ds_write2_b64 v1, v[18:19], v[20:21] offset0:30 offset1:31
	ds_write2_b64 v1, v[14:15], v[16:17] offset0:32 offset1:33
	ds_write2_b64 v1, v[10:11], v[12:13] offset0:34 offset1:35
	ds_write2_b64 v1, v[6:7], v[8:9] offset0:36 offset1:37
	ds_write2_b64 v1, v[2:3], v[4:5] offset0:38 offset1:39
.LBB38_81:
	s_or_b32 exec_lo, exec_lo, s0
	s_mov_b32 s0, exec_lo
	s_waitcnt lgkmcnt(0)
	s_waitcnt_vscnt null, 0x0
	s_barrier
	buffer_gl0_inv
	v_cmpx_lt_i32_e32 3, v96
	s_cbranch_execz .LBB38_83
; %bb.82:
	v_mul_f64 v[90:91], v[82:83], v[56:57]
	v_mul_f64 v[56:57], v[84:85], v[56:57]
	v_fma_f64 v[90:91], v[84:85], v[54:55], v[90:91]
	v_fma_f64 v[54:55], v[82:83], v[54:55], -v[56:57]
	ds_read2_b64 v[82:85], v1 offset0:8 offset1:9
	s_waitcnt lgkmcnt(0)
	v_mul_f64 v[56:57], v[84:85], v[90:91]
	v_fma_f64 v[56:57], v[82:83], v[54:55], -v[56:57]
	v_mul_f64 v[82:83], v[82:83], v[90:91]
	v_add_f64 v[58:59], v[58:59], -v[56:57]
	v_fma_f64 v[82:83], v[84:85], v[54:55], v[82:83]
	v_add_f64 v[60:61], v[60:61], -v[82:83]
	ds_read2_b64 v[82:85], v1 offset0:10 offset1:11
	s_waitcnt lgkmcnt(0)
	v_mul_f64 v[56:57], v[84:85], v[90:91]
	v_fma_f64 v[56:57], v[82:83], v[54:55], -v[56:57]
	v_mul_f64 v[82:83], v[82:83], v[90:91]
	v_add_f64 v[42:43], v[42:43], -v[56:57]
	v_fma_f64 v[82:83], v[84:85], v[54:55], v[82:83]
	v_add_f64 v[44:45], v[44:45], -v[82:83]
	;; [unrolled: 8-line block ×15, first 2 shown]
	ds_read2_b64 v[82:85], v1 offset0:38 offset1:39
	s_waitcnt lgkmcnt(0)
	v_mul_f64 v[56:57], v[84:85], v[90:91]
	v_fma_f64 v[56:57], v[82:83], v[54:55], -v[56:57]
	v_mul_f64 v[82:83], v[82:83], v[90:91]
	v_add_f64 v[2:3], v[2:3], -v[56:57]
	v_fma_f64 v[82:83], v[84:85], v[54:55], v[82:83]
	v_mov_b32_e32 v56, v90
	v_mov_b32_e32 v57, v91
	v_add_f64 v[4:5], v[4:5], -v[82:83]
.LBB38_83:
	s_or_b32 exec_lo, exec_lo, s0
	v_lshl_add_u32 v82, v96, 4, v1
	s_barrier
	buffer_gl0_inv
	v_mov_b32_e32 v90, 4
	ds_write2_b64 v82, v[58:59], v[60:61] offset1:1
	s_waitcnt lgkmcnt(0)
	s_barrier
	buffer_gl0_inv
	ds_read2_b64 v[82:85], v1 offset0:8 offset1:9
	s_cmp_lt_i32 s18, 6
	s_cbranch_scc1 .LBB38_86
; %bb.84:
	v_mov_b32_e32 v90, 4
	v_add3_u32 v91, v92, 0, 0x50
	s_mov_b32 s1, 5
	s_inst_prefetch 0x1
	.p2align	6
.LBB38_85:                              ; =>This Inner Loop Header: Depth=1
	s_waitcnt lgkmcnt(0)
	v_cmp_gt_f64_e32 vcc_lo, 0, v[84:85]
	v_cmp_gt_f64_e64 s0, 0, v[82:83]
	ds_read2_b64 v[97:100], v91 offset1:1
	v_xor_b32_e32 v102, 0x80000000, v83
	v_xor_b32_e32 v104, 0x80000000, v85
	v_mov_b32_e32 v101, v82
	v_mov_b32_e32 v103, v84
	v_add_nc_u32_e32 v91, 16, v91
	s_waitcnt lgkmcnt(0)
	v_xor_b32_e32 v106, 0x80000000, v100
	v_cndmask_b32_e64 v102, v83, v102, s0
	v_cndmask_b32_e32 v104, v85, v104, vcc_lo
	v_cmp_gt_f64_e32 vcc_lo, 0, v[99:100]
	v_cmp_gt_f64_e64 s0, 0, v[97:98]
	v_mov_b32_e32 v105, v99
	v_add_f64 v[101:102], v[101:102], v[103:104]
	v_xor_b32_e32 v104, 0x80000000, v98
	v_mov_b32_e32 v103, v97
	v_cndmask_b32_e32 v106, v100, v106, vcc_lo
	v_cndmask_b32_e64 v104, v98, v104, s0
	v_add_f64 v[103:104], v[103:104], v[105:106]
	v_cmp_lt_f64_e32 vcc_lo, v[101:102], v[103:104]
	v_cndmask_b32_e32 v83, v83, v98, vcc_lo
	v_cndmask_b32_e32 v82, v82, v97, vcc_lo
	;; [unrolled: 1-line block ×4, first 2 shown]
	v_cndmask_b32_e64 v90, v90, s1, vcc_lo
	s_add_i32 s1, s1, 1
	s_cmp_lg_u32 s18, s1
	s_cbranch_scc1 .LBB38_85
.LBB38_86:
	s_inst_prefetch 0x2
	s_waitcnt lgkmcnt(0)
	v_cmp_eq_f64_e32 vcc_lo, 0, v[82:83]
	v_cmp_eq_f64_e64 s0, 0, v[84:85]
	s_and_b32 s0, vcc_lo, s0
	s_and_saveexec_b32 s1, s0
	s_xor_b32 s0, exec_lo, s1
; %bb.87:
	v_cmp_ne_u32_e32 vcc_lo, 0, v95
	v_cndmask_b32_e32 v95, 5, v95, vcc_lo
; %bb.88:
	s_andn2_saveexec_b32 s0, s0
	s_cbranch_execz .LBB38_94
; %bb.89:
	v_cmp_ngt_f64_e64 s1, |v[82:83]|, |v[84:85]|
	s_and_saveexec_b32 s2, s1
	s_xor_b32 s1, exec_lo, s2
	s_cbranch_execz .LBB38_91
; %bb.90:
	v_div_scale_f64 v[97:98], null, v[84:85], v[84:85], v[82:83]
	v_div_scale_f64 v[103:104], vcc_lo, v[82:83], v[84:85], v[82:83]
	v_rcp_f64_e32 v[99:100], v[97:98]
	v_fma_f64 v[101:102], -v[97:98], v[99:100], 1.0
	v_fma_f64 v[99:100], v[99:100], v[101:102], v[99:100]
	v_fma_f64 v[101:102], -v[97:98], v[99:100], 1.0
	v_fma_f64 v[99:100], v[99:100], v[101:102], v[99:100]
	v_mul_f64 v[101:102], v[103:104], v[99:100]
	v_fma_f64 v[97:98], -v[97:98], v[101:102], v[103:104]
	v_div_fmas_f64 v[97:98], v[97:98], v[99:100], v[101:102]
	v_div_fixup_f64 v[97:98], v[97:98], v[84:85], v[82:83]
	v_fma_f64 v[82:83], v[82:83], v[97:98], v[84:85]
	v_div_scale_f64 v[84:85], null, v[82:83], v[82:83], 1.0
	v_rcp_f64_e32 v[99:100], v[84:85]
	v_fma_f64 v[101:102], -v[84:85], v[99:100], 1.0
	v_fma_f64 v[99:100], v[99:100], v[101:102], v[99:100]
	v_fma_f64 v[101:102], -v[84:85], v[99:100], 1.0
	v_fma_f64 v[99:100], v[99:100], v[101:102], v[99:100]
	v_div_scale_f64 v[101:102], vcc_lo, 1.0, v[82:83], 1.0
	v_mul_f64 v[103:104], v[101:102], v[99:100]
	v_fma_f64 v[84:85], -v[84:85], v[103:104], v[101:102]
	v_div_fmas_f64 v[84:85], v[84:85], v[99:100], v[103:104]
	v_div_fixup_f64 v[84:85], v[84:85], v[82:83], 1.0
	v_mul_f64 v[82:83], v[97:98], v[84:85]
	v_xor_b32_e32 v85, 0x80000000, v85
.LBB38_91:
	s_andn2_saveexec_b32 s1, s1
	s_cbranch_execz .LBB38_93
; %bb.92:
	v_div_scale_f64 v[97:98], null, v[82:83], v[82:83], v[84:85]
	v_div_scale_f64 v[103:104], vcc_lo, v[84:85], v[82:83], v[84:85]
	v_rcp_f64_e32 v[99:100], v[97:98]
	v_fma_f64 v[101:102], -v[97:98], v[99:100], 1.0
	v_fma_f64 v[99:100], v[99:100], v[101:102], v[99:100]
	v_fma_f64 v[101:102], -v[97:98], v[99:100], 1.0
	v_fma_f64 v[99:100], v[99:100], v[101:102], v[99:100]
	v_mul_f64 v[101:102], v[103:104], v[99:100]
	v_fma_f64 v[97:98], -v[97:98], v[101:102], v[103:104]
	v_div_fmas_f64 v[97:98], v[97:98], v[99:100], v[101:102]
	v_div_fixup_f64 v[97:98], v[97:98], v[82:83], v[84:85]
	v_fma_f64 v[82:83], v[84:85], v[97:98], v[82:83]
	v_div_scale_f64 v[84:85], null, v[82:83], v[82:83], 1.0
	v_rcp_f64_e32 v[99:100], v[84:85]
	v_fma_f64 v[101:102], -v[84:85], v[99:100], 1.0
	v_fma_f64 v[99:100], v[99:100], v[101:102], v[99:100]
	v_fma_f64 v[101:102], -v[84:85], v[99:100], 1.0
	v_fma_f64 v[99:100], v[99:100], v[101:102], v[99:100]
	v_div_scale_f64 v[101:102], vcc_lo, 1.0, v[82:83], 1.0
	v_mul_f64 v[103:104], v[101:102], v[99:100]
	v_fma_f64 v[84:85], -v[84:85], v[103:104], v[101:102]
	v_div_fmas_f64 v[84:85], v[84:85], v[99:100], v[103:104]
	v_div_fixup_f64 v[82:83], v[84:85], v[82:83], 1.0
	v_mul_f64 v[84:85], v[97:98], -v[82:83]
.LBB38_93:
	s_or_b32 exec_lo, exec_lo, s1
.LBB38_94:
	s_or_b32 exec_lo, exec_lo, s0
	s_mov_b32 s0, exec_lo
	v_cmpx_ne_u32_e64 v96, v90
	s_xor_b32 s0, exec_lo, s0
	s_cbranch_execz .LBB38_100
; %bb.95:
	s_mov_b32 s1, exec_lo
	v_cmpx_eq_u32_e32 4, v96
	s_cbranch_execz .LBB38_99
; %bb.96:
	v_cmp_ne_u32_e32 vcc_lo, 4, v90
	s_xor_b32 s2, s16, -1
	s_and_b32 s3, s2, vcc_lo
	s_and_saveexec_b32 s2, s3
	s_cbranch_execz .LBB38_98
; %bb.97:
	v_ashrrev_i32_e32 v91, 31, v90
	v_lshlrev_b64 v[96:97], 2, v[90:91]
	v_add_co_u32 v96, vcc_lo, v88, v96
	v_add_co_ci_u32_e64 v97, null, v89, v97, vcc_lo
	s_clause 0x1
	global_load_dword v0, v[96:97], off
	global_load_dword v91, v[88:89], off offset:16
	s_waitcnt vmcnt(1)
	global_store_dword v[88:89], v0, off offset:16
	s_waitcnt vmcnt(0)
	global_store_dword v[96:97], v91, off
.LBB38_98:
	s_or_b32 exec_lo, exec_lo, s2
	v_mov_b32_e32 v96, v90
	v_mov_b32_e32 v0, v90
.LBB38_99:
	s_or_b32 exec_lo, exec_lo, s1
.LBB38_100:
	s_andn2_saveexec_b32 s0, s0
	s_cbranch_execz .LBB38_102
; %bb.101:
	v_mov_b32_e32 v96, 4
	ds_write2_b64 v1, v[42:43], v[44:45] offset0:10 offset1:11
	ds_write2_b64 v1, v[66:67], v[68:69] offset0:12 offset1:13
	;; [unrolled: 1-line block ×15, first 2 shown]
.LBB38_102:
	s_or_b32 exec_lo, exec_lo, s0
	s_mov_b32 s0, exec_lo
	s_waitcnt lgkmcnt(0)
	s_waitcnt_vscnt null, 0x0
	s_barrier
	buffer_gl0_inv
	v_cmpx_lt_i32_e32 4, v96
	s_cbranch_execz .LBB38_104
; %bb.103:
	v_mul_f64 v[90:91], v[82:83], v[60:61]
	v_mul_f64 v[60:61], v[84:85], v[60:61]
	v_fma_f64 v[90:91], v[84:85], v[58:59], v[90:91]
	v_fma_f64 v[58:59], v[82:83], v[58:59], -v[60:61]
	ds_read2_b64 v[82:85], v1 offset0:10 offset1:11
	s_waitcnt lgkmcnt(0)
	v_mul_f64 v[60:61], v[84:85], v[90:91]
	v_fma_f64 v[60:61], v[82:83], v[58:59], -v[60:61]
	v_mul_f64 v[82:83], v[82:83], v[90:91]
	v_add_f64 v[42:43], v[42:43], -v[60:61]
	v_fma_f64 v[82:83], v[84:85], v[58:59], v[82:83]
	v_add_f64 v[44:45], v[44:45], -v[82:83]
	ds_read2_b64 v[82:85], v1 offset0:12 offset1:13
	s_waitcnt lgkmcnt(0)
	v_mul_f64 v[60:61], v[84:85], v[90:91]
	v_fma_f64 v[60:61], v[82:83], v[58:59], -v[60:61]
	v_mul_f64 v[82:83], v[82:83], v[90:91]
	v_add_f64 v[66:67], v[66:67], -v[60:61]
	v_fma_f64 v[82:83], v[84:85], v[58:59], v[82:83]
	v_add_f64 v[68:69], v[68:69], -v[82:83]
	;; [unrolled: 8-line block ×14, first 2 shown]
	ds_read2_b64 v[82:85], v1 offset0:38 offset1:39
	s_waitcnt lgkmcnt(0)
	v_mul_f64 v[60:61], v[84:85], v[90:91]
	v_fma_f64 v[60:61], v[82:83], v[58:59], -v[60:61]
	v_mul_f64 v[82:83], v[82:83], v[90:91]
	v_add_f64 v[2:3], v[2:3], -v[60:61]
	v_fma_f64 v[82:83], v[84:85], v[58:59], v[82:83]
	v_mov_b32_e32 v60, v90
	v_mov_b32_e32 v61, v91
	v_add_f64 v[4:5], v[4:5], -v[82:83]
.LBB38_104:
	s_or_b32 exec_lo, exec_lo, s0
	v_lshl_add_u32 v82, v96, 4, v1
	s_barrier
	buffer_gl0_inv
	v_mov_b32_e32 v90, 5
	ds_write2_b64 v82, v[42:43], v[44:45] offset1:1
	s_waitcnt lgkmcnt(0)
	s_barrier
	buffer_gl0_inv
	ds_read2_b64 v[82:85], v1 offset0:10 offset1:11
	s_cmp_lt_i32 s18, 7
	s_cbranch_scc1 .LBB38_107
; %bb.105:
	v_add3_u32 v91, v92, 0, 0x60
	v_mov_b32_e32 v90, 5
	s_mov_b32 s1, 6
	s_inst_prefetch 0x1
	.p2align	6
.LBB38_106:                             ; =>This Inner Loop Header: Depth=1
	s_waitcnt lgkmcnt(0)
	v_cmp_gt_f64_e32 vcc_lo, 0, v[84:85]
	v_cmp_gt_f64_e64 s0, 0, v[82:83]
	ds_read2_b64 v[97:100], v91 offset1:1
	v_xor_b32_e32 v102, 0x80000000, v83
	v_xor_b32_e32 v104, 0x80000000, v85
	v_mov_b32_e32 v101, v82
	v_mov_b32_e32 v103, v84
	v_add_nc_u32_e32 v91, 16, v91
	s_waitcnt lgkmcnt(0)
	v_xor_b32_e32 v106, 0x80000000, v100
	v_cndmask_b32_e64 v102, v83, v102, s0
	v_cndmask_b32_e32 v104, v85, v104, vcc_lo
	v_cmp_gt_f64_e32 vcc_lo, 0, v[99:100]
	v_cmp_gt_f64_e64 s0, 0, v[97:98]
	v_mov_b32_e32 v105, v99
	v_add_f64 v[101:102], v[101:102], v[103:104]
	v_xor_b32_e32 v104, 0x80000000, v98
	v_mov_b32_e32 v103, v97
	v_cndmask_b32_e32 v106, v100, v106, vcc_lo
	v_cndmask_b32_e64 v104, v98, v104, s0
	v_add_f64 v[103:104], v[103:104], v[105:106]
	v_cmp_lt_f64_e32 vcc_lo, v[101:102], v[103:104]
	v_cndmask_b32_e32 v83, v83, v98, vcc_lo
	v_cndmask_b32_e32 v82, v82, v97, vcc_lo
	;; [unrolled: 1-line block ×4, first 2 shown]
	v_cndmask_b32_e64 v90, v90, s1, vcc_lo
	s_add_i32 s1, s1, 1
	s_cmp_lg_u32 s18, s1
	s_cbranch_scc1 .LBB38_106
.LBB38_107:
	s_inst_prefetch 0x2
	s_waitcnt lgkmcnt(0)
	v_cmp_eq_f64_e32 vcc_lo, 0, v[82:83]
	v_cmp_eq_f64_e64 s0, 0, v[84:85]
	s_and_b32 s0, vcc_lo, s0
	s_and_saveexec_b32 s1, s0
	s_xor_b32 s0, exec_lo, s1
; %bb.108:
	v_cmp_ne_u32_e32 vcc_lo, 0, v95
	v_cndmask_b32_e32 v95, 6, v95, vcc_lo
; %bb.109:
	s_andn2_saveexec_b32 s0, s0
	s_cbranch_execz .LBB38_115
; %bb.110:
	v_cmp_ngt_f64_e64 s1, |v[82:83]|, |v[84:85]|
	s_and_saveexec_b32 s2, s1
	s_xor_b32 s1, exec_lo, s2
	s_cbranch_execz .LBB38_112
; %bb.111:
	v_div_scale_f64 v[97:98], null, v[84:85], v[84:85], v[82:83]
	v_div_scale_f64 v[103:104], vcc_lo, v[82:83], v[84:85], v[82:83]
	v_rcp_f64_e32 v[99:100], v[97:98]
	v_fma_f64 v[101:102], -v[97:98], v[99:100], 1.0
	v_fma_f64 v[99:100], v[99:100], v[101:102], v[99:100]
	v_fma_f64 v[101:102], -v[97:98], v[99:100], 1.0
	v_fma_f64 v[99:100], v[99:100], v[101:102], v[99:100]
	v_mul_f64 v[101:102], v[103:104], v[99:100]
	v_fma_f64 v[97:98], -v[97:98], v[101:102], v[103:104]
	v_div_fmas_f64 v[97:98], v[97:98], v[99:100], v[101:102]
	v_div_fixup_f64 v[97:98], v[97:98], v[84:85], v[82:83]
	v_fma_f64 v[82:83], v[82:83], v[97:98], v[84:85]
	v_div_scale_f64 v[84:85], null, v[82:83], v[82:83], 1.0
	v_rcp_f64_e32 v[99:100], v[84:85]
	v_fma_f64 v[101:102], -v[84:85], v[99:100], 1.0
	v_fma_f64 v[99:100], v[99:100], v[101:102], v[99:100]
	v_fma_f64 v[101:102], -v[84:85], v[99:100], 1.0
	v_fma_f64 v[99:100], v[99:100], v[101:102], v[99:100]
	v_div_scale_f64 v[101:102], vcc_lo, 1.0, v[82:83], 1.0
	v_mul_f64 v[103:104], v[101:102], v[99:100]
	v_fma_f64 v[84:85], -v[84:85], v[103:104], v[101:102]
	v_div_fmas_f64 v[84:85], v[84:85], v[99:100], v[103:104]
	v_div_fixup_f64 v[84:85], v[84:85], v[82:83], 1.0
	v_mul_f64 v[82:83], v[97:98], v[84:85]
	v_xor_b32_e32 v85, 0x80000000, v85
.LBB38_112:
	s_andn2_saveexec_b32 s1, s1
	s_cbranch_execz .LBB38_114
; %bb.113:
	v_div_scale_f64 v[97:98], null, v[82:83], v[82:83], v[84:85]
	v_div_scale_f64 v[103:104], vcc_lo, v[84:85], v[82:83], v[84:85]
	v_rcp_f64_e32 v[99:100], v[97:98]
	v_fma_f64 v[101:102], -v[97:98], v[99:100], 1.0
	v_fma_f64 v[99:100], v[99:100], v[101:102], v[99:100]
	v_fma_f64 v[101:102], -v[97:98], v[99:100], 1.0
	v_fma_f64 v[99:100], v[99:100], v[101:102], v[99:100]
	v_mul_f64 v[101:102], v[103:104], v[99:100]
	v_fma_f64 v[97:98], -v[97:98], v[101:102], v[103:104]
	v_div_fmas_f64 v[97:98], v[97:98], v[99:100], v[101:102]
	v_div_fixup_f64 v[97:98], v[97:98], v[82:83], v[84:85]
	v_fma_f64 v[82:83], v[84:85], v[97:98], v[82:83]
	v_div_scale_f64 v[84:85], null, v[82:83], v[82:83], 1.0
	v_rcp_f64_e32 v[99:100], v[84:85]
	v_fma_f64 v[101:102], -v[84:85], v[99:100], 1.0
	v_fma_f64 v[99:100], v[99:100], v[101:102], v[99:100]
	v_fma_f64 v[101:102], -v[84:85], v[99:100], 1.0
	v_fma_f64 v[99:100], v[99:100], v[101:102], v[99:100]
	v_div_scale_f64 v[101:102], vcc_lo, 1.0, v[82:83], 1.0
	v_mul_f64 v[103:104], v[101:102], v[99:100]
	v_fma_f64 v[84:85], -v[84:85], v[103:104], v[101:102]
	v_div_fmas_f64 v[84:85], v[84:85], v[99:100], v[103:104]
	v_div_fixup_f64 v[82:83], v[84:85], v[82:83], 1.0
	v_mul_f64 v[84:85], v[97:98], -v[82:83]
.LBB38_114:
	s_or_b32 exec_lo, exec_lo, s1
.LBB38_115:
	s_or_b32 exec_lo, exec_lo, s0
	s_mov_b32 s0, exec_lo
	v_cmpx_ne_u32_e64 v96, v90
	s_xor_b32 s0, exec_lo, s0
	s_cbranch_execz .LBB38_121
; %bb.116:
	s_mov_b32 s1, exec_lo
	v_cmpx_eq_u32_e32 5, v96
	s_cbranch_execz .LBB38_120
; %bb.117:
	v_cmp_ne_u32_e32 vcc_lo, 5, v90
	s_xor_b32 s2, s16, -1
	s_and_b32 s3, s2, vcc_lo
	s_and_saveexec_b32 s2, s3
	s_cbranch_execz .LBB38_119
; %bb.118:
	v_ashrrev_i32_e32 v91, 31, v90
	v_lshlrev_b64 v[96:97], 2, v[90:91]
	v_add_co_u32 v96, vcc_lo, v88, v96
	v_add_co_ci_u32_e64 v97, null, v89, v97, vcc_lo
	s_clause 0x1
	global_load_dword v0, v[96:97], off
	global_load_dword v91, v[88:89], off offset:20
	s_waitcnt vmcnt(1)
	global_store_dword v[88:89], v0, off offset:20
	s_waitcnt vmcnt(0)
	global_store_dword v[96:97], v91, off
.LBB38_119:
	s_or_b32 exec_lo, exec_lo, s2
	v_mov_b32_e32 v96, v90
	v_mov_b32_e32 v0, v90
.LBB38_120:
	s_or_b32 exec_lo, exec_lo, s1
.LBB38_121:
	s_andn2_saveexec_b32 s0, s0
	s_cbranch_execz .LBB38_123
; %bb.122:
	v_mov_b32_e32 v96, 5
	ds_write2_b64 v1, v[66:67], v[68:69] offset0:12 offset1:13
	ds_write2_b64 v1, v[62:63], v[64:65] offset0:14 offset1:15
	;; [unrolled: 1-line block ×14, first 2 shown]
.LBB38_123:
	s_or_b32 exec_lo, exec_lo, s0
	s_mov_b32 s0, exec_lo
	s_waitcnt lgkmcnt(0)
	s_waitcnt_vscnt null, 0x0
	s_barrier
	buffer_gl0_inv
	v_cmpx_lt_i32_e32 5, v96
	s_cbranch_execz .LBB38_125
; %bb.124:
	v_mul_f64 v[90:91], v[82:83], v[44:45]
	v_mul_f64 v[44:45], v[84:85], v[44:45]
	v_fma_f64 v[90:91], v[84:85], v[42:43], v[90:91]
	v_fma_f64 v[42:43], v[82:83], v[42:43], -v[44:45]
	ds_read2_b64 v[82:85], v1 offset0:12 offset1:13
	s_waitcnt lgkmcnt(0)
	v_mul_f64 v[44:45], v[84:85], v[90:91]
	v_fma_f64 v[44:45], v[82:83], v[42:43], -v[44:45]
	v_mul_f64 v[82:83], v[82:83], v[90:91]
	v_add_f64 v[66:67], v[66:67], -v[44:45]
	v_fma_f64 v[82:83], v[84:85], v[42:43], v[82:83]
	v_add_f64 v[68:69], v[68:69], -v[82:83]
	ds_read2_b64 v[82:85], v1 offset0:14 offset1:15
	s_waitcnt lgkmcnt(0)
	v_mul_f64 v[44:45], v[84:85], v[90:91]
	v_fma_f64 v[44:45], v[82:83], v[42:43], -v[44:45]
	v_mul_f64 v[82:83], v[82:83], v[90:91]
	v_add_f64 v[62:63], v[62:63], -v[44:45]
	v_fma_f64 v[82:83], v[84:85], v[42:43], v[82:83]
	v_add_f64 v[64:65], v[64:65], -v[82:83]
	;; [unrolled: 8-line block ×13, first 2 shown]
	ds_read2_b64 v[82:85], v1 offset0:38 offset1:39
	s_waitcnt lgkmcnt(0)
	v_mul_f64 v[44:45], v[84:85], v[90:91]
	v_fma_f64 v[44:45], v[82:83], v[42:43], -v[44:45]
	v_mul_f64 v[82:83], v[82:83], v[90:91]
	v_add_f64 v[2:3], v[2:3], -v[44:45]
	v_fma_f64 v[82:83], v[84:85], v[42:43], v[82:83]
	v_mov_b32_e32 v44, v90
	v_mov_b32_e32 v45, v91
	v_add_f64 v[4:5], v[4:5], -v[82:83]
.LBB38_125:
	s_or_b32 exec_lo, exec_lo, s0
	v_lshl_add_u32 v82, v96, 4, v1
	s_barrier
	buffer_gl0_inv
	v_mov_b32_e32 v90, 6
	ds_write2_b64 v82, v[66:67], v[68:69] offset1:1
	s_waitcnt lgkmcnt(0)
	s_barrier
	buffer_gl0_inv
	ds_read2_b64 v[82:85], v1 offset0:12 offset1:13
	s_cmp_lt_i32 s18, 8
	s_cbranch_scc1 .LBB38_128
; %bb.126:
	v_add3_u32 v91, v92, 0, 0x70
	v_mov_b32_e32 v90, 6
	s_mov_b32 s1, 7
	s_inst_prefetch 0x1
	.p2align	6
.LBB38_127:                             ; =>This Inner Loop Header: Depth=1
	s_waitcnt lgkmcnt(0)
	v_cmp_gt_f64_e32 vcc_lo, 0, v[84:85]
	v_cmp_gt_f64_e64 s0, 0, v[82:83]
	ds_read2_b64 v[97:100], v91 offset1:1
	v_xor_b32_e32 v102, 0x80000000, v83
	v_xor_b32_e32 v104, 0x80000000, v85
	v_mov_b32_e32 v101, v82
	v_mov_b32_e32 v103, v84
	v_add_nc_u32_e32 v91, 16, v91
	s_waitcnt lgkmcnt(0)
	v_xor_b32_e32 v106, 0x80000000, v100
	v_cndmask_b32_e64 v102, v83, v102, s0
	v_cndmask_b32_e32 v104, v85, v104, vcc_lo
	v_cmp_gt_f64_e32 vcc_lo, 0, v[99:100]
	v_cmp_gt_f64_e64 s0, 0, v[97:98]
	v_mov_b32_e32 v105, v99
	v_add_f64 v[101:102], v[101:102], v[103:104]
	v_xor_b32_e32 v104, 0x80000000, v98
	v_mov_b32_e32 v103, v97
	v_cndmask_b32_e32 v106, v100, v106, vcc_lo
	v_cndmask_b32_e64 v104, v98, v104, s0
	v_add_f64 v[103:104], v[103:104], v[105:106]
	v_cmp_lt_f64_e32 vcc_lo, v[101:102], v[103:104]
	v_cndmask_b32_e32 v83, v83, v98, vcc_lo
	v_cndmask_b32_e32 v82, v82, v97, vcc_lo
	;; [unrolled: 1-line block ×4, first 2 shown]
	v_cndmask_b32_e64 v90, v90, s1, vcc_lo
	s_add_i32 s1, s1, 1
	s_cmp_lg_u32 s18, s1
	s_cbranch_scc1 .LBB38_127
.LBB38_128:
	s_inst_prefetch 0x2
	s_waitcnt lgkmcnt(0)
	v_cmp_eq_f64_e32 vcc_lo, 0, v[82:83]
	v_cmp_eq_f64_e64 s0, 0, v[84:85]
	s_and_b32 s0, vcc_lo, s0
	s_and_saveexec_b32 s1, s0
	s_xor_b32 s0, exec_lo, s1
; %bb.129:
	v_cmp_ne_u32_e32 vcc_lo, 0, v95
	v_cndmask_b32_e32 v95, 7, v95, vcc_lo
; %bb.130:
	s_andn2_saveexec_b32 s0, s0
	s_cbranch_execz .LBB38_136
; %bb.131:
	v_cmp_ngt_f64_e64 s1, |v[82:83]|, |v[84:85]|
	s_and_saveexec_b32 s2, s1
	s_xor_b32 s1, exec_lo, s2
	s_cbranch_execz .LBB38_133
; %bb.132:
	v_div_scale_f64 v[97:98], null, v[84:85], v[84:85], v[82:83]
	v_div_scale_f64 v[103:104], vcc_lo, v[82:83], v[84:85], v[82:83]
	v_rcp_f64_e32 v[99:100], v[97:98]
	v_fma_f64 v[101:102], -v[97:98], v[99:100], 1.0
	v_fma_f64 v[99:100], v[99:100], v[101:102], v[99:100]
	v_fma_f64 v[101:102], -v[97:98], v[99:100], 1.0
	v_fma_f64 v[99:100], v[99:100], v[101:102], v[99:100]
	v_mul_f64 v[101:102], v[103:104], v[99:100]
	v_fma_f64 v[97:98], -v[97:98], v[101:102], v[103:104]
	v_div_fmas_f64 v[97:98], v[97:98], v[99:100], v[101:102]
	v_div_fixup_f64 v[97:98], v[97:98], v[84:85], v[82:83]
	v_fma_f64 v[82:83], v[82:83], v[97:98], v[84:85]
	v_div_scale_f64 v[84:85], null, v[82:83], v[82:83], 1.0
	v_rcp_f64_e32 v[99:100], v[84:85]
	v_fma_f64 v[101:102], -v[84:85], v[99:100], 1.0
	v_fma_f64 v[99:100], v[99:100], v[101:102], v[99:100]
	v_fma_f64 v[101:102], -v[84:85], v[99:100], 1.0
	v_fma_f64 v[99:100], v[99:100], v[101:102], v[99:100]
	v_div_scale_f64 v[101:102], vcc_lo, 1.0, v[82:83], 1.0
	v_mul_f64 v[103:104], v[101:102], v[99:100]
	v_fma_f64 v[84:85], -v[84:85], v[103:104], v[101:102]
	v_div_fmas_f64 v[84:85], v[84:85], v[99:100], v[103:104]
	v_div_fixup_f64 v[84:85], v[84:85], v[82:83], 1.0
	v_mul_f64 v[82:83], v[97:98], v[84:85]
	v_xor_b32_e32 v85, 0x80000000, v85
.LBB38_133:
	s_andn2_saveexec_b32 s1, s1
	s_cbranch_execz .LBB38_135
; %bb.134:
	v_div_scale_f64 v[97:98], null, v[82:83], v[82:83], v[84:85]
	v_div_scale_f64 v[103:104], vcc_lo, v[84:85], v[82:83], v[84:85]
	v_rcp_f64_e32 v[99:100], v[97:98]
	v_fma_f64 v[101:102], -v[97:98], v[99:100], 1.0
	v_fma_f64 v[99:100], v[99:100], v[101:102], v[99:100]
	v_fma_f64 v[101:102], -v[97:98], v[99:100], 1.0
	v_fma_f64 v[99:100], v[99:100], v[101:102], v[99:100]
	v_mul_f64 v[101:102], v[103:104], v[99:100]
	v_fma_f64 v[97:98], -v[97:98], v[101:102], v[103:104]
	v_div_fmas_f64 v[97:98], v[97:98], v[99:100], v[101:102]
	v_div_fixup_f64 v[97:98], v[97:98], v[82:83], v[84:85]
	v_fma_f64 v[82:83], v[84:85], v[97:98], v[82:83]
	v_div_scale_f64 v[84:85], null, v[82:83], v[82:83], 1.0
	v_rcp_f64_e32 v[99:100], v[84:85]
	v_fma_f64 v[101:102], -v[84:85], v[99:100], 1.0
	v_fma_f64 v[99:100], v[99:100], v[101:102], v[99:100]
	v_fma_f64 v[101:102], -v[84:85], v[99:100], 1.0
	v_fma_f64 v[99:100], v[99:100], v[101:102], v[99:100]
	v_div_scale_f64 v[101:102], vcc_lo, 1.0, v[82:83], 1.0
	v_mul_f64 v[103:104], v[101:102], v[99:100]
	v_fma_f64 v[84:85], -v[84:85], v[103:104], v[101:102]
	v_div_fmas_f64 v[84:85], v[84:85], v[99:100], v[103:104]
	v_div_fixup_f64 v[82:83], v[84:85], v[82:83], 1.0
	v_mul_f64 v[84:85], v[97:98], -v[82:83]
.LBB38_135:
	s_or_b32 exec_lo, exec_lo, s1
.LBB38_136:
	s_or_b32 exec_lo, exec_lo, s0
	s_mov_b32 s0, exec_lo
	v_cmpx_ne_u32_e64 v96, v90
	s_xor_b32 s0, exec_lo, s0
	s_cbranch_execz .LBB38_142
; %bb.137:
	s_mov_b32 s1, exec_lo
	v_cmpx_eq_u32_e32 6, v96
	s_cbranch_execz .LBB38_141
; %bb.138:
	v_cmp_ne_u32_e32 vcc_lo, 6, v90
	s_xor_b32 s2, s16, -1
	s_and_b32 s3, s2, vcc_lo
	s_and_saveexec_b32 s2, s3
	s_cbranch_execz .LBB38_140
; %bb.139:
	v_ashrrev_i32_e32 v91, 31, v90
	v_lshlrev_b64 v[96:97], 2, v[90:91]
	v_add_co_u32 v96, vcc_lo, v88, v96
	v_add_co_ci_u32_e64 v97, null, v89, v97, vcc_lo
	s_clause 0x1
	global_load_dword v0, v[96:97], off
	global_load_dword v91, v[88:89], off offset:24
	s_waitcnt vmcnt(1)
	global_store_dword v[88:89], v0, off offset:24
	s_waitcnt vmcnt(0)
	global_store_dword v[96:97], v91, off
.LBB38_140:
	s_or_b32 exec_lo, exec_lo, s2
	v_mov_b32_e32 v96, v90
	v_mov_b32_e32 v0, v90
.LBB38_141:
	s_or_b32 exec_lo, exec_lo, s1
.LBB38_142:
	s_andn2_saveexec_b32 s0, s0
	s_cbranch_execz .LBB38_144
; %bb.143:
	v_mov_b32_e32 v96, 6
	ds_write2_b64 v1, v[62:63], v[64:65] offset0:14 offset1:15
	ds_write2_b64 v1, v[50:51], v[52:53] offset0:16 offset1:17
	;; [unrolled: 1-line block ×13, first 2 shown]
.LBB38_144:
	s_or_b32 exec_lo, exec_lo, s0
	s_mov_b32 s0, exec_lo
	s_waitcnt lgkmcnt(0)
	s_waitcnt_vscnt null, 0x0
	s_barrier
	buffer_gl0_inv
	v_cmpx_lt_i32_e32 6, v96
	s_cbranch_execz .LBB38_146
; %bb.145:
	v_mul_f64 v[90:91], v[82:83], v[68:69]
	v_mul_f64 v[68:69], v[84:85], v[68:69]
	v_fma_f64 v[90:91], v[84:85], v[66:67], v[90:91]
	v_fma_f64 v[66:67], v[82:83], v[66:67], -v[68:69]
	ds_read2_b64 v[82:85], v1 offset0:14 offset1:15
	s_waitcnt lgkmcnt(0)
	v_mul_f64 v[68:69], v[84:85], v[90:91]
	v_fma_f64 v[68:69], v[82:83], v[66:67], -v[68:69]
	v_mul_f64 v[82:83], v[82:83], v[90:91]
	v_add_f64 v[62:63], v[62:63], -v[68:69]
	v_fma_f64 v[82:83], v[84:85], v[66:67], v[82:83]
	v_add_f64 v[64:65], v[64:65], -v[82:83]
	ds_read2_b64 v[82:85], v1 offset0:16 offset1:17
	s_waitcnt lgkmcnt(0)
	v_mul_f64 v[68:69], v[84:85], v[90:91]
	v_fma_f64 v[68:69], v[82:83], v[66:67], -v[68:69]
	v_mul_f64 v[82:83], v[82:83], v[90:91]
	v_add_f64 v[50:51], v[50:51], -v[68:69]
	v_fma_f64 v[82:83], v[84:85], v[66:67], v[82:83]
	v_add_f64 v[52:53], v[52:53], -v[82:83]
	;; [unrolled: 8-line block ×12, first 2 shown]
	ds_read2_b64 v[82:85], v1 offset0:38 offset1:39
	s_waitcnt lgkmcnt(0)
	v_mul_f64 v[68:69], v[84:85], v[90:91]
	v_fma_f64 v[68:69], v[82:83], v[66:67], -v[68:69]
	v_mul_f64 v[82:83], v[82:83], v[90:91]
	v_add_f64 v[2:3], v[2:3], -v[68:69]
	v_fma_f64 v[82:83], v[84:85], v[66:67], v[82:83]
	v_mov_b32_e32 v68, v90
	v_mov_b32_e32 v69, v91
	v_add_f64 v[4:5], v[4:5], -v[82:83]
.LBB38_146:
	s_or_b32 exec_lo, exec_lo, s0
	v_lshl_add_u32 v82, v96, 4, v1
	s_barrier
	buffer_gl0_inv
	v_mov_b32_e32 v90, 7
	ds_write2_b64 v82, v[62:63], v[64:65] offset1:1
	s_waitcnt lgkmcnt(0)
	s_barrier
	buffer_gl0_inv
	ds_read2_b64 v[82:85], v1 offset0:14 offset1:15
	s_cmp_lt_i32 s18, 9
	s_cbranch_scc1 .LBB38_149
; %bb.147:
	v_add3_u32 v91, v92, 0, 0x80
	v_mov_b32_e32 v90, 7
	s_mov_b32 s1, 8
	s_inst_prefetch 0x1
	.p2align	6
.LBB38_148:                             ; =>This Inner Loop Header: Depth=1
	s_waitcnt lgkmcnt(0)
	v_cmp_gt_f64_e32 vcc_lo, 0, v[84:85]
	v_cmp_gt_f64_e64 s0, 0, v[82:83]
	ds_read2_b64 v[97:100], v91 offset1:1
	v_xor_b32_e32 v102, 0x80000000, v83
	v_xor_b32_e32 v104, 0x80000000, v85
	v_mov_b32_e32 v101, v82
	v_mov_b32_e32 v103, v84
	v_add_nc_u32_e32 v91, 16, v91
	s_waitcnt lgkmcnt(0)
	v_xor_b32_e32 v106, 0x80000000, v100
	v_cndmask_b32_e64 v102, v83, v102, s0
	v_cndmask_b32_e32 v104, v85, v104, vcc_lo
	v_cmp_gt_f64_e32 vcc_lo, 0, v[99:100]
	v_cmp_gt_f64_e64 s0, 0, v[97:98]
	v_mov_b32_e32 v105, v99
	v_add_f64 v[101:102], v[101:102], v[103:104]
	v_xor_b32_e32 v104, 0x80000000, v98
	v_mov_b32_e32 v103, v97
	v_cndmask_b32_e32 v106, v100, v106, vcc_lo
	v_cndmask_b32_e64 v104, v98, v104, s0
	v_add_f64 v[103:104], v[103:104], v[105:106]
	v_cmp_lt_f64_e32 vcc_lo, v[101:102], v[103:104]
	v_cndmask_b32_e32 v83, v83, v98, vcc_lo
	v_cndmask_b32_e32 v82, v82, v97, vcc_lo
	;; [unrolled: 1-line block ×4, first 2 shown]
	v_cndmask_b32_e64 v90, v90, s1, vcc_lo
	s_add_i32 s1, s1, 1
	s_cmp_lg_u32 s18, s1
	s_cbranch_scc1 .LBB38_148
.LBB38_149:
	s_inst_prefetch 0x2
	s_waitcnt lgkmcnt(0)
	v_cmp_eq_f64_e32 vcc_lo, 0, v[82:83]
	v_cmp_eq_f64_e64 s0, 0, v[84:85]
	s_and_b32 s0, vcc_lo, s0
	s_and_saveexec_b32 s1, s0
	s_xor_b32 s0, exec_lo, s1
; %bb.150:
	v_cmp_ne_u32_e32 vcc_lo, 0, v95
	v_cndmask_b32_e32 v95, 8, v95, vcc_lo
; %bb.151:
	s_andn2_saveexec_b32 s0, s0
	s_cbranch_execz .LBB38_157
; %bb.152:
	v_cmp_ngt_f64_e64 s1, |v[82:83]|, |v[84:85]|
	s_and_saveexec_b32 s2, s1
	s_xor_b32 s1, exec_lo, s2
	s_cbranch_execz .LBB38_154
; %bb.153:
	v_div_scale_f64 v[97:98], null, v[84:85], v[84:85], v[82:83]
	v_div_scale_f64 v[103:104], vcc_lo, v[82:83], v[84:85], v[82:83]
	v_rcp_f64_e32 v[99:100], v[97:98]
	v_fma_f64 v[101:102], -v[97:98], v[99:100], 1.0
	v_fma_f64 v[99:100], v[99:100], v[101:102], v[99:100]
	v_fma_f64 v[101:102], -v[97:98], v[99:100], 1.0
	v_fma_f64 v[99:100], v[99:100], v[101:102], v[99:100]
	v_mul_f64 v[101:102], v[103:104], v[99:100]
	v_fma_f64 v[97:98], -v[97:98], v[101:102], v[103:104]
	v_div_fmas_f64 v[97:98], v[97:98], v[99:100], v[101:102]
	v_div_fixup_f64 v[97:98], v[97:98], v[84:85], v[82:83]
	v_fma_f64 v[82:83], v[82:83], v[97:98], v[84:85]
	v_div_scale_f64 v[84:85], null, v[82:83], v[82:83], 1.0
	v_rcp_f64_e32 v[99:100], v[84:85]
	v_fma_f64 v[101:102], -v[84:85], v[99:100], 1.0
	v_fma_f64 v[99:100], v[99:100], v[101:102], v[99:100]
	v_fma_f64 v[101:102], -v[84:85], v[99:100], 1.0
	v_fma_f64 v[99:100], v[99:100], v[101:102], v[99:100]
	v_div_scale_f64 v[101:102], vcc_lo, 1.0, v[82:83], 1.0
	v_mul_f64 v[103:104], v[101:102], v[99:100]
	v_fma_f64 v[84:85], -v[84:85], v[103:104], v[101:102]
	v_div_fmas_f64 v[84:85], v[84:85], v[99:100], v[103:104]
	v_div_fixup_f64 v[84:85], v[84:85], v[82:83], 1.0
	v_mul_f64 v[82:83], v[97:98], v[84:85]
	v_xor_b32_e32 v85, 0x80000000, v85
.LBB38_154:
	s_andn2_saveexec_b32 s1, s1
	s_cbranch_execz .LBB38_156
; %bb.155:
	v_div_scale_f64 v[97:98], null, v[82:83], v[82:83], v[84:85]
	v_div_scale_f64 v[103:104], vcc_lo, v[84:85], v[82:83], v[84:85]
	v_rcp_f64_e32 v[99:100], v[97:98]
	v_fma_f64 v[101:102], -v[97:98], v[99:100], 1.0
	v_fma_f64 v[99:100], v[99:100], v[101:102], v[99:100]
	v_fma_f64 v[101:102], -v[97:98], v[99:100], 1.0
	v_fma_f64 v[99:100], v[99:100], v[101:102], v[99:100]
	v_mul_f64 v[101:102], v[103:104], v[99:100]
	v_fma_f64 v[97:98], -v[97:98], v[101:102], v[103:104]
	v_div_fmas_f64 v[97:98], v[97:98], v[99:100], v[101:102]
	v_div_fixup_f64 v[97:98], v[97:98], v[82:83], v[84:85]
	v_fma_f64 v[82:83], v[84:85], v[97:98], v[82:83]
	v_div_scale_f64 v[84:85], null, v[82:83], v[82:83], 1.0
	v_rcp_f64_e32 v[99:100], v[84:85]
	v_fma_f64 v[101:102], -v[84:85], v[99:100], 1.0
	v_fma_f64 v[99:100], v[99:100], v[101:102], v[99:100]
	v_fma_f64 v[101:102], -v[84:85], v[99:100], 1.0
	v_fma_f64 v[99:100], v[99:100], v[101:102], v[99:100]
	v_div_scale_f64 v[101:102], vcc_lo, 1.0, v[82:83], 1.0
	v_mul_f64 v[103:104], v[101:102], v[99:100]
	v_fma_f64 v[84:85], -v[84:85], v[103:104], v[101:102]
	v_div_fmas_f64 v[84:85], v[84:85], v[99:100], v[103:104]
	v_div_fixup_f64 v[82:83], v[84:85], v[82:83], 1.0
	v_mul_f64 v[84:85], v[97:98], -v[82:83]
.LBB38_156:
	s_or_b32 exec_lo, exec_lo, s1
.LBB38_157:
	s_or_b32 exec_lo, exec_lo, s0
	s_mov_b32 s0, exec_lo
	v_cmpx_ne_u32_e64 v96, v90
	s_xor_b32 s0, exec_lo, s0
	s_cbranch_execz .LBB38_163
; %bb.158:
	s_mov_b32 s1, exec_lo
	v_cmpx_eq_u32_e32 7, v96
	s_cbranch_execz .LBB38_162
; %bb.159:
	v_cmp_ne_u32_e32 vcc_lo, 7, v90
	s_xor_b32 s2, s16, -1
	s_and_b32 s3, s2, vcc_lo
	s_and_saveexec_b32 s2, s3
	s_cbranch_execz .LBB38_161
; %bb.160:
	v_ashrrev_i32_e32 v91, 31, v90
	v_lshlrev_b64 v[96:97], 2, v[90:91]
	v_add_co_u32 v96, vcc_lo, v88, v96
	v_add_co_ci_u32_e64 v97, null, v89, v97, vcc_lo
	s_clause 0x1
	global_load_dword v0, v[96:97], off
	global_load_dword v91, v[88:89], off offset:28
	s_waitcnt vmcnt(1)
	global_store_dword v[88:89], v0, off offset:28
	s_waitcnt vmcnt(0)
	global_store_dword v[96:97], v91, off
.LBB38_161:
	s_or_b32 exec_lo, exec_lo, s2
	v_mov_b32_e32 v96, v90
	v_mov_b32_e32 v0, v90
.LBB38_162:
	s_or_b32 exec_lo, exec_lo, s1
.LBB38_163:
	s_andn2_saveexec_b32 s0, s0
	s_cbranch_execz .LBB38_165
; %bb.164:
	v_mov_b32_e32 v96, 7
	ds_write2_b64 v1, v[50:51], v[52:53] offset0:16 offset1:17
	ds_write2_b64 v1, v[46:47], v[48:49] offset0:18 offset1:19
	;; [unrolled: 1-line block ×12, first 2 shown]
.LBB38_165:
	s_or_b32 exec_lo, exec_lo, s0
	s_mov_b32 s0, exec_lo
	s_waitcnt lgkmcnt(0)
	s_waitcnt_vscnt null, 0x0
	s_barrier
	buffer_gl0_inv
	v_cmpx_lt_i32_e32 7, v96
	s_cbranch_execz .LBB38_167
; %bb.166:
	v_mul_f64 v[90:91], v[82:83], v[64:65]
	v_mul_f64 v[64:65], v[84:85], v[64:65]
	v_fma_f64 v[90:91], v[84:85], v[62:63], v[90:91]
	v_fma_f64 v[62:63], v[82:83], v[62:63], -v[64:65]
	ds_read2_b64 v[82:85], v1 offset0:16 offset1:17
	s_waitcnt lgkmcnt(0)
	v_mul_f64 v[64:65], v[84:85], v[90:91]
	v_fma_f64 v[64:65], v[82:83], v[62:63], -v[64:65]
	v_mul_f64 v[82:83], v[82:83], v[90:91]
	v_add_f64 v[50:51], v[50:51], -v[64:65]
	v_fma_f64 v[82:83], v[84:85], v[62:63], v[82:83]
	v_add_f64 v[52:53], v[52:53], -v[82:83]
	ds_read2_b64 v[82:85], v1 offset0:18 offset1:19
	s_waitcnt lgkmcnt(0)
	v_mul_f64 v[64:65], v[84:85], v[90:91]
	v_fma_f64 v[64:65], v[82:83], v[62:63], -v[64:65]
	v_mul_f64 v[82:83], v[82:83], v[90:91]
	v_add_f64 v[46:47], v[46:47], -v[64:65]
	v_fma_f64 v[82:83], v[84:85], v[62:63], v[82:83]
	v_add_f64 v[48:49], v[48:49], -v[82:83]
	;; [unrolled: 8-line block ×11, first 2 shown]
	ds_read2_b64 v[82:85], v1 offset0:38 offset1:39
	s_waitcnt lgkmcnt(0)
	v_mul_f64 v[64:65], v[84:85], v[90:91]
	v_fma_f64 v[64:65], v[82:83], v[62:63], -v[64:65]
	v_mul_f64 v[82:83], v[82:83], v[90:91]
	v_add_f64 v[2:3], v[2:3], -v[64:65]
	v_fma_f64 v[82:83], v[84:85], v[62:63], v[82:83]
	v_mov_b32_e32 v64, v90
	v_mov_b32_e32 v65, v91
	v_add_f64 v[4:5], v[4:5], -v[82:83]
.LBB38_167:
	s_or_b32 exec_lo, exec_lo, s0
	v_lshl_add_u32 v82, v96, 4, v1
	s_barrier
	buffer_gl0_inv
	v_mov_b32_e32 v90, 8
	ds_write2_b64 v82, v[50:51], v[52:53] offset1:1
	s_waitcnt lgkmcnt(0)
	s_barrier
	buffer_gl0_inv
	ds_read2_b64 v[82:85], v1 offset0:16 offset1:17
	s_cmp_lt_i32 s18, 10
	s_cbranch_scc1 .LBB38_170
; %bb.168:
	v_add3_u32 v91, v92, 0, 0x90
	v_mov_b32_e32 v90, 8
	s_mov_b32 s1, 9
	s_inst_prefetch 0x1
	.p2align	6
.LBB38_169:                             ; =>This Inner Loop Header: Depth=1
	s_waitcnt lgkmcnt(0)
	v_cmp_gt_f64_e32 vcc_lo, 0, v[84:85]
	v_cmp_gt_f64_e64 s0, 0, v[82:83]
	ds_read2_b64 v[97:100], v91 offset1:1
	v_xor_b32_e32 v102, 0x80000000, v83
	v_xor_b32_e32 v104, 0x80000000, v85
	v_mov_b32_e32 v101, v82
	v_mov_b32_e32 v103, v84
	v_add_nc_u32_e32 v91, 16, v91
	s_waitcnt lgkmcnt(0)
	v_xor_b32_e32 v106, 0x80000000, v100
	v_cndmask_b32_e64 v102, v83, v102, s0
	v_cndmask_b32_e32 v104, v85, v104, vcc_lo
	v_cmp_gt_f64_e32 vcc_lo, 0, v[99:100]
	v_cmp_gt_f64_e64 s0, 0, v[97:98]
	v_mov_b32_e32 v105, v99
	v_add_f64 v[101:102], v[101:102], v[103:104]
	v_xor_b32_e32 v104, 0x80000000, v98
	v_mov_b32_e32 v103, v97
	v_cndmask_b32_e32 v106, v100, v106, vcc_lo
	v_cndmask_b32_e64 v104, v98, v104, s0
	v_add_f64 v[103:104], v[103:104], v[105:106]
	v_cmp_lt_f64_e32 vcc_lo, v[101:102], v[103:104]
	v_cndmask_b32_e32 v83, v83, v98, vcc_lo
	v_cndmask_b32_e32 v82, v82, v97, vcc_lo
	;; [unrolled: 1-line block ×4, first 2 shown]
	v_cndmask_b32_e64 v90, v90, s1, vcc_lo
	s_add_i32 s1, s1, 1
	s_cmp_lg_u32 s18, s1
	s_cbranch_scc1 .LBB38_169
.LBB38_170:
	s_inst_prefetch 0x2
	s_waitcnt lgkmcnt(0)
	v_cmp_eq_f64_e32 vcc_lo, 0, v[82:83]
	v_cmp_eq_f64_e64 s0, 0, v[84:85]
	s_and_b32 s0, vcc_lo, s0
	s_and_saveexec_b32 s1, s0
	s_xor_b32 s0, exec_lo, s1
; %bb.171:
	v_cmp_ne_u32_e32 vcc_lo, 0, v95
	v_cndmask_b32_e32 v95, 9, v95, vcc_lo
; %bb.172:
	s_andn2_saveexec_b32 s0, s0
	s_cbranch_execz .LBB38_178
; %bb.173:
	v_cmp_ngt_f64_e64 s1, |v[82:83]|, |v[84:85]|
	s_and_saveexec_b32 s2, s1
	s_xor_b32 s1, exec_lo, s2
	s_cbranch_execz .LBB38_175
; %bb.174:
	v_div_scale_f64 v[97:98], null, v[84:85], v[84:85], v[82:83]
	v_div_scale_f64 v[103:104], vcc_lo, v[82:83], v[84:85], v[82:83]
	v_rcp_f64_e32 v[99:100], v[97:98]
	v_fma_f64 v[101:102], -v[97:98], v[99:100], 1.0
	v_fma_f64 v[99:100], v[99:100], v[101:102], v[99:100]
	v_fma_f64 v[101:102], -v[97:98], v[99:100], 1.0
	v_fma_f64 v[99:100], v[99:100], v[101:102], v[99:100]
	v_mul_f64 v[101:102], v[103:104], v[99:100]
	v_fma_f64 v[97:98], -v[97:98], v[101:102], v[103:104]
	v_div_fmas_f64 v[97:98], v[97:98], v[99:100], v[101:102]
	v_div_fixup_f64 v[97:98], v[97:98], v[84:85], v[82:83]
	v_fma_f64 v[82:83], v[82:83], v[97:98], v[84:85]
	v_div_scale_f64 v[84:85], null, v[82:83], v[82:83], 1.0
	v_rcp_f64_e32 v[99:100], v[84:85]
	v_fma_f64 v[101:102], -v[84:85], v[99:100], 1.0
	v_fma_f64 v[99:100], v[99:100], v[101:102], v[99:100]
	v_fma_f64 v[101:102], -v[84:85], v[99:100], 1.0
	v_fma_f64 v[99:100], v[99:100], v[101:102], v[99:100]
	v_div_scale_f64 v[101:102], vcc_lo, 1.0, v[82:83], 1.0
	v_mul_f64 v[103:104], v[101:102], v[99:100]
	v_fma_f64 v[84:85], -v[84:85], v[103:104], v[101:102]
	v_div_fmas_f64 v[84:85], v[84:85], v[99:100], v[103:104]
	v_div_fixup_f64 v[84:85], v[84:85], v[82:83], 1.0
	v_mul_f64 v[82:83], v[97:98], v[84:85]
	v_xor_b32_e32 v85, 0x80000000, v85
.LBB38_175:
	s_andn2_saveexec_b32 s1, s1
	s_cbranch_execz .LBB38_177
; %bb.176:
	v_div_scale_f64 v[97:98], null, v[82:83], v[82:83], v[84:85]
	v_div_scale_f64 v[103:104], vcc_lo, v[84:85], v[82:83], v[84:85]
	v_rcp_f64_e32 v[99:100], v[97:98]
	v_fma_f64 v[101:102], -v[97:98], v[99:100], 1.0
	v_fma_f64 v[99:100], v[99:100], v[101:102], v[99:100]
	v_fma_f64 v[101:102], -v[97:98], v[99:100], 1.0
	v_fma_f64 v[99:100], v[99:100], v[101:102], v[99:100]
	v_mul_f64 v[101:102], v[103:104], v[99:100]
	v_fma_f64 v[97:98], -v[97:98], v[101:102], v[103:104]
	v_div_fmas_f64 v[97:98], v[97:98], v[99:100], v[101:102]
	v_div_fixup_f64 v[97:98], v[97:98], v[82:83], v[84:85]
	v_fma_f64 v[82:83], v[84:85], v[97:98], v[82:83]
	v_div_scale_f64 v[84:85], null, v[82:83], v[82:83], 1.0
	v_rcp_f64_e32 v[99:100], v[84:85]
	v_fma_f64 v[101:102], -v[84:85], v[99:100], 1.0
	v_fma_f64 v[99:100], v[99:100], v[101:102], v[99:100]
	v_fma_f64 v[101:102], -v[84:85], v[99:100], 1.0
	v_fma_f64 v[99:100], v[99:100], v[101:102], v[99:100]
	v_div_scale_f64 v[101:102], vcc_lo, 1.0, v[82:83], 1.0
	v_mul_f64 v[103:104], v[101:102], v[99:100]
	v_fma_f64 v[84:85], -v[84:85], v[103:104], v[101:102]
	v_div_fmas_f64 v[84:85], v[84:85], v[99:100], v[103:104]
	v_div_fixup_f64 v[82:83], v[84:85], v[82:83], 1.0
	v_mul_f64 v[84:85], v[97:98], -v[82:83]
.LBB38_177:
	s_or_b32 exec_lo, exec_lo, s1
.LBB38_178:
	s_or_b32 exec_lo, exec_lo, s0
	s_mov_b32 s0, exec_lo
	v_cmpx_ne_u32_e64 v96, v90
	s_xor_b32 s0, exec_lo, s0
	s_cbranch_execz .LBB38_184
; %bb.179:
	s_mov_b32 s1, exec_lo
	v_cmpx_eq_u32_e32 8, v96
	s_cbranch_execz .LBB38_183
; %bb.180:
	v_cmp_ne_u32_e32 vcc_lo, 8, v90
	s_xor_b32 s2, s16, -1
	s_and_b32 s3, s2, vcc_lo
	s_and_saveexec_b32 s2, s3
	s_cbranch_execz .LBB38_182
; %bb.181:
	v_ashrrev_i32_e32 v91, 31, v90
	v_lshlrev_b64 v[96:97], 2, v[90:91]
	v_add_co_u32 v96, vcc_lo, v88, v96
	v_add_co_ci_u32_e64 v97, null, v89, v97, vcc_lo
	s_clause 0x1
	global_load_dword v0, v[96:97], off
	global_load_dword v91, v[88:89], off offset:32
	s_waitcnt vmcnt(1)
	global_store_dword v[88:89], v0, off offset:32
	s_waitcnt vmcnt(0)
	global_store_dword v[96:97], v91, off
.LBB38_182:
	s_or_b32 exec_lo, exec_lo, s2
	v_mov_b32_e32 v96, v90
	v_mov_b32_e32 v0, v90
.LBB38_183:
	s_or_b32 exec_lo, exec_lo, s1
.LBB38_184:
	s_andn2_saveexec_b32 s0, s0
	s_cbranch_execz .LBB38_186
; %bb.185:
	v_mov_b32_e32 v96, 8
	ds_write2_b64 v1, v[46:47], v[48:49] offset0:18 offset1:19
	ds_write2_b64 v1, v[38:39], v[40:41] offset0:20 offset1:21
	;; [unrolled: 1-line block ×11, first 2 shown]
.LBB38_186:
	s_or_b32 exec_lo, exec_lo, s0
	s_mov_b32 s0, exec_lo
	s_waitcnt lgkmcnt(0)
	s_waitcnt_vscnt null, 0x0
	s_barrier
	buffer_gl0_inv
	v_cmpx_lt_i32_e32 8, v96
	s_cbranch_execz .LBB38_188
; %bb.187:
	v_mul_f64 v[90:91], v[82:83], v[52:53]
	v_mul_f64 v[52:53], v[84:85], v[52:53]
	v_fma_f64 v[90:91], v[84:85], v[50:51], v[90:91]
	v_fma_f64 v[50:51], v[82:83], v[50:51], -v[52:53]
	ds_read2_b64 v[82:85], v1 offset0:18 offset1:19
	s_waitcnt lgkmcnt(0)
	v_mul_f64 v[52:53], v[84:85], v[90:91]
	v_fma_f64 v[52:53], v[82:83], v[50:51], -v[52:53]
	v_mul_f64 v[82:83], v[82:83], v[90:91]
	v_add_f64 v[46:47], v[46:47], -v[52:53]
	v_fma_f64 v[82:83], v[84:85], v[50:51], v[82:83]
	v_add_f64 v[48:49], v[48:49], -v[82:83]
	ds_read2_b64 v[82:85], v1 offset0:20 offset1:21
	s_waitcnt lgkmcnt(0)
	v_mul_f64 v[52:53], v[84:85], v[90:91]
	v_fma_f64 v[52:53], v[82:83], v[50:51], -v[52:53]
	v_mul_f64 v[82:83], v[82:83], v[90:91]
	v_add_f64 v[38:39], v[38:39], -v[52:53]
	v_fma_f64 v[82:83], v[84:85], v[50:51], v[82:83]
	v_add_f64 v[40:41], v[40:41], -v[82:83]
	;; [unrolled: 8-line block ×10, first 2 shown]
	ds_read2_b64 v[82:85], v1 offset0:38 offset1:39
	s_waitcnt lgkmcnt(0)
	v_mul_f64 v[52:53], v[84:85], v[90:91]
	v_fma_f64 v[52:53], v[82:83], v[50:51], -v[52:53]
	v_mul_f64 v[82:83], v[82:83], v[90:91]
	v_add_f64 v[2:3], v[2:3], -v[52:53]
	v_fma_f64 v[82:83], v[84:85], v[50:51], v[82:83]
	v_mov_b32_e32 v52, v90
	v_mov_b32_e32 v53, v91
	v_add_f64 v[4:5], v[4:5], -v[82:83]
.LBB38_188:
	s_or_b32 exec_lo, exec_lo, s0
	v_lshl_add_u32 v82, v96, 4, v1
	s_barrier
	buffer_gl0_inv
	v_mov_b32_e32 v90, 9
	ds_write2_b64 v82, v[46:47], v[48:49] offset1:1
	s_waitcnt lgkmcnt(0)
	s_barrier
	buffer_gl0_inv
	ds_read2_b64 v[82:85], v1 offset0:18 offset1:19
	s_cmp_lt_i32 s18, 11
	s_cbranch_scc1 .LBB38_191
; %bb.189:
	v_add3_u32 v91, v92, 0, 0xa0
	v_mov_b32_e32 v90, 9
	s_mov_b32 s1, 10
	s_inst_prefetch 0x1
	.p2align	6
.LBB38_190:                             ; =>This Inner Loop Header: Depth=1
	s_waitcnt lgkmcnt(0)
	v_cmp_gt_f64_e32 vcc_lo, 0, v[84:85]
	v_cmp_gt_f64_e64 s0, 0, v[82:83]
	ds_read2_b64 v[97:100], v91 offset1:1
	v_xor_b32_e32 v102, 0x80000000, v83
	v_xor_b32_e32 v104, 0x80000000, v85
	v_mov_b32_e32 v101, v82
	v_mov_b32_e32 v103, v84
	v_add_nc_u32_e32 v91, 16, v91
	s_waitcnt lgkmcnt(0)
	v_xor_b32_e32 v106, 0x80000000, v100
	v_cndmask_b32_e64 v102, v83, v102, s0
	v_cndmask_b32_e32 v104, v85, v104, vcc_lo
	v_cmp_gt_f64_e32 vcc_lo, 0, v[99:100]
	v_cmp_gt_f64_e64 s0, 0, v[97:98]
	v_mov_b32_e32 v105, v99
	v_add_f64 v[101:102], v[101:102], v[103:104]
	v_xor_b32_e32 v104, 0x80000000, v98
	v_mov_b32_e32 v103, v97
	v_cndmask_b32_e32 v106, v100, v106, vcc_lo
	v_cndmask_b32_e64 v104, v98, v104, s0
	v_add_f64 v[103:104], v[103:104], v[105:106]
	v_cmp_lt_f64_e32 vcc_lo, v[101:102], v[103:104]
	v_cndmask_b32_e32 v83, v83, v98, vcc_lo
	v_cndmask_b32_e32 v82, v82, v97, vcc_lo
	;; [unrolled: 1-line block ×4, first 2 shown]
	v_cndmask_b32_e64 v90, v90, s1, vcc_lo
	s_add_i32 s1, s1, 1
	s_cmp_lg_u32 s18, s1
	s_cbranch_scc1 .LBB38_190
.LBB38_191:
	s_inst_prefetch 0x2
	s_waitcnt lgkmcnt(0)
	v_cmp_eq_f64_e32 vcc_lo, 0, v[82:83]
	v_cmp_eq_f64_e64 s0, 0, v[84:85]
	s_and_b32 s0, vcc_lo, s0
	s_and_saveexec_b32 s1, s0
	s_xor_b32 s0, exec_lo, s1
; %bb.192:
	v_cmp_ne_u32_e32 vcc_lo, 0, v95
	v_cndmask_b32_e32 v95, 10, v95, vcc_lo
; %bb.193:
	s_andn2_saveexec_b32 s0, s0
	s_cbranch_execz .LBB38_199
; %bb.194:
	v_cmp_ngt_f64_e64 s1, |v[82:83]|, |v[84:85]|
	s_and_saveexec_b32 s2, s1
	s_xor_b32 s1, exec_lo, s2
	s_cbranch_execz .LBB38_196
; %bb.195:
	v_div_scale_f64 v[97:98], null, v[84:85], v[84:85], v[82:83]
	v_div_scale_f64 v[103:104], vcc_lo, v[82:83], v[84:85], v[82:83]
	v_rcp_f64_e32 v[99:100], v[97:98]
	v_fma_f64 v[101:102], -v[97:98], v[99:100], 1.0
	v_fma_f64 v[99:100], v[99:100], v[101:102], v[99:100]
	v_fma_f64 v[101:102], -v[97:98], v[99:100], 1.0
	v_fma_f64 v[99:100], v[99:100], v[101:102], v[99:100]
	v_mul_f64 v[101:102], v[103:104], v[99:100]
	v_fma_f64 v[97:98], -v[97:98], v[101:102], v[103:104]
	v_div_fmas_f64 v[97:98], v[97:98], v[99:100], v[101:102]
	v_div_fixup_f64 v[97:98], v[97:98], v[84:85], v[82:83]
	v_fma_f64 v[82:83], v[82:83], v[97:98], v[84:85]
	v_div_scale_f64 v[84:85], null, v[82:83], v[82:83], 1.0
	v_rcp_f64_e32 v[99:100], v[84:85]
	v_fma_f64 v[101:102], -v[84:85], v[99:100], 1.0
	v_fma_f64 v[99:100], v[99:100], v[101:102], v[99:100]
	v_fma_f64 v[101:102], -v[84:85], v[99:100], 1.0
	v_fma_f64 v[99:100], v[99:100], v[101:102], v[99:100]
	v_div_scale_f64 v[101:102], vcc_lo, 1.0, v[82:83], 1.0
	v_mul_f64 v[103:104], v[101:102], v[99:100]
	v_fma_f64 v[84:85], -v[84:85], v[103:104], v[101:102]
	v_div_fmas_f64 v[84:85], v[84:85], v[99:100], v[103:104]
	v_div_fixup_f64 v[84:85], v[84:85], v[82:83], 1.0
	v_mul_f64 v[82:83], v[97:98], v[84:85]
	v_xor_b32_e32 v85, 0x80000000, v85
.LBB38_196:
	s_andn2_saveexec_b32 s1, s1
	s_cbranch_execz .LBB38_198
; %bb.197:
	v_div_scale_f64 v[97:98], null, v[82:83], v[82:83], v[84:85]
	v_div_scale_f64 v[103:104], vcc_lo, v[84:85], v[82:83], v[84:85]
	v_rcp_f64_e32 v[99:100], v[97:98]
	v_fma_f64 v[101:102], -v[97:98], v[99:100], 1.0
	v_fma_f64 v[99:100], v[99:100], v[101:102], v[99:100]
	v_fma_f64 v[101:102], -v[97:98], v[99:100], 1.0
	v_fma_f64 v[99:100], v[99:100], v[101:102], v[99:100]
	v_mul_f64 v[101:102], v[103:104], v[99:100]
	v_fma_f64 v[97:98], -v[97:98], v[101:102], v[103:104]
	v_div_fmas_f64 v[97:98], v[97:98], v[99:100], v[101:102]
	v_div_fixup_f64 v[97:98], v[97:98], v[82:83], v[84:85]
	v_fma_f64 v[82:83], v[84:85], v[97:98], v[82:83]
	v_div_scale_f64 v[84:85], null, v[82:83], v[82:83], 1.0
	v_rcp_f64_e32 v[99:100], v[84:85]
	v_fma_f64 v[101:102], -v[84:85], v[99:100], 1.0
	v_fma_f64 v[99:100], v[99:100], v[101:102], v[99:100]
	v_fma_f64 v[101:102], -v[84:85], v[99:100], 1.0
	v_fma_f64 v[99:100], v[99:100], v[101:102], v[99:100]
	v_div_scale_f64 v[101:102], vcc_lo, 1.0, v[82:83], 1.0
	v_mul_f64 v[103:104], v[101:102], v[99:100]
	v_fma_f64 v[84:85], -v[84:85], v[103:104], v[101:102]
	v_div_fmas_f64 v[84:85], v[84:85], v[99:100], v[103:104]
	v_div_fixup_f64 v[82:83], v[84:85], v[82:83], 1.0
	v_mul_f64 v[84:85], v[97:98], -v[82:83]
.LBB38_198:
	s_or_b32 exec_lo, exec_lo, s1
.LBB38_199:
	s_or_b32 exec_lo, exec_lo, s0
	s_mov_b32 s0, exec_lo
	v_cmpx_ne_u32_e64 v96, v90
	s_xor_b32 s0, exec_lo, s0
	s_cbranch_execz .LBB38_205
; %bb.200:
	s_mov_b32 s1, exec_lo
	v_cmpx_eq_u32_e32 9, v96
	s_cbranch_execz .LBB38_204
; %bb.201:
	v_cmp_ne_u32_e32 vcc_lo, 9, v90
	s_xor_b32 s2, s16, -1
	s_and_b32 s3, s2, vcc_lo
	s_and_saveexec_b32 s2, s3
	s_cbranch_execz .LBB38_203
; %bb.202:
	v_ashrrev_i32_e32 v91, 31, v90
	v_lshlrev_b64 v[96:97], 2, v[90:91]
	v_add_co_u32 v96, vcc_lo, v88, v96
	v_add_co_ci_u32_e64 v97, null, v89, v97, vcc_lo
	s_clause 0x1
	global_load_dword v0, v[96:97], off
	global_load_dword v91, v[88:89], off offset:36
	s_waitcnt vmcnt(1)
	global_store_dword v[88:89], v0, off offset:36
	s_waitcnt vmcnt(0)
	global_store_dword v[96:97], v91, off
.LBB38_203:
	s_or_b32 exec_lo, exec_lo, s2
	v_mov_b32_e32 v96, v90
	v_mov_b32_e32 v0, v90
.LBB38_204:
	s_or_b32 exec_lo, exec_lo, s1
.LBB38_205:
	s_andn2_saveexec_b32 s0, s0
	s_cbranch_execz .LBB38_207
; %bb.206:
	v_mov_b32_e32 v96, 9
	ds_write2_b64 v1, v[38:39], v[40:41] offset0:20 offset1:21
	ds_write2_b64 v1, v[34:35], v[36:37] offset0:22 offset1:23
	;; [unrolled: 1-line block ×10, first 2 shown]
.LBB38_207:
	s_or_b32 exec_lo, exec_lo, s0
	s_mov_b32 s0, exec_lo
	s_waitcnt lgkmcnt(0)
	s_waitcnt_vscnt null, 0x0
	s_barrier
	buffer_gl0_inv
	v_cmpx_lt_i32_e32 9, v96
	s_cbranch_execz .LBB38_209
; %bb.208:
	v_mul_f64 v[90:91], v[82:83], v[48:49]
	v_mul_f64 v[48:49], v[84:85], v[48:49]
	v_fma_f64 v[90:91], v[84:85], v[46:47], v[90:91]
	v_fma_f64 v[46:47], v[82:83], v[46:47], -v[48:49]
	ds_read2_b64 v[82:85], v1 offset0:20 offset1:21
	s_waitcnt lgkmcnt(0)
	v_mul_f64 v[48:49], v[84:85], v[90:91]
	v_fma_f64 v[48:49], v[82:83], v[46:47], -v[48:49]
	v_mul_f64 v[82:83], v[82:83], v[90:91]
	v_add_f64 v[38:39], v[38:39], -v[48:49]
	v_fma_f64 v[82:83], v[84:85], v[46:47], v[82:83]
	v_add_f64 v[40:41], v[40:41], -v[82:83]
	ds_read2_b64 v[82:85], v1 offset0:22 offset1:23
	s_waitcnt lgkmcnt(0)
	v_mul_f64 v[48:49], v[84:85], v[90:91]
	v_fma_f64 v[48:49], v[82:83], v[46:47], -v[48:49]
	v_mul_f64 v[82:83], v[82:83], v[90:91]
	v_add_f64 v[34:35], v[34:35], -v[48:49]
	v_fma_f64 v[82:83], v[84:85], v[46:47], v[82:83]
	v_add_f64 v[36:37], v[36:37], -v[82:83]
	;; [unrolled: 8-line block ×9, first 2 shown]
	ds_read2_b64 v[82:85], v1 offset0:38 offset1:39
	s_waitcnt lgkmcnt(0)
	v_mul_f64 v[48:49], v[84:85], v[90:91]
	v_fma_f64 v[48:49], v[82:83], v[46:47], -v[48:49]
	v_mul_f64 v[82:83], v[82:83], v[90:91]
	v_add_f64 v[2:3], v[2:3], -v[48:49]
	v_fma_f64 v[82:83], v[84:85], v[46:47], v[82:83]
	v_mov_b32_e32 v48, v90
	v_mov_b32_e32 v49, v91
	v_add_f64 v[4:5], v[4:5], -v[82:83]
.LBB38_209:
	s_or_b32 exec_lo, exec_lo, s0
	v_lshl_add_u32 v82, v96, 4, v1
	s_barrier
	buffer_gl0_inv
	v_mov_b32_e32 v90, 10
	ds_write2_b64 v82, v[38:39], v[40:41] offset1:1
	s_waitcnt lgkmcnt(0)
	s_barrier
	buffer_gl0_inv
	ds_read2_b64 v[82:85], v1 offset0:20 offset1:21
	s_cmp_lt_i32 s18, 12
	s_cbranch_scc1 .LBB38_212
; %bb.210:
	v_add3_u32 v91, v92, 0, 0xb0
	v_mov_b32_e32 v90, 10
	s_mov_b32 s1, 11
	s_inst_prefetch 0x1
	.p2align	6
.LBB38_211:                             ; =>This Inner Loop Header: Depth=1
	s_waitcnt lgkmcnt(0)
	v_cmp_gt_f64_e32 vcc_lo, 0, v[84:85]
	v_cmp_gt_f64_e64 s0, 0, v[82:83]
	ds_read2_b64 v[97:100], v91 offset1:1
	v_xor_b32_e32 v102, 0x80000000, v83
	v_xor_b32_e32 v104, 0x80000000, v85
	v_mov_b32_e32 v101, v82
	v_mov_b32_e32 v103, v84
	v_add_nc_u32_e32 v91, 16, v91
	s_waitcnt lgkmcnt(0)
	v_xor_b32_e32 v106, 0x80000000, v100
	v_cndmask_b32_e64 v102, v83, v102, s0
	v_cndmask_b32_e32 v104, v85, v104, vcc_lo
	v_cmp_gt_f64_e32 vcc_lo, 0, v[99:100]
	v_cmp_gt_f64_e64 s0, 0, v[97:98]
	v_mov_b32_e32 v105, v99
	v_add_f64 v[101:102], v[101:102], v[103:104]
	v_xor_b32_e32 v104, 0x80000000, v98
	v_mov_b32_e32 v103, v97
	v_cndmask_b32_e32 v106, v100, v106, vcc_lo
	v_cndmask_b32_e64 v104, v98, v104, s0
	v_add_f64 v[103:104], v[103:104], v[105:106]
	v_cmp_lt_f64_e32 vcc_lo, v[101:102], v[103:104]
	v_cndmask_b32_e32 v83, v83, v98, vcc_lo
	v_cndmask_b32_e32 v82, v82, v97, vcc_lo
	;; [unrolled: 1-line block ×4, first 2 shown]
	v_cndmask_b32_e64 v90, v90, s1, vcc_lo
	s_add_i32 s1, s1, 1
	s_cmp_lg_u32 s18, s1
	s_cbranch_scc1 .LBB38_211
.LBB38_212:
	s_inst_prefetch 0x2
	s_waitcnt lgkmcnt(0)
	v_cmp_eq_f64_e32 vcc_lo, 0, v[82:83]
	v_cmp_eq_f64_e64 s0, 0, v[84:85]
	s_and_b32 s0, vcc_lo, s0
	s_and_saveexec_b32 s1, s0
	s_xor_b32 s0, exec_lo, s1
; %bb.213:
	v_cmp_ne_u32_e32 vcc_lo, 0, v95
	v_cndmask_b32_e32 v95, 11, v95, vcc_lo
; %bb.214:
	s_andn2_saveexec_b32 s0, s0
	s_cbranch_execz .LBB38_220
; %bb.215:
	v_cmp_ngt_f64_e64 s1, |v[82:83]|, |v[84:85]|
	s_and_saveexec_b32 s2, s1
	s_xor_b32 s1, exec_lo, s2
	s_cbranch_execz .LBB38_217
; %bb.216:
	v_div_scale_f64 v[97:98], null, v[84:85], v[84:85], v[82:83]
	v_div_scale_f64 v[103:104], vcc_lo, v[82:83], v[84:85], v[82:83]
	v_rcp_f64_e32 v[99:100], v[97:98]
	v_fma_f64 v[101:102], -v[97:98], v[99:100], 1.0
	v_fma_f64 v[99:100], v[99:100], v[101:102], v[99:100]
	v_fma_f64 v[101:102], -v[97:98], v[99:100], 1.0
	v_fma_f64 v[99:100], v[99:100], v[101:102], v[99:100]
	v_mul_f64 v[101:102], v[103:104], v[99:100]
	v_fma_f64 v[97:98], -v[97:98], v[101:102], v[103:104]
	v_div_fmas_f64 v[97:98], v[97:98], v[99:100], v[101:102]
	v_div_fixup_f64 v[97:98], v[97:98], v[84:85], v[82:83]
	v_fma_f64 v[82:83], v[82:83], v[97:98], v[84:85]
	v_div_scale_f64 v[84:85], null, v[82:83], v[82:83], 1.0
	v_rcp_f64_e32 v[99:100], v[84:85]
	v_fma_f64 v[101:102], -v[84:85], v[99:100], 1.0
	v_fma_f64 v[99:100], v[99:100], v[101:102], v[99:100]
	v_fma_f64 v[101:102], -v[84:85], v[99:100], 1.0
	v_fma_f64 v[99:100], v[99:100], v[101:102], v[99:100]
	v_div_scale_f64 v[101:102], vcc_lo, 1.0, v[82:83], 1.0
	v_mul_f64 v[103:104], v[101:102], v[99:100]
	v_fma_f64 v[84:85], -v[84:85], v[103:104], v[101:102]
	v_div_fmas_f64 v[84:85], v[84:85], v[99:100], v[103:104]
	v_div_fixup_f64 v[84:85], v[84:85], v[82:83], 1.0
	v_mul_f64 v[82:83], v[97:98], v[84:85]
	v_xor_b32_e32 v85, 0x80000000, v85
.LBB38_217:
	s_andn2_saveexec_b32 s1, s1
	s_cbranch_execz .LBB38_219
; %bb.218:
	v_div_scale_f64 v[97:98], null, v[82:83], v[82:83], v[84:85]
	v_div_scale_f64 v[103:104], vcc_lo, v[84:85], v[82:83], v[84:85]
	v_rcp_f64_e32 v[99:100], v[97:98]
	v_fma_f64 v[101:102], -v[97:98], v[99:100], 1.0
	v_fma_f64 v[99:100], v[99:100], v[101:102], v[99:100]
	v_fma_f64 v[101:102], -v[97:98], v[99:100], 1.0
	v_fma_f64 v[99:100], v[99:100], v[101:102], v[99:100]
	v_mul_f64 v[101:102], v[103:104], v[99:100]
	v_fma_f64 v[97:98], -v[97:98], v[101:102], v[103:104]
	v_div_fmas_f64 v[97:98], v[97:98], v[99:100], v[101:102]
	v_div_fixup_f64 v[97:98], v[97:98], v[82:83], v[84:85]
	v_fma_f64 v[82:83], v[84:85], v[97:98], v[82:83]
	v_div_scale_f64 v[84:85], null, v[82:83], v[82:83], 1.0
	v_rcp_f64_e32 v[99:100], v[84:85]
	v_fma_f64 v[101:102], -v[84:85], v[99:100], 1.0
	v_fma_f64 v[99:100], v[99:100], v[101:102], v[99:100]
	v_fma_f64 v[101:102], -v[84:85], v[99:100], 1.0
	v_fma_f64 v[99:100], v[99:100], v[101:102], v[99:100]
	v_div_scale_f64 v[101:102], vcc_lo, 1.0, v[82:83], 1.0
	v_mul_f64 v[103:104], v[101:102], v[99:100]
	v_fma_f64 v[84:85], -v[84:85], v[103:104], v[101:102]
	v_div_fmas_f64 v[84:85], v[84:85], v[99:100], v[103:104]
	v_div_fixup_f64 v[82:83], v[84:85], v[82:83], 1.0
	v_mul_f64 v[84:85], v[97:98], -v[82:83]
.LBB38_219:
	s_or_b32 exec_lo, exec_lo, s1
.LBB38_220:
	s_or_b32 exec_lo, exec_lo, s0
	s_mov_b32 s0, exec_lo
	v_cmpx_ne_u32_e64 v96, v90
	s_xor_b32 s0, exec_lo, s0
	s_cbranch_execz .LBB38_226
; %bb.221:
	s_mov_b32 s1, exec_lo
	v_cmpx_eq_u32_e32 10, v96
	s_cbranch_execz .LBB38_225
; %bb.222:
	v_cmp_ne_u32_e32 vcc_lo, 10, v90
	s_xor_b32 s2, s16, -1
	s_and_b32 s3, s2, vcc_lo
	s_and_saveexec_b32 s2, s3
	s_cbranch_execz .LBB38_224
; %bb.223:
	v_ashrrev_i32_e32 v91, 31, v90
	v_lshlrev_b64 v[96:97], 2, v[90:91]
	v_add_co_u32 v96, vcc_lo, v88, v96
	v_add_co_ci_u32_e64 v97, null, v89, v97, vcc_lo
	s_clause 0x1
	global_load_dword v0, v[96:97], off
	global_load_dword v91, v[88:89], off offset:40
	s_waitcnt vmcnt(1)
	global_store_dword v[88:89], v0, off offset:40
	s_waitcnt vmcnt(0)
	global_store_dword v[96:97], v91, off
.LBB38_224:
	s_or_b32 exec_lo, exec_lo, s2
	v_mov_b32_e32 v96, v90
	v_mov_b32_e32 v0, v90
.LBB38_225:
	s_or_b32 exec_lo, exec_lo, s1
.LBB38_226:
	s_andn2_saveexec_b32 s0, s0
	s_cbranch_execz .LBB38_228
; %bb.227:
	v_mov_b32_e32 v96, 10
	ds_write2_b64 v1, v[34:35], v[36:37] offset0:22 offset1:23
	ds_write2_b64 v1, v[30:31], v[32:33] offset0:24 offset1:25
	;; [unrolled: 1-line block ×9, first 2 shown]
.LBB38_228:
	s_or_b32 exec_lo, exec_lo, s0
	s_mov_b32 s0, exec_lo
	s_waitcnt lgkmcnt(0)
	s_waitcnt_vscnt null, 0x0
	s_barrier
	buffer_gl0_inv
	v_cmpx_lt_i32_e32 10, v96
	s_cbranch_execz .LBB38_230
; %bb.229:
	v_mul_f64 v[90:91], v[82:83], v[40:41]
	v_mul_f64 v[40:41], v[84:85], v[40:41]
	v_fma_f64 v[90:91], v[84:85], v[38:39], v[90:91]
	v_fma_f64 v[38:39], v[82:83], v[38:39], -v[40:41]
	ds_read2_b64 v[82:85], v1 offset0:22 offset1:23
	s_waitcnt lgkmcnt(0)
	v_mul_f64 v[40:41], v[84:85], v[90:91]
	v_fma_f64 v[40:41], v[82:83], v[38:39], -v[40:41]
	v_mul_f64 v[82:83], v[82:83], v[90:91]
	v_add_f64 v[34:35], v[34:35], -v[40:41]
	v_fma_f64 v[82:83], v[84:85], v[38:39], v[82:83]
	v_add_f64 v[36:37], v[36:37], -v[82:83]
	ds_read2_b64 v[82:85], v1 offset0:24 offset1:25
	s_waitcnt lgkmcnt(0)
	v_mul_f64 v[40:41], v[84:85], v[90:91]
	v_fma_f64 v[40:41], v[82:83], v[38:39], -v[40:41]
	v_mul_f64 v[82:83], v[82:83], v[90:91]
	v_add_f64 v[30:31], v[30:31], -v[40:41]
	v_fma_f64 v[82:83], v[84:85], v[38:39], v[82:83]
	v_add_f64 v[32:33], v[32:33], -v[82:83]
	;; [unrolled: 8-line block ×8, first 2 shown]
	ds_read2_b64 v[82:85], v1 offset0:38 offset1:39
	s_waitcnt lgkmcnt(0)
	v_mul_f64 v[40:41], v[84:85], v[90:91]
	v_fma_f64 v[40:41], v[82:83], v[38:39], -v[40:41]
	v_mul_f64 v[82:83], v[82:83], v[90:91]
	v_add_f64 v[2:3], v[2:3], -v[40:41]
	v_fma_f64 v[82:83], v[84:85], v[38:39], v[82:83]
	v_mov_b32_e32 v40, v90
	v_mov_b32_e32 v41, v91
	v_add_f64 v[4:5], v[4:5], -v[82:83]
.LBB38_230:
	s_or_b32 exec_lo, exec_lo, s0
	v_lshl_add_u32 v82, v96, 4, v1
	s_barrier
	buffer_gl0_inv
	v_mov_b32_e32 v90, 11
	ds_write2_b64 v82, v[34:35], v[36:37] offset1:1
	s_waitcnt lgkmcnt(0)
	s_barrier
	buffer_gl0_inv
	ds_read2_b64 v[82:85], v1 offset0:22 offset1:23
	s_cmp_lt_i32 s18, 13
	s_cbranch_scc1 .LBB38_233
; %bb.231:
	v_add3_u32 v91, v92, 0, 0xc0
	v_mov_b32_e32 v90, 11
	s_mov_b32 s1, 12
	s_inst_prefetch 0x1
	.p2align	6
.LBB38_232:                             ; =>This Inner Loop Header: Depth=1
	s_waitcnt lgkmcnt(0)
	v_cmp_gt_f64_e32 vcc_lo, 0, v[84:85]
	v_cmp_gt_f64_e64 s0, 0, v[82:83]
	ds_read2_b64 v[97:100], v91 offset1:1
	v_xor_b32_e32 v102, 0x80000000, v83
	v_xor_b32_e32 v104, 0x80000000, v85
	v_mov_b32_e32 v101, v82
	v_mov_b32_e32 v103, v84
	v_add_nc_u32_e32 v91, 16, v91
	s_waitcnt lgkmcnt(0)
	v_xor_b32_e32 v106, 0x80000000, v100
	v_cndmask_b32_e64 v102, v83, v102, s0
	v_cndmask_b32_e32 v104, v85, v104, vcc_lo
	v_cmp_gt_f64_e32 vcc_lo, 0, v[99:100]
	v_cmp_gt_f64_e64 s0, 0, v[97:98]
	v_mov_b32_e32 v105, v99
	v_add_f64 v[101:102], v[101:102], v[103:104]
	v_xor_b32_e32 v104, 0x80000000, v98
	v_mov_b32_e32 v103, v97
	v_cndmask_b32_e32 v106, v100, v106, vcc_lo
	v_cndmask_b32_e64 v104, v98, v104, s0
	v_add_f64 v[103:104], v[103:104], v[105:106]
	v_cmp_lt_f64_e32 vcc_lo, v[101:102], v[103:104]
	v_cndmask_b32_e32 v83, v83, v98, vcc_lo
	v_cndmask_b32_e32 v82, v82, v97, vcc_lo
	;; [unrolled: 1-line block ×4, first 2 shown]
	v_cndmask_b32_e64 v90, v90, s1, vcc_lo
	s_add_i32 s1, s1, 1
	s_cmp_lg_u32 s18, s1
	s_cbranch_scc1 .LBB38_232
.LBB38_233:
	s_inst_prefetch 0x2
	s_waitcnt lgkmcnt(0)
	v_cmp_eq_f64_e32 vcc_lo, 0, v[82:83]
	v_cmp_eq_f64_e64 s0, 0, v[84:85]
	s_and_b32 s0, vcc_lo, s0
	s_and_saveexec_b32 s1, s0
	s_xor_b32 s0, exec_lo, s1
; %bb.234:
	v_cmp_ne_u32_e32 vcc_lo, 0, v95
	v_cndmask_b32_e32 v95, 12, v95, vcc_lo
; %bb.235:
	s_andn2_saveexec_b32 s0, s0
	s_cbranch_execz .LBB38_241
; %bb.236:
	v_cmp_ngt_f64_e64 s1, |v[82:83]|, |v[84:85]|
	s_and_saveexec_b32 s2, s1
	s_xor_b32 s1, exec_lo, s2
	s_cbranch_execz .LBB38_238
; %bb.237:
	v_div_scale_f64 v[97:98], null, v[84:85], v[84:85], v[82:83]
	v_div_scale_f64 v[103:104], vcc_lo, v[82:83], v[84:85], v[82:83]
	v_rcp_f64_e32 v[99:100], v[97:98]
	v_fma_f64 v[101:102], -v[97:98], v[99:100], 1.0
	v_fma_f64 v[99:100], v[99:100], v[101:102], v[99:100]
	v_fma_f64 v[101:102], -v[97:98], v[99:100], 1.0
	v_fma_f64 v[99:100], v[99:100], v[101:102], v[99:100]
	v_mul_f64 v[101:102], v[103:104], v[99:100]
	v_fma_f64 v[97:98], -v[97:98], v[101:102], v[103:104]
	v_div_fmas_f64 v[97:98], v[97:98], v[99:100], v[101:102]
	v_div_fixup_f64 v[97:98], v[97:98], v[84:85], v[82:83]
	v_fma_f64 v[82:83], v[82:83], v[97:98], v[84:85]
	v_div_scale_f64 v[84:85], null, v[82:83], v[82:83], 1.0
	v_rcp_f64_e32 v[99:100], v[84:85]
	v_fma_f64 v[101:102], -v[84:85], v[99:100], 1.0
	v_fma_f64 v[99:100], v[99:100], v[101:102], v[99:100]
	v_fma_f64 v[101:102], -v[84:85], v[99:100], 1.0
	v_fma_f64 v[99:100], v[99:100], v[101:102], v[99:100]
	v_div_scale_f64 v[101:102], vcc_lo, 1.0, v[82:83], 1.0
	v_mul_f64 v[103:104], v[101:102], v[99:100]
	v_fma_f64 v[84:85], -v[84:85], v[103:104], v[101:102]
	v_div_fmas_f64 v[84:85], v[84:85], v[99:100], v[103:104]
	v_div_fixup_f64 v[84:85], v[84:85], v[82:83], 1.0
	v_mul_f64 v[82:83], v[97:98], v[84:85]
	v_xor_b32_e32 v85, 0x80000000, v85
.LBB38_238:
	s_andn2_saveexec_b32 s1, s1
	s_cbranch_execz .LBB38_240
; %bb.239:
	v_div_scale_f64 v[97:98], null, v[82:83], v[82:83], v[84:85]
	v_div_scale_f64 v[103:104], vcc_lo, v[84:85], v[82:83], v[84:85]
	v_rcp_f64_e32 v[99:100], v[97:98]
	v_fma_f64 v[101:102], -v[97:98], v[99:100], 1.0
	v_fma_f64 v[99:100], v[99:100], v[101:102], v[99:100]
	v_fma_f64 v[101:102], -v[97:98], v[99:100], 1.0
	v_fma_f64 v[99:100], v[99:100], v[101:102], v[99:100]
	v_mul_f64 v[101:102], v[103:104], v[99:100]
	v_fma_f64 v[97:98], -v[97:98], v[101:102], v[103:104]
	v_div_fmas_f64 v[97:98], v[97:98], v[99:100], v[101:102]
	v_div_fixup_f64 v[97:98], v[97:98], v[82:83], v[84:85]
	v_fma_f64 v[82:83], v[84:85], v[97:98], v[82:83]
	v_div_scale_f64 v[84:85], null, v[82:83], v[82:83], 1.0
	v_rcp_f64_e32 v[99:100], v[84:85]
	v_fma_f64 v[101:102], -v[84:85], v[99:100], 1.0
	v_fma_f64 v[99:100], v[99:100], v[101:102], v[99:100]
	v_fma_f64 v[101:102], -v[84:85], v[99:100], 1.0
	v_fma_f64 v[99:100], v[99:100], v[101:102], v[99:100]
	v_div_scale_f64 v[101:102], vcc_lo, 1.0, v[82:83], 1.0
	v_mul_f64 v[103:104], v[101:102], v[99:100]
	v_fma_f64 v[84:85], -v[84:85], v[103:104], v[101:102]
	v_div_fmas_f64 v[84:85], v[84:85], v[99:100], v[103:104]
	v_div_fixup_f64 v[82:83], v[84:85], v[82:83], 1.0
	v_mul_f64 v[84:85], v[97:98], -v[82:83]
.LBB38_240:
	s_or_b32 exec_lo, exec_lo, s1
.LBB38_241:
	s_or_b32 exec_lo, exec_lo, s0
	s_mov_b32 s0, exec_lo
	v_cmpx_ne_u32_e64 v96, v90
	s_xor_b32 s0, exec_lo, s0
	s_cbranch_execz .LBB38_247
; %bb.242:
	s_mov_b32 s1, exec_lo
	v_cmpx_eq_u32_e32 11, v96
	s_cbranch_execz .LBB38_246
; %bb.243:
	v_cmp_ne_u32_e32 vcc_lo, 11, v90
	s_xor_b32 s2, s16, -1
	s_and_b32 s3, s2, vcc_lo
	s_and_saveexec_b32 s2, s3
	s_cbranch_execz .LBB38_245
; %bb.244:
	v_ashrrev_i32_e32 v91, 31, v90
	v_lshlrev_b64 v[96:97], 2, v[90:91]
	v_add_co_u32 v96, vcc_lo, v88, v96
	v_add_co_ci_u32_e64 v97, null, v89, v97, vcc_lo
	s_clause 0x1
	global_load_dword v0, v[96:97], off
	global_load_dword v91, v[88:89], off offset:44
	s_waitcnt vmcnt(1)
	global_store_dword v[88:89], v0, off offset:44
	s_waitcnt vmcnt(0)
	global_store_dword v[96:97], v91, off
.LBB38_245:
	s_or_b32 exec_lo, exec_lo, s2
	v_mov_b32_e32 v96, v90
	v_mov_b32_e32 v0, v90
.LBB38_246:
	s_or_b32 exec_lo, exec_lo, s1
.LBB38_247:
	s_andn2_saveexec_b32 s0, s0
	s_cbranch_execz .LBB38_249
; %bb.248:
	v_mov_b32_e32 v96, 11
	ds_write2_b64 v1, v[30:31], v[32:33] offset0:24 offset1:25
	ds_write2_b64 v1, v[26:27], v[28:29] offset0:26 offset1:27
	;; [unrolled: 1-line block ×8, first 2 shown]
.LBB38_249:
	s_or_b32 exec_lo, exec_lo, s0
	s_mov_b32 s0, exec_lo
	s_waitcnt lgkmcnt(0)
	s_waitcnt_vscnt null, 0x0
	s_barrier
	buffer_gl0_inv
	v_cmpx_lt_i32_e32 11, v96
	s_cbranch_execz .LBB38_251
; %bb.250:
	v_mul_f64 v[90:91], v[82:83], v[36:37]
	v_mul_f64 v[36:37], v[84:85], v[36:37]
	v_fma_f64 v[90:91], v[84:85], v[34:35], v[90:91]
	v_fma_f64 v[34:35], v[82:83], v[34:35], -v[36:37]
	ds_read2_b64 v[82:85], v1 offset0:24 offset1:25
	s_waitcnt lgkmcnt(0)
	v_mul_f64 v[36:37], v[84:85], v[90:91]
	v_fma_f64 v[36:37], v[82:83], v[34:35], -v[36:37]
	v_mul_f64 v[82:83], v[82:83], v[90:91]
	v_add_f64 v[30:31], v[30:31], -v[36:37]
	v_fma_f64 v[82:83], v[84:85], v[34:35], v[82:83]
	v_add_f64 v[32:33], v[32:33], -v[82:83]
	ds_read2_b64 v[82:85], v1 offset0:26 offset1:27
	s_waitcnt lgkmcnt(0)
	v_mul_f64 v[36:37], v[84:85], v[90:91]
	v_fma_f64 v[36:37], v[82:83], v[34:35], -v[36:37]
	v_mul_f64 v[82:83], v[82:83], v[90:91]
	v_add_f64 v[26:27], v[26:27], -v[36:37]
	v_fma_f64 v[82:83], v[84:85], v[34:35], v[82:83]
	v_add_f64 v[28:29], v[28:29], -v[82:83]
	;; [unrolled: 8-line block ×7, first 2 shown]
	ds_read2_b64 v[82:85], v1 offset0:38 offset1:39
	s_waitcnt lgkmcnt(0)
	v_mul_f64 v[36:37], v[84:85], v[90:91]
	v_fma_f64 v[36:37], v[82:83], v[34:35], -v[36:37]
	v_mul_f64 v[82:83], v[82:83], v[90:91]
	v_add_f64 v[2:3], v[2:3], -v[36:37]
	v_fma_f64 v[82:83], v[84:85], v[34:35], v[82:83]
	v_mov_b32_e32 v36, v90
	v_mov_b32_e32 v37, v91
	v_add_f64 v[4:5], v[4:5], -v[82:83]
.LBB38_251:
	s_or_b32 exec_lo, exec_lo, s0
	v_lshl_add_u32 v82, v96, 4, v1
	s_barrier
	buffer_gl0_inv
	v_mov_b32_e32 v90, 12
	ds_write2_b64 v82, v[30:31], v[32:33] offset1:1
	s_waitcnt lgkmcnt(0)
	s_barrier
	buffer_gl0_inv
	ds_read2_b64 v[82:85], v1 offset0:24 offset1:25
	s_cmp_lt_i32 s18, 14
	s_cbranch_scc1 .LBB38_254
; %bb.252:
	v_add3_u32 v91, v92, 0, 0xd0
	v_mov_b32_e32 v90, 12
	s_mov_b32 s1, 13
	s_inst_prefetch 0x1
	.p2align	6
.LBB38_253:                             ; =>This Inner Loop Header: Depth=1
	s_waitcnt lgkmcnt(0)
	v_cmp_gt_f64_e32 vcc_lo, 0, v[84:85]
	v_cmp_gt_f64_e64 s0, 0, v[82:83]
	ds_read2_b64 v[97:100], v91 offset1:1
	v_xor_b32_e32 v102, 0x80000000, v83
	v_xor_b32_e32 v104, 0x80000000, v85
	v_mov_b32_e32 v101, v82
	v_mov_b32_e32 v103, v84
	v_add_nc_u32_e32 v91, 16, v91
	s_waitcnt lgkmcnt(0)
	v_xor_b32_e32 v106, 0x80000000, v100
	v_cndmask_b32_e64 v102, v83, v102, s0
	v_cndmask_b32_e32 v104, v85, v104, vcc_lo
	v_cmp_gt_f64_e32 vcc_lo, 0, v[99:100]
	v_cmp_gt_f64_e64 s0, 0, v[97:98]
	v_mov_b32_e32 v105, v99
	v_add_f64 v[101:102], v[101:102], v[103:104]
	v_xor_b32_e32 v104, 0x80000000, v98
	v_mov_b32_e32 v103, v97
	v_cndmask_b32_e32 v106, v100, v106, vcc_lo
	v_cndmask_b32_e64 v104, v98, v104, s0
	v_add_f64 v[103:104], v[103:104], v[105:106]
	v_cmp_lt_f64_e32 vcc_lo, v[101:102], v[103:104]
	v_cndmask_b32_e32 v83, v83, v98, vcc_lo
	v_cndmask_b32_e32 v82, v82, v97, vcc_lo
	;; [unrolled: 1-line block ×4, first 2 shown]
	v_cndmask_b32_e64 v90, v90, s1, vcc_lo
	s_add_i32 s1, s1, 1
	s_cmp_lg_u32 s18, s1
	s_cbranch_scc1 .LBB38_253
.LBB38_254:
	s_inst_prefetch 0x2
	s_waitcnt lgkmcnt(0)
	v_cmp_eq_f64_e32 vcc_lo, 0, v[82:83]
	v_cmp_eq_f64_e64 s0, 0, v[84:85]
	s_and_b32 s0, vcc_lo, s0
	s_and_saveexec_b32 s1, s0
	s_xor_b32 s0, exec_lo, s1
; %bb.255:
	v_cmp_ne_u32_e32 vcc_lo, 0, v95
	v_cndmask_b32_e32 v95, 13, v95, vcc_lo
; %bb.256:
	s_andn2_saveexec_b32 s0, s0
	s_cbranch_execz .LBB38_262
; %bb.257:
	v_cmp_ngt_f64_e64 s1, |v[82:83]|, |v[84:85]|
	s_and_saveexec_b32 s2, s1
	s_xor_b32 s1, exec_lo, s2
	s_cbranch_execz .LBB38_259
; %bb.258:
	v_div_scale_f64 v[97:98], null, v[84:85], v[84:85], v[82:83]
	v_div_scale_f64 v[103:104], vcc_lo, v[82:83], v[84:85], v[82:83]
	v_rcp_f64_e32 v[99:100], v[97:98]
	v_fma_f64 v[101:102], -v[97:98], v[99:100], 1.0
	v_fma_f64 v[99:100], v[99:100], v[101:102], v[99:100]
	v_fma_f64 v[101:102], -v[97:98], v[99:100], 1.0
	v_fma_f64 v[99:100], v[99:100], v[101:102], v[99:100]
	v_mul_f64 v[101:102], v[103:104], v[99:100]
	v_fma_f64 v[97:98], -v[97:98], v[101:102], v[103:104]
	v_div_fmas_f64 v[97:98], v[97:98], v[99:100], v[101:102]
	v_div_fixup_f64 v[97:98], v[97:98], v[84:85], v[82:83]
	v_fma_f64 v[82:83], v[82:83], v[97:98], v[84:85]
	v_div_scale_f64 v[84:85], null, v[82:83], v[82:83], 1.0
	v_rcp_f64_e32 v[99:100], v[84:85]
	v_fma_f64 v[101:102], -v[84:85], v[99:100], 1.0
	v_fma_f64 v[99:100], v[99:100], v[101:102], v[99:100]
	v_fma_f64 v[101:102], -v[84:85], v[99:100], 1.0
	v_fma_f64 v[99:100], v[99:100], v[101:102], v[99:100]
	v_div_scale_f64 v[101:102], vcc_lo, 1.0, v[82:83], 1.0
	v_mul_f64 v[103:104], v[101:102], v[99:100]
	v_fma_f64 v[84:85], -v[84:85], v[103:104], v[101:102]
	v_div_fmas_f64 v[84:85], v[84:85], v[99:100], v[103:104]
	v_div_fixup_f64 v[84:85], v[84:85], v[82:83], 1.0
	v_mul_f64 v[82:83], v[97:98], v[84:85]
	v_xor_b32_e32 v85, 0x80000000, v85
.LBB38_259:
	s_andn2_saveexec_b32 s1, s1
	s_cbranch_execz .LBB38_261
; %bb.260:
	v_div_scale_f64 v[97:98], null, v[82:83], v[82:83], v[84:85]
	v_div_scale_f64 v[103:104], vcc_lo, v[84:85], v[82:83], v[84:85]
	v_rcp_f64_e32 v[99:100], v[97:98]
	v_fma_f64 v[101:102], -v[97:98], v[99:100], 1.0
	v_fma_f64 v[99:100], v[99:100], v[101:102], v[99:100]
	v_fma_f64 v[101:102], -v[97:98], v[99:100], 1.0
	v_fma_f64 v[99:100], v[99:100], v[101:102], v[99:100]
	v_mul_f64 v[101:102], v[103:104], v[99:100]
	v_fma_f64 v[97:98], -v[97:98], v[101:102], v[103:104]
	v_div_fmas_f64 v[97:98], v[97:98], v[99:100], v[101:102]
	v_div_fixup_f64 v[97:98], v[97:98], v[82:83], v[84:85]
	v_fma_f64 v[82:83], v[84:85], v[97:98], v[82:83]
	v_div_scale_f64 v[84:85], null, v[82:83], v[82:83], 1.0
	v_rcp_f64_e32 v[99:100], v[84:85]
	v_fma_f64 v[101:102], -v[84:85], v[99:100], 1.0
	v_fma_f64 v[99:100], v[99:100], v[101:102], v[99:100]
	v_fma_f64 v[101:102], -v[84:85], v[99:100], 1.0
	v_fma_f64 v[99:100], v[99:100], v[101:102], v[99:100]
	v_div_scale_f64 v[101:102], vcc_lo, 1.0, v[82:83], 1.0
	v_mul_f64 v[103:104], v[101:102], v[99:100]
	v_fma_f64 v[84:85], -v[84:85], v[103:104], v[101:102]
	v_div_fmas_f64 v[84:85], v[84:85], v[99:100], v[103:104]
	v_div_fixup_f64 v[82:83], v[84:85], v[82:83], 1.0
	v_mul_f64 v[84:85], v[97:98], -v[82:83]
.LBB38_261:
	s_or_b32 exec_lo, exec_lo, s1
.LBB38_262:
	s_or_b32 exec_lo, exec_lo, s0
	s_mov_b32 s0, exec_lo
	v_cmpx_ne_u32_e64 v96, v90
	s_xor_b32 s0, exec_lo, s0
	s_cbranch_execz .LBB38_268
; %bb.263:
	s_mov_b32 s1, exec_lo
	v_cmpx_eq_u32_e32 12, v96
	s_cbranch_execz .LBB38_267
; %bb.264:
	v_cmp_ne_u32_e32 vcc_lo, 12, v90
	s_xor_b32 s2, s16, -1
	s_and_b32 s3, s2, vcc_lo
	s_and_saveexec_b32 s2, s3
	s_cbranch_execz .LBB38_266
; %bb.265:
	v_ashrrev_i32_e32 v91, 31, v90
	v_lshlrev_b64 v[96:97], 2, v[90:91]
	v_add_co_u32 v96, vcc_lo, v88, v96
	v_add_co_ci_u32_e64 v97, null, v89, v97, vcc_lo
	s_clause 0x1
	global_load_dword v0, v[96:97], off
	global_load_dword v91, v[88:89], off offset:48
	s_waitcnt vmcnt(1)
	global_store_dword v[88:89], v0, off offset:48
	s_waitcnt vmcnt(0)
	global_store_dword v[96:97], v91, off
.LBB38_266:
	s_or_b32 exec_lo, exec_lo, s2
	v_mov_b32_e32 v96, v90
	v_mov_b32_e32 v0, v90
.LBB38_267:
	s_or_b32 exec_lo, exec_lo, s1
.LBB38_268:
	s_andn2_saveexec_b32 s0, s0
	s_cbranch_execz .LBB38_270
; %bb.269:
	v_mov_b32_e32 v96, 12
	ds_write2_b64 v1, v[26:27], v[28:29] offset0:26 offset1:27
	ds_write2_b64 v1, v[22:23], v[24:25] offset0:28 offset1:29
	;; [unrolled: 1-line block ×7, first 2 shown]
.LBB38_270:
	s_or_b32 exec_lo, exec_lo, s0
	s_mov_b32 s0, exec_lo
	s_waitcnt lgkmcnt(0)
	s_waitcnt_vscnt null, 0x0
	s_barrier
	buffer_gl0_inv
	v_cmpx_lt_i32_e32 12, v96
	s_cbranch_execz .LBB38_272
; %bb.271:
	v_mul_f64 v[90:91], v[82:83], v[32:33]
	v_mul_f64 v[32:33], v[84:85], v[32:33]
	v_fma_f64 v[90:91], v[84:85], v[30:31], v[90:91]
	v_fma_f64 v[30:31], v[82:83], v[30:31], -v[32:33]
	ds_read2_b64 v[82:85], v1 offset0:26 offset1:27
	s_waitcnt lgkmcnt(0)
	v_mul_f64 v[32:33], v[84:85], v[90:91]
	v_fma_f64 v[32:33], v[82:83], v[30:31], -v[32:33]
	v_mul_f64 v[82:83], v[82:83], v[90:91]
	v_add_f64 v[26:27], v[26:27], -v[32:33]
	v_fma_f64 v[82:83], v[84:85], v[30:31], v[82:83]
	v_add_f64 v[28:29], v[28:29], -v[82:83]
	ds_read2_b64 v[82:85], v1 offset0:28 offset1:29
	s_waitcnt lgkmcnt(0)
	v_mul_f64 v[32:33], v[84:85], v[90:91]
	v_fma_f64 v[32:33], v[82:83], v[30:31], -v[32:33]
	v_mul_f64 v[82:83], v[82:83], v[90:91]
	v_add_f64 v[22:23], v[22:23], -v[32:33]
	v_fma_f64 v[82:83], v[84:85], v[30:31], v[82:83]
	v_add_f64 v[24:25], v[24:25], -v[82:83]
	;; [unrolled: 8-line block ×6, first 2 shown]
	ds_read2_b64 v[82:85], v1 offset0:38 offset1:39
	s_waitcnt lgkmcnt(0)
	v_mul_f64 v[32:33], v[84:85], v[90:91]
	v_fma_f64 v[32:33], v[82:83], v[30:31], -v[32:33]
	v_mul_f64 v[82:83], v[82:83], v[90:91]
	v_add_f64 v[2:3], v[2:3], -v[32:33]
	v_fma_f64 v[82:83], v[84:85], v[30:31], v[82:83]
	v_mov_b32_e32 v32, v90
	v_mov_b32_e32 v33, v91
	v_add_f64 v[4:5], v[4:5], -v[82:83]
.LBB38_272:
	s_or_b32 exec_lo, exec_lo, s0
	v_lshl_add_u32 v82, v96, 4, v1
	s_barrier
	buffer_gl0_inv
	v_mov_b32_e32 v90, 13
	ds_write2_b64 v82, v[26:27], v[28:29] offset1:1
	s_waitcnt lgkmcnt(0)
	s_barrier
	buffer_gl0_inv
	ds_read2_b64 v[82:85], v1 offset0:26 offset1:27
	s_cmp_lt_i32 s18, 15
	s_cbranch_scc1 .LBB38_275
; %bb.273:
	v_add3_u32 v91, v92, 0, 0xe0
	v_mov_b32_e32 v90, 13
	s_mov_b32 s1, 14
	s_inst_prefetch 0x1
	.p2align	6
.LBB38_274:                             ; =>This Inner Loop Header: Depth=1
	s_waitcnt lgkmcnt(0)
	v_cmp_gt_f64_e32 vcc_lo, 0, v[84:85]
	v_cmp_gt_f64_e64 s0, 0, v[82:83]
	ds_read2_b64 v[97:100], v91 offset1:1
	v_xor_b32_e32 v102, 0x80000000, v83
	v_xor_b32_e32 v104, 0x80000000, v85
	v_mov_b32_e32 v101, v82
	v_mov_b32_e32 v103, v84
	v_add_nc_u32_e32 v91, 16, v91
	s_waitcnt lgkmcnt(0)
	v_xor_b32_e32 v106, 0x80000000, v100
	v_cndmask_b32_e64 v102, v83, v102, s0
	v_cndmask_b32_e32 v104, v85, v104, vcc_lo
	v_cmp_gt_f64_e32 vcc_lo, 0, v[99:100]
	v_cmp_gt_f64_e64 s0, 0, v[97:98]
	v_mov_b32_e32 v105, v99
	v_add_f64 v[101:102], v[101:102], v[103:104]
	v_xor_b32_e32 v104, 0x80000000, v98
	v_mov_b32_e32 v103, v97
	v_cndmask_b32_e32 v106, v100, v106, vcc_lo
	v_cndmask_b32_e64 v104, v98, v104, s0
	v_add_f64 v[103:104], v[103:104], v[105:106]
	v_cmp_lt_f64_e32 vcc_lo, v[101:102], v[103:104]
	v_cndmask_b32_e32 v83, v83, v98, vcc_lo
	v_cndmask_b32_e32 v82, v82, v97, vcc_lo
	;; [unrolled: 1-line block ×4, first 2 shown]
	v_cndmask_b32_e64 v90, v90, s1, vcc_lo
	s_add_i32 s1, s1, 1
	s_cmp_lg_u32 s18, s1
	s_cbranch_scc1 .LBB38_274
.LBB38_275:
	s_inst_prefetch 0x2
	s_waitcnt lgkmcnt(0)
	v_cmp_eq_f64_e32 vcc_lo, 0, v[82:83]
	v_cmp_eq_f64_e64 s0, 0, v[84:85]
	s_and_b32 s0, vcc_lo, s0
	s_and_saveexec_b32 s1, s0
	s_xor_b32 s0, exec_lo, s1
; %bb.276:
	v_cmp_ne_u32_e32 vcc_lo, 0, v95
	v_cndmask_b32_e32 v95, 14, v95, vcc_lo
; %bb.277:
	s_andn2_saveexec_b32 s0, s0
	s_cbranch_execz .LBB38_283
; %bb.278:
	v_cmp_ngt_f64_e64 s1, |v[82:83]|, |v[84:85]|
	s_and_saveexec_b32 s2, s1
	s_xor_b32 s1, exec_lo, s2
	s_cbranch_execz .LBB38_280
; %bb.279:
	v_div_scale_f64 v[97:98], null, v[84:85], v[84:85], v[82:83]
	v_div_scale_f64 v[103:104], vcc_lo, v[82:83], v[84:85], v[82:83]
	v_rcp_f64_e32 v[99:100], v[97:98]
	v_fma_f64 v[101:102], -v[97:98], v[99:100], 1.0
	v_fma_f64 v[99:100], v[99:100], v[101:102], v[99:100]
	v_fma_f64 v[101:102], -v[97:98], v[99:100], 1.0
	v_fma_f64 v[99:100], v[99:100], v[101:102], v[99:100]
	v_mul_f64 v[101:102], v[103:104], v[99:100]
	v_fma_f64 v[97:98], -v[97:98], v[101:102], v[103:104]
	v_div_fmas_f64 v[97:98], v[97:98], v[99:100], v[101:102]
	v_div_fixup_f64 v[97:98], v[97:98], v[84:85], v[82:83]
	v_fma_f64 v[82:83], v[82:83], v[97:98], v[84:85]
	v_div_scale_f64 v[84:85], null, v[82:83], v[82:83], 1.0
	v_rcp_f64_e32 v[99:100], v[84:85]
	v_fma_f64 v[101:102], -v[84:85], v[99:100], 1.0
	v_fma_f64 v[99:100], v[99:100], v[101:102], v[99:100]
	v_fma_f64 v[101:102], -v[84:85], v[99:100], 1.0
	v_fma_f64 v[99:100], v[99:100], v[101:102], v[99:100]
	v_div_scale_f64 v[101:102], vcc_lo, 1.0, v[82:83], 1.0
	v_mul_f64 v[103:104], v[101:102], v[99:100]
	v_fma_f64 v[84:85], -v[84:85], v[103:104], v[101:102]
	v_div_fmas_f64 v[84:85], v[84:85], v[99:100], v[103:104]
	v_div_fixup_f64 v[84:85], v[84:85], v[82:83], 1.0
	v_mul_f64 v[82:83], v[97:98], v[84:85]
	v_xor_b32_e32 v85, 0x80000000, v85
.LBB38_280:
	s_andn2_saveexec_b32 s1, s1
	s_cbranch_execz .LBB38_282
; %bb.281:
	v_div_scale_f64 v[97:98], null, v[82:83], v[82:83], v[84:85]
	v_div_scale_f64 v[103:104], vcc_lo, v[84:85], v[82:83], v[84:85]
	v_rcp_f64_e32 v[99:100], v[97:98]
	v_fma_f64 v[101:102], -v[97:98], v[99:100], 1.0
	v_fma_f64 v[99:100], v[99:100], v[101:102], v[99:100]
	v_fma_f64 v[101:102], -v[97:98], v[99:100], 1.0
	v_fma_f64 v[99:100], v[99:100], v[101:102], v[99:100]
	v_mul_f64 v[101:102], v[103:104], v[99:100]
	v_fma_f64 v[97:98], -v[97:98], v[101:102], v[103:104]
	v_div_fmas_f64 v[97:98], v[97:98], v[99:100], v[101:102]
	v_div_fixup_f64 v[97:98], v[97:98], v[82:83], v[84:85]
	v_fma_f64 v[82:83], v[84:85], v[97:98], v[82:83]
	v_div_scale_f64 v[84:85], null, v[82:83], v[82:83], 1.0
	v_rcp_f64_e32 v[99:100], v[84:85]
	v_fma_f64 v[101:102], -v[84:85], v[99:100], 1.0
	v_fma_f64 v[99:100], v[99:100], v[101:102], v[99:100]
	v_fma_f64 v[101:102], -v[84:85], v[99:100], 1.0
	v_fma_f64 v[99:100], v[99:100], v[101:102], v[99:100]
	v_div_scale_f64 v[101:102], vcc_lo, 1.0, v[82:83], 1.0
	v_mul_f64 v[103:104], v[101:102], v[99:100]
	v_fma_f64 v[84:85], -v[84:85], v[103:104], v[101:102]
	v_div_fmas_f64 v[84:85], v[84:85], v[99:100], v[103:104]
	v_div_fixup_f64 v[82:83], v[84:85], v[82:83], 1.0
	v_mul_f64 v[84:85], v[97:98], -v[82:83]
.LBB38_282:
	s_or_b32 exec_lo, exec_lo, s1
.LBB38_283:
	s_or_b32 exec_lo, exec_lo, s0
	s_mov_b32 s0, exec_lo
	v_cmpx_ne_u32_e64 v96, v90
	s_xor_b32 s0, exec_lo, s0
	s_cbranch_execz .LBB38_289
; %bb.284:
	s_mov_b32 s1, exec_lo
	v_cmpx_eq_u32_e32 13, v96
	s_cbranch_execz .LBB38_288
; %bb.285:
	v_cmp_ne_u32_e32 vcc_lo, 13, v90
	s_xor_b32 s2, s16, -1
	s_and_b32 s3, s2, vcc_lo
	s_and_saveexec_b32 s2, s3
	s_cbranch_execz .LBB38_287
; %bb.286:
	v_ashrrev_i32_e32 v91, 31, v90
	v_lshlrev_b64 v[96:97], 2, v[90:91]
	v_add_co_u32 v96, vcc_lo, v88, v96
	v_add_co_ci_u32_e64 v97, null, v89, v97, vcc_lo
	s_clause 0x1
	global_load_dword v0, v[96:97], off
	global_load_dword v91, v[88:89], off offset:52
	s_waitcnt vmcnt(1)
	global_store_dword v[88:89], v0, off offset:52
	s_waitcnt vmcnt(0)
	global_store_dword v[96:97], v91, off
.LBB38_287:
	s_or_b32 exec_lo, exec_lo, s2
	v_mov_b32_e32 v96, v90
	v_mov_b32_e32 v0, v90
.LBB38_288:
	s_or_b32 exec_lo, exec_lo, s1
.LBB38_289:
	s_andn2_saveexec_b32 s0, s0
	s_cbranch_execz .LBB38_291
; %bb.290:
	v_mov_b32_e32 v96, 13
	ds_write2_b64 v1, v[22:23], v[24:25] offset0:28 offset1:29
	ds_write2_b64 v1, v[18:19], v[20:21] offset0:30 offset1:31
	;; [unrolled: 1-line block ×6, first 2 shown]
.LBB38_291:
	s_or_b32 exec_lo, exec_lo, s0
	s_mov_b32 s0, exec_lo
	s_waitcnt lgkmcnt(0)
	s_waitcnt_vscnt null, 0x0
	s_barrier
	buffer_gl0_inv
	v_cmpx_lt_i32_e32 13, v96
	s_cbranch_execz .LBB38_293
; %bb.292:
	v_mul_f64 v[90:91], v[82:83], v[28:29]
	v_mul_f64 v[28:29], v[84:85], v[28:29]
	v_fma_f64 v[90:91], v[84:85], v[26:27], v[90:91]
	v_fma_f64 v[26:27], v[82:83], v[26:27], -v[28:29]
	ds_read2_b64 v[82:85], v1 offset0:28 offset1:29
	s_waitcnt lgkmcnt(0)
	v_mul_f64 v[28:29], v[84:85], v[90:91]
	v_fma_f64 v[28:29], v[82:83], v[26:27], -v[28:29]
	v_mul_f64 v[82:83], v[82:83], v[90:91]
	v_add_f64 v[22:23], v[22:23], -v[28:29]
	v_fma_f64 v[82:83], v[84:85], v[26:27], v[82:83]
	v_add_f64 v[24:25], v[24:25], -v[82:83]
	ds_read2_b64 v[82:85], v1 offset0:30 offset1:31
	s_waitcnt lgkmcnt(0)
	v_mul_f64 v[28:29], v[84:85], v[90:91]
	v_fma_f64 v[28:29], v[82:83], v[26:27], -v[28:29]
	v_mul_f64 v[82:83], v[82:83], v[90:91]
	v_add_f64 v[18:19], v[18:19], -v[28:29]
	v_fma_f64 v[82:83], v[84:85], v[26:27], v[82:83]
	v_add_f64 v[20:21], v[20:21], -v[82:83]
	;; [unrolled: 8-line block ×5, first 2 shown]
	ds_read2_b64 v[82:85], v1 offset0:38 offset1:39
	s_waitcnt lgkmcnt(0)
	v_mul_f64 v[28:29], v[84:85], v[90:91]
	v_fma_f64 v[28:29], v[82:83], v[26:27], -v[28:29]
	v_mul_f64 v[82:83], v[82:83], v[90:91]
	v_add_f64 v[2:3], v[2:3], -v[28:29]
	v_fma_f64 v[82:83], v[84:85], v[26:27], v[82:83]
	v_mov_b32_e32 v28, v90
	v_mov_b32_e32 v29, v91
	v_add_f64 v[4:5], v[4:5], -v[82:83]
.LBB38_293:
	s_or_b32 exec_lo, exec_lo, s0
	v_lshl_add_u32 v82, v96, 4, v1
	s_barrier
	buffer_gl0_inv
	v_mov_b32_e32 v90, 14
	ds_write2_b64 v82, v[22:23], v[24:25] offset1:1
	s_waitcnt lgkmcnt(0)
	s_barrier
	buffer_gl0_inv
	ds_read2_b64 v[82:85], v1 offset0:28 offset1:29
	s_cmp_lt_i32 s18, 16
	s_cbranch_scc1 .LBB38_296
; %bb.294:
	v_add3_u32 v91, v92, 0, 0xf0
	v_mov_b32_e32 v90, 14
	s_mov_b32 s1, 15
	s_inst_prefetch 0x1
	.p2align	6
.LBB38_295:                             ; =>This Inner Loop Header: Depth=1
	s_waitcnt lgkmcnt(0)
	v_cmp_gt_f64_e32 vcc_lo, 0, v[84:85]
	v_cmp_gt_f64_e64 s0, 0, v[82:83]
	ds_read2_b64 v[97:100], v91 offset1:1
	v_xor_b32_e32 v102, 0x80000000, v83
	v_xor_b32_e32 v104, 0x80000000, v85
	v_mov_b32_e32 v101, v82
	v_mov_b32_e32 v103, v84
	v_add_nc_u32_e32 v91, 16, v91
	s_waitcnt lgkmcnt(0)
	v_xor_b32_e32 v106, 0x80000000, v100
	v_cndmask_b32_e64 v102, v83, v102, s0
	v_cndmask_b32_e32 v104, v85, v104, vcc_lo
	v_cmp_gt_f64_e32 vcc_lo, 0, v[99:100]
	v_cmp_gt_f64_e64 s0, 0, v[97:98]
	v_mov_b32_e32 v105, v99
	v_add_f64 v[101:102], v[101:102], v[103:104]
	v_xor_b32_e32 v104, 0x80000000, v98
	v_mov_b32_e32 v103, v97
	v_cndmask_b32_e32 v106, v100, v106, vcc_lo
	v_cndmask_b32_e64 v104, v98, v104, s0
	v_add_f64 v[103:104], v[103:104], v[105:106]
	v_cmp_lt_f64_e32 vcc_lo, v[101:102], v[103:104]
	v_cndmask_b32_e32 v83, v83, v98, vcc_lo
	v_cndmask_b32_e32 v82, v82, v97, vcc_lo
	;; [unrolled: 1-line block ×4, first 2 shown]
	v_cndmask_b32_e64 v90, v90, s1, vcc_lo
	s_add_i32 s1, s1, 1
	s_cmp_lg_u32 s18, s1
	s_cbranch_scc1 .LBB38_295
.LBB38_296:
	s_inst_prefetch 0x2
	s_waitcnt lgkmcnt(0)
	v_cmp_eq_f64_e32 vcc_lo, 0, v[82:83]
	v_cmp_eq_f64_e64 s0, 0, v[84:85]
	s_and_b32 s0, vcc_lo, s0
	s_and_saveexec_b32 s1, s0
	s_xor_b32 s0, exec_lo, s1
; %bb.297:
	v_cmp_ne_u32_e32 vcc_lo, 0, v95
	v_cndmask_b32_e32 v95, 15, v95, vcc_lo
; %bb.298:
	s_andn2_saveexec_b32 s0, s0
	s_cbranch_execz .LBB38_304
; %bb.299:
	v_cmp_ngt_f64_e64 s1, |v[82:83]|, |v[84:85]|
	s_and_saveexec_b32 s2, s1
	s_xor_b32 s1, exec_lo, s2
	s_cbranch_execz .LBB38_301
; %bb.300:
	v_div_scale_f64 v[97:98], null, v[84:85], v[84:85], v[82:83]
	v_div_scale_f64 v[103:104], vcc_lo, v[82:83], v[84:85], v[82:83]
	v_rcp_f64_e32 v[99:100], v[97:98]
	v_fma_f64 v[101:102], -v[97:98], v[99:100], 1.0
	v_fma_f64 v[99:100], v[99:100], v[101:102], v[99:100]
	v_fma_f64 v[101:102], -v[97:98], v[99:100], 1.0
	v_fma_f64 v[99:100], v[99:100], v[101:102], v[99:100]
	v_mul_f64 v[101:102], v[103:104], v[99:100]
	v_fma_f64 v[97:98], -v[97:98], v[101:102], v[103:104]
	v_div_fmas_f64 v[97:98], v[97:98], v[99:100], v[101:102]
	v_div_fixup_f64 v[97:98], v[97:98], v[84:85], v[82:83]
	v_fma_f64 v[82:83], v[82:83], v[97:98], v[84:85]
	v_div_scale_f64 v[84:85], null, v[82:83], v[82:83], 1.0
	v_rcp_f64_e32 v[99:100], v[84:85]
	v_fma_f64 v[101:102], -v[84:85], v[99:100], 1.0
	v_fma_f64 v[99:100], v[99:100], v[101:102], v[99:100]
	v_fma_f64 v[101:102], -v[84:85], v[99:100], 1.0
	v_fma_f64 v[99:100], v[99:100], v[101:102], v[99:100]
	v_div_scale_f64 v[101:102], vcc_lo, 1.0, v[82:83], 1.0
	v_mul_f64 v[103:104], v[101:102], v[99:100]
	v_fma_f64 v[84:85], -v[84:85], v[103:104], v[101:102]
	v_div_fmas_f64 v[84:85], v[84:85], v[99:100], v[103:104]
	v_div_fixup_f64 v[84:85], v[84:85], v[82:83], 1.0
	v_mul_f64 v[82:83], v[97:98], v[84:85]
	v_xor_b32_e32 v85, 0x80000000, v85
.LBB38_301:
	s_andn2_saveexec_b32 s1, s1
	s_cbranch_execz .LBB38_303
; %bb.302:
	v_div_scale_f64 v[97:98], null, v[82:83], v[82:83], v[84:85]
	v_div_scale_f64 v[103:104], vcc_lo, v[84:85], v[82:83], v[84:85]
	v_rcp_f64_e32 v[99:100], v[97:98]
	v_fma_f64 v[101:102], -v[97:98], v[99:100], 1.0
	v_fma_f64 v[99:100], v[99:100], v[101:102], v[99:100]
	v_fma_f64 v[101:102], -v[97:98], v[99:100], 1.0
	v_fma_f64 v[99:100], v[99:100], v[101:102], v[99:100]
	v_mul_f64 v[101:102], v[103:104], v[99:100]
	v_fma_f64 v[97:98], -v[97:98], v[101:102], v[103:104]
	v_div_fmas_f64 v[97:98], v[97:98], v[99:100], v[101:102]
	v_div_fixup_f64 v[97:98], v[97:98], v[82:83], v[84:85]
	v_fma_f64 v[82:83], v[84:85], v[97:98], v[82:83]
	v_div_scale_f64 v[84:85], null, v[82:83], v[82:83], 1.0
	v_rcp_f64_e32 v[99:100], v[84:85]
	v_fma_f64 v[101:102], -v[84:85], v[99:100], 1.0
	v_fma_f64 v[99:100], v[99:100], v[101:102], v[99:100]
	v_fma_f64 v[101:102], -v[84:85], v[99:100], 1.0
	v_fma_f64 v[99:100], v[99:100], v[101:102], v[99:100]
	v_div_scale_f64 v[101:102], vcc_lo, 1.0, v[82:83], 1.0
	v_mul_f64 v[103:104], v[101:102], v[99:100]
	v_fma_f64 v[84:85], -v[84:85], v[103:104], v[101:102]
	v_div_fmas_f64 v[84:85], v[84:85], v[99:100], v[103:104]
	v_div_fixup_f64 v[82:83], v[84:85], v[82:83], 1.0
	v_mul_f64 v[84:85], v[97:98], -v[82:83]
.LBB38_303:
	s_or_b32 exec_lo, exec_lo, s1
.LBB38_304:
	s_or_b32 exec_lo, exec_lo, s0
	s_mov_b32 s0, exec_lo
	v_cmpx_ne_u32_e64 v96, v90
	s_xor_b32 s0, exec_lo, s0
	s_cbranch_execz .LBB38_310
; %bb.305:
	s_mov_b32 s1, exec_lo
	v_cmpx_eq_u32_e32 14, v96
	s_cbranch_execz .LBB38_309
; %bb.306:
	v_cmp_ne_u32_e32 vcc_lo, 14, v90
	s_xor_b32 s2, s16, -1
	s_and_b32 s3, s2, vcc_lo
	s_and_saveexec_b32 s2, s3
	s_cbranch_execz .LBB38_308
; %bb.307:
	v_ashrrev_i32_e32 v91, 31, v90
	v_lshlrev_b64 v[96:97], 2, v[90:91]
	v_add_co_u32 v96, vcc_lo, v88, v96
	v_add_co_ci_u32_e64 v97, null, v89, v97, vcc_lo
	s_clause 0x1
	global_load_dword v0, v[96:97], off
	global_load_dword v91, v[88:89], off offset:56
	s_waitcnt vmcnt(1)
	global_store_dword v[88:89], v0, off offset:56
	s_waitcnt vmcnt(0)
	global_store_dword v[96:97], v91, off
.LBB38_308:
	s_or_b32 exec_lo, exec_lo, s2
	v_mov_b32_e32 v96, v90
	v_mov_b32_e32 v0, v90
.LBB38_309:
	s_or_b32 exec_lo, exec_lo, s1
.LBB38_310:
	s_andn2_saveexec_b32 s0, s0
	s_cbranch_execz .LBB38_312
; %bb.311:
	v_mov_b32_e32 v96, 14
	ds_write2_b64 v1, v[18:19], v[20:21] offset0:30 offset1:31
	ds_write2_b64 v1, v[14:15], v[16:17] offset0:32 offset1:33
	;; [unrolled: 1-line block ×5, first 2 shown]
.LBB38_312:
	s_or_b32 exec_lo, exec_lo, s0
	s_mov_b32 s0, exec_lo
	s_waitcnt lgkmcnt(0)
	s_waitcnt_vscnt null, 0x0
	s_barrier
	buffer_gl0_inv
	v_cmpx_lt_i32_e32 14, v96
	s_cbranch_execz .LBB38_314
; %bb.313:
	v_mul_f64 v[90:91], v[82:83], v[24:25]
	v_mul_f64 v[24:25], v[84:85], v[24:25]
	v_fma_f64 v[90:91], v[84:85], v[22:23], v[90:91]
	v_fma_f64 v[22:23], v[82:83], v[22:23], -v[24:25]
	ds_read2_b64 v[82:85], v1 offset0:30 offset1:31
	s_waitcnt lgkmcnt(0)
	v_mul_f64 v[24:25], v[84:85], v[90:91]
	v_fma_f64 v[24:25], v[82:83], v[22:23], -v[24:25]
	v_mul_f64 v[82:83], v[82:83], v[90:91]
	v_add_f64 v[18:19], v[18:19], -v[24:25]
	v_fma_f64 v[82:83], v[84:85], v[22:23], v[82:83]
	v_add_f64 v[20:21], v[20:21], -v[82:83]
	ds_read2_b64 v[82:85], v1 offset0:32 offset1:33
	s_waitcnt lgkmcnt(0)
	v_mul_f64 v[24:25], v[84:85], v[90:91]
	v_fma_f64 v[24:25], v[82:83], v[22:23], -v[24:25]
	v_mul_f64 v[82:83], v[82:83], v[90:91]
	v_add_f64 v[14:15], v[14:15], -v[24:25]
	v_fma_f64 v[82:83], v[84:85], v[22:23], v[82:83]
	v_add_f64 v[16:17], v[16:17], -v[82:83]
	;; [unrolled: 8-line block ×4, first 2 shown]
	ds_read2_b64 v[82:85], v1 offset0:38 offset1:39
	s_waitcnt lgkmcnt(0)
	v_mul_f64 v[24:25], v[84:85], v[90:91]
	v_fma_f64 v[24:25], v[82:83], v[22:23], -v[24:25]
	v_mul_f64 v[82:83], v[82:83], v[90:91]
	v_add_f64 v[2:3], v[2:3], -v[24:25]
	v_fma_f64 v[82:83], v[84:85], v[22:23], v[82:83]
	v_mov_b32_e32 v24, v90
	v_mov_b32_e32 v25, v91
	v_add_f64 v[4:5], v[4:5], -v[82:83]
.LBB38_314:
	s_or_b32 exec_lo, exec_lo, s0
	v_lshl_add_u32 v82, v96, 4, v1
	s_barrier
	buffer_gl0_inv
	v_mov_b32_e32 v90, 15
	ds_write2_b64 v82, v[18:19], v[20:21] offset1:1
	s_waitcnt lgkmcnt(0)
	s_barrier
	buffer_gl0_inv
	ds_read2_b64 v[82:85], v1 offset0:30 offset1:31
	s_cmp_lt_i32 s18, 17
	s_cbranch_scc1 .LBB38_317
; %bb.315:
	v_add3_u32 v91, v92, 0, 0x100
	v_mov_b32_e32 v90, 15
	s_mov_b32 s1, 16
	s_inst_prefetch 0x1
	.p2align	6
.LBB38_316:                             ; =>This Inner Loop Header: Depth=1
	s_waitcnt lgkmcnt(0)
	v_cmp_gt_f64_e32 vcc_lo, 0, v[84:85]
	v_cmp_gt_f64_e64 s0, 0, v[82:83]
	ds_read2_b64 v[97:100], v91 offset1:1
	v_xor_b32_e32 v102, 0x80000000, v83
	v_xor_b32_e32 v104, 0x80000000, v85
	v_mov_b32_e32 v101, v82
	v_mov_b32_e32 v103, v84
	v_add_nc_u32_e32 v91, 16, v91
	s_waitcnt lgkmcnt(0)
	v_xor_b32_e32 v106, 0x80000000, v100
	v_cndmask_b32_e64 v102, v83, v102, s0
	v_cndmask_b32_e32 v104, v85, v104, vcc_lo
	v_cmp_gt_f64_e32 vcc_lo, 0, v[99:100]
	v_cmp_gt_f64_e64 s0, 0, v[97:98]
	v_mov_b32_e32 v105, v99
	v_add_f64 v[101:102], v[101:102], v[103:104]
	v_xor_b32_e32 v104, 0x80000000, v98
	v_mov_b32_e32 v103, v97
	v_cndmask_b32_e32 v106, v100, v106, vcc_lo
	v_cndmask_b32_e64 v104, v98, v104, s0
	v_add_f64 v[103:104], v[103:104], v[105:106]
	v_cmp_lt_f64_e32 vcc_lo, v[101:102], v[103:104]
	v_cndmask_b32_e32 v83, v83, v98, vcc_lo
	v_cndmask_b32_e32 v82, v82, v97, vcc_lo
	;; [unrolled: 1-line block ×4, first 2 shown]
	v_cndmask_b32_e64 v90, v90, s1, vcc_lo
	s_add_i32 s1, s1, 1
	s_cmp_lg_u32 s18, s1
	s_cbranch_scc1 .LBB38_316
.LBB38_317:
	s_inst_prefetch 0x2
	s_waitcnt lgkmcnt(0)
	v_cmp_eq_f64_e32 vcc_lo, 0, v[82:83]
	v_cmp_eq_f64_e64 s0, 0, v[84:85]
	s_and_b32 s0, vcc_lo, s0
	s_and_saveexec_b32 s1, s0
	s_xor_b32 s0, exec_lo, s1
; %bb.318:
	v_cmp_ne_u32_e32 vcc_lo, 0, v95
	v_cndmask_b32_e32 v95, 16, v95, vcc_lo
; %bb.319:
	s_andn2_saveexec_b32 s0, s0
	s_cbranch_execz .LBB38_325
; %bb.320:
	v_cmp_ngt_f64_e64 s1, |v[82:83]|, |v[84:85]|
	s_and_saveexec_b32 s2, s1
	s_xor_b32 s1, exec_lo, s2
	s_cbranch_execz .LBB38_322
; %bb.321:
	v_div_scale_f64 v[97:98], null, v[84:85], v[84:85], v[82:83]
	v_div_scale_f64 v[103:104], vcc_lo, v[82:83], v[84:85], v[82:83]
	v_rcp_f64_e32 v[99:100], v[97:98]
	v_fma_f64 v[101:102], -v[97:98], v[99:100], 1.0
	v_fma_f64 v[99:100], v[99:100], v[101:102], v[99:100]
	v_fma_f64 v[101:102], -v[97:98], v[99:100], 1.0
	v_fma_f64 v[99:100], v[99:100], v[101:102], v[99:100]
	v_mul_f64 v[101:102], v[103:104], v[99:100]
	v_fma_f64 v[97:98], -v[97:98], v[101:102], v[103:104]
	v_div_fmas_f64 v[97:98], v[97:98], v[99:100], v[101:102]
	v_div_fixup_f64 v[97:98], v[97:98], v[84:85], v[82:83]
	v_fma_f64 v[82:83], v[82:83], v[97:98], v[84:85]
	v_div_scale_f64 v[84:85], null, v[82:83], v[82:83], 1.0
	v_rcp_f64_e32 v[99:100], v[84:85]
	v_fma_f64 v[101:102], -v[84:85], v[99:100], 1.0
	v_fma_f64 v[99:100], v[99:100], v[101:102], v[99:100]
	v_fma_f64 v[101:102], -v[84:85], v[99:100], 1.0
	v_fma_f64 v[99:100], v[99:100], v[101:102], v[99:100]
	v_div_scale_f64 v[101:102], vcc_lo, 1.0, v[82:83], 1.0
	v_mul_f64 v[103:104], v[101:102], v[99:100]
	v_fma_f64 v[84:85], -v[84:85], v[103:104], v[101:102]
	v_div_fmas_f64 v[84:85], v[84:85], v[99:100], v[103:104]
	v_div_fixup_f64 v[84:85], v[84:85], v[82:83], 1.0
	v_mul_f64 v[82:83], v[97:98], v[84:85]
	v_xor_b32_e32 v85, 0x80000000, v85
.LBB38_322:
	s_andn2_saveexec_b32 s1, s1
	s_cbranch_execz .LBB38_324
; %bb.323:
	v_div_scale_f64 v[97:98], null, v[82:83], v[82:83], v[84:85]
	v_div_scale_f64 v[103:104], vcc_lo, v[84:85], v[82:83], v[84:85]
	v_rcp_f64_e32 v[99:100], v[97:98]
	v_fma_f64 v[101:102], -v[97:98], v[99:100], 1.0
	v_fma_f64 v[99:100], v[99:100], v[101:102], v[99:100]
	v_fma_f64 v[101:102], -v[97:98], v[99:100], 1.0
	v_fma_f64 v[99:100], v[99:100], v[101:102], v[99:100]
	v_mul_f64 v[101:102], v[103:104], v[99:100]
	v_fma_f64 v[97:98], -v[97:98], v[101:102], v[103:104]
	v_div_fmas_f64 v[97:98], v[97:98], v[99:100], v[101:102]
	v_div_fixup_f64 v[97:98], v[97:98], v[82:83], v[84:85]
	v_fma_f64 v[82:83], v[84:85], v[97:98], v[82:83]
	v_div_scale_f64 v[84:85], null, v[82:83], v[82:83], 1.0
	v_rcp_f64_e32 v[99:100], v[84:85]
	v_fma_f64 v[101:102], -v[84:85], v[99:100], 1.0
	v_fma_f64 v[99:100], v[99:100], v[101:102], v[99:100]
	v_fma_f64 v[101:102], -v[84:85], v[99:100], 1.0
	v_fma_f64 v[99:100], v[99:100], v[101:102], v[99:100]
	v_div_scale_f64 v[101:102], vcc_lo, 1.0, v[82:83], 1.0
	v_mul_f64 v[103:104], v[101:102], v[99:100]
	v_fma_f64 v[84:85], -v[84:85], v[103:104], v[101:102]
	v_div_fmas_f64 v[84:85], v[84:85], v[99:100], v[103:104]
	v_div_fixup_f64 v[82:83], v[84:85], v[82:83], 1.0
	v_mul_f64 v[84:85], v[97:98], -v[82:83]
.LBB38_324:
	s_or_b32 exec_lo, exec_lo, s1
.LBB38_325:
	s_or_b32 exec_lo, exec_lo, s0
	s_mov_b32 s0, exec_lo
	v_cmpx_ne_u32_e64 v96, v90
	s_xor_b32 s0, exec_lo, s0
	s_cbranch_execz .LBB38_331
; %bb.326:
	s_mov_b32 s1, exec_lo
	v_cmpx_eq_u32_e32 15, v96
	s_cbranch_execz .LBB38_330
; %bb.327:
	v_cmp_ne_u32_e32 vcc_lo, 15, v90
	s_xor_b32 s2, s16, -1
	s_and_b32 s3, s2, vcc_lo
	s_and_saveexec_b32 s2, s3
	s_cbranch_execz .LBB38_329
; %bb.328:
	v_ashrrev_i32_e32 v91, 31, v90
	v_lshlrev_b64 v[96:97], 2, v[90:91]
	v_add_co_u32 v96, vcc_lo, v88, v96
	v_add_co_ci_u32_e64 v97, null, v89, v97, vcc_lo
	s_clause 0x1
	global_load_dword v0, v[96:97], off
	global_load_dword v91, v[88:89], off offset:60
	s_waitcnt vmcnt(1)
	global_store_dword v[88:89], v0, off offset:60
	s_waitcnt vmcnt(0)
	global_store_dword v[96:97], v91, off
.LBB38_329:
	s_or_b32 exec_lo, exec_lo, s2
	v_mov_b32_e32 v96, v90
	v_mov_b32_e32 v0, v90
.LBB38_330:
	s_or_b32 exec_lo, exec_lo, s1
.LBB38_331:
	s_andn2_saveexec_b32 s0, s0
	s_cbranch_execz .LBB38_333
; %bb.332:
	v_mov_b32_e32 v96, 15
	ds_write2_b64 v1, v[14:15], v[16:17] offset0:32 offset1:33
	ds_write2_b64 v1, v[10:11], v[12:13] offset0:34 offset1:35
	;; [unrolled: 1-line block ×4, first 2 shown]
.LBB38_333:
	s_or_b32 exec_lo, exec_lo, s0
	s_mov_b32 s0, exec_lo
	s_waitcnt lgkmcnt(0)
	s_waitcnt_vscnt null, 0x0
	s_barrier
	buffer_gl0_inv
	v_cmpx_lt_i32_e32 15, v96
	s_cbranch_execz .LBB38_335
; %bb.334:
	v_mul_f64 v[90:91], v[82:83], v[20:21]
	v_mul_f64 v[20:21], v[84:85], v[20:21]
	v_fma_f64 v[90:91], v[84:85], v[18:19], v[90:91]
	v_fma_f64 v[18:19], v[82:83], v[18:19], -v[20:21]
	ds_read2_b64 v[82:85], v1 offset0:32 offset1:33
	s_waitcnt lgkmcnt(0)
	v_mul_f64 v[20:21], v[84:85], v[90:91]
	v_fma_f64 v[20:21], v[82:83], v[18:19], -v[20:21]
	v_mul_f64 v[82:83], v[82:83], v[90:91]
	v_add_f64 v[14:15], v[14:15], -v[20:21]
	v_fma_f64 v[82:83], v[84:85], v[18:19], v[82:83]
	v_add_f64 v[16:17], v[16:17], -v[82:83]
	ds_read2_b64 v[82:85], v1 offset0:34 offset1:35
	s_waitcnt lgkmcnt(0)
	v_mul_f64 v[20:21], v[84:85], v[90:91]
	v_fma_f64 v[20:21], v[82:83], v[18:19], -v[20:21]
	v_mul_f64 v[82:83], v[82:83], v[90:91]
	v_add_f64 v[10:11], v[10:11], -v[20:21]
	v_fma_f64 v[82:83], v[84:85], v[18:19], v[82:83]
	v_add_f64 v[12:13], v[12:13], -v[82:83]
	;; [unrolled: 8-line block ×3, first 2 shown]
	ds_read2_b64 v[82:85], v1 offset0:38 offset1:39
	s_waitcnt lgkmcnt(0)
	v_mul_f64 v[20:21], v[84:85], v[90:91]
	v_fma_f64 v[20:21], v[82:83], v[18:19], -v[20:21]
	v_mul_f64 v[82:83], v[82:83], v[90:91]
	v_add_f64 v[2:3], v[2:3], -v[20:21]
	v_fma_f64 v[82:83], v[84:85], v[18:19], v[82:83]
	v_mov_b32_e32 v20, v90
	v_mov_b32_e32 v21, v91
	v_add_f64 v[4:5], v[4:5], -v[82:83]
.LBB38_335:
	s_or_b32 exec_lo, exec_lo, s0
	v_lshl_add_u32 v82, v96, 4, v1
	s_barrier
	buffer_gl0_inv
	v_mov_b32_e32 v90, 16
	ds_write2_b64 v82, v[14:15], v[16:17] offset1:1
	s_waitcnt lgkmcnt(0)
	s_barrier
	buffer_gl0_inv
	ds_read2_b64 v[82:85], v1 offset0:32 offset1:33
	s_cmp_lt_i32 s18, 18
	s_cbranch_scc1 .LBB38_338
; %bb.336:
	v_add3_u32 v91, v92, 0, 0x110
	v_mov_b32_e32 v90, 16
	s_mov_b32 s1, 17
	s_inst_prefetch 0x1
	.p2align	6
.LBB38_337:                             ; =>This Inner Loop Header: Depth=1
	s_waitcnt lgkmcnt(0)
	v_cmp_gt_f64_e32 vcc_lo, 0, v[84:85]
	v_cmp_gt_f64_e64 s0, 0, v[82:83]
	ds_read2_b64 v[97:100], v91 offset1:1
	v_xor_b32_e32 v102, 0x80000000, v83
	v_xor_b32_e32 v104, 0x80000000, v85
	v_mov_b32_e32 v101, v82
	v_mov_b32_e32 v103, v84
	v_add_nc_u32_e32 v91, 16, v91
	s_waitcnt lgkmcnt(0)
	v_xor_b32_e32 v106, 0x80000000, v100
	v_cndmask_b32_e64 v102, v83, v102, s0
	v_cndmask_b32_e32 v104, v85, v104, vcc_lo
	v_cmp_gt_f64_e32 vcc_lo, 0, v[99:100]
	v_cmp_gt_f64_e64 s0, 0, v[97:98]
	v_mov_b32_e32 v105, v99
	v_add_f64 v[101:102], v[101:102], v[103:104]
	v_xor_b32_e32 v104, 0x80000000, v98
	v_mov_b32_e32 v103, v97
	v_cndmask_b32_e32 v106, v100, v106, vcc_lo
	v_cndmask_b32_e64 v104, v98, v104, s0
	v_add_f64 v[103:104], v[103:104], v[105:106]
	v_cmp_lt_f64_e32 vcc_lo, v[101:102], v[103:104]
	v_cndmask_b32_e32 v83, v83, v98, vcc_lo
	v_cndmask_b32_e32 v82, v82, v97, vcc_lo
	;; [unrolled: 1-line block ×4, first 2 shown]
	v_cndmask_b32_e64 v90, v90, s1, vcc_lo
	s_add_i32 s1, s1, 1
	s_cmp_lg_u32 s18, s1
	s_cbranch_scc1 .LBB38_337
.LBB38_338:
	s_inst_prefetch 0x2
	s_waitcnt lgkmcnt(0)
	v_cmp_eq_f64_e32 vcc_lo, 0, v[82:83]
	v_cmp_eq_f64_e64 s0, 0, v[84:85]
	s_and_b32 s0, vcc_lo, s0
	s_and_saveexec_b32 s1, s0
	s_xor_b32 s0, exec_lo, s1
; %bb.339:
	v_cmp_ne_u32_e32 vcc_lo, 0, v95
	v_cndmask_b32_e32 v95, 17, v95, vcc_lo
; %bb.340:
	s_andn2_saveexec_b32 s0, s0
	s_cbranch_execz .LBB38_346
; %bb.341:
	v_cmp_ngt_f64_e64 s1, |v[82:83]|, |v[84:85]|
	s_and_saveexec_b32 s2, s1
	s_xor_b32 s1, exec_lo, s2
	s_cbranch_execz .LBB38_343
; %bb.342:
	v_div_scale_f64 v[97:98], null, v[84:85], v[84:85], v[82:83]
	v_div_scale_f64 v[103:104], vcc_lo, v[82:83], v[84:85], v[82:83]
	v_rcp_f64_e32 v[99:100], v[97:98]
	v_fma_f64 v[101:102], -v[97:98], v[99:100], 1.0
	v_fma_f64 v[99:100], v[99:100], v[101:102], v[99:100]
	v_fma_f64 v[101:102], -v[97:98], v[99:100], 1.0
	v_fma_f64 v[99:100], v[99:100], v[101:102], v[99:100]
	v_mul_f64 v[101:102], v[103:104], v[99:100]
	v_fma_f64 v[97:98], -v[97:98], v[101:102], v[103:104]
	v_div_fmas_f64 v[97:98], v[97:98], v[99:100], v[101:102]
	v_div_fixup_f64 v[97:98], v[97:98], v[84:85], v[82:83]
	v_fma_f64 v[82:83], v[82:83], v[97:98], v[84:85]
	v_div_scale_f64 v[84:85], null, v[82:83], v[82:83], 1.0
	v_rcp_f64_e32 v[99:100], v[84:85]
	v_fma_f64 v[101:102], -v[84:85], v[99:100], 1.0
	v_fma_f64 v[99:100], v[99:100], v[101:102], v[99:100]
	v_fma_f64 v[101:102], -v[84:85], v[99:100], 1.0
	v_fma_f64 v[99:100], v[99:100], v[101:102], v[99:100]
	v_div_scale_f64 v[101:102], vcc_lo, 1.0, v[82:83], 1.0
	v_mul_f64 v[103:104], v[101:102], v[99:100]
	v_fma_f64 v[84:85], -v[84:85], v[103:104], v[101:102]
	v_div_fmas_f64 v[84:85], v[84:85], v[99:100], v[103:104]
	v_div_fixup_f64 v[84:85], v[84:85], v[82:83], 1.0
	v_mul_f64 v[82:83], v[97:98], v[84:85]
	v_xor_b32_e32 v85, 0x80000000, v85
.LBB38_343:
	s_andn2_saveexec_b32 s1, s1
	s_cbranch_execz .LBB38_345
; %bb.344:
	v_div_scale_f64 v[97:98], null, v[82:83], v[82:83], v[84:85]
	v_div_scale_f64 v[103:104], vcc_lo, v[84:85], v[82:83], v[84:85]
	v_rcp_f64_e32 v[99:100], v[97:98]
	v_fma_f64 v[101:102], -v[97:98], v[99:100], 1.0
	v_fma_f64 v[99:100], v[99:100], v[101:102], v[99:100]
	v_fma_f64 v[101:102], -v[97:98], v[99:100], 1.0
	v_fma_f64 v[99:100], v[99:100], v[101:102], v[99:100]
	v_mul_f64 v[101:102], v[103:104], v[99:100]
	v_fma_f64 v[97:98], -v[97:98], v[101:102], v[103:104]
	v_div_fmas_f64 v[97:98], v[97:98], v[99:100], v[101:102]
	v_div_fixup_f64 v[97:98], v[97:98], v[82:83], v[84:85]
	v_fma_f64 v[82:83], v[84:85], v[97:98], v[82:83]
	v_div_scale_f64 v[84:85], null, v[82:83], v[82:83], 1.0
	v_rcp_f64_e32 v[99:100], v[84:85]
	v_fma_f64 v[101:102], -v[84:85], v[99:100], 1.0
	v_fma_f64 v[99:100], v[99:100], v[101:102], v[99:100]
	v_fma_f64 v[101:102], -v[84:85], v[99:100], 1.0
	v_fma_f64 v[99:100], v[99:100], v[101:102], v[99:100]
	v_div_scale_f64 v[101:102], vcc_lo, 1.0, v[82:83], 1.0
	v_mul_f64 v[103:104], v[101:102], v[99:100]
	v_fma_f64 v[84:85], -v[84:85], v[103:104], v[101:102]
	v_div_fmas_f64 v[84:85], v[84:85], v[99:100], v[103:104]
	v_div_fixup_f64 v[82:83], v[84:85], v[82:83], 1.0
	v_mul_f64 v[84:85], v[97:98], -v[82:83]
.LBB38_345:
	s_or_b32 exec_lo, exec_lo, s1
.LBB38_346:
	s_or_b32 exec_lo, exec_lo, s0
	s_mov_b32 s0, exec_lo
	v_cmpx_ne_u32_e64 v96, v90
	s_xor_b32 s0, exec_lo, s0
	s_cbranch_execz .LBB38_352
; %bb.347:
	s_mov_b32 s1, exec_lo
	v_cmpx_eq_u32_e32 16, v96
	s_cbranch_execz .LBB38_351
; %bb.348:
	v_cmp_ne_u32_e32 vcc_lo, 16, v90
	s_xor_b32 s2, s16, -1
	s_and_b32 s3, s2, vcc_lo
	s_and_saveexec_b32 s2, s3
	s_cbranch_execz .LBB38_350
; %bb.349:
	v_ashrrev_i32_e32 v91, 31, v90
	v_lshlrev_b64 v[96:97], 2, v[90:91]
	v_add_co_u32 v96, vcc_lo, v88, v96
	v_add_co_ci_u32_e64 v97, null, v89, v97, vcc_lo
	s_clause 0x1
	global_load_dword v0, v[96:97], off
	global_load_dword v91, v[88:89], off offset:64
	s_waitcnt vmcnt(1)
	global_store_dword v[88:89], v0, off offset:64
	s_waitcnt vmcnt(0)
	global_store_dword v[96:97], v91, off
.LBB38_350:
	s_or_b32 exec_lo, exec_lo, s2
	v_mov_b32_e32 v96, v90
	v_mov_b32_e32 v0, v90
.LBB38_351:
	s_or_b32 exec_lo, exec_lo, s1
.LBB38_352:
	s_andn2_saveexec_b32 s0, s0
	s_cbranch_execz .LBB38_354
; %bb.353:
	v_mov_b32_e32 v96, 16
	ds_write2_b64 v1, v[10:11], v[12:13] offset0:34 offset1:35
	ds_write2_b64 v1, v[6:7], v[8:9] offset0:36 offset1:37
	;; [unrolled: 1-line block ×3, first 2 shown]
.LBB38_354:
	s_or_b32 exec_lo, exec_lo, s0
	s_mov_b32 s0, exec_lo
	s_waitcnt lgkmcnt(0)
	s_waitcnt_vscnt null, 0x0
	s_barrier
	buffer_gl0_inv
	v_cmpx_lt_i32_e32 16, v96
	s_cbranch_execz .LBB38_356
; %bb.355:
	v_mul_f64 v[90:91], v[82:83], v[16:17]
	v_mul_f64 v[16:17], v[84:85], v[16:17]
	v_fma_f64 v[90:91], v[84:85], v[14:15], v[90:91]
	v_fma_f64 v[14:15], v[82:83], v[14:15], -v[16:17]
	ds_read2_b64 v[82:85], v1 offset0:34 offset1:35
	s_waitcnt lgkmcnt(0)
	v_mul_f64 v[16:17], v[84:85], v[90:91]
	v_fma_f64 v[16:17], v[82:83], v[14:15], -v[16:17]
	v_mul_f64 v[82:83], v[82:83], v[90:91]
	v_add_f64 v[10:11], v[10:11], -v[16:17]
	v_fma_f64 v[82:83], v[84:85], v[14:15], v[82:83]
	v_add_f64 v[12:13], v[12:13], -v[82:83]
	ds_read2_b64 v[82:85], v1 offset0:36 offset1:37
	s_waitcnt lgkmcnt(0)
	v_mul_f64 v[16:17], v[84:85], v[90:91]
	v_fma_f64 v[16:17], v[82:83], v[14:15], -v[16:17]
	v_mul_f64 v[82:83], v[82:83], v[90:91]
	v_add_f64 v[6:7], v[6:7], -v[16:17]
	v_fma_f64 v[82:83], v[84:85], v[14:15], v[82:83]
	v_add_f64 v[8:9], v[8:9], -v[82:83]
	ds_read2_b64 v[82:85], v1 offset0:38 offset1:39
	s_waitcnt lgkmcnt(0)
	v_mul_f64 v[16:17], v[84:85], v[90:91]
	v_fma_f64 v[16:17], v[82:83], v[14:15], -v[16:17]
	v_mul_f64 v[82:83], v[82:83], v[90:91]
	v_add_f64 v[2:3], v[2:3], -v[16:17]
	v_fma_f64 v[82:83], v[84:85], v[14:15], v[82:83]
	v_mov_b32_e32 v16, v90
	v_mov_b32_e32 v17, v91
	v_add_f64 v[4:5], v[4:5], -v[82:83]
.LBB38_356:
	s_or_b32 exec_lo, exec_lo, s0
	v_lshl_add_u32 v82, v96, 4, v1
	s_barrier
	buffer_gl0_inv
	v_mov_b32_e32 v90, 17
	ds_write2_b64 v82, v[10:11], v[12:13] offset1:1
	s_waitcnt lgkmcnt(0)
	s_barrier
	buffer_gl0_inv
	ds_read2_b64 v[82:85], v1 offset0:34 offset1:35
	s_cmp_lt_i32 s18, 19
	s_cbranch_scc1 .LBB38_359
; %bb.357:
	v_add3_u32 v91, v92, 0, 0x120
	v_mov_b32_e32 v90, 17
	s_mov_b32 s1, 18
	s_inst_prefetch 0x1
	.p2align	6
.LBB38_358:                             ; =>This Inner Loop Header: Depth=1
	s_waitcnt lgkmcnt(0)
	v_cmp_gt_f64_e32 vcc_lo, 0, v[84:85]
	v_cmp_gt_f64_e64 s0, 0, v[82:83]
	ds_read2_b64 v[97:100], v91 offset1:1
	v_xor_b32_e32 v102, 0x80000000, v83
	v_xor_b32_e32 v104, 0x80000000, v85
	v_mov_b32_e32 v101, v82
	v_mov_b32_e32 v103, v84
	v_add_nc_u32_e32 v91, 16, v91
	s_waitcnt lgkmcnt(0)
	v_xor_b32_e32 v106, 0x80000000, v100
	v_cndmask_b32_e64 v102, v83, v102, s0
	v_cndmask_b32_e32 v104, v85, v104, vcc_lo
	v_cmp_gt_f64_e32 vcc_lo, 0, v[99:100]
	v_cmp_gt_f64_e64 s0, 0, v[97:98]
	v_mov_b32_e32 v105, v99
	v_add_f64 v[101:102], v[101:102], v[103:104]
	v_xor_b32_e32 v104, 0x80000000, v98
	v_mov_b32_e32 v103, v97
	v_cndmask_b32_e32 v106, v100, v106, vcc_lo
	v_cndmask_b32_e64 v104, v98, v104, s0
	v_add_f64 v[103:104], v[103:104], v[105:106]
	v_cmp_lt_f64_e32 vcc_lo, v[101:102], v[103:104]
	v_cndmask_b32_e32 v83, v83, v98, vcc_lo
	v_cndmask_b32_e32 v82, v82, v97, vcc_lo
	;; [unrolled: 1-line block ×4, first 2 shown]
	v_cndmask_b32_e64 v90, v90, s1, vcc_lo
	s_add_i32 s1, s1, 1
	s_cmp_lg_u32 s18, s1
	s_cbranch_scc1 .LBB38_358
.LBB38_359:
	s_inst_prefetch 0x2
	s_waitcnt lgkmcnt(0)
	v_cmp_eq_f64_e32 vcc_lo, 0, v[82:83]
	v_cmp_eq_f64_e64 s0, 0, v[84:85]
	s_and_b32 s0, vcc_lo, s0
	s_and_saveexec_b32 s1, s0
	s_xor_b32 s0, exec_lo, s1
; %bb.360:
	v_cmp_ne_u32_e32 vcc_lo, 0, v95
	v_cndmask_b32_e32 v95, 18, v95, vcc_lo
; %bb.361:
	s_andn2_saveexec_b32 s0, s0
	s_cbranch_execz .LBB38_367
; %bb.362:
	v_cmp_ngt_f64_e64 s1, |v[82:83]|, |v[84:85]|
	s_and_saveexec_b32 s2, s1
	s_xor_b32 s1, exec_lo, s2
	s_cbranch_execz .LBB38_364
; %bb.363:
	v_div_scale_f64 v[97:98], null, v[84:85], v[84:85], v[82:83]
	v_div_scale_f64 v[103:104], vcc_lo, v[82:83], v[84:85], v[82:83]
	v_rcp_f64_e32 v[99:100], v[97:98]
	v_fma_f64 v[101:102], -v[97:98], v[99:100], 1.0
	v_fma_f64 v[99:100], v[99:100], v[101:102], v[99:100]
	v_fma_f64 v[101:102], -v[97:98], v[99:100], 1.0
	v_fma_f64 v[99:100], v[99:100], v[101:102], v[99:100]
	v_mul_f64 v[101:102], v[103:104], v[99:100]
	v_fma_f64 v[97:98], -v[97:98], v[101:102], v[103:104]
	v_div_fmas_f64 v[97:98], v[97:98], v[99:100], v[101:102]
	v_div_fixup_f64 v[97:98], v[97:98], v[84:85], v[82:83]
	v_fma_f64 v[82:83], v[82:83], v[97:98], v[84:85]
	v_div_scale_f64 v[84:85], null, v[82:83], v[82:83], 1.0
	v_rcp_f64_e32 v[99:100], v[84:85]
	v_fma_f64 v[101:102], -v[84:85], v[99:100], 1.0
	v_fma_f64 v[99:100], v[99:100], v[101:102], v[99:100]
	v_fma_f64 v[101:102], -v[84:85], v[99:100], 1.0
	v_fma_f64 v[99:100], v[99:100], v[101:102], v[99:100]
	v_div_scale_f64 v[101:102], vcc_lo, 1.0, v[82:83], 1.0
	v_mul_f64 v[103:104], v[101:102], v[99:100]
	v_fma_f64 v[84:85], -v[84:85], v[103:104], v[101:102]
	v_div_fmas_f64 v[84:85], v[84:85], v[99:100], v[103:104]
	v_div_fixup_f64 v[84:85], v[84:85], v[82:83], 1.0
	v_mul_f64 v[82:83], v[97:98], v[84:85]
	v_xor_b32_e32 v85, 0x80000000, v85
.LBB38_364:
	s_andn2_saveexec_b32 s1, s1
	s_cbranch_execz .LBB38_366
; %bb.365:
	v_div_scale_f64 v[97:98], null, v[82:83], v[82:83], v[84:85]
	v_div_scale_f64 v[103:104], vcc_lo, v[84:85], v[82:83], v[84:85]
	v_rcp_f64_e32 v[99:100], v[97:98]
	v_fma_f64 v[101:102], -v[97:98], v[99:100], 1.0
	v_fma_f64 v[99:100], v[99:100], v[101:102], v[99:100]
	v_fma_f64 v[101:102], -v[97:98], v[99:100], 1.0
	v_fma_f64 v[99:100], v[99:100], v[101:102], v[99:100]
	v_mul_f64 v[101:102], v[103:104], v[99:100]
	v_fma_f64 v[97:98], -v[97:98], v[101:102], v[103:104]
	v_div_fmas_f64 v[97:98], v[97:98], v[99:100], v[101:102]
	v_div_fixup_f64 v[97:98], v[97:98], v[82:83], v[84:85]
	v_fma_f64 v[82:83], v[84:85], v[97:98], v[82:83]
	v_div_scale_f64 v[84:85], null, v[82:83], v[82:83], 1.0
	v_rcp_f64_e32 v[99:100], v[84:85]
	v_fma_f64 v[101:102], -v[84:85], v[99:100], 1.0
	v_fma_f64 v[99:100], v[99:100], v[101:102], v[99:100]
	v_fma_f64 v[101:102], -v[84:85], v[99:100], 1.0
	v_fma_f64 v[99:100], v[99:100], v[101:102], v[99:100]
	v_div_scale_f64 v[101:102], vcc_lo, 1.0, v[82:83], 1.0
	v_mul_f64 v[103:104], v[101:102], v[99:100]
	v_fma_f64 v[84:85], -v[84:85], v[103:104], v[101:102]
	v_div_fmas_f64 v[84:85], v[84:85], v[99:100], v[103:104]
	v_div_fixup_f64 v[82:83], v[84:85], v[82:83], 1.0
	v_mul_f64 v[84:85], v[97:98], -v[82:83]
.LBB38_366:
	s_or_b32 exec_lo, exec_lo, s1
.LBB38_367:
	s_or_b32 exec_lo, exec_lo, s0
	s_mov_b32 s0, exec_lo
	v_cmpx_ne_u32_e64 v96, v90
	s_xor_b32 s0, exec_lo, s0
	s_cbranch_execz .LBB38_373
; %bb.368:
	s_mov_b32 s1, exec_lo
	v_cmpx_eq_u32_e32 17, v96
	s_cbranch_execz .LBB38_372
; %bb.369:
	v_cmp_ne_u32_e32 vcc_lo, 17, v90
	s_xor_b32 s2, s16, -1
	s_and_b32 s3, s2, vcc_lo
	s_and_saveexec_b32 s2, s3
	s_cbranch_execz .LBB38_371
; %bb.370:
	v_ashrrev_i32_e32 v91, 31, v90
	v_lshlrev_b64 v[96:97], 2, v[90:91]
	v_add_co_u32 v96, vcc_lo, v88, v96
	v_add_co_ci_u32_e64 v97, null, v89, v97, vcc_lo
	s_clause 0x1
	global_load_dword v0, v[96:97], off
	global_load_dword v91, v[88:89], off offset:68
	s_waitcnt vmcnt(1)
	global_store_dword v[88:89], v0, off offset:68
	s_waitcnt vmcnt(0)
	global_store_dword v[96:97], v91, off
.LBB38_371:
	s_or_b32 exec_lo, exec_lo, s2
	v_mov_b32_e32 v96, v90
	v_mov_b32_e32 v0, v90
.LBB38_372:
	s_or_b32 exec_lo, exec_lo, s1
.LBB38_373:
	s_andn2_saveexec_b32 s0, s0
	s_cbranch_execz .LBB38_375
; %bb.374:
	v_mov_b32_e32 v96, 17
	ds_write2_b64 v1, v[6:7], v[8:9] offset0:36 offset1:37
	ds_write2_b64 v1, v[2:3], v[4:5] offset0:38 offset1:39
.LBB38_375:
	s_or_b32 exec_lo, exec_lo, s0
	s_mov_b32 s0, exec_lo
	s_waitcnt lgkmcnt(0)
	s_waitcnt_vscnt null, 0x0
	s_barrier
	buffer_gl0_inv
	v_cmpx_lt_i32_e32 17, v96
	s_cbranch_execz .LBB38_377
; %bb.376:
	v_mul_f64 v[90:91], v[82:83], v[12:13]
	v_mul_f64 v[12:13], v[84:85], v[12:13]
	ds_read2_b64 v[97:100], v1 offset0:36 offset1:37
	ds_read2_b64 v[101:104], v1 offset0:38 offset1:39
	v_fma_f64 v[84:85], v[84:85], v[10:11], v[90:91]
	v_fma_f64 v[10:11], v[82:83], v[10:11], -v[12:13]
	s_waitcnt lgkmcnt(1)
	v_mul_f64 v[12:13], v[99:100], v[84:85]
	v_mul_f64 v[82:83], v[97:98], v[84:85]
	s_waitcnt lgkmcnt(0)
	v_mul_f64 v[90:91], v[103:104], v[84:85]
	v_mul_f64 v[105:106], v[101:102], v[84:85]
	v_fma_f64 v[12:13], v[97:98], v[10:11], -v[12:13]
	v_fma_f64 v[82:83], v[99:100], v[10:11], v[82:83]
	v_fma_f64 v[90:91], v[101:102], v[10:11], -v[90:91]
	v_fma_f64 v[97:98], v[103:104], v[10:11], v[105:106]
	v_add_f64 v[6:7], v[6:7], -v[12:13]
	v_add_f64 v[8:9], v[8:9], -v[82:83]
	;; [unrolled: 1-line block ×4, first 2 shown]
	v_mov_b32_e32 v12, v84
	v_mov_b32_e32 v13, v85
.LBB38_377:
	s_or_b32 exec_lo, exec_lo, s0
	v_lshl_add_u32 v82, v96, 4, v1
	s_barrier
	buffer_gl0_inv
	v_mov_b32_e32 v90, 18
	ds_write2_b64 v82, v[6:7], v[8:9] offset1:1
	s_waitcnt lgkmcnt(0)
	s_barrier
	buffer_gl0_inv
	ds_read2_b64 v[82:85], v1 offset0:36 offset1:37
	s_cmp_lt_i32 s18, 20
	s_cbranch_scc1 .LBB38_380
; %bb.378:
	v_add3_u32 v91, v92, 0, 0x130
	v_mov_b32_e32 v90, 18
	s_mov_b32 s1, 19
	s_inst_prefetch 0x1
	.p2align	6
.LBB38_379:                             ; =>This Inner Loop Header: Depth=1
	s_waitcnt lgkmcnt(0)
	v_cmp_gt_f64_e32 vcc_lo, 0, v[84:85]
	v_cmp_gt_f64_e64 s0, 0, v[82:83]
	ds_read2_b64 v[97:100], v91 offset1:1
	v_xor_b32_e32 v102, 0x80000000, v83
	v_xor_b32_e32 v104, 0x80000000, v85
	v_mov_b32_e32 v101, v82
	v_mov_b32_e32 v103, v84
	v_add_nc_u32_e32 v91, 16, v91
	s_waitcnt lgkmcnt(0)
	v_xor_b32_e32 v106, 0x80000000, v100
	v_cndmask_b32_e64 v102, v83, v102, s0
	v_cndmask_b32_e32 v104, v85, v104, vcc_lo
	v_cmp_gt_f64_e32 vcc_lo, 0, v[99:100]
	v_cmp_gt_f64_e64 s0, 0, v[97:98]
	v_mov_b32_e32 v105, v99
	v_add_f64 v[101:102], v[101:102], v[103:104]
	v_xor_b32_e32 v104, 0x80000000, v98
	v_mov_b32_e32 v103, v97
	v_cndmask_b32_e32 v106, v100, v106, vcc_lo
	v_cndmask_b32_e64 v104, v98, v104, s0
	v_add_f64 v[103:104], v[103:104], v[105:106]
	v_cmp_lt_f64_e32 vcc_lo, v[101:102], v[103:104]
	v_cndmask_b32_e32 v83, v83, v98, vcc_lo
	v_cndmask_b32_e32 v82, v82, v97, vcc_lo
	;; [unrolled: 1-line block ×4, first 2 shown]
	v_cndmask_b32_e64 v90, v90, s1, vcc_lo
	s_add_i32 s1, s1, 1
	s_cmp_lg_u32 s18, s1
	s_cbranch_scc1 .LBB38_379
.LBB38_380:
	s_inst_prefetch 0x2
	s_waitcnt lgkmcnt(0)
	v_cmp_eq_f64_e32 vcc_lo, 0, v[82:83]
	v_cmp_eq_f64_e64 s0, 0, v[84:85]
	s_and_b32 s0, vcc_lo, s0
	s_and_saveexec_b32 s1, s0
	s_xor_b32 s0, exec_lo, s1
; %bb.381:
	v_cmp_ne_u32_e32 vcc_lo, 0, v95
	v_cndmask_b32_e32 v95, 19, v95, vcc_lo
; %bb.382:
	s_andn2_saveexec_b32 s0, s0
	s_cbranch_execz .LBB38_388
; %bb.383:
	v_cmp_ngt_f64_e64 s1, |v[82:83]|, |v[84:85]|
	s_and_saveexec_b32 s2, s1
	s_xor_b32 s1, exec_lo, s2
	s_cbranch_execz .LBB38_385
; %bb.384:
	v_div_scale_f64 v[97:98], null, v[84:85], v[84:85], v[82:83]
	v_div_scale_f64 v[103:104], vcc_lo, v[82:83], v[84:85], v[82:83]
	v_rcp_f64_e32 v[99:100], v[97:98]
	v_fma_f64 v[101:102], -v[97:98], v[99:100], 1.0
	v_fma_f64 v[99:100], v[99:100], v[101:102], v[99:100]
	v_fma_f64 v[101:102], -v[97:98], v[99:100], 1.0
	v_fma_f64 v[99:100], v[99:100], v[101:102], v[99:100]
	v_mul_f64 v[101:102], v[103:104], v[99:100]
	v_fma_f64 v[97:98], -v[97:98], v[101:102], v[103:104]
	v_div_fmas_f64 v[97:98], v[97:98], v[99:100], v[101:102]
	v_div_fixup_f64 v[97:98], v[97:98], v[84:85], v[82:83]
	v_fma_f64 v[82:83], v[82:83], v[97:98], v[84:85]
	v_div_scale_f64 v[84:85], null, v[82:83], v[82:83], 1.0
	v_rcp_f64_e32 v[99:100], v[84:85]
	v_fma_f64 v[101:102], -v[84:85], v[99:100], 1.0
	v_fma_f64 v[99:100], v[99:100], v[101:102], v[99:100]
	v_fma_f64 v[101:102], -v[84:85], v[99:100], 1.0
	v_fma_f64 v[99:100], v[99:100], v[101:102], v[99:100]
	v_div_scale_f64 v[101:102], vcc_lo, 1.0, v[82:83], 1.0
	v_mul_f64 v[103:104], v[101:102], v[99:100]
	v_fma_f64 v[84:85], -v[84:85], v[103:104], v[101:102]
	v_div_fmas_f64 v[84:85], v[84:85], v[99:100], v[103:104]
	v_div_fixup_f64 v[84:85], v[84:85], v[82:83], 1.0
	v_mul_f64 v[82:83], v[97:98], v[84:85]
	v_xor_b32_e32 v85, 0x80000000, v85
.LBB38_385:
	s_andn2_saveexec_b32 s1, s1
	s_cbranch_execz .LBB38_387
; %bb.386:
	v_div_scale_f64 v[97:98], null, v[82:83], v[82:83], v[84:85]
	v_div_scale_f64 v[103:104], vcc_lo, v[84:85], v[82:83], v[84:85]
	v_rcp_f64_e32 v[99:100], v[97:98]
	v_fma_f64 v[101:102], -v[97:98], v[99:100], 1.0
	v_fma_f64 v[99:100], v[99:100], v[101:102], v[99:100]
	v_fma_f64 v[101:102], -v[97:98], v[99:100], 1.0
	v_fma_f64 v[99:100], v[99:100], v[101:102], v[99:100]
	v_mul_f64 v[101:102], v[103:104], v[99:100]
	v_fma_f64 v[97:98], -v[97:98], v[101:102], v[103:104]
	v_div_fmas_f64 v[97:98], v[97:98], v[99:100], v[101:102]
	v_div_fixup_f64 v[97:98], v[97:98], v[82:83], v[84:85]
	v_fma_f64 v[82:83], v[84:85], v[97:98], v[82:83]
	v_div_scale_f64 v[84:85], null, v[82:83], v[82:83], 1.0
	v_rcp_f64_e32 v[99:100], v[84:85]
	v_fma_f64 v[101:102], -v[84:85], v[99:100], 1.0
	v_fma_f64 v[99:100], v[99:100], v[101:102], v[99:100]
	v_fma_f64 v[101:102], -v[84:85], v[99:100], 1.0
	v_fma_f64 v[99:100], v[99:100], v[101:102], v[99:100]
	v_div_scale_f64 v[101:102], vcc_lo, 1.0, v[82:83], 1.0
	v_mul_f64 v[103:104], v[101:102], v[99:100]
	v_fma_f64 v[84:85], -v[84:85], v[103:104], v[101:102]
	v_div_fmas_f64 v[84:85], v[84:85], v[99:100], v[103:104]
	v_div_fixup_f64 v[82:83], v[84:85], v[82:83], 1.0
	v_mul_f64 v[84:85], v[97:98], -v[82:83]
.LBB38_387:
	s_or_b32 exec_lo, exec_lo, s1
.LBB38_388:
	s_or_b32 exec_lo, exec_lo, s0
	s_mov_b32 s0, exec_lo
	v_cmpx_ne_u32_e64 v96, v90
	s_xor_b32 s0, exec_lo, s0
	s_cbranch_execz .LBB38_394
; %bb.389:
	s_mov_b32 s1, exec_lo
	v_cmpx_eq_u32_e32 18, v96
	s_cbranch_execz .LBB38_393
; %bb.390:
	v_cmp_ne_u32_e32 vcc_lo, 18, v90
	s_xor_b32 s2, s16, -1
	s_and_b32 s3, s2, vcc_lo
	s_and_saveexec_b32 s2, s3
	s_cbranch_execz .LBB38_392
; %bb.391:
	v_ashrrev_i32_e32 v91, 31, v90
	v_lshlrev_b64 v[96:97], 2, v[90:91]
	v_add_co_u32 v96, vcc_lo, v88, v96
	v_add_co_ci_u32_e64 v97, null, v89, v97, vcc_lo
	s_clause 0x1
	global_load_dword v0, v[96:97], off
	global_load_dword v91, v[88:89], off offset:72
	s_waitcnt vmcnt(1)
	global_store_dword v[88:89], v0, off offset:72
	s_waitcnt vmcnt(0)
	global_store_dword v[96:97], v91, off
.LBB38_392:
	s_or_b32 exec_lo, exec_lo, s2
	v_mov_b32_e32 v96, v90
	v_mov_b32_e32 v0, v90
.LBB38_393:
	s_or_b32 exec_lo, exec_lo, s1
.LBB38_394:
	s_andn2_saveexec_b32 s0, s0
; %bb.395:
	v_mov_b32_e32 v96, 18
	ds_write2_b64 v1, v[2:3], v[4:5] offset0:38 offset1:39
; %bb.396:
	s_or_b32 exec_lo, exec_lo, s0
	s_mov_b32 s0, exec_lo
	s_waitcnt lgkmcnt(0)
	s_waitcnt_vscnt null, 0x0
	s_barrier
	buffer_gl0_inv
	v_cmpx_lt_i32_e32 18, v96
	s_cbranch_execz .LBB38_398
; %bb.397:
	v_mul_f64 v[90:91], v[82:83], v[8:9]
	v_mul_f64 v[8:9], v[84:85], v[8:9]
	ds_read2_b64 v[97:100], v1 offset0:38 offset1:39
	v_fma_f64 v[84:85], v[84:85], v[6:7], v[90:91]
	v_fma_f64 v[6:7], v[82:83], v[6:7], -v[8:9]
	s_waitcnt lgkmcnt(0)
	v_mul_f64 v[8:9], v[99:100], v[84:85]
	v_mul_f64 v[82:83], v[97:98], v[84:85]
	v_fma_f64 v[8:9], v[97:98], v[6:7], -v[8:9]
	v_fma_f64 v[82:83], v[99:100], v[6:7], v[82:83]
	v_add_f64 v[2:3], v[2:3], -v[8:9]
	v_add_f64 v[4:5], v[4:5], -v[82:83]
	v_mov_b32_e32 v8, v84
	v_mov_b32_e32 v9, v85
.LBB38_398:
	s_or_b32 exec_lo, exec_lo, s0
	v_lshl_add_u32 v82, v96, 4, v1
	s_barrier
	buffer_gl0_inv
	v_mov_b32_e32 v90, 19
	ds_write2_b64 v82, v[2:3], v[4:5] offset1:1
	s_waitcnt lgkmcnt(0)
	s_barrier
	buffer_gl0_inv
	ds_read2_b64 v[82:85], v1 offset0:38 offset1:39
	s_cmp_lt_i32 s18, 21
	s_cbranch_scc1 .LBB38_401
; %bb.399:
	v_add3_u32 v1, v92, 0, 0x140
	v_mov_b32_e32 v90, 19
	s_mov_b32 s1, 20
	s_inst_prefetch 0x1
	.p2align	6
.LBB38_400:                             ; =>This Inner Loop Header: Depth=1
	s_waitcnt lgkmcnt(0)
	v_cmp_gt_f64_e32 vcc_lo, 0, v[84:85]
	v_cmp_gt_f64_e64 s0, 0, v[82:83]
	ds_read2_b64 v[97:100], v1 offset1:1
	v_xor_b32_e32 v92, 0x80000000, v83
	v_xor_b32_e32 v102, 0x80000000, v85
	v_mov_b32_e32 v91, v82
	v_mov_b32_e32 v101, v84
	v_add_nc_u32_e32 v1, 16, v1
	s_waitcnt lgkmcnt(0)
	v_xor_b32_e32 v104, 0x80000000, v100
	v_cndmask_b32_e64 v92, v83, v92, s0
	v_cndmask_b32_e32 v102, v85, v102, vcc_lo
	v_cmp_gt_f64_e32 vcc_lo, 0, v[99:100]
	v_cmp_gt_f64_e64 s0, 0, v[97:98]
	v_mov_b32_e32 v103, v99
	v_add_f64 v[91:92], v[91:92], v[101:102]
	v_xor_b32_e32 v102, 0x80000000, v98
	v_mov_b32_e32 v101, v97
	v_cndmask_b32_e32 v104, v100, v104, vcc_lo
	v_cndmask_b32_e64 v102, v98, v102, s0
	v_add_f64 v[101:102], v[101:102], v[103:104]
	v_cmp_lt_f64_e32 vcc_lo, v[91:92], v[101:102]
	v_cndmask_b32_e32 v83, v83, v98, vcc_lo
	v_cndmask_b32_e32 v82, v82, v97, vcc_lo
	v_cndmask_b32_e32 v85, v85, v100, vcc_lo
	v_cndmask_b32_e32 v84, v84, v99, vcc_lo
	v_cndmask_b32_e64 v90, v90, s1, vcc_lo
	s_add_i32 s1, s1, 1
	s_cmp_lg_u32 s18, s1
	s_cbranch_scc1 .LBB38_400
.LBB38_401:
	s_inst_prefetch 0x2
	s_waitcnt lgkmcnt(0)
	v_cmp_eq_f64_e32 vcc_lo, 0, v[82:83]
	v_cmp_eq_f64_e64 s0, 0, v[84:85]
	s_and_b32 s0, vcc_lo, s0
	s_and_saveexec_b32 s1, s0
	s_xor_b32 s0, exec_lo, s1
; %bb.402:
	v_cmp_ne_u32_e32 vcc_lo, 0, v95
	v_cndmask_b32_e32 v95, 20, v95, vcc_lo
; %bb.403:
	s_andn2_saveexec_b32 s0, s0
	s_cbranch_execz .LBB38_409
; %bb.404:
	v_cmp_ngt_f64_e64 s1, |v[82:83]|, |v[84:85]|
	s_and_saveexec_b32 s2, s1
	s_xor_b32 s1, exec_lo, s2
	s_cbranch_execz .LBB38_406
; %bb.405:
	v_div_scale_f64 v[91:92], null, v[84:85], v[84:85], v[82:83]
	v_div_scale_f64 v[101:102], vcc_lo, v[82:83], v[84:85], v[82:83]
	v_rcp_f64_e32 v[97:98], v[91:92]
	v_fma_f64 v[99:100], -v[91:92], v[97:98], 1.0
	v_fma_f64 v[97:98], v[97:98], v[99:100], v[97:98]
	v_fma_f64 v[99:100], -v[91:92], v[97:98], 1.0
	v_fma_f64 v[97:98], v[97:98], v[99:100], v[97:98]
	v_mul_f64 v[99:100], v[101:102], v[97:98]
	v_fma_f64 v[91:92], -v[91:92], v[99:100], v[101:102]
	v_div_fmas_f64 v[91:92], v[91:92], v[97:98], v[99:100]
	v_div_fixup_f64 v[91:92], v[91:92], v[84:85], v[82:83]
	v_fma_f64 v[82:83], v[82:83], v[91:92], v[84:85]
	v_div_scale_f64 v[84:85], null, v[82:83], v[82:83], 1.0
	v_rcp_f64_e32 v[97:98], v[84:85]
	v_fma_f64 v[99:100], -v[84:85], v[97:98], 1.0
	v_fma_f64 v[97:98], v[97:98], v[99:100], v[97:98]
	v_fma_f64 v[99:100], -v[84:85], v[97:98], 1.0
	v_fma_f64 v[97:98], v[97:98], v[99:100], v[97:98]
	v_div_scale_f64 v[99:100], vcc_lo, 1.0, v[82:83], 1.0
	v_mul_f64 v[101:102], v[99:100], v[97:98]
	v_fma_f64 v[84:85], -v[84:85], v[101:102], v[99:100]
	v_div_fmas_f64 v[84:85], v[84:85], v[97:98], v[101:102]
	v_div_fixup_f64 v[84:85], v[84:85], v[82:83], 1.0
	v_mul_f64 v[82:83], v[91:92], v[84:85]
	v_xor_b32_e32 v85, 0x80000000, v85
.LBB38_406:
	s_andn2_saveexec_b32 s1, s1
	s_cbranch_execz .LBB38_408
; %bb.407:
	v_div_scale_f64 v[91:92], null, v[82:83], v[82:83], v[84:85]
	v_div_scale_f64 v[101:102], vcc_lo, v[84:85], v[82:83], v[84:85]
	v_rcp_f64_e32 v[97:98], v[91:92]
	v_fma_f64 v[99:100], -v[91:92], v[97:98], 1.0
	v_fma_f64 v[97:98], v[97:98], v[99:100], v[97:98]
	v_fma_f64 v[99:100], -v[91:92], v[97:98], 1.0
	v_fma_f64 v[97:98], v[97:98], v[99:100], v[97:98]
	v_mul_f64 v[99:100], v[101:102], v[97:98]
	v_fma_f64 v[91:92], -v[91:92], v[99:100], v[101:102]
	v_div_fmas_f64 v[91:92], v[91:92], v[97:98], v[99:100]
	v_div_fixup_f64 v[91:92], v[91:92], v[82:83], v[84:85]
	v_fma_f64 v[82:83], v[84:85], v[91:92], v[82:83]
	v_div_scale_f64 v[84:85], null, v[82:83], v[82:83], 1.0
	v_rcp_f64_e32 v[97:98], v[84:85]
	v_fma_f64 v[99:100], -v[84:85], v[97:98], 1.0
	v_fma_f64 v[97:98], v[97:98], v[99:100], v[97:98]
	v_fma_f64 v[99:100], -v[84:85], v[97:98], 1.0
	v_fma_f64 v[97:98], v[97:98], v[99:100], v[97:98]
	v_div_scale_f64 v[99:100], vcc_lo, 1.0, v[82:83], 1.0
	v_mul_f64 v[101:102], v[99:100], v[97:98]
	v_fma_f64 v[84:85], -v[84:85], v[101:102], v[99:100]
	v_div_fmas_f64 v[84:85], v[84:85], v[97:98], v[101:102]
	v_div_fixup_f64 v[82:83], v[84:85], v[82:83], 1.0
	v_mul_f64 v[84:85], v[91:92], -v[82:83]
.LBB38_408:
	s_or_b32 exec_lo, exec_lo, s1
.LBB38_409:
	s_or_b32 exec_lo, exec_lo, s0
	v_mov_b32_e32 v91, 19
	s_mov_b32 s0, exec_lo
	v_cmpx_ne_u32_e64 v96, v90
	s_cbranch_execz .LBB38_415
; %bb.410:
	s_mov_b32 s1, exec_lo
	v_cmpx_eq_u32_e32 19, v96
	s_cbranch_execz .LBB38_414
; %bb.411:
	v_cmp_ne_u32_e32 vcc_lo, 19, v90
	s_xor_b32 s2, s16, -1
	s_and_b32 s3, s2, vcc_lo
	s_and_saveexec_b32 s2, s3
	s_cbranch_execz .LBB38_413
; %bb.412:
	v_ashrrev_i32_e32 v91, 31, v90
	v_lshlrev_b64 v[0:1], 2, v[90:91]
	v_add_co_u32 v0, vcc_lo, v88, v0
	v_add_co_ci_u32_e64 v1, null, v89, v1, vcc_lo
	s_clause 0x1
	global_load_dword v91, v[0:1], off
	global_load_dword v92, v[88:89], off offset:76
	s_waitcnt vmcnt(1)
	global_store_dword v[88:89], v91, off offset:76
	s_waitcnt vmcnt(0)
	global_store_dword v[0:1], v92, off
.LBB38_413:
	s_or_b32 exec_lo, exec_lo, s2
	v_mov_b32_e32 v96, v90
	v_mov_b32_e32 v0, v90
.LBB38_414:
	s_or_b32 exec_lo, exec_lo, s1
	v_mov_b32_e32 v91, v96
.LBB38_415:
	s_or_b32 exec_lo, exec_lo, s0
	s_mov_b32 s0, exec_lo
	s_waitcnt_vscnt null, 0x0
	s_barrier
	buffer_gl0_inv
	v_cmpx_lt_i32_e32 19, v91
	s_cbranch_execz .LBB38_417
; %bb.416:
	v_mul_f64 v[88:89], v[84:85], v[4:5]
	v_mul_f64 v[4:5], v[82:83], v[4:5]
	v_fma_f64 v[82:83], v[82:83], v[2:3], -v[88:89]
	v_fma_f64 v[4:5], v[84:85], v[2:3], v[4:5]
	v_mov_b32_e32 v2, v82
	v_mov_b32_e32 v3, v83
.LBB38_417:
	s_or_b32 exec_lo, exec_lo, s0
	v_ashrrev_i32_e32 v92, 31, v91
	s_mov_b32 s0, exec_lo
	s_barrier
	buffer_gl0_inv
	v_cmpx_gt_i32_e32 20, v91
	s_cbranch_execz .LBB38_419
; %bb.418:
	v_mul_lo_u32 v1, s15, v86
	v_mul_lo_u32 v84, s14, v87
	v_mad_u64_u32 v[82:83], null, s14, v86, 0
	s_lshl_b64 s[2:3], s[12:13], 2
	v_add3_u32 v0, v0, s17, 1
	v_add3_u32 v83, v83, v84, v1
	v_lshlrev_b64 v[82:83], 2, v[82:83]
	v_add_co_u32 v1, vcc_lo, s10, v82
	v_add_co_ci_u32_e64 v84, null, s11, v83, vcc_lo
	v_lshlrev_b64 v[82:83], 2, v[91:92]
	v_add_co_u32 v1, vcc_lo, v1, s2
	v_add_co_ci_u32_e64 v84, null, s3, v84, vcc_lo
	v_add_co_u32 v82, vcc_lo, v1, v82
	v_add_co_ci_u32_e64 v83, null, v84, v83, vcc_lo
	global_store_dword v[82:83], v0, off
.LBB38_419:
	s_or_b32 exec_lo, exec_lo, s0
	s_mov_b32 s1, exec_lo
	v_cmpx_eq_u32_e32 0, v91
	s_cbranch_execz .LBB38_422
; %bb.420:
	v_lshlrev_b64 v[0:1], 2, v[86:87]
	v_cmp_ne_u32_e64 s0, 0, v95
	v_add_co_u32 v0, vcc_lo, s4, v0
	v_add_co_ci_u32_e64 v1, null, s5, v1, vcc_lo
	global_load_dword v82, v[0:1], off
	s_waitcnt vmcnt(0)
	v_cmp_eq_u32_e32 vcc_lo, 0, v82
	s_and_b32 s0, vcc_lo, s0
	s_and_b32 exec_lo, exec_lo, s0
	s_cbranch_execz .LBB38_422
; %bb.421:
	v_add_nc_u32_e32 v82, s17, v95
	global_store_dword v[0:1], v82, off
.LBB38_422:
	s_or_b32 exec_lo, exec_lo, s1
	v_add3_u32 v0, s6, s6, v91
	v_lshlrev_b64 v[82:83], 4, v[91:92]
	v_ashrrev_i32_e32 v1, 31, v0
	v_add_nc_u32_e32 v84, s6, v0
	v_add_co_u32 v82, vcc_lo, v93, v82
	v_add_co_ci_u32_e64 v83, null, v94, v83, vcc_lo
	v_lshlrev_b64 v[0:1], 4, v[0:1]
	v_add_nc_u32_e32 v86, s6, v84
	v_add_co_u32 v88, vcc_lo, v82, s8
	v_ashrrev_i32_e32 v85, 31, v84
	v_add_co_ci_u32_e64 v89, null, s9, v83, vcc_lo
	v_add_co_u32 v0, vcc_lo, v93, v0
	v_ashrrev_i32_e32 v87, 31, v86
	v_add_co_ci_u32_e64 v1, null, v94, v1, vcc_lo
	global_store_dwordx4 v[82:83], v[70:73], off
	v_add_nc_u32_e32 v72, s6, v86
	v_lshlrev_b64 v[70:71], 4, v[84:85]
	global_store_dwordx4 v[88:89], v[78:81], off
	global_store_dwordx4 v[0:1], v[74:77], off
	v_lshlrev_b64 v[0:1], 4, v[86:87]
	v_add_nc_u32_e32 v74, s6, v72
	v_ashrrev_i32_e32 v73, 31, v72
	v_add_co_u32 v70, vcc_lo, v93, v70
	v_add_co_ci_u32_e64 v71, null, v94, v71, vcc_lo
	v_add_co_u32 v0, vcc_lo, v93, v0
	v_add_nc_u32_e32 v76, s6, v74
	v_add_co_ci_u32_e64 v1, null, v94, v1, vcc_lo
	v_ashrrev_i32_e32 v75, 31, v74
	v_lshlrev_b64 v[72:73], 4, v[72:73]
	v_ashrrev_i32_e32 v77, 31, v76
	global_store_dwordx4 v[70:71], v[54:57], off
	global_store_dwordx4 v[0:1], v[58:61], off
	v_add_nc_u32_e32 v58, s6, v76
	v_lshlrev_b64 v[0:1], 4, v[74:75]
	v_add_co_u32 v54, vcc_lo, v93, v72
	v_lshlrev_b64 v[56:57], 4, v[76:77]
	v_add_co_ci_u32_e64 v55, null, v94, v73, vcc_lo
	v_add_nc_u32_e32 v60, s6, v58
	v_add_co_u32 v0, vcc_lo, v93, v0
	v_ashrrev_i32_e32 v59, 31, v58
	v_add_co_ci_u32_e64 v1, null, v94, v1, vcc_lo
	v_add_co_u32 v56, vcc_lo, v93, v56
	global_store_dwordx4 v[54:55], v[42:45], off
	v_add_nc_u32_e32 v44, s6, v60
	v_ashrrev_i32_e32 v61, 31, v60
	v_add_co_ci_u32_e64 v57, null, v94, v57, vcc_lo
	v_lshlrev_b64 v[42:43], 4, v[58:59]
	v_add_nc_u32_e32 v54, s6, v44
	global_store_dwordx4 v[0:1], v[66:69], off
	global_store_dwordx4 v[56:57], v[62:65], off
	v_lshlrev_b64 v[0:1], 4, v[60:61]
	v_ashrrev_i32_e32 v45, 31, v44
	v_add_co_u32 v42, vcc_lo, v93, v42
	v_add_nc_u32_e32 v56, s6, v54
	v_add_co_ci_u32_e64 v43, null, v94, v43, vcc_lo
	v_add_co_u32 v0, vcc_lo, v93, v0
	v_lshlrev_b64 v[44:45], 4, v[44:45]
	v_ashrrev_i32_e32 v55, 31, v54
	v_add_co_ci_u32_e64 v1, null, v94, v1, vcc_lo
	v_ashrrev_i32_e32 v57, 31, v56
	global_store_dwordx4 v[42:43], v[50:53], off
	global_store_dwordx4 v[0:1], v[46:49], off
	v_lshlrev_b64 v[0:1], 4, v[54:55]
	v_add_co_u32 v42, vcc_lo, v93, v44
	v_add_nc_u32_e32 v46, s6, v56
	v_add_co_ci_u32_e64 v43, null, v94, v45, vcc_lo
	v_lshlrev_b64 v[44:45], 4, v[56:57]
	v_add_co_u32 v0, vcc_lo, v93, v0
	v_add_nc_u32_e32 v48, s6, v46
	v_add_co_ci_u32_e64 v1, null, v94, v1, vcc_lo
	v_add_co_u32 v44, vcc_lo, v93, v44
	v_ashrrev_i32_e32 v47, 31, v46
	v_add_co_ci_u32_e64 v45, null, v94, v45, vcc_lo
	v_ashrrev_i32_e32 v49, 31, v48
	global_store_dwordx4 v[42:43], v[38:41], off
	v_lshlrev_b64 v[38:39], 4, v[46:47]
	global_store_dwordx4 v[0:1], v[34:37], off
	global_store_dwordx4 v[44:45], v[30:33], off
	v_add_nc_u32_e32 v30, s6, v48
	v_lshlrev_b64 v[0:1], 4, v[48:49]
	v_add_co_u32 v32, vcc_lo, v93, v38
	v_add_nc_u32_e32 v34, s6, v30
	v_add_co_ci_u32_e64 v33, null, v94, v39, vcc_lo
	v_add_co_u32 v0, vcc_lo, v93, v0
	v_add_co_ci_u32_e64 v1, null, v94, v1, vcc_lo
	v_add_nc_u32_e32 v36, s6, v34
	v_ashrrev_i32_e32 v31, 31, v30
	global_store_dwordx4 v[32:33], v[26:29], off
	global_store_dwordx4 v[0:1], v[22:25], off
	v_ashrrev_i32_e32 v35, 31, v34
	v_add_nc_u32_e32 v22, s6, v36
	v_lshlrev_b64 v[26:27], 4, v[30:31]
	v_ashrrev_i32_e32 v37, 31, v36
	v_lshlrev_b64 v[0:1], 4, v[34:35]
	v_add_nc_u32_e32 v28, s6, v22
	v_ashrrev_i32_e32 v23, 31, v22
	v_add_co_u32 v24, vcc_lo, v93, v26
	v_add_co_ci_u32_e64 v25, null, v94, v27, vcc_lo
	v_ashrrev_i32_e32 v29, 31, v28
	v_lshlrev_b64 v[26:27], 4, v[36:37]
	v_lshlrev_b64 v[22:23], 4, v[22:23]
	v_add_co_u32 v0, vcc_lo, v93, v0
	v_lshlrev_b64 v[28:29], 4, v[28:29]
	v_add_co_ci_u32_e64 v1, null, v94, v1, vcc_lo
	v_add_co_u32 v26, vcc_lo, v93, v26
	v_add_co_ci_u32_e64 v27, null, v94, v27, vcc_lo
	v_add_co_u32 v22, vcc_lo, v93, v22
	;; [unrolled: 2-line block ×3, first 2 shown]
	v_add_co_ci_u32_e64 v29, null, v94, v29, vcc_lo
	global_store_dwordx4 v[24:25], v[18:21], off
	global_store_dwordx4 v[0:1], v[14:17], off
	global_store_dwordx4 v[26:27], v[10:13], off
	global_store_dwordx4 v[22:23], v[6:9], off
	global_store_dwordx4 v[28:29], v[2:5], off
.LBB38_423:
	s_endpgm
	.section	.rodata,"a",@progbits
	.p2align	6, 0x0
	.amdhsa_kernel _ZN9rocsolver6v33100L18getf2_small_kernelILi20E19rocblas_complex_numIdEiiPS3_EEvT1_T3_lS5_lPS5_llPT2_S5_S5_S7_l
		.amdhsa_group_segment_fixed_size 0
		.amdhsa_private_segment_fixed_size 0
		.amdhsa_kernarg_size 352
		.amdhsa_user_sgpr_count 6
		.amdhsa_user_sgpr_private_segment_buffer 1
		.amdhsa_user_sgpr_dispatch_ptr 0
		.amdhsa_user_sgpr_queue_ptr 0
		.amdhsa_user_sgpr_kernarg_segment_ptr 1
		.amdhsa_user_sgpr_dispatch_id 0
		.amdhsa_user_sgpr_flat_scratch_init 0
		.amdhsa_user_sgpr_private_segment_size 0
		.amdhsa_wavefront_size32 1
		.amdhsa_uses_dynamic_stack 0
		.amdhsa_system_sgpr_private_segment_wavefront_offset 0
		.amdhsa_system_sgpr_workgroup_id_x 1
		.amdhsa_system_sgpr_workgroup_id_y 1
		.amdhsa_system_sgpr_workgroup_id_z 0
		.amdhsa_system_sgpr_workgroup_info 0
		.amdhsa_system_vgpr_workitem_id 1
		.amdhsa_next_free_vgpr 108
		.amdhsa_next_free_sgpr 19
		.amdhsa_reserve_vcc 1
		.amdhsa_reserve_flat_scratch 0
		.amdhsa_float_round_mode_32 0
		.amdhsa_float_round_mode_16_64 0
		.amdhsa_float_denorm_mode_32 3
		.amdhsa_float_denorm_mode_16_64 3
		.amdhsa_dx10_clamp 1
		.amdhsa_ieee_mode 1
		.amdhsa_fp16_overflow 0
		.amdhsa_workgroup_processor_mode 1
		.amdhsa_memory_ordered 1
		.amdhsa_forward_progress 1
		.amdhsa_shared_vgpr_count 0
		.amdhsa_exception_fp_ieee_invalid_op 0
		.amdhsa_exception_fp_denorm_src 0
		.amdhsa_exception_fp_ieee_div_zero 0
		.amdhsa_exception_fp_ieee_overflow 0
		.amdhsa_exception_fp_ieee_underflow 0
		.amdhsa_exception_fp_ieee_inexact 0
		.amdhsa_exception_int_div_zero 0
	.end_amdhsa_kernel
	.section	.text._ZN9rocsolver6v33100L18getf2_small_kernelILi20E19rocblas_complex_numIdEiiPS3_EEvT1_T3_lS5_lPS5_llPT2_S5_S5_S7_l,"axG",@progbits,_ZN9rocsolver6v33100L18getf2_small_kernelILi20E19rocblas_complex_numIdEiiPS3_EEvT1_T3_lS5_lPS5_llPT2_S5_S5_S7_l,comdat
.Lfunc_end38:
	.size	_ZN9rocsolver6v33100L18getf2_small_kernelILi20E19rocblas_complex_numIdEiiPS3_EEvT1_T3_lS5_lPS5_llPT2_S5_S5_S7_l, .Lfunc_end38-_ZN9rocsolver6v33100L18getf2_small_kernelILi20E19rocblas_complex_numIdEiiPS3_EEvT1_T3_lS5_lPS5_llPT2_S5_S5_S7_l
                                        ; -- End function
	.set _ZN9rocsolver6v33100L18getf2_small_kernelILi20E19rocblas_complex_numIdEiiPS3_EEvT1_T3_lS5_lPS5_llPT2_S5_S5_S7_l.num_vgpr, 108
	.set _ZN9rocsolver6v33100L18getf2_small_kernelILi20E19rocblas_complex_numIdEiiPS3_EEvT1_T3_lS5_lPS5_llPT2_S5_S5_S7_l.num_agpr, 0
	.set _ZN9rocsolver6v33100L18getf2_small_kernelILi20E19rocblas_complex_numIdEiiPS3_EEvT1_T3_lS5_lPS5_llPT2_S5_S5_S7_l.numbered_sgpr, 19
	.set _ZN9rocsolver6v33100L18getf2_small_kernelILi20E19rocblas_complex_numIdEiiPS3_EEvT1_T3_lS5_lPS5_llPT2_S5_S5_S7_l.num_named_barrier, 0
	.set _ZN9rocsolver6v33100L18getf2_small_kernelILi20E19rocblas_complex_numIdEiiPS3_EEvT1_T3_lS5_lPS5_llPT2_S5_S5_S7_l.private_seg_size, 0
	.set _ZN9rocsolver6v33100L18getf2_small_kernelILi20E19rocblas_complex_numIdEiiPS3_EEvT1_T3_lS5_lPS5_llPT2_S5_S5_S7_l.uses_vcc, 1
	.set _ZN9rocsolver6v33100L18getf2_small_kernelILi20E19rocblas_complex_numIdEiiPS3_EEvT1_T3_lS5_lPS5_llPT2_S5_S5_S7_l.uses_flat_scratch, 0
	.set _ZN9rocsolver6v33100L18getf2_small_kernelILi20E19rocblas_complex_numIdEiiPS3_EEvT1_T3_lS5_lPS5_llPT2_S5_S5_S7_l.has_dyn_sized_stack, 0
	.set _ZN9rocsolver6v33100L18getf2_small_kernelILi20E19rocblas_complex_numIdEiiPS3_EEvT1_T3_lS5_lPS5_llPT2_S5_S5_S7_l.has_recursion, 0
	.set _ZN9rocsolver6v33100L18getf2_small_kernelILi20E19rocblas_complex_numIdEiiPS3_EEvT1_T3_lS5_lPS5_llPT2_S5_S5_S7_l.has_indirect_call, 0
	.section	.AMDGPU.csdata,"",@progbits
; Kernel info:
; codeLenInByte = 34640
; TotalNumSgprs: 21
; NumVgprs: 108
; ScratchSize: 0
; MemoryBound: 0
; FloatMode: 240
; IeeeMode: 1
; LDSByteSize: 0 bytes/workgroup (compile time only)
; SGPRBlocks: 0
; VGPRBlocks: 13
; NumSGPRsForWavesPerEU: 21
; NumVGPRsForWavesPerEU: 108
; Occupancy: 9
; WaveLimiterHint : 0
; COMPUTE_PGM_RSRC2:SCRATCH_EN: 0
; COMPUTE_PGM_RSRC2:USER_SGPR: 6
; COMPUTE_PGM_RSRC2:TRAP_HANDLER: 0
; COMPUTE_PGM_RSRC2:TGID_X_EN: 1
; COMPUTE_PGM_RSRC2:TGID_Y_EN: 1
; COMPUTE_PGM_RSRC2:TGID_Z_EN: 0
; COMPUTE_PGM_RSRC2:TIDIG_COMP_CNT: 1
	.section	.text._ZN9rocsolver6v33100L23getf2_npvt_small_kernelILi20E19rocblas_complex_numIdEiiPS3_EEvT1_T3_lS5_lPT2_S5_S5_,"axG",@progbits,_ZN9rocsolver6v33100L23getf2_npvt_small_kernelILi20E19rocblas_complex_numIdEiiPS3_EEvT1_T3_lS5_lPT2_S5_S5_,comdat
	.globl	_ZN9rocsolver6v33100L23getf2_npvt_small_kernelILi20E19rocblas_complex_numIdEiiPS3_EEvT1_T3_lS5_lPT2_S5_S5_ ; -- Begin function _ZN9rocsolver6v33100L23getf2_npvt_small_kernelILi20E19rocblas_complex_numIdEiiPS3_EEvT1_T3_lS5_lPT2_S5_S5_
	.p2align	8
	.type	_ZN9rocsolver6v33100L23getf2_npvt_small_kernelILi20E19rocblas_complex_numIdEiiPS3_EEvT1_T3_lS5_lPT2_S5_S5_,@function
_ZN9rocsolver6v33100L23getf2_npvt_small_kernelILi20E19rocblas_complex_numIdEiiPS3_EEvT1_T3_lS5_lPT2_S5_S5_: ; @_ZN9rocsolver6v33100L23getf2_npvt_small_kernelILi20E19rocblas_complex_numIdEiiPS3_EEvT1_T3_lS5_lPT2_S5_S5_
; %bb.0:
	s_clause 0x1
	s_load_dword s0, s[4:5], 0x44
	s_load_dwordx2 s[12:13], s[4:5], 0x30
	s_waitcnt lgkmcnt(0)
	s_lshr_b32 s14, s0, 16
	s_mov_b32 s0, exec_lo
	v_mad_u64_u32 v[186:187], null, s7, s14, v[1:2]
	v_cmpx_gt_i32_e64 s12, v186
	s_cbranch_execz .LBB39_185
; %bb.1:
	s_clause 0x2
	s_load_dwordx4 s[8:11], s[4:5], 0x20
	s_load_dword s6, s[4:5], 0x18
	s_load_dwordx4 s[0:3], s[4:5], 0x8
	v_ashrrev_i32_e32 v187, 31, v186
	v_lshlrev_b32_e32 v13, 4, v0
	v_lshlrev_b32_e32 v82, 4, v1
	s_mulk_i32 s14, 0x140
	v_mad_u32_u24 v204, 0x140, v1, 0
	v_add3_u32 v1, 0, s14, v82
	s_waitcnt lgkmcnt(0)
	v_mul_lo_u32 v5, s9, v186
	v_mul_lo_u32 v7, s8, v187
	v_mad_u64_u32 v[2:3], null, s8, v186, 0
	v_add3_u32 v4, s6, s6, v0
	s_lshl_b64 s[2:3], s[2:3], 4
	s_ashr_i32 s7, s6, 31
	s_lshl_b64 s[4:5], s[6:7], 4
	v_add_nc_u32_e32 v6, s6, v4
	v_add3_u32 v3, v3, v7, v5
	v_ashrrev_i32_e32 v5, 31, v4
	v_add_nc_u32_e32 v8, s6, v6
	v_lshlrev_b64 v[2:3], 4, v[2:3]
	v_ashrrev_i32_e32 v7, 31, v6
	v_lshlrev_b64 v[4:5], 4, v[4:5]
	v_ashrrev_i32_e32 v9, 31, v8
	v_add_nc_u32_e32 v10, s6, v8
	v_add_co_u32 v12, vcc_lo, s0, v2
	v_add_co_ci_u32_e64 v14, null, s1, v3, vcc_lo
	v_lshlrev_b64 v[2:3], 4, v[8:9]
	v_add_co_u32 v18, vcc_lo, v12, s2
	v_add_nc_u32_e32 v8, s6, v10
	v_add_co_ci_u32_e64 v19, null, s3, v14, vcc_lo
	v_lshlrev_b64 v[6:7], 4, v[6:7]
	v_ashrrev_i32_e32 v11, 31, v10
	v_add_co_u32 v168, vcc_lo, v18, v13
	v_add_nc_u32_e32 v12, s6, v8
	v_add_co_ci_u32_e64 v169, null, 0, v19, vcc_lo
	v_add_co_u32 v166, vcc_lo, v18, v4
	v_lshlrev_b64 v[10:11], 4, v[10:11]
	v_ashrrev_i32_e32 v9, 31, v8
	v_add_co_ci_u32_e64 v167, null, v19, v5, vcc_lo
	v_add_co_u32 v164, vcc_lo, v18, v6
	v_add_co_ci_u32_e64 v165, null, v19, v7, vcc_lo
	v_add_co_u32 v170, vcc_lo, v168, s4
	v_ashrrev_i32_e32 v13, 31, v12
	v_add_nc_u32_e32 v16, s6, v12
	v_add_co_ci_u32_e64 v171, null, s5, v169, vcc_lo
	v_add_co_u32 v162, vcc_lo, v18, v2
	v_lshlrev_b64 v[14:15], 4, v[8:9]
	v_add_co_ci_u32_e64 v163, null, v19, v3, vcc_lo
	v_add_co_u32 v172, vcc_lo, v18, v10
	v_add_co_ci_u32_e64 v173, null, v19, v11, vcc_lo
	v_lshlrev_b64 v[10:11], 4, v[12:13]
	v_ashrrev_i32_e32 v17, 31, v16
	v_add_nc_u32_e32 v12, s6, v16
	v_add_co_u32 v174, vcc_lo, v18, v14
	v_add_co_ci_u32_e64 v175, null, v19, v15, vcc_lo
	v_lshlrev_b64 v[14:15], 4, v[16:17]
	v_ashrrev_i32_e32 v13, 31, v12
	v_add_nc_u32_e32 v16, s6, v12
	;; [unrolled: 5-line block ×10, first 2 shown]
	v_add_co_u32 v194, vcc_lo, v18, v10
	v_add_co_ci_u32_e64 v195, null, v19, v11, vcc_lo
	v_lshlrev_b64 v[10:11], 4, v[12:13]
	v_add_nc_u32_e32 v12, s6, v16
	v_ashrrev_i32_e32 v17, 31, v16
	v_add_co_u32 v200, vcc_lo, v18, v14
	v_add_co_ci_u32_e64 v201, null, v19, v15, vcc_lo
	v_ashrrev_i32_e32 v13, 31, v12
	v_lshlrev_b64 v[14:15], 4, v[16:17]
	v_add_co_u32 v196, vcc_lo, v18, v10
	v_add_co_ci_u32_e64 v197, null, v19, v11, vcc_lo
	v_lshlrev_b64 v[10:11], 4, v[12:13]
	v_add_co_u32 v198, vcc_lo, v18, v14
	v_add_co_ci_u32_e64 v199, null, v19, v15, vcc_lo
	s_clause 0x1
	global_load_dwordx4 v[6:9], v[168:169], off
	global_load_dwordx4 v[2:5], v[170:171], off
	v_add_co_u32 v202, vcc_lo, v18, v10
	v_add_co_ci_u32_e64 v203, null, v19, v11, vcc_lo
	s_clause 0x11
	global_load_dwordx4 v[78:81], v[166:167], off
	global_load_dwordx4 v[74:77], v[164:165], off
	global_load_dwordx4 v[70:73], v[162:163], off
	global_load_dwordx4 v[66:69], v[172:173], off
	global_load_dwordx4 v[62:65], v[174:175], off
	global_load_dwordx4 v[58:61], v[176:177], off
	global_load_dwordx4 v[54:57], v[178:179], off
	global_load_dwordx4 v[50:53], v[180:181], off
	global_load_dwordx4 v[46:49], v[182:183], off
	global_load_dwordx4 v[42:45], v[184:185], off
	global_load_dwordx4 v[38:41], v[188:189], off
	global_load_dwordx4 v[34:37], v[190:191], off
	global_load_dwordx4 v[30:33], v[192:193], off
	global_load_dwordx4 v[26:29], v[194:195], off
	global_load_dwordx4 v[22:25], v[200:201], off
	global_load_dwordx4 v[18:21], v[196:197], off
	global_load_dwordx4 v[14:17], v[198:199], off
	global_load_dwordx4 v[10:13], v[202:203], off
	v_cmp_ne_u32_e64 s1, 0, v0
	v_cmp_eq_u32_e64 s0, 0, v0
	s_and_saveexec_b32 s3, s0
	s_cbranch_execz .LBB39_8
; %bb.2:
	s_waitcnt vmcnt(19)
	ds_write2_b64 v1, v[6:7], v[8:9] offset1:1
	s_waitcnt vmcnt(18)
	ds_write2_b64 v204, v[2:3], v[4:5] offset0:2 offset1:3
	s_waitcnt vmcnt(17)
	ds_write2_b64 v204, v[78:79], v[80:81] offset0:4 offset1:5
	s_waitcnt vmcnt(16)
	ds_write2_b64 v204, v[74:75], v[76:77] offset0:6 offset1:7
	s_waitcnt vmcnt(15)
	ds_write2_b64 v204, v[70:71], v[72:73] offset0:8 offset1:9
	s_waitcnt vmcnt(14)
	ds_write2_b64 v204, v[66:67], v[68:69] offset0:10 offset1:11
	s_waitcnt vmcnt(13)
	ds_write2_b64 v204, v[62:63], v[64:65] offset0:12 offset1:13
	s_waitcnt vmcnt(12)
	ds_write2_b64 v204, v[58:59], v[60:61] offset0:14 offset1:15
	s_waitcnt vmcnt(11)
	ds_write2_b64 v204, v[54:55], v[56:57] offset0:16 offset1:17
	s_waitcnt vmcnt(10)
	ds_write2_b64 v204, v[50:51], v[52:53] offset0:18 offset1:19
	s_waitcnt vmcnt(9)
	ds_write2_b64 v204, v[46:47], v[48:49] offset0:20 offset1:21
	s_waitcnt vmcnt(8)
	ds_write2_b64 v204, v[42:43], v[44:45] offset0:22 offset1:23
	s_waitcnt vmcnt(7)
	ds_write2_b64 v204, v[38:39], v[40:41] offset0:24 offset1:25
	s_waitcnt vmcnt(6)
	ds_write2_b64 v204, v[34:35], v[36:37] offset0:26 offset1:27
	s_waitcnt vmcnt(5)
	ds_write2_b64 v204, v[30:31], v[32:33] offset0:28 offset1:29
	s_waitcnt vmcnt(4)
	ds_write2_b64 v204, v[26:27], v[28:29] offset0:30 offset1:31
	s_waitcnt vmcnt(3)
	ds_write2_b64 v204, v[22:23], v[24:25] offset0:32 offset1:33
	s_waitcnt vmcnt(2)
	ds_write2_b64 v204, v[18:19], v[20:21] offset0:34 offset1:35
	s_waitcnt vmcnt(1)
	ds_write2_b64 v204, v[14:15], v[16:17] offset0:36 offset1:37
	s_waitcnt vmcnt(0)
	ds_write2_b64 v204, v[10:11], v[12:13] offset0:38 offset1:39
	ds_read2_b64 v[82:85], v1 offset1:1
	s_waitcnt lgkmcnt(0)
	v_cmp_neq_f64_e32 vcc_lo, 0, v[82:83]
	v_cmp_neq_f64_e64 s2, 0, v[84:85]
	s_or_b32 s2, vcc_lo, s2
	s_and_b32 exec_lo, exec_lo, s2
	s_cbranch_execz .LBB39_8
; %bb.3:
	v_cmp_ngt_f64_e64 s2, |v[82:83]|, |v[84:85]|
                                        ; implicit-def: $vgpr86_vgpr87
	s_and_saveexec_b32 s4, s2
	s_xor_b32 s2, exec_lo, s4
                                        ; implicit-def: $vgpr88_vgpr89
	s_cbranch_execz .LBB39_5
; %bb.4:
	v_div_scale_f64 v[86:87], null, v[84:85], v[84:85], v[82:83]
	v_div_scale_f64 v[92:93], vcc_lo, v[82:83], v[84:85], v[82:83]
	v_rcp_f64_e32 v[88:89], v[86:87]
	v_fma_f64 v[90:91], -v[86:87], v[88:89], 1.0
	v_fma_f64 v[88:89], v[88:89], v[90:91], v[88:89]
	v_fma_f64 v[90:91], -v[86:87], v[88:89], 1.0
	v_fma_f64 v[88:89], v[88:89], v[90:91], v[88:89]
	v_mul_f64 v[90:91], v[92:93], v[88:89]
	v_fma_f64 v[86:87], -v[86:87], v[90:91], v[92:93]
	v_div_fmas_f64 v[86:87], v[86:87], v[88:89], v[90:91]
	v_div_fixup_f64 v[86:87], v[86:87], v[84:85], v[82:83]
	v_fma_f64 v[82:83], v[82:83], v[86:87], v[84:85]
	v_div_scale_f64 v[84:85], null, v[82:83], v[82:83], 1.0
	v_rcp_f64_e32 v[88:89], v[84:85]
	v_fma_f64 v[90:91], -v[84:85], v[88:89], 1.0
	v_fma_f64 v[88:89], v[88:89], v[90:91], v[88:89]
	v_fma_f64 v[90:91], -v[84:85], v[88:89], 1.0
	v_fma_f64 v[88:89], v[88:89], v[90:91], v[88:89]
	v_div_scale_f64 v[90:91], vcc_lo, 1.0, v[82:83], 1.0
	v_mul_f64 v[92:93], v[90:91], v[88:89]
	v_fma_f64 v[84:85], -v[84:85], v[92:93], v[90:91]
	v_div_fmas_f64 v[84:85], v[84:85], v[88:89], v[92:93]
	v_div_fixup_f64 v[88:89], v[84:85], v[82:83], 1.0
                                        ; implicit-def: $vgpr82_vgpr83
	v_mul_f64 v[86:87], v[86:87], v[88:89]
	v_xor_b32_e32 v89, 0x80000000, v89
.LBB39_5:
	s_andn2_saveexec_b32 s2, s2
	s_cbranch_execz .LBB39_7
; %bb.6:
	v_div_scale_f64 v[86:87], null, v[82:83], v[82:83], v[84:85]
	v_div_scale_f64 v[92:93], vcc_lo, v[84:85], v[82:83], v[84:85]
	v_rcp_f64_e32 v[88:89], v[86:87]
	v_fma_f64 v[90:91], -v[86:87], v[88:89], 1.0
	v_fma_f64 v[88:89], v[88:89], v[90:91], v[88:89]
	v_fma_f64 v[90:91], -v[86:87], v[88:89], 1.0
	v_fma_f64 v[88:89], v[88:89], v[90:91], v[88:89]
	v_mul_f64 v[90:91], v[92:93], v[88:89]
	v_fma_f64 v[86:87], -v[86:87], v[90:91], v[92:93]
	v_div_fmas_f64 v[86:87], v[86:87], v[88:89], v[90:91]
	v_div_fixup_f64 v[88:89], v[86:87], v[82:83], v[84:85]
	v_fma_f64 v[82:83], v[84:85], v[88:89], v[82:83]
	v_div_scale_f64 v[84:85], null, v[82:83], v[82:83], 1.0
	v_rcp_f64_e32 v[86:87], v[84:85]
	v_fma_f64 v[90:91], -v[84:85], v[86:87], 1.0
	v_fma_f64 v[86:87], v[86:87], v[90:91], v[86:87]
	v_fma_f64 v[90:91], -v[84:85], v[86:87], 1.0
	v_fma_f64 v[86:87], v[86:87], v[90:91], v[86:87]
	v_div_scale_f64 v[90:91], vcc_lo, 1.0, v[82:83], 1.0
	v_mul_f64 v[92:93], v[90:91], v[86:87]
	v_fma_f64 v[84:85], -v[84:85], v[92:93], v[90:91]
	v_div_fmas_f64 v[84:85], v[84:85], v[86:87], v[92:93]
	v_div_fixup_f64 v[86:87], v[84:85], v[82:83], 1.0
	v_mul_f64 v[88:89], v[88:89], -v[86:87]
.LBB39_7:
	s_or_b32 exec_lo, exec_lo, s2
	ds_write2_b64 v1, v[86:87], v[88:89] offset1:1
.LBB39_8:
	s_or_b32 exec_lo, exec_lo, s3
	s_waitcnt vmcnt(0) lgkmcnt(0)
	s_barrier
	buffer_gl0_inv
	ds_read2_b64 v[82:85], v1 offset1:1
	s_and_saveexec_b32 s2, s1
	s_cbranch_execz .LBB39_10
; %bb.9:
	s_waitcnt lgkmcnt(0)
	v_mul_f64 v[86:87], v[82:83], v[8:9]
	v_mul_f64 v[106:107], v[84:85], v[8:9]
	v_fma_f64 v[8:9], v[84:85], v[6:7], v[86:87]
	ds_read2_b64 v[86:89], v204 offset0:2 offset1:3
	ds_read2_b64 v[90:93], v204 offset0:4 offset1:5
	;; [unrolled: 1-line block ×5, first 2 shown]
	v_fma_f64 v[6:7], v[82:83], v[6:7], -v[106:107]
	ds_read2_b64 v[106:109], v204 offset0:12 offset1:13
	ds_read2_b64 v[110:113], v204 offset0:14 offset1:15
	;; [unrolled: 1-line block ×3, first 2 shown]
	s_waitcnt lgkmcnt(4)
	v_mul_f64 v[130:131], v[100:101], v[8:9]
	v_mul_f64 v[132:133], v[98:99], v[8:9]
	;; [unrolled: 1-line block ×8, first 2 shown]
	s_waitcnt lgkmcnt(3)
	v_mul_f64 v[134:135], v[104:105], v[8:9]
	v_mul_f64 v[136:137], v[102:103], v[8:9]
	v_fma_f64 v[130:131], v[98:99], v[6:7], -v[130:131]
	v_fma_f64 v[132:133], v[100:101], v[6:7], v[132:133]
	s_waitcnt lgkmcnt(1)
	v_mul_f64 v[98:99], v[112:113], v[8:9]
	v_mul_f64 v[100:101], v[110:111], v[8:9]
	v_fma_f64 v[118:119], v[86:87], v[6:7], -v[118:119]
	v_fma_f64 v[120:121], v[88:89], v[6:7], v[120:121]
	v_fma_f64 v[122:123], v[90:91], v[6:7], -v[122:123]
	v_fma_f64 v[124:125], v[92:93], v[6:7], v[124:125]
	ds_read2_b64 v[86:89], v204 offset0:18 offset1:19
	ds_read2_b64 v[90:93], v204 offset0:20 offset1:21
	v_fma_f64 v[126:127], v[94:95], v[6:7], -v[126:127]
	v_fma_f64 v[128:129], v[96:97], v[6:7], v[128:129]
	v_mul_f64 v[94:95], v[108:109], v[8:9]
	v_mul_f64 v[96:97], v[106:107], v[8:9]
	v_fma_f64 v[102:103], v[102:103], v[6:7], -v[134:135]
	v_fma_f64 v[104:105], v[104:105], v[6:7], v[136:137]
	s_waitcnt lgkmcnt(2)
	v_mul_f64 v[134:135], v[116:117], v[8:9]
	v_mul_f64 v[136:137], v[114:115], v[8:9]
	v_add_f64 v[70:71], v[70:71], -v[130:131]
	v_add_f64 v[72:73], v[72:73], -v[132:133]
	v_fma_f64 v[110:111], v[110:111], v[6:7], -v[98:99]
	v_fma_f64 v[112:113], v[112:113], v[6:7], v[100:101]
	v_add_f64 v[2:3], v[2:3], -v[118:119]
	s_waitcnt lgkmcnt(1)
	v_mul_f64 v[138:139], v[88:89], v[8:9]
	v_mul_f64 v[140:141], v[86:87], v[8:9]
	s_waitcnt lgkmcnt(0)
	v_mul_f64 v[98:99], v[92:93], v[8:9]
	v_mul_f64 v[100:101], v[90:91], v[8:9]
	v_add_f64 v[4:5], v[4:5], -v[120:121]
	v_add_f64 v[78:79], v[78:79], -v[122:123]
	v_fma_f64 v[106:107], v[106:107], v[6:7], -v[94:95]
	v_fma_f64 v[108:109], v[108:109], v[6:7], v[96:97]
	ds_read2_b64 v[94:97], v204 offset0:22 offset1:23
	v_add_f64 v[80:81], v[80:81], -v[124:125]
	v_fma_f64 v[114:115], v[114:115], v[6:7], -v[134:135]
	v_fma_f64 v[116:117], v[116:117], v[6:7], v[136:137]
	v_add_f64 v[66:67], v[66:67], -v[102:103]
	v_add_f64 v[68:69], v[68:69], -v[104:105]
	;; [unrolled: 1-line block ×4, first 2 shown]
	ds_read2_b64 v[102:105], v204 offset0:32 offset1:33
	v_add_f64 v[58:59], v[58:59], -v[110:111]
	v_add_f64 v[60:61], v[60:61], -v[112:113]
	v_fma_f64 v[134:135], v[86:87], v[6:7], -v[138:139]
	v_fma_f64 v[136:137], v[88:89], v[6:7], v[140:141]
	ds_read2_b64 v[86:89], v204 offset0:24 offset1:25
	v_fma_f64 v[138:139], v[90:91], v[6:7], -v[98:99]
	v_fma_f64 v[140:141], v[92:93], v[6:7], v[100:101]
	ds_read2_b64 v[98:101], v204 offset0:30 offset1:31
	s_waitcnt lgkmcnt(3)
	v_mul_f64 v[90:91], v[96:97], v[8:9]
	v_mul_f64 v[92:93], v[94:95], v[8:9]
	v_add_f64 v[62:63], v[62:63], -v[106:107]
	v_add_f64 v[64:65], v[64:65], -v[108:109]
	;; [unrolled: 1-line block ×4, first 2 shown]
	ds_read2_b64 v[106:109], v204 offset0:34 offset1:35
	s_waitcnt lgkmcnt(2)
	v_mul_f64 v[118:119], v[88:89], v[8:9]
	v_mul_f64 v[120:121], v[86:87], v[8:9]
	v_add_f64 v[50:51], v[50:51], -v[134:135]
	s_waitcnt lgkmcnt(1)
	v_mul_f64 v[110:111], v[100:101], v[8:9]
	v_mul_f64 v[112:113], v[98:99], v[8:9]
	v_add_f64 v[52:53], v[52:53], -v[136:137]
	v_fma_f64 v[142:143], v[94:95], v[6:7], -v[90:91]
	v_fma_f64 v[144:145], v[96:97], v[6:7], v[92:93]
	ds_read2_b64 v[90:93], v204 offset0:26 offset1:27
	ds_read2_b64 v[94:97], v204 offset0:28 offset1:29
	v_add_f64 v[46:47], v[46:47], -v[138:139]
	v_add_f64 v[48:49], v[48:49], -v[140:141]
	v_fma_f64 v[114:115], v[86:87], v[6:7], -v[118:119]
	v_fma_f64 v[116:117], v[88:89], v[6:7], v[120:121]
	ds_read2_b64 v[86:89], v204 offset0:36 offset1:37
	v_fma_f64 v[98:99], v[98:99], v[6:7], -v[110:111]
	v_fma_f64 v[100:101], v[100:101], v[6:7], v[112:113]
	s_waitcnt lgkmcnt(2)
	v_mul_f64 v[122:123], v[92:93], v[8:9]
	v_mul_f64 v[124:125], v[90:91], v[8:9]
	s_waitcnt lgkmcnt(1)
	v_mul_f64 v[126:127], v[96:97], v[8:9]
	v_mul_f64 v[128:129], v[94:95], v[8:9]
	v_add_f64 v[42:43], v[42:43], -v[142:143]
	v_add_f64 v[44:45], v[44:45], -v[144:145]
	s_waitcnt lgkmcnt(0)
	v_mul_f64 v[110:111], v[88:89], v[8:9]
	v_mul_f64 v[112:113], v[86:87], v[8:9]
	v_add_f64 v[38:39], v[38:39], -v[114:115]
	v_add_f64 v[40:41], v[40:41], -v[116:117]
	;; [unrolled: 1-line block ×4, first 2 shown]
	v_fma_f64 v[118:119], v[90:91], v[6:7], -v[122:123]
	v_fma_f64 v[120:121], v[92:93], v[6:7], v[124:125]
	v_mul_f64 v[122:123], v[104:105], v[8:9]
	v_mul_f64 v[124:125], v[102:103], v[8:9]
	ds_read2_b64 v[90:93], v204 offset0:38 offset1:39
	v_fma_f64 v[94:95], v[94:95], v[6:7], -v[126:127]
	v_fma_f64 v[96:97], v[96:97], v[6:7], v[128:129]
	v_mul_f64 v[126:127], v[108:109], v[8:9]
	v_mul_f64 v[128:129], v[106:107], v[8:9]
	v_fma_f64 v[86:87], v[86:87], v[6:7], -v[110:111]
	v_fma_f64 v[88:89], v[88:89], v[6:7], v[112:113]
	v_add_f64 v[34:35], v[34:35], -v[118:119]
	v_add_f64 v[36:37], v[36:37], -v[120:121]
	v_fma_f64 v[102:103], v[102:103], v[6:7], -v[122:123]
	v_fma_f64 v[104:105], v[104:105], v[6:7], v[124:125]
	s_waitcnt lgkmcnt(0)
	v_mul_f64 v[122:123], v[92:93], v[8:9]
	v_mul_f64 v[124:125], v[90:91], v[8:9]
	v_add_f64 v[30:31], v[30:31], -v[94:95]
	v_fma_f64 v[106:107], v[106:107], v[6:7], -v[126:127]
	v_fma_f64 v[108:109], v[108:109], v[6:7], v[128:129]
	v_add_f64 v[32:33], v[32:33], -v[96:97]
	v_add_f64 v[14:15], v[14:15], -v[86:87]
	;; [unrolled: 1-line block ×5, first 2 shown]
	v_fma_f64 v[90:91], v[90:91], v[6:7], -v[122:123]
	v_fma_f64 v[92:93], v[92:93], v[6:7], v[124:125]
	v_add_f64 v[18:19], v[18:19], -v[106:107]
	v_add_f64 v[20:21], v[20:21], -v[108:109]
	;; [unrolled: 1-line block ×4, first 2 shown]
.LBB39_10:
	s_or_b32 exec_lo, exec_lo, s2
	s_mov_b32 s2, exec_lo
	s_waitcnt lgkmcnt(0)
	s_barrier
	buffer_gl0_inv
	v_cmpx_eq_u32_e32 1, v0
	s_cbranch_execz .LBB39_17
; %bb.11:
	ds_write2_b64 v1, v[2:3], v[4:5] offset1:1
	ds_write2_b64 v204, v[78:79], v[80:81] offset0:4 offset1:5
	ds_write2_b64 v204, v[74:75], v[76:77] offset0:6 offset1:7
	;; [unrolled: 1-line block ×18, first 2 shown]
	ds_read2_b64 v[86:89], v1 offset1:1
	s_waitcnt lgkmcnt(0)
	v_cmp_neq_f64_e32 vcc_lo, 0, v[86:87]
	v_cmp_neq_f64_e64 s1, 0, v[88:89]
	s_or_b32 s1, vcc_lo, s1
	s_and_b32 exec_lo, exec_lo, s1
	s_cbranch_execz .LBB39_17
; %bb.12:
	v_cmp_ngt_f64_e64 s1, |v[86:87]|, |v[88:89]|
                                        ; implicit-def: $vgpr90_vgpr91
	s_and_saveexec_b32 s3, s1
	s_xor_b32 s1, exec_lo, s3
                                        ; implicit-def: $vgpr92_vgpr93
	s_cbranch_execz .LBB39_14
; %bb.13:
	v_div_scale_f64 v[90:91], null, v[88:89], v[88:89], v[86:87]
	v_div_scale_f64 v[96:97], vcc_lo, v[86:87], v[88:89], v[86:87]
	v_rcp_f64_e32 v[92:93], v[90:91]
	v_fma_f64 v[94:95], -v[90:91], v[92:93], 1.0
	v_fma_f64 v[92:93], v[92:93], v[94:95], v[92:93]
	v_fma_f64 v[94:95], -v[90:91], v[92:93], 1.0
	v_fma_f64 v[92:93], v[92:93], v[94:95], v[92:93]
	v_mul_f64 v[94:95], v[96:97], v[92:93]
	v_fma_f64 v[90:91], -v[90:91], v[94:95], v[96:97]
	v_div_fmas_f64 v[90:91], v[90:91], v[92:93], v[94:95]
	v_div_fixup_f64 v[90:91], v[90:91], v[88:89], v[86:87]
	v_fma_f64 v[86:87], v[86:87], v[90:91], v[88:89]
	v_div_scale_f64 v[88:89], null, v[86:87], v[86:87], 1.0
	v_rcp_f64_e32 v[92:93], v[88:89]
	v_fma_f64 v[94:95], -v[88:89], v[92:93], 1.0
	v_fma_f64 v[92:93], v[92:93], v[94:95], v[92:93]
	v_fma_f64 v[94:95], -v[88:89], v[92:93], 1.0
	v_fma_f64 v[92:93], v[92:93], v[94:95], v[92:93]
	v_div_scale_f64 v[94:95], vcc_lo, 1.0, v[86:87], 1.0
	v_mul_f64 v[96:97], v[94:95], v[92:93]
	v_fma_f64 v[88:89], -v[88:89], v[96:97], v[94:95]
	v_div_fmas_f64 v[88:89], v[88:89], v[92:93], v[96:97]
	v_div_fixup_f64 v[92:93], v[88:89], v[86:87], 1.0
                                        ; implicit-def: $vgpr86_vgpr87
	v_mul_f64 v[90:91], v[90:91], v[92:93]
	v_xor_b32_e32 v93, 0x80000000, v93
.LBB39_14:
	s_andn2_saveexec_b32 s1, s1
	s_cbranch_execz .LBB39_16
; %bb.15:
	v_div_scale_f64 v[90:91], null, v[86:87], v[86:87], v[88:89]
	v_div_scale_f64 v[96:97], vcc_lo, v[88:89], v[86:87], v[88:89]
	v_rcp_f64_e32 v[92:93], v[90:91]
	v_fma_f64 v[94:95], -v[90:91], v[92:93], 1.0
	v_fma_f64 v[92:93], v[92:93], v[94:95], v[92:93]
	v_fma_f64 v[94:95], -v[90:91], v[92:93], 1.0
	v_fma_f64 v[92:93], v[92:93], v[94:95], v[92:93]
	v_mul_f64 v[94:95], v[96:97], v[92:93]
	v_fma_f64 v[90:91], -v[90:91], v[94:95], v[96:97]
	v_div_fmas_f64 v[90:91], v[90:91], v[92:93], v[94:95]
	v_div_fixup_f64 v[92:93], v[90:91], v[86:87], v[88:89]
	v_fma_f64 v[86:87], v[88:89], v[92:93], v[86:87]
	v_div_scale_f64 v[88:89], null, v[86:87], v[86:87], 1.0
	v_rcp_f64_e32 v[90:91], v[88:89]
	v_fma_f64 v[94:95], -v[88:89], v[90:91], 1.0
	v_fma_f64 v[90:91], v[90:91], v[94:95], v[90:91]
	v_fma_f64 v[94:95], -v[88:89], v[90:91], 1.0
	v_fma_f64 v[90:91], v[90:91], v[94:95], v[90:91]
	v_div_scale_f64 v[94:95], vcc_lo, 1.0, v[86:87], 1.0
	v_mul_f64 v[96:97], v[94:95], v[90:91]
	v_fma_f64 v[88:89], -v[88:89], v[96:97], v[94:95]
	v_div_fmas_f64 v[88:89], v[88:89], v[90:91], v[96:97]
	v_div_fixup_f64 v[90:91], v[88:89], v[86:87], 1.0
	v_mul_f64 v[92:93], v[92:93], -v[90:91]
.LBB39_16:
	s_or_b32 exec_lo, exec_lo, s1
	ds_write2_b64 v1, v[90:91], v[92:93] offset1:1
.LBB39_17:
	s_or_b32 exec_lo, exec_lo, s2
	s_waitcnt lgkmcnt(0)
	s_barrier
	buffer_gl0_inv
	ds_read2_b64 v[86:89], v1 offset1:1
	s_mov_b32 s1, exec_lo
	v_cmpx_lt_u32_e32 1, v0
	s_cbranch_execz .LBB39_19
; %bb.18:
	s_waitcnt lgkmcnt(0)
	v_mul_f64 v[90:91], v[86:87], v[4:5]
	v_mul_f64 v[126:127], v[88:89], v[4:5]
	v_fma_f64 v[4:5], v[88:89], v[2:3], v[90:91]
	ds_read2_b64 v[90:93], v204 offset0:4 offset1:5
	ds_read2_b64 v[94:97], v204 offset0:6 offset1:7
	ds_read2_b64 v[98:101], v204 offset0:8 offset1:9
	ds_read2_b64 v[102:105], v204 offset0:10 offset1:11
	ds_read2_b64 v[106:109], v204 offset0:12 offset1:13
	ds_read2_b64 v[110:113], v204 offset0:14 offset1:15
	ds_read2_b64 v[114:117], v204 offset0:16 offset1:17
	ds_read2_b64 v[118:121], v204 offset0:18 offset1:19
	ds_read2_b64 v[122:125], v204 offset0:20 offset1:21
	v_fma_f64 v[2:3], v[86:87], v[2:3], -v[126:127]
	ds_read2_b64 v[126:129], v204 offset0:22 offset1:23
	ds_read2_b64 v[130:133], v204 offset0:24 offset1:25
	ds_read2_b64 v[134:137], v204 offset0:26 offset1:27
	ds_read2_b64 v[138:141], v204 offset0:28 offset1:29
	ds_read2_b64 v[142:145], v204 offset0:30 offset1:31
	ds_read2_b64 v[146:149], v204 offset0:32 offset1:33
	ds_read2_b64 v[150:153], v204 offset0:34 offset1:35
	ds_read2_b64 v[154:157], v204 offset0:36 offset1:37
	ds_read2_b64 v[158:161], v204 offset0:38 offset1:39
	s_waitcnt lgkmcnt(17)
	v_mul_f64 v[205:206], v[92:93], v[4:5]
	v_mul_f64 v[207:208], v[90:91], v[4:5]
	s_waitcnt lgkmcnt(16)
	v_mul_f64 v[209:210], v[96:97], v[4:5]
	v_mul_f64 v[211:212], v[94:95], v[4:5]
	;; [unrolled: 3-line block ×6, first 2 shown]
	s_waitcnt lgkmcnt(11)
	v_mul_f64 v[229:230], v[116:117], v[4:5]
	v_fma_f64 v[90:91], v[90:91], v[2:3], -v[205:206]
	v_fma_f64 v[92:93], v[92:93], v[2:3], v[207:208]
	v_mul_f64 v[205:206], v[114:115], v[4:5]
	s_waitcnt lgkmcnt(10)
	v_mul_f64 v[207:208], v[120:121], v[4:5]
	v_fma_f64 v[94:95], v[94:95], v[2:3], -v[209:210]
	v_fma_f64 v[96:97], v[96:97], v[2:3], v[211:212]
	v_mul_f64 v[209:210], v[118:119], v[4:5]
	v_fma_f64 v[98:99], v[98:99], v[2:3], -v[213:214]
	v_fma_f64 v[100:101], v[100:101], v[2:3], v[215:216]
	v_fma_f64 v[102:103], v[102:103], v[2:3], -v[217:218]
	s_waitcnt lgkmcnt(9)
	v_mul_f64 v[211:212], v[124:125], v[4:5]
	v_mul_f64 v[213:214], v[122:123], v[4:5]
	s_waitcnt lgkmcnt(8)
	v_mul_f64 v[215:216], v[128:129], v[4:5]
	v_fma_f64 v[104:105], v[104:105], v[2:3], v[219:220]
	v_mul_f64 v[217:218], v[126:127], v[4:5]
	s_waitcnt lgkmcnt(7)
	v_mul_f64 v[219:220], v[132:133], v[4:5]
	v_fma_f64 v[106:107], v[106:107], v[2:3], -v[221:222]
	v_fma_f64 v[108:109], v[108:109], v[2:3], v[223:224]
	v_mul_f64 v[221:222], v[130:131], v[4:5]
	s_waitcnt lgkmcnt(6)
	v_mul_f64 v[223:224], v[136:137], v[4:5]
	v_fma_f64 v[110:111], v[110:111], v[2:3], -v[225:226]
	v_fma_f64 v[112:113], v[112:113], v[2:3], v[227:228]
	v_mul_f64 v[225:226], v[134:135], v[4:5]
	s_waitcnt lgkmcnt(5)
	v_mul_f64 v[227:228], v[140:141], v[4:5]
	v_fma_f64 v[114:115], v[114:115], v[2:3], -v[229:230]
	v_fma_f64 v[116:117], v[116:117], v[2:3], v[205:206]
	v_mul_f64 v[205:206], v[138:139], v[4:5]
	s_waitcnt lgkmcnt(4)
	v_mul_f64 v[229:230], v[144:145], v[4:5]
	v_fma_f64 v[118:119], v[118:119], v[2:3], -v[207:208]
	v_fma_f64 v[120:121], v[120:121], v[2:3], v[209:210]
	v_mul_f64 v[207:208], v[142:143], v[4:5]
	s_waitcnt lgkmcnt(3)
	v_mul_f64 v[209:210], v[148:149], v[4:5]
	v_add_f64 v[78:79], v[78:79], -v[90:91]
	v_mul_f64 v[90:91], v[146:147], v[4:5]
	v_add_f64 v[80:81], v[80:81], -v[92:93]
	s_waitcnt lgkmcnt(2)
	v_mul_f64 v[92:93], v[152:153], v[4:5]
	v_add_f64 v[74:75], v[74:75], -v[94:95]
	v_mul_f64 v[94:95], v[150:151], v[4:5]
	v_add_f64 v[76:77], v[76:77], -v[96:97]
	;; [unrolled: 5-line block ×3, first 2 shown]
	s_waitcnt lgkmcnt(0)
	v_mul_f64 v[100:101], v[160:161], v[4:5]
	v_add_f64 v[66:67], v[66:67], -v[102:103]
	v_mul_f64 v[102:103], v[158:159], v[4:5]
	v_fma_f64 v[122:123], v[122:123], v[2:3], -v[211:212]
	v_add_f64 v[68:69], v[68:69], -v[104:105]
	v_add_f64 v[62:63], v[62:63], -v[106:107]
	;; [unrolled: 1-line block ×7, first 2 shown]
	v_fma_f64 v[104:105], v[124:125], v[2:3], v[213:214]
	v_fma_f64 v[106:107], v[126:127], v[2:3], -v[215:216]
	v_fma_f64 v[108:109], v[128:129], v[2:3], v[217:218]
	v_fma_f64 v[110:111], v[130:131], v[2:3], -v[219:220]
	;; [unrolled: 2-line block ×9, first 2 shown]
	v_fma_f64 v[102:103], v[160:161], v[2:3], v[102:103]
	v_add_f64 v[50:51], v[50:51], -v[118:119]
	v_add_f64 v[52:53], v[52:53], -v[120:121]
	;; [unrolled: 1-line block ×22, first 2 shown]
.LBB39_19:
	s_or_b32 exec_lo, exec_lo, s1
	s_mov_b32 s2, exec_lo
	s_waitcnt lgkmcnt(0)
	s_barrier
	buffer_gl0_inv
	v_cmpx_eq_u32_e32 2, v0
	s_cbranch_execz .LBB39_26
; %bb.20:
	ds_write2_b64 v1, v[78:79], v[80:81] offset1:1
	ds_write2_b64 v204, v[74:75], v[76:77] offset0:6 offset1:7
	ds_write2_b64 v204, v[70:71], v[72:73] offset0:8 offset1:9
	;; [unrolled: 1-line block ×17, first 2 shown]
	ds_read2_b64 v[90:93], v1 offset1:1
	s_waitcnt lgkmcnt(0)
	v_cmp_neq_f64_e32 vcc_lo, 0, v[90:91]
	v_cmp_neq_f64_e64 s1, 0, v[92:93]
	s_or_b32 s1, vcc_lo, s1
	s_and_b32 exec_lo, exec_lo, s1
	s_cbranch_execz .LBB39_26
; %bb.21:
	v_cmp_ngt_f64_e64 s1, |v[90:91]|, |v[92:93]|
                                        ; implicit-def: $vgpr94_vgpr95
	s_and_saveexec_b32 s3, s1
	s_xor_b32 s1, exec_lo, s3
                                        ; implicit-def: $vgpr96_vgpr97
	s_cbranch_execz .LBB39_23
; %bb.22:
	v_div_scale_f64 v[94:95], null, v[92:93], v[92:93], v[90:91]
	v_div_scale_f64 v[100:101], vcc_lo, v[90:91], v[92:93], v[90:91]
	v_rcp_f64_e32 v[96:97], v[94:95]
	v_fma_f64 v[98:99], -v[94:95], v[96:97], 1.0
	v_fma_f64 v[96:97], v[96:97], v[98:99], v[96:97]
	v_fma_f64 v[98:99], -v[94:95], v[96:97], 1.0
	v_fma_f64 v[96:97], v[96:97], v[98:99], v[96:97]
	v_mul_f64 v[98:99], v[100:101], v[96:97]
	v_fma_f64 v[94:95], -v[94:95], v[98:99], v[100:101]
	v_div_fmas_f64 v[94:95], v[94:95], v[96:97], v[98:99]
	v_div_fixup_f64 v[94:95], v[94:95], v[92:93], v[90:91]
	v_fma_f64 v[90:91], v[90:91], v[94:95], v[92:93]
	v_div_scale_f64 v[92:93], null, v[90:91], v[90:91], 1.0
	v_rcp_f64_e32 v[96:97], v[92:93]
	v_fma_f64 v[98:99], -v[92:93], v[96:97], 1.0
	v_fma_f64 v[96:97], v[96:97], v[98:99], v[96:97]
	v_fma_f64 v[98:99], -v[92:93], v[96:97], 1.0
	v_fma_f64 v[96:97], v[96:97], v[98:99], v[96:97]
	v_div_scale_f64 v[98:99], vcc_lo, 1.0, v[90:91], 1.0
	v_mul_f64 v[100:101], v[98:99], v[96:97]
	v_fma_f64 v[92:93], -v[92:93], v[100:101], v[98:99]
	v_div_fmas_f64 v[92:93], v[92:93], v[96:97], v[100:101]
	v_div_fixup_f64 v[96:97], v[92:93], v[90:91], 1.0
                                        ; implicit-def: $vgpr90_vgpr91
	v_mul_f64 v[94:95], v[94:95], v[96:97]
	v_xor_b32_e32 v97, 0x80000000, v97
.LBB39_23:
	s_andn2_saveexec_b32 s1, s1
	s_cbranch_execz .LBB39_25
; %bb.24:
	v_div_scale_f64 v[94:95], null, v[90:91], v[90:91], v[92:93]
	v_div_scale_f64 v[100:101], vcc_lo, v[92:93], v[90:91], v[92:93]
	v_rcp_f64_e32 v[96:97], v[94:95]
	v_fma_f64 v[98:99], -v[94:95], v[96:97], 1.0
	v_fma_f64 v[96:97], v[96:97], v[98:99], v[96:97]
	v_fma_f64 v[98:99], -v[94:95], v[96:97], 1.0
	v_fma_f64 v[96:97], v[96:97], v[98:99], v[96:97]
	v_mul_f64 v[98:99], v[100:101], v[96:97]
	v_fma_f64 v[94:95], -v[94:95], v[98:99], v[100:101]
	v_div_fmas_f64 v[94:95], v[94:95], v[96:97], v[98:99]
	v_div_fixup_f64 v[96:97], v[94:95], v[90:91], v[92:93]
	v_fma_f64 v[90:91], v[92:93], v[96:97], v[90:91]
	v_div_scale_f64 v[92:93], null, v[90:91], v[90:91], 1.0
	v_rcp_f64_e32 v[94:95], v[92:93]
	v_fma_f64 v[98:99], -v[92:93], v[94:95], 1.0
	v_fma_f64 v[94:95], v[94:95], v[98:99], v[94:95]
	v_fma_f64 v[98:99], -v[92:93], v[94:95], 1.0
	v_fma_f64 v[94:95], v[94:95], v[98:99], v[94:95]
	v_div_scale_f64 v[98:99], vcc_lo, 1.0, v[90:91], 1.0
	v_mul_f64 v[100:101], v[98:99], v[94:95]
	v_fma_f64 v[92:93], -v[92:93], v[100:101], v[98:99]
	v_div_fmas_f64 v[92:93], v[92:93], v[94:95], v[100:101]
	v_div_fixup_f64 v[94:95], v[92:93], v[90:91], 1.0
	v_mul_f64 v[96:97], v[96:97], -v[94:95]
.LBB39_25:
	s_or_b32 exec_lo, exec_lo, s1
	ds_write2_b64 v1, v[94:95], v[96:97] offset1:1
.LBB39_26:
	s_or_b32 exec_lo, exec_lo, s2
	s_waitcnt lgkmcnt(0)
	s_barrier
	buffer_gl0_inv
	ds_read2_b64 v[90:93], v1 offset1:1
	s_mov_b32 s1, exec_lo
	v_cmpx_lt_u32_e32 2, v0
	s_cbranch_execz .LBB39_28
; %bb.27:
	s_waitcnt lgkmcnt(0)
	v_mul_f64 v[94:95], v[92:93], v[80:81]
	v_mul_f64 v[80:81], v[90:91], v[80:81]
	ds_read2_b64 v[96:99], v204 offset0:6 offset1:7
	v_fma_f64 v[94:95], v[90:91], v[78:79], -v[94:95]
	v_fma_f64 v[80:81], v[92:93], v[78:79], v[80:81]
	s_waitcnt lgkmcnt(0)
	v_mul_f64 v[78:79], v[98:99], v[80:81]
	v_fma_f64 v[78:79], v[96:97], v[94:95], -v[78:79]
	v_mul_f64 v[96:97], v[96:97], v[80:81]
	v_add_f64 v[74:75], v[74:75], -v[78:79]
	v_fma_f64 v[96:97], v[98:99], v[94:95], v[96:97]
	v_add_f64 v[76:77], v[76:77], -v[96:97]
	ds_read2_b64 v[96:99], v204 offset0:8 offset1:9
	s_waitcnt lgkmcnt(0)
	v_mul_f64 v[78:79], v[98:99], v[80:81]
	v_fma_f64 v[78:79], v[96:97], v[94:95], -v[78:79]
	v_mul_f64 v[96:97], v[96:97], v[80:81]
	v_add_f64 v[70:71], v[70:71], -v[78:79]
	v_fma_f64 v[96:97], v[98:99], v[94:95], v[96:97]
	v_add_f64 v[72:73], v[72:73], -v[96:97]
	ds_read2_b64 v[96:99], v204 offset0:10 offset1:11
	;; [unrolled: 8-line block ×16, first 2 shown]
	s_waitcnt lgkmcnt(0)
	v_mul_f64 v[78:79], v[98:99], v[80:81]
	v_fma_f64 v[78:79], v[96:97], v[94:95], -v[78:79]
	v_mul_f64 v[96:97], v[96:97], v[80:81]
	v_add_f64 v[10:11], v[10:11], -v[78:79]
	v_fma_f64 v[96:97], v[98:99], v[94:95], v[96:97]
	v_mov_b32_e32 v78, v94
	v_mov_b32_e32 v79, v95
	v_add_f64 v[12:13], v[12:13], -v[96:97]
.LBB39_28:
	s_or_b32 exec_lo, exec_lo, s1
	s_mov_b32 s2, exec_lo
	s_waitcnt lgkmcnt(0)
	s_barrier
	buffer_gl0_inv
	v_cmpx_eq_u32_e32 3, v0
	s_cbranch_execz .LBB39_35
; %bb.29:
	ds_write2_b64 v1, v[74:75], v[76:77] offset1:1
	ds_write2_b64 v204, v[70:71], v[72:73] offset0:8 offset1:9
	ds_write2_b64 v204, v[66:67], v[68:69] offset0:10 offset1:11
	ds_write2_b64 v204, v[62:63], v[64:65] offset0:12 offset1:13
	ds_write2_b64 v204, v[58:59], v[60:61] offset0:14 offset1:15
	ds_write2_b64 v204, v[54:55], v[56:57] offset0:16 offset1:17
	ds_write2_b64 v204, v[50:51], v[52:53] offset0:18 offset1:19
	ds_write2_b64 v204, v[46:47], v[48:49] offset0:20 offset1:21
	ds_write2_b64 v204, v[42:43], v[44:45] offset0:22 offset1:23
	ds_write2_b64 v204, v[38:39], v[40:41] offset0:24 offset1:25
	ds_write2_b64 v204, v[34:35], v[36:37] offset0:26 offset1:27
	ds_write2_b64 v204, v[30:31], v[32:33] offset0:28 offset1:29
	ds_write2_b64 v204, v[26:27], v[28:29] offset0:30 offset1:31
	ds_write2_b64 v204, v[22:23], v[24:25] offset0:32 offset1:33
	ds_write2_b64 v204, v[18:19], v[20:21] offset0:34 offset1:35
	ds_write2_b64 v204, v[14:15], v[16:17] offset0:36 offset1:37
	ds_write2_b64 v204, v[10:11], v[12:13] offset0:38 offset1:39
	ds_read2_b64 v[94:97], v1 offset1:1
	s_waitcnt lgkmcnt(0)
	v_cmp_neq_f64_e32 vcc_lo, 0, v[94:95]
	v_cmp_neq_f64_e64 s1, 0, v[96:97]
	s_or_b32 s1, vcc_lo, s1
	s_and_b32 exec_lo, exec_lo, s1
	s_cbranch_execz .LBB39_35
; %bb.30:
	v_cmp_ngt_f64_e64 s1, |v[94:95]|, |v[96:97]|
                                        ; implicit-def: $vgpr98_vgpr99
	s_and_saveexec_b32 s3, s1
	s_xor_b32 s1, exec_lo, s3
                                        ; implicit-def: $vgpr100_vgpr101
	s_cbranch_execz .LBB39_32
; %bb.31:
	v_div_scale_f64 v[98:99], null, v[96:97], v[96:97], v[94:95]
	v_div_scale_f64 v[104:105], vcc_lo, v[94:95], v[96:97], v[94:95]
	v_rcp_f64_e32 v[100:101], v[98:99]
	v_fma_f64 v[102:103], -v[98:99], v[100:101], 1.0
	v_fma_f64 v[100:101], v[100:101], v[102:103], v[100:101]
	v_fma_f64 v[102:103], -v[98:99], v[100:101], 1.0
	v_fma_f64 v[100:101], v[100:101], v[102:103], v[100:101]
	v_mul_f64 v[102:103], v[104:105], v[100:101]
	v_fma_f64 v[98:99], -v[98:99], v[102:103], v[104:105]
	v_div_fmas_f64 v[98:99], v[98:99], v[100:101], v[102:103]
	v_div_fixup_f64 v[98:99], v[98:99], v[96:97], v[94:95]
	v_fma_f64 v[94:95], v[94:95], v[98:99], v[96:97]
	v_div_scale_f64 v[96:97], null, v[94:95], v[94:95], 1.0
	v_rcp_f64_e32 v[100:101], v[96:97]
	v_fma_f64 v[102:103], -v[96:97], v[100:101], 1.0
	v_fma_f64 v[100:101], v[100:101], v[102:103], v[100:101]
	v_fma_f64 v[102:103], -v[96:97], v[100:101], 1.0
	v_fma_f64 v[100:101], v[100:101], v[102:103], v[100:101]
	v_div_scale_f64 v[102:103], vcc_lo, 1.0, v[94:95], 1.0
	v_mul_f64 v[104:105], v[102:103], v[100:101]
	v_fma_f64 v[96:97], -v[96:97], v[104:105], v[102:103]
	v_div_fmas_f64 v[96:97], v[96:97], v[100:101], v[104:105]
	v_div_fixup_f64 v[100:101], v[96:97], v[94:95], 1.0
                                        ; implicit-def: $vgpr94_vgpr95
	v_mul_f64 v[98:99], v[98:99], v[100:101]
	v_xor_b32_e32 v101, 0x80000000, v101
.LBB39_32:
	s_andn2_saveexec_b32 s1, s1
	s_cbranch_execz .LBB39_34
; %bb.33:
	v_div_scale_f64 v[98:99], null, v[94:95], v[94:95], v[96:97]
	v_div_scale_f64 v[104:105], vcc_lo, v[96:97], v[94:95], v[96:97]
	v_rcp_f64_e32 v[100:101], v[98:99]
	v_fma_f64 v[102:103], -v[98:99], v[100:101], 1.0
	v_fma_f64 v[100:101], v[100:101], v[102:103], v[100:101]
	v_fma_f64 v[102:103], -v[98:99], v[100:101], 1.0
	v_fma_f64 v[100:101], v[100:101], v[102:103], v[100:101]
	v_mul_f64 v[102:103], v[104:105], v[100:101]
	v_fma_f64 v[98:99], -v[98:99], v[102:103], v[104:105]
	v_div_fmas_f64 v[98:99], v[98:99], v[100:101], v[102:103]
	v_div_fixup_f64 v[100:101], v[98:99], v[94:95], v[96:97]
	v_fma_f64 v[94:95], v[96:97], v[100:101], v[94:95]
	v_div_scale_f64 v[96:97], null, v[94:95], v[94:95], 1.0
	v_rcp_f64_e32 v[98:99], v[96:97]
	v_fma_f64 v[102:103], -v[96:97], v[98:99], 1.0
	v_fma_f64 v[98:99], v[98:99], v[102:103], v[98:99]
	v_fma_f64 v[102:103], -v[96:97], v[98:99], 1.0
	v_fma_f64 v[98:99], v[98:99], v[102:103], v[98:99]
	v_div_scale_f64 v[102:103], vcc_lo, 1.0, v[94:95], 1.0
	v_mul_f64 v[104:105], v[102:103], v[98:99]
	v_fma_f64 v[96:97], -v[96:97], v[104:105], v[102:103]
	v_div_fmas_f64 v[96:97], v[96:97], v[98:99], v[104:105]
	v_div_fixup_f64 v[98:99], v[96:97], v[94:95], 1.0
	v_mul_f64 v[100:101], v[100:101], -v[98:99]
.LBB39_34:
	s_or_b32 exec_lo, exec_lo, s1
	ds_write2_b64 v1, v[98:99], v[100:101] offset1:1
.LBB39_35:
	s_or_b32 exec_lo, exec_lo, s2
	s_waitcnt lgkmcnt(0)
	s_barrier
	buffer_gl0_inv
	ds_read2_b64 v[94:97], v1 offset1:1
	s_mov_b32 s1, exec_lo
	v_cmpx_lt_u32_e32 3, v0
	s_cbranch_execz .LBB39_37
; %bb.36:
	s_waitcnt lgkmcnt(0)
	v_mul_f64 v[98:99], v[94:95], v[76:77]
	v_mul_f64 v[76:77], v[96:97], v[76:77]
	ds_read2_b64 v[100:103], v204 offset0:8 offset1:9
	v_fma_f64 v[98:99], v[96:97], v[74:75], v[98:99]
	v_fma_f64 v[74:75], v[94:95], v[74:75], -v[76:77]
	s_waitcnt lgkmcnt(0)
	v_mul_f64 v[76:77], v[102:103], v[98:99]
	v_fma_f64 v[76:77], v[100:101], v[74:75], -v[76:77]
	v_mul_f64 v[100:101], v[100:101], v[98:99]
	v_add_f64 v[70:71], v[70:71], -v[76:77]
	v_fma_f64 v[100:101], v[102:103], v[74:75], v[100:101]
	v_add_f64 v[72:73], v[72:73], -v[100:101]
	ds_read2_b64 v[100:103], v204 offset0:10 offset1:11
	s_waitcnt lgkmcnt(0)
	v_mul_f64 v[76:77], v[102:103], v[98:99]
	v_fma_f64 v[76:77], v[100:101], v[74:75], -v[76:77]
	v_mul_f64 v[100:101], v[100:101], v[98:99]
	v_add_f64 v[66:67], v[66:67], -v[76:77]
	v_fma_f64 v[100:101], v[102:103], v[74:75], v[100:101]
	v_add_f64 v[68:69], v[68:69], -v[100:101]
	ds_read2_b64 v[100:103], v204 offset0:12 offset1:13
	;; [unrolled: 8-line block ×15, first 2 shown]
	s_waitcnt lgkmcnt(0)
	v_mul_f64 v[76:77], v[102:103], v[98:99]
	v_fma_f64 v[76:77], v[100:101], v[74:75], -v[76:77]
	v_mul_f64 v[100:101], v[100:101], v[98:99]
	v_add_f64 v[10:11], v[10:11], -v[76:77]
	v_fma_f64 v[100:101], v[102:103], v[74:75], v[100:101]
	v_mov_b32_e32 v76, v98
	v_mov_b32_e32 v77, v99
	v_add_f64 v[12:13], v[12:13], -v[100:101]
.LBB39_37:
	s_or_b32 exec_lo, exec_lo, s1
	s_mov_b32 s2, exec_lo
	s_waitcnt lgkmcnt(0)
	s_barrier
	buffer_gl0_inv
	v_cmpx_eq_u32_e32 4, v0
	s_cbranch_execz .LBB39_44
; %bb.38:
	ds_write2_b64 v1, v[70:71], v[72:73] offset1:1
	ds_write2_b64 v204, v[66:67], v[68:69] offset0:10 offset1:11
	ds_write2_b64 v204, v[62:63], v[64:65] offset0:12 offset1:13
	;; [unrolled: 1-line block ×15, first 2 shown]
	ds_read2_b64 v[98:101], v1 offset1:1
	s_waitcnt lgkmcnt(0)
	v_cmp_neq_f64_e32 vcc_lo, 0, v[98:99]
	v_cmp_neq_f64_e64 s1, 0, v[100:101]
	s_or_b32 s1, vcc_lo, s1
	s_and_b32 exec_lo, exec_lo, s1
	s_cbranch_execz .LBB39_44
; %bb.39:
	v_cmp_ngt_f64_e64 s1, |v[98:99]|, |v[100:101]|
                                        ; implicit-def: $vgpr102_vgpr103
	s_and_saveexec_b32 s3, s1
	s_xor_b32 s1, exec_lo, s3
                                        ; implicit-def: $vgpr104_vgpr105
	s_cbranch_execz .LBB39_41
; %bb.40:
	v_div_scale_f64 v[102:103], null, v[100:101], v[100:101], v[98:99]
	v_div_scale_f64 v[108:109], vcc_lo, v[98:99], v[100:101], v[98:99]
	v_rcp_f64_e32 v[104:105], v[102:103]
	v_fma_f64 v[106:107], -v[102:103], v[104:105], 1.0
	v_fma_f64 v[104:105], v[104:105], v[106:107], v[104:105]
	v_fma_f64 v[106:107], -v[102:103], v[104:105], 1.0
	v_fma_f64 v[104:105], v[104:105], v[106:107], v[104:105]
	v_mul_f64 v[106:107], v[108:109], v[104:105]
	v_fma_f64 v[102:103], -v[102:103], v[106:107], v[108:109]
	v_div_fmas_f64 v[102:103], v[102:103], v[104:105], v[106:107]
	v_div_fixup_f64 v[102:103], v[102:103], v[100:101], v[98:99]
	v_fma_f64 v[98:99], v[98:99], v[102:103], v[100:101]
	v_div_scale_f64 v[100:101], null, v[98:99], v[98:99], 1.0
	v_rcp_f64_e32 v[104:105], v[100:101]
	v_fma_f64 v[106:107], -v[100:101], v[104:105], 1.0
	v_fma_f64 v[104:105], v[104:105], v[106:107], v[104:105]
	v_fma_f64 v[106:107], -v[100:101], v[104:105], 1.0
	v_fma_f64 v[104:105], v[104:105], v[106:107], v[104:105]
	v_div_scale_f64 v[106:107], vcc_lo, 1.0, v[98:99], 1.0
	v_mul_f64 v[108:109], v[106:107], v[104:105]
	v_fma_f64 v[100:101], -v[100:101], v[108:109], v[106:107]
	v_div_fmas_f64 v[100:101], v[100:101], v[104:105], v[108:109]
	v_div_fixup_f64 v[104:105], v[100:101], v[98:99], 1.0
                                        ; implicit-def: $vgpr98_vgpr99
	v_mul_f64 v[102:103], v[102:103], v[104:105]
	v_xor_b32_e32 v105, 0x80000000, v105
.LBB39_41:
	s_andn2_saveexec_b32 s1, s1
	s_cbranch_execz .LBB39_43
; %bb.42:
	v_div_scale_f64 v[102:103], null, v[98:99], v[98:99], v[100:101]
	v_div_scale_f64 v[108:109], vcc_lo, v[100:101], v[98:99], v[100:101]
	v_rcp_f64_e32 v[104:105], v[102:103]
	v_fma_f64 v[106:107], -v[102:103], v[104:105], 1.0
	v_fma_f64 v[104:105], v[104:105], v[106:107], v[104:105]
	v_fma_f64 v[106:107], -v[102:103], v[104:105], 1.0
	v_fma_f64 v[104:105], v[104:105], v[106:107], v[104:105]
	v_mul_f64 v[106:107], v[108:109], v[104:105]
	v_fma_f64 v[102:103], -v[102:103], v[106:107], v[108:109]
	v_div_fmas_f64 v[102:103], v[102:103], v[104:105], v[106:107]
	v_div_fixup_f64 v[104:105], v[102:103], v[98:99], v[100:101]
	v_fma_f64 v[98:99], v[100:101], v[104:105], v[98:99]
	v_div_scale_f64 v[100:101], null, v[98:99], v[98:99], 1.0
	v_rcp_f64_e32 v[102:103], v[100:101]
	v_fma_f64 v[106:107], -v[100:101], v[102:103], 1.0
	v_fma_f64 v[102:103], v[102:103], v[106:107], v[102:103]
	v_fma_f64 v[106:107], -v[100:101], v[102:103], 1.0
	v_fma_f64 v[102:103], v[102:103], v[106:107], v[102:103]
	v_div_scale_f64 v[106:107], vcc_lo, 1.0, v[98:99], 1.0
	v_mul_f64 v[108:109], v[106:107], v[102:103]
	v_fma_f64 v[100:101], -v[100:101], v[108:109], v[106:107]
	v_div_fmas_f64 v[100:101], v[100:101], v[102:103], v[108:109]
	v_div_fixup_f64 v[102:103], v[100:101], v[98:99], 1.0
	v_mul_f64 v[104:105], v[104:105], -v[102:103]
.LBB39_43:
	s_or_b32 exec_lo, exec_lo, s1
	ds_write2_b64 v1, v[102:103], v[104:105] offset1:1
.LBB39_44:
	s_or_b32 exec_lo, exec_lo, s2
	s_waitcnt lgkmcnt(0)
	s_barrier
	buffer_gl0_inv
	ds_read2_b64 v[98:101], v1 offset1:1
	s_mov_b32 s1, exec_lo
	v_cmpx_lt_u32_e32 4, v0
	s_cbranch_execz .LBB39_46
; %bb.45:
	s_waitcnt lgkmcnt(0)
	v_mul_f64 v[102:103], v[98:99], v[72:73]
	v_mul_f64 v[72:73], v[100:101], v[72:73]
	ds_read2_b64 v[104:107], v204 offset0:10 offset1:11
	v_fma_f64 v[102:103], v[100:101], v[70:71], v[102:103]
	v_fma_f64 v[70:71], v[98:99], v[70:71], -v[72:73]
	s_waitcnt lgkmcnt(0)
	v_mul_f64 v[72:73], v[106:107], v[102:103]
	v_fma_f64 v[72:73], v[104:105], v[70:71], -v[72:73]
	v_mul_f64 v[104:105], v[104:105], v[102:103]
	v_add_f64 v[66:67], v[66:67], -v[72:73]
	v_fma_f64 v[104:105], v[106:107], v[70:71], v[104:105]
	v_add_f64 v[68:69], v[68:69], -v[104:105]
	ds_read2_b64 v[104:107], v204 offset0:12 offset1:13
	s_waitcnt lgkmcnt(0)
	v_mul_f64 v[72:73], v[106:107], v[102:103]
	v_fma_f64 v[72:73], v[104:105], v[70:71], -v[72:73]
	v_mul_f64 v[104:105], v[104:105], v[102:103]
	v_add_f64 v[62:63], v[62:63], -v[72:73]
	v_fma_f64 v[104:105], v[106:107], v[70:71], v[104:105]
	v_add_f64 v[64:65], v[64:65], -v[104:105]
	ds_read2_b64 v[104:107], v204 offset0:14 offset1:15
	;; [unrolled: 8-line block ×14, first 2 shown]
	s_waitcnt lgkmcnt(0)
	v_mul_f64 v[72:73], v[106:107], v[102:103]
	v_fma_f64 v[72:73], v[104:105], v[70:71], -v[72:73]
	v_mul_f64 v[104:105], v[104:105], v[102:103]
	v_add_f64 v[10:11], v[10:11], -v[72:73]
	v_fma_f64 v[104:105], v[106:107], v[70:71], v[104:105]
	v_mov_b32_e32 v72, v102
	v_mov_b32_e32 v73, v103
	v_add_f64 v[12:13], v[12:13], -v[104:105]
.LBB39_46:
	s_or_b32 exec_lo, exec_lo, s1
	s_mov_b32 s2, exec_lo
	s_waitcnt lgkmcnt(0)
	s_barrier
	buffer_gl0_inv
	v_cmpx_eq_u32_e32 5, v0
	s_cbranch_execz .LBB39_53
; %bb.47:
	ds_write2_b64 v1, v[66:67], v[68:69] offset1:1
	ds_write2_b64 v204, v[62:63], v[64:65] offset0:12 offset1:13
	ds_write2_b64 v204, v[58:59], v[60:61] offset0:14 offset1:15
	;; [unrolled: 1-line block ×14, first 2 shown]
	ds_read2_b64 v[102:105], v1 offset1:1
	s_waitcnt lgkmcnt(0)
	v_cmp_neq_f64_e32 vcc_lo, 0, v[102:103]
	v_cmp_neq_f64_e64 s1, 0, v[104:105]
	s_or_b32 s1, vcc_lo, s1
	s_and_b32 exec_lo, exec_lo, s1
	s_cbranch_execz .LBB39_53
; %bb.48:
	v_cmp_ngt_f64_e64 s1, |v[102:103]|, |v[104:105]|
                                        ; implicit-def: $vgpr106_vgpr107
	s_and_saveexec_b32 s3, s1
	s_xor_b32 s1, exec_lo, s3
                                        ; implicit-def: $vgpr108_vgpr109
	s_cbranch_execz .LBB39_50
; %bb.49:
	v_div_scale_f64 v[106:107], null, v[104:105], v[104:105], v[102:103]
	v_div_scale_f64 v[112:113], vcc_lo, v[102:103], v[104:105], v[102:103]
	v_rcp_f64_e32 v[108:109], v[106:107]
	v_fma_f64 v[110:111], -v[106:107], v[108:109], 1.0
	v_fma_f64 v[108:109], v[108:109], v[110:111], v[108:109]
	v_fma_f64 v[110:111], -v[106:107], v[108:109], 1.0
	v_fma_f64 v[108:109], v[108:109], v[110:111], v[108:109]
	v_mul_f64 v[110:111], v[112:113], v[108:109]
	v_fma_f64 v[106:107], -v[106:107], v[110:111], v[112:113]
	v_div_fmas_f64 v[106:107], v[106:107], v[108:109], v[110:111]
	v_div_fixup_f64 v[106:107], v[106:107], v[104:105], v[102:103]
	v_fma_f64 v[102:103], v[102:103], v[106:107], v[104:105]
	v_div_scale_f64 v[104:105], null, v[102:103], v[102:103], 1.0
	v_rcp_f64_e32 v[108:109], v[104:105]
	v_fma_f64 v[110:111], -v[104:105], v[108:109], 1.0
	v_fma_f64 v[108:109], v[108:109], v[110:111], v[108:109]
	v_fma_f64 v[110:111], -v[104:105], v[108:109], 1.0
	v_fma_f64 v[108:109], v[108:109], v[110:111], v[108:109]
	v_div_scale_f64 v[110:111], vcc_lo, 1.0, v[102:103], 1.0
	v_mul_f64 v[112:113], v[110:111], v[108:109]
	v_fma_f64 v[104:105], -v[104:105], v[112:113], v[110:111]
	v_div_fmas_f64 v[104:105], v[104:105], v[108:109], v[112:113]
	v_div_fixup_f64 v[108:109], v[104:105], v[102:103], 1.0
                                        ; implicit-def: $vgpr102_vgpr103
	v_mul_f64 v[106:107], v[106:107], v[108:109]
	v_xor_b32_e32 v109, 0x80000000, v109
.LBB39_50:
	s_andn2_saveexec_b32 s1, s1
	s_cbranch_execz .LBB39_52
; %bb.51:
	v_div_scale_f64 v[106:107], null, v[102:103], v[102:103], v[104:105]
	v_div_scale_f64 v[112:113], vcc_lo, v[104:105], v[102:103], v[104:105]
	v_rcp_f64_e32 v[108:109], v[106:107]
	v_fma_f64 v[110:111], -v[106:107], v[108:109], 1.0
	v_fma_f64 v[108:109], v[108:109], v[110:111], v[108:109]
	v_fma_f64 v[110:111], -v[106:107], v[108:109], 1.0
	v_fma_f64 v[108:109], v[108:109], v[110:111], v[108:109]
	v_mul_f64 v[110:111], v[112:113], v[108:109]
	v_fma_f64 v[106:107], -v[106:107], v[110:111], v[112:113]
	v_div_fmas_f64 v[106:107], v[106:107], v[108:109], v[110:111]
	v_div_fixup_f64 v[108:109], v[106:107], v[102:103], v[104:105]
	v_fma_f64 v[102:103], v[104:105], v[108:109], v[102:103]
	v_div_scale_f64 v[104:105], null, v[102:103], v[102:103], 1.0
	v_rcp_f64_e32 v[106:107], v[104:105]
	v_fma_f64 v[110:111], -v[104:105], v[106:107], 1.0
	v_fma_f64 v[106:107], v[106:107], v[110:111], v[106:107]
	v_fma_f64 v[110:111], -v[104:105], v[106:107], 1.0
	v_fma_f64 v[106:107], v[106:107], v[110:111], v[106:107]
	v_div_scale_f64 v[110:111], vcc_lo, 1.0, v[102:103], 1.0
	v_mul_f64 v[112:113], v[110:111], v[106:107]
	v_fma_f64 v[104:105], -v[104:105], v[112:113], v[110:111]
	v_div_fmas_f64 v[104:105], v[104:105], v[106:107], v[112:113]
	v_div_fixup_f64 v[106:107], v[104:105], v[102:103], 1.0
	v_mul_f64 v[108:109], v[108:109], -v[106:107]
.LBB39_52:
	s_or_b32 exec_lo, exec_lo, s1
	ds_write2_b64 v1, v[106:107], v[108:109] offset1:1
.LBB39_53:
	s_or_b32 exec_lo, exec_lo, s2
	s_waitcnt lgkmcnt(0)
	s_barrier
	buffer_gl0_inv
	ds_read2_b64 v[102:105], v1 offset1:1
	s_mov_b32 s1, exec_lo
	v_cmpx_lt_u32_e32 5, v0
	s_cbranch_execz .LBB39_55
; %bb.54:
	s_waitcnt lgkmcnt(0)
	v_mul_f64 v[106:107], v[102:103], v[68:69]
	v_mul_f64 v[68:69], v[104:105], v[68:69]
	v_fma_f64 v[110:111], v[104:105], v[66:67], v[106:107]
	ds_read2_b64 v[106:109], v204 offset0:12 offset1:13
	v_fma_f64 v[66:67], v[102:103], v[66:67], -v[68:69]
	s_waitcnt lgkmcnt(0)
	v_mul_f64 v[68:69], v[108:109], v[110:111]
	v_fma_f64 v[68:69], v[106:107], v[66:67], -v[68:69]
	v_mul_f64 v[106:107], v[106:107], v[110:111]
	v_add_f64 v[62:63], v[62:63], -v[68:69]
	v_fma_f64 v[106:107], v[108:109], v[66:67], v[106:107]
	v_add_f64 v[64:65], v[64:65], -v[106:107]
	ds_read2_b64 v[106:109], v204 offset0:14 offset1:15
	s_waitcnt lgkmcnt(0)
	v_mul_f64 v[68:69], v[108:109], v[110:111]
	v_fma_f64 v[68:69], v[106:107], v[66:67], -v[68:69]
	v_mul_f64 v[106:107], v[106:107], v[110:111]
	v_add_f64 v[58:59], v[58:59], -v[68:69]
	v_fma_f64 v[106:107], v[108:109], v[66:67], v[106:107]
	v_add_f64 v[60:61], v[60:61], -v[106:107]
	ds_read2_b64 v[106:109], v204 offset0:16 offset1:17
	s_waitcnt lgkmcnt(0)
	v_mul_f64 v[68:69], v[108:109], v[110:111]
	v_fma_f64 v[68:69], v[106:107], v[66:67], -v[68:69]
	v_mul_f64 v[106:107], v[106:107], v[110:111]
	v_add_f64 v[54:55], v[54:55], -v[68:69]
	v_fma_f64 v[106:107], v[108:109], v[66:67], v[106:107]
	v_add_f64 v[56:57], v[56:57], -v[106:107]
	ds_read2_b64 v[106:109], v204 offset0:18 offset1:19
	s_waitcnt lgkmcnt(0)
	v_mul_f64 v[68:69], v[108:109], v[110:111]
	v_fma_f64 v[68:69], v[106:107], v[66:67], -v[68:69]
	v_mul_f64 v[106:107], v[106:107], v[110:111]
	v_add_f64 v[50:51], v[50:51], -v[68:69]
	v_fma_f64 v[106:107], v[108:109], v[66:67], v[106:107]
	v_add_f64 v[52:53], v[52:53], -v[106:107]
	ds_read2_b64 v[106:109], v204 offset0:20 offset1:21
	s_waitcnt lgkmcnt(0)
	v_mul_f64 v[68:69], v[108:109], v[110:111]
	v_fma_f64 v[68:69], v[106:107], v[66:67], -v[68:69]
	v_mul_f64 v[106:107], v[106:107], v[110:111]
	v_add_f64 v[46:47], v[46:47], -v[68:69]
	v_fma_f64 v[106:107], v[108:109], v[66:67], v[106:107]
	v_add_f64 v[48:49], v[48:49], -v[106:107]
	ds_read2_b64 v[106:109], v204 offset0:22 offset1:23
	s_waitcnt lgkmcnt(0)
	v_mul_f64 v[68:69], v[108:109], v[110:111]
	v_fma_f64 v[68:69], v[106:107], v[66:67], -v[68:69]
	v_mul_f64 v[106:107], v[106:107], v[110:111]
	v_add_f64 v[42:43], v[42:43], -v[68:69]
	v_fma_f64 v[106:107], v[108:109], v[66:67], v[106:107]
	v_add_f64 v[44:45], v[44:45], -v[106:107]
	ds_read2_b64 v[106:109], v204 offset0:24 offset1:25
	s_waitcnt lgkmcnt(0)
	v_mul_f64 v[68:69], v[108:109], v[110:111]
	v_fma_f64 v[68:69], v[106:107], v[66:67], -v[68:69]
	v_mul_f64 v[106:107], v[106:107], v[110:111]
	v_add_f64 v[38:39], v[38:39], -v[68:69]
	v_fma_f64 v[106:107], v[108:109], v[66:67], v[106:107]
	v_add_f64 v[40:41], v[40:41], -v[106:107]
	ds_read2_b64 v[106:109], v204 offset0:26 offset1:27
	s_waitcnt lgkmcnt(0)
	v_mul_f64 v[68:69], v[108:109], v[110:111]
	v_fma_f64 v[68:69], v[106:107], v[66:67], -v[68:69]
	v_mul_f64 v[106:107], v[106:107], v[110:111]
	v_add_f64 v[34:35], v[34:35], -v[68:69]
	v_fma_f64 v[106:107], v[108:109], v[66:67], v[106:107]
	v_add_f64 v[36:37], v[36:37], -v[106:107]
	ds_read2_b64 v[106:109], v204 offset0:28 offset1:29
	s_waitcnt lgkmcnt(0)
	v_mul_f64 v[68:69], v[108:109], v[110:111]
	v_fma_f64 v[68:69], v[106:107], v[66:67], -v[68:69]
	v_mul_f64 v[106:107], v[106:107], v[110:111]
	v_add_f64 v[30:31], v[30:31], -v[68:69]
	v_fma_f64 v[106:107], v[108:109], v[66:67], v[106:107]
	v_add_f64 v[32:33], v[32:33], -v[106:107]
	ds_read2_b64 v[106:109], v204 offset0:30 offset1:31
	s_waitcnt lgkmcnt(0)
	v_mul_f64 v[68:69], v[108:109], v[110:111]
	v_fma_f64 v[68:69], v[106:107], v[66:67], -v[68:69]
	v_mul_f64 v[106:107], v[106:107], v[110:111]
	v_add_f64 v[26:27], v[26:27], -v[68:69]
	v_fma_f64 v[106:107], v[108:109], v[66:67], v[106:107]
	v_add_f64 v[28:29], v[28:29], -v[106:107]
	ds_read2_b64 v[106:109], v204 offset0:32 offset1:33
	s_waitcnt lgkmcnt(0)
	v_mul_f64 v[68:69], v[108:109], v[110:111]
	v_fma_f64 v[68:69], v[106:107], v[66:67], -v[68:69]
	v_mul_f64 v[106:107], v[106:107], v[110:111]
	v_add_f64 v[22:23], v[22:23], -v[68:69]
	v_fma_f64 v[106:107], v[108:109], v[66:67], v[106:107]
	v_add_f64 v[24:25], v[24:25], -v[106:107]
	ds_read2_b64 v[106:109], v204 offset0:34 offset1:35
	s_waitcnt lgkmcnt(0)
	v_mul_f64 v[68:69], v[108:109], v[110:111]
	v_fma_f64 v[68:69], v[106:107], v[66:67], -v[68:69]
	v_mul_f64 v[106:107], v[106:107], v[110:111]
	v_add_f64 v[18:19], v[18:19], -v[68:69]
	v_fma_f64 v[106:107], v[108:109], v[66:67], v[106:107]
	v_add_f64 v[20:21], v[20:21], -v[106:107]
	ds_read2_b64 v[106:109], v204 offset0:36 offset1:37
	s_waitcnt lgkmcnt(0)
	v_mul_f64 v[68:69], v[108:109], v[110:111]
	v_fma_f64 v[68:69], v[106:107], v[66:67], -v[68:69]
	v_mul_f64 v[106:107], v[106:107], v[110:111]
	v_add_f64 v[14:15], v[14:15], -v[68:69]
	v_fma_f64 v[106:107], v[108:109], v[66:67], v[106:107]
	v_add_f64 v[16:17], v[16:17], -v[106:107]
	ds_read2_b64 v[106:109], v204 offset0:38 offset1:39
	s_waitcnt lgkmcnt(0)
	v_mul_f64 v[68:69], v[108:109], v[110:111]
	v_fma_f64 v[68:69], v[106:107], v[66:67], -v[68:69]
	v_mul_f64 v[106:107], v[106:107], v[110:111]
	v_add_f64 v[10:11], v[10:11], -v[68:69]
	v_fma_f64 v[106:107], v[108:109], v[66:67], v[106:107]
	v_mov_b32_e32 v68, v110
	v_mov_b32_e32 v69, v111
	v_add_f64 v[12:13], v[12:13], -v[106:107]
.LBB39_55:
	s_or_b32 exec_lo, exec_lo, s1
	s_mov_b32 s2, exec_lo
	s_waitcnt lgkmcnt(0)
	s_barrier
	buffer_gl0_inv
	v_cmpx_eq_u32_e32 6, v0
	s_cbranch_execz .LBB39_62
; %bb.56:
	ds_write2_b64 v1, v[62:63], v[64:65] offset1:1
	ds_write2_b64 v204, v[58:59], v[60:61] offset0:14 offset1:15
	ds_write2_b64 v204, v[54:55], v[56:57] offset0:16 offset1:17
	;; [unrolled: 1-line block ×13, first 2 shown]
	ds_read2_b64 v[106:109], v1 offset1:1
	s_waitcnt lgkmcnt(0)
	v_cmp_neq_f64_e32 vcc_lo, 0, v[106:107]
	v_cmp_neq_f64_e64 s1, 0, v[108:109]
	s_or_b32 s1, vcc_lo, s1
	s_and_b32 exec_lo, exec_lo, s1
	s_cbranch_execz .LBB39_62
; %bb.57:
	v_cmp_ngt_f64_e64 s1, |v[106:107]|, |v[108:109]|
                                        ; implicit-def: $vgpr110_vgpr111
	s_and_saveexec_b32 s3, s1
	s_xor_b32 s1, exec_lo, s3
                                        ; implicit-def: $vgpr112_vgpr113
	s_cbranch_execz .LBB39_59
; %bb.58:
	v_div_scale_f64 v[110:111], null, v[108:109], v[108:109], v[106:107]
	v_div_scale_f64 v[116:117], vcc_lo, v[106:107], v[108:109], v[106:107]
	v_rcp_f64_e32 v[112:113], v[110:111]
	v_fma_f64 v[114:115], -v[110:111], v[112:113], 1.0
	v_fma_f64 v[112:113], v[112:113], v[114:115], v[112:113]
	v_fma_f64 v[114:115], -v[110:111], v[112:113], 1.0
	v_fma_f64 v[112:113], v[112:113], v[114:115], v[112:113]
	v_mul_f64 v[114:115], v[116:117], v[112:113]
	v_fma_f64 v[110:111], -v[110:111], v[114:115], v[116:117]
	v_div_fmas_f64 v[110:111], v[110:111], v[112:113], v[114:115]
	v_div_fixup_f64 v[110:111], v[110:111], v[108:109], v[106:107]
	v_fma_f64 v[106:107], v[106:107], v[110:111], v[108:109]
	v_div_scale_f64 v[108:109], null, v[106:107], v[106:107], 1.0
	v_rcp_f64_e32 v[112:113], v[108:109]
	v_fma_f64 v[114:115], -v[108:109], v[112:113], 1.0
	v_fma_f64 v[112:113], v[112:113], v[114:115], v[112:113]
	v_fma_f64 v[114:115], -v[108:109], v[112:113], 1.0
	v_fma_f64 v[112:113], v[112:113], v[114:115], v[112:113]
	v_div_scale_f64 v[114:115], vcc_lo, 1.0, v[106:107], 1.0
	v_mul_f64 v[116:117], v[114:115], v[112:113]
	v_fma_f64 v[108:109], -v[108:109], v[116:117], v[114:115]
	v_div_fmas_f64 v[108:109], v[108:109], v[112:113], v[116:117]
	v_div_fixup_f64 v[112:113], v[108:109], v[106:107], 1.0
                                        ; implicit-def: $vgpr106_vgpr107
	v_mul_f64 v[110:111], v[110:111], v[112:113]
	v_xor_b32_e32 v113, 0x80000000, v113
.LBB39_59:
	s_andn2_saveexec_b32 s1, s1
	s_cbranch_execz .LBB39_61
; %bb.60:
	v_div_scale_f64 v[110:111], null, v[106:107], v[106:107], v[108:109]
	v_div_scale_f64 v[116:117], vcc_lo, v[108:109], v[106:107], v[108:109]
	v_rcp_f64_e32 v[112:113], v[110:111]
	v_fma_f64 v[114:115], -v[110:111], v[112:113], 1.0
	v_fma_f64 v[112:113], v[112:113], v[114:115], v[112:113]
	v_fma_f64 v[114:115], -v[110:111], v[112:113], 1.0
	v_fma_f64 v[112:113], v[112:113], v[114:115], v[112:113]
	v_mul_f64 v[114:115], v[116:117], v[112:113]
	v_fma_f64 v[110:111], -v[110:111], v[114:115], v[116:117]
	v_div_fmas_f64 v[110:111], v[110:111], v[112:113], v[114:115]
	v_div_fixup_f64 v[112:113], v[110:111], v[106:107], v[108:109]
	v_fma_f64 v[106:107], v[108:109], v[112:113], v[106:107]
	v_div_scale_f64 v[108:109], null, v[106:107], v[106:107], 1.0
	v_rcp_f64_e32 v[110:111], v[108:109]
	v_fma_f64 v[114:115], -v[108:109], v[110:111], 1.0
	v_fma_f64 v[110:111], v[110:111], v[114:115], v[110:111]
	v_fma_f64 v[114:115], -v[108:109], v[110:111], 1.0
	v_fma_f64 v[110:111], v[110:111], v[114:115], v[110:111]
	v_div_scale_f64 v[114:115], vcc_lo, 1.0, v[106:107], 1.0
	v_mul_f64 v[116:117], v[114:115], v[110:111]
	v_fma_f64 v[108:109], -v[108:109], v[116:117], v[114:115]
	v_div_fmas_f64 v[108:109], v[108:109], v[110:111], v[116:117]
	v_div_fixup_f64 v[110:111], v[108:109], v[106:107], 1.0
	v_mul_f64 v[112:113], v[112:113], -v[110:111]
.LBB39_61:
	s_or_b32 exec_lo, exec_lo, s1
	ds_write2_b64 v1, v[110:111], v[112:113] offset1:1
.LBB39_62:
	s_or_b32 exec_lo, exec_lo, s2
	s_waitcnt lgkmcnt(0)
	s_barrier
	buffer_gl0_inv
	ds_read2_b64 v[106:109], v1 offset1:1
	s_mov_b32 s1, exec_lo
	v_cmpx_lt_u32_e32 6, v0
	s_cbranch_execz .LBB39_64
; %bb.63:
	s_waitcnt lgkmcnt(0)
	v_mul_f64 v[110:111], v[106:107], v[64:65]
	v_mul_f64 v[64:65], v[108:109], v[64:65]
	v_fma_f64 v[114:115], v[108:109], v[62:63], v[110:111]
	ds_read2_b64 v[110:113], v204 offset0:14 offset1:15
	v_fma_f64 v[62:63], v[106:107], v[62:63], -v[64:65]
	s_waitcnt lgkmcnt(0)
	v_mul_f64 v[64:65], v[112:113], v[114:115]
	v_fma_f64 v[64:65], v[110:111], v[62:63], -v[64:65]
	v_mul_f64 v[110:111], v[110:111], v[114:115]
	v_add_f64 v[58:59], v[58:59], -v[64:65]
	v_fma_f64 v[110:111], v[112:113], v[62:63], v[110:111]
	v_add_f64 v[60:61], v[60:61], -v[110:111]
	ds_read2_b64 v[110:113], v204 offset0:16 offset1:17
	s_waitcnt lgkmcnt(0)
	v_mul_f64 v[64:65], v[112:113], v[114:115]
	v_fma_f64 v[64:65], v[110:111], v[62:63], -v[64:65]
	v_mul_f64 v[110:111], v[110:111], v[114:115]
	v_add_f64 v[54:55], v[54:55], -v[64:65]
	v_fma_f64 v[110:111], v[112:113], v[62:63], v[110:111]
	v_add_f64 v[56:57], v[56:57], -v[110:111]
	ds_read2_b64 v[110:113], v204 offset0:18 offset1:19
	;; [unrolled: 8-line block ×12, first 2 shown]
	s_waitcnt lgkmcnt(0)
	v_mul_f64 v[64:65], v[112:113], v[114:115]
	v_fma_f64 v[64:65], v[110:111], v[62:63], -v[64:65]
	v_mul_f64 v[110:111], v[110:111], v[114:115]
	v_add_f64 v[10:11], v[10:11], -v[64:65]
	v_fma_f64 v[110:111], v[112:113], v[62:63], v[110:111]
	v_mov_b32_e32 v64, v114
	v_mov_b32_e32 v65, v115
	v_add_f64 v[12:13], v[12:13], -v[110:111]
.LBB39_64:
	s_or_b32 exec_lo, exec_lo, s1
	s_mov_b32 s2, exec_lo
	s_waitcnt lgkmcnt(0)
	s_barrier
	buffer_gl0_inv
	v_cmpx_eq_u32_e32 7, v0
	s_cbranch_execz .LBB39_71
; %bb.65:
	ds_write2_b64 v1, v[58:59], v[60:61] offset1:1
	ds_write2_b64 v204, v[54:55], v[56:57] offset0:16 offset1:17
	ds_write2_b64 v204, v[50:51], v[52:53] offset0:18 offset1:19
	;; [unrolled: 1-line block ×12, first 2 shown]
	ds_read2_b64 v[110:113], v1 offset1:1
	s_waitcnt lgkmcnt(0)
	v_cmp_neq_f64_e32 vcc_lo, 0, v[110:111]
	v_cmp_neq_f64_e64 s1, 0, v[112:113]
	s_or_b32 s1, vcc_lo, s1
	s_and_b32 exec_lo, exec_lo, s1
	s_cbranch_execz .LBB39_71
; %bb.66:
	v_cmp_ngt_f64_e64 s1, |v[110:111]|, |v[112:113]|
                                        ; implicit-def: $vgpr114_vgpr115
	s_and_saveexec_b32 s3, s1
	s_xor_b32 s1, exec_lo, s3
                                        ; implicit-def: $vgpr116_vgpr117
	s_cbranch_execz .LBB39_68
; %bb.67:
	v_div_scale_f64 v[114:115], null, v[112:113], v[112:113], v[110:111]
	v_div_scale_f64 v[120:121], vcc_lo, v[110:111], v[112:113], v[110:111]
	v_rcp_f64_e32 v[116:117], v[114:115]
	v_fma_f64 v[118:119], -v[114:115], v[116:117], 1.0
	v_fma_f64 v[116:117], v[116:117], v[118:119], v[116:117]
	v_fma_f64 v[118:119], -v[114:115], v[116:117], 1.0
	v_fma_f64 v[116:117], v[116:117], v[118:119], v[116:117]
	v_mul_f64 v[118:119], v[120:121], v[116:117]
	v_fma_f64 v[114:115], -v[114:115], v[118:119], v[120:121]
	v_div_fmas_f64 v[114:115], v[114:115], v[116:117], v[118:119]
	v_div_fixup_f64 v[114:115], v[114:115], v[112:113], v[110:111]
	v_fma_f64 v[110:111], v[110:111], v[114:115], v[112:113]
	v_div_scale_f64 v[112:113], null, v[110:111], v[110:111], 1.0
	v_rcp_f64_e32 v[116:117], v[112:113]
	v_fma_f64 v[118:119], -v[112:113], v[116:117], 1.0
	v_fma_f64 v[116:117], v[116:117], v[118:119], v[116:117]
	v_fma_f64 v[118:119], -v[112:113], v[116:117], 1.0
	v_fma_f64 v[116:117], v[116:117], v[118:119], v[116:117]
	v_div_scale_f64 v[118:119], vcc_lo, 1.0, v[110:111], 1.0
	v_mul_f64 v[120:121], v[118:119], v[116:117]
	v_fma_f64 v[112:113], -v[112:113], v[120:121], v[118:119]
	v_div_fmas_f64 v[112:113], v[112:113], v[116:117], v[120:121]
	v_div_fixup_f64 v[116:117], v[112:113], v[110:111], 1.0
                                        ; implicit-def: $vgpr110_vgpr111
	v_mul_f64 v[114:115], v[114:115], v[116:117]
	v_xor_b32_e32 v117, 0x80000000, v117
.LBB39_68:
	s_andn2_saveexec_b32 s1, s1
	s_cbranch_execz .LBB39_70
; %bb.69:
	v_div_scale_f64 v[114:115], null, v[110:111], v[110:111], v[112:113]
	v_div_scale_f64 v[120:121], vcc_lo, v[112:113], v[110:111], v[112:113]
	v_rcp_f64_e32 v[116:117], v[114:115]
	v_fma_f64 v[118:119], -v[114:115], v[116:117], 1.0
	v_fma_f64 v[116:117], v[116:117], v[118:119], v[116:117]
	v_fma_f64 v[118:119], -v[114:115], v[116:117], 1.0
	v_fma_f64 v[116:117], v[116:117], v[118:119], v[116:117]
	v_mul_f64 v[118:119], v[120:121], v[116:117]
	v_fma_f64 v[114:115], -v[114:115], v[118:119], v[120:121]
	v_div_fmas_f64 v[114:115], v[114:115], v[116:117], v[118:119]
	v_div_fixup_f64 v[116:117], v[114:115], v[110:111], v[112:113]
	v_fma_f64 v[110:111], v[112:113], v[116:117], v[110:111]
	v_div_scale_f64 v[112:113], null, v[110:111], v[110:111], 1.0
	v_rcp_f64_e32 v[114:115], v[112:113]
	v_fma_f64 v[118:119], -v[112:113], v[114:115], 1.0
	v_fma_f64 v[114:115], v[114:115], v[118:119], v[114:115]
	v_fma_f64 v[118:119], -v[112:113], v[114:115], 1.0
	v_fma_f64 v[114:115], v[114:115], v[118:119], v[114:115]
	v_div_scale_f64 v[118:119], vcc_lo, 1.0, v[110:111], 1.0
	v_mul_f64 v[120:121], v[118:119], v[114:115]
	v_fma_f64 v[112:113], -v[112:113], v[120:121], v[118:119]
	v_div_fmas_f64 v[112:113], v[112:113], v[114:115], v[120:121]
	v_div_fixup_f64 v[114:115], v[112:113], v[110:111], 1.0
	v_mul_f64 v[116:117], v[116:117], -v[114:115]
.LBB39_70:
	s_or_b32 exec_lo, exec_lo, s1
	ds_write2_b64 v1, v[114:115], v[116:117] offset1:1
.LBB39_71:
	s_or_b32 exec_lo, exec_lo, s2
	s_waitcnt lgkmcnt(0)
	s_barrier
	buffer_gl0_inv
	ds_read2_b64 v[110:113], v1 offset1:1
	s_mov_b32 s1, exec_lo
	v_cmpx_lt_u32_e32 7, v0
	s_cbranch_execz .LBB39_73
; %bb.72:
	s_waitcnt lgkmcnt(0)
	v_mul_f64 v[114:115], v[110:111], v[60:61]
	v_mul_f64 v[60:61], v[112:113], v[60:61]
	v_fma_f64 v[205:206], v[112:113], v[58:59], v[114:115]
	ds_read2_b64 v[114:117], v204 offset0:16 offset1:17
	ds_read2_b64 v[118:121], v204 offset0:18 offset1:19
	;; [unrolled: 1-line block ×12, first 2 shown]
	v_fma_f64 v[58:59], v[110:111], v[58:59], -v[60:61]
	s_waitcnt lgkmcnt(11)
	v_mul_f64 v[60:61], v[116:117], v[205:206]
	v_mul_f64 v[207:208], v[114:115], v[205:206]
	s_waitcnt lgkmcnt(10)
	v_mul_f64 v[209:210], v[120:121], v[205:206]
	v_mul_f64 v[211:212], v[118:119], v[205:206]
	;; [unrolled: 3-line block ×12, first 2 shown]
	v_fma_f64 v[60:61], v[114:115], v[58:59], -v[60:61]
	v_fma_f64 v[114:115], v[116:117], v[58:59], v[207:208]
	v_fma_f64 v[116:117], v[118:119], v[58:59], -v[209:210]
	v_fma_f64 v[118:119], v[120:121], v[58:59], v[211:212]
	v_fma_f64 v[120:121], v[122:123], v[58:59], -v[213:214]
	v_fma_f64 v[122:123], v[124:125], v[58:59], v[215:216]
	v_fma_f64 v[124:125], v[126:127], v[58:59], -v[217:218]
	v_fma_f64 v[126:127], v[128:129], v[58:59], v[219:220]
	v_fma_f64 v[128:129], v[130:131], v[58:59], -v[221:222]
	v_fma_f64 v[130:131], v[132:133], v[58:59], v[223:224]
	v_fma_f64 v[132:133], v[134:135], v[58:59], -v[225:226]
	v_fma_f64 v[134:135], v[136:137], v[58:59], v[227:228]
	v_fma_f64 v[136:137], v[138:139], v[58:59], -v[229:230]
	v_fma_f64 v[138:139], v[140:141], v[58:59], v[231:232]
	v_fma_f64 v[140:141], v[142:143], v[58:59], -v[233:234]
	v_fma_f64 v[142:143], v[144:145], v[58:59], v[235:236]
	v_fma_f64 v[144:145], v[146:147], v[58:59], -v[237:238]
	v_fma_f64 v[146:147], v[148:149], v[58:59], v[239:240]
	v_fma_f64 v[148:149], v[150:151], v[58:59], -v[241:242]
	v_fma_f64 v[150:151], v[152:153], v[58:59], v[243:244]
	v_fma_f64 v[152:153], v[154:155], v[58:59], -v[245:246]
	v_fma_f64 v[154:155], v[156:157], v[58:59], v[247:248]
	v_fma_f64 v[156:157], v[158:159], v[58:59], -v[249:250]
	v_fma_f64 v[158:159], v[160:161], v[58:59], v[251:252]
	v_add_f64 v[54:55], v[54:55], -v[60:61]
	v_add_f64 v[56:57], v[56:57], -v[114:115]
	;; [unrolled: 1-line block ×24, first 2 shown]
	v_mov_b32_e32 v60, v205
	v_mov_b32_e32 v61, v206
.LBB39_73:
	s_or_b32 exec_lo, exec_lo, s1
	s_mov_b32 s2, exec_lo
	s_waitcnt lgkmcnt(0)
	s_barrier
	buffer_gl0_inv
	v_cmpx_eq_u32_e32 8, v0
	s_cbranch_execz .LBB39_80
; %bb.74:
	ds_write2_b64 v1, v[54:55], v[56:57] offset1:1
	ds_write2_b64 v204, v[50:51], v[52:53] offset0:18 offset1:19
	ds_write2_b64 v204, v[46:47], v[48:49] offset0:20 offset1:21
	;; [unrolled: 1-line block ×11, first 2 shown]
	ds_read2_b64 v[114:117], v1 offset1:1
	s_waitcnt lgkmcnt(0)
	v_cmp_neq_f64_e32 vcc_lo, 0, v[114:115]
	v_cmp_neq_f64_e64 s1, 0, v[116:117]
	s_or_b32 s1, vcc_lo, s1
	s_and_b32 exec_lo, exec_lo, s1
	s_cbranch_execz .LBB39_80
; %bb.75:
	v_cmp_ngt_f64_e64 s1, |v[114:115]|, |v[116:117]|
                                        ; implicit-def: $vgpr118_vgpr119
	s_and_saveexec_b32 s3, s1
	s_xor_b32 s1, exec_lo, s3
                                        ; implicit-def: $vgpr120_vgpr121
	s_cbranch_execz .LBB39_77
; %bb.76:
	v_div_scale_f64 v[118:119], null, v[116:117], v[116:117], v[114:115]
	v_div_scale_f64 v[124:125], vcc_lo, v[114:115], v[116:117], v[114:115]
	v_rcp_f64_e32 v[120:121], v[118:119]
	v_fma_f64 v[122:123], -v[118:119], v[120:121], 1.0
	v_fma_f64 v[120:121], v[120:121], v[122:123], v[120:121]
	v_fma_f64 v[122:123], -v[118:119], v[120:121], 1.0
	v_fma_f64 v[120:121], v[120:121], v[122:123], v[120:121]
	v_mul_f64 v[122:123], v[124:125], v[120:121]
	v_fma_f64 v[118:119], -v[118:119], v[122:123], v[124:125]
	v_div_fmas_f64 v[118:119], v[118:119], v[120:121], v[122:123]
	v_div_fixup_f64 v[118:119], v[118:119], v[116:117], v[114:115]
	v_fma_f64 v[114:115], v[114:115], v[118:119], v[116:117]
	v_div_scale_f64 v[116:117], null, v[114:115], v[114:115], 1.0
	v_rcp_f64_e32 v[120:121], v[116:117]
	v_fma_f64 v[122:123], -v[116:117], v[120:121], 1.0
	v_fma_f64 v[120:121], v[120:121], v[122:123], v[120:121]
	v_fma_f64 v[122:123], -v[116:117], v[120:121], 1.0
	v_fma_f64 v[120:121], v[120:121], v[122:123], v[120:121]
	v_div_scale_f64 v[122:123], vcc_lo, 1.0, v[114:115], 1.0
	v_mul_f64 v[124:125], v[122:123], v[120:121]
	v_fma_f64 v[116:117], -v[116:117], v[124:125], v[122:123]
	v_div_fmas_f64 v[116:117], v[116:117], v[120:121], v[124:125]
	v_div_fixup_f64 v[120:121], v[116:117], v[114:115], 1.0
                                        ; implicit-def: $vgpr114_vgpr115
	v_mul_f64 v[118:119], v[118:119], v[120:121]
	v_xor_b32_e32 v121, 0x80000000, v121
.LBB39_77:
	s_andn2_saveexec_b32 s1, s1
	s_cbranch_execz .LBB39_79
; %bb.78:
	v_div_scale_f64 v[118:119], null, v[114:115], v[114:115], v[116:117]
	v_div_scale_f64 v[124:125], vcc_lo, v[116:117], v[114:115], v[116:117]
	v_rcp_f64_e32 v[120:121], v[118:119]
	v_fma_f64 v[122:123], -v[118:119], v[120:121], 1.0
	v_fma_f64 v[120:121], v[120:121], v[122:123], v[120:121]
	v_fma_f64 v[122:123], -v[118:119], v[120:121], 1.0
	v_fma_f64 v[120:121], v[120:121], v[122:123], v[120:121]
	v_mul_f64 v[122:123], v[124:125], v[120:121]
	v_fma_f64 v[118:119], -v[118:119], v[122:123], v[124:125]
	v_div_fmas_f64 v[118:119], v[118:119], v[120:121], v[122:123]
	v_div_fixup_f64 v[120:121], v[118:119], v[114:115], v[116:117]
	v_fma_f64 v[114:115], v[116:117], v[120:121], v[114:115]
	v_div_scale_f64 v[116:117], null, v[114:115], v[114:115], 1.0
	v_rcp_f64_e32 v[118:119], v[116:117]
	v_fma_f64 v[122:123], -v[116:117], v[118:119], 1.0
	v_fma_f64 v[118:119], v[118:119], v[122:123], v[118:119]
	v_fma_f64 v[122:123], -v[116:117], v[118:119], 1.0
	v_fma_f64 v[118:119], v[118:119], v[122:123], v[118:119]
	v_div_scale_f64 v[122:123], vcc_lo, 1.0, v[114:115], 1.0
	v_mul_f64 v[124:125], v[122:123], v[118:119]
	v_fma_f64 v[116:117], -v[116:117], v[124:125], v[122:123]
	v_div_fmas_f64 v[116:117], v[116:117], v[118:119], v[124:125]
	v_div_fixup_f64 v[118:119], v[116:117], v[114:115], 1.0
	v_mul_f64 v[120:121], v[120:121], -v[118:119]
.LBB39_79:
	s_or_b32 exec_lo, exec_lo, s1
	ds_write2_b64 v1, v[118:119], v[120:121] offset1:1
.LBB39_80:
	s_or_b32 exec_lo, exec_lo, s2
	s_waitcnt lgkmcnt(0)
	s_barrier
	buffer_gl0_inv
	ds_read2_b64 v[114:117], v1 offset1:1
	s_mov_b32 s1, exec_lo
	v_cmpx_lt_u32_e32 8, v0
	s_cbranch_execz .LBB39_82
; %bb.81:
	s_waitcnt lgkmcnt(0)
	v_mul_f64 v[118:119], v[114:115], v[56:57]
	v_mul_f64 v[56:57], v[116:117], v[56:57]
	v_fma_f64 v[205:206], v[116:117], v[54:55], v[118:119]
	ds_read2_b64 v[118:121], v204 offset0:18 offset1:19
	ds_read2_b64 v[122:125], v204 offset0:20 offset1:21
	;; [unrolled: 1-line block ×11, first 2 shown]
	v_fma_f64 v[54:55], v[114:115], v[54:55], -v[56:57]
	s_waitcnt lgkmcnt(10)
	v_mul_f64 v[56:57], v[120:121], v[205:206]
	v_mul_f64 v[207:208], v[118:119], v[205:206]
	s_waitcnt lgkmcnt(9)
	v_mul_f64 v[209:210], v[124:125], v[205:206]
	v_mul_f64 v[211:212], v[122:123], v[205:206]
	;; [unrolled: 3-line block ×11, first 2 shown]
	v_fma_f64 v[56:57], v[118:119], v[54:55], -v[56:57]
	v_fma_f64 v[118:119], v[120:121], v[54:55], v[207:208]
	v_fma_f64 v[120:121], v[122:123], v[54:55], -v[209:210]
	v_fma_f64 v[122:123], v[124:125], v[54:55], v[211:212]
	v_fma_f64 v[124:125], v[126:127], v[54:55], -v[213:214]
	v_fma_f64 v[126:127], v[128:129], v[54:55], v[215:216]
	v_fma_f64 v[128:129], v[130:131], v[54:55], -v[217:218]
	v_fma_f64 v[130:131], v[132:133], v[54:55], v[219:220]
	v_fma_f64 v[132:133], v[134:135], v[54:55], -v[221:222]
	v_fma_f64 v[134:135], v[136:137], v[54:55], v[223:224]
	v_fma_f64 v[136:137], v[138:139], v[54:55], -v[225:226]
	v_fma_f64 v[138:139], v[140:141], v[54:55], v[227:228]
	v_fma_f64 v[140:141], v[142:143], v[54:55], -v[229:230]
	v_fma_f64 v[142:143], v[144:145], v[54:55], v[231:232]
	v_fma_f64 v[144:145], v[146:147], v[54:55], -v[233:234]
	v_fma_f64 v[146:147], v[148:149], v[54:55], v[235:236]
	v_fma_f64 v[148:149], v[150:151], v[54:55], -v[237:238]
	v_fma_f64 v[150:151], v[152:153], v[54:55], v[239:240]
	v_fma_f64 v[152:153], v[154:155], v[54:55], -v[241:242]
	v_fma_f64 v[154:155], v[156:157], v[54:55], v[243:244]
	v_fma_f64 v[156:157], v[158:159], v[54:55], -v[245:246]
	v_fma_f64 v[158:159], v[160:161], v[54:55], v[247:248]
	v_add_f64 v[50:51], v[50:51], -v[56:57]
	v_add_f64 v[52:53], v[52:53], -v[118:119]
	;; [unrolled: 1-line block ×22, first 2 shown]
	v_mov_b32_e32 v56, v205
	v_mov_b32_e32 v57, v206
.LBB39_82:
	s_or_b32 exec_lo, exec_lo, s1
	s_mov_b32 s2, exec_lo
	s_waitcnt lgkmcnt(0)
	s_barrier
	buffer_gl0_inv
	v_cmpx_eq_u32_e32 9, v0
	s_cbranch_execz .LBB39_89
; %bb.83:
	ds_write2_b64 v1, v[50:51], v[52:53] offset1:1
	ds_write2_b64 v204, v[46:47], v[48:49] offset0:20 offset1:21
	ds_write2_b64 v204, v[42:43], v[44:45] offset0:22 offset1:23
	;; [unrolled: 1-line block ×10, first 2 shown]
	ds_read2_b64 v[118:121], v1 offset1:1
	s_waitcnt lgkmcnt(0)
	v_cmp_neq_f64_e32 vcc_lo, 0, v[118:119]
	v_cmp_neq_f64_e64 s1, 0, v[120:121]
	s_or_b32 s1, vcc_lo, s1
	s_and_b32 exec_lo, exec_lo, s1
	s_cbranch_execz .LBB39_89
; %bb.84:
	v_cmp_ngt_f64_e64 s1, |v[118:119]|, |v[120:121]|
                                        ; implicit-def: $vgpr122_vgpr123
	s_and_saveexec_b32 s3, s1
	s_xor_b32 s1, exec_lo, s3
                                        ; implicit-def: $vgpr124_vgpr125
	s_cbranch_execz .LBB39_86
; %bb.85:
	v_div_scale_f64 v[122:123], null, v[120:121], v[120:121], v[118:119]
	v_div_scale_f64 v[128:129], vcc_lo, v[118:119], v[120:121], v[118:119]
	v_rcp_f64_e32 v[124:125], v[122:123]
	v_fma_f64 v[126:127], -v[122:123], v[124:125], 1.0
	v_fma_f64 v[124:125], v[124:125], v[126:127], v[124:125]
	v_fma_f64 v[126:127], -v[122:123], v[124:125], 1.0
	v_fma_f64 v[124:125], v[124:125], v[126:127], v[124:125]
	v_mul_f64 v[126:127], v[128:129], v[124:125]
	v_fma_f64 v[122:123], -v[122:123], v[126:127], v[128:129]
	v_div_fmas_f64 v[122:123], v[122:123], v[124:125], v[126:127]
	v_div_fixup_f64 v[122:123], v[122:123], v[120:121], v[118:119]
	v_fma_f64 v[118:119], v[118:119], v[122:123], v[120:121]
	v_div_scale_f64 v[120:121], null, v[118:119], v[118:119], 1.0
	v_rcp_f64_e32 v[124:125], v[120:121]
	v_fma_f64 v[126:127], -v[120:121], v[124:125], 1.0
	v_fma_f64 v[124:125], v[124:125], v[126:127], v[124:125]
	v_fma_f64 v[126:127], -v[120:121], v[124:125], 1.0
	v_fma_f64 v[124:125], v[124:125], v[126:127], v[124:125]
	v_div_scale_f64 v[126:127], vcc_lo, 1.0, v[118:119], 1.0
	v_mul_f64 v[128:129], v[126:127], v[124:125]
	v_fma_f64 v[120:121], -v[120:121], v[128:129], v[126:127]
	v_div_fmas_f64 v[120:121], v[120:121], v[124:125], v[128:129]
	v_div_fixup_f64 v[124:125], v[120:121], v[118:119], 1.0
                                        ; implicit-def: $vgpr118_vgpr119
	v_mul_f64 v[122:123], v[122:123], v[124:125]
	v_xor_b32_e32 v125, 0x80000000, v125
.LBB39_86:
	s_andn2_saveexec_b32 s1, s1
	s_cbranch_execz .LBB39_88
; %bb.87:
	v_div_scale_f64 v[122:123], null, v[118:119], v[118:119], v[120:121]
	v_div_scale_f64 v[128:129], vcc_lo, v[120:121], v[118:119], v[120:121]
	v_rcp_f64_e32 v[124:125], v[122:123]
	v_fma_f64 v[126:127], -v[122:123], v[124:125], 1.0
	v_fma_f64 v[124:125], v[124:125], v[126:127], v[124:125]
	v_fma_f64 v[126:127], -v[122:123], v[124:125], 1.0
	v_fma_f64 v[124:125], v[124:125], v[126:127], v[124:125]
	v_mul_f64 v[126:127], v[128:129], v[124:125]
	v_fma_f64 v[122:123], -v[122:123], v[126:127], v[128:129]
	v_div_fmas_f64 v[122:123], v[122:123], v[124:125], v[126:127]
	v_div_fixup_f64 v[124:125], v[122:123], v[118:119], v[120:121]
	v_fma_f64 v[118:119], v[120:121], v[124:125], v[118:119]
	v_div_scale_f64 v[120:121], null, v[118:119], v[118:119], 1.0
	v_rcp_f64_e32 v[122:123], v[120:121]
	v_fma_f64 v[126:127], -v[120:121], v[122:123], 1.0
	v_fma_f64 v[122:123], v[122:123], v[126:127], v[122:123]
	v_fma_f64 v[126:127], -v[120:121], v[122:123], 1.0
	v_fma_f64 v[122:123], v[122:123], v[126:127], v[122:123]
	v_div_scale_f64 v[126:127], vcc_lo, 1.0, v[118:119], 1.0
	v_mul_f64 v[128:129], v[126:127], v[122:123]
	v_fma_f64 v[120:121], -v[120:121], v[128:129], v[126:127]
	v_div_fmas_f64 v[120:121], v[120:121], v[122:123], v[128:129]
	v_div_fixup_f64 v[122:123], v[120:121], v[118:119], 1.0
	v_mul_f64 v[124:125], v[124:125], -v[122:123]
.LBB39_88:
	s_or_b32 exec_lo, exec_lo, s1
	ds_write2_b64 v1, v[122:123], v[124:125] offset1:1
.LBB39_89:
	s_or_b32 exec_lo, exec_lo, s2
	s_waitcnt lgkmcnt(0)
	s_barrier
	buffer_gl0_inv
	ds_read2_b64 v[118:121], v1 offset1:1
	s_mov_b32 s1, exec_lo
	v_cmpx_lt_u32_e32 9, v0
	s_cbranch_execz .LBB39_91
; %bb.90:
	s_waitcnt lgkmcnt(0)
	v_mul_f64 v[122:123], v[118:119], v[52:53]
	v_mul_f64 v[52:53], v[120:121], v[52:53]
	v_fma_f64 v[205:206], v[120:121], v[50:51], v[122:123]
	ds_read2_b64 v[122:125], v204 offset0:20 offset1:21
	ds_read2_b64 v[126:129], v204 offset0:22 offset1:23
	ds_read2_b64 v[130:133], v204 offset0:24 offset1:25
	ds_read2_b64 v[134:137], v204 offset0:26 offset1:27
	ds_read2_b64 v[138:141], v204 offset0:28 offset1:29
	ds_read2_b64 v[142:145], v204 offset0:30 offset1:31
	ds_read2_b64 v[146:149], v204 offset0:32 offset1:33
	ds_read2_b64 v[150:153], v204 offset0:34 offset1:35
	ds_read2_b64 v[154:157], v204 offset0:36 offset1:37
	ds_read2_b64 v[158:161], v204 offset0:38 offset1:39
	v_fma_f64 v[50:51], v[118:119], v[50:51], -v[52:53]
	s_waitcnt lgkmcnt(9)
	v_mul_f64 v[52:53], v[124:125], v[205:206]
	v_mul_f64 v[207:208], v[122:123], v[205:206]
	s_waitcnt lgkmcnt(8)
	v_mul_f64 v[209:210], v[128:129], v[205:206]
	v_mul_f64 v[211:212], v[126:127], v[205:206]
	;; [unrolled: 3-line block ×10, first 2 shown]
	v_fma_f64 v[52:53], v[122:123], v[50:51], -v[52:53]
	v_fma_f64 v[122:123], v[124:125], v[50:51], v[207:208]
	v_fma_f64 v[124:125], v[126:127], v[50:51], -v[209:210]
	v_fma_f64 v[126:127], v[128:129], v[50:51], v[211:212]
	;; [unrolled: 2-line block ×10, first 2 shown]
	v_add_f64 v[46:47], v[46:47], -v[52:53]
	v_add_f64 v[48:49], v[48:49], -v[122:123]
	;; [unrolled: 1-line block ×20, first 2 shown]
	v_mov_b32_e32 v52, v205
	v_mov_b32_e32 v53, v206
.LBB39_91:
	s_or_b32 exec_lo, exec_lo, s1
	s_mov_b32 s2, exec_lo
	s_waitcnt lgkmcnt(0)
	s_barrier
	buffer_gl0_inv
	v_cmpx_eq_u32_e32 10, v0
	s_cbranch_execz .LBB39_98
; %bb.92:
	ds_write2_b64 v1, v[46:47], v[48:49] offset1:1
	ds_write2_b64 v204, v[42:43], v[44:45] offset0:22 offset1:23
	ds_write2_b64 v204, v[38:39], v[40:41] offset0:24 offset1:25
	;; [unrolled: 1-line block ×9, first 2 shown]
	ds_read2_b64 v[122:125], v1 offset1:1
	s_waitcnt lgkmcnt(0)
	v_cmp_neq_f64_e32 vcc_lo, 0, v[122:123]
	v_cmp_neq_f64_e64 s1, 0, v[124:125]
	s_or_b32 s1, vcc_lo, s1
	s_and_b32 exec_lo, exec_lo, s1
	s_cbranch_execz .LBB39_98
; %bb.93:
	v_cmp_ngt_f64_e64 s1, |v[122:123]|, |v[124:125]|
                                        ; implicit-def: $vgpr126_vgpr127
	s_and_saveexec_b32 s3, s1
	s_xor_b32 s1, exec_lo, s3
                                        ; implicit-def: $vgpr128_vgpr129
	s_cbranch_execz .LBB39_95
; %bb.94:
	v_div_scale_f64 v[126:127], null, v[124:125], v[124:125], v[122:123]
	v_div_scale_f64 v[132:133], vcc_lo, v[122:123], v[124:125], v[122:123]
	v_rcp_f64_e32 v[128:129], v[126:127]
	v_fma_f64 v[130:131], -v[126:127], v[128:129], 1.0
	v_fma_f64 v[128:129], v[128:129], v[130:131], v[128:129]
	v_fma_f64 v[130:131], -v[126:127], v[128:129], 1.0
	v_fma_f64 v[128:129], v[128:129], v[130:131], v[128:129]
	v_mul_f64 v[130:131], v[132:133], v[128:129]
	v_fma_f64 v[126:127], -v[126:127], v[130:131], v[132:133]
	v_div_fmas_f64 v[126:127], v[126:127], v[128:129], v[130:131]
	v_div_fixup_f64 v[126:127], v[126:127], v[124:125], v[122:123]
	v_fma_f64 v[122:123], v[122:123], v[126:127], v[124:125]
	v_div_scale_f64 v[124:125], null, v[122:123], v[122:123], 1.0
	v_rcp_f64_e32 v[128:129], v[124:125]
	v_fma_f64 v[130:131], -v[124:125], v[128:129], 1.0
	v_fma_f64 v[128:129], v[128:129], v[130:131], v[128:129]
	v_fma_f64 v[130:131], -v[124:125], v[128:129], 1.0
	v_fma_f64 v[128:129], v[128:129], v[130:131], v[128:129]
	v_div_scale_f64 v[130:131], vcc_lo, 1.0, v[122:123], 1.0
	v_mul_f64 v[132:133], v[130:131], v[128:129]
	v_fma_f64 v[124:125], -v[124:125], v[132:133], v[130:131]
	v_div_fmas_f64 v[124:125], v[124:125], v[128:129], v[132:133]
	v_div_fixup_f64 v[128:129], v[124:125], v[122:123], 1.0
                                        ; implicit-def: $vgpr122_vgpr123
	v_mul_f64 v[126:127], v[126:127], v[128:129]
	v_xor_b32_e32 v129, 0x80000000, v129
.LBB39_95:
	s_andn2_saveexec_b32 s1, s1
	s_cbranch_execz .LBB39_97
; %bb.96:
	v_div_scale_f64 v[126:127], null, v[122:123], v[122:123], v[124:125]
	v_div_scale_f64 v[132:133], vcc_lo, v[124:125], v[122:123], v[124:125]
	v_rcp_f64_e32 v[128:129], v[126:127]
	v_fma_f64 v[130:131], -v[126:127], v[128:129], 1.0
	v_fma_f64 v[128:129], v[128:129], v[130:131], v[128:129]
	v_fma_f64 v[130:131], -v[126:127], v[128:129], 1.0
	v_fma_f64 v[128:129], v[128:129], v[130:131], v[128:129]
	v_mul_f64 v[130:131], v[132:133], v[128:129]
	v_fma_f64 v[126:127], -v[126:127], v[130:131], v[132:133]
	v_div_fmas_f64 v[126:127], v[126:127], v[128:129], v[130:131]
	v_div_fixup_f64 v[128:129], v[126:127], v[122:123], v[124:125]
	v_fma_f64 v[122:123], v[124:125], v[128:129], v[122:123]
	v_div_scale_f64 v[124:125], null, v[122:123], v[122:123], 1.0
	v_rcp_f64_e32 v[126:127], v[124:125]
	v_fma_f64 v[130:131], -v[124:125], v[126:127], 1.0
	v_fma_f64 v[126:127], v[126:127], v[130:131], v[126:127]
	v_fma_f64 v[130:131], -v[124:125], v[126:127], 1.0
	v_fma_f64 v[126:127], v[126:127], v[130:131], v[126:127]
	v_div_scale_f64 v[130:131], vcc_lo, 1.0, v[122:123], 1.0
	v_mul_f64 v[132:133], v[130:131], v[126:127]
	v_fma_f64 v[124:125], -v[124:125], v[132:133], v[130:131]
	v_div_fmas_f64 v[124:125], v[124:125], v[126:127], v[132:133]
	v_div_fixup_f64 v[126:127], v[124:125], v[122:123], 1.0
	v_mul_f64 v[128:129], v[128:129], -v[126:127]
.LBB39_97:
	s_or_b32 exec_lo, exec_lo, s1
	ds_write2_b64 v1, v[126:127], v[128:129] offset1:1
.LBB39_98:
	s_or_b32 exec_lo, exec_lo, s2
	s_waitcnt lgkmcnt(0)
	s_barrier
	buffer_gl0_inv
	ds_read2_b64 v[122:125], v1 offset1:1
	s_mov_b32 s1, exec_lo
	v_cmpx_lt_u32_e32 10, v0
	s_cbranch_execz .LBB39_100
; %bb.99:
	s_waitcnt lgkmcnt(0)
	v_mul_f64 v[126:127], v[122:123], v[48:49]
	v_mul_f64 v[48:49], v[124:125], v[48:49]
	v_fma_f64 v[205:206], v[124:125], v[46:47], v[126:127]
	ds_read2_b64 v[126:129], v204 offset0:22 offset1:23
	ds_read2_b64 v[130:133], v204 offset0:24 offset1:25
	;; [unrolled: 1-line block ×9, first 2 shown]
	v_fma_f64 v[46:47], v[122:123], v[46:47], -v[48:49]
	s_waitcnt lgkmcnt(8)
	v_mul_f64 v[48:49], v[128:129], v[205:206]
	v_mul_f64 v[207:208], v[126:127], v[205:206]
	s_waitcnt lgkmcnt(7)
	v_mul_f64 v[209:210], v[132:133], v[205:206]
	v_mul_f64 v[211:212], v[130:131], v[205:206]
	;; [unrolled: 3-line block ×9, first 2 shown]
	v_fma_f64 v[48:49], v[126:127], v[46:47], -v[48:49]
	v_fma_f64 v[126:127], v[128:129], v[46:47], v[207:208]
	v_fma_f64 v[128:129], v[130:131], v[46:47], -v[209:210]
	v_fma_f64 v[130:131], v[132:133], v[46:47], v[211:212]
	;; [unrolled: 2-line block ×9, first 2 shown]
	v_add_f64 v[42:43], v[42:43], -v[48:49]
	v_add_f64 v[44:45], v[44:45], -v[126:127]
	;; [unrolled: 1-line block ×18, first 2 shown]
	v_mov_b32_e32 v48, v205
	v_mov_b32_e32 v49, v206
.LBB39_100:
	s_or_b32 exec_lo, exec_lo, s1
	s_mov_b32 s2, exec_lo
	s_waitcnt lgkmcnt(0)
	s_barrier
	buffer_gl0_inv
	v_cmpx_eq_u32_e32 11, v0
	s_cbranch_execz .LBB39_107
; %bb.101:
	ds_write2_b64 v1, v[42:43], v[44:45] offset1:1
	ds_write2_b64 v204, v[38:39], v[40:41] offset0:24 offset1:25
	ds_write2_b64 v204, v[34:35], v[36:37] offset0:26 offset1:27
	;; [unrolled: 1-line block ×8, first 2 shown]
	ds_read2_b64 v[126:129], v1 offset1:1
	s_waitcnt lgkmcnt(0)
	v_cmp_neq_f64_e32 vcc_lo, 0, v[126:127]
	v_cmp_neq_f64_e64 s1, 0, v[128:129]
	s_or_b32 s1, vcc_lo, s1
	s_and_b32 exec_lo, exec_lo, s1
	s_cbranch_execz .LBB39_107
; %bb.102:
	v_cmp_ngt_f64_e64 s1, |v[126:127]|, |v[128:129]|
                                        ; implicit-def: $vgpr130_vgpr131
	s_and_saveexec_b32 s3, s1
	s_xor_b32 s1, exec_lo, s3
                                        ; implicit-def: $vgpr132_vgpr133
	s_cbranch_execz .LBB39_104
; %bb.103:
	v_div_scale_f64 v[130:131], null, v[128:129], v[128:129], v[126:127]
	v_div_scale_f64 v[136:137], vcc_lo, v[126:127], v[128:129], v[126:127]
	v_rcp_f64_e32 v[132:133], v[130:131]
	v_fma_f64 v[134:135], -v[130:131], v[132:133], 1.0
	v_fma_f64 v[132:133], v[132:133], v[134:135], v[132:133]
	v_fma_f64 v[134:135], -v[130:131], v[132:133], 1.0
	v_fma_f64 v[132:133], v[132:133], v[134:135], v[132:133]
	v_mul_f64 v[134:135], v[136:137], v[132:133]
	v_fma_f64 v[130:131], -v[130:131], v[134:135], v[136:137]
	v_div_fmas_f64 v[130:131], v[130:131], v[132:133], v[134:135]
	v_div_fixup_f64 v[130:131], v[130:131], v[128:129], v[126:127]
	v_fma_f64 v[126:127], v[126:127], v[130:131], v[128:129]
	v_div_scale_f64 v[128:129], null, v[126:127], v[126:127], 1.0
	v_rcp_f64_e32 v[132:133], v[128:129]
	v_fma_f64 v[134:135], -v[128:129], v[132:133], 1.0
	v_fma_f64 v[132:133], v[132:133], v[134:135], v[132:133]
	v_fma_f64 v[134:135], -v[128:129], v[132:133], 1.0
	v_fma_f64 v[132:133], v[132:133], v[134:135], v[132:133]
	v_div_scale_f64 v[134:135], vcc_lo, 1.0, v[126:127], 1.0
	v_mul_f64 v[136:137], v[134:135], v[132:133]
	v_fma_f64 v[128:129], -v[128:129], v[136:137], v[134:135]
	v_div_fmas_f64 v[128:129], v[128:129], v[132:133], v[136:137]
	v_div_fixup_f64 v[132:133], v[128:129], v[126:127], 1.0
                                        ; implicit-def: $vgpr126_vgpr127
	v_mul_f64 v[130:131], v[130:131], v[132:133]
	v_xor_b32_e32 v133, 0x80000000, v133
.LBB39_104:
	s_andn2_saveexec_b32 s1, s1
	s_cbranch_execz .LBB39_106
; %bb.105:
	v_div_scale_f64 v[130:131], null, v[126:127], v[126:127], v[128:129]
	v_div_scale_f64 v[136:137], vcc_lo, v[128:129], v[126:127], v[128:129]
	v_rcp_f64_e32 v[132:133], v[130:131]
	v_fma_f64 v[134:135], -v[130:131], v[132:133], 1.0
	v_fma_f64 v[132:133], v[132:133], v[134:135], v[132:133]
	v_fma_f64 v[134:135], -v[130:131], v[132:133], 1.0
	v_fma_f64 v[132:133], v[132:133], v[134:135], v[132:133]
	v_mul_f64 v[134:135], v[136:137], v[132:133]
	v_fma_f64 v[130:131], -v[130:131], v[134:135], v[136:137]
	v_div_fmas_f64 v[130:131], v[130:131], v[132:133], v[134:135]
	v_div_fixup_f64 v[132:133], v[130:131], v[126:127], v[128:129]
	v_fma_f64 v[126:127], v[128:129], v[132:133], v[126:127]
	v_div_scale_f64 v[128:129], null, v[126:127], v[126:127], 1.0
	v_rcp_f64_e32 v[130:131], v[128:129]
	v_fma_f64 v[134:135], -v[128:129], v[130:131], 1.0
	v_fma_f64 v[130:131], v[130:131], v[134:135], v[130:131]
	v_fma_f64 v[134:135], -v[128:129], v[130:131], 1.0
	v_fma_f64 v[130:131], v[130:131], v[134:135], v[130:131]
	v_div_scale_f64 v[134:135], vcc_lo, 1.0, v[126:127], 1.0
	v_mul_f64 v[136:137], v[134:135], v[130:131]
	v_fma_f64 v[128:129], -v[128:129], v[136:137], v[134:135]
	v_div_fmas_f64 v[128:129], v[128:129], v[130:131], v[136:137]
	v_div_fixup_f64 v[130:131], v[128:129], v[126:127], 1.0
	v_mul_f64 v[132:133], v[132:133], -v[130:131]
.LBB39_106:
	s_or_b32 exec_lo, exec_lo, s1
	ds_write2_b64 v1, v[130:131], v[132:133] offset1:1
.LBB39_107:
	s_or_b32 exec_lo, exec_lo, s2
	s_waitcnt lgkmcnt(0)
	s_barrier
	buffer_gl0_inv
	ds_read2_b64 v[126:129], v1 offset1:1
	s_mov_b32 s1, exec_lo
	v_cmpx_lt_u32_e32 11, v0
	s_cbranch_execz .LBB39_109
; %bb.108:
	s_waitcnt lgkmcnt(0)
	v_mul_f64 v[130:131], v[126:127], v[44:45]
	v_mul_f64 v[44:45], v[128:129], v[44:45]
	v_fma_f64 v[205:206], v[128:129], v[42:43], v[130:131]
	ds_read2_b64 v[130:133], v204 offset0:24 offset1:25
	ds_read2_b64 v[134:137], v204 offset0:26 offset1:27
	ds_read2_b64 v[138:141], v204 offset0:28 offset1:29
	ds_read2_b64 v[142:145], v204 offset0:30 offset1:31
	ds_read2_b64 v[146:149], v204 offset0:32 offset1:33
	ds_read2_b64 v[150:153], v204 offset0:34 offset1:35
	ds_read2_b64 v[154:157], v204 offset0:36 offset1:37
	ds_read2_b64 v[158:161], v204 offset0:38 offset1:39
	v_fma_f64 v[42:43], v[126:127], v[42:43], -v[44:45]
	s_waitcnt lgkmcnt(7)
	v_mul_f64 v[44:45], v[132:133], v[205:206]
	v_mul_f64 v[207:208], v[130:131], v[205:206]
	s_waitcnt lgkmcnt(6)
	v_mul_f64 v[209:210], v[136:137], v[205:206]
	v_mul_f64 v[211:212], v[134:135], v[205:206]
	;; [unrolled: 3-line block ×8, first 2 shown]
	v_fma_f64 v[44:45], v[130:131], v[42:43], -v[44:45]
	v_fma_f64 v[130:131], v[132:133], v[42:43], v[207:208]
	v_fma_f64 v[132:133], v[134:135], v[42:43], -v[209:210]
	v_fma_f64 v[134:135], v[136:137], v[42:43], v[211:212]
	;; [unrolled: 2-line block ×8, first 2 shown]
	v_add_f64 v[38:39], v[38:39], -v[44:45]
	v_add_f64 v[40:41], v[40:41], -v[130:131]
	;; [unrolled: 1-line block ×16, first 2 shown]
	v_mov_b32_e32 v44, v205
	v_mov_b32_e32 v45, v206
.LBB39_109:
	s_or_b32 exec_lo, exec_lo, s1
	s_mov_b32 s2, exec_lo
	s_waitcnt lgkmcnt(0)
	s_barrier
	buffer_gl0_inv
	v_cmpx_eq_u32_e32 12, v0
	s_cbranch_execz .LBB39_116
; %bb.110:
	ds_write2_b64 v1, v[38:39], v[40:41] offset1:1
	ds_write2_b64 v204, v[34:35], v[36:37] offset0:26 offset1:27
	ds_write2_b64 v204, v[30:31], v[32:33] offset0:28 offset1:29
	;; [unrolled: 1-line block ×7, first 2 shown]
	ds_read2_b64 v[130:133], v1 offset1:1
	s_waitcnt lgkmcnt(0)
	v_cmp_neq_f64_e32 vcc_lo, 0, v[130:131]
	v_cmp_neq_f64_e64 s1, 0, v[132:133]
	s_or_b32 s1, vcc_lo, s1
	s_and_b32 exec_lo, exec_lo, s1
	s_cbranch_execz .LBB39_116
; %bb.111:
	v_cmp_ngt_f64_e64 s1, |v[130:131]|, |v[132:133]|
                                        ; implicit-def: $vgpr134_vgpr135
	s_and_saveexec_b32 s3, s1
	s_xor_b32 s1, exec_lo, s3
                                        ; implicit-def: $vgpr136_vgpr137
	s_cbranch_execz .LBB39_113
; %bb.112:
	v_div_scale_f64 v[134:135], null, v[132:133], v[132:133], v[130:131]
	v_div_scale_f64 v[140:141], vcc_lo, v[130:131], v[132:133], v[130:131]
	v_rcp_f64_e32 v[136:137], v[134:135]
	v_fma_f64 v[138:139], -v[134:135], v[136:137], 1.0
	v_fma_f64 v[136:137], v[136:137], v[138:139], v[136:137]
	v_fma_f64 v[138:139], -v[134:135], v[136:137], 1.0
	v_fma_f64 v[136:137], v[136:137], v[138:139], v[136:137]
	v_mul_f64 v[138:139], v[140:141], v[136:137]
	v_fma_f64 v[134:135], -v[134:135], v[138:139], v[140:141]
	v_div_fmas_f64 v[134:135], v[134:135], v[136:137], v[138:139]
	v_div_fixup_f64 v[134:135], v[134:135], v[132:133], v[130:131]
	v_fma_f64 v[130:131], v[130:131], v[134:135], v[132:133]
	v_div_scale_f64 v[132:133], null, v[130:131], v[130:131], 1.0
	v_rcp_f64_e32 v[136:137], v[132:133]
	v_fma_f64 v[138:139], -v[132:133], v[136:137], 1.0
	v_fma_f64 v[136:137], v[136:137], v[138:139], v[136:137]
	v_fma_f64 v[138:139], -v[132:133], v[136:137], 1.0
	v_fma_f64 v[136:137], v[136:137], v[138:139], v[136:137]
	v_div_scale_f64 v[138:139], vcc_lo, 1.0, v[130:131], 1.0
	v_mul_f64 v[140:141], v[138:139], v[136:137]
	v_fma_f64 v[132:133], -v[132:133], v[140:141], v[138:139]
	v_div_fmas_f64 v[132:133], v[132:133], v[136:137], v[140:141]
	v_div_fixup_f64 v[136:137], v[132:133], v[130:131], 1.0
                                        ; implicit-def: $vgpr130_vgpr131
	v_mul_f64 v[134:135], v[134:135], v[136:137]
	v_xor_b32_e32 v137, 0x80000000, v137
.LBB39_113:
	s_andn2_saveexec_b32 s1, s1
	s_cbranch_execz .LBB39_115
; %bb.114:
	v_div_scale_f64 v[134:135], null, v[130:131], v[130:131], v[132:133]
	v_div_scale_f64 v[140:141], vcc_lo, v[132:133], v[130:131], v[132:133]
	v_rcp_f64_e32 v[136:137], v[134:135]
	v_fma_f64 v[138:139], -v[134:135], v[136:137], 1.0
	v_fma_f64 v[136:137], v[136:137], v[138:139], v[136:137]
	v_fma_f64 v[138:139], -v[134:135], v[136:137], 1.0
	v_fma_f64 v[136:137], v[136:137], v[138:139], v[136:137]
	v_mul_f64 v[138:139], v[140:141], v[136:137]
	v_fma_f64 v[134:135], -v[134:135], v[138:139], v[140:141]
	v_div_fmas_f64 v[134:135], v[134:135], v[136:137], v[138:139]
	v_div_fixup_f64 v[136:137], v[134:135], v[130:131], v[132:133]
	v_fma_f64 v[130:131], v[132:133], v[136:137], v[130:131]
	v_div_scale_f64 v[132:133], null, v[130:131], v[130:131], 1.0
	v_rcp_f64_e32 v[134:135], v[132:133]
	v_fma_f64 v[138:139], -v[132:133], v[134:135], 1.0
	v_fma_f64 v[134:135], v[134:135], v[138:139], v[134:135]
	v_fma_f64 v[138:139], -v[132:133], v[134:135], 1.0
	v_fma_f64 v[134:135], v[134:135], v[138:139], v[134:135]
	v_div_scale_f64 v[138:139], vcc_lo, 1.0, v[130:131], 1.0
	v_mul_f64 v[140:141], v[138:139], v[134:135]
	v_fma_f64 v[132:133], -v[132:133], v[140:141], v[138:139]
	v_div_fmas_f64 v[132:133], v[132:133], v[134:135], v[140:141]
	v_div_fixup_f64 v[134:135], v[132:133], v[130:131], 1.0
	v_mul_f64 v[136:137], v[136:137], -v[134:135]
.LBB39_115:
	s_or_b32 exec_lo, exec_lo, s1
	ds_write2_b64 v1, v[134:135], v[136:137] offset1:1
.LBB39_116:
	s_or_b32 exec_lo, exec_lo, s2
	s_waitcnt lgkmcnt(0)
	s_barrier
	buffer_gl0_inv
	ds_read2_b64 v[130:133], v1 offset1:1
	s_mov_b32 s1, exec_lo
	v_cmpx_lt_u32_e32 12, v0
	s_cbranch_execz .LBB39_118
; %bb.117:
	s_waitcnt lgkmcnt(0)
	v_mul_f64 v[134:135], v[130:131], v[40:41]
	v_mul_f64 v[40:41], v[132:133], v[40:41]
	v_fma_f64 v[205:206], v[132:133], v[38:39], v[134:135]
	ds_read2_b64 v[134:137], v204 offset0:26 offset1:27
	ds_read2_b64 v[138:141], v204 offset0:28 offset1:29
	ds_read2_b64 v[142:145], v204 offset0:30 offset1:31
	ds_read2_b64 v[146:149], v204 offset0:32 offset1:33
	ds_read2_b64 v[150:153], v204 offset0:34 offset1:35
	ds_read2_b64 v[154:157], v204 offset0:36 offset1:37
	ds_read2_b64 v[158:161], v204 offset0:38 offset1:39
	v_fma_f64 v[38:39], v[130:131], v[38:39], -v[40:41]
	s_waitcnt lgkmcnt(6)
	v_mul_f64 v[40:41], v[136:137], v[205:206]
	v_mul_f64 v[207:208], v[134:135], v[205:206]
	s_waitcnt lgkmcnt(5)
	v_mul_f64 v[209:210], v[140:141], v[205:206]
	v_mul_f64 v[211:212], v[138:139], v[205:206]
	;; [unrolled: 3-line block ×7, first 2 shown]
	v_fma_f64 v[40:41], v[134:135], v[38:39], -v[40:41]
	v_fma_f64 v[134:135], v[136:137], v[38:39], v[207:208]
	v_fma_f64 v[136:137], v[138:139], v[38:39], -v[209:210]
	v_fma_f64 v[138:139], v[140:141], v[38:39], v[211:212]
	;; [unrolled: 2-line block ×7, first 2 shown]
	v_add_f64 v[34:35], v[34:35], -v[40:41]
	v_add_f64 v[36:37], v[36:37], -v[134:135]
	;; [unrolled: 1-line block ×14, first 2 shown]
	v_mov_b32_e32 v40, v205
	v_mov_b32_e32 v41, v206
.LBB39_118:
	s_or_b32 exec_lo, exec_lo, s1
	s_mov_b32 s2, exec_lo
	s_waitcnt lgkmcnt(0)
	s_barrier
	buffer_gl0_inv
	v_cmpx_eq_u32_e32 13, v0
	s_cbranch_execz .LBB39_125
; %bb.119:
	ds_write2_b64 v1, v[34:35], v[36:37] offset1:1
	ds_write2_b64 v204, v[30:31], v[32:33] offset0:28 offset1:29
	ds_write2_b64 v204, v[26:27], v[28:29] offset0:30 offset1:31
	;; [unrolled: 1-line block ×6, first 2 shown]
	ds_read2_b64 v[134:137], v1 offset1:1
	s_waitcnt lgkmcnt(0)
	v_cmp_neq_f64_e32 vcc_lo, 0, v[134:135]
	v_cmp_neq_f64_e64 s1, 0, v[136:137]
	s_or_b32 s1, vcc_lo, s1
	s_and_b32 exec_lo, exec_lo, s1
	s_cbranch_execz .LBB39_125
; %bb.120:
	v_cmp_ngt_f64_e64 s1, |v[134:135]|, |v[136:137]|
                                        ; implicit-def: $vgpr138_vgpr139
	s_and_saveexec_b32 s3, s1
	s_xor_b32 s1, exec_lo, s3
                                        ; implicit-def: $vgpr140_vgpr141
	s_cbranch_execz .LBB39_122
; %bb.121:
	v_div_scale_f64 v[138:139], null, v[136:137], v[136:137], v[134:135]
	v_div_scale_f64 v[144:145], vcc_lo, v[134:135], v[136:137], v[134:135]
	v_rcp_f64_e32 v[140:141], v[138:139]
	v_fma_f64 v[142:143], -v[138:139], v[140:141], 1.0
	v_fma_f64 v[140:141], v[140:141], v[142:143], v[140:141]
	v_fma_f64 v[142:143], -v[138:139], v[140:141], 1.0
	v_fma_f64 v[140:141], v[140:141], v[142:143], v[140:141]
	v_mul_f64 v[142:143], v[144:145], v[140:141]
	v_fma_f64 v[138:139], -v[138:139], v[142:143], v[144:145]
	v_div_fmas_f64 v[138:139], v[138:139], v[140:141], v[142:143]
	v_div_fixup_f64 v[138:139], v[138:139], v[136:137], v[134:135]
	v_fma_f64 v[134:135], v[134:135], v[138:139], v[136:137]
	v_div_scale_f64 v[136:137], null, v[134:135], v[134:135], 1.0
	v_rcp_f64_e32 v[140:141], v[136:137]
	v_fma_f64 v[142:143], -v[136:137], v[140:141], 1.0
	v_fma_f64 v[140:141], v[140:141], v[142:143], v[140:141]
	v_fma_f64 v[142:143], -v[136:137], v[140:141], 1.0
	v_fma_f64 v[140:141], v[140:141], v[142:143], v[140:141]
	v_div_scale_f64 v[142:143], vcc_lo, 1.0, v[134:135], 1.0
	v_mul_f64 v[144:145], v[142:143], v[140:141]
	v_fma_f64 v[136:137], -v[136:137], v[144:145], v[142:143]
	v_div_fmas_f64 v[136:137], v[136:137], v[140:141], v[144:145]
	v_div_fixup_f64 v[140:141], v[136:137], v[134:135], 1.0
                                        ; implicit-def: $vgpr134_vgpr135
	v_mul_f64 v[138:139], v[138:139], v[140:141]
	v_xor_b32_e32 v141, 0x80000000, v141
.LBB39_122:
	s_andn2_saveexec_b32 s1, s1
	s_cbranch_execz .LBB39_124
; %bb.123:
	v_div_scale_f64 v[138:139], null, v[134:135], v[134:135], v[136:137]
	v_div_scale_f64 v[144:145], vcc_lo, v[136:137], v[134:135], v[136:137]
	v_rcp_f64_e32 v[140:141], v[138:139]
	v_fma_f64 v[142:143], -v[138:139], v[140:141], 1.0
	v_fma_f64 v[140:141], v[140:141], v[142:143], v[140:141]
	v_fma_f64 v[142:143], -v[138:139], v[140:141], 1.0
	v_fma_f64 v[140:141], v[140:141], v[142:143], v[140:141]
	v_mul_f64 v[142:143], v[144:145], v[140:141]
	v_fma_f64 v[138:139], -v[138:139], v[142:143], v[144:145]
	v_div_fmas_f64 v[138:139], v[138:139], v[140:141], v[142:143]
	v_div_fixup_f64 v[140:141], v[138:139], v[134:135], v[136:137]
	v_fma_f64 v[134:135], v[136:137], v[140:141], v[134:135]
	v_div_scale_f64 v[136:137], null, v[134:135], v[134:135], 1.0
	v_rcp_f64_e32 v[138:139], v[136:137]
	v_fma_f64 v[142:143], -v[136:137], v[138:139], 1.0
	v_fma_f64 v[138:139], v[138:139], v[142:143], v[138:139]
	v_fma_f64 v[142:143], -v[136:137], v[138:139], 1.0
	v_fma_f64 v[138:139], v[138:139], v[142:143], v[138:139]
	v_div_scale_f64 v[142:143], vcc_lo, 1.0, v[134:135], 1.0
	v_mul_f64 v[144:145], v[142:143], v[138:139]
	v_fma_f64 v[136:137], -v[136:137], v[144:145], v[142:143]
	v_div_fmas_f64 v[136:137], v[136:137], v[138:139], v[144:145]
	v_div_fixup_f64 v[138:139], v[136:137], v[134:135], 1.0
	v_mul_f64 v[140:141], v[140:141], -v[138:139]
.LBB39_124:
	s_or_b32 exec_lo, exec_lo, s1
	ds_write2_b64 v1, v[138:139], v[140:141] offset1:1
.LBB39_125:
	s_or_b32 exec_lo, exec_lo, s2
	s_waitcnt lgkmcnt(0)
	s_barrier
	buffer_gl0_inv
	ds_read2_b64 v[134:137], v1 offset1:1
	s_mov_b32 s1, exec_lo
	v_cmpx_lt_u32_e32 13, v0
	s_cbranch_execz .LBB39_127
; %bb.126:
	s_waitcnt lgkmcnt(0)
	v_mul_f64 v[138:139], v[134:135], v[36:37]
	v_mul_f64 v[36:37], v[136:137], v[36:37]
	v_fma_f64 v[205:206], v[136:137], v[34:35], v[138:139]
	ds_read2_b64 v[138:141], v204 offset0:28 offset1:29
	ds_read2_b64 v[142:145], v204 offset0:30 offset1:31
	;; [unrolled: 1-line block ×6, first 2 shown]
	v_fma_f64 v[34:35], v[134:135], v[34:35], -v[36:37]
	s_waitcnt lgkmcnt(5)
	v_mul_f64 v[36:37], v[140:141], v[205:206]
	v_mul_f64 v[207:208], v[138:139], v[205:206]
	s_waitcnt lgkmcnt(4)
	v_mul_f64 v[209:210], v[144:145], v[205:206]
	v_mul_f64 v[211:212], v[142:143], v[205:206]
	;; [unrolled: 3-line block ×6, first 2 shown]
	v_fma_f64 v[36:37], v[138:139], v[34:35], -v[36:37]
	v_fma_f64 v[138:139], v[140:141], v[34:35], v[207:208]
	v_fma_f64 v[140:141], v[142:143], v[34:35], -v[209:210]
	v_fma_f64 v[142:143], v[144:145], v[34:35], v[211:212]
	v_fma_f64 v[144:145], v[146:147], v[34:35], -v[213:214]
	v_fma_f64 v[146:147], v[148:149], v[34:35], v[215:216]
	v_fma_f64 v[148:149], v[150:151], v[34:35], -v[217:218]
	v_fma_f64 v[150:151], v[152:153], v[34:35], v[219:220]
	v_fma_f64 v[152:153], v[154:155], v[34:35], -v[221:222]
	v_fma_f64 v[154:155], v[156:157], v[34:35], v[223:224]
	v_fma_f64 v[156:157], v[158:159], v[34:35], -v[225:226]
	v_fma_f64 v[158:159], v[160:161], v[34:35], v[227:228]
	v_add_f64 v[30:31], v[30:31], -v[36:37]
	v_add_f64 v[32:33], v[32:33], -v[138:139]
	;; [unrolled: 1-line block ×12, first 2 shown]
	v_mov_b32_e32 v36, v205
	v_mov_b32_e32 v37, v206
.LBB39_127:
	s_or_b32 exec_lo, exec_lo, s1
	s_mov_b32 s2, exec_lo
	s_waitcnt lgkmcnt(0)
	s_barrier
	buffer_gl0_inv
	v_cmpx_eq_u32_e32 14, v0
	s_cbranch_execz .LBB39_134
; %bb.128:
	ds_write2_b64 v1, v[30:31], v[32:33] offset1:1
	ds_write2_b64 v204, v[26:27], v[28:29] offset0:30 offset1:31
	ds_write2_b64 v204, v[22:23], v[24:25] offset0:32 offset1:33
	;; [unrolled: 1-line block ×5, first 2 shown]
	ds_read2_b64 v[138:141], v1 offset1:1
	s_waitcnt lgkmcnt(0)
	v_cmp_neq_f64_e32 vcc_lo, 0, v[138:139]
	v_cmp_neq_f64_e64 s1, 0, v[140:141]
	s_or_b32 s1, vcc_lo, s1
	s_and_b32 exec_lo, exec_lo, s1
	s_cbranch_execz .LBB39_134
; %bb.129:
	v_cmp_ngt_f64_e64 s1, |v[138:139]|, |v[140:141]|
                                        ; implicit-def: $vgpr142_vgpr143
	s_and_saveexec_b32 s3, s1
	s_xor_b32 s1, exec_lo, s3
                                        ; implicit-def: $vgpr144_vgpr145
	s_cbranch_execz .LBB39_131
; %bb.130:
	v_div_scale_f64 v[142:143], null, v[140:141], v[140:141], v[138:139]
	v_div_scale_f64 v[148:149], vcc_lo, v[138:139], v[140:141], v[138:139]
	v_rcp_f64_e32 v[144:145], v[142:143]
	v_fma_f64 v[146:147], -v[142:143], v[144:145], 1.0
	v_fma_f64 v[144:145], v[144:145], v[146:147], v[144:145]
	v_fma_f64 v[146:147], -v[142:143], v[144:145], 1.0
	v_fma_f64 v[144:145], v[144:145], v[146:147], v[144:145]
	v_mul_f64 v[146:147], v[148:149], v[144:145]
	v_fma_f64 v[142:143], -v[142:143], v[146:147], v[148:149]
	v_div_fmas_f64 v[142:143], v[142:143], v[144:145], v[146:147]
	v_div_fixup_f64 v[142:143], v[142:143], v[140:141], v[138:139]
	v_fma_f64 v[138:139], v[138:139], v[142:143], v[140:141]
	v_div_scale_f64 v[140:141], null, v[138:139], v[138:139], 1.0
	v_rcp_f64_e32 v[144:145], v[140:141]
	v_fma_f64 v[146:147], -v[140:141], v[144:145], 1.0
	v_fma_f64 v[144:145], v[144:145], v[146:147], v[144:145]
	v_fma_f64 v[146:147], -v[140:141], v[144:145], 1.0
	v_fma_f64 v[144:145], v[144:145], v[146:147], v[144:145]
	v_div_scale_f64 v[146:147], vcc_lo, 1.0, v[138:139], 1.0
	v_mul_f64 v[148:149], v[146:147], v[144:145]
	v_fma_f64 v[140:141], -v[140:141], v[148:149], v[146:147]
	v_div_fmas_f64 v[140:141], v[140:141], v[144:145], v[148:149]
	v_div_fixup_f64 v[144:145], v[140:141], v[138:139], 1.0
                                        ; implicit-def: $vgpr138_vgpr139
	v_mul_f64 v[142:143], v[142:143], v[144:145]
	v_xor_b32_e32 v145, 0x80000000, v145
.LBB39_131:
	s_andn2_saveexec_b32 s1, s1
	s_cbranch_execz .LBB39_133
; %bb.132:
	v_div_scale_f64 v[142:143], null, v[138:139], v[138:139], v[140:141]
	v_div_scale_f64 v[148:149], vcc_lo, v[140:141], v[138:139], v[140:141]
	v_rcp_f64_e32 v[144:145], v[142:143]
	v_fma_f64 v[146:147], -v[142:143], v[144:145], 1.0
	v_fma_f64 v[144:145], v[144:145], v[146:147], v[144:145]
	v_fma_f64 v[146:147], -v[142:143], v[144:145], 1.0
	v_fma_f64 v[144:145], v[144:145], v[146:147], v[144:145]
	v_mul_f64 v[146:147], v[148:149], v[144:145]
	v_fma_f64 v[142:143], -v[142:143], v[146:147], v[148:149]
	v_div_fmas_f64 v[142:143], v[142:143], v[144:145], v[146:147]
	v_div_fixup_f64 v[144:145], v[142:143], v[138:139], v[140:141]
	v_fma_f64 v[138:139], v[140:141], v[144:145], v[138:139]
	v_div_scale_f64 v[140:141], null, v[138:139], v[138:139], 1.0
	v_rcp_f64_e32 v[142:143], v[140:141]
	v_fma_f64 v[146:147], -v[140:141], v[142:143], 1.0
	v_fma_f64 v[142:143], v[142:143], v[146:147], v[142:143]
	v_fma_f64 v[146:147], -v[140:141], v[142:143], 1.0
	v_fma_f64 v[142:143], v[142:143], v[146:147], v[142:143]
	v_div_scale_f64 v[146:147], vcc_lo, 1.0, v[138:139], 1.0
	v_mul_f64 v[148:149], v[146:147], v[142:143]
	v_fma_f64 v[140:141], -v[140:141], v[148:149], v[146:147]
	v_div_fmas_f64 v[140:141], v[140:141], v[142:143], v[148:149]
	v_div_fixup_f64 v[142:143], v[140:141], v[138:139], 1.0
	v_mul_f64 v[144:145], v[144:145], -v[142:143]
.LBB39_133:
	s_or_b32 exec_lo, exec_lo, s1
	ds_write2_b64 v1, v[142:143], v[144:145] offset1:1
.LBB39_134:
	s_or_b32 exec_lo, exec_lo, s2
	s_waitcnt lgkmcnt(0)
	s_barrier
	buffer_gl0_inv
	ds_read2_b64 v[138:141], v1 offset1:1
	s_mov_b32 s1, exec_lo
	v_cmpx_lt_u32_e32 14, v0
	s_cbranch_execz .LBB39_136
; %bb.135:
	s_waitcnt lgkmcnt(0)
	v_mul_f64 v[142:143], v[138:139], v[32:33]
	v_mul_f64 v[32:33], v[140:141], v[32:33]
	v_fma_f64 v[205:206], v[140:141], v[30:31], v[142:143]
	ds_read2_b64 v[142:145], v204 offset0:30 offset1:31
	ds_read2_b64 v[146:149], v204 offset0:32 offset1:33
	;; [unrolled: 1-line block ×5, first 2 shown]
	v_fma_f64 v[30:31], v[138:139], v[30:31], -v[32:33]
	s_waitcnt lgkmcnt(4)
	v_mul_f64 v[32:33], v[144:145], v[205:206]
	v_mul_f64 v[207:208], v[142:143], v[205:206]
	s_waitcnt lgkmcnt(3)
	v_mul_f64 v[209:210], v[148:149], v[205:206]
	v_mul_f64 v[211:212], v[146:147], v[205:206]
	;; [unrolled: 3-line block ×5, first 2 shown]
	v_fma_f64 v[32:33], v[142:143], v[30:31], -v[32:33]
	v_fma_f64 v[142:143], v[144:145], v[30:31], v[207:208]
	v_fma_f64 v[144:145], v[146:147], v[30:31], -v[209:210]
	v_fma_f64 v[146:147], v[148:149], v[30:31], v[211:212]
	;; [unrolled: 2-line block ×5, first 2 shown]
	v_add_f64 v[26:27], v[26:27], -v[32:33]
	v_add_f64 v[28:29], v[28:29], -v[142:143]
	;; [unrolled: 1-line block ×10, first 2 shown]
	v_mov_b32_e32 v32, v205
	v_mov_b32_e32 v33, v206
.LBB39_136:
	s_or_b32 exec_lo, exec_lo, s1
	s_mov_b32 s2, exec_lo
	s_waitcnt lgkmcnt(0)
	s_barrier
	buffer_gl0_inv
	v_cmpx_eq_u32_e32 15, v0
	s_cbranch_execz .LBB39_143
; %bb.137:
	ds_write2_b64 v1, v[26:27], v[28:29] offset1:1
	ds_write2_b64 v204, v[22:23], v[24:25] offset0:32 offset1:33
	ds_write2_b64 v204, v[18:19], v[20:21] offset0:34 offset1:35
	;; [unrolled: 1-line block ×4, first 2 shown]
	ds_read2_b64 v[142:145], v1 offset1:1
	s_waitcnt lgkmcnt(0)
	v_cmp_neq_f64_e32 vcc_lo, 0, v[142:143]
	v_cmp_neq_f64_e64 s1, 0, v[144:145]
	s_or_b32 s1, vcc_lo, s1
	s_and_b32 exec_lo, exec_lo, s1
	s_cbranch_execz .LBB39_143
; %bb.138:
	v_cmp_ngt_f64_e64 s1, |v[142:143]|, |v[144:145]|
                                        ; implicit-def: $vgpr146_vgpr147
	s_and_saveexec_b32 s3, s1
	s_xor_b32 s1, exec_lo, s3
                                        ; implicit-def: $vgpr148_vgpr149
	s_cbranch_execz .LBB39_140
; %bb.139:
	v_div_scale_f64 v[146:147], null, v[144:145], v[144:145], v[142:143]
	v_div_scale_f64 v[152:153], vcc_lo, v[142:143], v[144:145], v[142:143]
	v_rcp_f64_e32 v[148:149], v[146:147]
	v_fma_f64 v[150:151], -v[146:147], v[148:149], 1.0
	v_fma_f64 v[148:149], v[148:149], v[150:151], v[148:149]
	v_fma_f64 v[150:151], -v[146:147], v[148:149], 1.0
	v_fma_f64 v[148:149], v[148:149], v[150:151], v[148:149]
	v_mul_f64 v[150:151], v[152:153], v[148:149]
	v_fma_f64 v[146:147], -v[146:147], v[150:151], v[152:153]
	v_div_fmas_f64 v[146:147], v[146:147], v[148:149], v[150:151]
	v_div_fixup_f64 v[146:147], v[146:147], v[144:145], v[142:143]
	v_fma_f64 v[142:143], v[142:143], v[146:147], v[144:145]
	v_div_scale_f64 v[144:145], null, v[142:143], v[142:143], 1.0
	v_rcp_f64_e32 v[148:149], v[144:145]
	v_fma_f64 v[150:151], -v[144:145], v[148:149], 1.0
	v_fma_f64 v[148:149], v[148:149], v[150:151], v[148:149]
	v_fma_f64 v[150:151], -v[144:145], v[148:149], 1.0
	v_fma_f64 v[148:149], v[148:149], v[150:151], v[148:149]
	v_div_scale_f64 v[150:151], vcc_lo, 1.0, v[142:143], 1.0
	v_mul_f64 v[152:153], v[150:151], v[148:149]
	v_fma_f64 v[144:145], -v[144:145], v[152:153], v[150:151]
	v_div_fmas_f64 v[144:145], v[144:145], v[148:149], v[152:153]
	v_div_fixup_f64 v[148:149], v[144:145], v[142:143], 1.0
                                        ; implicit-def: $vgpr142_vgpr143
	v_mul_f64 v[146:147], v[146:147], v[148:149]
	v_xor_b32_e32 v149, 0x80000000, v149
.LBB39_140:
	s_andn2_saveexec_b32 s1, s1
	s_cbranch_execz .LBB39_142
; %bb.141:
	v_div_scale_f64 v[146:147], null, v[142:143], v[142:143], v[144:145]
	v_div_scale_f64 v[152:153], vcc_lo, v[144:145], v[142:143], v[144:145]
	v_rcp_f64_e32 v[148:149], v[146:147]
	v_fma_f64 v[150:151], -v[146:147], v[148:149], 1.0
	v_fma_f64 v[148:149], v[148:149], v[150:151], v[148:149]
	v_fma_f64 v[150:151], -v[146:147], v[148:149], 1.0
	v_fma_f64 v[148:149], v[148:149], v[150:151], v[148:149]
	v_mul_f64 v[150:151], v[152:153], v[148:149]
	v_fma_f64 v[146:147], -v[146:147], v[150:151], v[152:153]
	v_div_fmas_f64 v[146:147], v[146:147], v[148:149], v[150:151]
	v_div_fixup_f64 v[148:149], v[146:147], v[142:143], v[144:145]
	v_fma_f64 v[142:143], v[144:145], v[148:149], v[142:143]
	v_div_scale_f64 v[144:145], null, v[142:143], v[142:143], 1.0
	v_rcp_f64_e32 v[146:147], v[144:145]
	v_fma_f64 v[150:151], -v[144:145], v[146:147], 1.0
	v_fma_f64 v[146:147], v[146:147], v[150:151], v[146:147]
	v_fma_f64 v[150:151], -v[144:145], v[146:147], 1.0
	v_fma_f64 v[146:147], v[146:147], v[150:151], v[146:147]
	v_div_scale_f64 v[150:151], vcc_lo, 1.0, v[142:143], 1.0
	v_mul_f64 v[152:153], v[150:151], v[146:147]
	v_fma_f64 v[144:145], -v[144:145], v[152:153], v[150:151]
	v_div_fmas_f64 v[144:145], v[144:145], v[146:147], v[152:153]
	v_div_fixup_f64 v[146:147], v[144:145], v[142:143], 1.0
	v_mul_f64 v[148:149], v[148:149], -v[146:147]
.LBB39_142:
	s_or_b32 exec_lo, exec_lo, s1
	ds_write2_b64 v1, v[146:147], v[148:149] offset1:1
.LBB39_143:
	s_or_b32 exec_lo, exec_lo, s2
	s_waitcnt lgkmcnt(0)
	s_barrier
	buffer_gl0_inv
	ds_read2_b64 v[142:145], v1 offset1:1
	s_mov_b32 s1, exec_lo
	v_cmpx_lt_u32_e32 15, v0
	s_cbranch_execz .LBB39_145
; %bb.144:
	s_waitcnt lgkmcnt(0)
	v_mul_f64 v[146:147], v[142:143], v[28:29]
	v_mul_f64 v[28:29], v[144:145], v[28:29]
	v_fma_f64 v[205:206], v[144:145], v[26:27], v[146:147]
	ds_read2_b64 v[146:149], v204 offset0:32 offset1:33
	ds_read2_b64 v[150:153], v204 offset0:34 offset1:35
	;; [unrolled: 1-line block ×4, first 2 shown]
	v_fma_f64 v[26:27], v[142:143], v[26:27], -v[28:29]
	s_waitcnt lgkmcnt(3)
	v_mul_f64 v[28:29], v[148:149], v[205:206]
	v_mul_f64 v[207:208], v[146:147], v[205:206]
	s_waitcnt lgkmcnt(2)
	v_mul_f64 v[209:210], v[152:153], v[205:206]
	v_mul_f64 v[211:212], v[150:151], v[205:206]
	;; [unrolled: 3-line block ×4, first 2 shown]
	v_fma_f64 v[28:29], v[146:147], v[26:27], -v[28:29]
	v_fma_f64 v[146:147], v[148:149], v[26:27], v[207:208]
	v_fma_f64 v[148:149], v[150:151], v[26:27], -v[209:210]
	v_fma_f64 v[150:151], v[152:153], v[26:27], v[211:212]
	;; [unrolled: 2-line block ×4, first 2 shown]
	v_add_f64 v[22:23], v[22:23], -v[28:29]
	v_add_f64 v[24:25], v[24:25], -v[146:147]
	;; [unrolled: 1-line block ×8, first 2 shown]
	v_mov_b32_e32 v28, v205
	v_mov_b32_e32 v29, v206
.LBB39_145:
	s_or_b32 exec_lo, exec_lo, s1
	s_mov_b32 s2, exec_lo
	s_waitcnt lgkmcnt(0)
	s_barrier
	buffer_gl0_inv
	v_cmpx_eq_u32_e32 16, v0
	s_cbranch_execz .LBB39_152
; %bb.146:
	ds_write2_b64 v1, v[22:23], v[24:25] offset1:1
	ds_write2_b64 v204, v[18:19], v[20:21] offset0:34 offset1:35
	ds_write2_b64 v204, v[14:15], v[16:17] offset0:36 offset1:37
	;; [unrolled: 1-line block ×3, first 2 shown]
	ds_read2_b64 v[146:149], v1 offset1:1
	s_waitcnt lgkmcnt(0)
	v_cmp_neq_f64_e32 vcc_lo, 0, v[146:147]
	v_cmp_neq_f64_e64 s1, 0, v[148:149]
	s_or_b32 s1, vcc_lo, s1
	s_and_b32 exec_lo, exec_lo, s1
	s_cbranch_execz .LBB39_152
; %bb.147:
	v_cmp_ngt_f64_e64 s1, |v[146:147]|, |v[148:149]|
                                        ; implicit-def: $vgpr150_vgpr151
	s_and_saveexec_b32 s3, s1
	s_xor_b32 s1, exec_lo, s3
                                        ; implicit-def: $vgpr152_vgpr153
	s_cbranch_execz .LBB39_149
; %bb.148:
	v_div_scale_f64 v[150:151], null, v[148:149], v[148:149], v[146:147]
	v_div_scale_f64 v[156:157], vcc_lo, v[146:147], v[148:149], v[146:147]
	v_rcp_f64_e32 v[152:153], v[150:151]
	v_fma_f64 v[154:155], -v[150:151], v[152:153], 1.0
	v_fma_f64 v[152:153], v[152:153], v[154:155], v[152:153]
	v_fma_f64 v[154:155], -v[150:151], v[152:153], 1.0
	v_fma_f64 v[152:153], v[152:153], v[154:155], v[152:153]
	v_mul_f64 v[154:155], v[156:157], v[152:153]
	v_fma_f64 v[150:151], -v[150:151], v[154:155], v[156:157]
	v_div_fmas_f64 v[150:151], v[150:151], v[152:153], v[154:155]
	v_div_fixup_f64 v[150:151], v[150:151], v[148:149], v[146:147]
	v_fma_f64 v[146:147], v[146:147], v[150:151], v[148:149]
	v_div_scale_f64 v[148:149], null, v[146:147], v[146:147], 1.0
	v_rcp_f64_e32 v[152:153], v[148:149]
	v_fma_f64 v[154:155], -v[148:149], v[152:153], 1.0
	v_fma_f64 v[152:153], v[152:153], v[154:155], v[152:153]
	v_fma_f64 v[154:155], -v[148:149], v[152:153], 1.0
	v_fma_f64 v[152:153], v[152:153], v[154:155], v[152:153]
	v_div_scale_f64 v[154:155], vcc_lo, 1.0, v[146:147], 1.0
	v_mul_f64 v[156:157], v[154:155], v[152:153]
	v_fma_f64 v[148:149], -v[148:149], v[156:157], v[154:155]
	v_div_fmas_f64 v[148:149], v[148:149], v[152:153], v[156:157]
	v_div_fixup_f64 v[152:153], v[148:149], v[146:147], 1.0
                                        ; implicit-def: $vgpr146_vgpr147
	v_mul_f64 v[150:151], v[150:151], v[152:153]
	v_xor_b32_e32 v153, 0x80000000, v153
.LBB39_149:
	s_andn2_saveexec_b32 s1, s1
	s_cbranch_execz .LBB39_151
; %bb.150:
	v_div_scale_f64 v[150:151], null, v[146:147], v[146:147], v[148:149]
	v_div_scale_f64 v[156:157], vcc_lo, v[148:149], v[146:147], v[148:149]
	v_rcp_f64_e32 v[152:153], v[150:151]
	v_fma_f64 v[154:155], -v[150:151], v[152:153], 1.0
	v_fma_f64 v[152:153], v[152:153], v[154:155], v[152:153]
	v_fma_f64 v[154:155], -v[150:151], v[152:153], 1.0
	v_fma_f64 v[152:153], v[152:153], v[154:155], v[152:153]
	v_mul_f64 v[154:155], v[156:157], v[152:153]
	v_fma_f64 v[150:151], -v[150:151], v[154:155], v[156:157]
	v_div_fmas_f64 v[150:151], v[150:151], v[152:153], v[154:155]
	v_div_fixup_f64 v[152:153], v[150:151], v[146:147], v[148:149]
	v_fma_f64 v[146:147], v[148:149], v[152:153], v[146:147]
	v_div_scale_f64 v[148:149], null, v[146:147], v[146:147], 1.0
	v_rcp_f64_e32 v[150:151], v[148:149]
	v_fma_f64 v[154:155], -v[148:149], v[150:151], 1.0
	v_fma_f64 v[150:151], v[150:151], v[154:155], v[150:151]
	v_fma_f64 v[154:155], -v[148:149], v[150:151], 1.0
	v_fma_f64 v[150:151], v[150:151], v[154:155], v[150:151]
	v_div_scale_f64 v[154:155], vcc_lo, 1.0, v[146:147], 1.0
	v_mul_f64 v[156:157], v[154:155], v[150:151]
	v_fma_f64 v[148:149], -v[148:149], v[156:157], v[154:155]
	v_div_fmas_f64 v[148:149], v[148:149], v[150:151], v[156:157]
	v_div_fixup_f64 v[150:151], v[148:149], v[146:147], 1.0
	v_mul_f64 v[152:153], v[152:153], -v[150:151]
.LBB39_151:
	s_or_b32 exec_lo, exec_lo, s1
	ds_write2_b64 v1, v[150:151], v[152:153] offset1:1
.LBB39_152:
	s_or_b32 exec_lo, exec_lo, s2
	s_waitcnt lgkmcnt(0)
	s_barrier
	buffer_gl0_inv
	ds_read2_b64 v[146:149], v1 offset1:1
	s_mov_b32 s1, exec_lo
	v_cmpx_lt_u32_e32 16, v0
	s_cbranch_execz .LBB39_154
; %bb.153:
	s_waitcnt lgkmcnt(0)
	v_mul_f64 v[150:151], v[146:147], v[24:25]
	v_mul_f64 v[24:25], v[148:149], v[24:25]
	v_fma_f64 v[205:206], v[148:149], v[22:23], v[150:151]
	ds_read2_b64 v[150:153], v204 offset0:34 offset1:35
	ds_read2_b64 v[154:157], v204 offset0:36 offset1:37
	;; [unrolled: 1-line block ×3, first 2 shown]
	v_fma_f64 v[22:23], v[146:147], v[22:23], -v[24:25]
	s_waitcnt lgkmcnt(2)
	v_mul_f64 v[24:25], v[152:153], v[205:206]
	v_mul_f64 v[207:208], v[150:151], v[205:206]
	s_waitcnt lgkmcnt(1)
	v_mul_f64 v[209:210], v[156:157], v[205:206]
	v_mul_f64 v[211:212], v[154:155], v[205:206]
	;; [unrolled: 3-line block ×3, first 2 shown]
	v_fma_f64 v[24:25], v[150:151], v[22:23], -v[24:25]
	v_fma_f64 v[150:151], v[152:153], v[22:23], v[207:208]
	v_fma_f64 v[152:153], v[154:155], v[22:23], -v[209:210]
	v_fma_f64 v[154:155], v[156:157], v[22:23], v[211:212]
	;; [unrolled: 2-line block ×3, first 2 shown]
	v_add_f64 v[18:19], v[18:19], -v[24:25]
	v_add_f64 v[20:21], v[20:21], -v[150:151]
	;; [unrolled: 1-line block ×6, first 2 shown]
	v_mov_b32_e32 v24, v205
	v_mov_b32_e32 v25, v206
.LBB39_154:
	s_or_b32 exec_lo, exec_lo, s1
	s_mov_b32 s2, exec_lo
	s_waitcnt lgkmcnt(0)
	s_barrier
	buffer_gl0_inv
	v_cmpx_eq_u32_e32 17, v0
	s_cbranch_execz .LBB39_161
; %bb.155:
	ds_write2_b64 v1, v[18:19], v[20:21] offset1:1
	ds_write2_b64 v204, v[14:15], v[16:17] offset0:36 offset1:37
	ds_write2_b64 v204, v[10:11], v[12:13] offset0:38 offset1:39
	ds_read2_b64 v[150:153], v1 offset1:1
	s_waitcnt lgkmcnt(0)
	v_cmp_neq_f64_e32 vcc_lo, 0, v[150:151]
	v_cmp_neq_f64_e64 s1, 0, v[152:153]
	s_or_b32 s1, vcc_lo, s1
	s_and_b32 exec_lo, exec_lo, s1
	s_cbranch_execz .LBB39_161
; %bb.156:
	v_cmp_ngt_f64_e64 s1, |v[150:151]|, |v[152:153]|
                                        ; implicit-def: $vgpr154_vgpr155
	s_and_saveexec_b32 s3, s1
	s_xor_b32 s1, exec_lo, s3
                                        ; implicit-def: $vgpr156_vgpr157
	s_cbranch_execz .LBB39_158
; %bb.157:
	v_div_scale_f64 v[154:155], null, v[152:153], v[152:153], v[150:151]
	v_div_scale_f64 v[160:161], vcc_lo, v[150:151], v[152:153], v[150:151]
	v_rcp_f64_e32 v[156:157], v[154:155]
	v_fma_f64 v[158:159], -v[154:155], v[156:157], 1.0
	v_fma_f64 v[156:157], v[156:157], v[158:159], v[156:157]
	v_fma_f64 v[158:159], -v[154:155], v[156:157], 1.0
	v_fma_f64 v[156:157], v[156:157], v[158:159], v[156:157]
	v_mul_f64 v[158:159], v[160:161], v[156:157]
	v_fma_f64 v[154:155], -v[154:155], v[158:159], v[160:161]
	v_div_fmas_f64 v[154:155], v[154:155], v[156:157], v[158:159]
	v_div_fixup_f64 v[154:155], v[154:155], v[152:153], v[150:151]
	v_fma_f64 v[150:151], v[150:151], v[154:155], v[152:153]
	v_div_scale_f64 v[152:153], null, v[150:151], v[150:151], 1.0
	v_rcp_f64_e32 v[156:157], v[152:153]
	v_fma_f64 v[158:159], -v[152:153], v[156:157], 1.0
	v_fma_f64 v[156:157], v[156:157], v[158:159], v[156:157]
	v_fma_f64 v[158:159], -v[152:153], v[156:157], 1.0
	v_fma_f64 v[156:157], v[156:157], v[158:159], v[156:157]
	v_div_scale_f64 v[158:159], vcc_lo, 1.0, v[150:151], 1.0
	v_mul_f64 v[160:161], v[158:159], v[156:157]
	v_fma_f64 v[152:153], -v[152:153], v[160:161], v[158:159]
	v_div_fmas_f64 v[152:153], v[152:153], v[156:157], v[160:161]
	v_div_fixup_f64 v[156:157], v[152:153], v[150:151], 1.0
                                        ; implicit-def: $vgpr150_vgpr151
	v_mul_f64 v[154:155], v[154:155], v[156:157]
	v_xor_b32_e32 v157, 0x80000000, v157
.LBB39_158:
	s_andn2_saveexec_b32 s1, s1
	s_cbranch_execz .LBB39_160
; %bb.159:
	v_div_scale_f64 v[154:155], null, v[150:151], v[150:151], v[152:153]
	v_div_scale_f64 v[160:161], vcc_lo, v[152:153], v[150:151], v[152:153]
	v_rcp_f64_e32 v[156:157], v[154:155]
	v_fma_f64 v[158:159], -v[154:155], v[156:157], 1.0
	v_fma_f64 v[156:157], v[156:157], v[158:159], v[156:157]
	v_fma_f64 v[158:159], -v[154:155], v[156:157], 1.0
	v_fma_f64 v[156:157], v[156:157], v[158:159], v[156:157]
	v_mul_f64 v[158:159], v[160:161], v[156:157]
	v_fma_f64 v[154:155], -v[154:155], v[158:159], v[160:161]
	v_div_fmas_f64 v[154:155], v[154:155], v[156:157], v[158:159]
	v_div_fixup_f64 v[156:157], v[154:155], v[150:151], v[152:153]
	v_fma_f64 v[150:151], v[152:153], v[156:157], v[150:151]
	v_div_scale_f64 v[152:153], null, v[150:151], v[150:151], 1.0
	v_rcp_f64_e32 v[154:155], v[152:153]
	v_fma_f64 v[158:159], -v[152:153], v[154:155], 1.0
	v_fma_f64 v[154:155], v[154:155], v[158:159], v[154:155]
	v_fma_f64 v[158:159], -v[152:153], v[154:155], 1.0
	v_fma_f64 v[154:155], v[154:155], v[158:159], v[154:155]
	v_div_scale_f64 v[158:159], vcc_lo, 1.0, v[150:151], 1.0
	v_mul_f64 v[160:161], v[158:159], v[154:155]
	v_fma_f64 v[152:153], -v[152:153], v[160:161], v[158:159]
	v_div_fmas_f64 v[152:153], v[152:153], v[154:155], v[160:161]
	v_div_fixup_f64 v[154:155], v[152:153], v[150:151], 1.0
	v_mul_f64 v[156:157], v[156:157], -v[154:155]
.LBB39_160:
	s_or_b32 exec_lo, exec_lo, s1
	ds_write2_b64 v1, v[154:155], v[156:157] offset1:1
.LBB39_161:
	s_or_b32 exec_lo, exec_lo, s2
	s_waitcnt lgkmcnt(0)
	s_barrier
	buffer_gl0_inv
	ds_read2_b64 v[150:153], v1 offset1:1
	s_mov_b32 s1, exec_lo
	v_cmpx_lt_u32_e32 17, v0
	s_cbranch_execz .LBB39_163
; %bb.162:
	s_waitcnt lgkmcnt(0)
	v_mul_f64 v[154:155], v[150:151], v[20:21]
	v_mul_f64 v[20:21], v[152:153], v[20:21]
	v_fma_f64 v[205:206], v[152:153], v[18:19], v[154:155]
	ds_read2_b64 v[154:157], v204 offset0:36 offset1:37
	ds_read2_b64 v[158:161], v204 offset0:38 offset1:39
	v_fma_f64 v[18:19], v[150:151], v[18:19], -v[20:21]
	s_waitcnt lgkmcnt(1)
	v_mul_f64 v[20:21], v[156:157], v[205:206]
	v_mul_f64 v[207:208], v[154:155], v[205:206]
	s_waitcnt lgkmcnt(0)
	v_mul_f64 v[209:210], v[160:161], v[205:206]
	v_mul_f64 v[211:212], v[158:159], v[205:206]
	v_fma_f64 v[20:21], v[154:155], v[18:19], -v[20:21]
	v_fma_f64 v[154:155], v[156:157], v[18:19], v[207:208]
	v_fma_f64 v[156:157], v[158:159], v[18:19], -v[209:210]
	v_fma_f64 v[158:159], v[160:161], v[18:19], v[211:212]
	v_add_f64 v[14:15], v[14:15], -v[20:21]
	v_add_f64 v[16:17], v[16:17], -v[154:155]
	;; [unrolled: 1-line block ×4, first 2 shown]
	v_mov_b32_e32 v20, v205
	v_mov_b32_e32 v21, v206
.LBB39_163:
	s_or_b32 exec_lo, exec_lo, s1
	s_mov_b32 s2, exec_lo
	s_waitcnt lgkmcnt(0)
	s_barrier
	buffer_gl0_inv
	v_cmpx_eq_u32_e32 18, v0
	s_cbranch_execz .LBB39_170
; %bb.164:
	ds_write2_b64 v1, v[14:15], v[16:17] offset1:1
	ds_write2_b64 v204, v[10:11], v[12:13] offset0:38 offset1:39
	ds_read2_b64 v[154:157], v1 offset1:1
	s_waitcnt lgkmcnt(0)
	v_cmp_neq_f64_e32 vcc_lo, 0, v[154:155]
	v_cmp_neq_f64_e64 s1, 0, v[156:157]
	s_or_b32 s1, vcc_lo, s1
	s_and_b32 exec_lo, exec_lo, s1
	s_cbranch_execz .LBB39_170
; %bb.165:
	v_cmp_ngt_f64_e64 s1, |v[154:155]|, |v[156:157]|
                                        ; implicit-def: $vgpr158_vgpr159
	s_and_saveexec_b32 s3, s1
	s_xor_b32 s1, exec_lo, s3
                                        ; implicit-def: $vgpr160_vgpr161
	s_cbranch_execz .LBB39_167
; %bb.166:
	v_div_scale_f64 v[158:159], null, v[156:157], v[156:157], v[154:155]
	v_div_scale_f64 v[207:208], vcc_lo, v[154:155], v[156:157], v[154:155]
	v_rcp_f64_e32 v[160:161], v[158:159]
	v_fma_f64 v[205:206], -v[158:159], v[160:161], 1.0
	v_fma_f64 v[160:161], v[160:161], v[205:206], v[160:161]
	v_fma_f64 v[205:206], -v[158:159], v[160:161], 1.0
	v_fma_f64 v[160:161], v[160:161], v[205:206], v[160:161]
	v_mul_f64 v[205:206], v[207:208], v[160:161]
	v_fma_f64 v[158:159], -v[158:159], v[205:206], v[207:208]
	v_div_fmas_f64 v[158:159], v[158:159], v[160:161], v[205:206]
	v_div_fixup_f64 v[158:159], v[158:159], v[156:157], v[154:155]
	v_fma_f64 v[154:155], v[154:155], v[158:159], v[156:157]
	v_div_scale_f64 v[156:157], null, v[154:155], v[154:155], 1.0
	v_rcp_f64_e32 v[160:161], v[156:157]
	v_fma_f64 v[205:206], -v[156:157], v[160:161], 1.0
	v_fma_f64 v[160:161], v[160:161], v[205:206], v[160:161]
	v_fma_f64 v[205:206], -v[156:157], v[160:161], 1.0
	v_fma_f64 v[160:161], v[160:161], v[205:206], v[160:161]
	v_div_scale_f64 v[205:206], vcc_lo, 1.0, v[154:155], 1.0
	v_mul_f64 v[207:208], v[205:206], v[160:161]
	v_fma_f64 v[156:157], -v[156:157], v[207:208], v[205:206]
	v_div_fmas_f64 v[156:157], v[156:157], v[160:161], v[207:208]
	v_div_fixup_f64 v[160:161], v[156:157], v[154:155], 1.0
                                        ; implicit-def: $vgpr154_vgpr155
	v_mul_f64 v[158:159], v[158:159], v[160:161]
	v_xor_b32_e32 v161, 0x80000000, v161
.LBB39_167:
	s_andn2_saveexec_b32 s1, s1
	s_cbranch_execz .LBB39_169
; %bb.168:
	v_div_scale_f64 v[158:159], null, v[154:155], v[154:155], v[156:157]
	v_div_scale_f64 v[207:208], vcc_lo, v[156:157], v[154:155], v[156:157]
	v_rcp_f64_e32 v[160:161], v[158:159]
	v_fma_f64 v[205:206], -v[158:159], v[160:161], 1.0
	v_fma_f64 v[160:161], v[160:161], v[205:206], v[160:161]
	v_fma_f64 v[205:206], -v[158:159], v[160:161], 1.0
	v_fma_f64 v[160:161], v[160:161], v[205:206], v[160:161]
	v_mul_f64 v[205:206], v[207:208], v[160:161]
	v_fma_f64 v[158:159], -v[158:159], v[205:206], v[207:208]
	v_div_fmas_f64 v[158:159], v[158:159], v[160:161], v[205:206]
	v_div_fixup_f64 v[160:161], v[158:159], v[154:155], v[156:157]
	v_fma_f64 v[154:155], v[156:157], v[160:161], v[154:155]
	v_div_scale_f64 v[156:157], null, v[154:155], v[154:155], 1.0
	v_rcp_f64_e32 v[158:159], v[156:157]
	v_fma_f64 v[205:206], -v[156:157], v[158:159], 1.0
	v_fma_f64 v[158:159], v[158:159], v[205:206], v[158:159]
	v_fma_f64 v[205:206], -v[156:157], v[158:159], 1.0
	v_fma_f64 v[158:159], v[158:159], v[205:206], v[158:159]
	v_div_scale_f64 v[205:206], vcc_lo, 1.0, v[154:155], 1.0
	v_mul_f64 v[207:208], v[205:206], v[158:159]
	v_fma_f64 v[156:157], -v[156:157], v[207:208], v[205:206]
	v_div_fmas_f64 v[156:157], v[156:157], v[158:159], v[207:208]
	v_div_fixup_f64 v[158:159], v[156:157], v[154:155], 1.0
	v_mul_f64 v[160:161], v[160:161], -v[158:159]
.LBB39_169:
	s_or_b32 exec_lo, exec_lo, s1
	ds_write2_b64 v1, v[158:159], v[160:161] offset1:1
.LBB39_170:
	s_or_b32 exec_lo, exec_lo, s2
	s_waitcnt lgkmcnt(0)
	s_barrier
	buffer_gl0_inv
	ds_read2_b64 v[154:157], v1 offset1:1
	s_mov_b32 s1, exec_lo
	v_cmpx_lt_u32_e32 18, v0
	s_cbranch_execz .LBB39_172
; %bb.171:
	s_waitcnt lgkmcnt(0)
	v_mul_f64 v[158:159], v[154:155], v[16:17]
	v_mul_f64 v[16:17], v[156:157], v[16:17]
	v_fma_f64 v[205:206], v[156:157], v[14:15], v[158:159]
	ds_read2_b64 v[158:161], v204 offset0:38 offset1:39
	v_fma_f64 v[14:15], v[154:155], v[14:15], -v[16:17]
	s_waitcnt lgkmcnt(0)
	v_mul_f64 v[16:17], v[160:161], v[205:206]
	v_mul_f64 v[207:208], v[158:159], v[205:206]
	v_fma_f64 v[16:17], v[158:159], v[14:15], -v[16:17]
	v_fma_f64 v[158:159], v[160:161], v[14:15], v[207:208]
	v_add_f64 v[10:11], v[10:11], -v[16:17]
	v_add_f64 v[12:13], v[12:13], -v[158:159]
	v_mov_b32_e32 v16, v205
	v_mov_b32_e32 v17, v206
.LBB39_172:
	s_or_b32 exec_lo, exec_lo, s1
	s_mov_b32 s2, exec_lo
	s_waitcnt lgkmcnt(0)
	s_barrier
	buffer_gl0_inv
	v_cmpx_eq_u32_e32 19, v0
	s_cbranch_execz .LBB39_179
; %bb.173:
	v_cmp_neq_f64_e32 vcc_lo, 0, v[10:11]
	v_cmp_neq_f64_e64 s1, 0, v[12:13]
	ds_write2_b64 v1, v[10:11], v[12:13] offset1:1
	s_or_b32 s1, vcc_lo, s1
	s_and_b32 exec_lo, exec_lo, s1
	s_cbranch_execz .LBB39_179
; %bb.174:
	v_cmp_ngt_f64_e64 s1, |v[10:11]|, |v[12:13]|
                                        ; implicit-def: $vgpr158_vgpr159
	s_and_saveexec_b32 s3, s1
	s_xor_b32 s1, exec_lo, s3
                                        ; implicit-def: $vgpr160_vgpr161
	s_cbranch_execz .LBB39_176
; %bb.175:
	v_div_scale_f64 v[158:159], null, v[12:13], v[12:13], v[10:11]
	v_div_scale_f64 v[206:207], vcc_lo, v[10:11], v[12:13], v[10:11]
	v_rcp_f64_e32 v[160:161], v[158:159]
	v_fma_f64 v[204:205], -v[158:159], v[160:161], 1.0
	v_fma_f64 v[160:161], v[160:161], v[204:205], v[160:161]
	v_fma_f64 v[204:205], -v[158:159], v[160:161], 1.0
	v_fma_f64 v[160:161], v[160:161], v[204:205], v[160:161]
	v_mul_f64 v[204:205], v[206:207], v[160:161]
	v_fma_f64 v[158:159], -v[158:159], v[204:205], v[206:207]
	v_div_fmas_f64 v[158:159], v[158:159], v[160:161], v[204:205]
	v_div_fixup_f64 v[158:159], v[158:159], v[12:13], v[10:11]
	v_fma_f64 v[160:161], v[10:11], v[158:159], v[12:13]
	v_div_scale_f64 v[204:205], null, v[160:161], v[160:161], 1.0
	v_rcp_f64_e32 v[206:207], v[204:205]
	v_fma_f64 v[208:209], -v[204:205], v[206:207], 1.0
	v_fma_f64 v[206:207], v[206:207], v[208:209], v[206:207]
	v_fma_f64 v[208:209], -v[204:205], v[206:207], 1.0
	v_fma_f64 v[206:207], v[206:207], v[208:209], v[206:207]
	v_div_scale_f64 v[208:209], vcc_lo, 1.0, v[160:161], 1.0
	v_mul_f64 v[210:211], v[208:209], v[206:207]
	v_fma_f64 v[204:205], -v[204:205], v[210:211], v[208:209]
	v_div_fmas_f64 v[204:205], v[204:205], v[206:207], v[210:211]
	v_div_fixup_f64 v[160:161], v[204:205], v[160:161], 1.0
	v_mul_f64 v[158:159], v[158:159], v[160:161]
	v_xor_b32_e32 v161, 0x80000000, v161
.LBB39_176:
	s_andn2_saveexec_b32 s1, s1
	s_cbranch_execz .LBB39_178
; %bb.177:
	v_div_scale_f64 v[158:159], null, v[10:11], v[10:11], v[12:13]
	v_div_scale_f64 v[206:207], vcc_lo, v[12:13], v[10:11], v[12:13]
	v_rcp_f64_e32 v[160:161], v[158:159]
	v_fma_f64 v[204:205], -v[158:159], v[160:161], 1.0
	v_fma_f64 v[160:161], v[160:161], v[204:205], v[160:161]
	v_fma_f64 v[204:205], -v[158:159], v[160:161], 1.0
	v_fma_f64 v[160:161], v[160:161], v[204:205], v[160:161]
	v_mul_f64 v[204:205], v[206:207], v[160:161]
	v_fma_f64 v[158:159], -v[158:159], v[204:205], v[206:207]
	v_div_fmas_f64 v[158:159], v[158:159], v[160:161], v[204:205]
	v_div_fixup_f64 v[160:161], v[158:159], v[10:11], v[12:13]
	v_fma_f64 v[158:159], v[12:13], v[160:161], v[10:11]
	v_div_scale_f64 v[204:205], null, v[158:159], v[158:159], 1.0
	v_rcp_f64_e32 v[206:207], v[204:205]
	v_fma_f64 v[208:209], -v[204:205], v[206:207], 1.0
	v_fma_f64 v[206:207], v[206:207], v[208:209], v[206:207]
	v_fma_f64 v[208:209], -v[204:205], v[206:207], 1.0
	v_fma_f64 v[206:207], v[206:207], v[208:209], v[206:207]
	v_div_scale_f64 v[208:209], vcc_lo, 1.0, v[158:159], 1.0
	v_mul_f64 v[210:211], v[208:209], v[206:207]
	v_fma_f64 v[204:205], -v[204:205], v[210:211], v[208:209]
	v_div_fmas_f64 v[204:205], v[204:205], v[206:207], v[210:211]
	v_div_fixup_f64 v[158:159], v[204:205], v[158:159], 1.0
	v_mul_f64 v[160:161], v[160:161], -v[158:159]
.LBB39_178:
	s_or_b32 exec_lo, exec_lo, s1
	ds_write2_b64 v1, v[158:159], v[160:161] offset1:1
.LBB39_179:
	s_or_b32 exec_lo, exec_lo, s2
	s_waitcnt lgkmcnt(0)
	s_barrier
	buffer_gl0_inv
	ds_read2_b64 v[158:161], v1 offset1:1
	s_mov_b32 s1, exec_lo
	v_cmpx_lt_u32_e32 19, v0
	s_cbranch_execz .LBB39_181
; %bb.180:
	s_waitcnt lgkmcnt(0)
	v_mul_f64 v[0:1], v[160:161], v[12:13]
	v_mul_f64 v[12:13], v[158:159], v[12:13]
	v_fma_f64 v[0:1], v[158:159], v[10:11], -v[0:1]
	v_fma_f64 v[12:13], v[160:161], v[10:11], v[12:13]
	v_mov_b32_e32 v11, v1
	v_mov_b32_e32 v10, v0
.LBB39_181:
	s_or_b32 exec_lo, exec_lo, s1
	s_waitcnt lgkmcnt(0)
	s_barrier
	buffer_gl0_inv
	s_and_saveexec_b32 s6, s0
	s_cbranch_execz .LBB39_184
; %bb.182:
	v_lshlrev_b64 v[0:1], 2, v[186:187]
	v_cmp_eq_f64_e64 s0, 0, v[84:85]
	v_cmp_neq_f64_e64 s1, 0, v[86:87]
	v_cmp_neq_f64_e64 s2, 0, v[88:89]
	v_cmp_eq_f64_e64 s3, 0, v[90:91]
	v_cmp_eq_f64_e64 s4, 0, v[92:93]
	v_add_co_u32 v0, vcc_lo, s10, v0
	v_add_co_ci_u32_e64 v1, null, s11, v1, vcc_lo
	v_cmp_eq_f64_e32 vcc_lo, 0, v[82:83]
	v_cmp_eq_f64_e64 s5, 0, v[94:95]
	global_load_dword v186, v[0:1], off
	s_or_b32 s1, s1, s2
	v_cmp_eq_f64_e64 s2, 0, v[100:101]
	s_and_b32 s3, s3, s4
	v_cmp_eq_f64_e64 s4, 0, v[104:105]
	s_and_b32 s0, vcc_lo, s0
	v_cmp_eq_f64_e32 vcc_lo, 0, v[96:97]
	v_cndmask_b32_e64 v82, 0, 1, s0
	s_or_b32 s0, s1, s0
	v_cmp_eq_f64_e64 s1, 0, v[98:99]
	v_cndmask_b32_e64 v82, 2, v82, s0
	v_cmp_eq_u32_e64 s0, 0, v82
	s_and_b32 s0, s3, s0
	v_cmp_eq_f64_e64 s3, 0, v[102:103]
	v_cndmask_b32_e64 v82, v82, 3, s0
	s_and_b32 s5, s5, vcc_lo
	v_cmp_eq_u32_e64 s0, 0, v82
	s_and_b32 s1, s1, s2
	v_cmp_eq_f64_e64 s2, 0, v[112:113]
	s_and_b32 s0, s5, s0
	v_cmp_eq_f64_e64 s5, 0, v[108:109]
	v_cndmask_b32_e64 v82, v82, 4, s0
	v_cmp_eq_f64_e64 s0, 0, v[106:107]
	v_cmp_eq_u32_e32 vcc_lo, 0, v82
	s_and_b32 s3, s3, s4
	s_and_b32 s1, s1, vcc_lo
	v_cmp_eq_f64_e64 s4, 0, v[116:117]
	v_cndmask_b32_e64 v82, v82, 5, s1
	v_cmp_eq_f64_e64 s1, 0, v[110:111]
	v_cmp_eq_u32_e32 vcc_lo, 0, v82
	s_and_b32 s3, s3, vcc_lo
	s_and_b32 s0, s0, s5
	v_cndmask_b32_e64 v82, v82, 6, s3
	v_cmp_eq_f64_e64 s3, 0, v[114:115]
	v_cmp_eq_f64_e64 s5, 0, v[120:121]
	v_cmp_eq_u32_e32 vcc_lo, 0, v82
	s_and_b32 s0, s0, vcc_lo
	s_and_b32 s1, s1, s2
	v_cndmask_b32_e64 v82, v82, 7, s0
	v_cmp_eq_f64_e64 s0, 0, v[118:119]
	;; [unrolled: 6-line block ×12, first 2 shown]
	v_cmp_eq_u32_e32 vcc_lo, 0, v82
	s_and_b32 s3, s3, vcc_lo
	s_and_b32 s0, s0, s5
	v_cndmask_b32_e64 v82, v82, 18, s3
	v_cmp_eq_u32_e32 vcc_lo, 0, v82
	s_and_b32 s0, s0, vcc_lo
	v_cndmask_b32_e64 v82, v82, 19, s0
	s_and_b32 s0, s1, s2
	v_cmp_eq_u32_e32 vcc_lo, 0, v82
	s_and_b32 s0, s0, vcc_lo
	v_cndmask_b32_e64 v82, v82, 20, s0
	v_cmp_ne_u32_e64 s0, 0, v82
	s_waitcnt vmcnt(0)
	v_cmp_eq_u32_e32 vcc_lo, 0, v186
	s_and_b32 s0, vcc_lo, s0
	s_and_b32 exec_lo, exec_lo, s0
	s_cbranch_execz .LBB39_184
; %bb.183:
	v_add_nc_u32_e32 v82, s13, v82
	global_store_dword v[0:1], v82, off
.LBB39_184:
	s_or_b32 exec_lo, exec_lo, s6
	global_store_dwordx4 v[168:169], v[6:9], off
	global_store_dwordx4 v[170:171], v[2:5], off
	;; [unrolled: 1-line block ×20, first 2 shown]
.LBB39_185:
	s_endpgm
	.section	.rodata,"a",@progbits
	.p2align	6, 0x0
	.amdhsa_kernel _ZN9rocsolver6v33100L23getf2_npvt_small_kernelILi20E19rocblas_complex_numIdEiiPS3_EEvT1_T3_lS5_lPT2_S5_S5_
		.amdhsa_group_segment_fixed_size 0
		.amdhsa_private_segment_fixed_size 0
		.amdhsa_kernarg_size 312
		.amdhsa_user_sgpr_count 6
		.amdhsa_user_sgpr_private_segment_buffer 1
		.amdhsa_user_sgpr_dispatch_ptr 0
		.amdhsa_user_sgpr_queue_ptr 0
		.amdhsa_user_sgpr_kernarg_segment_ptr 1
		.amdhsa_user_sgpr_dispatch_id 0
		.amdhsa_user_sgpr_flat_scratch_init 0
		.amdhsa_user_sgpr_private_segment_size 0
		.amdhsa_wavefront_size32 1
		.amdhsa_uses_dynamic_stack 0
		.amdhsa_system_sgpr_private_segment_wavefront_offset 0
		.amdhsa_system_sgpr_workgroup_id_x 1
		.amdhsa_system_sgpr_workgroup_id_y 1
		.amdhsa_system_sgpr_workgroup_id_z 0
		.amdhsa_system_sgpr_workgroup_info 0
		.amdhsa_system_vgpr_workitem_id 1
		.amdhsa_next_free_vgpr 253
		.amdhsa_next_free_sgpr 15
		.amdhsa_reserve_vcc 1
		.amdhsa_reserve_flat_scratch 0
		.amdhsa_float_round_mode_32 0
		.amdhsa_float_round_mode_16_64 0
		.amdhsa_float_denorm_mode_32 3
		.amdhsa_float_denorm_mode_16_64 3
		.amdhsa_dx10_clamp 1
		.amdhsa_ieee_mode 1
		.amdhsa_fp16_overflow 0
		.amdhsa_workgroup_processor_mode 1
		.amdhsa_memory_ordered 1
		.amdhsa_forward_progress 1
		.amdhsa_shared_vgpr_count 0
		.amdhsa_exception_fp_ieee_invalid_op 0
		.amdhsa_exception_fp_denorm_src 0
		.amdhsa_exception_fp_ieee_div_zero 0
		.amdhsa_exception_fp_ieee_overflow 0
		.amdhsa_exception_fp_ieee_underflow 0
		.amdhsa_exception_fp_ieee_inexact 0
		.amdhsa_exception_int_div_zero 0
	.end_amdhsa_kernel
	.section	.text._ZN9rocsolver6v33100L23getf2_npvt_small_kernelILi20E19rocblas_complex_numIdEiiPS3_EEvT1_T3_lS5_lPT2_S5_S5_,"axG",@progbits,_ZN9rocsolver6v33100L23getf2_npvt_small_kernelILi20E19rocblas_complex_numIdEiiPS3_EEvT1_T3_lS5_lPT2_S5_S5_,comdat
.Lfunc_end39:
	.size	_ZN9rocsolver6v33100L23getf2_npvt_small_kernelILi20E19rocblas_complex_numIdEiiPS3_EEvT1_T3_lS5_lPT2_S5_S5_, .Lfunc_end39-_ZN9rocsolver6v33100L23getf2_npvt_small_kernelILi20E19rocblas_complex_numIdEiiPS3_EEvT1_T3_lS5_lPT2_S5_S5_
                                        ; -- End function
	.set _ZN9rocsolver6v33100L23getf2_npvt_small_kernelILi20E19rocblas_complex_numIdEiiPS3_EEvT1_T3_lS5_lPT2_S5_S5_.num_vgpr, 253
	.set _ZN9rocsolver6v33100L23getf2_npvt_small_kernelILi20E19rocblas_complex_numIdEiiPS3_EEvT1_T3_lS5_lPT2_S5_S5_.num_agpr, 0
	.set _ZN9rocsolver6v33100L23getf2_npvt_small_kernelILi20E19rocblas_complex_numIdEiiPS3_EEvT1_T3_lS5_lPT2_S5_S5_.numbered_sgpr, 15
	.set _ZN9rocsolver6v33100L23getf2_npvt_small_kernelILi20E19rocblas_complex_numIdEiiPS3_EEvT1_T3_lS5_lPT2_S5_S5_.num_named_barrier, 0
	.set _ZN9rocsolver6v33100L23getf2_npvt_small_kernelILi20E19rocblas_complex_numIdEiiPS3_EEvT1_T3_lS5_lPT2_S5_S5_.private_seg_size, 0
	.set _ZN9rocsolver6v33100L23getf2_npvt_small_kernelILi20E19rocblas_complex_numIdEiiPS3_EEvT1_T3_lS5_lPT2_S5_S5_.uses_vcc, 1
	.set _ZN9rocsolver6v33100L23getf2_npvt_small_kernelILi20E19rocblas_complex_numIdEiiPS3_EEvT1_T3_lS5_lPT2_S5_S5_.uses_flat_scratch, 0
	.set _ZN9rocsolver6v33100L23getf2_npvt_small_kernelILi20E19rocblas_complex_numIdEiiPS3_EEvT1_T3_lS5_lPT2_S5_S5_.has_dyn_sized_stack, 0
	.set _ZN9rocsolver6v33100L23getf2_npvt_small_kernelILi20E19rocblas_complex_numIdEiiPS3_EEvT1_T3_lS5_lPT2_S5_S5_.has_recursion, 0
	.set _ZN9rocsolver6v33100L23getf2_npvt_small_kernelILi20E19rocblas_complex_numIdEiiPS3_EEvT1_T3_lS5_lPT2_S5_S5_.has_indirect_call, 0
	.section	.AMDGPU.csdata,"",@progbits
; Kernel info:
; codeLenInByte = 26416
; TotalNumSgprs: 17
; NumVgprs: 253
; ScratchSize: 0
; MemoryBound: 1
; FloatMode: 240
; IeeeMode: 1
; LDSByteSize: 0 bytes/workgroup (compile time only)
; SGPRBlocks: 0
; VGPRBlocks: 31
; NumSGPRsForWavesPerEU: 17
; NumVGPRsForWavesPerEU: 253
; Occupancy: 4
; WaveLimiterHint : 0
; COMPUTE_PGM_RSRC2:SCRATCH_EN: 0
; COMPUTE_PGM_RSRC2:USER_SGPR: 6
; COMPUTE_PGM_RSRC2:TRAP_HANDLER: 0
; COMPUTE_PGM_RSRC2:TGID_X_EN: 1
; COMPUTE_PGM_RSRC2:TGID_Y_EN: 1
; COMPUTE_PGM_RSRC2:TGID_Z_EN: 0
; COMPUTE_PGM_RSRC2:TIDIG_COMP_CNT: 1
	.section	.text._ZN9rocsolver6v33100L18getf2_small_kernelILi21E19rocblas_complex_numIdEiiPS3_EEvT1_T3_lS5_lPS5_llPT2_S5_S5_S7_l,"axG",@progbits,_ZN9rocsolver6v33100L18getf2_small_kernelILi21E19rocblas_complex_numIdEiiPS3_EEvT1_T3_lS5_lPS5_llPT2_S5_S5_S7_l,comdat
	.globl	_ZN9rocsolver6v33100L18getf2_small_kernelILi21E19rocblas_complex_numIdEiiPS3_EEvT1_T3_lS5_lPS5_llPT2_S5_S5_S7_l ; -- Begin function _ZN9rocsolver6v33100L18getf2_small_kernelILi21E19rocblas_complex_numIdEiiPS3_EEvT1_T3_lS5_lPS5_llPT2_S5_S5_S7_l
	.p2align	8
	.type	_ZN9rocsolver6v33100L18getf2_small_kernelILi21E19rocblas_complex_numIdEiiPS3_EEvT1_T3_lS5_lPS5_llPT2_S5_S5_S7_l,@function
_ZN9rocsolver6v33100L18getf2_small_kernelILi21E19rocblas_complex_numIdEiiPS3_EEvT1_T3_lS5_lPS5_llPT2_S5_S5_S7_l: ; @_ZN9rocsolver6v33100L18getf2_small_kernelILi21E19rocblas_complex_numIdEiiPS3_EEvT1_T3_lS5_lPS5_llPT2_S5_S5_S7_l
; %bb.0:
	s_clause 0x1
	s_load_dword s0, s[4:5], 0x6c
	s_load_dwordx2 s[16:17], s[4:5], 0x48
	s_waitcnt lgkmcnt(0)
	s_lshr_b32 s0, s0, 16
	v_mad_u64_u32 v[90:91], null, s7, s0, v[1:2]
	s_mov_b32 s0, exec_lo
	v_cmpx_gt_i32_e64 s16, v90
	s_cbranch_execz .LBB40_444
; %bb.1:
	s_load_dwordx4 s[0:3], s[4:5], 0x50
	v_mov_b32_e32 v92, 0
	v_ashrrev_i32_e32 v91, 31, v90
	v_mov_b32_e32 v93, 0
	s_waitcnt lgkmcnt(0)
	s_cmp_eq_u64 s[0:1], 0
	s_cselect_b32 s16, -1, 0
	s_and_b32 vcc_lo, exec_lo, s16
	s_cbranch_vccnz .LBB40_3
; %bb.2:
	v_mul_lo_u32 v4, s3, v90
	v_mul_lo_u32 v5, s2, v91
	v_mad_u64_u32 v[2:3], null, s2, v90, 0
	v_add3_u32 v3, v3, v5, v4
	v_lshlrev_b64 v[2:3], 2, v[2:3]
	v_add_co_u32 v92, vcc_lo, s0, v2
	v_add_co_ci_u32_e64 v93, null, s1, v3, vcc_lo
.LBB40_3:
	s_clause 0x2
	s_load_dwordx8 s[8:15], s[4:5], 0x20
	s_load_dword s6, s[4:5], 0x18
	s_load_dwordx4 s[0:3], s[4:5], 0x8
	v_lshlrev_b32_e32 v96, 4, v0
	s_clause 0x1
	s_load_dword s18, s[4:5], 0x0
	s_load_dwordx2 s[4:5], s[4:5], 0x40
	s_waitcnt lgkmcnt(0)
	v_mul_lo_u32 v5, s9, v90
	v_mul_lo_u32 v7, s8, v91
	v_mad_u64_u32 v[2:3], null, s8, v90, 0
	v_add3_u32 v4, s6, s6, v0
	s_lshl_b64 s[2:3], s[2:3], 4
	s_ashr_i32 s7, s6, 31
	s_lshl_b64 s[8:9], s[6:7], 4
	v_add_nc_u32_e32 v6, s6, v4
	v_add3_u32 v3, v3, v7, v5
	v_ashrrev_i32_e32 v5, 31, v4
	v_add_nc_u32_e32 v8, s6, v6
	v_lshlrev_b64 v[2:3], 4, v[2:3]
	v_ashrrev_i32_e32 v7, 31, v6
	v_lshlrev_b64 v[4:5], 4, v[4:5]
	v_add_nc_u32_e32 v10, s6, v8
	v_ashrrev_i32_e32 v9, 31, v8
	v_add_co_u32 v12, vcc_lo, s0, v2
	v_add_co_ci_u32_e64 v3, null, s1, v3, vcc_lo
	v_add_nc_u32_e32 v2, s6, v10
	v_add_co_u32 v97, vcc_lo, v12, s2
	v_ashrrev_i32_e32 v11, 31, v10
	v_add_co_ci_u32_e64 v98, null, s3, v3, vcc_lo
	v_lshlrev_b64 v[6:7], 4, v[6:7]
	v_lshlrev_b64 v[8:9], 4, v[8:9]
	v_add_co_u32 v14, vcc_lo, v97, v96
	v_add_nc_u32_e32 v12, s6, v2
	v_lshlrev_b64 v[10:11], 4, v[10:11]
	v_add_co_ci_u32_e64 v15, null, 0, v98, vcc_lo
	v_add_co_u32 v4, vcc_lo, v97, v4
	v_add_co_ci_u32_e64 v5, null, v98, v5, vcc_lo
	v_add_co_u32 v6, vcc_lo, v97, v6
	v_add_co_ci_u32_e64 v7, null, v98, v7, vcc_lo
	v_add_co_u32 v8, vcc_lo, v97, v8
	v_add_nc_u32_e32 v16, s6, v12
	v_add_co_ci_u32_e64 v9, null, v98, v9, vcc_lo
	v_add_co_u32 v10, vcc_lo, v97, v10
	v_add_co_ci_u32_e64 v11, null, v98, v11, vcc_lo
	v_add_co_u32 v18, vcc_lo, v14, s8
	s_clause 0x1
	global_load_dwordx4 v[66:69], v[4:5], off
	global_load_dwordx4 v[62:65], v[6:7], off
	v_add_nc_u32_e32 v6, s6, v16
	v_add_co_ci_u32_e64 v19, null, s9, v15, vcc_lo
	v_ashrrev_i32_e32 v13, 31, v12
	v_ashrrev_i32_e32 v17, 31, v16
	s_clause 0x1
	global_load_dwordx4 v[82:85], v[14:15], off
	global_load_dwordx4 v[70:73], v[18:19], off
	v_add_nc_u32_e32 v14, s6, v6
	v_ashrrev_i32_e32 v3, 31, v2
	v_lshlrev_b64 v[4:5], 4, v[12:13]
	v_lshlrev_b64 v[12:13], 4, v[16:17]
	v_ashrrev_i32_e32 v7, 31, v6
	v_add_nc_u32_e32 v16, s6, v14
	v_lshlrev_b64 v[2:3], 4, v[2:3]
	v_ashrrev_i32_e32 v15, 31, v14
	s_max_i32 s0, s18, 21
	v_lshlrev_b64 v[6:7], 4, v[6:7]
	v_add_nc_u32_e32 v18, s6, v16
	v_ashrrev_i32_e32 v17, 31, v16
	v_add_co_u32 v2, vcc_lo, v97, v2
	v_add_co_ci_u32_e64 v3, null, v98, v3, vcc_lo
	v_add_nc_u32_e32 v20, s6, v18
	v_ashrrev_i32_e32 v19, 31, v18
	v_add_co_u32 v4, vcc_lo, v97, v4
	v_lshlrev_b64 v[14:15], 4, v[14:15]
	v_add_nc_u32_e32 v22, s6, v20
	v_ashrrev_i32_e32 v21, 31, v20
	v_add_co_ci_u32_e64 v5, null, v98, v5, vcc_lo
	v_add_co_u32 v12, vcc_lo, v97, v12
	v_add_nc_u32_e32 v24, s6, v22
	v_lshlrev_b64 v[16:17], 4, v[16:17]
	v_ashrrev_i32_e32 v23, 31, v22
	v_add_co_ci_u32_e64 v13, null, v98, v13, vcc_lo
	v_add_nc_u32_e32 v26, s6, v24
	v_add_co_u32 v6, vcc_lo, v97, v6
	v_lshlrev_b64 v[18:19], 4, v[18:19]
	v_ashrrev_i32_e32 v25, 31, v24
	v_add_nc_u32_e32 v28, s6, v26
	v_add_co_ci_u32_e64 v7, null, v98, v7, vcc_lo
	v_add_co_u32 v14, vcc_lo, v97, v14
	v_lshlrev_b64 v[20:21], 4, v[20:21]
	v_ashrrev_i32_e32 v27, 31, v26
	v_add_co_ci_u32_e64 v15, null, v98, v15, vcc_lo
	v_add_co_u32 v16, vcc_lo, v97, v16
	v_lshlrev_b64 v[22:23], 4, v[22:23]
	v_add_co_ci_u32_e64 v17, null, v98, v17, vcc_lo
	v_add_co_u32 v18, vcc_lo, v97, v18
	v_lshlrev_b64 v[24:25], 4, v[24:25]
	v_add_nc_u32_e32 v30, s6, v28
	v_add_co_ci_u32_e64 v19, null, v98, v19, vcc_lo
	v_add_co_u32 v20, vcc_lo, v97, v20
	v_lshlrev_b64 v[26:27], 4, v[26:27]
	v_add_co_ci_u32_e64 v21, null, v98, v21, vcc_lo
	v_add_co_u32 v22, vcc_lo, v97, v22
	v_ashrrev_i32_e32 v29, 31, v28
	v_ashrrev_i32_e32 v31, 31, v30
	v_add_nc_u32_e32 v32, s6, v30
	v_add_co_ci_u32_e64 v23, null, v98, v23, vcc_lo
	v_add_co_u32 v24, vcc_lo, v97, v24
	v_add_co_ci_u32_e64 v25, null, v98, v25, vcc_lo
	v_add_co_u32 v86, vcc_lo, v97, v26
	v_lshlrev_b64 v[28:29], 4, v[28:29]
	v_add_co_ci_u32_e64 v87, null, v98, v27, vcc_lo
	v_lshlrev_b64 v[26:27], 4, v[30:31]
	v_add_nc_u32_e32 v30, s6, v32
	v_ashrrev_i32_e32 v33, 31, v32
	v_add_co_u32 v88, vcc_lo, v97, v28
	v_add_co_ci_u32_e64 v89, null, v98, v29, vcc_lo
	v_ashrrev_i32_e32 v31, 31, v30
	v_lshlrev_b64 v[28:29], 4, v[32:33]
	v_add_co_u32 v94, vcc_lo, v97, v26
	v_add_co_ci_u32_e64 v95, null, v98, v27, vcc_lo
	v_lshlrev_b64 v[26:27], 4, v[30:31]
	v_add_co_u32 v99, vcc_lo, v97, v28
	v_add_co_ci_u32_e64 v100, null, v98, v29, vcc_lo
	s_cmp_lt_i32 s18, 2
	v_add_co_u32 v101, vcc_lo, v97, v26
	v_add_co_ci_u32_e64 v102, null, v98, v27, vcc_lo
	s_clause 0x10
	global_load_dwordx4 v[78:81], v[8:9], off
	global_load_dwordx4 v[74:77], v[10:11], off
	;; [unrolled: 1-line block ×17, first 2 shown]
	v_mul_lo_u32 v94, s0, v1
	v_lshl_add_u32 v1, v94, 4, 0
	v_add_nc_u32_e32 v86, v1, v96
	v_lshlrev_b32_e32 v96, 4, v94
	v_mov_b32_e32 v94, 0
	s_waitcnt vmcnt(18)
	ds_write2_b64 v86, v[82:83], v[84:85] offset1:1
	s_waitcnt vmcnt(0) lgkmcnt(0)
	s_barrier
	buffer_gl0_inv
	ds_read2_b64 v[86:89], v1 offset1:1
	s_cbranch_scc1 .LBB40_6
; %bb.4:
	v_add3_u32 v95, v96, 0, 16
	v_mov_b32_e32 v94, 0
	s_mov_b32 s1, 1
	s_inst_prefetch 0x1
	.p2align	6
.LBB40_5:                               ; =>This Inner Loop Header: Depth=1
	s_waitcnt lgkmcnt(0)
	v_cmp_gt_f64_e32 vcc_lo, 0, v[88:89]
	v_cmp_gt_f64_e64 s0, 0, v[86:87]
	ds_read2_b64 v[99:102], v95 offset1:1
	v_xor_b32_e32 v104, 0x80000000, v87
	v_xor_b32_e32 v106, 0x80000000, v89
	v_mov_b32_e32 v103, v86
	v_mov_b32_e32 v105, v88
	v_add_nc_u32_e32 v95, 16, v95
	s_waitcnt lgkmcnt(0)
	v_xor_b32_e32 v108, 0x80000000, v102
	v_cndmask_b32_e64 v104, v87, v104, s0
	v_cndmask_b32_e32 v106, v89, v106, vcc_lo
	v_cmp_gt_f64_e32 vcc_lo, 0, v[101:102]
	v_cmp_gt_f64_e64 s0, 0, v[99:100]
	v_mov_b32_e32 v107, v101
	v_add_f64 v[103:104], v[103:104], v[105:106]
	v_xor_b32_e32 v106, 0x80000000, v100
	v_mov_b32_e32 v105, v99
	v_cndmask_b32_e32 v108, v102, v108, vcc_lo
	v_cndmask_b32_e64 v106, v100, v106, s0
	v_add_f64 v[105:106], v[105:106], v[107:108]
	v_cmp_lt_f64_e32 vcc_lo, v[103:104], v[105:106]
	v_cndmask_b32_e32 v87, v87, v100, vcc_lo
	v_cndmask_b32_e32 v86, v86, v99, vcc_lo
	;; [unrolled: 1-line block ×4, first 2 shown]
	v_cndmask_b32_e64 v94, v94, s1, vcc_lo
	s_add_i32 s1, s1, 1
	s_cmp_eq_u32 s18, s1
	s_cbranch_scc0 .LBB40_5
.LBB40_6:
	s_inst_prefetch 0x2
	s_waitcnt lgkmcnt(0)
	v_cmp_neq_f64_e32 vcc_lo, 0, v[86:87]
	v_cmp_neq_f64_e64 s0, 0, v[88:89]
	v_mov_b32_e32 v99, 1
	v_mov_b32_e32 v101, 1
	s_or_b32 s1, vcc_lo, s0
	s_and_saveexec_b32 s0, s1
	s_cbranch_execz .LBB40_12
; %bb.7:
	v_cmp_ngt_f64_e64 s1, |v[86:87]|, |v[88:89]|
	s_and_saveexec_b32 s2, s1
	s_xor_b32 s1, exec_lo, s2
	s_cbranch_execz .LBB40_9
; %bb.8:
	v_div_scale_f64 v[99:100], null, v[88:89], v[88:89], v[86:87]
	v_div_scale_f64 v[105:106], vcc_lo, v[86:87], v[88:89], v[86:87]
	v_rcp_f64_e32 v[101:102], v[99:100]
	v_fma_f64 v[103:104], -v[99:100], v[101:102], 1.0
	v_fma_f64 v[101:102], v[101:102], v[103:104], v[101:102]
	v_fma_f64 v[103:104], -v[99:100], v[101:102], 1.0
	v_fma_f64 v[101:102], v[101:102], v[103:104], v[101:102]
	v_mul_f64 v[103:104], v[105:106], v[101:102]
	v_fma_f64 v[99:100], -v[99:100], v[103:104], v[105:106]
	v_div_fmas_f64 v[99:100], v[99:100], v[101:102], v[103:104]
	v_div_fixup_f64 v[99:100], v[99:100], v[88:89], v[86:87]
	v_fma_f64 v[86:87], v[86:87], v[99:100], v[88:89]
	v_div_scale_f64 v[88:89], null, v[86:87], v[86:87], 1.0
	v_rcp_f64_e32 v[101:102], v[88:89]
	v_fma_f64 v[103:104], -v[88:89], v[101:102], 1.0
	v_fma_f64 v[101:102], v[101:102], v[103:104], v[101:102]
	v_fma_f64 v[103:104], -v[88:89], v[101:102], 1.0
	v_fma_f64 v[101:102], v[101:102], v[103:104], v[101:102]
	v_div_scale_f64 v[103:104], vcc_lo, 1.0, v[86:87], 1.0
	v_mul_f64 v[105:106], v[103:104], v[101:102]
	v_fma_f64 v[88:89], -v[88:89], v[105:106], v[103:104]
	v_div_fmas_f64 v[88:89], v[88:89], v[101:102], v[105:106]
	v_div_fixup_f64 v[88:89], v[88:89], v[86:87], 1.0
	v_mul_f64 v[86:87], v[99:100], v[88:89]
	v_xor_b32_e32 v89, 0x80000000, v89
.LBB40_9:
	s_andn2_saveexec_b32 s1, s1
	s_cbranch_execz .LBB40_11
; %bb.10:
	v_div_scale_f64 v[99:100], null, v[86:87], v[86:87], v[88:89]
	v_div_scale_f64 v[105:106], vcc_lo, v[88:89], v[86:87], v[88:89]
	v_rcp_f64_e32 v[101:102], v[99:100]
	v_fma_f64 v[103:104], -v[99:100], v[101:102], 1.0
	v_fma_f64 v[101:102], v[101:102], v[103:104], v[101:102]
	v_fma_f64 v[103:104], -v[99:100], v[101:102], 1.0
	v_fma_f64 v[101:102], v[101:102], v[103:104], v[101:102]
	v_mul_f64 v[103:104], v[105:106], v[101:102]
	v_fma_f64 v[99:100], -v[99:100], v[103:104], v[105:106]
	v_div_fmas_f64 v[99:100], v[99:100], v[101:102], v[103:104]
	v_div_fixup_f64 v[99:100], v[99:100], v[86:87], v[88:89]
	v_fma_f64 v[86:87], v[88:89], v[99:100], v[86:87]
	v_div_scale_f64 v[88:89], null, v[86:87], v[86:87], 1.0
	v_rcp_f64_e32 v[101:102], v[88:89]
	v_fma_f64 v[103:104], -v[88:89], v[101:102], 1.0
	v_fma_f64 v[101:102], v[101:102], v[103:104], v[101:102]
	v_fma_f64 v[103:104], -v[88:89], v[101:102], 1.0
	v_fma_f64 v[101:102], v[101:102], v[103:104], v[101:102]
	v_div_scale_f64 v[103:104], vcc_lo, 1.0, v[86:87], 1.0
	v_mul_f64 v[105:106], v[103:104], v[101:102]
	v_fma_f64 v[88:89], -v[88:89], v[105:106], v[103:104]
	v_div_fmas_f64 v[88:89], v[88:89], v[101:102], v[105:106]
	v_div_fixup_f64 v[86:87], v[88:89], v[86:87], 1.0
	v_mul_f64 v[88:89], v[99:100], -v[86:87]
.LBB40_11:
	s_or_b32 exec_lo, exec_lo, s1
	v_mov_b32_e32 v101, 0
	v_mov_b32_e32 v99, 2
.LBB40_12:
	s_or_b32 exec_lo, exec_lo, s0
	s_mov_b32 s0, exec_lo
	v_cmpx_ne_u32_e64 v0, v94
	s_xor_b32 s0, exec_lo, s0
	s_cbranch_execz .LBB40_18
; %bb.13:
	s_mov_b32 s1, exec_lo
	v_cmpx_eq_u32_e32 0, v0
	s_cbranch_execz .LBB40_17
; %bb.14:
	v_cmp_ne_u32_e32 vcc_lo, 0, v94
	s_xor_b32 s2, s16, -1
	s_and_b32 s3, s2, vcc_lo
	s_and_saveexec_b32 s2, s3
	s_cbranch_execz .LBB40_16
; %bb.15:
	v_ashrrev_i32_e32 v95, 31, v94
	v_lshlrev_b64 v[102:103], 2, v[94:95]
	v_add_co_u32 v102, vcc_lo, v92, v102
	v_add_co_ci_u32_e64 v103, null, v93, v103, vcc_lo
	s_clause 0x1
	global_load_dword v0, v[102:103], off
	global_load_dword v95, v[92:93], off
	s_waitcnt vmcnt(1)
	global_store_dword v[92:93], v0, off
	s_waitcnt vmcnt(0)
	global_store_dword v[102:103], v95, off
.LBB40_16:
	s_or_b32 exec_lo, exec_lo, s2
	v_mov_b32_e32 v0, v94
.LBB40_17:
	s_or_b32 exec_lo, exec_lo, s1
.LBB40_18:
	s_or_saveexec_b32 s0, s0
	v_mov_b32_e32 v100, v0
	s_xor_b32 exec_lo, exec_lo, s0
	s_cbranch_execz .LBB40_20
; %bb.19:
	v_mov_b32_e32 v100, 0
	ds_write2_b64 v1, v[70:71], v[72:73] offset0:2 offset1:3
	ds_write2_b64 v1, v[66:67], v[68:69] offset0:4 offset1:5
	;; [unrolled: 1-line block ×20, first 2 shown]
.LBB40_20:
	s_or_b32 exec_lo, exec_lo, s0
	s_mov_b32 s0, exec_lo
	s_waitcnt lgkmcnt(0)
	s_waitcnt_vscnt null, 0x0
	s_barrier
	buffer_gl0_inv
	v_cmpx_lt_i32_e32 0, v100
	s_cbranch_execz .LBB40_22
; %bb.21:
	v_mul_f64 v[94:95], v[88:89], v[84:85]
	v_mul_f64 v[84:85], v[86:87], v[84:85]
	v_fma_f64 v[94:95], v[86:87], v[82:83], -v[94:95]
	v_fma_f64 v[84:85], v[88:89], v[82:83], v[84:85]
	ds_read2_b64 v[86:89], v1 offset0:2 offset1:3
	s_waitcnt lgkmcnt(0)
	v_mul_f64 v[82:83], v[88:89], v[84:85]
	v_fma_f64 v[82:83], v[86:87], v[94:95], -v[82:83]
	v_mul_f64 v[86:87], v[86:87], v[84:85]
	v_add_f64 v[70:71], v[70:71], -v[82:83]
	v_fma_f64 v[86:87], v[88:89], v[94:95], v[86:87]
	v_add_f64 v[72:73], v[72:73], -v[86:87]
	ds_read2_b64 v[86:89], v1 offset0:4 offset1:5
	s_waitcnt lgkmcnt(0)
	v_mul_f64 v[82:83], v[88:89], v[84:85]
	v_fma_f64 v[82:83], v[86:87], v[94:95], -v[82:83]
	v_mul_f64 v[86:87], v[86:87], v[84:85]
	v_add_f64 v[66:67], v[66:67], -v[82:83]
	v_fma_f64 v[86:87], v[88:89], v[94:95], v[86:87]
	v_add_f64 v[68:69], v[68:69], -v[86:87]
	;; [unrolled: 8-line block ×19, first 2 shown]
	ds_read2_b64 v[86:89], v1 offset0:40 offset1:41
	s_waitcnt lgkmcnt(0)
	v_mul_f64 v[82:83], v[88:89], v[84:85]
	v_fma_f64 v[82:83], v[86:87], v[94:95], -v[82:83]
	v_mul_f64 v[86:87], v[86:87], v[84:85]
	v_add_f64 v[2:3], v[2:3], -v[82:83]
	v_fma_f64 v[86:87], v[88:89], v[94:95], v[86:87]
	v_mov_b32_e32 v82, v94
	v_mov_b32_e32 v83, v95
	v_add_f64 v[4:5], v[4:5], -v[86:87]
.LBB40_22:
	s_or_b32 exec_lo, exec_lo, s0
	v_lshl_add_u32 v86, v100, 4, v1
	s_barrier
	buffer_gl0_inv
	v_mov_b32_e32 v94, 1
	ds_write2_b64 v86, v[70:71], v[72:73] offset1:1
	s_waitcnt lgkmcnt(0)
	s_barrier
	buffer_gl0_inv
	ds_read2_b64 v[86:89], v1 offset0:2 offset1:3
	s_cmp_lt_i32 s18, 3
	s_cbranch_scc1 .LBB40_25
; %bb.23:
	v_add3_u32 v95, v96, 0, 32
	v_mov_b32_e32 v94, 1
	s_mov_b32 s3, 2
	s_inst_prefetch 0x1
	.p2align	6
.LBB40_24:                              ; =>This Inner Loop Header: Depth=1
	ds_read2_b64 v[102:105], v95 offset1:1
	s_waitcnt lgkmcnt(1)
	v_cmp_gt_f64_e32 vcc_lo, 0, v[86:87]
	v_cmp_gt_f64_e64 s0, 0, v[88:89]
	v_xor_b32_e32 v107, 0x80000000, v87
	v_xor_b32_e32 v109, 0x80000000, v89
	v_mov_b32_e32 v106, v86
	v_mov_b32_e32 v108, v88
	v_add_nc_u32_e32 v95, 16, v95
	s_waitcnt lgkmcnt(0)
	v_cmp_gt_f64_e64 s1, 0, v[102:103]
	v_cmp_gt_f64_e64 s2, 0, v[104:105]
	v_xor_b32_e32 v111, 0x80000000, v103
	v_xor_b32_e32 v113, 0x80000000, v105
	v_mov_b32_e32 v110, v102
	v_mov_b32_e32 v112, v104
	v_cndmask_b32_e32 v107, v87, v107, vcc_lo
	v_cndmask_b32_e64 v109, v89, v109, s0
	v_add_f64 v[106:107], v[106:107], v[108:109]
	v_cndmask_b32_e64 v111, v103, v111, s1
	v_cndmask_b32_e64 v113, v105, v113, s2
	v_add_f64 v[108:109], v[110:111], v[112:113]
	v_cmp_lt_f64_e32 vcc_lo, v[106:107], v[108:109]
	v_cndmask_b32_e32 v87, v87, v103, vcc_lo
	v_cndmask_b32_e32 v86, v86, v102, vcc_lo
	;; [unrolled: 1-line block ×4, first 2 shown]
	v_cndmask_b32_e64 v94, v94, s3, vcc_lo
	s_add_i32 s3, s3, 1
	s_cmp_lg_u32 s18, s3
	s_cbranch_scc1 .LBB40_24
.LBB40_25:
	s_inst_prefetch 0x2
	s_waitcnt lgkmcnt(0)
	v_cmp_neq_f64_e32 vcc_lo, 0, v[86:87]
	v_cmp_neq_f64_e64 s0, 0, v[88:89]
	s_or_b32 s1, vcc_lo, s0
	s_and_saveexec_b32 s0, s1
	s_cbranch_execz .LBB40_31
; %bb.26:
	v_cmp_ngt_f64_e64 s1, |v[86:87]|, |v[88:89]|
	s_and_saveexec_b32 s2, s1
	s_xor_b32 s1, exec_lo, s2
	s_cbranch_execz .LBB40_28
; %bb.27:
	v_div_scale_f64 v[102:103], null, v[88:89], v[88:89], v[86:87]
	v_div_scale_f64 v[108:109], vcc_lo, v[86:87], v[88:89], v[86:87]
	v_rcp_f64_e32 v[104:105], v[102:103]
	v_fma_f64 v[106:107], -v[102:103], v[104:105], 1.0
	v_fma_f64 v[104:105], v[104:105], v[106:107], v[104:105]
	v_fma_f64 v[106:107], -v[102:103], v[104:105], 1.0
	v_fma_f64 v[104:105], v[104:105], v[106:107], v[104:105]
	v_mul_f64 v[106:107], v[108:109], v[104:105]
	v_fma_f64 v[102:103], -v[102:103], v[106:107], v[108:109]
	v_div_fmas_f64 v[102:103], v[102:103], v[104:105], v[106:107]
	v_div_fixup_f64 v[102:103], v[102:103], v[88:89], v[86:87]
	v_fma_f64 v[86:87], v[86:87], v[102:103], v[88:89]
	v_div_scale_f64 v[88:89], null, v[86:87], v[86:87], 1.0
	v_rcp_f64_e32 v[104:105], v[88:89]
	v_fma_f64 v[106:107], -v[88:89], v[104:105], 1.0
	v_fma_f64 v[104:105], v[104:105], v[106:107], v[104:105]
	v_fma_f64 v[106:107], -v[88:89], v[104:105], 1.0
	v_fma_f64 v[104:105], v[104:105], v[106:107], v[104:105]
	v_div_scale_f64 v[106:107], vcc_lo, 1.0, v[86:87], 1.0
	v_mul_f64 v[108:109], v[106:107], v[104:105]
	v_fma_f64 v[88:89], -v[88:89], v[108:109], v[106:107]
	v_div_fmas_f64 v[88:89], v[88:89], v[104:105], v[108:109]
	v_div_fixup_f64 v[88:89], v[88:89], v[86:87], 1.0
	v_mul_f64 v[86:87], v[102:103], v[88:89]
	v_xor_b32_e32 v89, 0x80000000, v89
.LBB40_28:
	s_andn2_saveexec_b32 s1, s1
	s_cbranch_execz .LBB40_30
; %bb.29:
	v_div_scale_f64 v[102:103], null, v[86:87], v[86:87], v[88:89]
	v_div_scale_f64 v[108:109], vcc_lo, v[88:89], v[86:87], v[88:89]
	v_rcp_f64_e32 v[104:105], v[102:103]
	v_fma_f64 v[106:107], -v[102:103], v[104:105], 1.0
	v_fma_f64 v[104:105], v[104:105], v[106:107], v[104:105]
	v_fma_f64 v[106:107], -v[102:103], v[104:105], 1.0
	v_fma_f64 v[104:105], v[104:105], v[106:107], v[104:105]
	v_mul_f64 v[106:107], v[108:109], v[104:105]
	v_fma_f64 v[102:103], -v[102:103], v[106:107], v[108:109]
	v_div_fmas_f64 v[102:103], v[102:103], v[104:105], v[106:107]
	v_div_fixup_f64 v[102:103], v[102:103], v[86:87], v[88:89]
	v_fma_f64 v[86:87], v[88:89], v[102:103], v[86:87]
	v_div_scale_f64 v[88:89], null, v[86:87], v[86:87], 1.0
	v_rcp_f64_e32 v[104:105], v[88:89]
	v_fma_f64 v[106:107], -v[88:89], v[104:105], 1.0
	v_fma_f64 v[104:105], v[104:105], v[106:107], v[104:105]
	v_fma_f64 v[106:107], -v[88:89], v[104:105], 1.0
	v_fma_f64 v[104:105], v[104:105], v[106:107], v[104:105]
	v_div_scale_f64 v[106:107], vcc_lo, 1.0, v[86:87], 1.0
	v_mul_f64 v[108:109], v[106:107], v[104:105]
	v_fma_f64 v[88:89], -v[88:89], v[108:109], v[106:107]
	v_div_fmas_f64 v[88:89], v[88:89], v[104:105], v[108:109]
	v_div_fixup_f64 v[86:87], v[88:89], v[86:87], 1.0
	v_mul_f64 v[88:89], v[102:103], -v[86:87]
.LBB40_30:
	s_or_b32 exec_lo, exec_lo, s1
	v_mov_b32_e32 v99, v101
.LBB40_31:
	s_or_b32 exec_lo, exec_lo, s0
	s_mov_b32 s0, exec_lo
	v_cmpx_ne_u32_e64 v100, v94
	s_xor_b32 s0, exec_lo, s0
	s_cbranch_execz .LBB40_37
; %bb.32:
	s_mov_b32 s1, exec_lo
	v_cmpx_eq_u32_e32 1, v100
	s_cbranch_execz .LBB40_36
; %bb.33:
	v_cmp_ne_u32_e32 vcc_lo, 1, v94
	s_xor_b32 s2, s16, -1
	s_and_b32 s3, s2, vcc_lo
	s_and_saveexec_b32 s2, s3
	s_cbranch_execz .LBB40_35
; %bb.34:
	v_ashrrev_i32_e32 v95, 31, v94
	v_lshlrev_b64 v[100:101], 2, v[94:95]
	v_add_co_u32 v100, vcc_lo, v92, v100
	v_add_co_ci_u32_e64 v101, null, v93, v101, vcc_lo
	s_clause 0x1
	global_load_dword v0, v[100:101], off
	global_load_dword v95, v[92:93], off offset:4
	s_waitcnt vmcnt(1)
	global_store_dword v[92:93], v0, off offset:4
	s_waitcnt vmcnt(0)
	global_store_dword v[100:101], v95, off
.LBB40_35:
	s_or_b32 exec_lo, exec_lo, s2
	v_mov_b32_e32 v100, v94
	v_mov_b32_e32 v0, v94
.LBB40_36:
	s_or_b32 exec_lo, exec_lo, s1
.LBB40_37:
	s_andn2_saveexec_b32 s0, s0
	s_cbranch_execz .LBB40_39
; %bb.38:
	v_mov_b32_e32 v100, 1
	ds_write2_b64 v1, v[66:67], v[68:69] offset0:4 offset1:5
	ds_write2_b64 v1, v[62:63], v[64:65] offset0:6 offset1:7
	;; [unrolled: 1-line block ×19, first 2 shown]
.LBB40_39:
	s_or_b32 exec_lo, exec_lo, s0
	s_mov_b32 s0, exec_lo
	s_waitcnt lgkmcnt(0)
	s_waitcnt_vscnt null, 0x0
	s_barrier
	buffer_gl0_inv
	v_cmpx_lt_i32_e32 1, v100
	s_cbranch_execz .LBB40_41
; %bb.40:
	v_mul_f64 v[94:95], v[88:89], v[72:73]
	v_mul_f64 v[72:73], v[86:87], v[72:73]
	v_fma_f64 v[94:95], v[86:87], v[70:71], -v[94:95]
	v_fma_f64 v[72:73], v[88:89], v[70:71], v[72:73]
	ds_read2_b64 v[86:89], v1 offset0:4 offset1:5
	s_waitcnt lgkmcnt(0)
	v_mul_f64 v[70:71], v[88:89], v[72:73]
	v_fma_f64 v[70:71], v[86:87], v[94:95], -v[70:71]
	v_mul_f64 v[86:87], v[86:87], v[72:73]
	v_add_f64 v[66:67], v[66:67], -v[70:71]
	v_fma_f64 v[86:87], v[88:89], v[94:95], v[86:87]
	v_add_f64 v[68:69], v[68:69], -v[86:87]
	ds_read2_b64 v[86:89], v1 offset0:6 offset1:7
	s_waitcnt lgkmcnt(0)
	v_mul_f64 v[70:71], v[88:89], v[72:73]
	v_fma_f64 v[70:71], v[86:87], v[94:95], -v[70:71]
	v_mul_f64 v[86:87], v[86:87], v[72:73]
	v_add_f64 v[62:63], v[62:63], -v[70:71]
	v_fma_f64 v[86:87], v[88:89], v[94:95], v[86:87]
	v_add_f64 v[64:65], v[64:65], -v[86:87]
	;; [unrolled: 8-line block ×18, first 2 shown]
	ds_read2_b64 v[86:89], v1 offset0:40 offset1:41
	s_waitcnt lgkmcnt(0)
	v_mul_f64 v[70:71], v[88:89], v[72:73]
	v_fma_f64 v[70:71], v[86:87], v[94:95], -v[70:71]
	v_mul_f64 v[86:87], v[86:87], v[72:73]
	v_add_f64 v[2:3], v[2:3], -v[70:71]
	v_fma_f64 v[86:87], v[88:89], v[94:95], v[86:87]
	v_mov_b32_e32 v70, v94
	v_mov_b32_e32 v71, v95
	v_add_f64 v[4:5], v[4:5], -v[86:87]
.LBB40_41:
	s_or_b32 exec_lo, exec_lo, s0
	v_lshl_add_u32 v86, v100, 4, v1
	s_barrier
	buffer_gl0_inv
	v_mov_b32_e32 v94, 2
	ds_write2_b64 v86, v[66:67], v[68:69] offset1:1
	s_waitcnt lgkmcnt(0)
	s_barrier
	buffer_gl0_inv
	ds_read2_b64 v[86:89], v1 offset0:4 offset1:5
	s_cmp_lt_i32 s18, 4
	s_cbranch_scc1 .LBB40_44
; %bb.42:
	v_add3_u32 v95, v96, 0, 48
	v_mov_b32_e32 v94, 2
	s_mov_b32 s1, 3
	s_inst_prefetch 0x1
	.p2align	6
.LBB40_43:                              ; =>This Inner Loop Header: Depth=1
	s_waitcnt lgkmcnt(0)
	v_cmp_gt_f64_e32 vcc_lo, 0, v[88:89]
	v_cmp_gt_f64_e64 s0, 0, v[86:87]
	ds_read2_b64 v[101:104], v95 offset1:1
	v_xor_b32_e32 v106, 0x80000000, v87
	v_xor_b32_e32 v108, 0x80000000, v89
	v_mov_b32_e32 v105, v86
	v_mov_b32_e32 v107, v88
	v_add_nc_u32_e32 v95, 16, v95
	s_waitcnt lgkmcnt(0)
	v_xor_b32_e32 v110, 0x80000000, v104
	v_cndmask_b32_e64 v106, v87, v106, s0
	v_cndmask_b32_e32 v108, v89, v108, vcc_lo
	v_cmp_gt_f64_e32 vcc_lo, 0, v[103:104]
	v_cmp_gt_f64_e64 s0, 0, v[101:102]
	v_mov_b32_e32 v109, v103
	v_add_f64 v[105:106], v[105:106], v[107:108]
	v_xor_b32_e32 v108, 0x80000000, v102
	v_mov_b32_e32 v107, v101
	v_cndmask_b32_e32 v110, v104, v110, vcc_lo
	v_cndmask_b32_e64 v108, v102, v108, s0
	v_add_f64 v[107:108], v[107:108], v[109:110]
	v_cmp_lt_f64_e32 vcc_lo, v[105:106], v[107:108]
	v_cndmask_b32_e32 v87, v87, v102, vcc_lo
	v_cndmask_b32_e32 v86, v86, v101, vcc_lo
	;; [unrolled: 1-line block ×4, first 2 shown]
	v_cndmask_b32_e64 v94, v94, s1, vcc_lo
	s_add_i32 s1, s1, 1
	s_cmp_lg_u32 s18, s1
	s_cbranch_scc1 .LBB40_43
.LBB40_44:
	s_inst_prefetch 0x2
	s_waitcnt lgkmcnt(0)
	v_cmp_eq_f64_e32 vcc_lo, 0, v[86:87]
	v_cmp_eq_f64_e64 s0, 0, v[88:89]
	s_and_b32 s0, vcc_lo, s0
	s_and_saveexec_b32 s1, s0
	s_xor_b32 s0, exec_lo, s1
; %bb.45:
	v_cmp_ne_u32_e32 vcc_lo, 0, v99
	v_cndmask_b32_e32 v99, 3, v99, vcc_lo
; %bb.46:
	s_andn2_saveexec_b32 s0, s0
	s_cbranch_execz .LBB40_52
; %bb.47:
	v_cmp_ngt_f64_e64 s1, |v[86:87]|, |v[88:89]|
	s_and_saveexec_b32 s2, s1
	s_xor_b32 s1, exec_lo, s2
	s_cbranch_execz .LBB40_49
; %bb.48:
	v_div_scale_f64 v[101:102], null, v[88:89], v[88:89], v[86:87]
	v_div_scale_f64 v[107:108], vcc_lo, v[86:87], v[88:89], v[86:87]
	v_rcp_f64_e32 v[103:104], v[101:102]
	v_fma_f64 v[105:106], -v[101:102], v[103:104], 1.0
	v_fma_f64 v[103:104], v[103:104], v[105:106], v[103:104]
	v_fma_f64 v[105:106], -v[101:102], v[103:104], 1.0
	v_fma_f64 v[103:104], v[103:104], v[105:106], v[103:104]
	v_mul_f64 v[105:106], v[107:108], v[103:104]
	v_fma_f64 v[101:102], -v[101:102], v[105:106], v[107:108]
	v_div_fmas_f64 v[101:102], v[101:102], v[103:104], v[105:106]
	v_div_fixup_f64 v[101:102], v[101:102], v[88:89], v[86:87]
	v_fma_f64 v[86:87], v[86:87], v[101:102], v[88:89]
	v_div_scale_f64 v[88:89], null, v[86:87], v[86:87], 1.0
	v_rcp_f64_e32 v[103:104], v[88:89]
	v_fma_f64 v[105:106], -v[88:89], v[103:104], 1.0
	v_fma_f64 v[103:104], v[103:104], v[105:106], v[103:104]
	v_fma_f64 v[105:106], -v[88:89], v[103:104], 1.0
	v_fma_f64 v[103:104], v[103:104], v[105:106], v[103:104]
	v_div_scale_f64 v[105:106], vcc_lo, 1.0, v[86:87], 1.0
	v_mul_f64 v[107:108], v[105:106], v[103:104]
	v_fma_f64 v[88:89], -v[88:89], v[107:108], v[105:106]
	v_div_fmas_f64 v[88:89], v[88:89], v[103:104], v[107:108]
	v_div_fixup_f64 v[88:89], v[88:89], v[86:87], 1.0
	v_mul_f64 v[86:87], v[101:102], v[88:89]
	v_xor_b32_e32 v89, 0x80000000, v89
.LBB40_49:
	s_andn2_saveexec_b32 s1, s1
	s_cbranch_execz .LBB40_51
; %bb.50:
	v_div_scale_f64 v[101:102], null, v[86:87], v[86:87], v[88:89]
	v_div_scale_f64 v[107:108], vcc_lo, v[88:89], v[86:87], v[88:89]
	v_rcp_f64_e32 v[103:104], v[101:102]
	v_fma_f64 v[105:106], -v[101:102], v[103:104], 1.0
	v_fma_f64 v[103:104], v[103:104], v[105:106], v[103:104]
	v_fma_f64 v[105:106], -v[101:102], v[103:104], 1.0
	v_fma_f64 v[103:104], v[103:104], v[105:106], v[103:104]
	v_mul_f64 v[105:106], v[107:108], v[103:104]
	v_fma_f64 v[101:102], -v[101:102], v[105:106], v[107:108]
	v_div_fmas_f64 v[101:102], v[101:102], v[103:104], v[105:106]
	v_div_fixup_f64 v[101:102], v[101:102], v[86:87], v[88:89]
	v_fma_f64 v[86:87], v[88:89], v[101:102], v[86:87]
	v_div_scale_f64 v[88:89], null, v[86:87], v[86:87], 1.0
	v_rcp_f64_e32 v[103:104], v[88:89]
	v_fma_f64 v[105:106], -v[88:89], v[103:104], 1.0
	v_fma_f64 v[103:104], v[103:104], v[105:106], v[103:104]
	v_fma_f64 v[105:106], -v[88:89], v[103:104], 1.0
	v_fma_f64 v[103:104], v[103:104], v[105:106], v[103:104]
	v_div_scale_f64 v[105:106], vcc_lo, 1.0, v[86:87], 1.0
	v_mul_f64 v[107:108], v[105:106], v[103:104]
	v_fma_f64 v[88:89], -v[88:89], v[107:108], v[105:106]
	v_div_fmas_f64 v[88:89], v[88:89], v[103:104], v[107:108]
	v_div_fixup_f64 v[86:87], v[88:89], v[86:87], 1.0
	v_mul_f64 v[88:89], v[101:102], -v[86:87]
.LBB40_51:
	s_or_b32 exec_lo, exec_lo, s1
.LBB40_52:
	s_or_b32 exec_lo, exec_lo, s0
	s_mov_b32 s0, exec_lo
	v_cmpx_ne_u32_e64 v100, v94
	s_xor_b32 s0, exec_lo, s0
	s_cbranch_execz .LBB40_58
; %bb.53:
	s_mov_b32 s1, exec_lo
	v_cmpx_eq_u32_e32 2, v100
	s_cbranch_execz .LBB40_57
; %bb.54:
	v_cmp_ne_u32_e32 vcc_lo, 2, v94
	s_xor_b32 s2, s16, -1
	s_and_b32 s3, s2, vcc_lo
	s_and_saveexec_b32 s2, s3
	s_cbranch_execz .LBB40_56
; %bb.55:
	v_ashrrev_i32_e32 v95, 31, v94
	v_lshlrev_b64 v[100:101], 2, v[94:95]
	v_add_co_u32 v100, vcc_lo, v92, v100
	v_add_co_ci_u32_e64 v101, null, v93, v101, vcc_lo
	s_clause 0x1
	global_load_dword v0, v[100:101], off
	global_load_dword v95, v[92:93], off offset:8
	s_waitcnt vmcnt(1)
	global_store_dword v[92:93], v0, off offset:8
	s_waitcnt vmcnt(0)
	global_store_dword v[100:101], v95, off
.LBB40_56:
	s_or_b32 exec_lo, exec_lo, s2
	v_mov_b32_e32 v100, v94
	v_mov_b32_e32 v0, v94
.LBB40_57:
	s_or_b32 exec_lo, exec_lo, s1
.LBB40_58:
	s_andn2_saveexec_b32 s0, s0
	s_cbranch_execz .LBB40_60
; %bb.59:
	v_mov_b32_e32 v100, 2
	ds_write2_b64 v1, v[62:63], v[64:65] offset0:6 offset1:7
	ds_write2_b64 v1, v[78:79], v[80:81] offset0:8 offset1:9
	;; [unrolled: 1-line block ×18, first 2 shown]
.LBB40_60:
	s_or_b32 exec_lo, exec_lo, s0
	s_mov_b32 s0, exec_lo
	s_waitcnt lgkmcnt(0)
	s_waitcnt_vscnt null, 0x0
	s_barrier
	buffer_gl0_inv
	v_cmpx_lt_i32_e32 2, v100
	s_cbranch_execz .LBB40_62
; %bb.61:
	v_mul_f64 v[94:95], v[88:89], v[68:69]
	v_mul_f64 v[68:69], v[86:87], v[68:69]
	v_fma_f64 v[94:95], v[86:87], v[66:67], -v[94:95]
	v_fma_f64 v[68:69], v[88:89], v[66:67], v[68:69]
	ds_read2_b64 v[86:89], v1 offset0:6 offset1:7
	s_waitcnt lgkmcnt(0)
	v_mul_f64 v[66:67], v[88:89], v[68:69]
	v_fma_f64 v[66:67], v[86:87], v[94:95], -v[66:67]
	v_mul_f64 v[86:87], v[86:87], v[68:69]
	v_add_f64 v[62:63], v[62:63], -v[66:67]
	v_fma_f64 v[86:87], v[88:89], v[94:95], v[86:87]
	v_add_f64 v[64:65], v[64:65], -v[86:87]
	ds_read2_b64 v[86:89], v1 offset0:8 offset1:9
	s_waitcnt lgkmcnt(0)
	v_mul_f64 v[66:67], v[88:89], v[68:69]
	v_fma_f64 v[66:67], v[86:87], v[94:95], -v[66:67]
	v_mul_f64 v[86:87], v[86:87], v[68:69]
	v_add_f64 v[78:79], v[78:79], -v[66:67]
	v_fma_f64 v[86:87], v[88:89], v[94:95], v[86:87]
	v_add_f64 v[80:81], v[80:81], -v[86:87]
	;; [unrolled: 8-line block ×17, first 2 shown]
	ds_read2_b64 v[86:89], v1 offset0:40 offset1:41
	s_waitcnt lgkmcnt(0)
	v_mul_f64 v[66:67], v[88:89], v[68:69]
	v_fma_f64 v[66:67], v[86:87], v[94:95], -v[66:67]
	v_mul_f64 v[86:87], v[86:87], v[68:69]
	v_add_f64 v[2:3], v[2:3], -v[66:67]
	v_fma_f64 v[86:87], v[88:89], v[94:95], v[86:87]
	v_mov_b32_e32 v66, v94
	v_mov_b32_e32 v67, v95
	v_add_f64 v[4:5], v[4:5], -v[86:87]
.LBB40_62:
	s_or_b32 exec_lo, exec_lo, s0
	v_lshl_add_u32 v86, v100, 4, v1
	s_barrier
	buffer_gl0_inv
	v_mov_b32_e32 v94, 3
	ds_write2_b64 v86, v[62:63], v[64:65] offset1:1
	s_waitcnt lgkmcnt(0)
	s_barrier
	buffer_gl0_inv
	ds_read2_b64 v[86:89], v1 offset0:6 offset1:7
	s_cmp_lt_i32 s18, 5
	s_mov_b32 s1, 4
	s_cbranch_scc1 .LBB40_65
; %bb.63:
	v_add3_u32 v95, v96, 0, 64
	v_mov_b32_e32 v94, 3
	s_inst_prefetch 0x1
	.p2align	6
.LBB40_64:                              ; =>This Inner Loop Header: Depth=1
	s_waitcnt lgkmcnt(0)
	v_cmp_gt_f64_e32 vcc_lo, 0, v[88:89]
	v_cmp_gt_f64_e64 s0, 0, v[86:87]
	ds_read2_b64 v[101:104], v95 offset1:1
	v_xor_b32_e32 v106, 0x80000000, v87
	v_xor_b32_e32 v108, 0x80000000, v89
	v_mov_b32_e32 v105, v86
	v_mov_b32_e32 v107, v88
	v_add_nc_u32_e32 v95, 16, v95
	s_waitcnt lgkmcnt(0)
	v_xor_b32_e32 v110, 0x80000000, v104
	v_cndmask_b32_e64 v106, v87, v106, s0
	v_cndmask_b32_e32 v108, v89, v108, vcc_lo
	v_cmp_gt_f64_e32 vcc_lo, 0, v[103:104]
	v_cmp_gt_f64_e64 s0, 0, v[101:102]
	v_mov_b32_e32 v109, v103
	v_add_f64 v[105:106], v[105:106], v[107:108]
	v_xor_b32_e32 v108, 0x80000000, v102
	v_mov_b32_e32 v107, v101
	v_cndmask_b32_e32 v110, v104, v110, vcc_lo
	v_cndmask_b32_e64 v108, v102, v108, s0
	v_add_f64 v[107:108], v[107:108], v[109:110]
	v_cmp_lt_f64_e32 vcc_lo, v[105:106], v[107:108]
	v_cndmask_b32_e32 v87, v87, v102, vcc_lo
	v_cndmask_b32_e32 v86, v86, v101, vcc_lo
	;; [unrolled: 1-line block ×4, first 2 shown]
	v_cndmask_b32_e64 v94, v94, s1, vcc_lo
	s_add_i32 s1, s1, 1
	s_cmp_lg_u32 s18, s1
	s_cbranch_scc1 .LBB40_64
.LBB40_65:
	s_inst_prefetch 0x2
	s_waitcnt lgkmcnt(0)
	v_cmp_eq_f64_e32 vcc_lo, 0, v[86:87]
	v_cmp_eq_f64_e64 s0, 0, v[88:89]
	s_and_b32 s0, vcc_lo, s0
	s_and_saveexec_b32 s1, s0
	s_xor_b32 s0, exec_lo, s1
; %bb.66:
	v_cmp_ne_u32_e32 vcc_lo, 0, v99
	v_cndmask_b32_e32 v99, 4, v99, vcc_lo
; %bb.67:
	s_andn2_saveexec_b32 s0, s0
	s_cbranch_execz .LBB40_73
; %bb.68:
	v_cmp_ngt_f64_e64 s1, |v[86:87]|, |v[88:89]|
	s_and_saveexec_b32 s2, s1
	s_xor_b32 s1, exec_lo, s2
	s_cbranch_execz .LBB40_70
; %bb.69:
	v_div_scale_f64 v[101:102], null, v[88:89], v[88:89], v[86:87]
	v_div_scale_f64 v[107:108], vcc_lo, v[86:87], v[88:89], v[86:87]
	v_rcp_f64_e32 v[103:104], v[101:102]
	v_fma_f64 v[105:106], -v[101:102], v[103:104], 1.0
	v_fma_f64 v[103:104], v[103:104], v[105:106], v[103:104]
	v_fma_f64 v[105:106], -v[101:102], v[103:104], 1.0
	v_fma_f64 v[103:104], v[103:104], v[105:106], v[103:104]
	v_mul_f64 v[105:106], v[107:108], v[103:104]
	v_fma_f64 v[101:102], -v[101:102], v[105:106], v[107:108]
	v_div_fmas_f64 v[101:102], v[101:102], v[103:104], v[105:106]
	v_div_fixup_f64 v[101:102], v[101:102], v[88:89], v[86:87]
	v_fma_f64 v[86:87], v[86:87], v[101:102], v[88:89]
	v_div_scale_f64 v[88:89], null, v[86:87], v[86:87], 1.0
	v_rcp_f64_e32 v[103:104], v[88:89]
	v_fma_f64 v[105:106], -v[88:89], v[103:104], 1.0
	v_fma_f64 v[103:104], v[103:104], v[105:106], v[103:104]
	v_fma_f64 v[105:106], -v[88:89], v[103:104], 1.0
	v_fma_f64 v[103:104], v[103:104], v[105:106], v[103:104]
	v_div_scale_f64 v[105:106], vcc_lo, 1.0, v[86:87], 1.0
	v_mul_f64 v[107:108], v[105:106], v[103:104]
	v_fma_f64 v[88:89], -v[88:89], v[107:108], v[105:106]
	v_div_fmas_f64 v[88:89], v[88:89], v[103:104], v[107:108]
	v_div_fixup_f64 v[88:89], v[88:89], v[86:87], 1.0
	v_mul_f64 v[86:87], v[101:102], v[88:89]
	v_xor_b32_e32 v89, 0x80000000, v89
.LBB40_70:
	s_andn2_saveexec_b32 s1, s1
	s_cbranch_execz .LBB40_72
; %bb.71:
	v_div_scale_f64 v[101:102], null, v[86:87], v[86:87], v[88:89]
	v_div_scale_f64 v[107:108], vcc_lo, v[88:89], v[86:87], v[88:89]
	v_rcp_f64_e32 v[103:104], v[101:102]
	v_fma_f64 v[105:106], -v[101:102], v[103:104], 1.0
	v_fma_f64 v[103:104], v[103:104], v[105:106], v[103:104]
	v_fma_f64 v[105:106], -v[101:102], v[103:104], 1.0
	v_fma_f64 v[103:104], v[103:104], v[105:106], v[103:104]
	v_mul_f64 v[105:106], v[107:108], v[103:104]
	v_fma_f64 v[101:102], -v[101:102], v[105:106], v[107:108]
	v_div_fmas_f64 v[101:102], v[101:102], v[103:104], v[105:106]
	v_div_fixup_f64 v[101:102], v[101:102], v[86:87], v[88:89]
	v_fma_f64 v[86:87], v[88:89], v[101:102], v[86:87]
	v_div_scale_f64 v[88:89], null, v[86:87], v[86:87], 1.0
	v_rcp_f64_e32 v[103:104], v[88:89]
	v_fma_f64 v[105:106], -v[88:89], v[103:104], 1.0
	v_fma_f64 v[103:104], v[103:104], v[105:106], v[103:104]
	v_fma_f64 v[105:106], -v[88:89], v[103:104], 1.0
	v_fma_f64 v[103:104], v[103:104], v[105:106], v[103:104]
	v_div_scale_f64 v[105:106], vcc_lo, 1.0, v[86:87], 1.0
	v_mul_f64 v[107:108], v[105:106], v[103:104]
	v_fma_f64 v[88:89], -v[88:89], v[107:108], v[105:106]
	v_div_fmas_f64 v[88:89], v[88:89], v[103:104], v[107:108]
	v_div_fixup_f64 v[86:87], v[88:89], v[86:87], 1.0
	v_mul_f64 v[88:89], v[101:102], -v[86:87]
.LBB40_72:
	s_or_b32 exec_lo, exec_lo, s1
.LBB40_73:
	s_or_b32 exec_lo, exec_lo, s0
	s_mov_b32 s0, exec_lo
	v_cmpx_ne_u32_e64 v100, v94
	s_xor_b32 s0, exec_lo, s0
	s_cbranch_execz .LBB40_79
; %bb.74:
	s_mov_b32 s1, exec_lo
	v_cmpx_eq_u32_e32 3, v100
	s_cbranch_execz .LBB40_78
; %bb.75:
	v_cmp_ne_u32_e32 vcc_lo, 3, v94
	s_xor_b32 s2, s16, -1
	s_and_b32 s3, s2, vcc_lo
	s_and_saveexec_b32 s2, s3
	s_cbranch_execz .LBB40_77
; %bb.76:
	v_ashrrev_i32_e32 v95, 31, v94
	v_lshlrev_b64 v[100:101], 2, v[94:95]
	v_add_co_u32 v100, vcc_lo, v92, v100
	v_add_co_ci_u32_e64 v101, null, v93, v101, vcc_lo
	s_clause 0x1
	global_load_dword v0, v[100:101], off
	global_load_dword v95, v[92:93], off offset:12
	s_waitcnt vmcnt(1)
	global_store_dword v[92:93], v0, off offset:12
	s_waitcnt vmcnt(0)
	global_store_dword v[100:101], v95, off
.LBB40_77:
	s_or_b32 exec_lo, exec_lo, s2
	v_mov_b32_e32 v100, v94
	v_mov_b32_e32 v0, v94
.LBB40_78:
	s_or_b32 exec_lo, exec_lo, s1
.LBB40_79:
	s_andn2_saveexec_b32 s0, s0
	s_cbranch_execz .LBB40_81
; %bb.80:
	v_mov_b32_e32 v100, 3
	ds_write2_b64 v1, v[78:79], v[80:81] offset0:8 offset1:9
	ds_write2_b64 v1, v[74:75], v[76:77] offset0:10 offset1:11
	;; [unrolled: 1-line block ×17, first 2 shown]
.LBB40_81:
	s_or_b32 exec_lo, exec_lo, s0
	s_mov_b32 s0, exec_lo
	s_waitcnt lgkmcnt(0)
	s_waitcnt_vscnt null, 0x0
	s_barrier
	buffer_gl0_inv
	v_cmpx_lt_i32_e32 3, v100
	s_cbranch_execz .LBB40_83
; %bb.82:
	v_mul_f64 v[94:95], v[88:89], v[64:65]
	v_mul_f64 v[64:65], v[86:87], v[64:65]
	v_fma_f64 v[94:95], v[86:87], v[62:63], -v[94:95]
	v_fma_f64 v[64:65], v[88:89], v[62:63], v[64:65]
	ds_read2_b64 v[86:89], v1 offset0:8 offset1:9
	s_waitcnt lgkmcnt(0)
	v_mul_f64 v[62:63], v[88:89], v[64:65]
	v_fma_f64 v[62:63], v[86:87], v[94:95], -v[62:63]
	v_mul_f64 v[86:87], v[86:87], v[64:65]
	v_add_f64 v[78:79], v[78:79], -v[62:63]
	v_fma_f64 v[86:87], v[88:89], v[94:95], v[86:87]
	v_add_f64 v[80:81], v[80:81], -v[86:87]
	ds_read2_b64 v[86:89], v1 offset0:10 offset1:11
	s_waitcnt lgkmcnt(0)
	v_mul_f64 v[62:63], v[88:89], v[64:65]
	v_fma_f64 v[62:63], v[86:87], v[94:95], -v[62:63]
	v_mul_f64 v[86:87], v[86:87], v[64:65]
	v_add_f64 v[74:75], v[74:75], -v[62:63]
	v_fma_f64 v[86:87], v[88:89], v[94:95], v[86:87]
	v_add_f64 v[76:77], v[76:77], -v[86:87]
	;; [unrolled: 8-line block ×16, first 2 shown]
	ds_read2_b64 v[86:89], v1 offset0:40 offset1:41
	s_waitcnt lgkmcnt(0)
	v_mul_f64 v[62:63], v[88:89], v[64:65]
	v_fma_f64 v[62:63], v[86:87], v[94:95], -v[62:63]
	v_mul_f64 v[86:87], v[86:87], v[64:65]
	v_add_f64 v[2:3], v[2:3], -v[62:63]
	v_fma_f64 v[86:87], v[88:89], v[94:95], v[86:87]
	v_mov_b32_e32 v62, v94
	v_mov_b32_e32 v63, v95
	v_add_f64 v[4:5], v[4:5], -v[86:87]
.LBB40_83:
	s_or_b32 exec_lo, exec_lo, s0
	v_lshl_add_u32 v86, v100, 4, v1
	s_barrier
	buffer_gl0_inv
	v_mov_b32_e32 v94, 4
	ds_write2_b64 v86, v[78:79], v[80:81] offset1:1
	s_waitcnt lgkmcnt(0)
	s_barrier
	buffer_gl0_inv
	ds_read2_b64 v[86:89], v1 offset0:8 offset1:9
	s_cmp_lt_i32 s18, 6
	s_cbranch_scc1 .LBB40_86
; %bb.84:
	v_mov_b32_e32 v94, 4
	v_add3_u32 v95, v96, 0, 0x50
	s_mov_b32 s1, 5
	s_inst_prefetch 0x1
	.p2align	6
.LBB40_85:                              ; =>This Inner Loop Header: Depth=1
	s_waitcnt lgkmcnt(0)
	v_cmp_gt_f64_e32 vcc_lo, 0, v[88:89]
	v_cmp_gt_f64_e64 s0, 0, v[86:87]
	ds_read2_b64 v[101:104], v95 offset1:1
	v_xor_b32_e32 v106, 0x80000000, v87
	v_xor_b32_e32 v108, 0x80000000, v89
	v_mov_b32_e32 v105, v86
	v_mov_b32_e32 v107, v88
	v_add_nc_u32_e32 v95, 16, v95
	s_waitcnt lgkmcnt(0)
	v_xor_b32_e32 v110, 0x80000000, v104
	v_cndmask_b32_e64 v106, v87, v106, s0
	v_cndmask_b32_e32 v108, v89, v108, vcc_lo
	v_cmp_gt_f64_e32 vcc_lo, 0, v[103:104]
	v_cmp_gt_f64_e64 s0, 0, v[101:102]
	v_mov_b32_e32 v109, v103
	v_add_f64 v[105:106], v[105:106], v[107:108]
	v_xor_b32_e32 v108, 0x80000000, v102
	v_mov_b32_e32 v107, v101
	v_cndmask_b32_e32 v110, v104, v110, vcc_lo
	v_cndmask_b32_e64 v108, v102, v108, s0
	v_add_f64 v[107:108], v[107:108], v[109:110]
	v_cmp_lt_f64_e32 vcc_lo, v[105:106], v[107:108]
	v_cndmask_b32_e32 v87, v87, v102, vcc_lo
	v_cndmask_b32_e32 v86, v86, v101, vcc_lo
	;; [unrolled: 1-line block ×4, first 2 shown]
	v_cndmask_b32_e64 v94, v94, s1, vcc_lo
	s_add_i32 s1, s1, 1
	s_cmp_lg_u32 s18, s1
	s_cbranch_scc1 .LBB40_85
.LBB40_86:
	s_inst_prefetch 0x2
	s_waitcnt lgkmcnt(0)
	v_cmp_eq_f64_e32 vcc_lo, 0, v[86:87]
	v_cmp_eq_f64_e64 s0, 0, v[88:89]
	s_and_b32 s0, vcc_lo, s0
	s_and_saveexec_b32 s1, s0
	s_xor_b32 s0, exec_lo, s1
; %bb.87:
	v_cmp_ne_u32_e32 vcc_lo, 0, v99
	v_cndmask_b32_e32 v99, 5, v99, vcc_lo
; %bb.88:
	s_andn2_saveexec_b32 s0, s0
	s_cbranch_execz .LBB40_94
; %bb.89:
	v_cmp_ngt_f64_e64 s1, |v[86:87]|, |v[88:89]|
	s_and_saveexec_b32 s2, s1
	s_xor_b32 s1, exec_lo, s2
	s_cbranch_execz .LBB40_91
; %bb.90:
	v_div_scale_f64 v[101:102], null, v[88:89], v[88:89], v[86:87]
	v_div_scale_f64 v[107:108], vcc_lo, v[86:87], v[88:89], v[86:87]
	v_rcp_f64_e32 v[103:104], v[101:102]
	v_fma_f64 v[105:106], -v[101:102], v[103:104], 1.0
	v_fma_f64 v[103:104], v[103:104], v[105:106], v[103:104]
	v_fma_f64 v[105:106], -v[101:102], v[103:104], 1.0
	v_fma_f64 v[103:104], v[103:104], v[105:106], v[103:104]
	v_mul_f64 v[105:106], v[107:108], v[103:104]
	v_fma_f64 v[101:102], -v[101:102], v[105:106], v[107:108]
	v_div_fmas_f64 v[101:102], v[101:102], v[103:104], v[105:106]
	v_div_fixup_f64 v[101:102], v[101:102], v[88:89], v[86:87]
	v_fma_f64 v[86:87], v[86:87], v[101:102], v[88:89]
	v_div_scale_f64 v[88:89], null, v[86:87], v[86:87], 1.0
	v_rcp_f64_e32 v[103:104], v[88:89]
	v_fma_f64 v[105:106], -v[88:89], v[103:104], 1.0
	v_fma_f64 v[103:104], v[103:104], v[105:106], v[103:104]
	v_fma_f64 v[105:106], -v[88:89], v[103:104], 1.0
	v_fma_f64 v[103:104], v[103:104], v[105:106], v[103:104]
	v_div_scale_f64 v[105:106], vcc_lo, 1.0, v[86:87], 1.0
	v_mul_f64 v[107:108], v[105:106], v[103:104]
	v_fma_f64 v[88:89], -v[88:89], v[107:108], v[105:106]
	v_div_fmas_f64 v[88:89], v[88:89], v[103:104], v[107:108]
	v_div_fixup_f64 v[88:89], v[88:89], v[86:87], 1.0
	v_mul_f64 v[86:87], v[101:102], v[88:89]
	v_xor_b32_e32 v89, 0x80000000, v89
.LBB40_91:
	s_andn2_saveexec_b32 s1, s1
	s_cbranch_execz .LBB40_93
; %bb.92:
	v_div_scale_f64 v[101:102], null, v[86:87], v[86:87], v[88:89]
	v_div_scale_f64 v[107:108], vcc_lo, v[88:89], v[86:87], v[88:89]
	v_rcp_f64_e32 v[103:104], v[101:102]
	v_fma_f64 v[105:106], -v[101:102], v[103:104], 1.0
	v_fma_f64 v[103:104], v[103:104], v[105:106], v[103:104]
	v_fma_f64 v[105:106], -v[101:102], v[103:104], 1.0
	v_fma_f64 v[103:104], v[103:104], v[105:106], v[103:104]
	v_mul_f64 v[105:106], v[107:108], v[103:104]
	v_fma_f64 v[101:102], -v[101:102], v[105:106], v[107:108]
	v_div_fmas_f64 v[101:102], v[101:102], v[103:104], v[105:106]
	v_div_fixup_f64 v[101:102], v[101:102], v[86:87], v[88:89]
	v_fma_f64 v[86:87], v[88:89], v[101:102], v[86:87]
	v_div_scale_f64 v[88:89], null, v[86:87], v[86:87], 1.0
	v_rcp_f64_e32 v[103:104], v[88:89]
	v_fma_f64 v[105:106], -v[88:89], v[103:104], 1.0
	v_fma_f64 v[103:104], v[103:104], v[105:106], v[103:104]
	v_fma_f64 v[105:106], -v[88:89], v[103:104], 1.0
	v_fma_f64 v[103:104], v[103:104], v[105:106], v[103:104]
	v_div_scale_f64 v[105:106], vcc_lo, 1.0, v[86:87], 1.0
	v_mul_f64 v[107:108], v[105:106], v[103:104]
	v_fma_f64 v[88:89], -v[88:89], v[107:108], v[105:106]
	v_div_fmas_f64 v[88:89], v[88:89], v[103:104], v[107:108]
	v_div_fixup_f64 v[86:87], v[88:89], v[86:87], 1.0
	v_mul_f64 v[88:89], v[101:102], -v[86:87]
.LBB40_93:
	s_or_b32 exec_lo, exec_lo, s1
.LBB40_94:
	s_or_b32 exec_lo, exec_lo, s0
	s_mov_b32 s0, exec_lo
	v_cmpx_ne_u32_e64 v100, v94
	s_xor_b32 s0, exec_lo, s0
	s_cbranch_execz .LBB40_100
; %bb.95:
	s_mov_b32 s1, exec_lo
	v_cmpx_eq_u32_e32 4, v100
	s_cbranch_execz .LBB40_99
; %bb.96:
	v_cmp_ne_u32_e32 vcc_lo, 4, v94
	s_xor_b32 s2, s16, -1
	s_and_b32 s3, s2, vcc_lo
	s_and_saveexec_b32 s2, s3
	s_cbranch_execz .LBB40_98
; %bb.97:
	v_ashrrev_i32_e32 v95, 31, v94
	v_lshlrev_b64 v[100:101], 2, v[94:95]
	v_add_co_u32 v100, vcc_lo, v92, v100
	v_add_co_ci_u32_e64 v101, null, v93, v101, vcc_lo
	s_clause 0x1
	global_load_dword v0, v[100:101], off
	global_load_dword v95, v[92:93], off offset:16
	s_waitcnt vmcnt(1)
	global_store_dword v[92:93], v0, off offset:16
	s_waitcnt vmcnt(0)
	global_store_dword v[100:101], v95, off
.LBB40_98:
	s_or_b32 exec_lo, exec_lo, s2
	v_mov_b32_e32 v100, v94
	v_mov_b32_e32 v0, v94
.LBB40_99:
	s_or_b32 exec_lo, exec_lo, s1
.LBB40_100:
	s_andn2_saveexec_b32 s0, s0
	s_cbranch_execz .LBB40_102
; %bb.101:
	v_mov_b32_e32 v100, 4
	ds_write2_b64 v1, v[74:75], v[76:77] offset0:10 offset1:11
	ds_write2_b64 v1, v[58:59], v[60:61] offset0:12 offset1:13
	;; [unrolled: 1-line block ×16, first 2 shown]
.LBB40_102:
	s_or_b32 exec_lo, exec_lo, s0
	s_mov_b32 s0, exec_lo
	s_waitcnt lgkmcnt(0)
	s_waitcnt_vscnt null, 0x0
	s_barrier
	buffer_gl0_inv
	v_cmpx_lt_i32_e32 4, v100
	s_cbranch_execz .LBB40_104
; %bb.103:
	v_mul_f64 v[94:95], v[86:87], v[80:81]
	v_mul_f64 v[80:81], v[88:89], v[80:81]
	v_fma_f64 v[94:95], v[88:89], v[78:79], v[94:95]
	v_fma_f64 v[78:79], v[86:87], v[78:79], -v[80:81]
	ds_read2_b64 v[86:89], v1 offset0:10 offset1:11
	s_waitcnt lgkmcnt(0)
	v_mul_f64 v[80:81], v[88:89], v[94:95]
	v_fma_f64 v[80:81], v[86:87], v[78:79], -v[80:81]
	v_mul_f64 v[86:87], v[86:87], v[94:95]
	v_add_f64 v[74:75], v[74:75], -v[80:81]
	v_fma_f64 v[86:87], v[88:89], v[78:79], v[86:87]
	v_add_f64 v[76:77], v[76:77], -v[86:87]
	ds_read2_b64 v[86:89], v1 offset0:12 offset1:13
	s_waitcnt lgkmcnt(0)
	v_mul_f64 v[80:81], v[88:89], v[94:95]
	v_fma_f64 v[80:81], v[86:87], v[78:79], -v[80:81]
	v_mul_f64 v[86:87], v[86:87], v[94:95]
	v_add_f64 v[58:59], v[58:59], -v[80:81]
	v_fma_f64 v[86:87], v[88:89], v[78:79], v[86:87]
	v_add_f64 v[60:61], v[60:61], -v[86:87]
	;; [unrolled: 8-line block ×15, first 2 shown]
	ds_read2_b64 v[86:89], v1 offset0:40 offset1:41
	s_waitcnt lgkmcnt(0)
	v_mul_f64 v[80:81], v[88:89], v[94:95]
	v_fma_f64 v[80:81], v[86:87], v[78:79], -v[80:81]
	v_mul_f64 v[86:87], v[86:87], v[94:95]
	v_add_f64 v[2:3], v[2:3], -v[80:81]
	v_fma_f64 v[86:87], v[88:89], v[78:79], v[86:87]
	v_mov_b32_e32 v80, v94
	v_mov_b32_e32 v81, v95
	v_add_f64 v[4:5], v[4:5], -v[86:87]
.LBB40_104:
	s_or_b32 exec_lo, exec_lo, s0
	v_lshl_add_u32 v86, v100, 4, v1
	s_barrier
	buffer_gl0_inv
	v_mov_b32_e32 v94, 5
	ds_write2_b64 v86, v[74:75], v[76:77] offset1:1
	s_waitcnt lgkmcnt(0)
	s_barrier
	buffer_gl0_inv
	ds_read2_b64 v[86:89], v1 offset0:10 offset1:11
	s_cmp_lt_i32 s18, 7
	s_cbranch_scc1 .LBB40_107
; %bb.105:
	v_add3_u32 v95, v96, 0, 0x60
	v_mov_b32_e32 v94, 5
	s_mov_b32 s1, 6
	s_inst_prefetch 0x1
	.p2align	6
.LBB40_106:                             ; =>This Inner Loop Header: Depth=1
	s_waitcnt lgkmcnt(0)
	v_cmp_gt_f64_e32 vcc_lo, 0, v[88:89]
	v_cmp_gt_f64_e64 s0, 0, v[86:87]
	ds_read2_b64 v[101:104], v95 offset1:1
	v_xor_b32_e32 v106, 0x80000000, v87
	v_xor_b32_e32 v108, 0x80000000, v89
	v_mov_b32_e32 v105, v86
	v_mov_b32_e32 v107, v88
	v_add_nc_u32_e32 v95, 16, v95
	s_waitcnt lgkmcnt(0)
	v_xor_b32_e32 v110, 0x80000000, v104
	v_cndmask_b32_e64 v106, v87, v106, s0
	v_cndmask_b32_e32 v108, v89, v108, vcc_lo
	v_cmp_gt_f64_e32 vcc_lo, 0, v[103:104]
	v_cmp_gt_f64_e64 s0, 0, v[101:102]
	v_mov_b32_e32 v109, v103
	v_add_f64 v[105:106], v[105:106], v[107:108]
	v_xor_b32_e32 v108, 0x80000000, v102
	v_mov_b32_e32 v107, v101
	v_cndmask_b32_e32 v110, v104, v110, vcc_lo
	v_cndmask_b32_e64 v108, v102, v108, s0
	v_add_f64 v[107:108], v[107:108], v[109:110]
	v_cmp_lt_f64_e32 vcc_lo, v[105:106], v[107:108]
	v_cndmask_b32_e32 v87, v87, v102, vcc_lo
	v_cndmask_b32_e32 v86, v86, v101, vcc_lo
	;; [unrolled: 1-line block ×4, first 2 shown]
	v_cndmask_b32_e64 v94, v94, s1, vcc_lo
	s_add_i32 s1, s1, 1
	s_cmp_lg_u32 s18, s1
	s_cbranch_scc1 .LBB40_106
.LBB40_107:
	s_inst_prefetch 0x2
	s_waitcnt lgkmcnt(0)
	v_cmp_eq_f64_e32 vcc_lo, 0, v[86:87]
	v_cmp_eq_f64_e64 s0, 0, v[88:89]
	s_and_b32 s0, vcc_lo, s0
	s_and_saveexec_b32 s1, s0
	s_xor_b32 s0, exec_lo, s1
; %bb.108:
	v_cmp_ne_u32_e32 vcc_lo, 0, v99
	v_cndmask_b32_e32 v99, 6, v99, vcc_lo
; %bb.109:
	s_andn2_saveexec_b32 s0, s0
	s_cbranch_execz .LBB40_115
; %bb.110:
	v_cmp_ngt_f64_e64 s1, |v[86:87]|, |v[88:89]|
	s_and_saveexec_b32 s2, s1
	s_xor_b32 s1, exec_lo, s2
	s_cbranch_execz .LBB40_112
; %bb.111:
	v_div_scale_f64 v[101:102], null, v[88:89], v[88:89], v[86:87]
	v_div_scale_f64 v[107:108], vcc_lo, v[86:87], v[88:89], v[86:87]
	v_rcp_f64_e32 v[103:104], v[101:102]
	v_fma_f64 v[105:106], -v[101:102], v[103:104], 1.0
	v_fma_f64 v[103:104], v[103:104], v[105:106], v[103:104]
	v_fma_f64 v[105:106], -v[101:102], v[103:104], 1.0
	v_fma_f64 v[103:104], v[103:104], v[105:106], v[103:104]
	v_mul_f64 v[105:106], v[107:108], v[103:104]
	v_fma_f64 v[101:102], -v[101:102], v[105:106], v[107:108]
	v_div_fmas_f64 v[101:102], v[101:102], v[103:104], v[105:106]
	v_div_fixup_f64 v[101:102], v[101:102], v[88:89], v[86:87]
	v_fma_f64 v[86:87], v[86:87], v[101:102], v[88:89]
	v_div_scale_f64 v[88:89], null, v[86:87], v[86:87], 1.0
	v_rcp_f64_e32 v[103:104], v[88:89]
	v_fma_f64 v[105:106], -v[88:89], v[103:104], 1.0
	v_fma_f64 v[103:104], v[103:104], v[105:106], v[103:104]
	v_fma_f64 v[105:106], -v[88:89], v[103:104], 1.0
	v_fma_f64 v[103:104], v[103:104], v[105:106], v[103:104]
	v_div_scale_f64 v[105:106], vcc_lo, 1.0, v[86:87], 1.0
	v_mul_f64 v[107:108], v[105:106], v[103:104]
	v_fma_f64 v[88:89], -v[88:89], v[107:108], v[105:106]
	v_div_fmas_f64 v[88:89], v[88:89], v[103:104], v[107:108]
	v_div_fixup_f64 v[88:89], v[88:89], v[86:87], 1.0
	v_mul_f64 v[86:87], v[101:102], v[88:89]
	v_xor_b32_e32 v89, 0x80000000, v89
.LBB40_112:
	s_andn2_saveexec_b32 s1, s1
	s_cbranch_execz .LBB40_114
; %bb.113:
	v_div_scale_f64 v[101:102], null, v[86:87], v[86:87], v[88:89]
	v_div_scale_f64 v[107:108], vcc_lo, v[88:89], v[86:87], v[88:89]
	v_rcp_f64_e32 v[103:104], v[101:102]
	v_fma_f64 v[105:106], -v[101:102], v[103:104], 1.0
	v_fma_f64 v[103:104], v[103:104], v[105:106], v[103:104]
	v_fma_f64 v[105:106], -v[101:102], v[103:104], 1.0
	v_fma_f64 v[103:104], v[103:104], v[105:106], v[103:104]
	v_mul_f64 v[105:106], v[107:108], v[103:104]
	v_fma_f64 v[101:102], -v[101:102], v[105:106], v[107:108]
	v_div_fmas_f64 v[101:102], v[101:102], v[103:104], v[105:106]
	v_div_fixup_f64 v[101:102], v[101:102], v[86:87], v[88:89]
	v_fma_f64 v[86:87], v[88:89], v[101:102], v[86:87]
	v_div_scale_f64 v[88:89], null, v[86:87], v[86:87], 1.0
	v_rcp_f64_e32 v[103:104], v[88:89]
	v_fma_f64 v[105:106], -v[88:89], v[103:104], 1.0
	v_fma_f64 v[103:104], v[103:104], v[105:106], v[103:104]
	v_fma_f64 v[105:106], -v[88:89], v[103:104], 1.0
	v_fma_f64 v[103:104], v[103:104], v[105:106], v[103:104]
	v_div_scale_f64 v[105:106], vcc_lo, 1.0, v[86:87], 1.0
	v_mul_f64 v[107:108], v[105:106], v[103:104]
	v_fma_f64 v[88:89], -v[88:89], v[107:108], v[105:106]
	v_div_fmas_f64 v[88:89], v[88:89], v[103:104], v[107:108]
	v_div_fixup_f64 v[86:87], v[88:89], v[86:87], 1.0
	v_mul_f64 v[88:89], v[101:102], -v[86:87]
.LBB40_114:
	s_or_b32 exec_lo, exec_lo, s1
.LBB40_115:
	s_or_b32 exec_lo, exec_lo, s0
	s_mov_b32 s0, exec_lo
	v_cmpx_ne_u32_e64 v100, v94
	s_xor_b32 s0, exec_lo, s0
	s_cbranch_execz .LBB40_121
; %bb.116:
	s_mov_b32 s1, exec_lo
	v_cmpx_eq_u32_e32 5, v100
	s_cbranch_execz .LBB40_120
; %bb.117:
	v_cmp_ne_u32_e32 vcc_lo, 5, v94
	s_xor_b32 s2, s16, -1
	s_and_b32 s3, s2, vcc_lo
	s_and_saveexec_b32 s2, s3
	s_cbranch_execz .LBB40_119
; %bb.118:
	v_ashrrev_i32_e32 v95, 31, v94
	v_lshlrev_b64 v[100:101], 2, v[94:95]
	v_add_co_u32 v100, vcc_lo, v92, v100
	v_add_co_ci_u32_e64 v101, null, v93, v101, vcc_lo
	s_clause 0x1
	global_load_dword v0, v[100:101], off
	global_load_dword v95, v[92:93], off offset:20
	s_waitcnt vmcnt(1)
	global_store_dword v[92:93], v0, off offset:20
	s_waitcnt vmcnt(0)
	global_store_dword v[100:101], v95, off
.LBB40_119:
	s_or_b32 exec_lo, exec_lo, s2
	v_mov_b32_e32 v100, v94
	v_mov_b32_e32 v0, v94
.LBB40_120:
	s_or_b32 exec_lo, exec_lo, s1
.LBB40_121:
	s_andn2_saveexec_b32 s0, s0
	s_cbranch_execz .LBB40_123
; %bb.122:
	v_mov_b32_e32 v100, 5
	ds_write2_b64 v1, v[58:59], v[60:61] offset0:12 offset1:13
	ds_write2_b64 v1, v[54:55], v[56:57] offset0:14 offset1:15
	;; [unrolled: 1-line block ×15, first 2 shown]
.LBB40_123:
	s_or_b32 exec_lo, exec_lo, s0
	s_mov_b32 s0, exec_lo
	s_waitcnt lgkmcnt(0)
	s_waitcnt_vscnt null, 0x0
	s_barrier
	buffer_gl0_inv
	v_cmpx_lt_i32_e32 5, v100
	s_cbranch_execz .LBB40_125
; %bb.124:
	v_mul_f64 v[94:95], v[86:87], v[76:77]
	v_mul_f64 v[76:77], v[88:89], v[76:77]
	v_fma_f64 v[94:95], v[88:89], v[74:75], v[94:95]
	v_fma_f64 v[74:75], v[86:87], v[74:75], -v[76:77]
	ds_read2_b64 v[86:89], v1 offset0:12 offset1:13
	s_waitcnt lgkmcnt(0)
	v_mul_f64 v[76:77], v[88:89], v[94:95]
	v_fma_f64 v[76:77], v[86:87], v[74:75], -v[76:77]
	v_mul_f64 v[86:87], v[86:87], v[94:95]
	v_add_f64 v[58:59], v[58:59], -v[76:77]
	v_fma_f64 v[86:87], v[88:89], v[74:75], v[86:87]
	v_add_f64 v[60:61], v[60:61], -v[86:87]
	ds_read2_b64 v[86:89], v1 offset0:14 offset1:15
	s_waitcnt lgkmcnt(0)
	v_mul_f64 v[76:77], v[88:89], v[94:95]
	v_fma_f64 v[76:77], v[86:87], v[74:75], -v[76:77]
	v_mul_f64 v[86:87], v[86:87], v[94:95]
	v_add_f64 v[54:55], v[54:55], -v[76:77]
	v_fma_f64 v[86:87], v[88:89], v[74:75], v[86:87]
	v_add_f64 v[56:57], v[56:57], -v[86:87]
	;; [unrolled: 8-line block ×14, first 2 shown]
	ds_read2_b64 v[86:89], v1 offset0:40 offset1:41
	s_waitcnt lgkmcnt(0)
	v_mul_f64 v[76:77], v[88:89], v[94:95]
	v_fma_f64 v[76:77], v[86:87], v[74:75], -v[76:77]
	v_mul_f64 v[86:87], v[86:87], v[94:95]
	v_add_f64 v[2:3], v[2:3], -v[76:77]
	v_fma_f64 v[86:87], v[88:89], v[74:75], v[86:87]
	v_mov_b32_e32 v76, v94
	v_mov_b32_e32 v77, v95
	v_add_f64 v[4:5], v[4:5], -v[86:87]
.LBB40_125:
	s_or_b32 exec_lo, exec_lo, s0
	v_lshl_add_u32 v86, v100, 4, v1
	s_barrier
	buffer_gl0_inv
	v_mov_b32_e32 v94, 6
	ds_write2_b64 v86, v[58:59], v[60:61] offset1:1
	s_waitcnt lgkmcnt(0)
	s_barrier
	buffer_gl0_inv
	ds_read2_b64 v[86:89], v1 offset0:12 offset1:13
	s_cmp_lt_i32 s18, 8
	s_cbranch_scc1 .LBB40_128
; %bb.126:
	v_add3_u32 v95, v96, 0, 0x70
	v_mov_b32_e32 v94, 6
	s_mov_b32 s1, 7
	s_inst_prefetch 0x1
	.p2align	6
.LBB40_127:                             ; =>This Inner Loop Header: Depth=1
	s_waitcnt lgkmcnt(0)
	v_cmp_gt_f64_e32 vcc_lo, 0, v[88:89]
	v_cmp_gt_f64_e64 s0, 0, v[86:87]
	ds_read2_b64 v[101:104], v95 offset1:1
	v_xor_b32_e32 v106, 0x80000000, v87
	v_xor_b32_e32 v108, 0x80000000, v89
	v_mov_b32_e32 v105, v86
	v_mov_b32_e32 v107, v88
	v_add_nc_u32_e32 v95, 16, v95
	s_waitcnt lgkmcnt(0)
	v_xor_b32_e32 v110, 0x80000000, v104
	v_cndmask_b32_e64 v106, v87, v106, s0
	v_cndmask_b32_e32 v108, v89, v108, vcc_lo
	v_cmp_gt_f64_e32 vcc_lo, 0, v[103:104]
	v_cmp_gt_f64_e64 s0, 0, v[101:102]
	v_mov_b32_e32 v109, v103
	v_add_f64 v[105:106], v[105:106], v[107:108]
	v_xor_b32_e32 v108, 0x80000000, v102
	v_mov_b32_e32 v107, v101
	v_cndmask_b32_e32 v110, v104, v110, vcc_lo
	v_cndmask_b32_e64 v108, v102, v108, s0
	v_add_f64 v[107:108], v[107:108], v[109:110]
	v_cmp_lt_f64_e32 vcc_lo, v[105:106], v[107:108]
	v_cndmask_b32_e32 v87, v87, v102, vcc_lo
	v_cndmask_b32_e32 v86, v86, v101, vcc_lo
	;; [unrolled: 1-line block ×4, first 2 shown]
	v_cndmask_b32_e64 v94, v94, s1, vcc_lo
	s_add_i32 s1, s1, 1
	s_cmp_lg_u32 s18, s1
	s_cbranch_scc1 .LBB40_127
.LBB40_128:
	s_inst_prefetch 0x2
	s_waitcnt lgkmcnt(0)
	v_cmp_eq_f64_e32 vcc_lo, 0, v[86:87]
	v_cmp_eq_f64_e64 s0, 0, v[88:89]
	s_and_b32 s0, vcc_lo, s0
	s_and_saveexec_b32 s1, s0
	s_xor_b32 s0, exec_lo, s1
; %bb.129:
	v_cmp_ne_u32_e32 vcc_lo, 0, v99
	v_cndmask_b32_e32 v99, 7, v99, vcc_lo
; %bb.130:
	s_andn2_saveexec_b32 s0, s0
	s_cbranch_execz .LBB40_136
; %bb.131:
	v_cmp_ngt_f64_e64 s1, |v[86:87]|, |v[88:89]|
	s_and_saveexec_b32 s2, s1
	s_xor_b32 s1, exec_lo, s2
	s_cbranch_execz .LBB40_133
; %bb.132:
	v_div_scale_f64 v[101:102], null, v[88:89], v[88:89], v[86:87]
	v_div_scale_f64 v[107:108], vcc_lo, v[86:87], v[88:89], v[86:87]
	v_rcp_f64_e32 v[103:104], v[101:102]
	v_fma_f64 v[105:106], -v[101:102], v[103:104], 1.0
	v_fma_f64 v[103:104], v[103:104], v[105:106], v[103:104]
	v_fma_f64 v[105:106], -v[101:102], v[103:104], 1.0
	v_fma_f64 v[103:104], v[103:104], v[105:106], v[103:104]
	v_mul_f64 v[105:106], v[107:108], v[103:104]
	v_fma_f64 v[101:102], -v[101:102], v[105:106], v[107:108]
	v_div_fmas_f64 v[101:102], v[101:102], v[103:104], v[105:106]
	v_div_fixup_f64 v[101:102], v[101:102], v[88:89], v[86:87]
	v_fma_f64 v[86:87], v[86:87], v[101:102], v[88:89]
	v_div_scale_f64 v[88:89], null, v[86:87], v[86:87], 1.0
	v_rcp_f64_e32 v[103:104], v[88:89]
	v_fma_f64 v[105:106], -v[88:89], v[103:104], 1.0
	v_fma_f64 v[103:104], v[103:104], v[105:106], v[103:104]
	v_fma_f64 v[105:106], -v[88:89], v[103:104], 1.0
	v_fma_f64 v[103:104], v[103:104], v[105:106], v[103:104]
	v_div_scale_f64 v[105:106], vcc_lo, 1.0, v[86:87], 1.0
	v_mul_f64 v[107:108], v[105:106], v[103:104]
	v_fma_f64 v[88:89], -v[88:89], v[107:108], v[105:106]
	v_div_fmas_f64 v[88:89], v[88:89], v[103:104], v[107:108]
	v_div_fixup_f64 v[88:89], v[88:89], v[86:87], 1.0
	v_mul_f64 v[86:87], v[101:102], v[88:89]
	v_xor_b32_e32 v89, 0x80000000, v89
.LBB40_133:
	s_andn2_saveexec_b32 s1, s1
	s_cbranch_execz .LBB40_135
; %bb.134:
	v_div_scale_f64 v[101:102], null, v[86:87], v[86:87], v[88:89]
	v_div_scale_f64 v[107:108], vcc_lo, v[88:89], v[86:87], v[88:89]
	v_rcp_f64_e32 v[103:104], v[101:102]
	v_fma_f64 v[105:106], -v[101:102], v[103:104], 1.0
	v_fma_f64 v[103:104], v[103:104], v[105:106], v[103:104]
	v_fma_f64 v[105:106], -v[101:102], v[103:104], 1.0
	v_fma_f64 v[103:104], v[103:104], v[105:106], v[103:104]
	v_mul_f64 v[105:106], v[107:108], v[103:104]
	v_fma_f64 v[101:102], -v[101:102], v[105:106], v[107:108]
	v_div_fmas_f64 v[101:102], v[101:102], v[103:104], v[105:106]
	v_div_fixup_f64 v[101:102], v[101:102], v[86:87], v[88:89]
	v_fma_f64 v[86:87], v[88:89], v[101:102], v[86:87]
	v_div_scale_f64 v[88:89], null, v[86:87], v[86:87], 1.0
	v_rcp_f64_e32 v[103:104], v[88:89]
	v_fma_f64 v[105:106], -v[88:89], v[103:104], 1.0
	v_fma_f64 v[103:104], v[103:104], v[105:106], v[103:104]
	v_fma_f64 v[105:106], -v[88:89], v[103:104], 1.0
	v_fma_f64 v[103:104], v[103:104], v[105:106], v[103:104]
	v_div_scale_f64 v[105:106], vcc_lo, 1.0, v[86:87], 1.0
	v_mul_f64 v[107:108], v[105:106], v[103:104]
	v_fma_f64 v[88:89], -v[88:89], v[107:108], v[105:106]
	v_div_fmas_f64 v[88:89], v[88:89], v[103:104], v[107:108]
	v_div_fixup_f64 v[86:87], v[88:89], v[86:87], 1.0
	v_mul_f64 v[88:89], v[101:102], -v[86:87]
.LBB40_135:
	s_or_b32 exec_lo, exec_lo, s1
.LBB40_136:
	s_or_b32 exec_lo, exec_lo, s0
	s_mov_b32 s0, exec_lo
	v_cmpx_ne_u32_e64 v100, v94
	s_xor_b32 s0, exec_lo, s0
	s_cbranch_execz .LBB40_142
; %bb.137:
	s_mov_b32 s1, exec_lo
	v_cmpx_eq_u32_e32 6, v100
	s_cbranch_execz .LBB40_141
; %bb.138:
	v_cmp_ne_u32_e32 vcc_lo, 6, v94
	s_xor_b32 s2, s16, -1
	s_and_b32 s3, s2, vcc_lo
	s_and_saveexec_b32 s2, s3
	s_cbranch_execz .LBB40_140
; %bb.139:
	v_ashrrev_i32_e32 v95, 31, v94
	v_lshlrev_b64 v[100:101], 2, v[94:95]
	v_add_co_u32 v100, vcc_lo, v92, v100
	v_add_co_ci_u32_e64 v101, null, v93, v101, vcc_lo
	s_clause 0x1
	global_load_dword v0, v[100:101], off
	global_load_dword v95, v[92:93], off offset:24
	s_waitcnt vmcnt(1)
	global_store_dword v[92:93], v0, off offset:24
	s_waitcnt vmcnt(0)
	global_store_dword v[100:101], v95, off
.LBB40_140:
	s_or_b32 exec_lo, exec_lo, s2
	v_mov_b32_e32 v100, v94
	v_mov_b32_e32 v0, v94
.LBB40_141:
	s_or_b32 exec_lo, exec_lo, s1
.LBB40_142:
	s_andn2_saveexec_b32 s0, s0
	s_cbranch_execz .LBB40_144
; %bb.143:
	v_mov_b32_e32 v100, 6
	ds_write2_b64 v1, v[54:55], v[56:57] offset0:14 offset1:15
	ds_write2_b64 v1, v[50:51], v[52:53] offset0:16 offset1:17
	;; [unrolled: 1-line block ×14, first 2 shown]
.LBB40_144:
	s_or_b32 exec_lo, exec_lo, s0
	s_mov_b32 s0, exec_lo
	s_waitcnt lgkmcnt(0)
	s_waitcnt_vscnt null, 0x0
	s_barrier
	buffer_gl0_inv
	v_cmpx_lt_i32_e32 6, v100
	s_cbranch_execz .LBB40_146
; %bb.145:
	v_mul_f64 v[94:95], v[86:87], v[60:61]
	v_mul_f64 v[60:61], v[88:89], v[60:61]
	v_fma_f64 v[94:95], v[88:89], v[58:59], v[94:95]
	v_fma_f64 v[58:59], v[86:87], v[58:59], -v[60:61]
	ds_read2_b64 v[86:89], v1 offset0:14 offset1:15
	s_waitcnt lgkmcnt(0)
	v_mul_f64 v[60:61], v[88:89], v[94:95]
	v_fma_f64 v[60:61], v[86:87], v[58:59], -v[60:61]
	v_mul_f64 v[86:87], v[86:87], v[94:95]
	v_add_f64 v[54:55], v[54:55], -v[60:61]
	v_fma_f64 v[86:87], v[88:89], v[58:59], v[86:87]
	v_add_f64 v[56:57], v[56:57], -v[86:87]
	ds_read2_b64 v[86:89], v1 offset0:16 offset1:17
	s_waitcnt lgkmcnt(0)
	v_mul_f64 v[60:61], v[88:89], v[94:95]
	v_fma_f64 v[60:61], v[86:87], v[58:59], -v[60:61]
	v_mul_f64 v[86:87], v[86:87], v[94:95]
	v_add_f64 v[50:51], v[50:51], -v[60:61]
	v_fma_f64 v[86:87], v[88:89], v[58:59], v[86:87]
	v_add_f64 v[52:53], v[52:53], -v[86:87]
	;; [unrolled: 8-line block ×13, first 2 shown]
	ds_read2_b64 v[86:89], v1 offset0:40 offset1:41
	s_waitcnt lgkmcnt(0)
	v_mul_f64 v[60:61], v[88:89], v[94:95]
	v_fma_f64 v[60:61], v[86:87], v[58:59], -v[60:61]
	v_mul_f64 v[86:87], v[86:87], v[94:95]
	v_add_f64 v[2:3], v[2:3], -v[60:61]
	v_fma_f64 v[86:87], v[88:89], v[58:59], v[86:87]
	v_mov_b32_e32 v60, v94
	v_mov_b32_e32 v61, v95
	v_add_f64 v[4:5], v[4:5], -v[86:87]
.LBB40_146:
	s_or_b32 exec_lo, exec_lo, s0
	v_lshl_add_u32 v86, v100, 4, v1
	s_barrier
	buffer_gl0_inv
	v_mov_b32_e32 v94, 7
	ds_write2_b64 v86, v[54:55], v[56:57] offset1:1
	s_waitcnt lgkmcnt(0)
	s_barrier
	buffer_gl0_inv
	ds_read2_b64 v[86:89], v1 offset0:14 offset1:15
	s_cmp_lt_i32 s18, 9
	s_cbranch_scc1 .LBB40_149
; %bb.147:
	v_add3_u32 v95, v96, 0, 0x80
	v_mov_b32_e32 v94, 7
	s_mov_b32 s1, 8
	s_inst_prefetch 0x1
	.p2align	6
.LBB40_148:                             ; =>This Inner Loop Header: Depth=1
	s_waitcnt lgkmcnt(0)
	v_cmp_gt_f64_e32 vcc_lo, 0, v[88:89]
	v_cmp_gt_f64_e64 s0, 0, v[86:87]
	ds_read2_b64 v[101:104], v95 offset1:1
	v_xor_b32_e32 v106, 0x80000000, v87
	v_xor_b32_e32 v108, 0x80000000, v89
	v_mov_b32_e32 v105, v86
	v_mov_b32_e32 v107, v88
	v_add_nc_u32_e32 v95, 16, v95
	s_waitcnt lgkmcnt(0)
	v_xor_b32_e32 v110, 0x80000000, v104
	v_cndmask_b32_e64 v106, v87, v106, s0
	v_cndmask_b32_e32 v108, v89, v108, vcc_lo
	v_cmp_gt_f64_e32 vcc_lo, 0, v[103:104]
	v_cmp_gt_f64_e64 s0, 0, v[101:102]
	v_mov_b32_e32 v109, v103
	v_add_f64 v[105:106], v[105:106], v[107:108]
	v_xor_b32_e32 v108, 0x80000000, v102
	v_mov_b32_e32 v107, v101
	v_cndmask_b32_e32 v110, v104, v110, vcc_lo
	v_cndmask_b32_e64 v108, v102, v108, s0
	v_add_f64 v[107:108], v[107:108], v[109:110]
	v_cmp_lt_f64_e32 vcc_lo, v[105:106], v[107:108]
	v_cndmask_b32_e32 v87, v87, v102, vcc_lo
	v_cndmask_b32_e32 v86, v86, v101, vcc_lo
	;; [unrolled: 1-line block ×4, first 2 shown]
	v_cndmask_b32_e64 v94, v94, s1, vcc_lo
	s_add_i32 s1, s1, 1
	s_cmp_lg_u32 s18, s1
	s_cbranch_scc1 .LBB40_148
.LBB40_149:
	s_inst_prefetch 0x2
	s_waitcnt lgkmcnt(0)
	v_cmp_eq_f64_e32 vcc_lo, 0, v[86:87]
	v_cmp_eq_f64_e64 s0, 0, v[88:89]
	s_and_b32 s0, vcc_lo, s0
	s_and_saveexec_b32 s1, s0
	s_xor_b32 s0, exec_lo, s1
; %bb.150:
	v_cmp_ne_u32_e32 vcc_lo, 0, v99
	v_cndmask_b32_e32 v99, 8, v99, vcc_lo
; %bb.151:
	s_andn2_saveexec_b32 s0, s0
	s_cbranch_execz .LBB40_157
; %bb.152:
	v_cmp_ngt_f64_e64 s1, |v[86:87]|, |v[88:89]|
	s_and_saveexec_b32 s2, s1
	s_xor_b32 s1, exec_lo, s2
	s_cbranch_execz .LBB40_154
; %bb.153:
	v_div_scale_f64 v[101:102], null, v[88:89], v[88:89], v[86:87]
	v_div_scale_f64 v[107:108], vcc_lo, v[86:87], v[88:89], v[86:87]
	v_rcp_f64_e32 v[103:104], v[101:102]
	v_fma_f64 v[105:106], -v[101:102], v[103:104], 1.0
	v_fma_f64 v[103:104], v[103:104], v[105:106], v[103:104]
	v_fma_f64 v[105:106], -v[101:102], v[103:104], 1.0
	v_fma_f64 v[103:104], v[103:104], v[105:106], v[103:104]
	v_mul_f64 v[105:106], v[107:108], v[103:104]
	v_fma_f64 v[101:102], -v[101:102], v[105:106], v[107:108]
	v_div_fmas_f64 v[101:102], v[101:102], v[103:104], v[105:106]
	v_div_fixup_f64 v[101:102], v[101:102], v[88:89], v[86:87]
	v_fma_f64 v[86:87], v[86:87], v[101:102], v[88:89]
	v_div_scale_f64 v[88:89], null, v[86:87], v[86:87], 1.0
	v_rcp_f64_e32 v[103:104], v[88:89]
	v_fma_f64 v[105:106], -v[88:89], v[103:104], 1.0
	v_fma_f64 v[103:104], v[103:104], v[105:106], v[103:104]
	v_fma_f64 v[105:106], -v[88:89], v[103:104], 1.0
	v_fma_f64 v[103:104], v[103:104], v[105:106], v[103:104]
	v_div_scale_f64 v[105:106], vcc_lo, 1.0, v[86:87], 1.0
	v_mul_f64 v[107:108], v[105:106], v[103:104]
	v_fma_f64 v[88:89], -v[88:89], v[107:108], v[105:106]
	v_div_fmas_f64 v[88:89], v[88:89], v[103:104], v[107:108]
	v_div_fixup_f64 v[88:89], v[88:89], v[86:87], 1.0
	v_mul_f64 v[86:87], v[101:102], v[88:89]
	v_xor_b32_e32 v89, 0x80000000, v89
.LBB40_154:
	s_andn2_saveexec_b32 s1, s1
	s_cbranch_execz .LBB40_156
; %bb.155:
	v_div_scale_f64 v[101:102], null, v[86:87], v[86:87], v[88:89]
	v_div_scale_f64 v[107:108], vcc_lo, v[88:89], v[86:87], v[88:89]
	v_rcp_f64_e32 v[103:104], v[101:102]
	v_fma_f64 v[105:106], -v[101:102], v[103:104], 1.0
	v_fma_f64 v[103:104], v[103:104], v[105:106], v[103:104]
	v_fma_f64 v[105:106], -v[101:102], v[103:104], 1.0
	v_fma_f64 v[103:104], v[103:104], v[105:106], v[103:104]
	v_mul_f64 v[105:106], v[107:108], v[103:104]
	v_fma_f64 v[101:102], -v[101:102], v[105:106], v[107:108]
	v_div_fmas_f64 v[101:102], v[101:102], v[103:104], v[105:106]
	v_div_fixup_f64 v[101:102], v[101:102], v[86:87], v[88:89]
	v_fma_f64 v[86:87], v[88:89], v[101:102], v[86:87]
	v_div_scale_f64 v[88:89], null, v[86:87], v[86:87], 1.0
	v_rcp_f64_e32 v[103:104], v[88:89]
	v_fma_f64 v[105:106], -v[88:89], v[103:104], 1.0
	v_fma_f64 v[103:104], v[103:104], v[105:106], v[103:104]
	v_fma_f64 v[105:106], -v[88:89], v[103:104], 1.0
	v_fma_f64 v[103:104], v[103:104], v[105:106], v[103:104]
	v_div_scale_f64 v[105:106], vcc_lo, 1.0, v[86:87], 1.0
	v_mul_f64 v[107:108], v[105:106], v[103:104]
	v_fma_f64 v[88:89], -v[88:89], v[107:108], v[105:106]
	v_div_fmas_f64 v[88:89], v[88:89], v[103:104], v[107:108]
	v_div_fixup_f64 v[86:87], v[88:89], v[86:87], 1.0
	v_mul_f64 v[88:89], v[101:102], -v[86:87]
.LBB40_156:
	s_or_b32 exec_lo, exec_lo, s1
.LBB40_157:
	s_or_b32 exec_lo, exec_lo, s0
	s_mov_b32 s0, exec_lo
	v_cmpx_ne_u32_e64 v100, v94
	s_xor_b32 s0, exec_lo, s0
	s_cbranch_execz .LBB40_163
; %bb.158:
	s_mov_b32 s1, exec_lo
	v_cmpx_eq_u32_e32 7, v100
	s_cbranch_execz .LBB40_162
; %bb.159:
	v_cmp_ne_u32_e32 vcc_lo, 7, v94
	s_xor_b32 s2, s16, -1
	s_and_b32 s3, s2, vcc_lo
	s_and_saveexec_b32 s2, s3
	s_cbranch_execz .LBB40_161
; %bb.160:
	v_ashrrev_i32_e32 v95, 31, v94
	v_lshlrev_b64 v[100:101], 2, v[94:95]
	v_add_co_u32 v100, vcc_lo, v92, v100
	v_add_co_ci_u32_e64 v101, null, v93, v101, vcc_lo
	s_clause 0x1
	global_load_dword v0, v[100:101], off
	global_load_dword v95, v[92:93], off offset:28
	s_waitcnt vmcnt(1)
	global_store_dword v[92:93], v0, off offset:28
	s_waitcnt vmcnt(0)
	global_store_dword v[100:101], v95, off
.LBB40_161:
	s_or_b32 exec_lo, exec_lo, s2
	v_mov_b32_e32 v100, v94
	v_mov_b32_e32 v0, v94
.LBB40_162:
	s_or_b32 exec_lo, exec_lo, s1
.LBB40_163:
	s_andn2_saveexec_b32 s0, s0
	s_cbranch_execz .LBB40_165
; %bb.164:
	v_mov_b32_e32 v100, 7
	ds_write2_b64 v1, v[50:51], v[52:53] offset0:16 offset1:17
	ds_write2_b64 v1, v[46:47], v[48:49] offset0:18 offset1:19
	;; [unrolled: 1-line block ×13, first 2 shown]
.LBB40_165:
	s_or_b32 exec_lo, exec_lo, s0
	s_mov_b32 s0, exec_lo
	s_waitcnt lgkmcnt(0)
	s_waitcnt_vscnt null, 0x0
	s_barrier
	buffer_gl0_inv
	v_cmpx_lt_i32_e32 7, v100
	s_cbranch_execz .LBB40_167
; %bb.166:
	v_mul_f64 v[94:95], v[86:87], v[56:57]
	v_mul_f64 v[56:57], v[88:89], v[56:57]
	v_fma_f64 v[94:95], v[88:89], v[54:55], v[94:95]
	v_fma_f64 v[54:55], v[86:87], v[54:55], -v[56:57]
	ds_read2_b64 v[86:89], v1 offset0:16 offset1:17
	s_waitcnt lgkmcnt(0)
	v_mul_f64 v[56:57], v[88:89], v[94:95]
	v_fma_f64 v[56:57], v[86:87], v[54:55], -v[56:57]
	v_mul_f64 v[86:87], v[86:87], v[94:95]
	v_add_f64 v[50:51], v[50:51], -v[56:57]
	v_fma_f64 v[86:87], v[88:89], v[54:55], v[86:87]
	v_add_f64 v[52:53], v[52:53], -v[86:87]
	ds_read2_b64 v[86:89], v1 offset0:18 offset1:19
	s_waitcnt lgkmcnt(0)
	v_mul_f64 v[56:57], v[88:89], v[94:95]
	v_fma_f64 v[56:57], v[86:87], v[54:55], -v[56:57]
	v_mul_f64 v[86:87], v[86:87], v[94:95]
	v_add_f64 v[46:47], v[46:47], -v[56:57]
	v_fma_f64 v[86:87], v[88:89], v[54:55], v[86:87]
	v_add_f64 v[48:49], v[48:49], -v[86:87]
	;; [unrolled: 8-line block ×12, first 2 shown]
	ds_read2_b64 v[86:89], v1 offset0:40 offset1:41
	s_waitcnt lgkmcnt(0)
	v_mul_f64 v[56:57], v[88:89], v[94:95]
	v_fma_f64 v[56:57], v[86:87], v[54:55], -v[56:57]
	v_mul_f64 v[86:87], v[86:87], v[94:95]
	v_add_f64 v[2:3], v[2:3], -v[56:57]
	v_fma_f64 v[86:87], v[88:89], v[54:55], v[86:87]
	v_mov_b32_e32 v56, v94
	v_mov_b32_e32 v57, v95
	v_add_f64 v[4:5], v[4:5], -v[86:87]
.LBB40_167:
	s_or_b32 exec_lo, exec_lo, s0
	v_lshl_add_u32 v86, v100, 4, v1
	s_barrier
	buffer_gl0_inv
	v_mov_b32_e32 v94, 8
	ds_write2_b64 v86, v[50:51], v[52:53] offset1:1
	s_waitcnt lgkmcnt(0)
	s_barrier
	buffer_gl0_inv
	ds_read2_b64 v[86:89], v1 offset0:16 offset1:17
	s_cmp_lt_i32 s18, 10
	s_cbranch_scc1 .LBB40_170
; %bb.168:
	v_add3_u32 v95, v96, 0, 0x90
	v_mov_b32_e32 v94, 8
	s_mov_b32 s1, 9
	s_inst_prefetch 0x1
	.p2align	6
.LBB40_169:                             ; =>This Inner Loop Header: Depth=1
	s_waitcnt lgkmcnt(0)
	v_cmp_gt_f64_e32 vcc_lo, 0, v[88:89]
	v_cmp_gt_f64_e64 s0, 0, v[86:87]
	ds_read2_b64 v[101:104], v95 offset1:1
	v_xor_b32_e32 v106, 0x80000000, v87
	v_xor_b32_e32 v108, 0x80000000, v89
	v_mov_b32_e32 v105, v86
	v_mov_b32_e32 v107, v88
	v_add_nc_u32_e32 v95, 16, v95
	s_waitcnt lgkmcnt(0)
	v_xor_b32_e32 v110, 0x80000000, v104
	v_cndmask_b32_e64 v106, v87, v106, s0
	v_cndmask_b32_e32 v108, v89, v108, vcc_lo
	v_cmp_gt_f64_e32 vcc_lo, 0, v[103:104]
	v_cmp_gt_f64_e64 s0, 0, v[101:102]
	v_mov_b32_e32 v109, v103
	v_add_f64 v[105:106], v[105:106], v[107:108]
	v_xor_b32_e32 v108, 0x80000000, v102
	v_mov_b32_e32 v107, v101
	v_cndmask_b32_e32 v110, v104, v110, vcc_lo
	v_cndmask_b32_e64 v108, v102, v108, s0
	v_add_f64 v[107:108], v[107:108], v[109:110]
	v_cmp_lt_f64_e32 vcc_lo, v[105:106], v[107:108]
	v_cndmask_b32_e32 v87, v87, v102, vcc_lo
	v_cndmask_b32_e32 v86, v86, v101, vcc_lo
	;; [unrolled: 1-line block ×4, first 2 shown]
	v_cndmask_b32_e64 v94, v94, s1, vcc_lo
	s_add_i32 s1, s1, 1
	s_cmp_lg_u32 s18, s1
	s_cbranch_scc1 .LBB40_169
.LBB40_170:
	s_inst_prefetch 0x2
	s_waitcnt lgkmcnt(0)
	v_cmp_eq_f64_e32 vcc_lo, 0, v[86:87]
	v_cmp_eq_f64_e64 s0, 0, v[88:89]
	s_and_b32 s0, vcc_lo, s0
	s_and_saveexec_b32 s1, s0
	s_xor_b32 s0, exec_lo, s1
; %bb.171:
	v_cmp_ne_u32_e32 vcc_lo, 0, v99
	v_cndmask_b32_e32 v99, 9, v99, vcc_lo
; %bb.172:
	s_andn2_saveexec_b32 s0, s0
	s_cbranch_execz .LBB40_178
; %bb.173:
	v_cmp_ngt_f64_e64 s1, |v[86:87]|, |v[88:89]|
	s_and_saveexec_b32 s2, s1
	s_xor_b32 s1, exec_lo, s2
	s_cbranch_execz .LBB40_175
; %bb.174:
	v_div_scale_f64 v[101:102], null, v[88:89], v[88:89], v[86:87]
	v_div_scale_f64 v[107:108], vcc_lo, v[86:87], v[88:89], v[86:87]
	v_rcp_f64_e32 v[103:104], v[101:102]
	v_fma_f64 v[105:106], -v[101:102], v[103:104], 1.0
	v_fma_f64 v[103:104], v[103:104], v[105:106], v[103:104]
	v_fma_f64 v[105:106], -v[101:102], v[103:104], 1.0
	v_fma_f64 v[103:104], v[103:104], v[105:106], v[103:104]
	v_mul_f64 v[105:106], v[107:108], v[103:104]
	v_fma_f64 v[101:102], -v[101:102], v[105:106], v[107:108]
	v_div_fmas_f64 v[101:102], v[101:102], v[103:104], v[105:106]
	v_div_fixup_f64 v[101:102], v[101:102], v[88:89], v[86:87]
	v_fma_f64 v[86:87], v[86:87], v[101:102], v[88:89]
	v_div_scale_f64 v[88:89], null, v[86:87], v[86:87], 1.0
	v_rcp_f64_e32 v[103:104], v[88:89]
	v_fma_f64 v[105:106], -v[88:89], v[103:104], 1.0
	v_fma_f64 v[103:104], v[103:104], v[105:106], v[103:104]
	v_fma_f64 v[105:106], -v[88:89], v[103:104], 1.0
	v_fma_f64 v[103:104], v[103:104], v[105:106], v[103:104]
	v_div_scale_f64 v[105:106], vcc_lo, 1.0, v[86:87], 1.0
	v_mul_f64 v[107:108], v[105:106], v[103:104]
	v_fma_f64 v[88:89], -v[88:89], v[107:108], v[105:106]
	v_div_fmas_f64 v[88:89], v[88:89], v[103:104], v[107:108]
	v_div_fixup_f64 v[88:89], v[88:89], v[86:87], 1.0
	v_mul_f64 v[86:87], v[101:102], v[88:89]
	v_xor_b32_e32 v89, 0x80000000, v89
.LBB40_175:
	s_andn2_saveexec_b32 s1, s1
	s_cbranch_execz .LBB40_177
; %bb.176:
	v_div_scale_f64 v[101:102], null, v[86:87], v[86:87], v[88:89]
	v_div_scale_f64 v[107:108], vcc_lo, v[88:89], v[86:87], v[88:89]
	v_rcp_f64_e32 v[103:104], v[101:102]
	v_fma_f64 v[105:106], -v[101:102], v[103:104], 1.0
	v_fma_f64 v[103:104], v[103:104], v[105:106], v[103:104]
	v_fma_f64 v[105:106], -v[101:102], v[103:104], 1.0
	v_fma_f64 v[103:104], v[103:104], v[105:106], v[103:104]
	v_mul_f64 v[105:106], v[107:108], v[103:104]
	v_fma_f64 v[101:102], -v[101:102], v[105:106], v[107:108]
	v_div_fmas_f64 v[101:102], v[101:102], v[103:104], v[105:106]
	v_div_fixup_f64 v[101:102], v[101:102], v[86:87], v[88:89]
	v_fma_f64 v[86:87], v[88:89], v[101:102], v[86:87]
	v_div_scale_f64 v[88:89], null, v[86:87], v[86:87], 1.0
	v_rcp_f64_e32 v[103:104], v[88:89]
	v_fma_f64 v[105:106], -v[88:89], v[103:104], 1.0
	v_fma_f64 v[103:104], v[103:104], v[105:106], v[103:104]
	v_fma_f64 v[105:106], -v[88:89], v[103:104], 1.0
	v_fma_f64 v[103:104], v[103:104], v[105:106], v[103:104]
	v_div_scale_f64 v[105:106], vcc_lo, 1.0, v[86:87], 1.0
	v_mul_f64 v[107:108], v[105:106], v[103:104]
	v_fma_f64 v[88:89], -v[88:89], v[107:108], v[105:106]
	v_div_fmas_f64 v[88:89], v[88:89], v[103:104], v[107:108]
	v_div_fixup_f64 v[86:87], v[88:89], v[86:87], 1.0
	v_mul_f64 v[88:89], v[101:102], -v[86:87]
.LBB40_177:
	s_or_b32 exec_lo, exec_lo, s1
.LBB40_178:
	s_or_b32 exec_lo, exec_lo, s0
	s_mov_b32 s0, exec_lo
	v_cmpx_ne_u32_e64 v100, v94
	s_xor_b32 s0, exec_lo, s0
	s_cbranch_execz .LBB40_184
; %bb.179:
	s_mov_b32 s1, exec_lo
	v_cmpx_eq_u32_e32 8, v100
	s_cbranch_execz .LBB40_183
; %bb.180:
	v_cmp_ne_u32_e32 vcc_lo, 8, v94
	s_xor_b32 s2, s16, -1
	s_and_b32 s3, s2, vcc_lo
	s_and_saveexec_b32 s2, s3
	s_cbranch_execz .LBB40_182
; %bb.181:
	v_ashrrev_i32_e32 v95, 31, v94
	v_lshlrev_b64 v[100:101], 2, v[94:95]
	v_add_co_u32 v100, vcc_lo, v92, v100
	v_add_co_ci_u32_e64 v101, null, v93, v101, vcc_lo
	s_clause 0x1
	global_load_dword v0, v[100:101], off
	global_load_dword v95, v[92:93], off offset:32
	s_waitcnt vmcnt(1)
	global_store_dword v[92:93], v0, off offset:32
	s_waitcnt vmcnt(0)
	global_store_dword v[100:101], v95, off
.LBB40_182:
	s_or_b32 exec_lo, exec_lo, s2
	v_mov_b32_e32 v100, v94
	v_mov_b32_e32 v0, v94
.LBB40_183:
	s_or_b32 exec_lo, exec_lo, s1
.LBB40_184:
	s_andn2_saveexec_b32 s0, s0
	s_cbranch_execz .LBB40_186
; %bb.185:
	v_mov_b32_e32 v100, 8
	ds_write2_b64 v1, v[46:47], v[48:49] offset0:18 offset1:19
	ds_write2_b64 v1, v[42:43], v[44:45] offset0:20 offset1:21
	;; [unrolled: 1-line block ×12, first 2 shown]
.LBB40_186:
	s_or_b32 exec_lo, exec_lo, s0
	s_mov_b32 s0, exec_lo
	s_waitcnt lgkmcnt(0)
	s_waitcnt_vscnt null, 0x0
	s_barrier
	buffer_gl0_inv
	v_cmpx_lt_i32_e32 8, v100
	s_cbranch_execz .LBB40_188
; %bb.187:
	v_mul_f64 v[94:95], v[86:87], v[52:53]
	v_mul_f64 v[52:53], v[88:89], v[52:53]
	v_fma_f64 v[94:95], v[88:89], v[50:51], v[94:95]
	v_fma_f64 v[50:51], v[86:87], v[50:51], -v[52:53]
	ds_read2_b64 v[86:89], v1 offset0:18 offset1:19
	s_waitcnt lgkmcnt(0)
	v_mul_f64 v[52:53], v[88:89], v[94:95]
	v_fma_f64 v[52:53], v[86:87], v[50:51], -v[52:53]
	v_mul_f64 v[86:87], v[86:87], v[94:95]
	v_add_f64 v[46:47], v[46:47], -v[52:53]
	v_fma_f64 v[86:87], v[88:89], v[50:51], v[86:87]
	v_add_f64 v[48:49], v[48:49], -v[86:87]
	ds_read2_b64 v[86:89], v1 offset0:20 offset1:21
	s_waitcnt lgkmcnt(0)
	v_mul_f64 v[52:53], v[88:89], v[94:95]
	v_fma_f64 v[52:53], v[86:87], v[50:51], -v[52:53]
	v_mul_f64 v[86:87], v[86:87], v[94:95]
	v_add_f64 v[42:43], v[42:43], -v[52:53]
	v_fma_f64 v[86:87], v[88:89], v[50:51], v[86:87]
	v_add_f64 v[44:45], v[44:45], -v[86:87]
	;; [unrolled: 8-line block ×11, first 2 shown]
	ds_read2_b64 v[86:89], v1 offset0:40 offset1:41
	s_waitcnt lgkmcnt(0)
	v_mul_f64 v[52:53], v[88:89], v[94:95]
	v_fma_f64 v[52:53], v[86:87], v[50:51], -v[52:53]
	v_mul_f64 v[86:87], v[86:87], v[94:95]
	v_add_f64 v[2:3], v[2:3], -v[52:53]
	v_fma_f64 v[86:87], v[88:89], v[50:51], v[86:87]
	v_mov_b32_e32 v52, v94
	v_mov_b32_e32 v53, v95
	v_add_f64 v[4:5], v[4:5], -v[86:87]
.LBB40_188:
	s_or_b32 exec_lo, exec_lo, s0
	v_lshl_add_u32 v86, v100, 4, v1
	s_barrier
	buffer_gl0_inv
	v_mov_b32_e32 v94, 9
	ds_write2_b64 v86, v[46:47], v[48:49] offset1:1
	s_waitcnt lgkmcnt(0)
	s_barrier
	buffer_gl0_inv
	ds_read2_b64 v[86:89], v1 offset0:18 offset1:19
	s_cmp_lt_i32 s18, 11
	s_cbranch_scc1 .LBB40_191
; %bb.189:
	v_add3_u32 v95, v96, 0, 0xa0
	v_mov_b32_e32 v94, 9
	s_mov_b32 s1, 10
	s_inst_prefetch 0x1
	.p2align	6
.LBB40_190:                             ; =>This Inner Loop Header: Depth=1
	s_waitcnt lgkmcnt(0)
	v_cmp_gt_f64_e32 vcc_lo, 0, v[88:89]
	v_cmp_gt_f64_e64 s0, 0, v[86:87]
	ds_read2_b64 v[101:104], v95 offset1:1
	v_xor_b32_e32 v106, 0x80000000, v87
	v_xor_b32_e32 v108, 0x80000000, v89
	v_mov_b32_e32 v105, v86
	v_mov_b32_e32 v107, v88
	v_add_nc_u32_e32 v95, 16, v95
	s_waitcnt lgkmcnt(0)
	v_xor_b32_e32 v110, 0x80000000, v104
	v_cndmask_b32_e64 v106, v87, v106, s0
	v_cndmask_b32_e32 v108, v89, v108, vcc_lo
	v_cmp_gt_f64_e32 vcc_lo, 0, v[103:104]
	v_cmp_gt_f64_e64 s0, 0, v[101:102]
	v_mov_b32_e32 v109, v103
	v_add_f64 v[105:106], v[105:106], v[107:108]
	v_xor_b32_e32 v108, 0x80000000, v102
	v_mov_b32_e32 v107, v101
	v_cndmask_b32_e32 v110, v104, v110, vcc_lo
	v_cndmask_b32_e64 v108, v102, v108, s0
	v_add_f64 v[107:108], v[107:108], v[109:110]
	v_cmp_lt_f64_e32 vcc_lo, v[105:106], v[107:108]
	v_cndmask_b32_e32 v87, v87, v102, vcc_lo
	v_cndmask_b32_e32 v86, v86, v101, vcc_lo
	;; [unrolled: 1-line block ×4, first 2 shown]
	v_cndmask_b32_e64 v94, v94, s1, vcc_lo
	s_add_i32 s1, s1, 1
	s_cmp_lg_u32 s18, s1
	s_cbranch_scc1 .LBB40_190
.LBB40_191:
	s_inst_prefetch 0x2
	s_waitcnt lgkmcnt(0)
	v_cmp_eq_f64_e32 vcc_lo, 0, v[86:87]
	v_cmp_eq_f64_e64 s0, 0, v[88:89]
	s_and_b32 s0, vcc_lo, s0
	s_and_saveexec_b32 s1, s0
	s_xor_b32 s0, exec_lo, s1
; %bb.192:
	v_cmp_ne_u32_e32 vcc_lo, 0, v99
	v_cndmask_b32_e32 v99, 10, v99, vcc_lo
; %bb.193:
	s_andn2_saveexec_b32 s0, s0
	s_cbranch_execz .LBB40_199
; %bb.194:
	v_cmp_ngt_f64_e64 s1, |v[86:87]|, |v[88:89]|
	s_and_saveexec_b32 s2, s1
	s_xor_b32 s1, exec_lo, s2
	s_cbranch_execz .LBB40_196
; %bb.195:
	v_div_scale_f64 v[101:102], null, v[88:89], v[88:89], v[86:87]
	v_div_scale_f64 v[107:108], vcc_lo, v[86:87], v[88:89], v[86:87]
	v_rcp_f64_e32 v[103:104], v[101:102]
	v_fma_f64 v[105:106], -v[101:102], v[103:104], 1.0
	v_fma_f64 v[103:104], v[103:104], v[105:106], v[103:104]
	v_fma_f64 v[105:106], -v[101:102], v[103:104], 1.0
	v_fma_f64 v[103:104], v[103:104], v[105:106], v[103:104]
	v_mul_f64 v[105:106], v[107:108], v[103:104]
	v_fma_f64 v[101:102], -v[101:102], v[105:106], v[107:108]
	v_div_fmas_f64 v[101:102], v[101:102], v[103:104], v[105:106]
	v_div_fixup_f64 v[101:102], v[101:102], v[88:89], v[86:87]
	v_fma_f64 v[86:87], v[86:87], v[101:102], v[88:89]
	v_div_scale_f64 v[88:89], null, v[86:87], v[86:87], 1.0
	v_rcp_f64_e32 v[103:104], v[88:89]
	v_fma_f64 v[105:106], -v[88:89], v[103:104], 1.0
	v_fma_f64 v[103:104], v[103:104], v[105:106], v[103:104]
	v_fma_f64 v[105:106], -v[88:89], v[103:104], 1.0
	v_fma_f64 v[103:104], v[103:104], v[105:106], v[103:104]
	v_div_scale_f64 v[105:106], vcc_lo, 1.0, v[86:87], 1.0
	v_mul_f64 v[107:108], v[105:106], v[103:104]
	v_fma_f64 v[88:89], -v[88:89], v[107:108], v[105:106]
	v_div_fmas_f64 v[88:89], v[88:89], v[103:104], v[107:108]
	v_div_fixup_f64 v[88:89], v[88:89], v[86:87], 1.0
	v_mul_f64 v[86:87], v[101:102], v[88:89]
	v_xor_b32_e32 v89, 0x80000000, v89
.LBB40_196:
	s_andn2_saveexec_b32 s1, s1
	s_cbranch_execz .LBB40_198
; %bb.197:
	v_div_scale_f64 v[101:102], null, v[86:87], v[86:87], v[88:89]
	v_div_scale_f64 v[107:108], vcc_lo, v[88:89], v[86:87], v[88:89]
	v_rcp_f64_e32 v[103:104], v[101:102]
	v_fma_f64 v[105:106], -v[101:102], v[103:104], 1.0
	v_fma_f64 v[103:104], v[103:104], v[105:106], v[103:104]
	v_fma_f64 v[105:106], -v[101:102], v[103:104], 1.0
	v_fma_f64 v[103:104], v[103:104], v[105:106], v[103:104]
	v_mul_f64 v[105:106], v[107:108], v[103:104]
	v_fma_f64 v[101:102], -v[101:102], v[105:106], v[107:108]
	v_div_fmas_f64 v[101:102], v[101:102], v[103:104], v[105:106]
	v_div_fixup_f64 v[101:102], v[101:102], v[86:87], v[88:89]
	v_fma_f64 v[86:87], v[88:89], v[101:102], v[86:87]
	v_div_scale_f64 v[88:89], null, v[86:87], v[86:87], 1.0
	v_rcp_f64_e32 v[103:104], v[88:89]
	v_fma_f64 v[105:106], -v[88:89], v[103:104], 1.0
	v_fma_f64 v[103:104], v[103:104], v[105:106], v[103:104]
	v_fma_f64 v[105:106], -v[88:89], v[103:104], 1.0
	v_fma_f64 v[103:104], v[103:104], v[105:106], v[103:104]
	v_div_scale_f64 v[105:106], vcc_lo, 1.0, v[86:87], 1.0
	v_mul_f64 v[107:108], v[105:106], v[103:104]
	v_fma_f64 v[88:89], -v[88:89], v[107:108], v[105:106]
	v_div_fmas_f64 v[88:89], v[88:89], v[103:104], v[107:108]
	v_div_fixup_f64 v[86:87], v[88:89], v[86:87], 1.0
	v_mul_f64 v[88:89], v[101:102], -v[86:87]
.LBB40_198:
	s_or_b32 exec_lo, exec_lo, s1
.LBB40_199:
	s_or_b32 exec_lo, exec_lo, s0
	s_mov_b32 s0, exec_lo
	v_cmpx_ne_u32_e64 v100, v94
	s_xor_b32 s0, exec_lo, s0
	s_cbranch_execz .LBB40_205
; %bb.200:
	s_mov_b32 s1, exec_lo
	v_cmpx_eq_u32_e32 9, v100
	s_cbranch_execz .LBB40_204
; %bb.201:
	v_cmp_ne_u32_e32 vcc_lo, 9, v94
	s_xor_b32 s2, s16, -1
	s_and_b32 s3, s2, vcc_lo
	s_and_saveexec_b32 s2, s3
	s_cbranch_execz .LBB40_203
; %bb.202:
	v_ashrrev_i32_e32 v95, 31, v94
	v_lshlrev_b64 v[100:101], 2, v[94:95]
	v_add_co_u32 v100, vcc_lo, v92, v100
	v_add_co_ci_u32_e64 v101, null, v93, v101, vcc_lo
	s_clause 0x1
	global_load_dword v0, v[100:101], off
	global_load_dword v95, v[92:93], off offset:36
	s_waitcnt vmcnt(1)
	global_store_dword v[92:93], v0, off offset:36
	s_waitcnt vmcnt(0)
	global_store_dword v[100:101], v95, off
.LBB40_203:
	s_or_b32 exec_lo, exec_lo, s2
	v_mov_b32_e32 v100, v94
	v_mov_b32_e32 v0, v94
.LBB40_204:
	s_or_b32 exec_lo, exec_lo, s1
.LBB40_205:
	s_andn2_saveexec_b32 s0, s0
	s_cbranch_execz .LBB40_207
; %bb.206:
	v_mov_b32_e32 v100, 9
	ds_write2_b64 v1, v[42:43], v[44:45] offset0:20 offset1:21
	ds_write2_b64 v1, v[38:39], v[40:41] offset0:22 offset1:23
	;; [unrolled: 1-line block ×11, first 2 shown]
.LBB40_207:
	s_or_b32 exec_lo, exec_lo, s0
	s_mov_b32 s0, exec_lo
	s_waitcnt lgkmcnt(0)
	s_waitcnt_vscnt null, 0x0
	s_barrier
	buffer_gl0_inv
	v_cmpx_lt_i32_e32 9, v100
	s_cbranch_execz .LBB40_209
; %bb.208:
	v_mul_f64 v[94:95], v[86:87], v[48:49]
	v_mul_f64 v[48:49], v[88:89], v[48:49]
	v_fma_f64 v[94:95], v[88:89], v[46:47], v[94:95]
	v_fma_f64 v[46:47], v[86:87], v[46:47], -v[48:49]
	ds_read2_b64 v[86:89], v1 offset0:20 offset1:21
	s_waitcnt lgkmcnt(0)
	v_mul_f64 v[48:49], v[88:89], v[94:95]
	v_fma_f64 v[48:49], v[86:87], v[46:47], -v[48:49]
	v_mul_f64 v[86:87], v[86:87], v[94:95]
	v_add_f64 v[42:43], v[42:43], -v[48:49]
	v_fma_f64 v[86:87], v[88:89], v[46:47], v[86:87]
	v_add_f64 v[44:45], v[44:45], -v[86:87]
	ds_read2_b64 v[86:89], v1 offset0:22 offset1:23
	s_waitcnt lgkmcnt(0)
	v_mul_f64 v[48:49], v[88:89], v[94:95]
	v_fma_f64 v[48:49], v[86:87], v[46:47], -v[48:49]
	v_mul_f64 v[86:87], v[86:87], v[94:95]
	v_add_f64 v[38:39], v[38:39], -v[48:49]
	v_fma_f64 v[86:87], v[88:89], v[46:47], v[86:87]
	v_add_f64 v[40:41], v[40:41], -v[86:87]
	;; [unrolled: 8-line block ×10, first 2 shown]
	ds_read2_b64 v[86:89], v1 offset0:40 offset1:41
	s_waitcnt lgkmcnt(0)
	v_mul_f64 v[48:49], v[88:89], v[94:95]
	v_fma_f64 v[48:49], v[86:87], v[46:47], -v[48:49]
	v_mul_f64 v[86:87], v[86:87], v[94:95]
	v_add_f64 v[2:3], v[2:3], -v[48:49]
	v_fma_f64 v[86:87], v[88:89], v[46:47], v[86:87]
	v_mov_b32_e32 v48, v94
	v_mov_b32_e32 v49, v95
	v_add_f64 v[4:5], v[4:5], -v[86:87]
.LBB40_209:
	s_or_b32 exec_lo, exec_lo, s0
	v_lshl_add_u32 v86, v100, 4, v1
	s_barrier
	buffer_gl0_inv
	v_mov_b32_e32 v94, 10
	ds_write2_b64 v86, v[42:43], v[44:45] offset1:1
	s_waitcnt lgkmcnt(0)
	s_barrier
	buffer_gl0_inv
	ds_read2_b64 v[86:89], v1 offset0:20 offset1:21
	s_cmp_lt_i32 s18, 12
	s_cbranch_scc1 .LBB40_212
; %bb.210:
	v_add3_u32 v95, v96, 0, 0xb0
	v_mov_b32_e32 v94, 10
	s_mov_b32 s1, 11
	s_inst_prefetch 0x1
	.p2align	6
.LBB40_211:                             ; =>This Inner Loop Header: Depth=1
	s_waitcnt lgkmcnt(0)
	v_cmp_gt_f64_e32 vcc_lo, 0, v[88:89]
	v_cmp_gt_f64_e64 s0, 0, v[86:87]
	ds_read2_b64 v[101:104], v95 offset1:1
	v_xor_b32_e32 v106, 0x80000000, v87
	v_xor_b32_e32 v108, 0x80000000, v89
	v_mov_b32_e32 v105, v86
	v_mov_b32_e32 v107, v88
	v_add_nc_u32_e32 v95, 16, v95
	s_waitcnt lgkmcnt(0)
	v_xor_b32_e32 v110, 0x80000000, v104
	v_cndmask_b32_e64 v106, v87, v106, s0
	v_cndmask_b32_e32 v108, v89, v108, vcc_lo
	v_cmp_gt_f64_e32 vcc_lo, 0, v[103:104]
	v_cmp_gt_f64_e64 s0, 0, v[101:102]
	v_mov_b32_e32 v109, v103
	v_add_f64 v[105:106], v[105:106], v[107:108]
	v_xor_b32_e32 v108, 0x80000000, v102
	v_mov_b32_e32 v107, v101
	v_cndmask_b32_e32 v110, v104, v110, vcc_lo
	v_cndmask_b32_e64 v108, v102, v108, s0
	v_add_f64 v[107:108], v[107:108], v[109:110]
	v_cmp_lt_f64_e32 vcc_lo, v[105:106], v[107:108]
	v_cndmask_b32_e32 v87, v87, v102, vcc_lo
	v_cndmask_b32_e32 v86, v86, v101, vcc_lo
	;; [unrolled: 1-line block ×4, first 2 shown]
	v_cndmask_b32_e64 v94, v94, s1, vcc_lo
	s_add_i32 s1, s1, 1
	s_cmp_lg_u32 s18, s1
	s_cbranch_scc1 .LBB40_211
.LBB40_212:
	s_inst_prefetch 0x2
	s_waitcnt lgkmcnt(0)
	v_cmp_eq_f64_e32 vcc_lo, 0, v[86:87]
	v_cmp_eq_f64_e64 s0, 0, v[88:89]
	s_and_b32 s0, vcc_lo, s0
	s_and_saveexec_b32 s1, s0
	s_xor_b32 s0, exec_lo, s1
; %bb.213:
	v_cmp_ne_u32_e32 vcc_lo, 0, v99
	v_cndmask_b32_e32 v99, 11, v99, vcc_lo
; %bb.214:
	s_andn2_saveexec_b32 s0, s0
	s_cbranch_execz .LBB40_220
; %bb.215:
	v_cmp_ngt_f64_e64 s1, |v[86:87]|, |v[88:89]|
	s_and_saveexec_b32 s2, s1
	s_xor_b32 s1, exec_lo, s2
	s_cbranch_execz .LBB40_217
; %bb.216:
	v_div_scale_f64 v[101:102], null, v[88:89], v[88:89], v[86:87]
	v_div_scale_f64 v[107:108], vcc_lo, v[86:87], v[88:89], v[86:87]
	v_rcp_f64_e32 v[103:104], v[101:102]
	v_fma_f64 v[105:106], -v[101:102], v[103:104], 1.0
	v_fma_f64 v[103:104], v[103:104], v[105:106], v[103:104]
	v_fma_f64 v[105:106], -v[101:102], v[103:104], 1.0
	v_fma_f64 v[103:104], v[103:104], v[105:106], v[103:104]
	v_mul_f64 v[105:106], v[107:108], v[103:104]
	v_fma_f64 v[101:102], -v[101:102], v[105:106], v[107:108]
	v_div_fmas_f64 v[101:102], v[101:102], v[103:104], v[105:106]
	v_div_fixup_f64 v[101:102], v[101:102], v[88:89], v[86:87]
	v_fma_f64 v[86:87], v[86:87], v[101:102], v[88:89]
	v_div_scale_f64 v[88:89], null, v[86:87], v[86:87], 1.0
	v_rcp_f64_e32 v[103:104], v[88:89]
	v_fma_f64 v[105:106], -v[88:89], v[103:104], 1.0
	v_fma_f64 v[103:104], v[103:104], v[105:106], v[103:104]
	v_fma_f64 v[105:106], -v[88:89], v[103:104], 1.0
	v_fma_f64 v[103:104], v[103:104], v[105:106], v[103:104]
	v_div_scale_f64 v[105:106], vcc_lo, 1.0, v[86:87], 1.0
	v_mul_f64 v[107:108], v[105:106], v[103:104]
	v_fma_f64 v[88:89], -v[88:89], v[107:108], v[105:106]
	v_div_fmas_f64 v[88:89], v[88:89], v[103:104], v[107:108]
	v_div_fixup_f64 v[88:89], v[88:89], v[86:87], 1.0
	v_mul_f64 v[86:87], v[101:102], v[88:89]
	v_xor_b32_e32 v89, 0x80000000, v89
.LBB40_217:
	s_andn2_saveexec_b32 s1, s1
	s_cbranch_execz .LBB40_219
; %bb.218:
	v_div_scale_f64 v[101:102], null, v[86:87], v[86:87], v[88:89]
	v_div_scale_f64 v[107:108], vcc_lo, v[88:89], v[86:87], v[88:89]
	v_rcp_f64_e32 v[103:104], v[101:102]
	v_fma_f64 v[105:106], -v[101:102], v[103:104], 1.0
	v_fma_f64 v[103:104], v[103:104], v[105:106], v[103:104]
	v_fma_f64 v[105:106], -v[101:102], v[103:104], 1.0
	v_fma_f64 v[103:104], v[103:104], v[105:106], v[103:104]
	v_mul_f64 v[105:106], v[107:108], v[103:104]
	v_fma_f64 v[101:102], -v[101:102], v[105:106], v[107:108]
	v_div_fmas_f64 v[101:102], v[101:102], v[103:104], v[105:106]
	v_div_fixup_f64 v[101:102], v[101:102], v[86:87], v[88:89]
	v_fma_f64 v[86:87], v[88:89], v[101:102], v[86:87]
	v_div_scale_f64 v[88:89], null, v[86:87], v[86:87], 1.0
	v_rcp_f64_e32 v[103:104], v[88:89]
	v_fma_f64 v[105:106], -v[88:89], v[103:104], 1.0
	v_fma_f64 v[103:104], v[103:104], v[105:106], v[103:104]
	v_fma_f64 v[105:106], -v[88:89], v[103:104], 1.0
	v_fma_f64 v[103:104], v[103:104], v[105:106], v[103:104]
	v_div_scale_f64 v[105:106], vcc_lo, 1.0, v[86:87], 1.0
	v_mul_f64 v[107:108], v[105:106], v[103:104]
	v_fma_f64 v[88:89], -v[88:89], v[107:108], v[105:106]
	v_div_fmas_f64 v[88:89], v[88:89], v[103:104], v[107:108]
	v_div_fixup_f64 v[86:87], v[88:89], v[86:87], 1.0
	v_mul_f64 v[88:89], v[101:102], -v[86:87]
.LBB40_219:
	s_or_b32 exec_lo, exec_lo, s1
.LBB40_220:
	s_or_b32 exec_lo, exec_lo, s0
	s_mov_b32 s0, exec_lo
	v_cmpx_ne_u32_e64 v100, v94
	s_xor_b32 s0, exec_lo, s0
	s_cbranch_execz .LBB40_226
; %bb.221:
	s_mov_b32 s1, exec_lo
	v_cmpx_eq_u32_e32 10, v100
	s_cbranch_execz .LBB40_225
; %bb.222:
	v_cmp_ne_u32_e32 vcc_lo, 10, v94
	s_xor_b32 s2, s16, -1
	s_and_b32 s3, s2, vcc_lo
	s_and_saveexec_b32 s2, s3
	s_cbranch_execz .LBB40_224
; %bb.223:
	v_ashrrev_i32_e32 v95, 31, v94
	v_lshlrev_b64 v[100:101], 2, v[94:95]
	v_add_co_u32 v100, vcc_lo, v92, v100
	v_add_co_ci_u32_e64 v101, null, v93, v101, vcc_lo
	s_clause 0x1
	global_load_dword v0, v[100:101], off
	global_load_dword v95, v[92:93], off offset:40
	s_waitcnt vmcnt(1)
	global_store_dword v[92:93], v0, off offset:40
	s_waitcnt vmcnt(0)
	global_store_dword v[100:101], v95, off
.LBB40_224:
	s_or_b32 exec_lo, exec_lo, s2
	v_mov_b32_e32 v100, v94
	v_mov_b32_e32 v0, v94
.LBB40_225:
	s_or_b32 exec_lo, exec_lo, s1
.LBB40_226:
	s_andn2_saveexec_b32 s0, s0
	s_cbranch_execz .LBB40_228
; %bb.227:
	v_mov_b32_e32 v100, 10
	ds_write2_b64 v1, v[38:39], v[40:41] offset0:22 offset1:23
	ds_write2_b64 v1, v[34:35], v[36:37] offset0:24 offset1:25
	;; [unrolled: 1-line block ×10, first 2 shown]
.LBB40_228:
	s_or_b32 exec_lo, exec_lo, s0
	s_mov_b32 s0, exec_lo
	s_waitcnt lgkmcnt(0)
	s_waitcnt_vscnt null, 0x0
	s_barrier
	buffer_gl0_inv
	v_cmpx_lt_i32_e32 10, v100
	s_cbranch_execz .LBB40_230
; %bb.229:
	v_mul_f64 v[94:95], v[86:87], v[44:45]
	v_mul_f64 v[44:45], v[88:89], v[44:45]
	v_fma_f64 v[94:95], v[88:89], v[42:43], v[94:95]
	v_fma_f64 v[42:43], v[86:87], v[42:43], -v[44:45]
	ds_read2_b64 v[86:89], v1 offset0:22 offset1:23
	s_waitcnt lgkmcnt(0)
	v_mul_f64 v[44:45], v[88:89], v[94:95]
	v_fma_f64 v[44:45], v[86:87], v[42:43], -v[44:45]
	v_mul_f64 v[86:87], v[86:87], v[94:95]
	v_add_f64 v[38:39], v[38:39], -v[44:45]
	v_fma_f64 v[86:87], v[88:89], v[42:43], v[86:87]
	v_add_f64 v[40:41], v[40:41], -v[86:87]
	ds_read2_b64 v[86:89], v1 offset0:24 offset1:25
	s_waitcnt lgkmcnt(0)
	v_mul_f64 v[44:45], v[88:89], v[94:95]
	v_fma_f64 v[44:45], v[86:87], v[42:43], -v[44:45]
	v_mul_f64 v[86:87], v[86:87], v[94:95]
	v_add_f64 v[34:35], v[34:35], -v[44:45]
	v_fma_f64 v[86:87], v[88:89], v[42:43], v[86:87]
	v_add_f64 v[36:37], v[36:37], -v[86:87]
	ds_read2_b64 v[86:89], v1 offset0:26 offset1:27
	s_waitcnt lgkmcnt(0)
	v_mul_f64 v[44:45], v[88:89], v[94:95]
	v_fma_f64 v[44:45], v[86:87], v[42:43], -v[44:45]
	v_mul_f64 v[86:87], v[86:87], v[94:95]
	v_add_f64 v[30:31], v[30:31], -v[44:45]
	v_fma_f64 v[86:87], v[88:89], v[42:43], v[86:87]
	v_add_f64 v[32:33], v[32:33], -v[86:87]
	ds_read2_b64 v[86:89], v1 offset0:28 offset1:29
	s_waitcnt lgkmcnt(0)
	v_mul_f64 v[44:45], v[88:89], v[94:95]
	v_fma_f64 v[44:45], v[86:87], v[42:43], -v[44:45]
	v_mul_f64 v[86:87], v[86:87], v[94:95]
	v_add_f64 v[26:27], v[26:27], -v[44:45]
	v_fma_f64 v[86:87], v[88:89], v[42:43], v[86:87]
	v_add_f64 v[28:29], v[28:29], -v[86:87]
	ds_read2_b64 v[86:89], v1 offset0:30 offset1:31
	s_waitcnt lgkmcnt(0)
	v_mul_f64 v[44:45], v[88:89], v[94:95]
	v_fma_f64 v[44:45], v[86:87], v[42:43], -v[44:45]
	v_mul_f64 v[86:87], v[86:87], v[94:95]
	v_add_f64 v[22:23], v[22:23], -v[44:45]
	v_fma_f64 v[86:87], v[88:89], v[42:43], v[86:87]
	v_add_f64 v[24:25], v[24:25], -v[86:87]
	ds_read2_b64 v[86:89], v1 offset0:32 offset1:33
	s_waitcnt lgkmcnt(0)
	v_mul_f64 v[44:45], v[88:89], v[94:95]
	v_fma_f64 v[44:45], v[86:87], v[42:43], -v[44:45]
	v_mul_f64 v[86:87], v[86:87], v[94:95]
	v_add_f64 v[18:19], v[18:19], -v[44:45]
	v_fma_f64 v[86:87], v[88:89], v[42:43], v[86:87]
	v_add_f64 v[20:21], v[20:21], -v[86:87]
	ds_read2_b64 v[86:89], v1 offset0:34 offset1:35
	s_waitcnt lgkmcnt(0)
	v_mul_f64 v[44:45], v[88:89], v[94:95]
	v_fma_f64 v[44:45], v[86:87], v[42:43], -v[44:45]
	v_mul_f64 v[86:87], v[86:87], v[94:95]
	v_add_f64 v[14:15], v[14:15], -v[44:45]
	v_fma_f64 v[86:87], v[88:89], v[42:43], v[86:87]
	v_add_f64 v[16:17], v[16:17], -v[86:87]
	ds_read2_b64 v[86:89], v1 offset0:36 offset1:37
	s_waitcnt lgkmcnt(0)
	v_mul_f64 v[44:45], v[88:89], v[94:95]
	v_fma_f64 v[44:45], v[86:87], v[42:43], -v[44:45]
	v_mul_f64 v[86:87], v[86:87], v[94:95]
	v_add_f64 v[10:11], v[10:11], -v[44:45]
	v_fma_f64 v[86:87], v[88:89], v[42:43], v[86:87]
	v_add_f64 v[12:13], v[12:13], -v[86:87]
	ds_read2_b64 v[86:89], v1 offset0:38 offset1:39
	s_waitcnt lgkmcnt(0)
	v_mul_f64 v[44:45], v[88:89], v[94:95]
	v_fma_f64 v[44:45], v[86:87], v[42:43], -v[44:45]
	v_mul_f64 v[86:87], v[86:87], v[94:95]
	v_add_f64 v[6:7], v[6:7], -v[44:45]
	v_fma_f64 v[86:87], v[88:89], v[42:43], v[86:87]
	v_add_f64 v[8:9], v[8:9], -v[86:87]
	ds_read2_b64 v[86:89], v1 offset0:40 offset1:41
	s_waitcnt lgkmcnt(0)
	v_mul_f64 v[44:45], v[88:89], v[94:95]
	v_fma_f64 v[44:45], v[86:87], v[42:43], -v[44:45]
	v_mul_f64 v[86:87], v[86:87], v[94:95]
	v_add_f64 v[2:3], v[2:3], -v[44:45]
	v_fma_f64 v[86:87], v[88:89], v[42:43], v[86:87]
	v_mov_b32_e32 v44, v94
	v_mov_b32_e32 v45, v95
	v_add_f64 v[4:5], v[4:5], -v[86:87]
.LBB40_230:
	s_or_b32 exec_lo, exec_lo, s0
	v_lshl_add_u32 v86, v100, 4, v1
	s_barrier
	buffer_gl0_inv
	v_mov_b32_e32 v94, 11
	ds_write2_b64 v86, v[38:39], v[40:41] offset1:1
	s_waitcnt lgkmcnt(0)
	s_barrier
	buffer_gl0_inv
	ds_read2_b64 v[86:89], v1 offset0:22 offset1:23
	s_cmp_lt_i32 s18, 13
	s_cbranch_scc1 .LBB40_233
; %bb.231:
	v_add3_u32 v95, v96, 0, 0xc0
	v_mov_b32_e32 v94, 11
	s_mov_b32 s1, 12
	s_inst_prefetch 0x1
	.p2align	6
.LBB40_232:                             ; =>This Inner Loop Header: Depth=1
	s_waitcnt lgkmcnt(0)
	v_cmp_gt_f64_e32 vcc_lo, 0, v[88:89]
	v_cmp_gt_f64_e64 s0, 0, v[86:87]
	ds_read2_b64 v[101:104], v95 offset1:1
	v_xor_b32_e32 v106, 0x80000000, v87
	v_xor_b32_e32 v108, 0x80000000, v89
	v_mov_b32_e32 v105, v86
	v_mov_b32_e32 v107, v88
	v_add_nc_u32_e32 v95, 16, v95
	s_waitcnt lgkmcnt(0)
	v_xor_b32_e32 v110, 0x80000000, v104
	v_cndmask_b32_e64 v106, v87, v106, s0
	v_cndmask_b32_e32 v108, v89, v108, vcc_lo
	v_cmp_gt_f64_e32 vcc_lo, 0, v[103:104]
	v_cmp_gt_f64_e64 s0, 0, v[101:102]
	v_mov_b32_e32 v109, v103
	v_add_f64 v[105:106], v[105:106], v[107:108]
	v_xor_b32_e32 v108, 0x80000000, v102
	v_mov_b32_e32 v107, v101
	v_cndmask_b32_e32 v110, v104, v110, vcc_lo
	v_cndmask_b32_e64 v108, v102, v108, s0
	v_add_f64 v[107:108], v[107:108], v[109:110]
	v_cmp_lt_f64_e32 vcc_lo, v[105:106], v[107:108]
	v_cndmask_b32_e32 v87, v87, v102, vcc_lo
	v_cndmask_b32_e32 v86, v86, v101, vcc_lo
	;; [unrolled: 1-line block ×4, first 2 shown]
	v_cndmask_b32_e64 v94, v94, s1, vcc_lo
	s_add_i32 s1, s1, 1
	s_cmp_lg_u32 s18, s1
	s_cbranch_scc1 .LBB40_232
.LBB40_233:
	s_inst_prefetch 0x2
	s_waitcnt lgkmcnt(0)
	v_cmp_eq_f64_e32 vcc_lo, 0, v[86:87]
	v_cmp_eq_f64_e64 s0, 0, v[88:89]
	s_and_b32 s0, vcc_lo, s0
	s_and_saveexec_b32 s1, s0
	s_xor_b32 s0, exec_lo, s1
; %bb.234:
	v_cmp_ne_u32_e32 vcc_lo, 0, v99
	v_cndmask_b32_e32 v99, 12, v99, vcc_lo
; %bb.235:
	s_andn2_saveexec_b32 s0, s0
	s_cbranch_execz .LBB40_241
; %bb.236:
	v_cmp_ngt_f64_e64 s1, |v[86:87]|, |v[88:89]|
	s_and_saveexec_b32 s2, s1
	s_xor_b32 s1, exec_lo, s2
	s_cbranch_execz .LBB40_238
; %bb.237:
	v_div_scale_f64 v[101:102], null, v[88:89], v[88:89], v[86:87]
	v_div_scale_f64 v[107:108], vcc_lo, v[86:87], v[88:89], v[86:87]
	v_rcp_f64_e32 v[103:104], v[101:102]
	v_fma_f64 v[105:106], -v[101:102], v[103:104], 1.0
	v_fma_f64 v[103:104], v[103:104], v[105:106], v[103:104]
	v_fma_f64 v[105:106], -v[101:102], v[103:104], 1.0
	v_fma_f64 v[103:104], v[103:104], v[105:106], v[103:104]
	v_mul_f64 v[105:106], v[107:108], v[103:104]
	v_fma_f64 v[101:102], -v[101:102], v[105:106], v[107:108]
	v_div_fmas_f64 v[101:102], v[101:102], v[103:104], v[105:106]
	v_div_fixup_f64 v[101:102], v[101:102], v[88:89], v[86:87]
	v_fma_f64 v[86:87], v[86:87], v[101:102], v[88:89]
	v_div_scale_f64 v[88:89], null, v[86:87], v[86:87], 1.0
	v_rcp_f64_e32 v[103:104], v[88:89]
	v_fma_f64 v[105:106], -v[88:89], v[103:104], 1.0
	v_fma_f64 v[103:104], v[103:104], v[105:106], v[103:104]
	v_fma_f64 v[105:106], -v[88:89], v[103:104], 1.0
	v_fma_f64 v[103:104], v[103:104], v[105:106], v[103:104]
	v_div_scale_f64 v[105:106], vcc_lo, 1.0, v[86:87], 1.0
	v_mul_f64 v[107:108], v[105:106], v[103:104]
	v_fma_f64 v[88:89], -v[88:89], v[107:108], v[105:106]
	v_div_fmas_f64 v[88:89], v[88:89], v[103:104], v[107:108]
	v_div_fixup_f64 v[88:89], v[88:89], v[86:87], 1.0
	v_mul_f64 v[86:87], v[101:102], v[88:89]
	v_xor_b32_e32 v89, 0x80000000, v89
.LBB40_238:
	s_andn2_saveexec_b32 s1, s1
	s_cbranch_execz .LBB40_240
; %bb.239:
	v_div_scale_f64 v[101:102], null, v[86:87], v[86:87], v[88:89]
	v_div_scale_f64 v[107:108], vcc_lo, v[88:89], v[86:87], v[88:89]
	v_rcp_f64_e32 v[103:104], v[101:102]
	v_fma_f64 v[105:106], -v[101:102], v[103:104], 1.0
	v_fma_f64 v[103:104], v[103:104], v[105:106], v[103:104]
	v_fma_f64 v[105:106], -v[101:102], v[103:104], 1.0
	v_fma_f64 v[103:104], v[103:104], v[105:106], v[103:104]
	v_mul_f64 v[105:106], v[107:108], v[103:104]
	v_fma_f64 v[101:102], -v[101:102], v[105:106], v[107:108]
	v_div_fmas_f64 v[101:102], v[101:102], v[103:104], v[105:106]
	v_div_fixup_f64 v[101:102], v[101:102], v[86:87], v[88:89]
	v_fma_f64 v[86:87], v[88:89], v[101:102], v[86:87]
	v_div_scale_f64 v[88:89], null, v[86:87], v[86:87], 1.0
	v_rcp_f64_e32 v[103:104], v[88:89]
	v_fma_f64 v[105:106], -v[88:89], v[103:104], 1.0
	v_fma_f64 v[103:104], v[103:104], v[105:106], v[103:104]
	v_fma_f64 v[105:106], -v[88:89], v[103:104], 1.0
	v_fma_f64 v[103:104], v[103:104], v[105:106], v[103:104]
	v_div_scale_f64 v[105:106], vcc_lo, 1.0, v[86:87], 1.0
	v_mul_f64 v[107:108], v[105:106], v[103:104]
	v_fma_f64 v[88:89], -v[88:89], v[107:108], v[105:106]
	v_div_fmas_f64 v[88:89], v[88:89], v[103:104], v[107:108]
	v_div_fixup_f64 v[86:87], v[88:89], v[86:87], 1.0
	v_mul_f64 v[88:89], v[101:102], -v[86:87]
.LBB40_240:
	s_or_b32 exec_lo, exec_lo, s1
.LBB40_241:
	s_or_b32 exec_lo, exec_lo, s0
	s_mov_b32 s0, exec_lo
	v_cmpx_ne_u32_e64 v100, v94
	s_xor_b32 s0, exec_lo, s0
	s_cbranch_execz .LBB40_247
; %bb.242:
	s_mov_b32 s1, exec_lo
	v_cmpx_eq_u32_e32 11, v100
	s_cbranch_execz .LBB40_246
; %bb.243:
	v_cmp_ne_u32_e32 vcc_lo, 11, v94
	s_xor_b32 s2, s16, -1
	s_and_b32 s3, s2, vcc_lo
	s_and_saveexec_b32 s2, s3
	s_cbranch_execz .LBB40_245
; %bb.244:
	v_ashrrev_i32_e32 v95, 31, v94
	v_lshlrev_b64 v[100:101], 2, v[94:95]
	v_add_co_u32 v100, vcc_lo, v92, v100
	v_add_co_ci_u32_e64 v101, null, v93, v101, vcc_lo
	s_clause 0x1
	global_load_dword v0, v[100:101], off
	global_load_dword v95, v[92:93], off offset:44
	s_waitcnt vmcnt(1)
	global_store_dword v[92:93], v0, off offset:44
	s_waitcnt vmcnt(0)
	global_store_dword v[100:101], v95, off
.LBB40_245:
	s_or_b32 exec_lo, exec_lo, s2
	v_mov_b32_e32 v100, v94
	v_mov_b32_e32 v0, v94
.LBB40_246:
	s_or_b32 exec_lo, exec_lo, s1
.LBB40_247:
	s_andn2_saveexec_b32 s0, s0
	s_cbranch_execz .LBB40_249
; %bb.248:
	v_mov_b32_e32 v100, 11
	ds_write2_b64 v1, v[34:35], v[36:37] offset0:24 offset1:25
	ds_write2_b64 v1, v[30:31], v[32:33] offset0:26 offset1:27
	;; [unrolled: 1-line block ×9, first 2 shown]
.LBB40_249:
	s_or_b32 exec_lo, exec_lo, s0
	s_mov_b32 s0, exec_lo
	s_waitcnt lgkmcnt(0)
	s_waitcnt_vscnt null, 0x0
	s_barrier
	buffer_gl0_inv
	v_cmpx_lt_i32_e32 11, v100
	s_cbranch_execz .LBB40_251
; %bb.250:
	v_mul_f64 v[94:95], v[86:87], v[40:41]
	v_mul_f64 v[40:41], v[88:89], v[40:41]
	v_fma_f64 v[94:95], v[88:89], v[38:39], v[94:95]
	v_fma_f64 v[38:39], v[86:87], v[38:39], -v[40:41]
	ds_read2_b64 v[86:89], v1 offset0:24 offset1:25
	s_waitcnt lgkmcnt(0)
	v_mul_f64 v[40:41], v[88:89], v[94:95]
	v_fma_f64 v[40:41], v[86:87], v[38:39], -v[40:41]
	v_mul_f64 v[86:87], v[86:87], v[94:95]
	v_add_f64 v[34:35], v[34:35], -v[40:41]
	v_fma_f64 v[86:87], v[88:89], v[38:39], v[86:87]
	v_add_f64 v[36:37], v[36:37], -v[86:87]
	ds_read2_b64 v[86:89], v1 offset0:26 offset1:27
	s_waitcnt lgkmcnt(0)
	v_mul_f64 v[40:41], v[88:89], v[94:95]
	v_fma_f64 v[40:41], v[86:87], v[38:39], -v[40:41]
	v_mul_f64 v[86:87], v[86:87], v[94:95]
	v_add_f64 v[30:31], v[30:31], -v[40:41]
	v_fma_f64 v[86:87], v[88:89], v[38:39], v[86:87]
	v_add_f64 v[32:33], v[32:33], -v[86:87]
	;; [unrolled: 8-line block ×8, first 2 shown]
	ds_read2_b64 v[86:89], v1 offset0:40 offset1:41
	s_waitcnt lgkmcnt(0)
	v_mul_f64 v[40:41], v[88:89], v[94:95]
	v_fma_f64 v[40:41], v[86:87], v[38:39], -v[40:41]
	v_mul_f64 v[86:87], v[86:87], v[94:95]
	v_add_f64 v[2:3], v[2:3], -v[40:41]
	v_fma_f64 v[86:87], v[88:89], v[38:39], v[86:87]
	v_mov_b32_e32 v40, v94
	v_mov_b32_e32 v41, v95
	v_add_f64 v[4:5], v[4:5], -v[86:87]
.LBB40_251:
	s_or_b32 exec_lo, exec_lo, s0
	v_lshl_add_u32 v86, v100, 4, v1
	s_barrier
	buffer_gl0_inv
	v_mov_b32_e32 v94, 12
	ds_write2_b64 v86, v[34:35], v[36:37] offset1:1
	s_waitcnt lgkmcnt(0)
	s_barrier
	buffer_gl0_inv
	ds_read2_b64 v[86:89], v1 offset0:24 offset1:25
	s_cmp_lt_i32 s18, 14
	s_cbranch_scc1 .LBB40_254
; %bb.252:
	v_add3_u32 v95, v96, 0, 0xd0
	v_mov_b32_e32 v94, 12
	s_mov_b32 s1, 13
	s_inst_prefetch 0x1
	.p2align	6
.LBB40_253:                             ; =>This Inner Loop Header: Depth=1
	s_waitcnt lgkmcnt(0)
	v_cmp_gt_f64_e32 vcc_lo, 0, v[88:89]
	v_cmp_gt_f64_e64 s0, 0, v[86:87]
	ds_read2_b64 v[101:104], v95 offset1:1
	v_xor_b32_e32 v106, 0x80000000, v87
	v_xor_b32_e32 v108, 0x80000000, v89
	v_mov_b32_e32 v105, v86
	v_mov_b32_e32 v107, v88
	v_add_nc_u32_e32 v95, 16, v95
	s_waitcnt lgkmcnt(0)
	v_xor_b32_e32 v110, 0x80000000, v104
	v_cndmask_b32_e64 v106, v87, v106, s0
	v_cndmask_b32_e32 v108, v89, v108, vcc_lo
	v_cmp_gt_f64_e32 vcc_lo, 0, v[103:104]
	v_cmp_gt_f64_e64 s0, 0, v[101:102]
	v_mov_b32_e32 v109, v103
	v_add_f64 v[105:106], v[105:106], v[107:108]
	v_xor_b32_e32 v108, 0x80000000, v102
	v_mov_b32_e32 v107, v101
	v_cndmask_b32_e32 v110, v104, v110, vcc_lo
	v_cndmask_b32_e64 v108, v102, v108, s0
	v_add_f64 v[107:108], v[107:108], v[109:110]
	v_cmp_lt_f64_e32 vcc_lo, v[105:106], v[107:108]
	v_cndmask_b32_e32 v87, v87, v102, vcc_lo
	v_cndmask_b32_e32 v86, v86, v101, vcc_lo
	;; [unrolled: 1-line block ×4, first 2 shown]
	v_cndmask_b32_e64 v94, v94, s1, vcc_lo
	s_add_i32 s1, s1, 1
	s_cmp_lg_u32 s18, s1
	s_cbranch_scc1 .LBB40_253
.LBB40_254:
	s_inst_prefetch 0x2
	s_waitcnt lgkmcnt(0)
	v_cmp_eq_f64_e32 vcc_lo, 0, v[86:87]
	v_cmp_eq_f64_e64 s0, 0, v[88:89]
	s_and_b32 s0, vcc_lo, s0
	s_and_saveexec_b32 s1, s0
	s_xor_b32 s0, exec_lo, s1
; %bb.255:
	v_cmp_ne_u32_e32 vcc_lo, 0, v99
	v_cndmask_b32_e32 v99, 13, v99, vcc_lo
; %bb.256:
	s_andn2_saveexec_b32 s0, s0
	s_cbranch_execz .LBB40_262
; %bb.257:
	v_cmp_ngt_f64_e64 s1, |v[86:87]|, |v[88:89]|
	s_and_saveexec_b32 s2, s1
	s_xor_b32 s1, exec_lo, s2
	s_cbranch_execz .LBB40_259
; %bb.258:
	v_div_scale_f64 v[101:102], null, v[88:89], v[88:89], v[86:87]
	v_div_scale_f64 v[107:108], vcc_lo, v[86:87], v[88:89], v[86:87]
	v_rcp_f64_e32 v[103:104], v[101:102]
	v_fma_f64 v[105:106], -v[101:102], v[103:104], 1.0
	v_fma_f64 v[103:104], v[103:104], v[105:106], v[103:104]
	v_fma_f64 v[105:106], -v[101:102], v[103:104], 1.0
	v_fma_f64 v[103:104], v[103:104], v[105:106], v[103:104]
	v_mul_f64 v[105:106], v[107:108], v[103:104]
	v_fma_f64 v[101:102], -v[101:102], v[105:106], v[107:108]
	v_div_fmas_f64 v[101:102], v[101:102], v[103:104], v[105:106]
	v_div_fixup_f64 v[101:102], v[101:102], v[88:89], v[86:87]
	v_fma_f64 v[86:87], v[86:87], v[101:102], v[88:89]
	v_div_scale_f64 v[88:89], null, v[86:87], v[86:87], 1.0
	v_rcp_f64_e32 v[103:104], v[88:89]
	v_fma_f64 v[105:106], -v[88:89], v[103:104], 1.0
	v_fma_f64 v[103:104], v[103:104], v[105:106], v[103:104]
	v_fma_f64 v[105:106], -v[88:89], v[103:104], 1.0
	v_fma_f64 v[103:104], v[103:104], v[105:106], v[103:104]
	v_div_scale_f64 v[105:106], vcc_lo, 1.0, v[86:87], 1.0
	v_mul_f64 v[107:108], v[105:106], v[103:104]
	v_fma_f64 v[88:89], -v[88:89], v[107:108], v[105:106]
	v_div_fmas_f64 v[88:89], v[88:89], v[103:104], v[107:108]
	v_div_fixup_f64 v[88:89], v[88:89], v[86:87], 1.0
	v_mul_f64 v[86:87], v[101:102], v[88:89]
	v_xor_b32_e32 v89, 0x80000000, v89
.LBB40_259:
	s_andn2_saveexec_b32 s1, s1
	s_cbranch_execz .LBB40_261
; %bb.260:
	v_div_scale_f64 v[101:102], null, v[86:87], v[86:87], v[88:89]
	v_div_scale_f64 v[107:108], vcc_lo, v[88:89], v[86:87], v[88:89]
	v_rcp_f64_e32 v[103:104], v[101:102]
	v_fma_f64 v[105:106], -v[101:102], v[103:104], 1.0
	v_fma_f64 v[103:104], v[103:104], v[105:106], v[103:104]
	v_fma_f64 v[105:106], -v[101:102], v[103:104], 1.0
	v_fma_f64 v[103:104], v[103:104], v[105:106], v[103:104]
	v_mul_f64 v[105:106], v[107:108], v[103:104]
	v_fma_f64 v[101:102], -v[101:102], v[105:106], v[107:108]
	v_div_fmas_f64 v[101:102], v[101:102], v[103:104], v[105:106]
	v_div_fixup_f64 v[101:102], v[101:102], v[86:87], v[88:89]
	v_fma_f64 v[86:87], v[88:89], v[101:102], v[86:87]
	v_div_scale_f64 v[88:89], null, v[86:87], v[86:87], 1.0
	v_rcp_f64_e32 v[103:104], v[88:89]
	v_fma_f64 v[105:106], -v[88:89], v[103:104], 1.0
	v_fma_f64 v[103:104], v[103:104], v[105:106], v[103:104]
	v_fma_f64 v[105:106], -v[88:89], v[103:104], 1.0
	v_fma_f64 v[103:104], v[103:104], v[105:106], v[103:104]
	v_div_scale_f64 v[105:106], vcc_lo, 1.0, v[86:87], 1.0
	v_mul_f64 v[107:108], v[105:106], v[103:104]
	v_fma_f64 v[88:89], -v[88:89], v[107:108], v[105:106]
	v_div_fmas_f64 v[88:89], v[88:89], v[103:104], v[107:108]
	v_div_fixup_f64 v[86:87], v[88:89], v[86:87], 1.0
	v_mul_f64 v[88:89], v[101:102], -v[86:87]
.LBB40_261:
	s_or_b32 exec_lo, exec_lo, s1
.LBB40_262:
	s_or_b32 exec_lo, exec_lo, s0
	s_mov_b32 s0, exec_lo
	v_cmpx_ne_u32_e64 v100, v94
	s_xor_b32 s0, exec_lo, s0
	s_cbranch_execz .LBB40_268
; %bb.263:
	s_mov_b32 s1, exec_lo
	v_cmpx_eq_u32_e32 12, v100
	s_cbranch_execz .LBB40_267
; %bb.264:
	v_cmp_ne_u32_e32 vcc_lo, 12, v94
	s_xor_b32 s2, s16, -1
	s_and_b32 s3, s2, vcc_lo
	s_and_saveexec_b32 s2, s3
	s_cbranch_execz .LBB40_266
; %bb.265:
	v_ashrrev_i32_e32 v95, 31, v94
	v_lshlrev_b64 v[100:101], 2, v[94:95]
	v_add_co_u32 v100, vcc_lo, v92, v100
	v_add_co_ci_u32_e64 v101, null, v93, v101, vcc_lo
	s_clause 0x1
	global_load_dword v0, v[100:101], off
	global_load_dword v95, v[92:93], off offset:48
	s_waitcnt vmcnt(1)
	global_store_dword v[92:93], v0, off offset:48
	s_waitcnt vmcnt(0)
	global_store_dword v[100:101], v95, off
.LBB40_266:
	s_or_b32 exec_lo, exec_lo, s2
	v_mov_b32_e32 v100, v94
	v_mov_b32_e32 v0, v94
.LBB40_267:
	s_or_b32 exec_lo, exec_lo, s1
.LBB40_268:
	s_andn2_saveexec_b32 s0, s0
	s_cbranch_execz .LBB40_270
; %bb.269:
	v_mov_b32_e32 v100, 12
	ds_write2_b64 v1, v[30:31], v[32:33] offset0:26 offset1:27
	ds_write2_b64 v1, v[26:27], v[28:29] offset0:28 offset1:29
	;; [unrolled: 1-line block ×8, first 2 shown]
.LBB40_270:
	s_or_b32 exec_lo, exec_lo, s0
	s_mov_b32 s0, exec_lo
	s_waitcnt lgkmcnt(0)
	s_waitcnt_vscnt null, 0x0
	s_barrier
	buffer_gl0_inv
	v_cmpx_lt_i32_e32 12, v100
	s_cbranch_execz .LBB40_272
; %bb.271:
	v_mul_f64 v[94:95], v[86:87], v[36:37]
	v_mul_f64 v[36:37], v[88:89], v[36:37]
	v_fma_f64 v[94:95], v[88:89], v[34:35], v[94:95]
	v_fma_f64 v[34:35], v[86:87], v[34:35], -v[36:37]
	ds_read2_b64 v[86:89], v1 offset0:26 offset1:27
	s_waitcnt lgkmcnt(0)
	v_mul_f64 v[36:37], v[88:89], v[94:95]
	v_fma_f64 v[36:37], v[86:87], v[34:35], -v[36:37]
	v_mul_f64 v[86:87], v[86:87], v[94:95]
	v_add_f64 v[30:31], v[30:31], -v[36:37]
	v_fma_f64 v[86:87], v[88:89], v[34:35], v[86:87]
	v_add_f64 v[32:33], v[32:33], -v[86:87]
	ds_read2_b64 v[86:89], v1 offset0:28 offset1:29
	s_waitcnt lgkmcnt(0)
	v_mul_f64 v[36:37], v[88:89], v[94:95]
	v_fma_f64 v[36:37], v[86:87], v[34:35], -v[36:37]
	v_mul_f64 v[86:87], v[86:87], v[94:95]
	v_add_f64 v[26:27], v[26:27], -v[36:37]
	v_fma_f64 v[86:87], v[88:89], v[34:35], v[86:87]
	v_add_f64 v[28:29], v[28:29], -v[86:87]
	;; [unrolled: 8-line block ×7, first 2 shown]
	ds_read2_b64 v[86:89], v1 offset0:40 offset1:41
	s_waitcnt lgkmcnt(0)
	v_mul_f64 v[36:37], v[88:89], v[94:95]
	v_fma_f64 v[36:37], v[86:87], v[34:35], -v[36:37]
	v_mul_f64 v[86:87], v[86:87], v[94:95]
	v_add_f64 v[2:3], v[2:3], -v[36:37]
	v_fma_f64 v[86:87], v[88:89], v[34:35], v[86:87]
	v_mov_b32_e32 v36, v94
	v_mov_b32_e32 v37, v95
	v_add_f64 v[4:5], v[4:5], -v[86:87]
.LBB40_272:
	s_or_b32 exec_lo, exec_lo, s0
	v_lshl_add_u32 v86, v100, 4, v1
	s_barrier
	buffer_gl0_inv
	v_mov_b32_e32 v94, 13
	ds_write2_b64 v86, v[30:31], v[32:33] offset1:1
	s_waitcnt lgkmcnt(0)
	s_barrier
	buffer_gl0_inv
	ds_read2_b64 v[86:89], v1 offset0:26 offset1:27
	s_cmp_lt_i32 s18, 15
	s_cbranch_scc1 .LBB40_275
; %bb.273:
	v_add3_u32 v95, v96, 0, 0xe0
	v_mov_b32_e32 v94, 13
	s_mov_b32 s1, 14
	s_inst_prefetch 0x1
	.p2align	6
.LBB40_274:                             ; =>This Inner Loop Header: Depth=1
	s_waitcnt lgkmcnt(0)
	v_cmp_gt_f64_e32 vcc_lo, 0, v[88:89]
	v_cmp_gt_f64_e64 s0, 0, v[86:87]
	ds_read2_b64 v[101:104], v95 offset1:1
	v_xor_b32_e32 v106, 0x80000000, v87
	v_xor_b32_e32 v108, 0x80000000, v89
	v_mov_b32_e32 v105, v86
	v_mov_b32_e32 v107, v88
	v_add_nc_u32_e32 v95, 16, v95
	s_waitcnt lgkmcnt(0)
	v_xor_b32_e32 v110, 0x80000000, v104
	v_cndmask_b32_e64 v106, v87, v106, s0
	v_cndmask_b32_e32 v108, v89, v108, vcc_lo
	v_cmp_gt_f64_e32 vcc_lo, 0, v[103:104]
	v_cmp_gt_f64_e64 s0, 0, v[101:102]
	v_mov_b32_e32 v109, v103
	v_add_f64 v[105:106], v[105:106], v[107:108]
	v_xor_b32_e32 v108, 0x80000000, v102
	v_mov_b32_e32 v107, v101
	v_cndmask_b32_e32 v110, v104, v110, vcc_lo
	v_cndmask_b32_e64 v108, v102, v108, s0
	v_add_f64 v[107:108], v[107:108], v[109:110]
	v_cmp_lt_f64_e32 vcc_lo, v[105:106], v[107:108]
	v_cndmask_b32_e32 v87, v87, v102, vcc_lo
	v_cndmask_b32_e32 v86, v86, v101, vcc_lo
	;; [unrolled: 1-line block ×4, first 2 shown]
	v_cndmask_b32_e64 v94, v94, s1, vcc_lo
	s_add_i32 s1, s1, 1
	s_cmp_lg_u32 s18, s1
	s_cbranch_scc1 .LBB40_274
.LBB40_275:
	s_inst_prefetch 0x2
	s_waitcnt lgkmcnt(0)
	v_cmp_eq_f64_e32 vcc_lo, 0, v[86:87]
	v_cmp_eq_f64_e64 s0, 0, v[88:89]
	s_and_b32 s0, vcc_lo, s0
	s_and_saveexec_b32 s1, s0
	s_xor_b32 s0, exec_lo, s1
; %bb.276:
	v_cmp_ne_u32_e32 vcc_lo, 0, v99
	v_cndmask_b32_e32 v99, 14, v99, vcc_lo
; %bb.277:
	s_andn2_saveexec_b32 s0, s0
	s_cbranch_execz .LBB40_283
; %bb.278:
	v_cmp_ngt_f64_e64 s1, |v[86:87]|, |v[88:89]|
	s_and_saveexec_b32 s2, s1
	s_xor_b32 s1, exec_lo, s2
	s_cbranch_execz .LBB40_280
; %bb.279:
	v_div_scale_f64 v[101:102], null, v[88:89], v[88:89], v[86:87]
	v_div_scale_f64 v[107:108], vcc_lo, v[86:87], v[88:89], v[86:87]
	v_rcp_f64_e32 v[103:104], v[101:102]
	v_fma_f64 v[105:106], -v[101:102], v[103:104], 1.0
	v_fma_f64 v[103:104], v[103:104], v[105:106], v[103:104]
	v_fma_f64 v[105:106], -v[101:102], v[103:104], 1.0
	v_fma_f64 v[103:104], v[103:104], v[105:106], v[103:104]
	v_mul_f64 v[105:106], v[107:108], v[103:104]
	v_fma_f64 v[101:102], -v[101:102], v[105:106], v[107:108]
	v_div_fmas_f64 v[101:102], v[101:102], v[103:104], v[105:106]
	v_div_fixup_f64 v[101:102], v[101:102], v[88:89], v[86:87]
	v_fma_f64 v[86:87], v[86:87], v[101:102], v[88:89]
	v_div_scale_f64 v[88:89], null, v[86:87], v[86:87], 1.0
	v_rcp_f64_e32 v[103:104], v[88:89]
	v_fma_f64 v[105:106], -v[88:89], v[103:104], 1.0
	v_fma_f64 v[103:104], v[103:104], v[105:106], v[103:104]
	v_fma_f64 v[105:106], -v[88:89], v[103:104], 1.0
	v_fma_f64 v[103:104], v[103:104], v[105:106], v[103:104]
	v_div_scale_f64 v[105:106], vcc_lo, 1.0, v[86:87], 1.0
	v_mul_f64 v[107:108], v[105:106], v[103:104]
	v_fma_f64 v[88:89], -v[88:89], v[107:108], v[105:106]
	v_div_fmas_f64 v[88:89], v[88:89], v[103:104], v[107:108]
	v_div_fixup_f64 v[88:89], v[88:89], v[86:87], 1.0
	v_mul_f64 v[86:87], v[101:102], v[88:89]
	v_xor_b32_e32 v89, 0x80000000, v89
.LBB40_280:
	s_andn2_saveexec_b32 s1, s1
	s_cbranch_execz .LBB40_282
; %bb.281:
	v_div_scale_f64 v[101:102], null, v[86:87], v[86:87], v[88:89]
	v_div_scale_f64 v[107:108], vcc_lo, v[88:89], v[86:87], v[88:89]
	v_rcp_f64_e32 v[103:104], v[101:102]
	v_fma_f64 v[105:106], -v[101:102], v[103:104], 1.0
	v_fma_f64 v[103:104], v[103:104], v[105:106], v[103:104]
	v_fma_f64 v[105:106], -v[101:102], v[103:104], 1.0
	v_fma_f64 v[103:104], v[103:104], v[105:106], v[103:104]
	v_mul_f64 v[105:106], v[107:108], v[103:104]
	v_fma_f64 v[101:102], -v[101:102], v[105:106], v[107:108]
	v_div_fmas_f64 v[101:102], v[101:102], v[103:104], v[105:106]
	v_div_fixup_f64 v[101:102], v[101:102], v[86:87], v[88:89]
	v_fma_f64 v[86:87], v[88:89], v[101:102], v[86:87]
	v_div_scale_f64 v[88:89], null, v[86:87], v[86:87], 1.0
	v_rcp_f64_e32 v[103:104], v[88:89]
	v_fma_f64 v[105:106], -v[88:89], v[103:104], 1.0
	v_fma_f64 v[103:104], v[103:104], v[105:106], v[103:104]
	v_fma_f64 v[105:106], -v[88:89], v[103:104], 1.0
	v_fma_f64 v[103:104], v[103:104], v[105:106], v[103:104]
	v_div_scale_f64 v[105:106], vcc_lo, 1.0, v[86:87], 1.0
	v_mul_f64 v[107:108], v[105:106], v[103:104]
	v_fma_f64 v[88:89], -v[88:89], v[107:108], v[105:106]
	v_div_fmas_f64 v[88:89], v[88:89], v[103:104], v[107:108]
	v_div_fixup_f64 v[86:87], v[88:89], v[86:87], 1.0
	v_mul_f64 v[88:89], v[101:102], -v[86:87]
.LBB40_282:
	s_or_b32 exec_lo, exec_lo, s1
.LBB40_283:
	s_or_b32 exec_lo, exec_lo, s0
	s_mov_b32 s0, exec_lo
	v_cmpx_ne_u32_e64 v100, v94
	s_xor_b32 s0, exec_lo, s0
	s_cbranch_execz .LBB40_289
; %bb.284:
	s_mov_b32 s1, exec_lo
	v_cmpx_eq_u32_e32 13, v100
	s_cbranch_execz .LBB40_288
; %bb.285:
	v_cmp_ne_u32_e32 vcc_lo, 13, v94
	s_xor_b32 s2, s16, -1
	s_and_b32 s3, s2, vcc_lo
	s_and_saveexec_b32 s2, s3
	s_cbranch_execz .LBB40_287
; %bb.286:
	v_ashrrev_i32_e32 v95, 31, v94
	v_lshlrev_b64 v[100:101], 2, v[94:95]
	v_add_co_u32 v100, vcc_lo, v92, v100
	v_add_co_ci_u32_e64 v101, null, v93, v101, vcc_lo
	s_clause 0x1
	global_load_dword v0, v[100:101], off
	global_load_dword v95, v[92:93], off offset:52
	s_waitcnt vmcnt(1)
	global_store_dword v[92:93], v0, off offset:52
	s_waitcnt vmcnt(0)
	global_store_dword v[100:101], v95, off
.LBB40_287:
	s_or_b32 exec_lo, exec_lo, s2
	v_mov_b32_e32 v100, v94
	v_mov_b32_e32 v0, v94
.LBB40_288:
	s_or_b32 exec_lo, exec_lo, s1
.LBB40_289:
	s_andn2_saveexec_b32 s0, s0
	s_cbranch_execz .LBB40_291
; %bb.290:
	v_mov_b32_e32 v100, 13
	ds_write2_b64 v1, v[26:27], v[28:29] offset0:28 offset1:29
	ds_write2_b64 v1, v[22:23], v[24:25] offset0:30 offset1:31
	;; [unrolled: 1-line block ×7, first 2 shown]
.LBB40_291:
	s_or_b32 exec_lo, exec_lo, s0
	s_mov_b32 s0, exec_lo
	s_waitcnt lgkmcnt(0)
	s_waitcnt_vscnt null, 0x0
	s_barrier
	buffer_gl0_inv
	v_cmpx_lt_i32_e32 13, v100
	s_cbranch_execz .LBB40_293
; %bb.292:
	v_mul_f64 v[94:95], v[86:87], v[32:33]
	v_mul_f64 v[32:33], v[88:89], v[32:33]
	v_fma_f64 v[94:95], v[88:89], v[30:31], v[94:95]
	v_fma_f64 v[30:31], v[86:87], v[30:31], -v[32:33]
	ds_read2_b64 v[86:89], v1 offset0:28 offset1:29
	s_waitcnt lgkmcnt(0)
	v_mul_f64 v[32:33], v[88:89], v[94:95]
	v_fma_f64 v[32:33], v[86:87], v[30:31], -v[32:33]
	v_mul_f64 v[86:87], v[86:87], v[94:95]
	v_add_f64 v[26:27], v[26:27], -v[32:33]
	v_fma_f64 v[86:87], v[88:89], v[30:31], v[86:87]
	v_add_f64 v[28:29], v[28:29], -v[86:87]
	ds_read2_b64 v[86:89], v1 offset0:30 offset1:31
	s_waitcnt lgkmcnt(0)
	v_mul_f64 v[32:33], v[88:89], v[94:95]
	v_fma_f64 v[32:33], v[86:87], v[30:31], -v[32:33]
	v_mul_f64 v[86:87], v[86:87], v[94:95]
	v_add_f64 v[22:23], v[22:23], -v[32:33]
	v_fma_f64 v[86:87], v[88:89], v[30:31], v[86:87]
	v_add_f64 v[24:25], v[24:25], -v[86:87]
	;; [unrolled: 8-line block ×6, first 2 shown]
	ds_read2_b64 v[86:89], v1 offset0:40 offset1:41
	s_waitcnt lgkmcnt(0)
	v_mul_f64 v[32:33], v[88:89], v[94:95]
	v_fma_f64 v[32:33], v[86:87], v[30:31], -v[32:33]
	v_mul_f64 v[86:87], v[86:87], v[94:95]
	v_add_f64 v[2:3], v[2:3], -v[32:33]
	v_fma_f64 v[86:87], v[88:89], v[30:31], v[86:87]
	v_mov_b32_e32 v32, v94
	v_mov_b32_e32 v33, v95
	v_add_f64 v[4:5], v[4:5], -v[86:87]
.LBB40_293:
	s_or_b32 exec_lo, exec_lo, s0
	v_lshl_add_u32 v86, v100, 4, v1
	s_barrier
	buffer_gl0_inv
	v_mov_b32_e32 v94, 14
	ds_write2_b64 v86, v[26:27], v[28:29] offset1:1
	s_waitcnt lgkmcnt(0)
	s_barrier
	buffer_gl0_inv
	ds_read2_b64 v[86:89], v1 offset0:28 offset1:29
	s_cmp_lt_i32 s18, 16
	s_cbranch_scc1 .LBB40_296
; %bb.294:
	v_add3_u32 v95, v96, 0, 0xf0
	v_mov_b32_e32 v94, 14
	s_mov_b32 s1, 15
	s_inst_prefetch 0x1
	.p2align	6
.LBB40_295:                             ; =>This Inner Loop Header: Depth=1
	s_waitcnt lgkmcnt(0)
	v_cmp_gt_f64_e32 vcc_lo, 0, v[88:89]
	v_cmp_gt_f64_e64 s0, 0, v[86:87]
	ds_read2_b64 v[101:104], v95 offset1:1
	v_xor_b32_e32 v106, 0x80000000, v87
	v_xor_b32_e32 v108, 0x80000000, v89
	v_mov_b32_e32 v105, v86
	v_mov_b32_e32 v107, v88
	v_add_nc_u32_e32 v95, 16, v95
	s_waitcnt lgkmcnt(0)
	v_xor_b32_e32 v110, 0x80000000, v104
	v_cndmask_b32_e64 v106, v87, v106, s0
	v_cndmask_b32_e32 v108, v89, v108, vcc_lo
	v_cmp_gt_f64_e32 vcc_lo, 0, v[103:104]
	v_cmp_gt_f64_e64 s0, 0, v[101:102]
	v_mov_b32_e32 v109, v103
	v_add_f64 v[105:106], v[105:106], v[107:108]
	v_xor_b32_e32 v108, 0x80000000, v102
	v_mov_b32_e32 v107, v101
	v_cndmask_b32_e32 v110, v104, v110, vcc_lo
	v_cndmask_b32_e64 v108, v102, v108, s0
	v_add_f64 v[107:108], v[107:108], v[109:110]
	v_cmp_lt_f64_e32 vcc_lo, v[105:106], v[107:108]
	v_cndmask_b32_e32 v87, v87, v102, vcc_lo
	v_cndmask_b32_e32 v86, v86, v101, vcc_lo
	;; [unrolled: 1-line block ×4, first 2 shown]
	v_cndmask_b32_e64 v94, v94, s1, vcc_lo
	s_add_i32 s1, s1, 1
	s_cmp_lg_u32 s18, s1
	s_cbranch_scc1 .LBB40_295
.LBB40_296:
	s_inst_prefetch 0x2
	s_waitcnt lgkmcnt(0)
	v_cmp_eq_f64_e32 vcc_lo, 0, v[86:87]
	v_cmp_eq_f64_e64 s0, 0, v[88:89]
	s_and_b32 s0, vcc_lo, s0
	s_and_saveexec_b32 s1, s0
	s_xor_b32 s0, exec_lo, s1
; %bb.297:
	v_cmp_ne_u32_e32 vcc_lo, 0, v99
	v_cndmask_b32_e32 v99, 15, v99, vcc_lo
; %bb.298:
	s_andn2_saveexec_b32 s0, s0
	s_cbranch_execz .LBB40_304
; %bb.299:
	v_cmp_ngt_f64_e64 s1, |v[86:87]|, |v[88:89]|
	s_and_saveexec_b32 s2, s1
	s_xor_b32 s1, exec_lo, s2
	s_cbranch_execz .LBB40_301
; %bb.300:
	v_div_scale_f64 v[101:102], null, v[88:89], v[88:89], v[86:87]
	v_div_scale_f64 v[107:108], vcc_lo, v[86:87], v[88:89], v[86:87]
	v_rcp_f64_e32 v[103:104], v[101:102]
	v_fma_f64 v[105:106], -v[101:102], v[103:104], 1.0
	v_fma_f64 v[103:104], v[103:104], v[105:106], v[103:104]
	v_fma_f64 v[105:106], -v[101:102], v[103:104], 1.0
	v_fma_f64 v[103:104], v[103:104], v[105:106], v[103:104]
	v_mul_f64 v[105:106], v[107:108], v[103:104]
	v_fma_f64 v[101:102], -v[101:102], v[105:106], v[107:108]
	v_div_fmas_f64 v[101:102], v[101:102], v[103:104], v[105:106]
	v_div_fixup_f64 v[101:102], v[101:102], v[88:89], v[86:87]
	v_fma_f64 v[86:87], v[86:87], v[101:102], v[88:89]
	v_div_scale_f64 v[88:89], null, v[86:87], v[86:87], 1.0
	v_rcp_f64_e32 v[103:104], v[88:89]
	v_fma_f64 v[105:106], -v[88:89], v[103:104], 1.0
	v_fma_f64 v[103:104], v[103:104], v[105:106], v[103:104]
	v_fma_f64 v[105:106], -v[88:89], v[103:104], 1.0
	v_fma_f64 v[103:104], v[103:104], v[105:106], v[103:104]
	v_div_scale_f64 v[105:106], vcc_lo, 1.0, v[86:87], 1.0
	v_mul_f64 v[107:108], v[105:106], v[103:104]
	v_fma_f64 v[88:89], -v[88:89], v[107:108], v[105:106]
	v_div_fmas_f64 v[88:89], v[88:89], v[103:104], v[107:108]
	v_div_fixup_f64 v[88:89], v[88:89], v[86:87], 1.0
	v_mul_f64 v[86:87], v[101:102], v[88:89]
	v_xor_b32_e32 v89, 0x80000000, v89
.LBB40_301:
	s_andn2_saveexec_b32 s1, s1
	s_cbranch_execz .LBB40_303
; %bb.302:
	v_div_scale_f64 v[101:102], null, v[86:87], v[86:87], v[88:89]
	v_div_scale_f64 v[107:108], vcc_lo, v[88:89], v[86:87], v[88:89]
	v_rcp_f64_e32 v[103:104], v[101:102]
	v_fma_f64 v[105:106], -v[101:102], v[103:104], 1.0
	v_fma_f64 v[103:104], v[103:104], v[105:106], v[103:104]
	v_fma_f64 v[105:106], -v[101:102], v[103:104], 1.0
	v_fma_f64 v[103:104], v[103:104], v[105:106], v[103:104]
	v_mul_f64 v[105:106], v[107:108], v[103:104]
	v_fma_f64 v[101:102], -v[101:102], v[105:106], v[107:108]
	v_div_fmas_f64 v[101:102], v[101:102], v[103:104], v[105:106]
	v_div_fixup_f64 v[101:102], v[101:102], v[86:87], v[88:89]
	v_fma_f64 v[86:87], v[88:89], v[101:102], v[86:87]
	v_div_scale_f64 v[88:89], null, v[86:87], v[86:87], 1.0
	v_rcp_f64_e32 v[103:104], v[88:89]
	v_fma_f64 v[105:106], -v[88:89], v[103:104], 1.0
	v_fma_f64 v[103:104], v[103:104], v[105:106], v[103:104]
	v_fma_f64 v[105:106], -v[88:89], v[103:104], 1.0
	v_fma_f64 v[103:104], v[103:104], v[105:106], v[103:104]
	v_div_scale_f64 v[105:106], vcc_lo, 1.0, v[86:87], 1.0
	v_mul_f64 v[107:108], v[105:106], v[103:104]
	v_fma_f64 v[88:89], -v[88:89], v[107:108], v[105:106]
	v_div_fmas_f64 v[88:89], v[88:89], v[103:104], v[107:108]
	v_div_fixup_f64 v[86:87], v[88:89], v[86:87], 1.0
	v_mul_f64 v[88:89], v[101:102], -v[86:87]
.LBB40_303:
	s_or_b32 exec_lo, exec_lo, s1
.LBB40_304:
	s_or_b32 exec_lo, exec_lo, s0
	s_mov_b32 s0, exec_lo
	v_cmpx_ne_u32_e64 v100, v94
	s_xor_b32 s0, exec_lo, s0
	s_cbranch_execz .LBB40_310
; %bb.305:
	s_mov_b32 s1, exec_lo
	v_cmpx_eq_u32_e32 14, v100
	s_cbranch_execz .LBB40_309
; %bb.306:
	v_cmp_ne_u32_e32 vcc_lo, 14, v94
	s_xor_b32 s2, s16, -1
	s_and_b32 s3, s2, vcc_lo
	s_and_saveexec_b32 s2, s3
	s_cbranch_execz .LBB40_308
; %bb.307:
	v_ashrrev_i32_e32 v95, 31, v94
	v_lshlrev_b64 v[100:101], 2, v[94:95]
	v_add_co_u32 v100, vcc_lo, v92, v100
	v_add_co_ci_u32_e64 v101, null, v93, v101, vcc_lo
	s_clause 0x1
	global_load_dword v0, v[100:101], off
	global_load_dword v95, v[92:93], off offset:56
	s_waitcnt vmcnt(1)
	global_store_dword v[92:93], v0, off offset:56
	s_waitcnt vmcnt(0)
	global_store_dword v[100:101], v95, off
.LBB40_308:
	s_or_b32 exec_lo, exec_lo, s2
	v_mov_b32_e32 v100, v94
	v_mov_b32_e32 v0, v94
.LBB40_309:
	s_or_b32 exec_lo, exec_lo, s1
.LBB40_310:
	s_andn2_saveexec_b32 s0, s0
	s_cbranch_execz .LBB40_312
; %bb.311:
	v_mov_b32_e32 v100, 14
	ds_write2_b64 v1, v[22:23], v[24:25] offset0:30 offset1:31
	ds_write2_b64 v1, v[18:19], v[20:21] offset0:32 offset1:33
	;; [unrolled: 1-line block ×6, first 2 shown]
.LBB40_312:
	s_or_b32 exec_lo, exec_lo, s0
	s_mov_b32 s0, exec_lo
	s_waitcnt lgkmcnt(0)
	s_waitcnt_vscnt null, 0x0
	s_barrier
	buffer_gl0_inv
	v_cmpx_lt_i32_e32 14, v100
	s_cbranch_execz .LBB40_314
; %bb.313:
	v_mul_f64 v[94:95], v[86:87], v[28:29]
	v_mul_f64 v[28:29], v[88:89], v[28:29]
	v_fma_f64 v[94:95], v[88:89], v[26:27], v[94:95]
	v_fma_f64 v[26:27], v[86:87], v[26:27], -v[28:29]
	ds_read2_b64 v[86:89], v1 offset0:30 offset1:31
	s_waitcnt lgkmcnt(0)
	v_mul_f64 v[28:29], v[88:89], v[94:95]
	v_fma_f64 v[28:29], v[86:87], v[26:27], -v[28:29]
	v_mul_f64 v[86:87], v[86:87], v[94:95]
	v_add_f64 v[22:23], v[22:23], -v[28:29]
	v_fma_f64 v[86:87], v[88:89], v[26:27], v[86:87]
	v_add_f64 v[24:25], v[24:25], -v[86:87]
	ds_read2_b64 v[86:89], v1 offset0:32 offset1:33
	s_waitcnt lgkmcnt(0)
	v_mul_f64 v[28:29], v[88:89], v[94:95]
	v_fma_f64 v[28:29], v[86:87], v[26:27], -v[28:29]
	v_mul_f64 v[86:87], v[86:87], v[94:95]
	v_add_f64 v[18:19], v[18:19], -v[28:29]
	v_fma_f64 v[86:87], v[88:89], v[26:27], v[86:87]
	v_add_f64 v[20:21], v[20:21], -v[86:87]
	;; [unrolled: 8-line block ×5, first 2 shown]
	ds_read2_b64 v[86:89], v1 offset0:40 offset1:41
	s_waitcnt lgkmcnt(0)
	v_mul_f64 v[28:29], v[88:89], v[94:95]
	v_fma_f64 v[28:29], v[86:87], v[26:27], -v[28:29]
	v_mul_f64 v[86:87], v[86:87], v[94:95]
	v_add_f64 v[2:3], v[2:3], -v[28:29]
	v_fma_f64 v[86:87], v[88:89], v[26:27], v[86:87]
	v_mov_b32_e32 v28, v94
	v_mov_b32_e32 v29, v95
	v_add_f64 v[4:5], v[4:5], -v[86:87]
.LBB40_314:
	s_or_b32 exec_lo, exec_lo, s0
	v_lshl_add_u32 v86, v100, 4, v1
	s_barrier
	buffer_gl0_inv
	v_mov_b32_e32 v94, 15
	ds_write2_b64 v86, v[22:23], v[24:25] offset1:1
	s_waitcnt lgkmcnt(0)
	s_barrier
	buffer_gl0_inv
	ds_read2_b64 v[86:89], v1 offset0:30 offset1:31
	s_cmp_lt_i32 s18, 17
	s_cbranch_scc1 .LBB40_317
; %bb.315:
	v_add3_u32 v95, v96, 0, 0x100
	v_mov_b32_e32 v94, 15
	s_mov_b32 s1, 16
	s_inst_prefetch 0x1
	.p2align	6
.LBB40_316:                             ; =>This Inner Loop Header: Depth=1
	s_waitcnt lgkmcnt(0)
	v_cmp_gt_f64_e32 vcc_lo, 0, v[88:89]
	v_cmp_gt_f64_e64 s0, 0, v[86:87]
	ds_read2_b64 v[101:104], v95 offset1:1
	v_xor_b32_e32 v106, 0x80000000, v87
	v_xor_b32_e32 v108, 0x80000000, v89
	v_mov_b32_e32 v105, v86
	v_mov_b32_e32 v107, v88
	v_add_nc_u32_e32 v95, 16, v95
	s_waitcnt lgkmcnt(0)
	v_xor_b32_e32 v110, 0x80000000, v104
	v_cndmask_b32_e64 v106, v87, v106, s0
	v_cndmask_b32_e32 v108, v89, v108, vcc_lo
	v_cmp_gt_f64_e32 vcc_lo, 0, v[103:104]
	v_cmp_gt_f64_e64 s0, 0, v[101:102]
	v_mov_b32_e32 v109, v103
	v_add_f64 v[105:106], v[105:106], v[107:108]
	v_xor_b32_e32 v108, 0x80000000, v102
	v_mov_b32_e32 v107, v101
	v_cndmask_b32_e32 v110, v104, v110, vcc_lo
	v_cndmask_b32_e64 v108, v102, v108, s0
	v_add_f64 v[107:108], v[107:108], v[109:110]
	v_cmp_lt_f64_e32 vcc_lo, v[105:106], v[107:108]
	v_cndmask_b32_e32 v87, v87, v102, vcc_lo
	v_cndmask_b32_e32 v86, v86, v101, vcc_lo
	;; [unrolled: 1-line block ×4, first 2 shown]
	v_cndmask_b32_e64 v94, v94, s1, vcc_lo
	s_add_i32 s1, s1, 1
	s_cmp_lg_u32 s18, s1
	s_cbranch_scc1 .LBB40_316
.LBB40_317:
	s_inst_prefetch 0x2
	s_waitcnt lgkmcnt(0)
	v_cmp_eq_f64_e32 vcc_lo, 0, v[86:87]
	v_cmp_eq_f64_e64 s0, 0, v[88:89]
	s_and_b32 s0, vcc_lo, s0
	s_and_saveexec_b32 s1, s0
	s_xor_b32 s0, exec_lo, s1
; %bb.318:
	v_cmp_ne_u32_e32 vcc_lo, 0, v99
	v_cndmask_b32_e32 v99, 16, v99, vcc_lo
; %bb.319:
	s_andn2_saveexec_b32 s0, s0
	s_cbranch_execz .LBB40_325
; %bb.320:
	v_cmp_ngt_f64_e64 s1, |v[86:87]|, |v[88:89]|
	s_and_saveexec_b32 s2, s1
	s_xor_b32 s1, exec_lo, s2
	s_cbranch_execz .LBB40_322
; %bb.321:
	v_div_scale_f64 v[101:102], null, v[88:89], v[88:89], v[86:87]
	v_div_scale_f64 v[107:108], vcc_lo, v[86:87], v[88:89], v[86:87]
	v_rcp_f64_e32 v[103:104], v[101:102]
	v_fma_f64 v[105:106], -v[101:102], v[103:104], 1.0
	v_fma_f64 v[103:104], v[103:104], v[105:106], v[103:104]
	v_fma_f64 v[105:106], -v[101:102], v[103:104], 1.0
	v_fma_f64 v[103:104], v[103:104], v[105:106], v[103:104]
	v_mul_f64 v[105:106], v[107:108], v[103:104]
	v_fma_f64 v[101:102], -v[101:102], v[105:106], v[107:108]
	v_div_fmas_f64 v[101:102], v[101:102], v[103:104], v[105:106]
	v_div_fixup_f64 v[101:102], v[101:102], v[88:89], v[86:87]
	v_fma_f64 v[86:87], v[86:87], v[101:102], v[88:89]
	v_div_scale_f64 v[88:89], null, v[86:87], v[86:87], 1.0
	v_rcp_f64_e32 v[103:104], v[88:89]
	v_fma_f64 v[105:106], -v[88:89], v[103:104], 1.0
	v_fma_f64 v[103:104], v[103:104], v[105:106], v[103:104]
	v_fma_f64 v[105:106], -v[88:89], v[103:104], 1.0
	v_fma_f64 v[103:104], v[103:104], v[105:106], v[103:104]
	v_div_scale_f64 v[105:106], vcc_lo, 1.0, v[86:87], 1.0
	v_mul_f64 v[107:108], v[105:106], v[103:104]
	v_fma_f64 v[88:89], -v[88:89], v[107:108], v[105:106]
	v_div_fmas_f64 v[88:89], v[88:89], v[103:104], v[107:108]
	v_div_fixup_f64 v[88:89], v[88:89], v[86:87], 1.0
	v_mul_f64 v[86:87], v[101:102], v[88:89]
	v_xor_b32_e32 v89, 0x80000000, v89
.LBB40_322:
	s_andn2_saveexec_b32 s1, s1
	s_cbranch_execz .LBB40_324
; %bb.323:
	v_div_scale_f64 v[101:102], null, v[86:87], v[86:87], v[88:89]
	v_div_scale_f64 v[107:108], vcc_lo, v[88:89], v[86:87], v[88:89]
	v_rcp_f64_e32 v[103:104], v[101:102]
	v_fma_f64 v[105:106], -v[101:102], v[103:104], 1.0
	v_fma_f64 v[103:104], v[103:104], v[105:106], v[103:104]
	v_fma_f64 v[105:106], -v[101:102], v[103:104], 1.0
	v_fma_f64 v[103:104], v[103:104], v[105:106], v[103:104]
	v_mul_f64 v[105:106], v[107:108], v[103:104]
	v_fma_f64 v[101:102], -v[101:102], v[105:106], v[107:108]
	v_div_fmas_f64 v[101:102], v[101:102], v[103:104], v[105:106]
	v_div_fixup_f64 v[101:102], v[101:102], v[86:87], v[88:89]
	v_fma_f64 v[86:87], v[88:89], v[101:102], v[86:87]
	v_div_scale_f64 v[88:89], null, v[86:87], v[86:87], 1.0
	v_rcp_f64_e32 v[103:104], v[88:89]
	v_fma_f64 v[105:106], -v[88:89], v[103:104], 1.0
	v_fma_f64 v[103:104], v[103:104], v[105:106], v[103:104]
	v_fma_f64 v[105:106], -v[88:89], v[103:104], 1.0
	v_fma_f64 v[103:104], v[103:104], v[105:106], v[103:104]
	v_div_scale_f64 v[105:106], vcc_lo, 1.0, v[86:87], 1.0
	v_mul_f64 v[107:108], v[105:106], v[103:104]
	v_fma_f64 v[88:89], -v[88:89], v[107:108], v[105:106]
	v_div_fmas_f64 v[88:89], v[88:89], v[103:104], v[107:108]
	v_div_fixup_f64 v[86:87], v[88:89], v[86:87], 1.0
	v_mul_f64 v[88:89], v[101:102], -v[86:87]
.LBB40_324:
	s_or_b32 exec_lo, exec_lo, s1
.LBB40_325:
	s_or_b32 exec_lo, exec_lo, s0
	s_mov_b32 s0, exec_lo
	v_cmpx_ne_u32_e64 v100, v94
	s_xor_b32 s0, exec_lo, s0
	s_cbranch_execz .LBB40_331
; %bb.326:
	s_mov_b32 s1, exec_lo
	v_cmpx_eq_u32_e32 15, v100
	s_cbranch_execz .LBB40_330
; %bb.327:
	v_cmp_ne_u32_e32 vcc_lo, 15, v94
	s_xor_b32 s2, s16, -1
	s_and_b32 s3, s2, vcc_lo
	s_and_saveexec_b32 s2, s3
	s_cbranch_execz .LBB40_329
; %bb.328:
	v_ashrrev_i32_e32 v95, 31, v94
	v_lshlrev_b64 v[100:101], 2, v[94:95]
	v_add_co_u32 v100, vcc_lo, v92, v100
	v_add_co_ci_u32_e64 v101, null, v93, v101, vcc_lo
	s_clause 0x1
	global_load_dword v0, v[100:101], off
	global_load_dword v95, v[92:93], off offset:60
	s_waitcnt vmcnt(1)
	global_store_dword v[92:93], v0, off offset:60
	s_waitcnt vmcnt(0)
	global_store_dword v[100:101], v95, off
.LBB40_329:
	s_or_b32 exec_lo, exec_lo, s2
	v_mov_b32_e32 v100, v94
	v_mov_b32_e32 v0, v94
.LBB40_330:
	s_or_b32 exec_lo, exec_lo, s1
.LBB40_331:
	s_andn2_saveexec_b32 s0, s0
	s_cbranch_execz .LBB40_333
; %bb.332:
	v_mov_b32_e32 v100, 15
	ds_write2_b64 v1, v[18:19], v[20:21] offset0:32 offset1:33
	ds_write2_b64 v1, v[14:15], v[16:17] offset0:34 offset1:35
	;; [unrolled: 1-line block ×5, first 2 shown]
.LBB40_333:
	s_or_b32 exec_lo, exec_lo, s0
	s_mov_b32 s0, exec_lo
	s_waitcnt lgkmcnt(0)
	s_waitcnt_vscnt null, 0x0
	s_barrier
	buffer_gl0_inv
	v_cmpx_lt_i32_e32 15, v100
	s_cbranch_execz .LBB40_335
; %bb.334:
	v_mul_f64 v[94:95], v[86:87], v[24:25]
	v_mul_f64 v[24:25], v[88:89], v[24:25]
	v_fma_f64 v[94:95], v[88:89], v[22:23], v[94:95]
	v_fma_f64 v[22:23], v[86:87], v[22:23], -v[24:25]
	ds_read2_b64 v[86:89], v1 offset0:32 offset1:33
	s_waitcnt lgkmcnt(0)
	v_mul_f64 v[24:25], v[88:89], v[94:95]
	v_fma_f64 v[24:25], v[86:87], v[22:23], -v[24:25]
	v_mul_f64 v[86:87], v[86:87], v[94:95]
	v_add_f64 v[18:19], v[18:19], -v[24:25]
	v_fma_f64 v[86:87], v[88:89], v[22:23], v[86:87]
	v_add_f64 v[20:21], v[20:21], -v[86:87]
	ds_read2_b64 v[86:89], v1 offset0:34 offset1:35
	s_waitcnt lgkmcnt(0)
	v_mul_f64 v[24:25], v[88:89], v[94:95]
	v_fma_f64 v[24:25], v[86:87], v[22:23], -v[24:25]
	v_mul_f64 v[86:87], v[86:87], v[94:95]
	v_add_f64 v[14:15], v[14:15], -v[24:25]
	v_fma_f64 v[86:87], v[88:89], v[22:23], v[86:87]
	v_add_f64 v[16:17], v[16:17], -v[86:87]
	;; [unrolled: 8-line block ×4, first 2 shown]
	ds_read2_b64 v[86:89], v1 offset0:40 offset1:41
	s_waitcnt lgkmcnt(0)
	v_mul_f64 v[24:25], v[88:89], v[94:95]
	v_fma_f64 v[24:25], v[86:87], v[22:23], -v[24:25]
	v_mul_f64 v[86:87], v[86:87], v[94:95]
	v_add_f64 v[2:3], v[2:3], -v[24:25]
	v_fma_f64 v[86:87], v[88:89], v[22:23], v[86:87]
	v_mov_b32_e32 v24, v94
	v_mov_b32_e32 v25, v95
	v_add_f64 v[4:5], v[4:5], -v[86:87]
.LBB40_335:
	s_or_b32 exec_lo, exec_lo, s0
	v_lshl_add_u32 v86, v100, 4, v1
	s_barrier
	buffer_gl0_inv
	v_mov_b32_e32 v94, 16
	ds_write2_b64 v86, v[18:19], v[20:21] offset1:1
	s_waitcnt lgkmcnt(0)
	s_barrier
	buffer_gl0_inv
	ds_read2_b64 v[86:89], v1 offset0:32 offset1:33
	s_cmp_lt_i32 s18, 18
	s_cbranch_scc1 .LBB40_338
; %bb.336:
	v_add3_u32 v95, v96, 0, 0x110
	v_mov_b32_e32 v94, 16
	s_mov_b32 s1, 17
	s_inst_prefetch 0x1
	.p2align	6
.LBB40_337:                             ; =>This Inner Loop Header: Depth=1
	s_waitcnt lgkmcnt(0)
	v_cmp_gt_f64_e32 vcc_lo, 0, v[88:89]
	v_cmp_gt_f64_e64 s0, 0, v[86:87]
	ds_read2_b64 v[101:104], v95 offset1:1
	v_xor_b32_e32 v106, 0x80000000, v87
	v_xor_b32_e32 v108, 0x80000000, v89
	v_mov_b32_e32 v105, v86
	v_mov_b32_e32 v107, v88
	v_add_nc_u32_e32 v95, 16, v95
	s_waitcnt lgkmcnt(0)
	v_xor_b32_e32 v110, 0x80000000, v104
	v_cndmask_b32_e64 v106, v87, v106, s0
	v_cndmask_b32_e32 v108, v89, v108, vcc_lo
	v_cmp_gt_f64_e32 vcc_lo, 0, v[103:104]
	v_cmp_gt_f64_e64 s0, 0, v[101:102]
	v_mov_b32_e32 v109, v103
	v_add_f64 v[105:106], v[105:106], v[107:108]
	v_xor_b32_e32 v108, 0x80000000, v102
	v_mov_b32_e32 v107, v101
	v_cndmask_b32_e32 v110, v104, v110, vcc_lo
	v_cndmask_b32_e64 v108, v102, v108, s0
	v_add_f64 v[107:108], v[107:108], v[109:110]
	v_cmp_lt_f64_e32 vcc_lo, v[105:106], v[107:108]
	v_cndmask_b32_e32 v87, v87, v102, vcc_lo
	v_cndmask_b32_e32 v86, v86, v101, vcc_lo
	;; [unrolled: 1-line block ×4, first 2 shown]
	v_cndmask_b32_e64 v94, v94, s1, vcc_lo
	s_add_i32 s1, s1, 1
	s_cmp_lg_u32 s18, s1
	s_cbranch_scc1 .LBB40_337
.LBB40_338:
	s_inst_prefetch 0x2
	s_waitcnt lgkmcnt(0)
	v_cmp_eq_f64_e32 vcc_lo, 0, v[86:87]
	v_cmp_eq_f64_e64 s0, 0, v[88:89]
	s_and_b32 s0, vcc_lo, s0
	s_and_saveexec_b32 s1, s0
	s_xor_b32 s0, exec_lo, s1
; %bb.339:
	v_cmp_ne_u32_e32 vcc_lo, 0, v99
	v_cndmask_b32_e32 v99, 17, v99, vcc_lo
; %bb.340:
	s_andn2_saveexec_b32 s0, s0
	s_cbranch_execz .LBB40_346
; %bb.341:
	v_cmp_ngt_f64_e64 s1, |v[86:87]|, |v[88:89]|
	s_and_saveexec_b32 s2, s1
	s_xor_b32 s1, exec_lo, s2
	s_cbranch_execz .LBB40_343
; %bb.342:
	v_div_scale_f64 v[101:102], null, v[88:89], v[88:89], v[86:87]
	v_div_scale_f64 v[107:108], vcc_lo, v[86:87], v[88:89], v[86:87]
	v_rcp_f64_e32 v[103:104], v[101:102]
	v_fma_f64 v[105:106], -v[101:102], v[103:104], 1.0
	v_fma_f64 v[103:104], v[103:104], v[105:106], v[103:104]
	v_fma_f64 v[105:106], -v[101:102], v[103:104], 1.0
	v_fma_f64 v[103:104], v[103:104], v[105:106], v[103:104]
	v_mul_f64 v[105:106], v[107:108], v[103:104]
	v_fma_f64 v[101:102], -v[101:102], v[105:106], v[107:108]
	v_div_fmas_f64 v[101:102], v[101:102], v[103:104], v[105:106]
	v_div_fixup_f64 v[101:102], v[101:102], v[88:89], v[86:87]
	v_fma_f64 v[86:87], v[86:87], v[101:102], v[88:89]
	v_div_scale_f64 v[88:89], null, v[86:87], v[86:87], 1.0
	v_rcp_f64_e32 v[103:104], v[88:89]
	v_fma_f64 v[105:106], -v[88:89], v[103:104], 1.0
	v_fma_f64 v[103:104], v[103:104], v[105:106], v[103:104]
	v_fma_f64 v[105:106], -v[88:89], v[103:104], 1.0
	v_fma_f64 v[103:104], v[103:104], v[105:106], v[103:104]
	v_div_scale_f64 v[105:106], vcc_lo, 1.0, v[86:87], 1.0
	v_mul_f64 v[107:108], v[105:106], v[103:104]
	v_fma_f64 v[88:89], -v[88:89], v[107:108], v[105:106]
	v_div_fmas_f64 v[88:89], v[88:89], v[103:104], v[107:108]
	v_div_fixup_f64 v[88:89], v[88:89], v[86:87], 1.0
	v_mul_f64 v[86:87], v[101:102], v[88:89]
	v_xor_b32_e32 v89, 0x80000000, v89
.LBB40_343:
	s_andn2_saveexec_b32 s1, s1
	s_cbranch_execz .LBB40_345
; %bb.344:
	v_div_scale_f64 v[101:102], null, v[86:87], v[86:87], v[88:89]
	v_div_scale_f64 v[107:108], vcc_lo, v[88:89], v[86:87], v[88:89]
	v_rcp_f64_e32 v[103:104], v[101:102]
	v_fma_f64 v[105:106], -v[101:102], v[103:104], 1.0
	v_fma_f64 v[103:104], v[103:104], v[105:106], v[103:104]
	v_fma_f64 v[105:106], -v[101:102], v[103:104], 1.0
	v_fma_f64 v[103:104], v[103:104], v[105:106], v[103:104]
	v_mul_f64 v[105:106], v[107:108], v[103:104]
	v_fma_f64 v[101:102], -v[101:102], v[105:106], v[107:108]
	v_div_fmas_f64 v[101:102], v[101:102], v[103:104], v[105:106]
	v_div_fixup_f64 v[101:102], v[101:102], v[86:87], v[88:89]
	v_fma_f64 v[86:87], v[88:89], v[101:102], v[86:87]
	v_div_scale_f64 v[88:89], null, v[86:87], v[86:87], 1.0
	v_rcp_f64_e32 v[103:104], v[88:89]
	v_fma_f64 v[105:106], -v[88:89], v[103:104], 1.0
	v_fma_f64 v[103:104], v[103:104], v[105:106], v[103:104]
	v_fma_f64 v[105:106], -v[88:89], v[103:104], 1.0
	v_fma_f64 v[103:104], v[103:104], v[105:106], v[103:104]
	v_div_scale_f64 v[105:106], vcc_lo, 1.0, v[86:87], 1.0
	v_mul_f64 v[107:108], v[105:106], v[103:104]
	v_fma_f64 v[88:89], -v[88:89], v[107:108], v[105:106]
	v_div_fmas_f64 v[88:89], v[88:89], v[103:104], v[107:108]
	v_div_fixup_f64 v[86:87], v[88:89], v[86:87], 1.0
	v_mul_f64 v[88:89], v[101:102], -v[86:87]
.LBB40_345:
	s_or_b32 exec_lo, exec_lo, s1
.LBB40_346:
	s_or_b32 exec_lo, exec_lo, s0
	s_mov_b32 s0, exec_lo
	v_cmpx_ne_u32_e64 v100, v94
	s_xor_b32 s0, exec_lo, s0
	s_cbranch_execz .LBB40_352
; %bb.347:
	s_mov_b32 s1, exec_lo
	v_cmpx_eq_u32_e32 16, v100
	s_cbranch_execz .LBB40_351
; %bb.348:
	v_cmp_ne_u32_e32 vcc_lo, 16, v94
	s_xor_b32 s2, s16, -1
	s_and_b32 s3, s2, vcc_lo
	s_and_saveexec_b32 s2, s3
	s_cbranch_execz .LBB40_350
; %bb.349:
	v_ashrrev_i32_e32 v95, 31, v94
	v_lshlrev_b64 v[100:101], 2, v[94:95]
	v_add_co_u32 v100, vcc_lo, v92, v100
	v_add_co_ci_u32_e64 v101, null, v93, v101, vcc_lo
	s_clause 0x1
	global_load_dword v0, v[100:101], off
	global_load_dword v95, v[92:93], off offset:64
	s_waitcnt vmcnt(1)
	global_store_dword v[92:93], v0, off offset:64
	s_waitcnt vmcnt(0)
	global_store_dword v[100:101], v95, off
.LBB40_350:
	s_or_b32 exec_lo, exec_lo, s2
	v_mov_b32_e32 v100, v94
	v_mov_b32_e32 v0, v94
.LBB40_351:
	s_or_b32 exec_lo, exec_lo, s1
.LBB40_352:
	s_andn2_saveexec_b32 s0, s0
	s_cbranch_execz .LBB40_354
; %bb.353:
	v_mov_b32_e32 v100, 16
	ds_write2_b64 v1, v[14:15], v[16:17] offset0:34 offset1:35
	ds_write2_b64 v1, v[10:11], v[12:13] offset0:36 offset1:37
	;; [unrolled: 1-line block ×4, first 2 shown]
.LBB40_354:
	s_or_b32 exec_lo, exec_lo, s0
	s_mov_b32 s0, exec_lo
	s_waitcnt lgkmcnt(0)
	s_waitcnt_vscnt null, 0x0
	s_barrier
	buffer_gl0_inv
	v_cmpx_lt_i32_e32 16, v100
	s_cbranch_execz .LBB40_356
; %bb.355:
	v_mul_f64 v[94:95], v[86:87], v[20:21]
	v_mul_f64 v[20:21], v[88:89], v[20:21]
	v_fma_f64 v[94:95], v[88:89], v[18:19], v[94:95]
	v_fma_f64 v[18:19], v[86:87], v[18:19], -v[20:21]
	ds_read2_b64 v[86:89], v1 offset0:34 offset1:35
	s_waitcnt lgkmcnt(0)
	v_mul_f64 v[20:21], v[88:89], v[94:95]
	v_fma_f64 v[20:21], v[86:87], v[18:19], -v[20:21]
	v_mul_f64 v[86:87], v[86:87], v[94:95]
	v_add_f64 v[14:15], v[14:15], -v[20:21]
	v_fma_f64 v[86:87], v[88:89], v[18:19], v[86:87]
	v_add_f64 v[16:17], v[16:17], -v[86:87]
	ds_read2_b64 v[86:89], v1 offset0:36 offset1:37
	s_waitcnt lgkmcnt(0)
	v_mul_f64 v[20:21], v[88:89], v[94:95]
	v_fma_f64 v[20:21], v[86:87], v[18:19], -v[20:21]
	v_mul_f64 v[86:87], v[86:87], v[94:95]
	v_add_f64 v[10:11], v[10:11], -v[20:21]
	v_fma_f64 v[86:87], v[88:89], v[18:19], v[86:87]
	v_add_f64 v[12:13], v[12:13], -v[86:87]
	;; [unrolled: 8-line block ×3, first 2 shown]
	ds_read2_b64 v[86:89], v1 offset0:40 offset1:41
	s_waitcnt lgkmcnt(0)
	v_mul_f64 v[20:21], v[88:89], v[94:95]
	v_fma_f64 v[20:21], v[86:87], v[18:19], -v[20:21]
	v_mul_f64 v[86:87], v[86:87], v[94:95]
	v_add_f64 v[2:3], v[2:3], -v[20:21]
	v_fma_f64 v[86:87], v[88:89], v[18:19], v[86:87]
	v_mov_b32_e32 v20, v94
	v_mov_b32_e32 v21, v95
	v_add_f64 v[4:5], v[4:5], -v[86:87]
.LBB40_356:
	s_or_b32 exec_lo, exec_lo, s0
	v_lshl_add_u32 v86, v100, 4, v1
	s_barrier
	buffer_gl0_inv
	v_mov_b32_e32 v94, 17
	ds_write2_b64 v86, v[14:15], v[16:17] offset1:1
	s_waitcnt lgkmcnt(0)
	s_barrier
	buffer_gl0_inv
	ds_read2_b64 v[86:89], v1 offset0:34 offset1:35
	s_cmp_lt_i32 s18, 19
	s_cbranch_scc1 .LBB40_359
; %bb.357:
	v_add3_u32 v95, v96, 0, 0x120
	v_mov_b32_e32 v94, 17
	s_mov_b32 s1, 18
	s_inst_prefetch 0x1
	.p2align	6
.LBB40_358:                             ; =>This Inner Loop Header: Depth=1
	s_waitcnt lgkmcnt(0)
	v_cmp_gt_f64_e32 vcc_lo, 0, v[88:89]
	v_cmp_gt_f64_e64 s0, 0, v[86:87]
	ds_read2_b64 v[101:104], v95 offset1:1
	v_xor_b32_e32 v106, 0x80000000, v87
	v_xor_b32_e32 v108, 0x80000000, v89
	v_mov_b32_e32 v105, v86
	v_mov_b32_e32 v107, v88
	v_add_nc_u32_e32 v95, 16, v95
	s_waitcnt lgkmcnt(0)
	v_xor_b32_e32 v110, 0x80000000, v104
	v_cndmask_b32_e64 v106, v87, v106, s0
	v_cndmask_b32_e32 v108, v89, v108, vcc_lo
	v_cmp_gt_f64_e32 vcc_lo, 0, v[103:104]
	v_cmp_gt_f64_e64 s0, 0, v[101:102]
	v_mov_b32_e32 v109, v103
	v_add_f64 v[105:106], v[105:106], v[107:108]
	v_xor_b32_e32 v108, 0x80000000, v102
	v_mov_b32_e32 v107, v101
	v_cndmask_b32_e32 v110, v104, v110, vcc_lo
	v_cndmask_b32_e64 v108, v102, v108, s0
	v_add_f64 v[107:108], v[107:108], v[109:110]
	v_cmp_lt_f64_e32 vcc_lo, v[105:106], v[107:108]
	v_cndmask_b32_e32 v87, v87, v102, vcc_lo
	v_cndmask_b32_e32 v86, v86, v101, vcc_lo
	;; [unrolled: 1-line block ×4, first 2 shown]
	v_cndmask_b32_e64 v94, v94, s1, vcc_lo
	s_add_i32 s1, s1, 1
	s_cmp_lg_u32 s18, s1
	s_cbranch_scc1 .LBB40_358
.LBB40_359:
	s_inst_prefetch 0x2
	s_waitcnt lgkmcnt(0)
	v_cmp_eq_f64_e32 vcc_lo, 0, v[86:87]
	v_cmp_eq_f64_e64 s0, 0, v[88:89]
	s_and_b32 s0, vcc_lo, s0
	s_and_saveexec_b32 s1, s0
	s_xor_b32 s0, exec_lo, s1
; %bb.360:
	v_cmp_ne_u32_e32 vcc_lo, 0, v99
	v_cndmask_b32_e32 v99, 18, v99, vcc_lo
; %bb.361:
	s_andn2_saveexec_b32 s0, s0
	s_cbranch_execz .LBB40_367
; %bb.362:
	v_cmp_ngt_f64_e64 s1, |v[86:87]|, |v[88:89]|
	s_and_saveexec_b32 s2, s1
	s_xor_b32 s1, exec_lo, s2
	s_cbranch_execz .LBB40_364
; %bb.363:
	v_div_scale_f64 v[101:102], null, v[88:89], v[88:89], v[86:87]
	v_div_scale_f64 v[107:108], vcc_lo, v[86:87], v[88:89], v[86:87]
	v_rcp_f64_e32 v[103:104], v[101:102]
	v_fma_f64 v[105:106], -v[101:102], v[103:104], 1.0
	v_fma_f64 v[103:104], v[103:104], v[105:106], v[103:104]
	v_fma_f64 v[105:106], -v[101:102], v[103:104], 1.0
	v_fma_f64 v[103:104], v[103:104], v[105:106], v[103:104]
	v_mul_f64 v[105:106], v[107:108], v[103:104]
	v_fma_f64 v[101:102], -v[101:102], v[105:106], v[107:108]
	v_div_fmas_f64 v[101:102], v[101:102], v[103:104], v[105:106]
	v_div_fixup_f64 v[101:102], v[101:102], v[88:89], v[86:87]
	v_fma_f64 v[86:87], v[86:87], v[101:102], v[88:89]
	v_div_scale_f64 v[88:89], null, v[86:87], v[86:87], 1.0
	v_rcp_f64_e32 v[103:104], v[88:89]
	v_fma_f64 v[105:106], -v[88:89], v[103:104], 1.0
	v_fma_f64 v[103:104], v[103:104], v[105:106], v[103:104]
	v_fma_f64 v[105:106], -v[88:89], v[103:104], 1.0
	v_fma_f64 v[103:104], v[103:104], v[105:106], v[103:104]
	v_div_scale_f64 v[105:106], vcc_lo, 1.0, v[86:87], 1.0
	v_mul_f64 v[107:108], v[105:106], v[103:104]
	v_fma_f64 v[88:89], -v[88:89], v[107:108], v[105:106]
	v_div_fmas_f64 v[88:89], v[88:89], v[103:104], v[107:108]
	v_div_fixup_f64 v[88:89], v[88:89], v[86:87], 1.0
	v_mul_f64 v[86:87], v[101:102], v[88:89]
	v_xor_b32_e32 v89, 0x80000000, v89
.LBB40_364:
	s_andn2_saveexec_b32 s1, s1
	s_cbranch_execz .LBB40_366
; %bb.365:
	v_div_scale_f64 v[101:102], null, v[86:87], v[86:87], v[88:89]
	v_div_scale_f64 v[107:108], vcc_lo, v[88:89], v[86:87], v[88:89]
	v_rcp_f64_e32 v[103:104], v[101:102]
	v_fma_f64 v[105:106], -v[101:102], v[103:104], 1.0
	v_fma_f64 v[103:104], v[103:104], v[105:106], v[103:104]
	v_fma_f64 v[105:106], -v[101:102], v[103:104], 1.0
	v_fma_f64 v[103:104], v[103:104], v[105:106], v[103:104]
	v_mul_f64 v[105:106], v[107:108], v[103:104]
	v_fma_f64 v[101:102], -v[101:102], v[105:106], v[107:108]
	v_div_fmas_f64 v[101:102], v[101:102], v[103:104], v[105:106]
	v_div_fixup_f64 v[101:102], v[101:102], v[86:87], v[88:89]
	v_fma_f64 v[86:87], v[88:89], v[101:102], v[86:87]
	v_div_scale_f64 v[88:89], null, v[86:87], v[86:87], 1.0
	v_rcp_f64_e32 v[103:104], v[88:89]
	v_fma_f64 v[105:106], -v[88:89], v[103:104], 1.0
	v_fma_f64 v[103:104], v[103:104], v[105:106], v[103:104]
	v_fma_f64 v[105:106], -v[88:89], v[103:104], 1.0
	v_fma_f64 v[103:104], v[103:104], v[105:106], v[103:104]
	v_div_scale_f64 v[105:106], vcc_lo, 1.0, v[86:87], 1.0
	v_mul_f64 v[107:108], v[105:106], v[103:104]
	v_fma_f64 v[88:89], -v[88:89], v[107:108], v[105:106]
	v_div_fmas_f64 v[88:89], v[88:89], v[103:104], v[107:108]
	v_div_fixup_f64 v[86:87], v[88:89], v[86:87], 1.0
	v_mul_f64 v[88:89], v[101:102], -v[86:87]
.LBB40_366:
	s_or_b32 exec_lo, exec_lo, s1
.LBB40_367:
	s_or_b32 exec_lo, exec_lo, s0
	s_mov_b32 s0, exec_lo
	v_cmpx_ne_u32_e64 v100, v94
	s_xor_b32 s0, exec_lo, s0
	s_cbranch_execz .LBB40_373
; %bb.368:
	s_mov_b32 s1, exec_lo
	v_cmpx_eq_u32_e32 17, v100
	s_cbranch_execz .LBB40_372
; %bb.369:
	v_cmp_ne_u32_e32 vcc_lo, 17, v94
	s_xor_b32 s2, s16, -1
	s_and_b32 s3, s2, vcc_lo
	s_and_saveexec_b32 s2, s3
	s_cbranch_execz .LBB40_371
; %bb.370:
	v_ashrrev_i32_e32 v95, 31, v94
	v_lshlrev_b64 v[100:101], 2, v[94:95]
	v_add_co_u32 v100, vcc_lo, v92, v100
	v_add_co_ci_u32_e64 v101, null, v93, v101, vcc_lo
	s_clause 0x1
	global_load_dword v0, v[100:101], off
	global_load_dword v95, v[92:93], off offset:68
	s_waitcnt vmcnt(1)
	global_store_dword v[92:93], v0, off offset:68
	s_waitcnt vmcnt(0)
	global_store_dword v[100:101], v95, off
.LBB40_371:
	s_or_b32 exec_lo, exec_lo, s2
	v_mov_b32_e32 v100, v94
	v_mov_b32_e32 v0, v94
.LBB40_372:
	s_or_b32 exec_lo, exec_lo, s1
.LBB40_373:
	s_andn2_saveexec_b32 s0, s0
	s_cbranch_execz .LBB40_375
; %bb.374:
	v_mov_b32_e32 v100, 17
	ds_write2_b64 v1, v[10:11], v[12:13] offset0:36 offset1:37
	ds_write2_b64 v1, v[6:7], v[8:9] offset0:38 offset1:39
	;; [unrolled: 1-line block ×3, first 2 shown]
.LBB40_375:
	s_or_b32 exec_lo, exec_lo, s0
	s_mov_b32 s0, exec_lo
	s_waitcnt lgkmcnt(0)
	s_waitcnt_vscnt null, 0x0
	s_barrier
	buffer_gl0_inv
	v_cmpx_lt_i32_e32 17, v100
	s_cbranch_execz .LBB40_377
; %bb.376:
	v_mul_f64 v[94:95], v[86:87], v[16:17]
	v_mul_f64 v[16:17], v[88:89], v[16:17]
	ds_read2_b64 v[101:104], v1 offset0:36 offset1:37
	ds_read2_b64 v[105:108], v1 offset0:38 offset1:39
	;; [unrolled: 1-line block ×3, first 2 shown]
	v_fma_f64 v[88:89], v[88:89], v[14:15], v[94:95]
	v_fma_f64 v[14:15], v[86:87], v[14:15], -v[16:17]
	s_waitcnt lgkmcnt(2)
	v_mul_f64 v[16:17], v[103:104], v[88:89]
	v_mul_f64 v[86:87], v[101:102], v[88:89]
	s_waitcnt lgkmcnt(1)
	v_mul_f64 v[94:95], v[107:108], v[88:89]
	v_mul_f64 v[113:114], v[105:106], v[88:89]
	;; [unrolled: 3-line block ×3, first 2 shown]
	v_fma_f64 v[16:17], v[101:102], v[14:15], -v[16:17]
	v_fma_f64 v[86:87], v[103:104], v[14:15], v[86:87]
	v_fma_f64 v[94:95], v[105:106], v[14:15], -v[94:95]
	v_fma_f64 v[101:102], v[107:108], v[14:15], v[113:114]
	v_fma_f64 v[103:104], v[109:110], v[14:15], -v[115:116]
	v_fma_f64 v[105:106], v[111:112], v[14:15], v[117:118]
	v_add_f64 v[10:11], v[10:11], -v[16:17]
	v_add_f64 v[12:13], v[12:13], -v[86:87]
	;; [unrolled: 1-line block ×6, first 2 shown]
	v_mov_b32_e32 v16, v88
	v_mov_b32_e32 v17, v89
.LBB40_377:
	s_or_b32 exec_lo, exec_lo, s0
	v_lshl_add_u32 v86, v100, 4, v1
	s_barrier
	buffer_gl0_inv
	v_mov_b32_e32 v94, 18
	ds_write2_b64 v86, v[10:11], v[12:13] offset1:1
	s_waitcnt lgkmcnt(0)
	s_barrier
	buffer_gl0_inv
	ds_read2_b64 v[86:89], v1 offset0:36 offset1:37
	s_cmp_lt_i32 s18, 20
	s_cbranch_scc1 .LBB40_380
; %bb.378:
	v_add3_u32 v95, v96, 0, 0x130
	v_mov_b32_e32 v94, 18
	s_mov_b32 s1, 19
	s_inst_prefetch 0x1
	.p2align	6
.LBB40_379:                             ; =>This Inner Loop Header: Depth=1
	s_waitcnt lgkmcnt(0)
	v_cmp_gt_f64_e32 vcc_lo, 0, v[88:89]
	v_cmp_gt_f64_e64 s0, 0, v[86:87]
	ds_read2_b64 v[101:104], v95 offset1:1
	v_xor_b32_e32 v106, 0x80000000, v87
	v_xor_b32_e32 v108, 0x80000000, v89
	v_mov_b32_e32 v105, v86
	v_mov_b32_e32 v107, v88
	v_add_nc_u32_e32 v95, 16, v95
	s_waitcnt lgkmcnt(0)
	v_xor_b32_e32 v110, 0x80000000, v104
	v_cndmask_b32_e64 v106, v87, v106, s0
	v_cndmask_b32_e32 v108, v89, v108, vcc_lo
	v_cmp_gt_f64_e32 vcc_lo, 0, v[103:104]
	v_cmp_gt_f64_e64 s0, 0, v[101:102]
	v_mov_b32_e32 v109, v103
	v_add_f64 v[105:106], v[105:106], v[107:108]
	v_xor_b32_e32 v108, 0x80000000, v102
	v_mov_b32_e32 v107, v101
	v_cndmask_b32_e32 v110, v104, v110, vcc_lo
	v_cndmask_b32_e64 v108, v102, v108, s0
	v_add_f64 v[107:108], v[107:108], v[109:110]
	v_cmp_lt_f64_e32 vcc_lo, v[105:106], v[107:108]
	v_cndmask_b32_e32 v87, v87, v102, vcc_lo
	v_cndmask_b32_e32 v86, v86, v101, vcc_lo
	;; [unrolled: 1-line block ×4, first 2 shown]
	v_cndmask_b32_e64 v94, v94, s1, vcc_lo
	s_add_i32 s1, s1, 1
	s_cmp_lg_u32 s18, s1
	s_cbranch_scc1 .LBB40_379
.LBB40_380:
	s_inst_prefetch 0x2
	s_waitcnt lgkmcnt(0)
	v_cmp_eq_f64_e32 vcc_lo, 0, v[86:87]
	v_cmp_eq_f64_e64 s0, 0, v[88:89]
	s_and_b32 s0, vcc_lo, s0
	s_and_saveexec_b32 s1, s0
	s_xor_b32 s0, exec_lo, s1
; %bb.381:
	v_cmp_ne_u32_e32 vcc_lo, 0, v99
	v_cndmask_b32_e32 v99, 19, v99, vcc_lo
; %bb.382:
	s_andn2_saveexec_b32 s0, s0
	s_cbranch_execz .LBB40_388
; %bb.383:
	v_cmp_ngt_f64_e64 s1, |v[86:87]|, |v[88:89]|
	s_and_saveexec_b32 s2, s1
	s_xor_b32 s1, exec_lo, s2
	s_cbranch_execz .LBB40_385
; %bb.384:
	v_div_scale_f64 v[101:102], null, v[88:89], v[88:89], v[86:87]
	v_div_scale_f64 v[107:108], vcc_lo, v[86:87], v[88:89], v[86:87]
	v_rcp_f64_e32 v[103:104], v[101:102]
	v_fma_f64 v[105:106], -v[101:102], v[103:104], 1.0
	v_fma_f64 v[103:104], v[103:104], v[105:106], v[103:104]
	v_fma_f64 v[105:106], -v[101:102], v[103:104], 1.0
	v_fma_f64 v[103:104], v[103:104], v[105:106], v[103:104]
	v_mul_f64 v[105:106], v[107:108], v[103:104]
	v_fma_f64 v[101:102], -v[101:102], v[105:106], v[107:108]
	v_div_fmas_f64 v[101:102], v[101:102], v[103:104], v[105:106]
	v_div_fixup_f64 v[101:102], v[101:102], v[88:89], v[86:87]
	v_fma_f64 v[86:87], v[86:87], v[101:102], v[88:89]
	v_div_scale_f64 v[88:89], null, v[86:87], v[86:87], 1.0
	v_rcp_f64_e32 v[103:104], v[88:89]
	v_fma_f64 v[105:106], -v[88:89], v[103:104], 1.0
	v_fma_f64 v[103:104], v[103:104], v[105:106], v[103:104]
	v_fma_f64 v[105:106], -v[88:89], v[103:104], 1.0
	v_fma_f64 v[103:104], v[103:104], v[105:106], v[103:104]
	v_div_scale_f64 v[105:106], vcc_lo, 1.0, v[86:87], 1.0
	v_mul_f64 v[107:108], v[105:106], v[103:104]
	v_fma_f64 v[88:89], -v[88:89], v[107:108], v[105:106]
	v_div_fmas_f64 v[88:89], v[88:89], v[103:104], v[107:108]
	v_div_fixup_f64 v[88:89], v[88:89], v[86:87], 1.0
	v_mul_f64 v[86:87], v[101:102], v[88:89]
	v_xor_b32_e32 v89, 0x80000000, v89
.LBB40_385:
	s_andn2_saveexec_b32 s1, s1
	s_cbranch_execz .LBB40_387
; %bb.386:
	v_div_scale_f64 v[101:102], null, v[86:87], v[86:87], v[88:89]
	v_div_scale_f64 v[107:108], vcc_lo, v[88:89], v[86:87], v[88:89]
	v_rcp_f64_e32 v[103:104], v[101:102]
	v_fma_f64 v[105:106], -v[101:102], v[103:104], 1.0
	v_fma_f64 v[103:104], v[103:104], v[105:106], v[103:104]
	v_fma_f64 v[105:106], -v[101:102], v[103:104], 1.0
	v_fma_f64 v[103:104], v[103:104], v[105:106], v[103:104]
	v_mul_f64 v[105:106], v[107:108], v[103:104]
	v_fma_f64 v[101:102], -v[101:102], v[105:106], v[107:108]
	v_div_fmas_f64 v[101:102], v[101:102], v[103:104], v[105:106]
	v_div_fixup_f64 v[101:102], v[101:102], v[86:87], v[88:89]
	v_fma_f64 v[86:87], v[88:89], v[101:102], v[86:87]
	v_div_scale_f64 v[88:89], null, v[86:87], v[86:87], 1.0
	v_rcp_f64_e32 v[103:104], v[88:89]
	v_fma_f64 v[105:106], -v[88:89], v[103:104], 1.0
	v_fma_f64 v[103:104], v[103:104], v[105:106], v[103:104]
	v_fma_f64 v[105:106], -v[88:89], v[103:104], 1.0
	v_fma_f64 v[103:104], v[103:104], v[105:106], v[103:104]
	v_div_scale_f64 v[105:106], vcc_lo, 1.0, v[86:87], 1.0
	v_mul_f64 v[107:108], v[105:106], v[103:104]
	v_fma_f64 v[88:89], -v[88:89], v[107:108], v[105:106]
	v_div_fmas_f64 v[88:89], v[88:89], v[103:104], v[107:108]
	v_div_fixup_f64 v[86:87], v[88:89], v[86:87], 1.0
	v_mul_f64 v[88:89], v[101:102], -v[86:87]
.LBB40_387:
	s_or_b32 exec_lo, exec_lo, s1
.LBB40_388:
	s_or_b32 exec_lo, exec_lo, s0
	s_mov_b32 s0, exec_lo
	v_cmpx_ne_u32_e64 v100, v94
	s_xor_b32 s0, exec_lo, s0
	s_cbranch_execz .LBB40_394
; %bb.389:
	s_mov_b32 s1, exec_lo
	v_cmpx_eq_u32_e32 18, v100
	s_cbranch_execz .LBB40_393
; %bb.390:
	v_cmp_ne_u32_e32 vcc_lo, 18, v94
	s_xor_b32 s2, s16, -1
	s_and_b32 s3, s2, vcc_lo
	s_and_saveexec_b32 s2, s3
	s_cbranch_execz .LBB40_392
; %bb.391:
	v_ashrrev_i32_e32 v95, 31, v94
	v_lshlrev_b64 v[100:101], 2, v[94:95]
	v_add_co_u32 v100, vcc_lo, v92, v100
	v_add_co_ci_u32_e64 v101, null, v93, v101, vcc_lo
	s_clause 0x1
	global_load_dword v0, v[100:101], off
	global_load_dword v95, v[92:93], off offset:72
	s_waitcnt vmcnt(1)
	global_store_dword v[92:93], v0, off offset:72
	s_waitcnt vmcnt(0)
	global_store_dword v[100:101], v95, off
.LBB40_392:
	s_or_b32 exec_lo, exec_lo, s2
	v_mov_b32_e32 v100, v94
	v_mov_b32_e32 v0, v94
.LBB40_393:
	s_or_b32 exec_lo, exec_lo, s1
.LBB40_394:
	s_andn2_saveexec_b32 s0, s0
	s_cbranch_execz .LBB40_396
; %bb.395:
	v_mov_b32_e32 v100, 18
	ds_write2_b64 v1, v[6:7], v[8:9] offset0:38 offset1:39
	ds_write2_b64 v1, v[2:3], v[4:5] offset0:40 offset1:41
.LBB40_396:
	s_or_b32 exec_lo, exec_lo, s0
	s_mov_b32 s0, exec_lo
	s_waitcnt lgkmcnt(0)
	s_waitcnt_vscnt null, 0x0
	s_barrier
	buffer_gl0_inv
	v_cmpx_lt_i32_e32 18, v100
	s_cbranch_execz .LBB40_398
; %bb.397:
	v_mul_f64 v[94:95], v[86:87], v[12:13]
	v_mul_f64 v[12:13], v[88:89], v[12:13]
	ds_read2_b64 v[101:104], v1 offset0:38 offset1:39
	ds_read2_b64 v[105:108], v1 offset0:40 offset1:41
	v_fma_f64 v[88:89], v[88:89], v[10:11], v[94:95]
	v_fma_f64 v[10:11], v[86:87], v[10:11], -v[12:13]
	s_waitcnt lgkmcnt(1)
	v_mul_f64 v[12:13], v[103:104], v[88:89]
	v_mul_f64 v[86:87], v[101:102], v[88:89]
	s_waitcnt lgkmcnt(0)
	v_mul_f64 v[94:95], v[107:108], v[88:89]
	v_mul_f64 v[109:110], v[105:106], v[88:89]
	v_fma_f64 v[12:13], v[101:102], v[10:11], -v[12:13]
	v_fma_f64 v[86:87], v[103:104], v[10:11], v[86:87]
	v_fma_f64 v[94:95], v[105:106], v[10:11], -v[94:95]
	v_fma_f64 v[101:102], v[107:108], v[10:11], v[109:110]
	v_add_f64 v[6:7], v[6:7], -v[12:13]
	v_add_f64 v[8:9], v[8:9], -v[86:87]
	;; [unrolled: 1-line block ×4, first 2 shown]
	v_mov_b32_e32 v12, v88
	v_mov_b32_e32 v13, v89
.LBB40_398:
	s_or_b32 exec_lo, exec_lo, s0
	v_lshl_add_u32 v86, v100, 4, v1
	s_barrier
	buffer_gl0_inv
	v_mov_b32_e32 v94, 19
	ds_write2_b64 v86, v[6:7], v[8:9] offset1:1
	s_waitcnt lgkmcnt(0)
	s_barrier
	buffer_gl0_inv
	ds_read2_b64 v[86:89], v1 offset0:38 offset1:39
	s_cmp_lt_i32 s18, 21
	s_cbranch_scc1 .LBB40_401
; %bb.399:
	v_add3_u32 v95, v96, 0, 0x140
	v_mov_b32_e32 v94, 19
	s_mov_b32 s1, 20
	s_inst_prefetch 0x1
	.p2align	6
.LBB40_400:                             ; =>This Inner Loop Header: Depth=1
	s_waitcnt lgkmcnt(0)
	v_cmp_gt_f64_e32 vcc_lo, 0, v[88:89]
	v_cmp_gt_f64_e64 s0, 0, v[86:87]
	ds_read2_b64 v[101:104], v95 offset1:1
	v_xor_b32_e32 v106, 0x80000000, v87
	v_xor_b32_e32 v108, 0x80000000, v89
	v_mov_b32_e32 v105, v86
	v_mov_b32_e32 v107, v88
	v_add_nc_u32_e32 v95, 16, v95
	s_waitcnt lgkmcnt(0)
	v_xor_b32_e32 v110, 0x80000000, v104
	v_cndmask_b32_e64 v106, v87, v106, s0
	v_cndmask_b32_e32 v108, v89, v108, vcc_lo
	v_cmp_gt_f64_e32 vcc_lo, 0, v[103:104]
	v_cmp_gt_f64_e64 s0, 0, v[101:102]
	v_mov_b32_e32 v109, v103
	v_add_f64 v[105:106], v[105:106], v[107:108]
	v_xor_b32_e32 v108, 0x80000000, v102
	v_mov_b32_e32 v107, v101
	v_cndmask_b32_e32 v110, v104, v110, vcc_lo
	v_cndmask_b32_e64 v108, v102, v108, s0
	v_add_f64 v[107:108], v[107:108], v[109:110]
	v_cmp_lt_f64_e32 vcc_lo, v[105:106], v[107:108]
	v_cndmask_b32_e32 v87, v87, v102, vcc_lo
	v_cndmask_b32_e32 v86, v86, v101, vcc_lo
	;; [unrolled: 1-line block ×4, first 2 shown]
	v_cndmask_b32_e64 v94, v94, s1, vcc_lo
	s_add_i32 s1, s1, 1
	s_cmp_lg_u32 s18, s1
	s_cbranch_scc1 .LBB40_400
.LBB40_401:
	s_inst_prefetch 0x2
	s_waitcnt lgkmcnt(0)
	v_cmp_eq_f64_e32 vcc_lo, 0, v[86:87]
	v_cmp_eq_f64_e64 s0, 0, v[88:89]
	s_and_b32 s0, vcc_lo, s0
	s_and_saveexec_b32 s1, s0
	s_xor_b32 s0, exec_lo, s1
; %bb.402:
	v_cmp_ne_u32_e32 vcc_lo, 0, v99
	v_cndmask_b32_e32 v99, 20, v99, vcc_lo
; %bb.403:
	s_andn2_saveexec_b32 s0, s0
	s_cbranch_execz .LBB40_409
; %bb.404:
	v_cmp_ngt_f64_e64 s1, |v[86:87]|, |v[88:89]|
	s_and_saveexec_b32 s2, s1
	s_xor_b32 s1, exec_lo, s2
	s_cbranch_execz .LBB40_406
; %bb.405:
	v_div_scale_f64 v[101:102], null, v[88:89], v[88:89], v[86:87]
	v_div_scale_f64 v[107:108], vcc_lo, v[86:87], v[88:89], v[86:87]
	v_rcp_f64_e32 v[103:104], v[101:102]
	v_fma_f64 v[105:106], -v[101:102], v[103:104], 1.0
	v_fma_f64 v[103:104], v[103:104], v[105:106], v[103:104]
	v_fma_f64 v[105:106], -v[101:102], v[103:104], 1.0
	v_fma_f64 v[103:104], v[103:104], v[105:106], v[103:104]
	v_mul_f64 v[105:106], v[107:108], v[103:104]
	v_fma_f64 v[101:102], -v[101:102], v[105:106], v[107:108]
	v_div_fmas_f64 v[101:102], v[101:102], v[103:104], v[105:106]
	v_div_fixup_f64 v[101:102], v[101:102], v[88:89], v[86:87]
	v_fma_f64 v[86:87], v[86:87], v[101:102], v[88:89]
	v_div_scale_f64 v[88:89], null, v[86:87], v[86:87], 1.0
	v_rcp_f64_e32 v[103:104], v[88:89]
	v_fma_f64 v[105:106], -v[88:89], v[103:104], 1.0
	v_fma_f64 v[103:104], v[103:104], v[105:106], v[103:104]
	v_fma_f64 v[105:106], -v[88:89], v[103:104], 1.0
	v_fma_f64 v[103:104], v[103:104], v[105:106], v[103:104]
	v_div_scale_f64 v[105:106], vcc_lo, 1.0, v[86:87], 1.0
	v_mul_f64 v[107:108], v[105:106], v[103:104]
	v_fma_f64 v[88:89], -v[88:89], v[107:108], v[105:106]
	v_div_fmas_f64 v[88:89], v[88:89], v[103:104], v[107:108]
	v_div_fixup_f64 v[88:89], v[88:89], v[86:87], 1.0
	v_mul_f64 v[86:87], v[101:102], v[88:89]
	v_xor_b32_e32 v89, 0x80000000, v89
.LBB40_406:
	s_andn2_saveexec_b32 s1, s1
	s_cbranch_execz .LBB40_408
; %bb.407:
	v_div_scale_f64 v[101:102], null, v[86:87], v[86:87], v[88:89]
	v_div_scale_f64 v[107:108], vcc_lo, v[88:89], v[86:87], v[88:89]
	v_rcp_f64_e32 v[103:104], v[101:102]
	v_fma_f64 v[105:106], -v[101:102], v[103:104], 1.0
	v_fma_f64 v[103:104], v[103:104], v[105:106], v[103:104]
	v_fma_f64 v[105:106], -v[101:102], v[103:104], 1.0
	v_fma_f64 v[103:104], v[103:104], v[105:106], v[103:104]
	v_mul_f64 v[105:106], v[107:108], v[103:104]
	v_fma_f64 v[101:102], -v[101:102], v[105:106], v[107:108]
	v_div_fmas_f64 v[101:102], v[101:102], v[103:104], v[105:106]
	v_div_fixup_f64 v[101:102], v[101:102], v[86:87], v[88:89]
	v_fma_f64 v[86:87], v[88:89], v[101:102], v[86:87]
	v_div_scale_f64 v[88:89], null, v[86:87], v[86:87], 1.0
	v_rcp_f64_e32 v[103:104], v[88:89]
	v_fma_f64 v[105:106], -v[88:89], v[103:104], 1.0
	v_fma_f64 v[103:104], v[103:104], v[105:106], v[103:104]
	v_fma_f64 v[105:106], -v[88:89], v[103:104], 1.0
	v_fma_f64 v[103:104], v[103:104], v[105:106], v[103:104]
	v_div_scale_f64 v[105:106], vcc_lo, 1.0, v[86:87], 1.0
	v_mul_f64 v[107:108], v[105:106], v[103:104]
	v_fma_f64 v[88:89], -v[88:89], v[107:108], v[105:106]
	v_div_fmas_f64 v[88:89], v[88:89], v[103:104], v[107:108]
	v_div_fixup_f64 v[86:87], v[88:89], v[86:87], 1.0
	v_mul_f64 v[88:89], v[101:102], -v[86:87]
.LBB40_408:
	s_or_b32 exec_lo, exec_lo, s1
.LBB40_409:
	s_or_b32 exec_lo, exec_lo, s0
	s_mov_b32 s0, exec_lo
	v_cmpx_ne_u32_e64 v100, v94
	s_xor_b32 s0, exec_lo, s0
	s_cbranch_execz .LBB40_415
; %bb.410:
	s_mov_b32 s1, exec_lo
	v_cmpx_eq_u32_e32 19, v100
	s_cbranch_execz .LBB40_414
; %bb.411:
	v_cmp_ne_u32_e32 vcc_lo, 19, v94
	s_xor_b32 s2, s16, -1
	s_and_b32 s3, s2, vcc_lo
	s_and_saveexec_b32 s2, s3
	s_cbranch_execz .LBB40_413
; %bb.412:
	v_ashrrev_i32_e32 v95, 31, v94
	v_lshlrev_b64 v[100:101], 2, v[94:95]
	v_add_co_u32 v100, vcc_lo, v92, v100
	v_add_co_ci_u32_e64 v101, null, v93, v101, vcc_lo
	s_clause 0x1
	global_load_dword v0, v[100:101], off
	global_load_dword v95, v[92:93], off offset:76
	s_waitcnt vmcnt(1)
	global_store_dword v[92:93], v0, off offset:76
	s_waitcnt vmcnt(0)
	global_store_dword v[100:101], v95, off
.LBB40_413:
	s_or_b32 exec_lo, exec_lo, s2
	v_mov_b32_e32 v100, v94
	v_mov_b32_e32 v0, v94
.LBB40_414:
	s_or_b32 exec_lo, exec_lo, s1
.LBB40_415:
	s_andn2_saveexec_b32 s0, s0
; %bb.416:
	v_mov_b32_e32 v100, 19
	ds_write2_b64 v1, v[2:3], v[4:5] offset0:40 offset1:41
; %bb.417:
	s_or_b32 exec_lo, exec_lo, s0
	s_mov_b32 s0, exec_lo
	s_waitcnt lgkmcnt(0)
	s_waitcnt_vscnt null, 0x0
	s_barrier
	buffer_gl0_inv
	v_cmpx_lt_i32_e32 19, v100
	s_cbranch_execz .LBB40_419
; %bb.418:
	v_mul_f64 v[94:95], v[86:87], v[8:9]
	v_mul_f64 v[8:9], v[88:89], v[8:9]
	ds_read2_b64 v[101:104], v1 offset0:40 offset1:41
	v_fma_f64 v[88:89], v[88:89], v[6:7], v[94:95]
	v_fma_f64 v[6:7], v[86:87], v[6:7], -v[8:9]
	s_waitcnt lgkmcnt(0)
	v_mul_f64 v[8:9], v[103:104], v[88:89]
	v_mul_f64 v[86:87], v[101:102], v[88:89]
	v_fma_f64 v[8:9], v[101:102], v[6:7], -v[8:9]
	v_fma_f64 v[86:87], v[103:104], v[6:7], v[86:87]
	v_add_f64 v[2:3], v[2:3], -v[8:9]
	v_add_f64 v[4:5], v[4:5], -v[86:87]
	v_mov_b32_e32 v8, v88
	v_mov_b32_e32 v9, v89
.LBB40_419:
	s_or_b32 exec_lo, exec_lo, s0
	v_lshl_add_u32 v86, v100, 4, v1
	s_barrier
	buffer_gl0_inv
	v_mov_b32_e32 v94, 20
	ds_write2_b64 v86, v[2:3], v[4:5] offset1:1
	s_waitcnt lgkmcnt(0)
	s_barrier
	buffer_gl0_inv
	ds_read2_b64 v[86:89], v1 offset0:40 offset1:41
	s_cmp_lt_i32 s18, 22
	s_cbranch_scc1 .LBB40_422
; %bb.420:
	v_add3_u32 v1, v96, 0, 0x150
	v_mov_b32_e32 v94, 20
	s_mov_b32 s1, 21
	s_inst_prefetch 0x1
	.p2align	6
.LBB40_421:                             ; =>This Inner Loop Header: Depth=1
	s_waitcnt lgkmcnt(0)
	v_cmp_gt_f64_e32 vcc_lo, 0, v[88:89]
	v_cmp_gt_f64_e64 s0, 0, v[86:87]
	ds_read2_b64 v[101:104], v1 offset1:1
	v_xor_b32_e32 v96, 0x80000000, v87
	v_xor_b32_e32 v106, 0x80000000, v89
	v_mov_b32_e32 v95, v86
	v_mov_b32_e32 v105, v88
	v_add_nc_u32_e32 v1, 16, v1
	s_waitcnt lgkmcnt(0)
	v_xor_b32_e32 v108, 0x80000000, v104
	v_cndmask_b32_e64 v96, v87, v96, s0
	v_cndmask_b32_e32 v106, v89, v106, vcc_lo
	v_cmp_gt_f64_e32 vcc_lo, 0, v[103:104]
	v_cmp_gt_f64_e64 s0, 0, v[101:102]
	v_mov_b32_e32 v107, v103
	v_add_f64 v[95:96], v[95:96], v[105:106]
	v_xor_b32_e32 v106, 0x80000000, v102
	v_mov_b32_e32 v105, v101
	v_cndmask_b32_e32 v108, v104, v108, vcc_lo
	v_cndmask_b32_e64 v106, v102, v106, s0
	v_add_f64 v[105:106], v[105:106], v[107:108]
	v_cmp_lt_f64_e32 vcc_lo, v[95:96], v[105:106]
	v_cndmask_b32_e32 v87, v87, v102, vcc_lo
	v_cndmask_b32_e32 v86, v86, v101, vcc_lo
	;; [unrolled: 1-line block ×4, first 2 shown]
	v_cndmask_b32_e64 v94, v94, s1, vcc_lo
	s_add_i32 s1, s1, 1
	s_cmp_lg_u32 s18, s1
	s_cbranch_scc1 .LBB40_421
.LBB40_422:
	s_inst_prefetch 0x2
	s_waitcnt lgkmcnt(0)
	v_cmp_eq_f64_e32 vcc_lo, 0, v[86:87]
	v_cmp_eq_f64_e64 s0, 0, v[88:89]
	s_and_b32 s0, vcc_lo, s0
	s_and_saveexec_b32 s1, s0
	s_xor_b32 s0, exec_lo, s1
; %bb.423:
	v_cmp_ne_u32_e32 vcc_lo, 0, v99
	v_cndmask_b32_e32 v99, 21, v99, vcc_lo
; %bb.424:
	s_andn2_saveexec_b32 s0, s0
	s_cbranch_execz .LBB40_430
; %bb.425:
	v_cmp_ngt_f64_e64 s1, |v[86:87]|, |v[88:89]|
	s_and_saveexec_b32 s2, s1
	s_xor_b32 s1, exec_lo, s2
	s_cbranch_execz .LBB40_427
; %bb.426:
	v_div_scale_f64 v[95:96], null, v[88:89], v[88:89], v[86:87]
	v_div_scale_f64 v[105:106], vcc_lo, v[86:87], v[88:89], v[86:87]
	v_rcp_f64_e32 v[101:102], v[95:96]
	v_fma_f64 v[103:104], -v[95:96], v[101:102], 1.0
	v_fma_f64 v[101:102], v[101:102], v[103:104], v[101:102]
	v_fma_f64 v[103:104], -v[95:96], v[101:102], 1.0
	v_fma_f64 v[101:102], v[101:102], v[103:104], v[101:102]
	v_mul_f64 v[103:104], v[105:106], v[101:102]
	v_fma_f64 v[95:96], -v[95:96], v[103:104], v[105:106]
	v_div_fmas_f64 v[95:96], v[95:96], v[101:102], v[103:104]
	v_div_fixup_f64 v[95:96], v[95:96], v[88:89], v[86:87]
	v_fma_f64 v[86:87], v[86:87], v[95:96], v[88:89]
	v_div_scale_f64 v[88:89], null, v[86:87], v[86:87], 1.0
	v_rcp_f64_e32 v[101:102], v[88:89]
	v_fma_f64 v[103:104], -v[88:89], v[101:102], 1.0
	v_fma_f64 v[101:102], v[101:102], v[103:104], v[101:102]
	v_fma_f64 v[103:104], -v[88:89], v[101:102], 1.0
	v_fma_f64 v[101:102], v[101:102], v[103:104], v[101:102]
	v_div_scale_f64 v[103:104], vcc_lo, 1.0, v[86:87], 1.0
	v_mul_f64 v[105:106], v[103:104], v[101:102]
	v_fma_f64 v[88:89], -v[88:89], v[105:106], v[103:104]
	v_div_fmas_f64 v[88:89], v[88:89], v[101:102], v[105:106]
	v_div_fixup_f64 v[88:89], v[88:89], v[86:87], 1.0
	v_mul_f64 v[86:87], v[95:96], v[88:89]
	v_xor_b32_e32 v89, 0x80000000, v89
.LBB40_427:
	s_andn2_saveexec_b32 s1, s1
	s_cbranch_execz .LBB40_429
; %bb.428:
	v_div_scale_f64 v[95:96], null, v[86:87], v[86:87], v[88:89]
	v_div_scale_f64 v[105:106], vcc_lo, v[88:89], v[86:87], v[88:89]
	v_rcp_f64_e32 v[101:102], v[95:96]
	v_fma_f64 v[103:104], -v[95:96], v[101:102], 1.0
	v_fma_f64 v[101:102], v[101:102], v[103:104], v[101:102]
	v_fma_f64 v[103:104], -v[95:96], v[101:102], 1.0
	v_fma_f64 v[101:102], v[101:102], v[103:104], v[101:102]
	v_mul_f64 v[103:104], v[105:106], v[101:102]
	v_fma_f64 v[95:96], -v[95:96], v[103:104], v[105:106]
	v_div_fmas_f64 v[95:96], v[95:96], v[101:102], v[103:104]
	v_div_fixup_f64 v[95:96], v[95:96], v[86:87], v[88:89]
	v_fma_f64 v[86:87], v[88:89], v[95:96], v[86:87]
	v_div_scale_f64 v[88:89], null, v[86:87], v[86:87], 1.0
	v_rcp_f64_e32 v[101:102], v[88:89]
	v_fma_f64 v[103:104], -v[88:89], v[101:102], 1.0
	v_fma_f64 v[101:102], v[101:102], v[103:104], v[101:102]
	v_fma_f64 v[103:104], -v[88:89], v[101:102], 1.0
	v_fma_f64 v[101:102], v[101:102], v[103:104], v[101:102]
	v_div_scale_f64 v[103:104], vcc_lo, 1.0, v[86:87], 1.0
	v_mul_f64 v[105:106], v[103:104], v[101:102]
	v_fma_f64 v[88:89], -v[88:89], v[105:106], v[103:104]
	v_div_fmas_f64 v[88:89], v[88:89], v[101:102], v[105:106]
	v_div_fixup_f64 v[86:87], v[88:89], v[86:87], 1.0
	v_mul_f64 v[88:89], v[95:96], -v[86:87]
.LBB40_429:
	s_or_b32 exec_lo, exec_lo, s1
.LBB40_430:
	s_or_b32 exec_lo, exec_lo, s0
	v_mov_b32_e32 v95, 20
	s_mov_b32 s0, exec_lo
	v_cmpx_ne_u32_e64 v100, v94
	s_cbranch_execz .LBB40_436
; %bb.431:
	s_mov_b32 s1, exec_lo
	v_cmpx_eq_u32_e32 20, v100
	s_cbranch_execz .LBB40_435
; %bb.432:
	v_cmp_ne_u32_e32 vcc_lo, 20, v94
	s_xor_b32 s2, s16, -1
	s_and_b32 s3, s2, vcc_lo
	s_and_saveexec_b32 s2, s3
	s_cbranch_execz .LBB40_434
; %bb.433:
	v_ashrrev_i32_e32 v95, 31, v94
	v_lshlrev_b64 v[0:1], 2, v[94:95]
	v_add_co_u32 v0, vcc_lo, v92, v0
	v_add_co_ci_u32_e64 v1, null, v93, v1, vcc_lo
	s_clause 0x1
	global_load_dword v95, v[0:1], off
	global_load_dword v96, v[92:93], off offset:80
	s_waitcnt vmcnt(1)
	global_store_dword v[92:93], v95, off offset:80
	s_waitcnt vmcnt(0)
	global_store_dword v[0:1], v96, off
.LBB40_434:
	s_or_b32 exec_lo, exec_lo, s2
	v_mov_b32_e32 v100, v94
	v_mov_b32_e32 v0, v94
.LBB40_435:
	s_or_b32 exec_lo, exec_lo, s1
	v_mov_b32_e32 v95, v100
.LBB40_436:
	s_or_b32 exec_lo, exec_lo, s0
	s_mov_b32 s0, exec_lo
	s_waitcnt_vscnt null, 0x0
	s_barrier
	buffer_gl0_inv
	v_cmpx_lt_i32_e32 20, v95
	s_cbranch_execz .LBB40_438
; %bb.437:
	v_mul_f64 v[92:93], v[88:89], v[4:5]
	v_mul_f64 v[4:5], v[86:87], v[4:5]
	v_fma_f64 v[86:87], v[86:87], v[2:3], -v[92:93]
	v_fma_f64 v[4:5], v[88:89], v[2:3], v[4:5]
	v_mov_b32_e32 v2, v86
	v_mov_b32_e32 v3, v87
.LBB40_438:
	s_or_b32 exec_lo, exec_lo, s0
	v_ashrrev_i32_e32 v96, 31, v95
	s_mov_b32 s0, exec_lo
	s_barrier
	buffer_gl0_inv
	v_cmpx_gt_i32_e32 21, v95
	s_cbranch_execz .LBB40_440
; %bb.439:
	v_mul_lo_u32 v1, s15, v90
	v_mul_lo_u32 v88, s14, v91
	v_mad_u64_u32 v[86:87], null, s14, v90, 0
	s_lshl_b64 s[2:3], s[12:13], 2
	v_add3_u32 v0, v0, s17, 1
	v_add3_u32 v87, v87, v88, v1
	v_lshlrev_b64 v[86:87], 2, v[86:87]
	v_add_co_u32 v1, vcc_lo, s10, v86
	v_add_co_ci_u32_e64 v88, null, s11, v87, vcc_lo
	v_lshlrev_b64 v[86:87], 2, v[95:96]
	v_add_co_u32 v1, vcc_lo, v1, s2
	v_add_co_ci_u32_e64 v88, null, s3, v88, vcc_lo
	v_add_co_u32 v86, vcc_lo, v1, v86
	v_add_co_ci_u32_e64 v87, null, v88, v87, vcc_lo
	global_store_dword v[86:87], v0, off
.LBB40_440:
	s_or_b32 exec_lo, exec_lo, s0
	s_mov_b32 s1, exec_lo
	v_cmpx_eq_u32_e32 0, v95
	s_cbranch_execz .LBB40_443
; %bb.441:
	v_lshlrev_b64 v[0:1], 2, v[90:91]
	v_cmp_ne_u32_e64 s0, 0, v99
	v_add_co_u32 v0, vcc_lo, s4, v0
	v_add_co_ci_u32_e64 v1, null, s5, v1, vcc_lo
	global_load_dword v86, v[0:1], off
	s_waitcnt vmcnt(0)
	v_cmp_eq_u32_e32 vcc_lo, 0, v86
	s_and_b32 s0, vcc_lo, s0
	s_and_b32 exec_lo, exec_lo, s0
	s_cbranch_execz .LBB40_443
; %bb.442:
	v_add_nc_u32_e32 v86, s17, v99
	global_store_dword v[0:1], v86, off
.LBB40_443:
	s_or_b32 exec_lo, exec_lo, s1
	v_add3_u32 v0, s6, s6, v95
	v_lshlrev_b64 v[86:87], 4, v[95:96]
	v_add_nc_u32_e32 v88, s6, v0
	v_ashrrev_i32_e32 v1, 31, v0
	v_add_co_u32 v86, vcc_lo, v97, v86
	v_add_co_ci_u32_e64 v87, null, v98, v87, vcc_lo
	v_ashrrev_i32_e32 v89, 31, v88
	v_lshlrev_b64 v[0:1], 4, v[0:1]
	global_store_dwordx4 v[86:87], v[82:85], off
	v_add_co_u32 v82, vcc_lo, v86, s8
	v_lshlrev_b64 v[84:85], 4, v[88:89]
	v_add_nc_u32_e32 v86, s6, v88
	v_add_co_ci_u32_e64 v83, null, s9, v87, vcc_lo
	v_add_co_u32 v0, vcc_lo, v97, v0
	v_add_co_ci_u32_e64 v1, null, v98, v1, vcc_lo
	v_add_co_u32 v84, vcc_lo, v97, v84
	v_add_nc_u32_e32 v88, s6, v86
	v_add_co_ci_u32_e64 v85, null, v98, v85, vcc_lo
	v_ashrrev_i32_e32 v87, 31, v86
	global_store_dwordx4 v[82:83], v[70:73], off
	global_store_dwordx4 v[0:1], v[66:69], off
	;; [unrolled: 1-line block ×3, first 2 shown]
	v_add_nc_u32_e32 v62, s6, v88
	v_ashrrev_i32_e32 v89, 31, v88
	v_lshlrev_b64 v[70:71], 4, v[86:87]
	v_add_nc_u32_e32 v66, s6, v62
	v_lshlrev_b64 v[0:1], 4, v[88:89]
	v_ashrrev_i32_e32 v63, 31, v62
	v_add_co_u32 v64, vcc_lo, v97, v70
	v_add_nc_u32_e32 v68, s6, v66
	v_add_co_ci_u32_e64 v65, null, v98, v71, vcc_lo
	v_add_co_u32 v0, vcc_lo, v97, v0
	v_ashrrev_i32_e32 v67, 31, v66
	v_add_co_ci_u32_e64 v1, null, v98, v1, vcc_lo
	v_ashrrev_i32_e32 v69, 31, v68
	v_lshlrev_b64 v[62:63], 4, v[62:63]
	global_store_dwordx4 v[64:65], v[78:81], off
	global_store_dwordx4 v[0:1], v[74:77], off
	v_lshlrev_b64 v[0:1], 4, v[66:67]
	v_add_nc_u32_e32 v66, s6, v68
	v_lshlrev_b64 v[64:65], 4, v[68:69]
	v_add_co_u32 v62, vcc_lo, v97, v62
	v_add_co_ci_u32_e64 v63, null, v98, v63, vcc_lo
	v_add_co_u32 v0, vcc_lo, v97, v0
	v_add_co_ci_u32_e64 v1, null, v98, v1, vcc_lo
	v_add_co_u32 v64, vcc_lo, v97, v64
	v_add_nc_u32_e32 v68, s6, v66
	v_add_co_ci_u32_e64 v65, null, v98, v65, vcc_lo
	v_ashrrev_i32_e32 v67, 31, v66
	global_store_dwordx4 v[62:63], v[58:61], off
	global_store_dwordx4 v[0:1], v[54:57], off
	;; [unrolled: 1-line block ×3, first 2 shown]
	v_add_nc_u32_e32 v50, s6, v68
	v_ashrrev_i32_e32 v69, 31, v68
	v_lshlrev_b64 v[58:59], 4, v[66:67]
	v_add_nc_u32_e32 v54, s6, v50
	v_lshlrev_b64 v[0:1], 4, v[68:69]
	v_ashrrev_i32_e32 v51, 31, v50
	v_add_co_u32 v52, vcc_lo, v97, v58
	v_add_nc_u32_e32 v56, s6, v54
	v_add_co_ci_u32_e64 v53, null, v98, v59, vcc_lo
	v_add_co_u32 v0, vcc_lo, v97, v0
	v_ashrrev_i32_e32 v55, 31, v54
	v_add_co_ci_u32_e64 v1, null, v98, v1, vcc_lo
	v_ashrrev_i32_e32 v57, 31, v56
	v_lshlrev_b64 v[50:51], 4, v[50:51]
	global_store_dwordx4 v[52:53], v[46:49], off
	global_store_dwordx4 v[0:1], v[42:45], off
	v_lshlrev_b64 v[0:1], 4, v[54:55]
	v_add_nc_u32_e32 v46, s6, v56
	v_lshlrev_b64 v[44:45], 4, v[56:57]
	v_add_co_u32 v42, vcc_lo, v97, v50
	v_add_co_ci_u32_e64 v43, null, v98, v51, vcc_lo
	v_add_co_u32 v0, vcc_lo, v97, v0
	v_add_nc_u32_e32 v48, s6, v46
	v_add_co_ci_u32_e64 v1, null, v98, v1, vcc_lo
	v_add_co_u32 v44, vcc_lo, v97, v44
	v_ashrrev_i32_e32 v47, 31, v46
	v_add_co_ci_u32_e64 v45, null, v98, v45, vcc_lo
	v_ashrrev_i32_e32 v49, 31, v48
	global_store_dwordx4 v[42:43], v[38:41], off
	v_lshlrev_b64 v[38:39], 4, v[46:47]
	global_store_dwordx4 v[0:1], v[34:37], off
	global_store_dwordx4 v[44:45], v[30:33], off
	v_add_nc_u32_e32 v30, s6, v48
	v_lshlrev_b64 v[0:1], 4, v[48:49]
	v_add_co_u32 v32, vcc_lo, v97, v38
	v_add_nc_u32_e32 v34, s6, v30
	v_add_co_ci_u32_e64 v33, null, v98, v39, vcc_lo
	v_add_co_u32 v0, vcc_lo, v97, v0
	v_add_co_ci_u32_e64 v1, null, v98, v1, vcc_lo
	v_add_nc_u32_e32 v36, s6, v34
	v_ashrrev_i32_e32 v31, 31, v30
	global_store_dwordx4 v[32:33], v[26:29], off
	global_store_dwordx4 v[0:1], v[22:25], off
	v_ashrrev_i32_e32 v35, 31, v34
	v_add_nc_u32_e32 v22, s6, v36
	v_lshlrev_b64 v[26:27], 4, v[30:31]
	v_ashrrev_i32_e32 v37, 31, v36
	v_lshlrev_b64 v[0:1], 4, v[34:35]
	v_add_nc_u32_e32 v28, s6, v22
	v_ashrrev_i32_e32 v23, 31, v22
	v_add_co_u32 v24, vcc_lo, v97, v26
	v_add_co_ci_u32_e64 v25, null, v98, v27, vcc_lo
	v_ashrrev_i32_e32 v29, 31, v28
	v_lshlrev_b64 v[26:27], 4, v[36:37]
	v_lshlrev_b64 v[22:23], 4, v[22:23]
	v_add_co_u32 v0, vcc_lo, v97, v0
	v_lshlrev_b64 v[28:29], 4, v[28:29]
	v_add_co_ci_u32_e64 v1, null, v98, v1, vcc_lo
	v_add_co_u32 v26, vcc_lo, v97, v26
	v_add_co_ci_u32_e64 v27, null, v98, v27, vcc_lo
	v_add_co_u32 v22, vcc_lo, v97, v22
	;; [unrolled: 2-line block ×3, first 2 shown]
	v_add_co_ci_u32_e64 v29, null, v98, v29, vcc_lo
	global_store_dwordx4 v[24:25], v[18:21], off
	global_store_dwordx4 v[0:1], v[14:17], off
	;; [unrolled: 1-line block ×5, first 2 shown]
.LBB40_444:
	s_endpgm
	.section	.rodata,"a",@progbits
	.p2align	6, 0x0
	.amdhsa_kernel _ZN9rocsolver6v33100L18getf2_small_kernelILi21E19rocblas_complex_numIdEiiPS3_EEvT1_T3_lS5_lPS5_llPT2_S5_S5_S7_l
		.amdhsa_group_segment_fixed_size 0
		.amdhsa_private_segment_fixed_size 0
		.amdhsa_kernarg_size 352
		.amdhsa_user_sgpr_count 6
		.amdhsa_user_sgpr_private_segment_buffer 1
		.amdhsa_user_sgpr_dispatch_ptr 0
		.amdhsa_user_sgpr_queue_ptr 0
		.amdhsa_user_sgpr_kernarg_segment_ptr 1
		.amdhsa_user_sgpr_dispatch_id 0
		.amdhsa_user_sgpr_flat_scratch_init 0
		.amdhsa_user_sgpr_private_segment_size 0
		.amdhsa_wavefront_size32 1
		.amdhsa_uses_dynamic_stack 0
		.amdhsa_system_sgpr_private_segment_wavefront_offset 0
		.amdhsa_system_sgpr_workgroup_id_x 1
		.amdhsa_system_sgpr_workgroup_id_y 1
		.amdhsa_system_sgpr_workgroup_id_z 0
		.amdhsa_system_sgpr_workgroup_info 0
		.amdhsa_system_vgpr_workitem_id 1
		.amdhsa_next_free_vgpr 119
		.amdhsa_next_free_sgpr 19
		.amdhsa_reserve_vcc 1
		.amdhsa_reserve_flat_scratch 0
		.amdhsa_float_round_mode_32 0
		.amdhsa_float_round_mode_16_64 0
		.amdhsa_float_denorm_mode_32 3
		.amdhsa_float_denorm_mode_16_64 3
		.amdhsa_dx10_clamp 1
		.amdhsa_ieee_mode 1
		.amdhsa_fp16_overflow 0
		.amdhsa_workgroup_processor_mode 1
		.amdhsa_memory_ordered 1
		.amdhsa_forward_progress 1
		.amdhsa_shared_vgpr_count 0
		.amdhsa_exception_fp_ieee_invalid_op 0
		.amdhsa_exception_fp_denorm_src 0
		.amdhsa_exception_fp_ieee_div_zero 0
		.amdhsa_exception_fp_ieee_overflow 0
		.amdhsa_exception_fp_ieee_underflow 0
		.amdhsa_exception_fp_ieee_inexact 0
		.amdhsa_exception_int_div_zero 0
	.end_amdhsa_kernel
	.section	.text._ZN9rocsolver6v33100L18getf2_small_kernelILi21E19rocblas_complex_numIdEiiPS3_EEvT1_T3_lS5_lPS5_llPT2_S5_S5_S7_l,"axG",@progbits,_ZN9rocsolver6v33100L18getf2_small_kernelILi21E19rocblas_complex_numIdEiiPS3_EEvT1_T3_lS5_lPS5_llPT2_S5_S5_S7_l,comdat
.Lfunc_end40:
	.size	_ZN9rocsolver6v33100L18getf2_small_kernelILi21E19rocblas_complex_numIdEiiPS3_EEvT1_T3_lS5_lPS5_llPT2_S5_S5_S7_l, .Lfunc_end40-_ZN9rocsolver6v33100L18getf2_small_kernelILi21E19rocblas_complex_numIdEiiPS3_EEvT1_T3_lS5_lPS5_llPT2_S5_S5_S7_l
                                        ; -- End function
	.set _ZN9rocsolver6v33100L18getf2_small_kernelILi21E19rocblas_complex_numIdEiiPS3_EEvT1_T3_lS5_lPS5_llPT2_S5_S5_S7_l.num_vgpr, 119
	.set _ZN9rocsolver6v33100L18getf2_small_kernelILi21E19rocblas_complex_numIdEiiPS3_EEvT1_T3_lS5_lPS5_llPT2_S5_S5_S7_l.num_agpr, 0
	.set _ZN9rocsolver6v33100L18getf2_small_kernelILi21E19rocblas_complex_numIdEiiPS3_EEvT1_T3_lS5_lPS5_llPT2_S5_S5_S7_l.numbered_sgpr, 19
	.set _ZN9rocsolver6v33100L18getf2_small_kernelILi21E19rocblas_complex_numIdEiiPS3_EEvT1_T3_lS5_lPS5_llPT2_S5_S5_S7_l.num_named_barrier, 0
	.set _ZN9rocsolver6v33100L18getf2_small_kernelILi21E19rocblas_complex_numIdEiiPS3_EEvT1_T3_lS5_lPS5_llPT2_S5_S5_S7_l.private_seg_size, 0
	.set _ZN9rocsolver6v33100L18getf2_small_kernelILi21E19rocblas_complex_numIdEiiPS3_EEvT1_T3_lS5_lPS5_llPT2_S5_S5_S7_l.uses_vcc, 1
	.set _ZN9rocsolver6v33100L18getf2_small_kernelILi21E19rocblas_complex_numIdEiiPS3_EEvT1_T3_lS5_lPS5_llPT2_S5_S5_S7_l.uses_flat_scratch, 0
	.set _ZN9rocsolver6v33100L18getf2_small_kernelILi21E19rocblas_complex_numIdEiiPS3_EEvT1_T3_lS5_lPS5_llPT2_S5_S5_S7_l.has_dyn_sized_stack, 0
	.set _ZN9rocsolver6v33100L18getf2_small_kernelILi21E19rocblas_complex_numIdEiiPS3_EEvT1_T3_lS5_lPS5_llPT2_S5_S5_S7_l.has_recursion, 0
	.set _ZN9rocsolver6v33100L18getf2_small_kernelILi21E19rocblas_complex_numIdEiiPS3_EEvT1_T3_lS5_lPS5_llPT2_S5_S5_S7_l.has_indirect_call, 0
	.section	.AMDGPU.csdata,"",@progbits
; Kernel info:
; codeLenInByte = 36984
; TotalNumSgprs: 21
; NumVgprs: 119
; ScratchSize: 0
; MemoryBound: 0
; FloatMode: 240
; IeeeMode: 1
; LDSByteSize: 0 bytes/workgroup (compile time only)
; SGPRBlocks: 0
; VGPRBlocks: 14
; NumSGPRsForWavesPerEU: 21
; NumVGPRsForWavesPerEU: 119
; Occupancy: 8
; WaveLimiterHint : 0
; COMPUTE_PGM_RSRC2:SCRATCH_EN: 0
; COMPUTE_PGM_RSRC2:USER_SGPR: 6
; COMPUTE_PGM_RSRC2:TRAP_HANDLER: 0
; COMPUTE_PGM_RSRC2:TGID_X_EN: 1
; COMPUTE_PGM_RSRC2:TGID_Y_EN: 1
; COMPUTE_PGM_RSRC2:TGID_Z_EN: 0
; COMPUTE_PGM_RSRC2:TIDIG_COMP_CNT: 1
	.section	.text._ZN9rocsolver6v33100L23getf2_npvt_small_kernelILi21E19rocblas_complex_numIdEiiPS3_EEvT1_T3_lS5_lPT2_S5_S5_,"axG",@progbits,_ZN9rocsolver6v33100L23getf2_npvt_small_kernelILi21E19rocblas_complex_numIdEiiPS3_EEvT1_T3_lS5_lPT2_S5_S5_,comdat
	.globl	_ZN9rocsolver6v33100L23getf2_npvt_small_kernelILi21E19rocblas_complex_numIdEiiPS3_EEvT1_T3_lS5_lPT2_S5_S5_ ; -- Begin function _ZN9rocsolver6v33100L23getf2_npvt_small_kernelILi21E19rocblas_complex_numIdEiiPS3_EEvT1_T3_lS5_lPT2_S5_S5_
	.p2align	8
	.type	_ZN9rocsolver6v33100L23getf2_npvt_small_kernelILi21E19rocblas_complex_numIdEiiPS3_EEvT1_T3_lS5_lPT2_S5_S5_,@function
_ZN9rocsolver6v33100L23getf2_npvt_small_kernelILi21E19rocblas_complex_numIdEiiPS3_EEvT1_T3_lS5_lPT2_S5_S5_: ; @_ZN9rocsolver6v33100L23getf2_npvt_small_kernelILi21E19rocblas_complex_numIdEiiPS3_EEvT1_T3_lS5_lPT2_S5_S5_
; %bb.0:
	s_clause 0x1
	s_load_dword s0, s[4:5], 0x44
	s_load_dwordx2 s[12:13], s[4:5], 0x30
	s_waitcnt lgkmcnt(0)
	s_lshr_b32 s14, s0, 16
	s_mov_b32 s0, exec_lo
	v_mad_u64_u32 v[196:197], null, s7, s14, v[1:2]
	v_cmpx_gt_i32_e64 s12, v196
	s_cbranch_execz .LBB41_194
; %bb.1:
	s_clause 0x2
	s_load_dwordx4 s[8:11], s[4:5], 0x20
	s_load_dword s6, s[4:5], 0x18
	s_load_dwordx4 s[0:3], s[4:5], 0x8
	v_ashrrev_i32_e32 v197, 31, v196
	v_lshlrev_b32_e32 v13, 4, v0
	v_lshlrev_b32_e32 v86, 4, v1
	s_mulk_i32 s14, 0x150
	v_mad_u32_u24 v214, 0x150, v1, 0
	v_add3_u32 v1, 0, s14, v86
	s_waitcnt lgkmcnt(0)
	v_mul_lo_u32 v5, s9, v196
	v_mul_lo_u32 v7, s8, v197
	v_mad_u64_u32 v[2:3], null, s8, v196, 0
	v_add3_u32 v4, s6, s6, v0
	s_lshl_b64 s[2:3], s[2:3], 4
	s_ashr_i32 s7, s6, 31
	s_lshl_b64 s[4:5], s[6:7], 4
	v_add_nc_u32_e32 v6, s6, v4
	v_add3_u32 v3, v3, v7, v5
	v_ashrrev_i32_e32 v5, 31, v4
	v_add_nc_u32_e32 v8, s6, v6
	v_lshlrev_b64 v[2:3], 4, v[2:3]
	v_ashrrev_i32_e32 v7, 31, v6
	v_lshlrev_b64 v[4:5], 4, v[4:5]
	v_ashrrev_i32_e32 v9, 31, v8
	v_add_nc_u32_e32 v10, s6, v8
	v_add_co_u32 v12, vcc_lo, s0, v2
	v_add_co_ci_u32_e64 v14, null, s1, v3, vcc_lo
	v_lshlrev_b64 v[2:3], 4, v[8:9]
	v_add_co_u32 v18, vcc_lo, v12, s2
	v_add_nc_u32_e32 v8, s6, v10
	v_add_co_ci_u32_e64 v19, null, s3, v14, vcc_lo
	v_lshlrev_b64 v[6:7], 4, v[6:7]
	v_ashrrev_i32_e32 v11, 31, v10
	v_add_co_u32 v176, vcc_lo, v18, v13
	v_add_nc_u32_e32 v12, s6, v8
	v_add_co_ci_u32_e64 v177, null, 0, v19, vcc_lo
	v_add_co_u32 v174, vcc_lo, v18, v4
	v_lshlrev_b64 v[10:11], 4, v[10:11]
	v_ashrrev_i32_e32 v9, 31, v8
	v_add_co_ci_u32_e64 v175, null, v19, v5, vcc_lo
	v_add_co_u32 v172, vcc_lo, v18, v6
	v_add_co_ci_u32_e64 v173, null, v19, v7, vcc_lo
	v_add_co_u32 v178, vcc_lo, v176, s4
	v_ashrrev_i32_e32 v13, 31, v12
	v_add_nc_u32_e32 v16, s6, v12
	v_add_co_ci_u32_e64 v179, null, s5, v177, vcc_lo
	v_add_co_u32 v170, vcc_lo, v18, v2
	v_lshlrev_b64 v[14:15], 4, v[8:9]
	v_add_co_ci_u32_e64 v171, null, v19, v3, vcc_lo
	v_add_co_u32 v180, vcc_lo, v18, v10
	v_add_co_ci_u32_e64 v181, null, v19, v11, vcc_lo
	v_lshlrev_b64 v[10:11], 4, v[12:13]
	v_ashrrev_i32_e32 v17, 31, v16
	v_add_nc_u32_e32 v12, s6, v16
	v_add_co_u32 v182, vcc_lo, v18, v14
	v_add_co_ci_u32_e64 v183, null, v19, v15, vcc_lo
	v_lshlrev_b64 v[14:15], 4, v[16:17]
	v_ashrrev_i32_e32 v13, 31, v12
	v_add_nc_u32_e32 v16, s6, v12
	;; [unrolled: 5-line block ×11, first 2 shown]
	v_add_co_u32 v204, vcc_lo, v18, v14
	v_add_co_ci_u32_e64 v205, null, v19, v15, vcc_lo
	v_lshlrev_b64 v[14:15], 4, v[16:17]
	v_add_nc_u32_e32 v16, s6, v12
	v_ashrrev_i32_e32 v13, 31, v12
	v_add_co_u32 v210, vcc_lo, v18, v10
	v_add_co_ci_u32_e64 v211, null, v19, v11, vcc_lo
	v_ashrrev_i32_e32 v17, 31, v16
	v_lshlrev_b64 v[10:11], 4, v[12:13]
	v_add_co_u32 v206, vcc_lo, v18, v14
	v_add_co_ci_u32_e64 v207, null, v19, v15, vcc_lo
	v_lshlrev_b64 v[12:13], 4, v[16:17]
	v_add_co_u32 v208, vcc_lo, v18, v10
	v_add_co_ci_u32_e64 v209, null, v19, v11, vcc_lo
	s_clause 0x1
	global_load_dwordx4 v[6:9], v[176:177], off
	global_load_dwordx4 v[2:5], v[178:179], off
	v_add_co_u32 v212, vcc_lo, v18, v12
	v_add_co_ci_u32_e64 v213, null, v19, v13, vcc_lo
	s_clause 0x12
	global_load_dwordx4 v[82:85], v[174:175], off
	global_load_dwordx4 v[78:81], v[172:173], off
	;; [unrolled: 1-line block ×19, first 2 shown]
	v_cmp_ne_u32_e64 s1, 0, v0
	v_cmp_eq_u32_e64 s0, 0, v0
	s_and_saveexec_b32 s3, s0
	s_cbranch_execz .LBB41_8
; %bb.2:
	s_waitcnt vmcnt(20)
	ds_write2_b64 v1, v[6:7], v[8:9] offset1:1
	s_waitcnt vmcnt(19)
	ds_write2_b64 v214, v[2:3], v[4:5] offset0:2 offset1:3
	s_waitcnt vmcnt(18)
	ds_write2_b64 v214, v[82:83], v[84:85] offset0:4 offset1:5
	;; [unrolled: 2-line block ×20, first 2 shown]
	ds_read2_b64 v[86:89], v1 offset1:1
	s_waitcnt lgkmcnt(0)
	v_cmp_neq_f64_e32 vcc_lo, 0, v[86:87]
	v_cmp_neq_f64_e64 s2, 0, v[88:89]
	s_or_b32 s2, vcc_lo, s2
	s_and_b32 exec_lo, exec_lo, s2
	s_cbranch_execz .LBB41_8
; %bb.3:
	v_cmp_ngt_f64_e64 s2, |v[86:87]|, |v[88:89]|
                                        ; implicit-def: $vgpr90_vgpr91
	s_and_saveexec_b32 s4, s2
	s_xor_b32 s2, exec_lo, s4
                                        ; implicit-def: $vgpr92_vgpr93
	s_cbranch_execz .LBB41_5
; %bb.4:
	v_div_scale_f64 v[90:91], null, v[88:89], v[88:89], v[86:87]
	v_div_scale_f64 v[96:97], vcc_lo, v[86:87], v[88:89], v[86:87]
	v_rcp_f64_e32 v[92:93], v[90:91]
	v_fma_f64 v[94:95], -v[90:91], v[92:93], 1.0
	v_fma_f64 v[92:93], v[92:93], v[94:95], v[92:93]
	v_fma_f64 v[94:95], -v[90:91], v[92:93], 1.0
	v_fma_f64 v[92:93], v[92:93], v[94:95], v[92:93]
	v_mul_f64 v[94:95], v[96:97], v[92:93]
	v_fma_f64 v[90:91], -v[90:91], v[94:95], v[96:97]
	v_div_fmas_f64 v[90:91], v[90:91], v[92:93], v[94:95]
	v_div_fixup_f64 v[90:91], v[90:91], v[88:89], v[86:87]
	v_fma_f64 v[86:87], v[86:87], v[90:91], v[88:89]
	v_div_scale_f64 v[88:89], null, v[86:87], v[86:87], 1.0
	v_rcp_f64_e32 v[92:93], v[88:89]
	v_fma_f64 v[94:95], -v[88:89], v[92:93], 1.0
	v_fma_f64 v[92:93], v[92:93], v[94:95], v[92:93]
	v_fma_f64 v[94:95], -v[88:89], v[92:93], 1.0
	v_fma_f64 v[92:93], v[92:93], v[94:95], v[92:93]
	v_div_scale_f64 v[94:95], vcc_lo, 1.0, v[86:87], 1.0
	v_mul_f64 v[96:97], v[94:95], v[92:93]
	v_fma_f64 v[88:89], -v[88:89], v[96:97], v[94:95]
	v_div_fmas_f64 v[88:89], v[88:89], v[92:93], v[96:97]
	v_div_fixup_f64 v[92:93], v[88:89], v[86:87], 1.0
                                        ; implicit-def: $vgpr86_vgpr87
	v_mul_f64 v[90:91], v[90:91], v[92:93]
	v_xor_b32_e32 v93, 0x80000000, v93
.LBB41_5:
	s_andn2_saveexec_b32 s2, s2
	s_cbranch_execz .LBB41_7
; %bb.6:
	v_div_scale_f64 v[90:91], null, v[86:87], v[86:87], v[88:89]
	v_div_scale_f64 v[96:97], vcc_lo, v[88:89], v[86:87], v[88:89]
	v_rcp_f64_e32 v[92:93], v[90:91]
	v_fma_f64 v[94:95], -v[90:91], v[92:93], 1.0
	v_fma_f64 v[92:93], v[92:93], v[94:95], v[92:93]
	v_fma_f64 v[94:95], -v[90:91], v[92:93], 1.0
	v_fma_f64 v[92:93], v[92:93], v[94:95], v[92:93]
	v_mul_f64 v[94:95], v[96:97], v[92:93]
	v_fma_f64 v[90:91], -v[90:91], v[94:95], v[96:97]
	v_div_fmas_f64 v[90:91], v[90:91], v[92:93], v[94:95]
	v_div_fixup_f64 v[92:93], v[90:91], v[86:87], v[88:89]
	v_fma_f64 v[86:87], v[88:89], v[92:93], v[86:87]
	v_div_scale_f64 v[88:89], null, v[86:87], v[86:87], 1.0
	v_rcp_f64_e32 v[90:91], v[88:89]
	v_fma_f64 v[94:95], -v[88:89], v[90:91], 1.0
	v_fma_f64 v[90:91], v[90:91], v[94:95], v[90:91]
	v_fma_f64 v[94:95], -v[88:89], v[90:91], 1.0
	v_fma_f64 v[90:91], v[90:91], v[94:95], v[90:91]
	v_div_scale_f64 v[94:95], vcc_lo, 1.0, v[86:87], 1.0
	v_mul_f64 v[96:97], v[94:95], v[90:91]
	v_fma_f64 v[88:89], -v[88:89], v[96:97], v[94:95]
	v_div_fmas_f64 v[88:89], v[88:89], v[90:91], v[96:97]
	v_div_fixup_f64 v[90:91], v[88:89], v[86:87], 1.0
	v_mul_f64 v[92:93], v[92:93], -v[90:91]
.LBB41_7:
	s_or_b32 exec_lo, exec_lo, s2
	ds_write2_b64 v1, v[90:91], v[92:93] offset1:1
.LBB41_8:
	s_or_b32 exec_lo, exec_lo, s3
	s_waitcnt vmcnt(0) lgkmcnt(0)
	s_barrier
	buffer_gl0_inv
	ds_read2_b64 v[86:89], v1 offset1:1
	s_and_saveexec_b32 s2, s1
	s_cbranch_execz .LBB41_10
; %bb.9:
	s_waitcnt lgkmcnt(0)
	v_mul_f64 v[90:91], v[86:87], v[8:9]
	v_mul_f64 v[122:123], v[88:89], v[8:9]
	v_fma_f64 v[8:9], v[88:89], v[6:7], v[90:91]
	ds_read2_b64 v[90:93], v214 offset0:2 offset1:3
	ds_read2_b64 v[94:97], v214 offset0:4 offset1:5
	;; [unrolled: 1-line block ×8, first 2 shown]
	v_fma_f64 v[6:7], v[86:87], v[6:7], -v[122:123]
	ds_read2_b64 v[122:125], v214 offset0:18 offset1:19
	ds_read2_b64 v[126:129], v214 offset0:20 offset1:21
	;; [unrolled: 1-line block ×7, first 2 shown]
	s_waitcnt lgkmcnt(14)
	v_mul_f64 v[150:151], v[92:93], v[8:9]
	v_mul_f64 v[152:153], v[90:91], v[8:9]
	s_waitcnt lgkmcnt(13)
	v_mul_f64 v[154:155], v[96:97], v[8:9]
	v_mul_f64 v[156:157], v[94:95], v[8:9]
	s_waitcnt lgkmcnt(12)
	v_mul_f64 v[158:159], v[100:101], v[8:9]
	v_mul_f64 v[160:161], v[98:99], v[8:9]
	s_waitcnt lgkmcnt(11)
	v_mul_f64 v[162:163], v[104:105], v[8:9]
	v_mul_f64 v[164:165], v[102:103], v[8:9]
	s_waitcnt lgkmcnt(10)
	v_mul_f64 v[166:167], v[108:109], v[8:9]
	v_mul_f64 v[168:169], v[106:107], v[8:9]
	s_waitcnt lgkmcnt(9)
	v_mul_f64 v[215:216], v[112:113], v[8:9]
	v_mul_f64 v[217:218], v[110:111], v[8:9]
	s_waitcnt lgkmcnt(8)
	v_mul_f64 v[219:220], v[116:117], v[8:9]
	v_mul_f64 v[221:222], v[114:115], v[8:9]
	s_waitcnt lgkmcnt(7)
	v_mul_f64 v[223:224], v[120:121], v[8:9]
	v_mul_f64 v[225:226], v[118:119], v[8:9]
	s_waitcnt lgkmcnt(6)
	v_mul_f64 v[227:228], v[124:125], v[8:9]
	v_mul_f64 v[229:230], v[122:123], v[8:9]
	v_fma_f64 v[150:151], v[90:91], v[6:7], -v[150:151]
	v_fma_f64 v[152:153], v[92:93], v[6:7], v[152:153]
	v_fma_f64 v[154:155], v[94:95], v[6:7], -v[154:155]
	v_fma_f64 v[156:157], v[96:97], v[6:7], v[156:157]
	;; [unrolled: 2-line block ×8, first 2 shown]
	v_fma_f64 v[122:123], v[122:123], v[6:7], -v[227:228]
	ds_read2_b64 v[90:93], v214 offset0:32 offset1:33
	ds_read2_b64 v[94:97], v214 offset0:34 offset1:35
	;; [unrolled: 1-line block ×5, first 2 shown]
	s_waitcnt lgkmcnt(10)
	v_mul_f64 v[215:216], v[128:129], v[8:9]
	v_mul_f64 v[217:218], v[126:127], v[8:9]
	s_waitcnt lgkmcnt(9)
	v_mul_f64 v[219:220], v[132:133], v[8:9]
	v_fma_f64 v[124:125], v[124:125], v[6:7], v[229:230]
	v_mul_f64 v[221:222], v[130:131], v[8:9]
	s_waitcnt lgkmcnt(8)
	v_mul_f64 v[223:224], v[136:137], v[8:9]
	v_add_f64 v[2:3], v[2:3], -v[150:151]
	v_mul_f64 v[150:151], v[134:135], v[8:9]
	v_add_f64 v[4:5], v[4:5], -v[152:153]
	s_waitcnt lgkmcnt(7)
	v_mul_f64 v[152:153], v[140:141], v[8:9]
	v_add_f64 v[82:83], v[82:83], -v[154:155]
	v_mul_f64 v[154:155], v[138:139], v[8:9]
	v_add_f64 v[84:85], v[84:85], -v[156:157]
	;; [unrolled: 5-line block ×4, first 2 shown]
	v_add_f64 v[70:71], v[70:71], -v[166:167]
	v_add_f64 v[72:73], v[72:73], -v[168:169]
	;; [unrolled: 1-line block ×9, first 2 shown]
	s_waitcnt lgkmcnt(4)
	v_mul_f64 v[110:111], v[92:93], v[8:9]
	v_mul_f64 v[112:113], v[90:91], v[8:9]
	s_waitcnt lgkmcnt(3)
	v_mul_f64 v[114:115], v[96:97], v[8:9]
	v_mul_f64 v[116:117], v[94:95], v[8:9]
	s_waitcnt lgkmcnt(2)
	v_mul_f64 v[118:119], v[100:101], v[8:9]
	v_mul_f64 v[120:121], v[98:99], v[8:9]
	s_waitcnt lgkmcnt(1)
	v_mul_f64 v[122:123], v[104:105], v[8:9]
	v_mul_f64 v[164:165], v[102:103], v[8:9]
	s_waitcnt lgkmcnt(0)
	v_mul_f64 v[166:167], v[108:109], v[8:9]
	v_mul_f64 v[168:169], v[106:107], v[8:9]
	v_fma_f64 v[126:127], v[126:127], v[6:7], -v[215:216]
	v_add_f64 v[56:57], v[56:57], -v[124:125]
	v_fma_f64 v[124:125], v[128:129], v[6:7], v[217:218]
	v_fma_f64 v[128:129], v[130:131], v[6:7], -v[219:220]
	v_fma_f64 v[130:131], v[132:133], v[6:7], v[221:222]
	v_fma_f64 v[132:133], v[134:135], v[6:7], -v[223:224]
	;; [unrolled: 2-line block ×10, first 2 shown]
	v_fma_f64 v[108:109], v[108:109], v[6:7], v[168:169]
	v_add_f64 v[50:51], v[50:51], -v[126:127]
	v_add_f64 v[52:53], v[52:53], -v[124:125]
	;; [unrolled: 1-line block ×22, first 2 shown]
.LBB41_10:
	s_or_b32 exec_lo, exec_lo, s2
	s_mov_b32 s2, exec_lo
	s_waitcnt lgkmcnt(0)
	s_barrier
	buffer_gl0_inv
	v_cmpx_eq_u32_e32 1, v0
	s_cbranch_execz .LBB41_17
; %bb.11:
	ds_write2_b64 v1, v[2:3], v[4:5] offset1:1
	ds_write2_b64 v214, v[82:83], v[84:85] offset0:4 offset1:5
	ds_write2_b64 v214, v[78:79], v[80:81] offset0:6 offset1:7
	;; [unrolled: 1-line block ×19, first 2 shown]
	ds_read2_b64 v[90:93], v1 offset1:1
	s_waitcnt lgkmcnt(0)
	v_cmp_neq_f64_e32 vcc_lo, 0, v[90:91]
	v_cmp_neq_f64_e64 s1, 0, v[92:93]
	s_or_b32 s1, vcc_lo, s1
	s_and_b32 exec_lo, exec_lo, s1
	s_cbranch_execz .LBB41_17
; %bb.12:
	v_cmp_ngt_f64_e64 s1, |v[90:91]|, |v[92:93]|
                                        ; implicit-def: $vgpr94_vgpr95
	s_and_saveexec_b32 s3, s1
	s_xor_b32 s1, exec_lo, s3
                                        ; implicit-def: $vgpr96_vgpr97
	s_cbranch_execz .LBB41_14
; %bb.13:
	v_div_scale_f64 v[94:95], null, v[92:93], v[92:93], v[90:91]
	v_div_scale_f64 v[100:101], vcc_lo, v[90:91], v[92:93], v[90:91]
	v_rcp_f64_e32 v[96:97], v[94:95]
	v_fma_f64 v[98:99], -v[94:95], v[96:97], 1.0
	v_fma_f64 v[96:97], v[96:97], v[98:99], v[96:97]
	v_fma_f64 v[98:99], -v[94:95], v[96:97], 1.0
	v_fma_f64 v[96:97], v[96:97], v[98:99], v[96:97]
	v_mul_f64 v[98:99], v[100:101], v[96:97]
	v_fma_f64 v[94:95], -v[94:95], v[98:99], v[100:101]
	v_div_fmas_f64 v[94:95], v[94:95], v[96:97], v[98:99]
	v_div_fixup_f64 v[94:95], v[94:95], v[92:93], v[90:91]
	v_fma_f64 v[90:91], v[90:91], v[94:95], v[92:93]
	v_div_scale_f64 v[92:93], null, v[90:91], v[90:91], 1.0
	v_rcp_f64_e32 v[96:97], v[92:93]
	v_fma_f64 v[98:99], -v[92:93], v[96:97], 1.0
	v_fma_f64 v[96:97], v[96:97], v[98:99], v[96:97]
	v_fma_f64 v[98:99], -v[92:93], v[96:97], 1.0
	v_fma_f64 v[96:97], v[96:97], v[98:99], v[96:97]
	v_div_scale_f64 v[98:99], vcc_lo, 1.0, v[90:91], 1.0
	v_mul_f64 v[100:101], v[98:99], v[96:97]
	v_fma_f64 v[92:93], -v[92:93], v[100:101], v[98:99]
	v_div_fmas_f64 v[92:93], v[92:93], v[96:97], v[100:101]
	v_div_fixup_f64 v[96:97], v[92:93], v[90:91], 1.0
                                        ; implicit-def: $vgpr90_vgpr91
	v_mul_f64 v[94:95], v[94:95], v[96:97]
	v_xor_b32_e32 v97, 0x80000000, v97
.LBB41_14:
	s_andn2_saveexec_b32 s1, s1
	s_cbranch_execz .LBB41_16
; %bb.15:
	v_div_scale_f64 v[94:95], null, v[90:91], v[90:91], v[92:93]
	v_div_scale_f64 v[100:101], vcc_lo, v[92:93], v[90:91], v[92:93]
	v_rcp_f64_e32 v[96:97], v[94:95]
	v_fma_f64 v[98:99], -v[94:95], v[96:97], 1.0
	v_fma_f64 v[96:97], v[96:97], v[98:99], v[96:97]
	v_fma_f64 v[98:99], -v[94:95], v[96:97], 1.0
	v_fma_f64 v[96:97], v[96:97], v[98:99], v[96:97]
	v_mul_f64 v[98:99], v[100:101], v[96:97]
	v_fma_f64 v[94:95], -v[94:95], v[98:99], v[100:101]
	v_div_fmas_f64 v[94:95], v[94:95], v[96:97], v[98:99]
	v_div_fixup_f64 v[96:97], v[94:95], v[90:91], v[92:93]
	v_fma_f64 v[90:91], v[92:93], v[96:97], v[90:91]
	v_div_scale_f64 v[92:93], null, v[90:91], v[90:91], 1.0
	v_rcp_f64_e32 v[94:95], v[92:93]
	v_fma_f64 v[98:99], -v[92:93], v[94:95], 1.0
	v_fma_f64 v[94:95], v[94:95], v[98:99], v[94:95]
	v_fma_f64 v[98:99], -v[92:93], v[94:95], 1.0
	v_fma_f64 v[94:95], v[94:95], v[98:99], v[94:95]
	v_div_scale_f64 v[98:99], vcc_lo, 1.0, v[90:91], 1.0
	v_mul_f64 v[100:101], v[98:99], v[94:95]
	v_fma_f64 v[92:93], -v[92:93], v[100:101], v[98:99]
	v_div_fmas_f64 v[92:93], v[92:93], v[94:95], v[100:101]
	v_div_fixup_f64 v[94:95], v[92:93], v[90:91], 1.0
	v_mul_f64 v[96:97], v[96:97], -v[94:95]
.LBB41_16:
	s_or_b32 exec_lo, exec_lo, s1
	ds_write2_b64 v1, v[94:95], v[96:97] offset1:1
.LBB41_17:
	s_or_b32 exec_lo, exec_lo, s2
	s_waitcnt lgkmcnt(0)
	s_barrier
	buffer_gl0_inv
	ds_read2_b64 v[90:93], v1 offset1:1
	s_mov_b32 s1, exec_lo
	v_cmpx_lt_u32_e32 1, v0
	s_cbranch_execz .LBB41_19
; %bb.18:
	s_waitcnt lgkmcnt(0)
	v_mul_f64 v[94:95], v[92:93], v[4:5]
	v_mul_f64 v[4:5], v[90:91], v[4:5]
	ds_read2_b64 v[96:99], v214 offset0:4 offset1:5
	v_fma_f64 v[94:95], v[90:91], v[2:3], -v[94:95]
	v_fma_f64 v[4:5], v[92:93], v[2:3], v[4:5]
	s_waitcnt lgkmcnt(0)
	v_mul_f64 v[2:3], v[98:99], v[4:5]
	v_fma_f64 v[2:3], v[96:97], v[94:95], -v[2:3]
	v_mul_f64 v[96:97], v[96:97], v[4:5]
	v_add_f64 v[82:83], v[82:83], -v[2:3]
	v_fma_f64 v[96:97], v[98:99], v[94:95], v[96:97]
	v_add_f64 v[84:85], v[84:85], -v[96:97]
	ds_read2_b64 v[96:99], v214 offset0:6 offset1:7
	s_waitcnt lgkmcnt(0)
	v_mul_f64 v[2:3], v[98:99], v[4:5]
	v_fma_f64 v[2:3], v[96:97], v[94:95], -v[2:3]
	v_mul_f64 v[96:97], v[96:97], v[4:5]
	v_add_f64 v[78:79], v[78:79], -v[2:3]
	v_fma_f64 v[96:97], v[98:99], v[94:95], v[96:97]
	v_add_f64 v[80:81], v[80:81], -v[96:97]
	ds_read2_b64 v[96:99], v214 offset0:8 offset1:9
	;; [unrolled: 8-line block ×18, first 2 shown]
	s_waitcnt lgkmcnt(0)
	v_mul_f64 v[2:3], v[98:99], v[4:5]
	v_fma_f64 v[2:3], v[96:97], v[94:95], -v[2:3]
	v_mul_f64 v[96:97], v[96:97], v[4:5]
	v_add_f64 v[10:11], v[10:11], -v[2:3]
	v_fma_f64 v[96:97], v[98:99], v[94:95], v[96:97]
	v_mov_b32_e32 v2, v94
	v_mov_b32_e32 v3, v95
	v_add_f64 v[12:13], v[12:13], -v[96:97]
.LBB41_19:
	s_or_b32 exec_lo, exec_lo, s1
	s_mov_b32 s2, exec_lo
	s_waitcnt lgkmcnt(0)
	s_barrier
	buffer_gl0_inv
	v_cmpx_eq_u32_e32 2, v0
	s_cbranch_execz .LBB41_26
; %bb.20:
	ds_write2_b64 v1, v[82:83], v[84:85] offset1:1
	ds_write2_b64 v214, v[78:79], v[80:81] offset0:6 offset1:7
	ds_write2_b64 v214, v[74:75], v[76:77] offset0:8 offset1:9
	;; [unrolled: 1-line block ×18, first 2 shown]
	ds_read2_b64 v[94:97], v1 offset1:1
	s_waitcnt lgkmcnt(0)
	v_cmp_neq_f64_e32 vcc_lo, 0, v[94:95]
	v_cmp_neq_f64_e64 s1, 0, v[96:97]
	s_or_b32 s1, vcc_lo, s1
	s_and_b32 exec_lo, exec_lo, s1
	s_cbranch_execz .LBB41_26
; %bb.21:
	v_cmp_ngt_f64_e64 s1, |v[94:95]|, |v[96:97]|
                                        ; implicit-def: $vgpr98_vgpr99
	s_and_saveexec_b32 s3, s1
	s_xor_b32 s1, exec_lo, s3
                                        ; implicit-def: $vgpr100_vgpr101
	s_cbranch_execz .LBB41_23
; %bb.22:
	v_div_scale_f64 v[98:99], null, v[96:97], v[96:97], v[94:95]
	v_div_scale_f64 v[104:105], vcc_lo, v[94:95], v[96:97], v[94:95]
	v_rcp_f64_e32 v[100:101], v[98:99]
	v_fma_f64 v[102:103], -v[98:99], v[100:101], 1.0
	v_fma_f64 v[100:101], v[100:101], v[102:103], v[100:101]
	v_fma_f64 v[102:103], -v[98:99], v[100:101], 1.0
	v_fma_f64 v[100:101], v[100:101], v[102:103], v[100:101]
	v_mul_f64 v[102:103], v[104:105], v[100:101]
	v_fma_f64 v[98:99], -v[98:99], v[102:103], v[104:105]
	v_div_fmas_f64 v[98:99], v[98:99], v[100:101], v[102:103]
	v_div_fixup_f64 v[98:99], v[98:99], v[96:97], v[94:95]
	v_fma_f64 v[94:95], v[94:95], v[98:99], v[96:97]
	v_div_scale_f64 v[96:97], null, v[94:95], v[94:95], 1.0
	v_rcp_f64_e32 v[100:101], v[96:97]
	v_fma_f64 v[102:103], -v[96:97], v[100:101], 1.0
	v_fma_f64 v[100:101], v[100:101], v[102:103], v[100:101]
	v_fma_f64 v[102:103], -v[96:97], v[100:101], 1.0
	v_fma_f64 v[100:101], v[100:101], v[102:103], v[100:101]
	v_div_scale_f64 v[102:103], vcc_lo, 1.0, v[94:95], 1.0
	v_mul_f64 v[104:105], v[102:103], v[100:101]
	v_fma_f64 v[96:97], -v[96:97], v[104:105], v[102:103]
	v_div_fmas_f64 v[96:97], v[96:97], v[100:101], v[104:105]
	v_div_fixup_f64 v[100:101], v[96:97], v[94:95], 1.0
                                        ; implicit-def: $vgpr94_vgpr95
	v_mul_f64 v[98:99], v[98:99], v[100:101]
	v_xor_b32_e32 v101, 0x80000000, v101
.LBB41_23:
	s_andn2_saveexec_b32 s1, s1
	s_cbranch_execz .LBB41_25
; %bb.24:
	v_div_scale_f64 v[98:99], null, v[94:95], v[94:95], v[96:97]
	v_div_scale_f64 v[104:105], vcc_lo, v[96:97], v[94:95], v[96:97]
	v_rcp_f64_e32 v[100:101], v[98:99]
	v_fma_f64 v[102:103], -v[98:99], v[100:101], 1.0
	v_fma_f64 v[100:101], v[100:101], v[102:103], v[100:101]
	v_fma_f64 v[102:103], -v[98:99], v[100:101], 1.0
	v_fma_f64 v[100:101], v[100:101], v[102:103], v[100:101]
	v_mul_f64 v[102:103], v[104:105], v[100:101]
	v_fma_f64 v[98:99], -v[98:99], v[102:103], v[104:105]
	v_div_fmas_f64 v[98:99], v[98:99], v[100:101], v[102:103]
	v_div_fixup_f64 v[100:101], v[98:99], v[94:95], v[96:97]
	v_fma_f64 v[94:95], v[96:97], v[100:101], v[94:95]
	v_div_scale_f64 v[96:97], null, v[94:95], v[94:95], 1.0
	v_rcp_f64_e32 v[98:99], v[96:97]
	v_fma_f64 v[102:103], -v[96:97], v[98:99], 1.0
	v_fma_f64 v[98:99], v[98:99], v[102:103], v[98:99]
	v_fma_f64 v[102:103], -v[96:97], v[98:99], 1.0
	v_fma_f64 v[98:99], v[98:99], v[102:103], v[98:99]
	v_div_scale_f64 v[102:103], vcc_lo, 1.0, v[94:95], 1.0
	v_mul_f64 v[104:105], v[102:103], v[98:99]
	v_fma_f64 v[96:97], -v[96:97], v[104:105], v[102:103]
	v_div_fmas_f64 v[96:97], v[96:97], v[98:99], v[104:105]
	v_div_fixup_f64 v[98:99], v[96:97], v[94:95], 1.0
	v_mul_f64 v[100:101], v[100:101], -v[98:99]
.LBB41_25:
	s_or_b32 exec_lo, exec_lo, s1
	ds_write2_b64 v1, v[98:99], v[100:101] offset1:1
.LBB41_26:
	s_or_b32 exec_lo, exec_lo, s2
	s_waitcnt lgkmcnt(0)
	s_barrier
	buffer_gl0_inv
	ds_read2_b64 v[94:97], v1 offset1:1
	s_mov_b32 s1, exec_lo
	v_cmpx_lt_u32_e32 2, v0
	s_cbranch_execz .LBB41_28
; %bb.27:
	s_waitcnt lgkmcnt(0)
	v_mul_f64 v[98:99], v[96:97], v[84:85]
	v_mul_f64 v[84:85], v[94:95], v[84:85]
	ds_read2_b64 v[100:103], v214 offset0:6 offset1:7
	v_fma_f64 v[98:99], v[94:95], v[82:83], -v[98:99]
	v_fma_f64 v[84:85], v[96:97], v[82:83], v[84:85]
	s_waitcnt lgkmcnt(0)
	v_mul_f64 v[82:83], v[102:103], v[84:85]
	v_fma_f64 v[82:83], v[100:101], v[98:99], -v[82:83]
	v_mul_f64 v[100:101], v[100:101], v[84:85]
	v_add_f64 v[78:79], v[78:79], -v[82:83]
	v_fma_f64 v[100:101], v[102:103], v[98:99], v[100:101]
	v_add_f64 v[80:81], v[80:81], -v[100:101]
	ds_read2_b64 v[100:103], v214 offset0:8 offset1:9
	s_waitcnt lgkmcnt(0)
	v_mul_f64 v[82:83], v[102:103], v[84:85]
	v_fma_f64 v[82:83], v[100:101], v[98:99], -v[82:83]
	v_mul_f64 v[100:101], v[100:101], v[84:85]
	v_add_f64 v[74:75], v[74:75], -v[82:83]
	v_fma_f64 v[100:101], v[102:103], v[98:99], v[100:101]
	v_add_f64 v[76:77], v[76:77], -v[100:101]
	ds_read2_b64 v[100:103], v214 offset0:10 offset1:11
	;; [unrolled: 8-line block ×17, first 2 shown]
	s_waitcnt lgkmcnt(0)
	v_mul_f64 v[82:83], v[102:103], v[84:85]
	v_fma_f64 v[82:83], v[100:101], v[98:99], -v[82:83]
	v_mul_f64 v[100:101], v[100:101], v[84:85]
	v_add_f64 v[10:11], v[10:11], -v[82:83]
	v_fma_f64 v[100:101], v[102:103], v[98:99], v[100:101]
	v_mov_b32_e32 v82, v98
	v_mov_b32_e32 v83, v99
	v_add_f64 v[12:13], v[12:13], -v[100:101]
.LBB41_28:
	s_or_b32 exec_lo, exec_lo, s1
	s_mov_b32 s2, exec_lo
	s_waitcnt lgkmcnt(0)
	s_barrier
	buffer_gl0_inv
	v_cmpx_eq_u32_e32 3, v0
	s_cbranch_execz .LBB41_35
; %bb.29:
	ds_write2_b64 v1, v[78:79], v[80:81] offset1:1
	ds_write2_b64 v214, v[74:75], v[76:77] offset0:8 offset1:9
	ds_write2_b64 v214, v[70:71], v[72:73] offset0:10 offset1:11
	;; [unrolled: 1-line block ×17, first 2 shown]
	ds_read2_b64 v[98:101], v1 offset1:1
	s_waitcnt lgkmcnt(0)
	v_cmp_neq_f64_e32 vcc_lo, 0, v[98:99]
	v_cmp_neq_f64_e64 s1, 0, v[100:101]
	s_or_b32 s1, vcc_lo, s1
	s_and_b32 exec_lo, exec_lo, s1
	s_cbranch_execz .LBB41_35
; %bb.30:
	v_cmp_ngt_f64_e64 s1, |v[98:99]|, |v[100:101]|
                                        ; implicit-def: $vgpr102_vgpr103
	s_and_saveexec_b32 s3, s1
	s_xor_b32 s1, exec_lo, s3
                                        ; implicit-def: $vgpr104_vgpr105
	s_cbranch_execz .LBB41_32
; %bb.31:
	v_div_scale_f64 v[102:103], null, v[100:101], v[100:101], v[98:99]
	v_div_scale_f64 v[108:109], vcc_lo, v[98:99], v[100:101], v[98:99]
	v_rcp_f64_e32 v[104:105], v[102:103]
	v_fma_f64 v[106:107], -v[102:103], v[104:105], 1.0
	v_fma_f64 v[104:105], v[104:105], v[106:107], v[104:105]
	v_fma_f64 v[106:107], -v[102:103], v[104:105], 1.0
	v_fma_f64 v[104:105], v[104:105], v[106:107], v[104:105]
	v_mul_f64 v[106:107], v[108:109], v[104:105]
	v_fma_f64 v[102:103], -v[102:103], v[106:107], v[108:109]
	v_div_fmas_f64 v[102:103], v[102:103], v[104:105], v[106:107]
	v_div_fixup_f64 v[102:103], v[102:103], v[100:101], v[98:99]
	v_fma_f64 v[98:99], v[98:99], v[102:103], v[100:101]
	v_div_scale_f64 v[100:101], null, v[98:99], v[98:99], 1.0
	v_rcp_f64_e32 v[104:105], v[100:101]
	v_fma_f64 v[106:107], -v[100:101], v[104:105], 1.0
	v_fma_f64 v[104:105], v[104:105], v[106:107], v[104:105]
	v_fma_f64 v[106:107], -v[100:101], v[104:105], 1.0
	v_fma_f64 v[104:105], v[104:105], v[106:107], v[104:105]
	v_div_scale_f64 v[106:107], vcc_lo, 1.0, v[98:99], 1.0
	v_mul_f64 v[108:109], v[106:107], v[104:105]
	v_fma_f64 v[100:101], -v[100:101], v[108:109], v[106:107]
	v_div_fmas_f64 v[100:101], v[100:101], v[104:105], v[108:109]
	v_div_fixup_f64 v[104:105], v[100:101], v[98:99], 1.0
                                        ; implicit-def: $vgpr98_vgpr99
	v_mul_f64 v[102:103], v[102:103], v[104:105]
	v_xor_b32_e32 v105, 0x80000000, v105
.LBB41_32:
	s_andn2_saveexec_b32 s1, s1
	s_cbranch_execz .LBB41_34
; %bb.33:
	v_div_scale_f64 v[102:103], null, v[98:99], v[98:99], v[100:101]
	v_div_scale_f64 v[108:109], vcc_lo, v[100:101], v[98:99], v[100:101]
	v_rcp_f64_e32 v[104:105], v[102:103]
	v_fma_f64 v[106:107], -v[102:103], v[104:105], 1.0
	v_fma_f64 v[104:105], v[104:105], v[106:107], v[104:105]
	v_fma_f64 v[106:107], -v[102:103], v[104:105], 1.0
	v_fma_f64 v[104:105], v[104:105], v[106:107], v[104:105]
	v_mul_f64 v[106:107], v[108:109], v[104:105]
	v_fma_f64 v[102:103], -v[102:103], v[106:107], v[108:109]
	v_div_fmas_f64 v[102:103], v[102:103], v[104:105], v[106:107]
	v_div_fixup_f64 v[104:105], v[102:103], v[98:99], v[100:101]
	v_fma_f64 v[98:99], v[100:101], v[104:105], v[98:99]
	v_div_scale_f64 v[100:101], null, v[98:99], v[98:99], 1.0
	v_rcp_f64_e32 v[102:103], v[100:101]
	v_fma_f64 v[106:107], -v[100:101], v[102:103], 1.0
	v_fma_f64 v[102:103], v[102:103], v[106:107], v[102:103]
	v_fma_f64 v[106:107], -v[100:101], v[102:103], 1.0
	v_fma_f64 v[102:103], v[102:103], v[106:107], v[102:103]
	v_div_scale_f64 v[106:107], vcc_lo, 1.0, v[98:99], 1.0
	v_mul_f64 v[108:109], v[106:107], v[102:103]
	v_fma_f64 v[100:101], -v[100:101], v[108:109], v[106:107]
	v_div_fmas_f64 v[100:101], v[100:101], v[102:103], v[108:109]
	v_div_fixup_f64 v[102:103], v[100:101], v[98:99], 1.0
	v_mul_f64 v[104:105], v[104:105], -v[102:103]
.LBB41_34:
	s_or_b32 exec_lo, exec_lo, s1
	ds_write2_b64 v1, v[102:103], v[104:105] offset1:1
.LBB41_35:
	s_or_b32 exec_lo, exec_lo, s2
	s_waitcnt lgkmcnt(0)
	s_barrier
	buffer_gl0_inv
	ds_read2_b64 v[98:101], v1 offset1:1
	s_mov_b32 s1, exec_lo
	v_cmpx_lt_u32_e32 3, v0
	s_cbranch_execz .LBB41_37
; %bb.36:
	s_waitcnt lgkmcnt(0)
	v_mul_f64 v[102:103], v[100:101], v[80:81]
	v_mul_f64 v[80:81], v[98:99], v[80:81]
	ds_read2_b64 v[104:107], v214 offset0:8 offset1:9
	v_fma_f64 v[102:103], v[98:99], v[78:79], -v[102:103]
	v_fma_f64 v[80:81], v[100:101], v[78:79], v[80:81]
	s_waitcnt lgkmcnt(0)
	v_mul_f64 v[78:79], v[106:107], v[80:81]
	v_fma_f64 v[78:79], v[104:105], v[102:103], -v[78:79]
	v_mul_f64 v[104:105], v[104:105], v[80:81]
	v_add_f64 v[74:75], v[74:75], -v[78:79]
	v_fma_f64 v[104:105], v[106:107], v[102:103], v[104:105]
	v_add_f64 v[76:77], v[76:77], -v[104:105]
	ds_read2_b64 v[104:107], v214 offset0:10 offset1:11
	s_waitcnt lgkmcnt(0)
	v_mul_f64 v[78:79], v[106:107], v[80:81]
	v_fma_f64 v[78:79], v[104:105], v[102:103], -v[78:79]
	v_mul_f64 v[104:105], v[104:105], v[80:81]
	v_add_f64 v[70:71], v[70:71], -v[78:79]
	v_fma_f64 v[104:105], v[106:107], v[102:103], v[104:105]
	v_add_f64 v[72:73], v[72:73], -v[104:105]
	ds_read2_b64 v[104:107], v214 offset0:12 offset1:13
	;; [unrolled: 8-line block ×16, first 2 shown]
	s_waitcnt lgkmcnt(0)
	v_mul_f64 v[78:79], v[106:107], v[80:81]
	v_fma_f64 v[78:79], v[104:105], v[102:103], -v[78:79]
	v_mul_f64 v[104:105], v[104:105], v[80:81]
	v_add_f64 v[10:11], v[10:11], -v[78:79]
	v_fma_f64 v[104:105], v[106:107], v[102:103], v[104:105]
	v_mov_b32_e32 v78, v102
	v_mov_b32_e32 v79, v103
	v_add_f64 v[12:13], v[12:13], -v[104:105]
.LBB41_37:
	s_or_b32 exec_lo, exec_lo, s1
	s_mov_b32 s2, exec_lo
	s_waitcnt lgkmcnt(0)
	s_barrier
	buffer_gl0_inv
	v_cmpx_eq_u32_e32 4, v0
	s_cbranch_execz .LBB41_44
; %bb.38:
	ds_write2_b64 v1, v[74:75], v[76:77] offset1:1
	ds_write2_b64 v214, v[70:71], v[72:73] offset0:10 offset1:11
	ds_write2_b64 v214, v[66:67], v[68:69] offset0:12 offset1:13
	;; [unrolled: 1-line block ×16, first 2 shown]
	ds_read2_b64 v[102:105], v1 offset1:1
	s_waitcnt lgkmcnt(0)
	v_cmp_neq_f64_e32 vcc_lo, 0, v[102:103]
	v_cmp_neq_f64_e64 s1, 0, v[104:105]
	s_or_b32 s1, vcc_lo, s1
	s_and_b32 exec_lo, exec_lo, s1
	s_cbranch_execz .LBB41_44
; %bb.39:
	v_cmp_ngt_f64_e64 s1, |v[102:103]|, |v[104:105]|
                                        ; implicit-def: $vgpr106_vgpr107
	s_and_saveexec_b32 s3, s1
	s_xor_b32 s1, exec_lo, s3
                                        ; implicit-def: $vgpr108_vgpr109
	s_cbranch_execz .LBB41_41
; %bb.40:
	v_div_scale_f64 v[106:107], null, v[104:105], v[104:105], v[102:103]
	v_div_scale_f64 v[112:113], vcc_lo, v[102:103], v[104:105], v[102:103]
	v_rcp_f64_e32 v[108:109], v[106:107]
	v_fma_f64 v[110:111], -v[106:107], v[108:109], 1.0
	v_fma_f64 v[108:109], v[108:109], v[110:111], v[108:109]
	v_fma_f64 v[110:111], -v[106:107], v[108:109], 1.0
	v_fma_f64 v[108:109], v[108:109], v[110:111], v[108:109]
	v_mul_f64 v[110:111], v[112:113], v[108:109]
	v_fma_f64 v[106:107], -v[106:107], v[110:111], v[112:113]
	v_div_fmas_f64 v[106:107], v[106:107], v[108:109], v[110:111]
	v_div_fixup_f64 v[106:107], v[106:107], v[104:105], v[102:103]
	v_fma_f64 v[102:103], v[102:103], v[106:107], v[104:105]
	v_div_scale_f64 v[104:105], null, v[102:103], v[102:103], 1.0
	v_rcp_f64_e32 v[108:109], v[104:105]
	v_fma_f64 v[110:111], -v[104:105], v[108:109], 1.0
	v_fma_f64 v[108:109], v[108:109], v[110:111], v[108:109]
	v_fma_f64 v[110:111], -v[104:105], v[108:109], 1.0
	v_fma_f64 v[108:109], v[108:109], v[110:111], v[108:109]
	v_div_scale_f64 v[110:111], vcc_lo, 1.0, v[102:103], 1.0
	v_mul_f64 v[112:113], v[110:111], v[108:109]
	v_fma_f64 v[104:105], -v[104:105], v[112:113], v[110:111]
	v_div_fmas_f64 v[104:105], v[104:105], v[108:109], v[112:113]
	v_div_fixup_f64 v[108:109], v[104:105], v[102:103], 1.0
                                        ; implicit-def: $vgpr102_vgpr103
	v_mul_f64 v[106:107], v[106:107], v[108:109]
	v_xor_b32_e32 v109, 0x80000000, v109
.LBB41_41:
	s_andn2_saveexec_b32 s1, s1
	s_cbranch_execz .LBB41_43
; %bb.42:
	v_div_scale_f64 v[106:107], null, v[102:103], v[102:103], v[104:105]
	v_div_scale_f64 v[112:113], vcc_lo, v[104:105], v[102:103], v[104:105]
	v_rcp_f64_e32 v[108:109], v[106:107]
	v_fma_f64 v[110:111], -v[106:107], v[108:109], 1.0
	v_fma_f64 v[108:109], v[108:109], v[110:111], v[108:109]
	v_fma_f64 v[110:111], -v[106:107], v[108:109], 1.0
	v_fma_f64 v[108:109], v[108:109], v[110:111], v[108:109]
	v_mul_f64 v[110:111], v[112:113], v[108:109]
	v_fma_f64 v[106:107], -v[106:107], v[110:111], v[112:113]
	v_div_fmas_f64 v[106:107], v[106:107], v[108:109], v[110:111]
	v_div_fixup_f64 v[108:109], v[106:107], v[102:103], v[104:105]
	v_fma_f64 v[102:103], v[104:105], v[108:109], v[102:103]
	v_div_scale_f64 v[104:105], null, v[102:103], v[102:103], 1.0
	v_rcp_f64_e32 v[106:107], v[104:105]
	v_fma_f64 v[110:111], -v[104:105], v[106:107], 1.0
	v_fma_f64 v[106:107], v[106:107], v[110:111], v[106:107]
	v_fma_f64 v[110:111], -v[104:105], v[106:107], 1.0
	v_fma_f64 v[106:107], v[106:107], v[110:111], v[106:107]
	v_div_scale_f64 v[110:111], vcc_lo, 1.0, v[102:103], 1.0
	v_mul_f64 v[112:113], v[110:111], v[106:107]
	v_fma_f64 v[104:105], -v[104:105], v[112:113], v[110:111]
	v_div_fmas_f64 v[104:105], v[104:105], v[106:107], v[112:113]
	v_div_fixup_f64 v[106:107], v[104:105], v[102:103], 1.0
	v_mul_f64 v[108:109], v[108:109], -v[106:107]
.LBB41_43:
	s_or_b32 exec_lo, exec_lo, s1
	ds_write2_b64 v1, v[106:107], v[108:109] offset1:1
.LBB41_44:
	s_or_b32 exec_lo, exec_lo, s2
	s_waitcnt lgkmcnt(0)
	s_barrier
	buffer_gl0_inv
	ds_read2_b64 v[102:105], v1 offset1:1
	s_mov_b32 s1, exec_lo
	v_cmpx_lt_u32_e32 4, v0
	s_cbranch_execz .LBB41_46
; %bb.45:
	s_waitcnt lgkmcnt(0)
	v_mul_f64 v[106:107], v[102:103], v[76:77]
	v_mul_f64 v[76:77], v[104:105], v[76:77]
	ds_read2_b64 v[108:111], v214 offset0:10 offset1:11
	v_fma_f64 v[106:107], v[104:105], v[74:75], v[106:107]
	v_fma_f64 v[74:75], v[102:103], v[74:75], -v[76:77]
	s_waitcnt lgkmcnt(0)
	v_mul_f64 v[76:77], v[110:111], v[106:107]
	v_fma_f64 v[76:77], v[108:109], v[74:75], -v[76:77]
	v_mul_f64 v[108:109], v[108:109], v[106:107]
	v_add_f64 v[70:71], v[70:71], -v[76:77]
	v_fma_f64 v[108:109], v[110:111], v[74:75], v[108:109]
	v_add_f64 v[72:73], v[72:73], -v[108:109]
	ds_read2_b64 v[108:111], v214 offset0:12 offset1:13
	s_waitcnt lgkmcnt(0)
	v_mul_f64 v[76:77], v[110:111], v[106:107]
	v_fma_f64 v[76:77], v[108:109], v[74:75], -v[76:77]
	v_mul_f64 v[108:109], v[108:109], v[106:107]
	v_add_f64 v[66:67], v[66:67], -v[76:77]
	v_fma_f64 v[108:109], v[110:111], v[74:75], v[108:109]
	v_add_f64 v[68:69], v[68:69], -v[108:109]
	ds_read2_b64 v[108:111], v214 offset0:14 offset1:15
	;; [unrolled: 8-line block ×15, first 2 shown]
	s_waitcnt lgkmcnt(0)
	v_mul_f64 v[76:77], v[110:111], v[106:107]
	v_fma_f64 v[76:77], v[108:109], v[74:75], -v[76:77]
	v_mul_f64 v[108:109], v[108:109], v[106:107]
	v_add_f64 v[10:11], v[10:11], -v[76:77]
	v_fma_f64 v[108:109], v[110:111], v[74:75], v[108:109]
	v_mov_b32_e32 v76, v106
	v_mov_b32_e32 v77, v107
	v_add_f64 v[12:13], v[12:13], -v[108:109]
.LBB41_46:
	s_or_b32 exec_lo, exec_lo, s1
	s_mov_b32 s2, exec_lo
	s_waitcnt lgkmcnt(0)
	s_barrier
	buffer_gl0_inv
	v_cmpx_eq_u32_e32 5, v0
	s_cbranch_execz .LBB41_53
; %bb.47:
	ds_write2_b64 v1, v[70:71], v[72:73] offset1:1
	ds_write2_b64 v214, v[66:67], v[68:69] offset0:12 offset1:13
	ds_write2_b64 v214, v[62:63], v[64:65] offset0:14 offset1:15
	;; [unrolled: 1-line block ×15, first 2 shown]
	ds_read2_b64 v[106:109], v1 offset1:1
	s_waitcnt lgkmcnt(0)
	v_cmp_neq_f64_e32 vcc_lo, 0, v[106:107]
	v_cmp_neq_f64_e64 s1, 0, v[108:109]
	s_or_b32 s1, vcc_lo, s1
	s_and_b32 exec_lo, exec_lo, s1
	s_cbranch_execz .LBB41_53
; %bb.48:
	v_cmp_ngt_f64_e64 s1, |v[106:107]|, |v[108:109]|
                                        ; implicit-def: $vgpr110_vgpr111
	s_and_saveexec_b32 s3, s1
	s_xor_b32 s1, exec_lo, s3
                                        ; implicit-def: $vgpr112_vgpr113
	s_cbranch_execz .LBB41_50
; %bb.49:
	v_div_scale_f64 v[110:111], null, v[108:109], v[108:109], v[106:107]
	v_div_scale_f64 v[116:117], vcc_lo, v[106:107], v[108:109], v[106:107]
	v_rcp_f64_e32 v[112:113], v[110:111]
	v_fma_f64 v[114:115], -v[110:111], v[112:113], 1.0
	v_fma_f64 v[112:113], v[112:113], v[114:115], v[112:113]
	v_fma_f64 v[114:115], -v[110:111], v[112:113], 1.0
	v_fma_f64 v[112:113], v[112:113], v[114:115], v[112:113]
	v_mul_f64 v[114:115], v[116:117], v[112:113]
	v_fma_f64 v[110:111], -v[110:111], v[114:115], v[116:117]
	v_div_fmas_f64 v[110:111], v[110:111], v[112:113], v[114:115]
	v_div_fixup_f64 v[110:111], v[110:111], v[108:109], v[106:107]
	v_fma_f64 v[106:107], v[106:107], v[110:111], v[108:109]
	v_div_scale_f64 v[108:109], null, v[106:107], v[106:107], 1.0
	v_rcp_f64_e32 v[112:113], v[108:109]
	v_fma_f64 v[114:115], -v[108:109], v[112:113], 1.0
	v_fma_f64 v[112:113], v[112:113], v[114:115], v[112:113]
	v_fma_f64 v[114:115], -v[108:109], v[112:113], 1.0
	v_fma_f64 v[112:113], v[112:113], v[114:115], v[112:113]
	v_div_scale_f64 v[114:115], vcc_lo, 1.0, v[106:107], 1.0
	v_mul_f64 v[116:117], v[114:115], v[112:113]
	v_fma_f64 v[108:109], -v[108:109], v[116:117], v[114:115]
	v_div_fmas_f64 v[108:109], v[108:109], v[112:113], v[116:117]
	v_div_fixup_f64 v[112:113], v[108:109], v[106:107], 1.0
                                        ; implicit-def: $vgpr106_vgpr107
	v_mul_f64 v[110:111], v[110:111], v[112:113]
	v_xor_b32_e32 v113, 0x80000000, v113
.LBB41_50:
	s_andn2_saveexec_b32 s1, s1
	s_cbranch_execz .LBB41_52
; %bb.51:
	v_div_scale_f64 v[110:111], null, v[106:107], v[106:107], v[108:109]
	v_div_scale_f64 v[116:117], vcc_lo, v[108:109], v[106:107], v[108:109]
	v_rcp_f64_e32 v[112:113], v[110:111]
	v_fma_f64 v[114:115], -v[110:111], v[112:113], 1.0
	v_fma_f64 v[112:113], v[112:113], v[114:115], v[112:113]
	v_fma_f64 v[114:115], -v[110:111], v[112:113], 1.0
	v_fma_f64 v[112:113], v[112:113], v[114:115], v[112:113]
	v_mul_f64 v[114:115], v[116:117], v[112:113]
	v_fma_f64 v[110:111], -v[110:111], v[114:115], v[116:117]
	v_div_fmas_f64 v[110:111], v[110:111], v[112:113], v[114:115]
	v_div_fixup_f64 v[112:113], v[110:111], v[106:107], v[108:109]
	v_fma_f64 v[106:107], v[108:109], v[112:113], v[106:107]
	v_div_scale_f64 v[108:109], null, v[106:107], v[106:107], 1.0
	v_rcp_f64_e32 v[110:111], v[108:109]
	v_fma_f64 v[114:115], -v[108:109], v[110:111], 1.0
	v_fma_f64 v[110:111], v[110:111], v[114:115], v[110:111]
	v_fma_f64 v[114:115], -v[108:109], v[110:111], 1.0
	v_fma_f64 v[110:111], v[110:111], v[114:115], v[110:111]
	v_div_scale_f64 v[114:115], vcc_lo, 1.0, v[106:107], 1.0
	v_mul_f64 v[116:117], v[114:115], v[110:111]
	v_fma_f64 v[108:109], -v[108:109], v[116:117], v[114:115]
	v_div_fmas_f64 v[108:109], v[108:109], v[110:111], v[116:117]
	v_div_fixup_f64 v[110:111], v[108:109], v[106:107], 1.0
	v_mul_f64 v[112:113], v[112:113], -v[110:111]
.LBB41_52:
	s_or_b32 exec_lo, exec_lo, s1
	ds_write2_b64 v1, v[110:111], v[112:113] offset1:1
.LBB41_53:
	s_or_b32 exec_lo, exec_lo, s2
	s_waitcnt lgkmcnt(0)
	s_barrier
	buffer_gl0_inv
	ds_read2_b64 v[106:109], v1 offset1:1
	s_mov_b32 s1, exec_lo
	v_cmpx_lt_u32_e32 5, v0
	s_cbranch_execz .LBB41_55
; %bb.54:
	s_waitcnt lgkmcnt(0)
	v_mul_f64 v[110:111], v[106:107], v[72:73]
	v_mul_f64 v[72:73], v[108:109], v[72:73]
	ds_read2_b64 v[112:115], v214 offset0:12 offset1:13
	v_fma_f64 v[110:111], v[108:109], v[70:71], v[110:111]
	v_fma_f64 v[70:71], v[106:107], v[70:71], -v[72:73]
	s_waitcnt lgkmcnt(0)
	v_mul_f64 v[72:73], v[114:115], v[110:111]
	v_fma_f64 v[72:73], v[112:113], v[70:71], -v[72:73]
	v_mul_f64 v[112:113], v[112:113], v[110:111]
	v_add_f64 v[66:67], v[66:67], -v[72:73]
	v_fma_f64 v[112:113], v[114:115], v[70:71], v[112:113]
	v_add_f64 v[68:69], v[68:69], -v[112:113]
	ds_read2_b64 v[112:115], v214 offset0:14 offset1:15
	s_waitcnt lgkmcnt(0)
	v_mul_f64 v[72:73], v[114:115], v[110:111]
	v_fma_f64 v[72:73], v[112:113], v[70:71], -v[72:73]
	v_mul_f64 v[112:113], v[112:113], v[110:111]
	v_add_f64 v[62:63], v[62:63], -v[72:73]
	v_fma_f64 v[112:113], v[114:115], v[70:71], v[112:113]
	v_add_f64 v[64:65], v[64:65], -v[112:113]
	ds_read2_b64 v[112:115], v214 offset0:16 offset1:17
	;; [unrolled: 8-line block ×14, first 2 shown]
	s_waitcnt lgkmcnt(0)
	v_mul_f64 v[72:73], v[114:115], v[110:111]
	v_fma_f64 v[72:73], v[112:113], v[70:71], -v[72:73]
	v_mul_f64 v[112:113], v[112:113], v[110:111]
	v_add_f64 v[10:11], v[10:11], -v[72:73]
	v_fma_f64 v[112:113], v[114:115], v[70:71], v[112:113]
	v_mov_b32_e32 v72, v110
	v_mov_b32_e32 v73, v111
	v_add_f64 v[12:13], v[12:13], -v[112:113]
.LBB41_55:
	s_or_b32 exec_lo, exec_lo, s1
	s_mov_b32 s2, exec_lo
	s_waitcnt lgkmcnt(0)
	s_barrier
	buffer_gl0_inv
	v_cmpx_eq_u32_e32 6, v0
	s_cbranch_execz .LBB41_62
; %bb.56:
	ds_write2_b64 v1, v[66:67], v[68:69] offset1:1
	ds_write2_b64 v214, v[62:63], v[64:65] offset0:14 offset1:15
	ds_write2_b64 v214, v[58:59], v[60:61] offset0:16 offset1:17
	ds_write2_b64 v214, v[54:55], v[56:57] offset0:18 offset1:19
	ds_write2_b64 v214, v[50:51], v[52:53] offset0:20 offset1:21
	ds_write2_b64 v214, v[46:47], v[48:49] offset0:22 offset1:23
	ds_write2_b64 v214, v[42:43], v[44:45] offset0:24 offset1:25
	ds_write2_b64 v214, v[38:39], v[40:41] offset0:26 offset1:27
	ds_write2_b64 v214, v[34:35], v[36:37] offset0:28 offset1:29
	ds_write2_b64 v214, v[30:31], v[32:33] offset0:30 offset1:31
	ds_write2_b64 v214, v[26:27], v[28:29] offset0:32 offset1:33
	ds_write2_b64 v214, v[22:23], v[24:25] offset0:34 offset1:35
	ds_write2_b64 v214, v[18:19], v[20:21] offset0:36 offset1:37
	ds_write2_b64 v214, v[14:15], v[16:17] offset0:38 offset1:39
	ds_write2_b64 v214, v[10:11], v[12:13] offset0:40 offset1:41
	ds_read2_b64 v[110:113], v1 offset1:1
	s_waitcnt lgkmcnt(0)
	v_cmp_neq_f64_e32 vcc_lo, 0, v[110:111]
	v_cmp_neq_f64_e64 s1, 0, v[112:113]
	s_or_b32 s1, vcc_lo, s1
	s_and_b32 exec_lo, exec_lo, s1
	s_cbranch_execz .LBB41_62
; %bb.57:
	v_cmp_ngt_f64_e64 s1, |v[110:111]|, |v[112:113]|
                                        ; implicit-def: $vgpr114_vgpr115
	s_and_saveexec_b32 s3, s1
	s_xor_b32 s1, exec_lo, s3
                                        ; implicit-def: $vgpr116_vgpr117
	s_cbranch_execz .LBB41_59
; %bb.58:
	v_div_scale_f64 v[114:115], null, v[112:113], v[112:113], v[110:111]
	v_div_scale_f64 v[120:121], vcc_lo, v[110:111], v[112:113], v[110:111]
	v_rcp_f64_e32 v[116:117], v[114:115]
	v_fma_f64 v[118:119], -v[114:115], v[116:117], 1.0
	v_fma_f64 v[116:117], v[116:117], v[118:119], v[116:117]
	v_fma_f64 v[118:119], -v[114:115], v[116:117], 1.0
	v_fma_f64 v[116:117], v[116:117], v[118:119], v[116:117]
	v_mul_f64 v[118:119], v[120:121], v[116:117]
	v_fma_f64 v[114:115], -v[114:115], v[118:119], v[120:121]
	v_div_fmas_f64 v[114:115], v[114:115], v[116:117], v[118:119]
	v_div_fixup_f64 v[114:115], v[114:115], v[112:113], v[110:111]
	v_fma_f64 v[110:111], v[110:111], v[114:115], v[112:113]
	v_div_scale_f64 v[112:113], null, v[110:111], v[110:111], 1.0
	v_rcp_f64_e32 v[116:117], v[112:113]
	v_fma_f64 v[118:119], -v[112:113], v[116:117], 1.0
	v_fma_f64 v[116:117], v[116:117], v[118:119], v[116:117]
	v_fma_f64 v[118:119], -v[112:113], v[116:117], 1.0
	v_fma_f64 v[116:117], v[116:117], v[118:119], v[116:117]
	v_div_scale_f64 v[118:119], vcc_lo, 1.0, v[110:111], 1.0
	v_mul_f64 v[120:121], v[118:119], v[116:117]
	v_fma_f64 v[112:113], -v[112:113], v[120:121], v[118:119]
	v_div_fmas_f64 v[112:113], v[112:113], v[116:117], v[120:121]
	v_div_fixup_f64 v[116:117], v[112:113], v[110:111], 1.0
                                        ; implicit-def: $vgpr110_vgpr111
	v_mul_f64 v[114:115], v[114:115], v[116:117]
	v_xor_b32_e32 v117, 0x80000000, v117
.LBB41_59:
	s_andn2_saveexec_b32 s1, s1
	s_cbranch_execz .LBB41_61
; %bb.60:
	v_div_scale_f64 v[114:115], null, v[110:111], v[110:111], v[112:113]
	v_div_scale_f64 v[120:121], vcc_lo, v[112:113], v[110:111], v[112:113]
	v_rcp_f64_e32 v[116:117], v[114:115]
	v_fma_f64 v[118:119], -v[114:115], v[116:117], 1.0
	v_fma_f64 v[116:117], v[116:117], v[118:119], v[116:117]
	v_fma_f64 v[118:119], -v[114:115], v[116:117], 1.0
	v_fma_f64 v[116:117], v[116:117], v[118:119], v[116:117]
	v_mul_f64 v[118:119], v[120:121], v[116:117]
	v_fma_f64 v[114:115], -v[114:115], v[118:119], v[120:121]
	v_div_fmas_f64 v[114:115], v[114:115], v[116:117], v[118:119]
	v_div_fixup_f64 v[116:117], v[114:115], v[110:111], v[112:113]
	v_fma_f64 v[110:111], v[112:113], v[116:117], v[110:111]
	v_div_scale_f64 v[112:113], null, v[110:111], v[110:111], 1.0
	v_rcp_f64_e32 v[114:115], v[112:113]
	v_fma_f64 v[118:119], -v[112:113], v[114:115], 1.0
	v_fma_f64 v[114:115], v[114:115], v[118:119], v[114:115]
	v_fma_f64 v[118:119], -v[112:113], v[114:115], 1.0
	v_fma_f64 v[114:115], v[114:115], v[118:119], v[114:115]
	v_div_scale_f64 v[118:119], vcc_lo, 1.0, v[110:111], 1.0
	v_mul_f64 v[120:121], v[118:119], v[114:115]
	v_fma_f64 v[112:113], -v[112:113], v[120:121], v[118:119]
	v_div_fmas_f64 v[112:113], v[112:113], v[114:115], v[120:121]
	v_div_fixup_f64 v[114:115], v[112:113], v[110:111], 1.0
	v_mul_f64 v[116:117], v[116:117], -v[114:115]
.LBB41_61:
	s_or_b32 exec_lo, exec_lo, s1
	ds_write2_b64 v1, v[114:115], v[116:117] offset1:1
.LBB41_62:
	s_or_b32 exec_lo, exec_lo, s2
	s_waitcnt lgkmcnt(0)
	s_barrier
	buffer_gl0_inv
	ds_read2_b64 v[110:113], v1 offset1:1
	s_mov_b32 s1, exec_lo
	v_cmpx_lt_u32_e32 6, v0
	s_cbranch_execz .LBB41_64
; %bb.63:
	s_waitcnt lgkmcnt(0)
	v_mul_f64 v[114:115], v[110:111], v[68:69]
	v_mul_f64 v[68:69], v[112:113], v[68:69]
	v_fma_f64 v[118:119], v[112:113], v[66:67], v[114:115]
	ds_read2_b64 v[114:117], v214 offset0:14 offset1:15
	v_fma_f64 v[66:67], v[110:111], v[66:67], -v[68:69]
	s_waitcnt lgkmcnt(0)
	v_mul_f64 v[68:69], v[116:117], v[118:119]
	v_fma_f64 v[68:69], v[114:115], v[66:67], -v[68:69]
	v_mul_f64 v[114:115], v[114:115], v[118:119]
	v_add_f64 v[62:63], v[62:63], -v[68:69]
	v_fma_f64 v[114:115], v[116:117], v[66:67], v[114:115]
	v_add_f64 v[64:65], v[64:65], -v[114:115]
	ds_read2_b64 v[114:117], v214 offset0:16 offset1:17
	s_waitcnt lgkmcnt(0)
	v_mul_f64 v[68:69], v[116:117], v[118:119]
	v_fma_f64 v[68:69], v[114:115], v[66:67], -v[68:69]
	v_mul_f64 v[114:115], v[114:115], v[118:119]
	v_add_f64 v[58:59], v[58:59], -v[68:69]
	v_fma_f64 v[114:115], v[116:117], v[66:67], v[114:115]
	v_add_f64 v[60:61], v[60:61], -v[114:115]
	ds_read2_b64 v[114:117], v214 offset0:18 offset1:19
	;; [unrolled: 8-line block ×13, first 2 shown]
	s_waitcnt lgkmcnt(0)
	v_mul_f64 v[68:69], v[116:117], v[118:119]
	v_fma_f64 v[68:69], v[114:115], v[66:67], -v[68:69]
	v_mul_f64 v[114:115], v[114:115], v[118:119]
	v_add_f64 v[10:11], v[10:11], -v[68:69]
	v_fma_f64 v[114:115], v[116:117], v[66:67], v[114:115]
	v_mov_b32_e32 v68, v118
	v_mov_b32_e32 v69, v119
	v_add_f64 v[12:13], v[12:13], -v[114:115]
.LBB41_64:
	s_or_b32 exec_lo, exec_lo, s1
	s_mov_b32 s2, exec_lo
	s_waitcnt lgkmcnt(0)
	s_barrier
	buffer_gl0_inv
	v_cmpx_eq_u32_e32 7, v0
	s_cbranch_execz .LBB41_71
; %bb.65:
	ds_write2_b64 v1, v[62:63], v[64:65] offset1:1
	ds_write2_b64 v214, v[58:59], v[60:61] offset0:16 offset1:17
	ds_write2_b64 v214, v[54:55], v[56:57] offset0:18 offset1:19
	;; [unrolled: 1-line block ×13, first 2 shown]
	ds_read2_b64 v[114:117], v1 offset1:1
	s_waitcnt lgkmcnt(0)
	v_cmp_neq_f64_e32 vcc_lo, 0, v[114:115]
	v_cmp_neq_f64_e64 s1, 0, v[116:117]
	s_or_b32 s1, vcc_lo, s1
	s_and_b32 exec_lo, exec_lo, s1
	s_cbranch_execz .LBB41_71
; %bb.66:
	v_cmp_ngt_f64_e64 s1, |v[114:115]|, |v[116:117]|
                                        ; implicit-def: $vgpr118_vgpr119
	s_and_saveexec_b32 s3, s1
	s_xor_b32 s1, exec_lo, s3
                                        ; implicit-def: $vgpr120_vgpr121
	s_cbranch_execz .LBB41_68
; %bb.67:
	v_div_scale_f64 v[118:119], null, v[116:117], v[116:117], v[114:115]
	v_div_scale_f64 v[124:125], vcc_lo, v[114:115], v[116:117], v[114:115]
	v_rcp_f64_e32 v[120:121], v[118:119]
	v_fma_f64 v[122:123], -v[118:119], v[120:121], 1.0
	v_fma_f64 v[120:121], v[120:121], v[122:123], v[120:121]
	v_fma_f64 v[122:123], -v[118:119], v[120:121], 1.0
	v_fma_f64 v[120:121], v[120:121], v[122:123], v[120:121]
	v_mul_f64 v[122:123], v[124:125], v[120:121]
	v_fma_f64 v[118:119], -v[118:119], v[122:123], v[124:125]
	v_div_fmas_f64 v[118:119], v[118:119], v[120:121], v[122:123]
	v_div_fixup_f64 v[118:119], v[118:119], v[116:117], v[114:115]
	v_fma_f64 v[114:115], v[114:115], v[118:119], v[116:117]
	v_div_scale_f64 v[116:117], null, v[114:115], v[114:115], 1.0
	v_rcp_f64_e32 v[120:121], v[116:117]
	v_fma_f64 v[122:123], -v[116:117], v[120:121], 1.0
	v_fma_f64 v[120:121], v[120:121], v[122:123], v[120:121]
	v_fma_f64 v[122:123], -v[116:117], v[120:121], 1.0
	v_fma_f64 v[120:121], v[120:121], v[122:123], v[120:121]
	v_div_scale_f64 v[122:123], vcc_lo, 1.0, v[114:115], 1.0
	v_mul_f64 v[124:125], v[122:123], v[120:121]
	v_fma_f64 v[116:117], -v[116:117], v[124:125], v[122:123]
	v_div_fmas_f64 v[116:117], v[116:117], v[120:121], v[124:125]
	v_div_fixup_f64 v[120:121], v[116:117], v[114:115], 1.0
                                        ; implicit-def: $vgpr114_vgpr115
	v_mul_f64 v[118:119], v[118:119], v[120:121]
	v_xor_b32_e32 v121, 0x80000000, v121
.LBB41_68:
	s_andn2_saveexec_b32 s1, s1
	s_cbranch_execz .LBB41_70
; %bb.69:
	v_div_scale_f64 v[118:119], null, v[114:115], v[114:115], v[116:117]
	v_div_scale_f64 v[124:125], vcc_lo, v[116:117], v[114:115], v[116:117]
	v_rcp_f64_e32 v[120:121], v[118:119]
	v_fma_f64 v[122:123], -v[118:119], v[120:121], 1.0
	v_fma_f64 v[120:121], v[120:121], v[122:123], v[120:121]
	v_fma_f64 v[122:123], -v[118:119], v[120:121], 1.0
	v_fma_f64 v[120:121], v[120:121], v[122:123], v[120:121]
	v_mul_f64 v[122:123], v[124:125], v[120:121]
	v_fma_f64 v[118:119], -v[118:119], v[122:123], v[124:125]
	v_div_fmas_f64 v[118:119], v[118:119], v[120:121], v[122:123]
	v_div_fixup_f64 v[120:121], v[118:119], v[114:115], v[116:117]
	v_fma_f64 v[114:115], v[116:117], v[120:121], v[114:115]
	v_div_scale_f64 v[116:117], null, v[114:115], v[114:115], 1.0
	v_rcp_f64_e32 v[118:119], v[116:117]
	v_fma_f64 v[122:123], -v[116:117], v[118:119], 1.0
	v_fma_f64 v[118:119], v[118:119], v[122:123], v[118:119]
	v_fma_f64 v[122:123], -v[116:117], v[118:119], 1.0
	v_fma_f64 v[118:119], v[118:119], v[122:123], v[118:119]
	v_div_scale_f64 v[122:123], vcc_lo, 1.0, v[114:115], 1.0
	v_mul_f64 v[124:125], v[122:123], v[118:119]
	v_fma_f64 v[116:117], -v[116:117], v[124:125], v[122:123]
	v_div_fmas_f64 v[116:117], v[116:117], v[118:119], v[124:125]
	v_div_fixup_f64 v[118:119], v[116:117], v[114:115], 1.0
	v_mul_f64 v[120:121], v[120:121], -v[118:119]
.LBB41_70:
	s_or_b32 exec_lo, exec_lo, s1
	ds_write2_b64 v1, v[118:119], v[120:121] offset1:1
.LBB41_71:
	s_or_b32 exec_lo, exec_lo, s2
	s_waitcnt lgkmcnt(0)
	s_barrier
	buffer_gl0_inv
	ds_read2_b64 v[114:117], v1 offset1:1
	s_mov_b32 s1, exec_lo
	v_cmpx_lt_u32_e32 7, v0
	s_cbranch_execz .LBB41_73
; %bb.72:
	s_waitcnt lgkmcnt(0)
	v_mul_f64 v[118:119], v[114:115], v[64:65]
	v_mul_f64 v[64:65], v[116:117], v[64:65]
	v_fma_f64 v[122:123], v[116:117], v[62:63], v[118:119]
	ds_read2_b64 v[118:121], v214 offset0:16 offset1:17
	v_fma_f64 v[62:63], v[114:115], v[62:63], -v[64:65]
	s_waitcnt lgkmcnt(0)
	v_mul_f64 v[64:65], v[120:121], v[122:123]
	v_fma_f64 v[64:65], v[118:119], v[62:63], -v[64:65]
	v_mul_f64 v[118:119], v[118:119], v[122:123]
	v_add_f64 v[58:59], v[58:59], -v[64:65]
	v_fma_f64 v[118:119], v[120:121], v[62:63], v[118:119]
	v_add_f64 v[60:61], v[60:61], -v[118:119]
	ds_read2_b64 v[118:121], v214 offset0:18 offset1:19
	s_waitcnt lgkmcnt(0)
	v_mul_f64 v[64:65], v[120:121], v[122:123]
	v_fma_f64 v[64:65], v[118:119], v[62:63], -v[64:65]
	v_mul_f64 v[118:119], v[118:119], v[122:123]
	v_add_f64 v[54:55], v[54:55], -v[64:65]
	v_fma_f64 v[118:119], v[120:121], v[62:63], v[118:119]
	v_add_f64 v[56:57], v[56:57], -v[118:119]
	ds_read2_b64 v[118:121], v214 offset0:20 offset1:21
	;; [unrolled: 8-line block ×12, first 2 shown]
	s_waitcnt lgkmcnt(0)
	v_mul_f64 v[64:65], v[120:121], v[122:123]
	v_fma_f64 v[64:65], v[118:119], v[62:63], -v[64:65]
	v_mul_f64 v[118:119], v[118:119], v[122:123]
	v_add_f64 v[10:11], v[10:11], -v[64:65]
	v_fma_f64 v[118:119], v[120:121], v[62:63], v[118:119]
	v_mov_b32_e32 v64, v122
	v_mov_b32_e32 v65, v123
	v_add_f64 v[12:13], v[12:13], -v[118:119]
.LBB41_73:
	s_or_b32 exec_lo, exec_lo, s1
	s_mov_b32 s2, exec_lo
	s_waitcnt lgkmcnt(0)
	s_barrier
	buffer_gl0_inv
	v_cmpx_eq_u32_e32 8, v0
	s_cbranch_execz .LBB41_80
; %bb.74:
	ds_write2_b64 v1, v[58:59], v[60:61] offset1:1
	ds_write2_b64 v214, v[54:55], v[56:57] offset0:18 offset1:19
	ds_write2_b64 v214, v[50:51], v[52:53] offset0:20 offset1:21
	;; [unrolled: 1-line block ×12, first 2 shown]
	ds_read2_b64 v[118:121], v1 offset1:1
	s_waitcnt lgkmcnt(0)
	v_cmp_neq_f64_e32 vcc_lo, 0, v[118:119]
	v_cmp_neq_f64_e64 s1, 0, v[120:121]
	s_or_b32 s1, vcc_lo, s1
	s_and_b32 exec_lo, exec_lo, s1
	s_cbranch_execz .LBB41_80
; %bb.75:
	v_cmp_ngt_f64_e64 s1, |v[118:119]|, |v[120:121]|
                                        ; implicit-def: $vgpr122_vgpr123
	s_and_saveexec_b32 s3, s1
	s_xor_b32 s1, exec_lo, s3
                                        ; implicit-def: $vgpr124_vgpr125
	s_cbranch_execz .LBB41_77
; %bb.76:
	v_div_scale_f64 v[122:123], null, v[120:121], v[120:121], v[118:119]
	v_div_scale_f64 v[128:129], vcc_lo, v[118:119], v[120:121], v[118:119]
	v_rcp_f64_e32 v[124:125], v[122:123]
	v_fma_f64 v[126:127], -v[122:123], v[124:125], 1.0
	v_fma_f64 v[124:125], v[124:125], v[126:127], v[124:125]
	v_fma_f64 v[126:127], -v[122:123], v[124:125], 1.0
	v_fma_f64 v[124:125], v[124:125], v[126:127], v[124:125]
	v_mul_f64 v[126:127], v[128:129], v[124:125]
	v_fma_f64 v[122:123], -v[122:123], v[126:127], v[128:129]
	v_div_fmas_f64 v[122:123], v[122:123], v[124:125], v[126:127]
	v_div_fixup_f64 v[122:123], v[122:123], v[120:121], v[118:119]
	v_fma_f64 v[118:119], v[118:119], v[122:123], v[120:121]
	v_div_scale_f64 v[120:121], null, v[118:119], v[118:119], 1.0
	v_rcp_f64_e32 v[124:125], v[120:121]
	v_fma_f64 v[126:127], -v[120:121], v[124:125], 1.0
	v_fma_f64 v[124:125], v[124:125], v[126:127], v[124:125]
	v_fma_f64 v[126:127], -v[120:121], v[124:125], 1.0
	v_fma_f64 v[124:125], v[124:125], v[126:127], v[124:125]
	v_div_scale_f64 v[126:127], vcc_lo, 1.0, v[118:119], 1.0
	v_mul_f64 v[128:129], v[126:127], v[124:125]
	v_fma_f64 v[120:121], -v[120:121], v[128:129], v[126:127]
	v_div_fmas_f64 v[120:121], v[120:121], v[124:125], v[128:129]
	v_div_fixup_f64 v[124:125], v[120:121], v[118:119], 1.0
                                        ; implicit-def: $vgpr118_vgpr119
	v_mul_f64 v[122:123], v[122:123], v[124:125]
	v_xor_b32_e32 v125, 0x80000000, v125
.LBB41_77:
	s_andn2_saveexec_b32 s1, s1
	s_cbranch_execz .LBB41_79
; %bb.78:
	v_div_scale_f64 v[122:123], null, v[118:119], v[118:119], v[120:121]
	v_div_scale_f64 v[128:129], vcc_lo, v[120:121], v[118:119], v[120:121]
	v_rcp_f64_e32 v[124:125], v[122:123]
	v_fma_f64 v[126:127], -v[122:123], v[124:125], 1.0
	v_fma_f64 v[124:125], v[124:125], v[126:127], v[124:125]
	v_fma_f64 v[126:127], -v[122:123], v[124:125], 1.0
	v_fma_f64 v[124:125], v[124:125], v[126:127], v[124:125]
	v_mul_f64 v[126:127], v[128:129], v[124:125]
	v_fma_f64 v[122:123], -v[122:123], v[126:127], v[128:129]
	v_div_fmas_f64 v[122:123], v[122:123], v[124:125], v[126:127]
	v_div_fixup_f64 v[124:125], v[122:123], v[118:119], v[120:121]
	v_fma_f64 v[118:119], v[120:121], v[124:125], v[118:119]
	v_div_scale_f64 v[120:121], null, v[118:119], v[118:119], 1.0
	v_rcp_f64_e32 v[122:123], v[120:121]
	v_fma_f64 v[126:127], -v[120:121], v[122:123], 1.0
	v_fma_f64 v[122:123], v[122:123], v[126:127], v[122:123]
	v_fma_f64 v[126:127], -v[120:121], v[122:123], 1.0
	v_fma_f64 v[122:123], v[122:123], v[126:127], v[122:123]
	v_div_scale_f64 v[126:127], vcc_lo, 1.0, v[118:119], 1.0
	v_mul_f64 v[128:129], v[126:127], v[122:123]
	v_fma_f64 v[120:121], -v[120:121], v[128:129], v[126:127]
	v_div_fmas_f64 v[120:121], v[120:121], v[122:123], v[128:129]
	v_div_fixup_f64 v[122:123], v[120:121], v[118:119], 1.0
	v_mul_f64 v[124:125], v[124:125], -v[122:123]
.LBB41_79:
	s_or_b32 exec_lo, exec_lo, s1
	ds_write2_b64 v1, v[122:123], v[124:125] offset1:1
.LBB41_80:
	s_or_b32 exec_lo, exec_lo, s2
	s_waitcnt lgkmcnt(0)
	s_barrier
	buffer_gl0_inv
	ds_read2_b64 v[118:121], v1 offset1:1
	s_mov_b32 s1, exec_lo
	v_cmpx_lt_u32_e32 8, v0
	s_cbranch_execz .LBB41_82
; %bb.81:
	s_waitcnt lgkmcnt(0)
	v_mul_f64 v[122:123], v[118:119], v[60:61]
	v_mul_f64 v[60:61], v[120:121], v[60:61]
	v_fma_f64 v[126:127], v[120:121], v[58:59], v[122:123]
	ds_read2_b64 v[122:125], v214 offset0:18 offset1:19
	v_fma_f64 v[58:59], v[118:119], v[58:59], -v[60:61]
	s_waitcnt lgkmcnt(0)
	v_mul_f64 v[60:61], v[124:125], v[126:127]
	v_fma_f64 v[60:61], v[122:123], v[58:59], -v[60:61]
	v_mul_f64 v[122:123], v[122:123], v[126:127]
	v_add_f64 v[54:55], v[54:55], -v[60:61]
	v_fma_f64 v[122:123], v[124:125], v[58:59], v[122:123]
	v_add_f64 v[56:57], v[56:57], -v[122:123]
	ds_read2_b64 v[122:125], v214 offset0:20 offset1:21
	s_waitcnt lgkmcnt(0)
	v_mul_f64 v[60:61], v[124:125], v[126:127]
	v_fma_f64 v[60:61], v[122:123], v[58:59], -v[60:61]
	v_mul_f64 v[122:123], v[122:123], v[126:127]
	v_add_f64 v[50:51], v[50:51], -v[60:61]
	v_fma_f64 v[122:123], v[124:125], v[58:59], v[122:123]
	v_add_f64 v[52:53], v[52:53], -v[122:123]
	ds_read2_b64 v[122:125], v214 offset0:22 offset1:23
	s_waitcnt lgkmcnt(0)
	v_mul_f64 v[60:61], v[124:125], v[126:127]
	v_fma_f64 v[60:61], v[122:123], v[58:59], -v[60:61]
	v_mul_f64 v[122:123], v[122:123], v[126:127]
	v_add_f64 v[46:47], v[46:47], -v[60:61]
	v_fma_f64 v[122:123], v[124:125], v[58:59], v[122:123]
	v_add_f64 v[48:49], v[48:49], -v[122:123]
	ds_read2_b64 v[122:125], v214 offset0:24 offset1:25
	s_waitcnt lgkmcnt(0)
	v_mul_f64 v[60:61], v[124:125], v[126:127]
	v_fma_f64 v[60:61], v[122:123], v[58:59], -v[60:61]
	v_mul_f64 v[122:123], v[122:123], v[126:127]
	v_add_f64 v[42:43], v[42:43], -v[60:61]
	v_fma_f64 v[122:123], v[124:125], v[58:59], v[122:123]
	v_add_f64 v[44:45], v[44:45], -v[122:123]
	ds_read2_b64 v[122:125], v214 offset0:26 offset1:27
	s_waitcnt lgkmcnt(0)
	v_mul_f64 v[60:61], v[124:125], v[126:127]
	v_fma_f64 v[60:61], v[122:123], v[58:59], -v[60:61]
	v_mul_f64 v[122:123], v[122:123], v[126:127]
	v_add_f64 v[38:39], v[38:39], -v[60:61]
	v_fma_f64 v[122:123], v[124:125], v[58:59], v[122:123]
	v_add_f64 v[40:41], v[40:41], -v[122:123]
	ds_read2_b64 v[122:125], v214 offset0:28 offset1:29
	s_waitcnt lgkmcnt(0)
	v_mul_f64 v[60:61], v[124:125], v[126:127]
	v_fma_f64 v[60:61], v[122:123], v[58:59], -v[60:61]
	v_mul_f64 v[122:123], v[122:123], v[126:127]
	v_add_f64 v[34:35], v[34:35], -v[60:61]
	v_fma_f64 v[122:123], v[124:125], v[58:59], v[122:123]
	v_add_f64 v[36:37], v[36:37], -v[122:123]
	ds_read2_b64 v[122:125], v214 offset0:30 offset1:31
	s_waitcnt lgkmcnt(0)
	v_mul_f64 v[60:61], v[124:125], v[126:127]
	v_fma_f64 v[60:61], v[122:123], v[58:59], -v[60:61]
	v_mul_f64 v[122:123], v[122:123], v[126:127]
	v_add_f64 v[30:31], v[30:31], -v[60:61]
	v_fma_f64 v[122:123], v[124:125], v[58:59], v[122:123]
	v_add_f64 v[32:33], v[32:33], -v[122:123]
	ds_read2_b64 v[122:125], v214 offset0:32 offset1:33
	s_waitcnt lgkmcnt(0)
	v_mul_f64 v[60:61], v[124:125], v[126:127]
	v_fma_f64 v[60:61], v[122:123], v[58:59], -v[60:61]
	v_mul_f64 v[122:123], v[122:123], v[126:127]
	v_add_f64 v[26:27], v[26:27], -v[60:61]
	v_fma_f64 v[122:123], v[124:125], v[58:59], v[122:123]
	v_add_f64 v[28:29], v[28:29], -v[122:123]
	ds_read2_b64 v[122:125], v214 offset0:34 offset1:35
	s_waitcnt lgkmcnt(0)
	v_mul_f64 v[60:61], v[124:125], v[126:127]
	v_fma_f64 v[60:61], v[122:123], v[58:59], -v[60:61]
	v_mul_f64 v[122:123], v[122:123], v[126:127]
	v_add_f64 v[22:23], v[22:23], -v[60:61]
	v_fma_f64 v[122:123], v[124:125], v[58:59], v[122:123]
	v_add_f64 v[24:25], v[24:25], -v[122:123]
	ds_read2_b64 v[122:125], v214 offset0:36 offset1:37
	s_waitcnt lgkmcnt(0)
	v_mul_f64 v[60:61], v[124:125], v[126:127]
	v_fma_f64 v[60:61], v[122:123], v[58:59], -v[60:61]
	v_mul_f64 v[122:123], v[122:123], v[126:127]
	v_add_f64 v[18:19], v[18:19], -v[60:61]
	v_fma_f64 v[122:123], v[124:125], v[58:59], v[122:123]
	v_add_f64 v[20:21], v[20:21], -v[122:123]
	ds_read2_b64 v[122:125], v214 offset0:38 offset1:39
	s_waitcnt lgkmcnt(0)
	v_mul_f64 v[60:61], v[124:125], v[126:127]
	v_fma_f64 v[60:61], v[122:123], v[58:59], -v[60:61]
	v_mul_f64 v[122:123], v[122:123], v[126:127]
	v_add_f64 v[14:15], v[14:15], -v[60:61]
	v_fma_f64 v[122:123], v[124:125], v[58:59], v[122:123]
	v_add_f64 v[16:17], v[16:17], -v[122:123]
	ds_read2_b64 v[122:125], v214 offset0:40 offset1:41
	s_waitcnt lgkmcnt(0)
	v_mul_f64 v[60:61], v[124:125], v[126:127]
	v_fma_f64 v[60:61], v[122:123], v[58:59], -v[60:61]
	v_mul_f64 v[122:123], v[122:123], v[126:127]
	v_add_f64 v[10:11], v[10:11], -v[60:61]
	v_fma_f64 v[122:123], v[124:125], v[58:59], v[122:123]
	v_mov_b32_e32 v60, v126
	v_mov_b32_e32 v61, v127
	v_add_f64 v[12:13], v[12:13], -v[122:123]
.LBB41_82:
	s_or_b32 exec_lo, exec_lo, s1
	s_mov_b32 s2, exec_lo
	s_waitcnt lgkmcnt(0)
	s_barrier
	buffer_gl0_inv
	v_cmpx_eq_u32_e32 9, v0
	s_cbranch_execz .LBB41_89
; %bb.83:
	ds_write2_b64 v1, v[54:55], v[56:57] offset1:1
	ds_write2_b64 v214, v[50:51], v[52:53] offset0:20 offset1:21
	ds_write2_b64 v214, v[46:47], v[48:49] offset0:22 offset1:23
	;; [unrolled: 1-line block ×11, first 2 shown]
	ds_read2_b64 v[122:125], v1 offset1:1
	s_waitcnt lgkmcnt(0)
	v_cmp_neq_f64_e32 vcc_lo, 0, v[122:123]
	v_cmp_neq_f64_e64 s1, 0, v[124:125]
	s_or_b32 s1, vcc_lo, s1
	s_and_b32 exec_lo, exec_lo, s1
	s_cbranch_execz .LBB41_89
; %bb.84:
	v_cmp_ngt_f64_e64 s1, |v[122:123]|, |v[124:125]|
                                        ; implicit-def: $vgpr126_vgpr127
	s_and_saveexec_b32 s3, s1
	s_xor_b32 s1, exec_lo, s3
                                        ; implicit-def: $vgpr128_vgpr129
	s_cbranch_execz .LBB41_86
; %bb.85:
	v_div_scale_f64 v[126:127], null, v[124:125], v[124:125], v[122:123]
	v_div_scale_f64 v[132:133], vcc_lo, v[122:123], v[124:125], v[122:123]
	v_rcp_f64_e32 v[128:129], v[126:127]
	v_fma_f64 v[130:131], -v[126:127], v[128:129], 1.0
	v_fma_f64 v[128:129], v[128:129], v[130:131], v[128:129]
	v_fma_f64 v[130:131], -v[126:127], v[128:129], 1.0
	v_fma_f64 v[128:129], v[128:129], v[130:131], v[128:129]
	v_mul_f64 v[130:131], v[132:133], v[128:129]
	v_fma_f64 v[126:127], -v[126:127], v[130:131], v[132:133]
	v_div_fmas_f64 v[126:127], v[126:127], v[128:129], v[130:131]
	v_div_fixup_f64 v[126:127], v[126:127], v[124:125], v[122:123]
	v_fma_f64 v[122:123], v[122:123], v[126:127], v[124:125]
	v_div_scale_f64 v[124:125], null, v[122:123], v[122:123], 1.0
	v_rcp_f64_e32 v[128:129], v[124:125]
	v_fma_f64 v[130:131], -v[124:125], v[128:129], 1.0
	v_fma_f64 v[128:129], v[128:129], v[130:131], v[128:129]
	v_fma_f64 v[130:131], -v[124:125], v[128:129], 1.0
	v_fma_f64 v[128:129], v[128:129], v[130:131], v[128:129]
	v_div_scale_f64 v[130:131], vcc_lo, 1.0, v[122:123], 1.0
	v_mul_f64 v[132:133], v[130:131], v[128:129]
	v_fma_f64 v[124:125], -v[124:125], v[132:133], v[130:131]
	v_div_fmas_f64 v[124:125], v[124:125], v[128:129], v[132:133]
	v_div_fixup_f64 v[128:129], v[124:125], v[122:123], 1.0
                                        ; implicit-def: $vgpr122_vgpr123
	v_mul_f64 v[126:127], v[126:127], v[128:129]
	v_xor_b32_e32 v129, 0x80000000, v129
.LBB41_86:
	s_andn2_saveexec_b32 s1, s1
	s_cbranch_execz .LBB41_88
; %bb.87:
	v_div_scale_f64 v[126:127], null, v[122:123], v[122:123], v[124:125]
	v_div_scale_f64 v[132:133], vcc_lo, v[124:125], v[122:123], v[124:125]
	v_rcp_f64_e32 v[128:129], v[126:127]
	v_fma_f64 v[130:131], -v[126:127], v[128:129], 1.0
	v_fma_f64 v[128:129], v[128:129], v[130:131], v[128:129]
	v_fma_f64 v[130:131], -v[126:127], v[128:129], 1.0
	v_fma_f64 v[128:129], v[128:129], v[130:131], v[128:129]
	v_mul_f64 v[130:131], v[132:133], v[128:129]
	v_fma_f64 v[126:127], -v[126:127], v[130:131], v[132:133]
	v_div_fmas_f64 v[126:127], v[126:127], v[128:129], v[130:131]
	v_div_fixup_f64 v[128:129], v[126:127], v[122:123], v[124:125]
	v_fma_f64 v[122:123], v[124:125], v[128:129], v[122:123]
	v_div_scale_f64 v[124:125], null, v[122:123], v[122:123], 1.0
	v_rcp_f64_e32 v[126:127], v[124:125]
	v_fma_f64 v[130:131], -v[124:125], v[126:127], 1.0
	v_fma_f64 v[126:127], v[126:127], v[130:131], v[126:127]
	v_fma_f64 v[130:131], -v[124:125], v[126:127], 1.0
	v_fma_f64 v[126:127], v[126:127], v[130:131], v[126:127]
	v_div_scale_f64 v[130:131], vcc_lo, 1.0, v[122:123], 1.0
	v_mul_f64 v[132:133], v[130:131], v[126:127]
	v_fma_f64 v[124:125], -v[124:125], v[132:133], v[130:131]
	v_div_fmas_f64 v[124:125], v[124:125], v[126:127], v[132:133]
	v_div_fixup_f64 v[126:127], v[124:125], v[122:123], 1.0
	v_mul_f64 v[128:129], v[128:129], -v[126:127]
.LBB41_88:
	s_or_b32 exec_lo, exec_lo, s1
	ds_write2_b64 v1, v[126:127], v[128:129] offset1:1
.LBB41_89:
	s_or_b32 exec_lo, exec_lo, s2
	s_waitcnt lgkmcnt(0)
	s_barrier
	buffer_gl0_inv
	ds_read2_b64 v[122:125], v1 offset1:1
	s_mov_b32 s1, exec_lo
	v_cmpx_lt_u32_e32 9, v0
	s_cbranch_execz .LBB41_91
; %bb.90:
	s_waitcnt lgkmcnt(0)
	v_mul_f64 v[126:127], v[122:123], v[56:57]
	v_mul_f64 v[56:57], v[124:125], v[56:57]
	v_fma_f64 v[130:131], v[124:125], v[54:55], v[126:127]
	ds_read2_b64 v[126:129], v214 offset0:20 offset1:21
	v_fma_f64 v[54:55], v[122:123], v[54:55], -v[56:57]
	s_waitcnt lgkmcnt(0)
	v_mul_f64 v[56:57], v[128:129], v[130:131]
	v_fma_f64 v[56:57], v[126:127], v[54:55], -v[56:57]
	v_mul_f64 v[126:127], v[126:127], v[130:131]
	v_add_f64 v[50:51], v[50:51], -v[56:57]
	v_fma_f64 v[126:127], v[128:129], v[54:55], v[126:127]
	v_add_f64 v[52:53], v[52:53], -v[126:127]
	ds_read2_b64 v[126:129], v214 offset0:22 offset1:23
	s_waitcnt lgkmcnt(0)
	v_mul_f64 v[56:57], v[128:129], v[130:131]
	v_fma_f64 v[56:57], v[126:127], v[54:55], -v[56:57]
	v_mul_f64 v[126:127], v[126:127], v[130:131]
	v_add_f64 v[46:47], v[46:47], -v[56:57]
	v_fma_f64 v[126:127], v[128:129], v[54:55], v[126:127]
	v_add_f64 v[48:49], v[48:49], -v[126:127]
	ds_read2_b64 v[126:129], v214 offset0:24 offset1:25
	;; [unrolled: 8-line block ×10, first 2 shown]
	s_waitcnt lgkmcnt(0)
	v_mul_f64 v[56:57], v[128:129], v[130:131]
	v_fma_f64 v[56:57], v[126:127], v[54:55], -v[56:57]
	v_mul_f64 v[126:127], v[126:127], v[130:131]
	v_add_f64 v[10:11], v[10:11], -v[56:57]
	v_fma_f64 v[126:127], v[128:129], v[54:55], v[126:127]
	v_mov_b32_e32 v56, v130
	v_mov_b32_e32 v57, v131
	v_add_f64 v[12:13], v[12:13], -v[126:127]
.LBB41_91:
	s_or_b32 exec_lo, exec_lo, s1
	s_mov_b32 s2, exec_lo
	s_waitcnt lgkmcnt(0)
	s_barrier
	buffer_gl0_inv
	v_cmpx_eq_u32_e32 10, v0
	s_cbranch_execz .LBB41_98
; %bb.92:
	ds_write2_b64 v1, v[50:51], v[52:53] offset1:1
	ds_write2_b64 v214, v[46:47], v[48:49] offset0:22 offset1:23
	ds_write2_b64 v214, v[42:43], v[44:45] offset0:24 offset1:25
	;; [unrolled: 1-line block ×10, first 2 shown]
	ds_read2_b64 v[126:129], v1 offset1:1
	s_waitcnt lgkmcnt(0)
	v_cmp_neq_f64_e32 vcc_lo, 0, v[126:127]
	v_cmp_neq_f64_e64 s1, 0, v[128:129]
	s_or_b32 s1, vcc_lo, s1
	s_and_b32 exec_lo, exec_lo, s1
	s_cbranch_execz .LBB41_98
; %bb.93:
	v_cmp_ngt_f64_e64 s1, |v[126:127]|, |v[128:129]|
                                        ; implicit-def: $vgpr130_vgpr131
	s_and_saveexec_b32 s3, s1
	s_xor_b32 s1, exec_lo, s3
                                        ; implicit-def: $vgpr132_vgpr133
	s_cbranch_execz .LBB41_95
; %bb.94:
	v_div_scale_f64 v[130:131], null, v[128:129], v[128:129], v[126:127]
	v_div_scale_f64 v[136:137], vcc_lo, v[126:127], v[128:129], v[126:127]
	v_rcp_f64_e32 v[132:133], v[130:131]
	v_fma_f64 v[134:135], -v[130:131], v[132:133], 1.0
	v_fma_f64 v[132:133], v[132:133], v[134:135], v[132:133]
	v_fma_f64 v[134:135], -v[130:131], v[132:133], 1.0
	v_fma_f64 v[132:133], v[132:133], v[134:135], v[132:133]
	v_mul_f64 v[134:135], v[136:137], v[132:133]
	v_fma_f64 v[130:131], -v[130:131], v[134:135], v[136:137]
	v_div_fmas_f64 v[130:131], v[130:131], v[132:133], v[134:135]
	v_div_fixup_f64 v[130:131], v[130:131], v[128:129], v[126:127]
	v_fma_f64 v[126:127], v[126:127], v[130:131], v[128:129]
	v_div_scale_f64 v[128:129], null, v[126:127], v[126:127], 1.0
	v_rcp_f64_e32 v[132:133], v[128:129]
	v_fma_f64 v[134:135], -v[128:129], v[132:133], 1.0
	v_fma_f64 v[132:133], v[132:133], v[134:135], v[132:133]
	v_fma_f64 v[134:135], -v[128:129], v[132:133], 1.0
	v_fma_f64 v[132:133], v[132:133], v[134:135], v[132:133]
	v_div_scale_f64 v[134:135], vcc_lo, 1.0, v[126:127], 1.0
	v_mul_f64 v[136:137], v[134:135], v[132:133]
	v_fma_f64 v[128:129], -v[128:129], v[136:137], v[134:135]
	v_div_fmas_f64 v[128:129], v[128:129], v[132:133], v[136:137]
	v_div_fixup_f64 v[132:133], v[128:129], v[126:127], 1.0
                                        ; implicit-def: $vgpr126_vgpr127
	v_mul_f64 v[130:131], v[130:131], v[132:133]
	v_xor_b32_e32 v133, 0x80000000, v133
.LBB41_95:
	s_andn2_saveexec_b32 s1, s1
	s_cbranch_execz .LBB41_97
; %bb.96:
	v_div_scale_f64 v[130:131], null, v[126:127], v[126:127], v[128:129]
	v_div_scale_f64 v[136:137], vcc_lo, v[128:129], v[126:127], v[128:129]
	v_rcp_f64_e32 v[132:133], v[130:131]
	v_fma_f64 v[134:135], -v[130:131], v[132:133], 1.0
	v_fma_f64 v[132:133], v[132:133], v[134:135], v[132:133]
	v_fma_f64 v[134:135], -v[130:131], v[132:133], 1.0
	v_fma_f64 v[132:133], v[132:133], v[134:135], v[132:133]
	v_mul_f64 v[134:135], v[136:137], v[132:133]
	v_fma_f64 v[130:131], -v[130:131], v[134:135], v[136:137]
	v_div_fmas_f64 v[130:131], v[130:131], v[132:133], v[134:135]
	v_div_fixup_f64 v[132:133], v[130:131], v[126:127], v[128:129]
	v_fma_f64 v[126:127], v[128:129], v[132:133], v[126:127]
	v_div_scale_f64 v[128:129], null, v[126:127], v[126:127], 1.0
	v_rcp_f64_e32 v[130:131], v[128:129]
	v_fma_f64 v[134:135], -v[128:129], v[130:131], 1.0
	v_fma_f64 v[130:131], v[130:131], v[134:135], v[130:131]
	v_fma_f64 v[134:135], -v[128:129], v[130:131], 1.0
	v_fma_f64 v[130:131], v[130:131], v[134:135], v[130:131]
	v_div_scale_f64 v[134:135], vcc_lo, 1.0, v[126:127], 1.0
	v_mul_f64 v[136:137], v[134:135], v[130:131]
	v_fma_f64 v[128:129], -v[128:129], v[136:137], v[134:135]
	v_div_fmas_f64 v[128:129], v[128:129], v[130:131], v[136:137]
	v_div_fixup_f64 v[130:131], v[128:129], v[126:127], 1.0
	v_mul_f64 v[132:133], v[132:133], -v[130:131]
.LBB41_97:
	s_or_b32 exec_lo, exec_lo, s1
	ds_write2_b64 v1, v[130:131], v[132:133] offset1:1
.LBB41_98:
	s_or_b32 exec_lo, exec_lo, s2
	s_waitcnt lgkmcnt(0)
	s_barrier
	buffer_gl0_inv
	ds_read2_b64 v[126:129], v1 offset1:1
	s_mov_b32 s1, exec_lo
	v_cmpx_lt_u32_e32 10, v0
	s_cbranch_execz .LBB41_100
; %bb.99:
	s_waitcnt lgkmcnt(0)
	v_mul_f64 v[130:131], v[126:127], v[52:53]
	v_mul_f64 v[52:53], v[128:129], v[52:53]
	v_fma_f64 v[134:135], v[128:129], v[50:51], v[130:131]
	ds_read2_b64 v[130:133], v214 offset0:22 offset1:23
	v_fma_f64 v[50:51], v[126:127], v[50:51], -v[52:53]
	s_waitcnt lgkmcnt(0)
	v_mul_f64 v[52:53], v[132:133], v[134:135]
	v_fma_f64 v[52:53], v[130:131], v[50:51], -v[52:53]
	v_mul_f64 v[130:131], v[130:131], v[134:135]
	v_add_f64 v[46:47], v[46:47], -v[52:53]
	v_fma_f64 v[130:131], v[132:133], v[50:51], v[130:131]
	v_add_f64 v[48:49], v[48:49], -v[130:131]
	ds_read2_b64 v[130:133], v214 offset0:24 offset1:25
	s_waitcnt lgkmcnt(0)
	v_mul_f64 v[52:53], v[132:133], v[134:135]
	v_fma_f64 v[52:53], v[130:131], v[50:51], -v[52:53]
	v_mul_f64 v[130:131], v[130:131], v[134:135]
	v_add_f64 v[42:43], v[42:43], -v[52:53]
	v_fma_f64 v[130:131], v[132:133], v[50:51], v[130:131]
	v_add_f64 v[44:45], v[44:45], -v[130:131]
	ds_read2_b64 v[130:133], v214 offset0:26 offset1:27
	;; [unrolled: 8-line block ×9, first 2 shown]
	s_waitcnt lgkmcnt(0)
	v_mul_f64 v[52:53], v[132:133], v[134:135]
	v_fma_f64 v[52:53], v[130:131], v[50:51], -v[52:53]
	v_mul_f64 v[130:131], v[130:131], v[134:135]
	v_add_f64 v[10:11], v[10:11], -v[52:53]
	v_fma_f64 v[130:131], v[132:133], v[50:51], v[130:131]
	v_mov_b32_e32 v52, v134
	v_mov_b32_e32 v53, v135
	v_add_f64 v[12:13], v[12:13], -v[130:131]
.LBB41_100:
	s_or_b32 exec_lo, exec_lo, s1
	s_mov_b32 s2, exec_lo
	s_waitcnt lgkmcnt(0)
	s_barrier
	buffer_gl0_inv
	v_cmpx_eq_u32_e32 11, v0
	s_cbranch_execz .LBB41_107
; %bb.101:
	ds_write2_b64 v1, v[46:47], v[48:49] offset1:1
	ds_write2_b64 v214, v[42:43], v[44:45] offset0:24 offset1:25
	ds_write2_b64 v214, v[38:39], v[40:41] offset0:26 offset1:27
	;; [unrolled: 1-line block ×9, first 2 shown]
	ds_read2_b64 v[130:133], v1 offset1:1
	s_waitcnt lgkmcnt(0)
	v_cmp_neq_f64_e32 vcc_lo, 0, v[130:131]
	v_cmp_neq_f64_e64 s1, 0, v[132:133]
	s_or_b32 s1, vcc_lo, s1
	s_and_b32 exec_lo, exec_lo, s1
	s_cbranch_execz .LBB41_107
; %bb.102:
	v_cmp_ngt_f64_e64 s1, |v[130:131]|, |v[132:133]|
                                        ; implicit-def: $vgpr134_vgpr135
	s_and_saveexec_b32 s3, s1
	s_xor_b32 s1, exec_lo, s3
                                        ; implicit-def: $vgpr136_vgpr137
	s_cbranch_execz .LBB41_104
; %bb.103:
	v_div_scale_f64 v[134:135], null, v[132:133], v[132:133], v[130:131]
	v_div_scale_f64 v[140:141], vcc_lo, v[130:131], v[132:133], v[130:131]
	v_rcp_f64_e32 v[136:137], v[134:135]
	v_fma_f64 v[138:139], -v[134:135], v[136:137], 1.0
	v_fma_f64 v[136:137], v[136:137], v[138:139], v[136:137]
	v_fma_f64 v[138:139], -v[134:135], v[136:137], 1.0
	v_fma_f64 v[136:137], v[136:137], v[138:139], v[136:137]
	v_mul_f64 v[138:139], v[140:141], v[136:137]
	v_fma_f64 v[134:135], -v[134:135], v[138:139], v[140:141]
	v_div_fmas_f64 v[134:135], v[134:135], v[136:137], v[138:139]
	v_div_fixup_f64 v[134:135], v[134:135], v[132:133], v[130:131]
	v_fma_f64 v[130:131], v[130:131], v[134:135], v[132:133]
	v_div_scale_f64 v[132:133], null, v[130:131], v[130:131], 1.0
	v_rcp_f64_e32 v[136:137], v[132:133]
	v_fma_f64 v[138:139], -v[132:133], v[136:137], 1.0
	v_fma_f64 v[136:137], v[136:137], v[138:139], v[136:137]
	v_fma_f64 v[138:139], -v[132:133], v[136:137], 1.0
	v_fma_f64 v[136:137], v[136:137], v[138:139], v[136:137]
	v_div_scale_f64 v[138:139], vcc_lo, 1.0, v[130:131], 1.0
	v_mul_f64 v[140:141], v[138:139], v[136:137]
	v_fma_f64 v[132:133], -v[132:133], v[140:141], v[138:139]
	v_div_fmas_f64 v[132:133], v[132:133], v[136:137], v[140:141]
	v_div_fixup_f64 v[136:137], v[132:133], v[130:131], 1.0
                                        ; implicit-def: $vgpr130_vgpr131
	v_mul_f64 v[134:135], v[134:135], v[136:137]
	v_xor_b32_e32 v137, 0x80000000, v137
.LBB41_104:
	s_andn2_saveexec_b32 s1, s1
	s_cbranch_execz .LBB41_106
; %bb.105:
	v_div_scale_f64 v[134:135], null, v[130:131], v[130:131], v[132:133]
	v_div_scale_f64 v[140:141], vcc_lo, v[132:133], v[130:131], v[132:133]
	v_rcp_f64_e32 v[136:137], v[134:135]
	v_fma_f64 v[138:139], -v[134:135], v[136:137], 1.0
	v_fma_f64 v[136:137], v[136:137], v[138:139], v[136:137]
	v_fma_f64 v[138:139], -v[134:135], v[136:137], 1.0
	v_fma_f64 v[136:137], v[136:137], v[138:139], v[136:137]
	v_mul_f64 v[138:139], v[140:141], v[136:137]
	v_fma_f64 v[134:135], -v[134:135], v[138:139], v[140:141]
	v_div_fmas_f64 v[134:135], v[134:135], v[136:137], v[138:139]
	v_div_fixup_f64 v[136:137], v[134:135], v[130:131], v[132:133]
	v_fma_f64 v[130:131], v[132:133], v[136:137], v[130:131]
	v_div_scale_f64 v[132:133], null, v[130:131], v[130:131], 1.0
	v_rcp_f64_e32 v[134:135], v[132:133]
	v_fma_f64 v[138:139], -v[132:133], v[134:135], 1.0
	v_fma_f64 v[134:135], v[134:135], v[138:139], v[134:135]
	v_fma_f64 v[138:139], -v[132:133], v[134:135], 1.0
	v_fma_f64 v[134:135], v[134:135], v[138:139], v[134:135]
	v_div_scale_f64 v[138:139], vcc_lo, 1.0, v[130:131], 1.0
	v_mul_f64 v[140:141], v[138:139], v[134:135]
	v_fma_f64 v[132:133], -v[132:133], v[140:141], v[138:139]
	v_div_fmas_f64 v[132:133], v[132:133], v[134:135], v[140:141]
	v_div_fixup_f64 v[134:135], v[132:133], v[130:131], 1.0
	v_mul_f64 v[136:137], v[136:137], -v[134:135]
.LBB41_106:
	s_or_b32 exec_lo, exec_lo, s1
	ds_write2_b64 v1, v[134:135], v[136:137] offset1:1
.LBB41_107:
	s_or_b32 exec_lo, exec_lo, s2
	s_waitcnt lgkmcnt(0)
	s_barrier
	buffer_gl0_inv
	ds_read2_b64 v[130:133], v1 offset1:1
	s_mov_b32 s1, exec_lo
	v_cmpx_lt_u32_e32 11, v0
	s_cbranch_execz .LBB41_109
; %bb.108:
	s_waitcnt lgkmcnt(0)
	v_mul_f64 v[134:135], v[130:131], v[48:49]
	v_mul_f64 v[48:49], v[132:133], v[48:49]
	v_fma_f64 v[215:216], v[132:133], v[46:47], v[134:135]
	ds_read2_b64 v[134:137], v214 offset0:24 offset1:25
	ds_read2_b64 v[138:141], v214 offset0:26 offset1:27
	;; [unrolled: 1-line block ×9, first 2 shown]
	v_fma_f64 v[46:47], v[130:131], v[46:47], -v[48:49]
	s_waitcnt lgkmcnt(8)
	v_mul_f64 v[48:49], v[136:137], v[215:216]
	v_mul_f64 v[217:218], v[134:135], v[215:216]
	s_waitcnt lgkmcnt(7)
	v_mul_f64 v[219:220], v[140:141], v[215:216]
	v_mul_f64 v[221:222], v[138:139], v[215:216]
	;; [unrolled: 3-line block ×9, first 2 shown]
	v_fma_f64 v[48:49], v[134:135], v[46:47], -v[48:49]
	v_fma_f64 v[134:135], v[136:137], v[46:47], v[217:218]
	v_fma_f64 v[136:137], v[138:139], v[46:47], -v[219:220]
	v_fma_f64 v[138:139], v[140:141], v[46:47], v[221:222]
	;; [unrolled: 2-line block ×9, first 2 shown]
	v_add_f64 v[42:43], v[42:43], -v[48:49]
	v_add_f64 v[44:45], v[44:45], -v[134:135]
	v_add_f64 v[38:39], v[38:39], -v[136:137]
	v_add_f64 v[40:41], v[40:41], -v[138:139]
	v_add_f64 v[34:35], v[34:35], -v[140:141]
	v_add_f64 v[36:37], v[36:37], -v[142:143]
	v_add_f64 v[30:31], v[30:31], -v[144:145]
	v_add_f64 v[32:33], v[32:33], -v[146:147]
	v_add_f64 v[26:27], v[26:27], -v[148:149]
	v_add_f64 v[28:29], v[28:29], -v[150:151]
	v_add_f64 v[22:23], v[22:23], -v[152:153]
	v_add_f64 v[24:25], v[24:25], -v[154:155]
	v_add_f64 v[18:19], v[18:19], -v[156:157]
	v_add_f64 v[20:21], v[20:21], -v[158:159]
	v_add_f64 v[14:15], v[14:15], -v[160:161]
	v_add_f64 v[16:17], v[16:17], -v[162:163]
	v_add_f64 v[10:11], v[10:11], -v[164:165]
	v_add_f64 v[12:13], v[12:13], -v[166:167]
	v_mov_b32_e32 v48, v215
	v_mov_b32_e32 v49, v216
.LBB41_109:
	s_or_b32 exec_lo, exec_lo, s1
	s_mov_b32 s2, exec_lo
	s_waitcnt lgkmcnt(0)
	s_barrier
	buffer_gl0_inv
	v_cmpx_eq_u32_e32 12, v0
	s_cbranch_execz .LBB41_116
; %bb.110:
	ds_write2_b64 v1, v[42:43], v[44:45] offset1:1
	ds_write2_b64 v214, v[38:39], v[40:41] offset0:26 offset1:27
	ds_write2_b64 v214, v[34:35], v[36:37] offset0:28 offset1:29
	;; [unrolled: 1-line block ×8, first 2 shown]
	ds_read2_b64 v[134:137], v1 offset1:1
	s_waitcnt lgkmcnt(0)
	v_cmp_neq_f64_e32 vcc_lo, 0, v[134:135]
	v_cmp_neq_f64_e64 s1, 0, v[136:137]
	s_or_b32 s1, vcc_lo, s1
	s_and_b32 exec_lo, exec_lo, s1
	s_cbranch_execz .LBB41_116
; %bb.111:
	v_cmp_ngt_f64_e64 s1, |v[134:135]|, |v[136:137]|
                                        ; implicit-def: $vgpr138_vgpr139
	s_and_saveexec_b32 s3, s1
	s_xor_b32 s1, exec_lo, s3
                                        ; implicit-def: $vgpr140_vgpr141
	s_cbranch_execz .LBB41_113
; %bb.112:
	v_div_scale_f64 v[138:139], null, v[136:137], v[136:137], v[134:135]
	v_div_scale_f64 v[144:145], vcc_lo, v[134:135], v[136:137], v[134:135]
	v_rcp_f64_e32 v[140:141], v[138:139]
	v_fma_f64 v[142:143], -v[138:139], v[140:141], 1.0
	v_fma_f64 v[140:141], v[140:141], v[142:143], v[140:141]
	v_fma_f64 v[142:143], -v[138:139], v[140:141], 1.0
	v_fma_f64 v[140:141], v[140:141], v[142:143], v[140:141]
	v_mul_f64 v[142:143], v[144:145], v[140:141]
	v_fma_f64 v[138:139], -v[138:139], v[142:143], v[144:145]
	v_div_fmas_f64 v[138:139], v[138:139], v[140:141], v[142:143]
	v_div_fixup_f64 v[138:139], v[138:139], v[136:137], v[134:135]
	v_fma_f64 v[134:135], v[134:135], v[138:139], v[136:137]
	v_div_scale_f64 v[136:137], null, v[134:135], v[134:135], 1.0
	v_rcp_f64_e32 v[140:141], v[136:137]
	v_fma_f64 v[142:143], -v[136:137], v[140:141], 1.0
	v_fma_f64 v[140:141], v[140:141], v[142:143], v[140:141]
	v_fma_f64 v[142:143], -v[136:137], v[140:141], 1.0
	v_fma_f64 v[140:141], v[140:141], v[142:143], v[140:141]
	v_div_scale_f64 v[142:143], vcc_lo, 1.0, v[134:135], 1.0
	v_mul_f64 v[144:145], v[142:143], v[140:141]
	v_fma_f64 v[136:137], -v[136:137], v[144:145], v[142:143]
	v_div_fmas_f64 v[136:137], v[136:137], v[140:141], v[144:145]
	v_div_fixup_f64 v[140:141], v[136:137], v[134:135], 1.0
                                        ; implicit-def: $vgpr134_vgpr135
	v_mul_f64 v[138:139], v[138:139], v[140:141]
	v_xor_b32_e32 v141, 0x80000000, v141
.LBB41_113:
	s_andn2_saveexec_b32 s1, s1
	s_cbranch_execz .LBB41_115
; %bb.114:
	v_div_scale_f64 v[138:139], null, v[134:135], v[134:135], v[136:137]
	v_div_scale_f64 v[144:145], vcc_lo, v[136:137], v[134:135], v[136:137]
	v_rcp_f64_e32 v[140:141], v[138:139]
	v_fma_f64 v[142:143], -v[138:139], v[140:141], 1.0
	v_fma_f64 v[140:141], v[140:141], v[142:143], v[140:141]
	v_fma_f64 v[142:143], -v[138:139], v[140:141], 1.0
	v_fma_f64 v[140:141], v[140:141], v[142:143], v[140:141]
	v_mul_f64 v[142:143], v[144:145], v[140:141]
	v_fma_f64 v[138:139], -v[138:139], v[142:143], v[144:145]
	v_div_fmas_f64 v[138:139], v[138:139], v[140:141], v[142:143]
	v_div_fixup_f64 v[140:141], v[138:139], v[134:135], v[136:137]
	v_fma_f64 v[134:135], v[136:137], v[140:141], v[134:135]
	v_div_scale_f64 v[136:137], null, v[134:135], v[134:135], 1.0
	v_rcp_f64_e32 v[138:139], v[136:137]
	v_fma_f64 v[142:143], -v[136:137], v[138:139], 1.0
	v_fma_f64 v[138:139], v[138:139], v[142:143], v[138:139]
	v_fma_f64 v[142:143], -v[136:137], v[138:139], 1.0
	v_fma_f64 v[138:139], v[138:139], v[142:143], v[138:139]
	v_div_scale_f64 v[142:143], vcc_lo, 1.0, v[134:135], 1.0
	v_mul_f64 v[144:145], v[142:143], v[138:139]
	v_fma_f64 v[136:137], -v[136:137], v[144:145], v[142:143]
	v_div_fmas_f64 v[136:137], v[136:137], v[138:139], v[144:145]
	v_div_fixup_f64 v[138:139], v[136:137], v[134:135], 1.0
	v_mul_f64 v[140:141], v[140:141], -v[138:139]
.LBB41_115:
	s_or_b32 exec_lo, exec_lo, s1
	ds_write2_b64 v1, v[138:139], v[140:141] offset1:1
.LBB41_116:
	s_or_b32 exec_lo, exec_lo, s2
	s_waitcnt lgkmcnt(0)
	s_barrier
	buffer_gl0_inv
	ds_read2_b64 v[134:137], v1 offset1:1
	s_mov_b32 s1, exec_lo
	v_cmpx_lt_u32_e32 12, v0
	s_cbranch_execz .LBB41_118
; %bb.117:
	s_waitcnt lgkmcnt(0)
	v_mul_f64 v[138:139], v[134:135], v[44:45]
	v_mul_f64 v[44:45], v[136:137], v[44:45]
	v_fma_f64 v[215:216], v[136:137], v[42:43], v[138:139]
	ds_read2_b64 v[138:141], v214 offset0:26 offset1:27
	ds_read2_b64 v[142:145], v214 offset0:28 offset1:29
	;; [unrolled: 1-line block ×8, first 2 shown]
	v_fma_f64 v[42:43], v[134:135], v[42:43], -v[44:45]
	s_waitcnt lgkmcnt(7)
	v_mul_f64 v[44:45], v[140:141], v[215:216]
	v_mul_f64 v[217:218], v[138:139], v[215:216]
	s_waitcnt lgkmcnt(6)
	v_mul_f64 v[219:220], v[144:145], v[215:216]
	v_mul_f64 v[221:222], v[142:143], v[215:216]
	;; [unrolled: 3-line block ×8, first 2 shown]
	v_fma_f64 v[44:45], v[138:139], v[42:43], -v[44:45]
	v_fma_f64 v[138:139], v[140:141], v[42:43], v[217:218]
	v_fma_f64 v[140:141], v[142:143], v[42:43], -v[219:220]
	v_fma_f64 v[142:143], v[144:145], v[42:43], v[221:222]
	;; [unrolled: 2-line block ×8, first 2 shown]
	v_add_f64 v[38:39], v[38:39], -v[44:45]
	v_add_f64 v[40:41], v[40:41], -v[138:139]
	;; [unrolled: 1-line block ×16, first 2 shown]
	v_mov_b32_e32 v44, v215
	v_mov_b32_e32 v45, v216
.LBB41_118:
	s_or_b32 exec_lo, exec_lo, s1
	s_mov_b32 s2, exec_lo
	s_waitcnt lgkmcnt(0)
	s_barrier
	buffer_gl0_inv
	v_cmpx_eq_u32_e32 13, v0
	s_cbranch_execz .LBB41_125
; %bb.119:
	ds_write2_b64 v1, v[38:39], v[40:41] offset1:1
	ds_write2_b64 v214, v[34:35], v[36:37] offset0:28 offset1:29
	ds_write2_b64 v214, v[30:31], v[32:33] offset0:30 offset1:31
	;; [unrolled: 1-line block ×7, first 2 shown]
	ds_read2_b64 v[138:141], v1 offset1:1
	s_waitcnt lgkmcnt(0)
	v_cmp_neq_f64_e32 vcc_lo, 0, v[138:139]
	v_cmp_neq_f64_e64 s1, 0, v[140:141]
	s_or_b32 s1, vcc_lo, s1
	s_and_b32 exec_lo, exec_lo, s1
	s_cbranch_execz .LBB41_125
; %bb.120:
	v_cmp_ngt_f64_e64 s1, |v[138:139]|, |v[140:141]|
                                        ; implicit-def: $vgpr142_vgpr143
	s_and_saveexec_b32 s3, s1
	s_xor_b32 s1, exec_lo, s3
                                        ; implicit-def: $vgpr144_vgpr145
	s_cbranch_execz .LBB41_122
; %bb.121:
	v_div_scale_f64 v[142:143], null, v[140:141], v[140:141], v[138:139]
	v_div_scale_f64 v[148:149], vcc_lo, v[138:139], v[140:141], v[138:139]
	v_rcp_f64_e32 v[144:145], v[142:143]
	v_fma_f64 v[146:147], -v[142:143], v[144:145], 1.0
	v_fma_f64 v[144:145], v[144:145], v[146:147], v[144:145]
	v_fma_f64 v[146:147], -v[142:143], v[144:145], 1.0
	v_fma_f64 v[144:145], v[144:145], v[146:147], v[144:145]
	v_mul_f64 v[146:147], v[148:149], v[144:145]
	v_fma_f64 v[142:143], -v[142:143], v[146:147], v[148:149]
	v_div_fmas_f64 v[142:143], v[142:143], v[144:145], v[146:147]
	v_div_fixup_f64 v[142:143], v[142:143], v[140:141], v[138:139]
	v_fma_f64 v[138:139], v[138:139], v[142:143], v[140:141]
	v_div_scale_f64 v[140:141], null, v[138:139], v[138:139], 1.0
	v_rcp_f64_e32 v[144:145], v[140:141]
	v_fma_f64 v[146:147], -v[140:141], v[144:145], 1.0
	v_fma_f64 v[144:145], v[144:145], v[146:147], v[144:145]
	v_fma_f64 v[146:147], -v[140:141], v[144:145], 1.0
	v_fma_f64 v[144:145], v[144:145], v[146:147], v[144:145]
	v_div_scale_f64 v[146:147], vcc_lo, 1.0, v[138:139], 1.0
	v_mul_f64 v[148:149], v[146:147], v[144:145]
	v_fma_f64 v[140:141], -v[140:141], v[148:149], v[146:147]
	v_div_fmas_f64 v[140:141], v[140:141], v[144:145], v[148:149]
	v_div_fixup_f64 v[144:145], v[140:141], v[138:139], 1.0
                                        ; implicit-def: $vgpr138_vgpr139
	v_mul_f64 v[142:143], v[142:143], v[144:145]
	v_xor_b32_e32 v145, 0x80000000, v145
.LBB41_122:
	s_andn2_saveexec_b32 s1, s1
	s_cbranch_execz .LBB41_124
; %bb.123:
	v_div_scale_f64 v[142:143], null, v[138:139], v[138:139], v[140:141]
	v_div_scale_f64 v[148:149], vcc_lo, v[140:141], v[138:139], v[140:141]
	v_rcp_f64_e32 v[144:145], v[142:143]
	v_fma_f64 v[146:147], -v[142:143], v[144:145], 1.0
	v_fma_f64 v[144:145], v[144:145], v[146:147], v[144:145]
	v_fma_f64 v[146:147], -v[142:143], v[144:145], 1.0
	v_fma_f64 v[144:145], v[144:145], v[146:147], v[144:145]
	v_mul_f64 v[146:147], v[148:149], v[144:145]
	v_fma_f64 v[142:143], -v[142:143], v[146:147], v[148:149]
	v_div_fmas_f64 v[142:143], v[142:143], v[144:145], v[146:147]
	v_div_fixup_f64 v[144:145], v[142:143], v[138:139], v[140:141]
	v_fma_f64 v[138:139], v[140:141], v[144:145], v[138:139]
	v_div_scale_f64 v[140:141], null, v[138:139], v[138:139], 1.0
	v_rcp_f64_e32 v[142:143], v[140:141]
	v_fma_f64 v[146:147], -v[140:141], v[142:143], 1.0
	v_fma_f64 v[142:143], v[142:143], v[146:147], v[142:143]
	v_fma_f64 v[146:147], -v[140:141], v[142:143], 1.0
	v_fma_f64 v[142:143], v[142:143], v[146:147], v[142:143]
	v_div_scale_f64 v[146:147], vcc_lo, 1.0, v[138:139], 1.0
	v_mul_f64 v[148:149], v[146:147], v[142:143]
	v_fma_f64 v[140:141], -v[140:141], v[148:149], v[146:147]
	v_div_fmas_f64 v[140:141], v[140:141], v[142:143], v[148:149]
	v_div_fixup_f64 v[142:143], v[140:141], v[138:139], 1.0
	v_mul_f64 v[144:145], v[144:145], -v[142:143]
.LBB41_124:
	s_or_b32 exec_lo, exec_lo, s1
	ds_write2_b64 v1, v[142:143], v[144:145] offset1:1
.LBB41_125:
	s_or_b32 exec_lo, exec_lo, s2
	s_waitcnt lgkmcnt(0)
	s_barrier
	buffer_gl0_inv
	ds_read2_b64 v[138:141], v1 offset1:1
	s_mov_b32 s1, exec_lo
	v_cmpx_lt_u32_e32 13, v0
	s_cbranch_execz .LBB41_127
; %bb.126:
	s_waitcnt lgkmcnt(0)
	v_mul_f64 v[142:143], v[138:139], v[40:41]
	v_mul_f64 v[40:41], v[140:141], v[40:41]
	v_fma_f64 v[215:216], v[140:141], v[38:39], v[142:143]
	ds_read2_b64 v[142:145], v214 offset0:28 offset1:29
	ds_read2_b64 v[146:149], v214 offset0:30 offset1:31
	;; [unrolled: 1-line block ×7, first 2 shown]
	v_fma_f64 v[38:39], v[138:139], v[38:39], -v[40:41]
	s_waitcnt lgkmcnt(6)
	v_mul_f64 v[40:41], v[144:145], v[215:216]
	v_mul_f64 v[217:218], v[142:143], v[215:216]
	s_waitcnt lgkmcnt(5)
	v_mul_f64 v[219:220], v[148:149], v[215:216]
	v_mul_f64 v[221:222], v[146:147], v[215:216]
	;; [unrolled: 3-line block ×7, first 2 shown]
	v_fma_f64 v[40:41], v[142:143], v[38:39], -v[40:41]
	v_fma_f64 v[142:143], v[144:145], v[38:39], v[217:218]
	v_fma_f64 v[144:145], v[146:147], v[38:39], -v[219:220]
	v_fma_f64 v[146:147], v[148:149], v[38:39], v[221:222]
	;; [unrolled: 2-line block ×7, first 2 shown]
	v_add_f64 v[34:35], v[34:35], -v[40:41]
	v_add_f64 v[36:37], v[36:37], -v[142:143]
	;; [unrolled: 1-line block ×14, first 2 shown]
	v_mov_b32_e32 v40, v215
	v_mov_b32_e32 v41, v216
.LBB41_127:
	s_or_b32 exec_lo, exec_lo, s1
	s_mov_b32 s2, exec_lo
	s_waitcnt lgkmcnt(0)
	s_barrier
	buffer_gl0_inv
	v_cmpx_eq_u32_e32 14, v0
	s_cbranch_execz .LBB41_134
; %bb.128:
	ds_write2_b64 v1, v[34:35], v[36:37] offset1:1
	ds_write2_b64 v214, v[30:31], v[32:33] offset0:30 offset1:31
	ds_write2_b64 v214, v[26:27], v[28:29] offset0:32 offset1:33
	ds_write2_b64 v214, v[22:23], v[24:25] offset0:34 offset1:35
	ds_write2_b64 v214, v[18:19], v[20:21] offset0:36 offset1:37
	ds_write2_b64 v214, v[14:15], v[16:17] offset0:38 offset1:39
	ds_write2_b64 v214, v[10:11], v[12:13] offset0:40 offset1:41
	ds_read2_b64 v[142:145], v1 offset1:1
	s_waitcnt lgkmcnt(0)
	v_cmp_neq_f64_e32 vcc_lo, 0, v[142:143]
	v_cmp_neq_f64_e64 s1, 0, v[144:145]
	s_or_b32 s1, vcc_lo, s1
	s_and_b32 exec_lo, exec_lo, s1
	s_cbranch_execz .LBB41_134
; %bb.129:
	v_cmp_ngt_f64_e64 s1, |v[142:143]|, |v[144:145]|
                                        ; implicit-def: $vgpr146_vgpr147
	s_and_saveexec_b32 s3, s1
	s_xor_b32 s1, exec_lo, s3
                                        ; implicit-def: $vgpr148_vgpr149
	s_cbranch_execz .LBB41_131
; %bb.130:
	v_div_scale_f64 v[146:147], null, v[144:145], v[144:145], v[142:143]
	v_div_scale_f64 v[152:153], vcc_lo, v[142:143], v[144:145], v[142:143]
	v_rcp_f64_e32 v[148:149], v[146:147]
	v_fma_f64 v[150:151], -v[146:147], v[148:149], 1.0
	v_fma_f64 v[148:149], v[148:149], v[150:151], v[148:149]
	v_fma_f64 v[150:151], -v[146:147], v[148:149], 1.0
	v_fma_f64 v[148:149], v[148:149], v[150:151], v[148:149]
	v_mul_f64 v[150:151], v[152:153], v[148:149]
	v_fma_f64 v[146:147], -v[146:147], v[150:151], v[152:153]
	v_div_fmas_f64 v[146:147], v[146:147], v[148:149], v[150:151]
	v_div_fixup_f64 v[146:147], v[146:147], v[144:145], v[142:143]
	v_fma_f64 v[142:143], v[142:143], v[146:147], v[144:145]
	v_div_scale_f64 v[144:145], null, v[142:143], v[142:143], 1.0
	v_rcp_f64_e32 v[148:149], v[144:145]
	v_fma_f64 v[150:151], -v[144:145], v[148:149], 1.0
	v_fma_f64 v[148:149], v[148:149], v[150:151], v[148:149]
	v_fma_f64 v[150:151], -v[144:145], v[148:149], 1.0
	v_fma_f64 v[148:149], v[148:149], v[150:151], v[148:149]
	v_div_scale_f64 v[150:151], vcc_lo, 1.0, v[142:143], 1.0
	v_mul_f64 v[152:153], v[150:151], v[148:149]
	v_fma_f64 v[144:145], -v[144:145], v[152:153], v[150:151]
	v_div_fmas_f64 v[144:145], v[144:145], v[148:149], v[152:153]
	v_div_fixup_f64 v[148:149], v[144:145], v[142:143], 1.0
                                        ; implicit-def: $vgpr142_vgpr143
	v_mul_f64 v[146:147], v[146:147], v[148:149]
	v_xor_b32_e32 v149, 0x80000000, v149
.LBB41_131:
	s_andn2_saveexec_b32 s1, s1
	s_cbranch_execz .LBB41_133
; %bb.132:
	v_div_scale_f64 v[146:147], null, v[142:143], v[142:143], v[144:145]
	v_div_scale_f64 v[152:153], vcc_lo, v[144:145], v[142:143], v[144:145]
	v_rcp_f64_e32 v[148:149], v[146:147]
	v_fma_f64 v[150:151], -v[146:147], v[148:149], 1.0
	v_fma_f64 v[148:149], v[148:149], v[150:151], v[148:149]
	v_fma_f64 v[150:151], -v[146:147], v[148:149], 1.0
	v_fma_f64 v[148:149], v[148:149], v[150:151], v[148:149]
	v_mul_f64 v[150:151], v[152:153], v[148:149]
	v_fma_f64 v[146:147], -v[146:147], v[150:151], v[152:153]
	v_div_fmas_f64 v[146:147], v[146:147], v[148:149], v[150:151]
	v_div_fixup_f64 v[148:149], v[146:147], v[142:143], v[144:145]
	v_fma_f64 v[142:143], v[144:145], v[148:149], v[142:143]
	v_div_scale_f64 v[144:145], null, v[142:143], v[142:143], 1.0
	v_rcp_f64_e32 v[146:147], v[144:145]
	v_fma_f64 v[150:151], -v[144:145], v[146:147], 1.0
	v_fma_f64 v[146:147], v[146:147], v[150:151], v[146:147]
	v_fma_f64 v[150:151], -v[144:145], v[146:147], 1.0
	v_fma_f64 v[146:147], v[146:147], v[150:151], v[146:147]
	v_div_scale_f64 v[150:151], vcc_lo, 1.0, v[142:143], 1.0
	v_mul_f64 v[152:153], v[150:151], v[146:147]
	v_fma_f64 v[144:145], -v[144:145], v[152:153], v[150:151]
	v_div_fmas_f64 v[144:145], v[144:145], v[146:147], v[152:153]
	v_div_fixup_f64 v[146:147], v[144:145], v[142:143], 1.0
	v_mul_f64 v[148:149], v[148:149], -v[146:147]
.LBB41_133:
	s_or_b32 exec_lo, exec_lo, s1
	ds_write2_b64 v1, v[146:147], v[148:149] offset1:1
.LBB41_134:
	s_or_b32 exec_lo, exec_lo, s2
	s_waitcnt lgkmcnt(0)
	s_barrier
	buffer_gl0_inv
	ds_read2_b64 v[142:145], v1 offset1:1
	s_mov_b32 s1, exec_lo
	v_cmpx_lt_u32_e32 14, v0
	s_cbranch_execz .LBB41_136
; %bb.135:
	s_waitcnt lgkmcnt(0)
	v_mul_f64 v[146:147], v[142:143], v[36:37]
	v_mul_f64 v[36:37], v[144:145], v[36:37]
	v_fma_f64 v[215:216], v[144:145], v[34:35], v[146:147]
	ds_read2_b64 v[146:149], v214 offset0:30 offset1:31
	ds_read2_b64 v[150:153], v214 offset0:32 offset1:33
	;; [unrolled: 1-line block ×6, first 2 shown]
	v_fma_f64 v[34:35], v[142:143], v[34:35], -v[36:37]
	s_waitcnt lgkmcnt(5)
	v_mul_f64 v[36:37], v[148:149], v[215:216]
	v_mul_f64 v[217:218], v[146:147], v[215:216]
	s_waitcnt lgkmcnt(4)
	v_mul_f64 v[219:220], v[152:153], v[215:216]
	v_mul_f64 v[221:222], v[150:151], v[215:216]
	;; [unrolled: 3-line block ×6, first 2 shown]
	v_fma_f64 v[36:37], v[146:147], v[34:35], -v[36:37]
	v_fma_f64 v[146:147], v[148:149], v[34:35], v[217:218]
	v_fma_f64 v[148:149], v[150:151], v[34:35], -v[219:220]
	v_fma_f64 v[150:151], v[152:153], v[34:35], v[221:222]
	;; [unrolled: 2-line block ×6, first 2 shown]
	v_add_f64 v[30:31], v[30:31], -v[36:37]
	v_add_f64 v[32:33], v[32:33], -v[146:147]
	;; [unrolled: 1-line block ×12, first 2 shown]
	v_mov_b32_e32 v36, v215
	v_mov_b32_e32 v37, v216
.LBB41_136:
	s_or_b32 exec_lo, exec_lo, s1
	s_mov_b32 s2, exec_lo
	s_waitcnt lgkmcnt(0)
	s_barrier
	buffer_gl0_inv
	v_cmpx_eq_u32_e32 15, v0
	s_cbranch_execz .LBB41_143
; %bb.137:
	ds_write2_b64 v1, v[30:31], v[32:33] offset1:1
	ds_write2_b64 v214, v[26:27], v[28:29] offset0:32 offset1:33
	ds_write2_b64 v214, v[22:23], v[24:25] offset0:34 offset1:35
	;; [unrolled: 1-line block ×5, first 2 shown]
	ds_read2_b64 v[146:149], v1 offset1:1
	s_waitcnt lgkmcnt(0)
	v_cmp_neq_f64_e32 vcc_lo, 0, v[146:147]
	v_cmp_neq_f64_e64 s1, 0, v[148:149]
	s_or_b32 s1, vcc_lo, s1
	s_and_b32 exec_lo, exec_lo, s1
	s_cbranch_execz .LBB41_143
; %bb.138:
	v_cmp_ngt_f64_e64 s1, |v[146:147]|, |v[148:149]|
                                        ; implicit-def: $vgpr150_vgpr151
	s_and_saveexec_b32 s3, s1
	s_xor_b32 s1, exec_lo, s3
                                        ; implicit-def: $vgpr152_vgpr153
	s_cbranch_execz .LBB41_140
; %bb.139:
	v_div_scale_f64 v[150:151], null, v[148:149], v[148:149], v[146:147]
	v_div_scale_f64 v[156:157], vcc_lo, v[146:147], v[148:149], v[146:147]
	v_rcp_f64_e32 v[152:153], v[150:151]
	v_fma_f64 v[154:155], -v[150:151], v[152:153], 1.0
	v_fma_f64 v[152:153], v[152:153], v[154:155], v[152:153]
	v_fma_f64 v[154:155], -v[150:151], v[152:153], 1.0
	v_fma_f64 v[152:153], v[152:153], v[154:155], v[152:153]
	v_mul_f64 v[154:155], v[156:157], v[152:153]
	v_fma_f64 v[150:151], -v[150:151], v[154:155], v[156:157]
	v_div_fmas_f64 v[150:151], v[150:151], v[152:153], v[154:155]
	v_div_fixup_f64 v[150:151], v[150:151], v[148:149], v[146:147]
	v_fma_f64 v[146:147], v[146:147], v[150:151], v[148:149]
	v_div_scale_f64 v[148:149], null, v[146:147], v[146:147], 1.0
	v_rcp_f64_e32 v[152:153], v[148:149]
	v_fma_f64 v[154:155], -v[148:149], v[152:153], 1.0
	v_fma_f64 v[152:153], v[152:153], v[154:155], v[152:153]
	v_fma_f64 v[154:155], -v[148:149], v[152:153], 1.0
	v_fma_f64 v[152:153], v[152:153], v[154:155], v[152:153]
	v_div_scale_f64 v[154:155], vcc_lo, 1.0, v[146:147], 1.0
	v_mul_f64 v[156:157], v[154:155], v[152:153]
	v_fma_f64 v[148:149], -v[148:149], v[156:157], v[154:155]
	v_div_fmas_f64 v[148:149], v[148:149], v[152:153], v[156:157]
	v_div_fixup_f64 v[152:153], v[148:149], v[146:147], 1.0
                                        ; implicit-def: $vgpr146_vgpr147
	v_mul_f64 v[150:151], v[150:151], v[152:153]
	v_xor_b32_e32 v153, 0x80000000, v153
.LBB41_140:
	s_andn2_saveexec_b32 s1, s1
	s_cbranch_execz .LBB41_142
; %bb.141:
	v_div_scale_f64 v[150:151], null, v[146:147], v[146:147], v[148:149]
	v_div_scale_f64 v[156:157], vcc_lo, v[148:149], v[146:147], v[148:149]
	v_rcp_f64_e32 v[152:153], v[150:151]
	v_fma_f64 v[154:155], -v[150:151], v[152:153], 1.0
	v_fma_f64 v[152:153], v[152:153], v[154:155], v[152:153]
	v_fma_f64 v[154:155], -v[150:151], v[152:153], 1.0
	v_fma_f64 v[152:153], v[152:153], v[154:155], v[152:153]
	v_mul_f64 v[154:155], v[156:157], v[152:153]
	v_fma_f64 v[150:151], -v[150:151], v[154:155], v[156:157]
	v_div_fmas_f64 v[150:151], v[150:151], v[152:153], v[154:155]
	v_div_fixup_f64 v[152:153], v[150:151], v[146:147], v[148:149]
	v_fma_f64 v[146:147], v[148:149], v[152:153], v[146:147]
	v_div_scale_f64 v[148:149], null, v[146:147], v[146:147], 1.0
	v_rcp_f64_e32 v[150:151], v[148:149]
	v_fma_f64 v[154:155], -v[148:149], v[150:151], 1.0
	v_fma_f64 v[150:151], v[150:151], v[154:155], v[150:151]
	v_fma_f64 v[154:155], -v[148:149], v[150:151], 1.0
	v_fma_f64 v[150:151], v[150:151], v[154:155], v[150:151]
	v_div_scale_f64 v[154:155], vcc_lo, 1.0, v[146:147], 1.0
	v_mul_f64 v[156:157], v[154:155], v[150:151]
	v_fma_f64 v[148:149], -v[148:149], v[156:157], v[154:155]
	v_div_fmas_f64 v[148:149], v[148:149], v[150:151], v[156:157]
	v_div_fixup_f64 v[150:151], v[148:149], v[146:147], 1.0
	v_mul_f64 v[152:153], v[152:153], -v[150:151]
.LBB41_142:
	s_or_b32 exec_lo, exec_lo, s1
	ds_write2_b64 v1, v[150:151], v[152:153] offset1:1
.LBB41_143:
	s_or_b32 exec_lo, exec_lo, s2
	s_waitcnt lgkmcnt(0)
	s_barrier
	buffer_gl0_inv
	ds_read2_b64 v[146:149], v1 offset1:1
	s_mov_b32 s1, exec_lo
	v_cmpx_lt_u32_e32 15, v0
	s_cbranch_execz .LBB41_145
; %bb.144:
	s_waitcnt lgkmcnt(0)
	v_mul_f64 v[150:151], v[146:147], v[32:33]
	v_mul_f64 v[32:33], v[148:149], v[32:33]
	v_fma_f64 v[215:216], v[148:149], v[30:31], v[150:151]
	ds_read2_b64 v[150:153], v214 offset0:32 offset1:33
	ds_read2_b64 v[154:157], v214 offset0:34 offset1:35
	;; [unrolled: 1-line block ×5, first 2 shown]
	v_fma_f64 v[30:31], v[146:147], v[30:31], -v[32:33]
	s_waitcnt lgkmcnt(4)
	v_mul_f64 v[32:33], v[152:153], v[215:216]
	v_mul_f64 v[217:218], v[150:151], v[215:216]
	s_waitcnt lgkmcnt(3)
	v_mul_f64 v[219:220], v[156:157], v[215:216]
	v_mul_f64 v[221:222], v[154:155], v[215:216]
	;; [unrolled: 3-line block ×5, first 2 shown]
	v_fma_f64 v[32:33], v[150:151], v[30:31], -v[32:33]
	v_fma_f64 v[150:151], v[152:153], v[30:31], v[217:218]
	v_fma_f64 v[152:153], v[154:155], v[30:31], -v[219:220]
	v_fma_f64 v[154:155], v[156:157], v[30:31], v[221:222]
	;; [unrolled: 2-line block ×5, first 2 shown]
	v_add_f64 v[26:27], v[26:27], -v[32:33]
	v_add_f64 v[28:29], v[28:29], -v[150:151]
	;; [unrolled: 1-line block ×10, first 2 shown]
	v_mov_b32_e32 v32, v215
	v_mov_b32_e32 v33, v216
.LBB41_145:
	s_or_b32 exec_lo, exec_lo, s1
	s_mov_b32 s2, exec_lo
	s_waitcnt lgkmcnt(0)
	s_barrier
	buffer_gl0_inv
	v_cmpx_eq_u32_e32 16, v0
	s_cbranch_execz .LBB41_152
; %bb.146:
	ds_write2_b64 v1, v[26:27], v[28:29] offset1:1
	ds_write2_b64 v214, v[22:23], v[24:25] offset0:34 offset1:35
	ds_write2_b64 v214, v[18:19], v[20:21] offset0:36 offset1:37
	;; [unrolled: 1-line block ×4, first 2 shown]
	ds_read2_b64 v[150:153], v1 offset1:1
	s_waitcnt lgkmcnt(0)
	v_cmp_neq_f64_e32 vcc_lo, 0, v[150:151]
	v_cmp_neq_f64_e64 s1, 0, v[152:153]
	s_or_b32 s1, vcc_lo, s1
	s_and_b32 exec_lo, exec_lo, s1
	s_cbranch_execz .LBB41_152
; %bb.147:
	v_cmp_ngt_f64_e64 s1, |v[150:151]|, |v[152:153]|
                                        ; implicit-def: $vgpr154_vgpr155
	s_and_saveexec_b32 s3, s1
	s_xor_b32 s1, exec_lo, s3
                                        ; implicit-def: $vgpr156_vgpr157
	s_cbranch_execz .LBB41_149
; %bb.148:
	v_div_scale_f64 v[154:155], null, v[152:153], v[152:153], v[150:151]
	v_div_scale_f64 v[160:161], vcc_lo, v[150:151], v[152:153], v[150:151]
	v_rcp_f64_e32 v[156:157], v[154:155]
	v_fma_f64 v[158:159], -v[154:155], v[156:157], 1.0
	v_fma_f64 v[156:157], v[156:157], v[158:159], v[156:157]
	v_fma_f64 v[158:159], -v[154:155], v[156:157], 1.0
	v_fma_f64 v[156:157], v[156:157], v[158:159], v[156:157]
	v_mul_f64 v[158:159], v[160:161], v[156:157]
	v_fma_f64 v[154:155], -v[154:155], v[158:159], v[160:161]
	v_div_fmas_f64 v[154:155], v[154:155], v[156:157], v[158:159]
	v_div_fixup_f64 v[154:155], v[154:155], v[152:153], v[150:151]
	v_fma_f64 v[150:151], v[150:151], v[154:155], v[152:153]
	v_div_scale_f64 v[152:153], null, v[150:151], v[150:151], 1.0
	v_rcp_f64_e32 v[156:157], v[152:153]
	v_fma_f64 v[158:159], -v[152:153], v[156:157], 1.0
	v_fma_f64 v[156:157], v[156:157], v[158:159], v[156:157]
	v_fma_f64 v[158:159], -v[152:153], v[156:157], 1.0
	v_fma_f64 v[156:157], v[156:157], v[158:159], v[156:157]
	v_div_scale_f64 v[158:159], vcc_lo, 1.0, v[150:151], 1.0
	v_mul_f64 v[160:161], v[158:159], v[156:157]
	v_fma_f64 v[152:153], -v[152:153], v[160:161], v[158:159]
	v_div_fmas_f64 v[152:153], v[152:153], v[156:157], v[160:161]
	v_div_fixup_f64 v[156:157], v[152:153], v[150:151], 1.0
                                        ; implicit-def: $vgpr150_vgpr151
	v_mul_f64 v[154:155], v[154:155], v[156:157]
	v_xor_b32_e32 v157, 0x80000000, v157
.LBB41_149:
	s_andn2_saveexec_b32 s1, s1
	s_cbranch_execz .LBB41_151
; %bb.150:
	v_div_scale_f64 v[154:155], null, v[150:151], v[150:151], v[152:153]
	v_div_scale_f64 v[160:161], vcc_lo, v[152:153], v[150:151], v[152:153]
	v_rcp_f64_e32 v[156:157], v[154:155]
	v_fma_f64 v[158:159], -v[154:155], v[156:157], 1.0
	v_fma_f64 v[156:157], v[156:157], v[158:159], v[156:157]
	v_fma_f64 v[158:159], -v[154:155], v[156:157], 1.0
	v_fma_f64 v[156:157], v[156:157], v[158:159], v[156:157]
	v_mul_f64 v[158:159], v[160:161], v[156:157]
	v_fma_f64 v[154:155], -v[154:155], v[158:159], v[160:161]
	v_div_fmas_f64 v[154:155], v[154:155], v[156:157], v[158:159]
	v_div_fixup_f64 v[156:157], v[154:155], v[150:151], v[152:153]
	v_fma_f64 v[150:151], v[152:153], v[156:157], v[150:151]
	v_div_scale_f64 v[152:153], null, v[150:151], v[150:151], 1.0
	v_rcp_f64_e32 v[154:155], v[152:153]
	v_fma_f64 v[158:159], -v[152:153], v[154:155], 1.0
	v_fma_f64 v[154:155], v[154:155], v[158:159], v[154:155]
	v_fma_f64 v[158:159], -v[152:153], v[154:155], 1.0
	v_fma_f64 v[154:155], v[154:155], v[158:159], v[154:155]
	v_div_scale_f64 v[158:159], vcc_lo, 1.0, v[150:151], 1.0
	v_mul_f64 v[160:161], v[158:159], v[154:155]
	v_fma_f64 v[152:153], -v[152:153], v[160:161], v[158:159]
	v_div_fmas_f64 v[152:153], v[152:153], v[154:155], v[160:161]
	v_div_fixup_f64 v[154:155], v[152:153], v[150:151], 1.0
	v_mul_f64 v[156:157], v[156:157], -v[154:155]
.LBB41_151:
	s_or_b32 exec_lo, exec_lo, s1
	ds_write2_b64 v1, v[154:155], v[156:157] offset1:1
.LBB41_152:
	s_or_b32 exec_lo, exec_lo, s2
	s_waitcnt lgkmcnt(0)
	s_barrier
	buffer_gl0_inv
	ds_read2_b64 v[150:153], v1 offset1:1
	s_mov_b32 s1, exec_lo
	v_cmpx_lt_u32_e32 16, v0
	s_cbranch_execz .LBB41_154
; %bb.153:
	s_waitcnt lgkmcnt(0)
	v_mul_f64 v[154:155], v[150:151], v[28:29]
	v_mul_f64 v[28:29], v[152:153], v[28:29]
	v_fma_f64 v[215:216], v[152:153], v[26:27], v[154:155]
	ds_read2_b64 v[154:157], v214 offset0:34 offset1:35
	ds_read2_b64 v[158:161], v214 offset0:36 offset1:37
	;; [unrolled: 1-line block ×4, first 2 shown]
	v_fma_f64 v[26:27], v[150:151], v[26:27], -v[28:29]
	s_waitcnt lgkmcnt(3)
	v_mul_f64 v[28:29], v[156:157], v[215:216]
	v_mul_f64 v[217:218], v[154:155], v[215:216]
	s_waitcnt lgkmcnt(2)
	v_mul_f64 v[219:220], v[160:161], v[215:216]
	v_mul_f64 v[221:222], v[158:159], v[215:216]
	;; [unrolled: 3-line block ×4, first 2 shown]
	v_fma_f64 v[28:29], v[154:155], v[26:27], -v[28:29]
	v_fma_f64 v[154:155], v[156:157], v[26:27], v[217:218]
	v_fma_f64 v[156:157], v[158:159], v[26:27], -v[219:220]
	v_fma_f64 v[158:159], v[160:161], v[26:27], v[221:222]
	;; [unrolled: 2-line block ×4, first 2 shown]
	v_add_f64 v[22:23], v[22:23], -v[28:29]
	v_add_f64 v[24:25], v[24:25], -v[154:155]
	;; [unrolled: 1-line block ×8, first 2 shown]
	v_mov_b32_e32 v28, v215
	v_mov_b32_e32 v29, v216
.LBB41_154:
	s_or_b32 exec_lo, exec_lo, s1
	s_mov_b32 s2, exec_lo
	s_waitcnt lgkmcnt(0)
	s_barrier
	buffer_gl0_inv
	v_cmpx_eq_u32_e32 17, v0
	s_cbranch_execz .LBB41_161
; %bb.155:
	ds_write2_b64 v1, v[22:23], v[24:25] offset1:1
	ds_write2_b64 v214, v[18:19], v[20:21] offset0:36 offset1:37
	ds_write2_b64 v214, v[14:15], v[16:17] offset0:38 offset1:39
	;; [unrolled: 1-line block ×3, first 2 shown]
	ds_read2_b64 v[154:157], v1 offset1:1
	s_waitcnt lgkmcnt(0)
	v_cmp_neq_f64_e32 vcc_lo, 0, v[154:155]
	v_cmp_neq_f64_e64 s1, 0, v[156:157]
	s_or_b32 s1, vcc_lo, s1
	s_and_b32 exec_lo, exec_lo, s1
	s_cbranch_execz .LBB41_161
; %bb.156:
	v_cmp_ngt_f64_e64 s1, |v[154:155]|, |v[156:157]|
                                        ; implicit-def: $vgpr158_vgpr159
	s_and_saveexec_b32 s3, s1
	s_xor_b32 s1, exec_lo, s3
                                        ; implicit-def: $vgpr160_vgpr161
	s_cbranch_execz .LBB41_158
; %bb.157:
	v_div_scale_f64 v[158:159], null, v[156:157], v[156:157], v[154:155]
	v_div_scale_f64 v[164:165], vcc_lo, v[154:155], v[156:157], v[154:155]
	v_rcp_f64_e32 v[160:161], v[158:159]
	v_fma_f64 v[162:163], -v[158:159], v[160:161], 1.0
	v_fma_f64 v[160:161], v[160:161], v[162:163], v[160:161]
	v_fma_f64 v[162:163], -v[158:159], v[160:161], 1.0
	v_fma_f64 v[160:161], v[160:161], v[162:163], v[160:161]
	v_mul_f64 v[162:163], v[164:165], v[160:161]
	v_fma_f64 v[158:159], -v[158:159], v[162:163], v[164:165]
	v_div_fmas_f64 v[158:159], v[158:159], v[160:161], v[162:163]
	v_div_fixup_f64 v[158:159], v[158:159], v[156:157], v[154:155]
	v_fma_f64 v[154:155], v[154:155], v[158:159], v[156:157]
	v_div_scale_f64 v[156:157], null, v[154:155], v[154:155], 1.0
	v_rcp_f64_e32 v[160:161], v[156:157]
	v_fma_f64 v[162:163], -v[156:157], v[160:161], 1.0
	v_fma_f64 v[160:161], v[160:161], v[162:163], v[160:161]
	v_fma_f64 v[162:163], -v[156:157], v[160:161], 1.0
	v_fma_f64 v[160:161], v[160:161], v[162:163], v[160:161]
	v_div_scale_f64 v[162:163], vcc_lo, 1.0, v[154:155], 1.0
	v_mul_f64 v[164:165], v[162:163], v[160:161]
	v_fma_f64 v[156:157], -v[156:157], v[164:165], v[162:163]
	v_div_fmas_f64 v[156:157], v[156:157], v[160:161], v[164:165]
	v_div_fixup_f64 v[160:161], v[156:157], v[154:155], 1.0
                                        ; implicit-def: $vgpr154_vgpr155
	v_mul_f64 v[158:159], v[158:159], v[160:161]
	v_xor_b32_e32 v161, 0x80000000, v161
.LBB41_158:
	s_andn2_saveexec_b32 s1, s1
	s_cbranch_execz .LBB41_160
; %bb.159:
	v_div_scale_f64 v[158:159], null, v[154:155], v[154:155], v[156:157]
	v_div_scale_f64 v[164:165], vcc_lo, v[156:157], v[154:155], v[156:157]
	v_rcp_f64_e32 v[160:161], v[158:159]
	v_fma_f64 v[162:163], -v[158:159], v[160:161], 1.0
	v_fma_f64 v[160:161], v[160:161], v[162:163], v[160:161]
	v_fma_f64 v[162:163], -v[158:159], v[160:161], 1.0
	v_fma_f64 v[160:161], v[160:161], v[162:163], v[160:161]
	v_mul_f64 v[162:163], v[164:165], v[160:161]
	v_fma_f64 v[158:159], -v[158:159], v[162:163], v[164:165]
	v_div_fmas_f64 v[158:159], v[158:159], v[160:161], v[162:163]
	v_div_fixup_f64 v[160:161], v[158:159], v[154:155], v[156:157]
	v_fma_f64 v[154:155], v[156:157], v[160:161], v[154:155]
	v_div_scale_f64 v[156:157], null, v[154:155], v[154:155], 1.0
	v_rcp_f64_e32 v[158:159], v[156:157]
	v_fma_f64 v[162:163], -v[156:157], v[158:159], 1.0
	v_fma_f64 v[158:159], v[158:159], v[162:163], v[158:159]
	v_fma_f64 v[162:163], -v[156:157], v[158:159], 1.0
	v_fma_f64 v[158:159], v[158:159], v[162:163], v[158:159]
	v_div_scale_f64 v[162:163], vcc_lo, 1.0, v[154:155], 1.0
	v_mul_f64 v[164:165], v[162:163], v[158:159]
	v_fma_f64 v[156:157], -v[156:157], v[164:165], v[162:163]
	v_div_fmas_f64 v[156:157], v[156:157], v[158:159], v[164:165]
	v_div_fixup_f64 v[158:159], v[156:157], v[154:155], 1.0
	v_mul_f64 v[160:161], v[160:161], -v[158:159]
.LBB41_160:
	s_or_b32 exec_lo, exec_lo, s1
	ds_write2_b64 v1, v[158:159], v[160:161] offset1:1
.LBB41_161:
	s_or_b32 exec_lo, exec_lo, s2
	s_waitcnt lgkmcnt(0)
	s_barrier
	buffer_gl0_inv
	ds_read2_b64 v[154:157], v1 offset1:1
	s_mov_b32 s1, exec_lo
	v_cmpx_lt_u32_e32 17, v0
	s_cbranch_execz .LBB41_163
; %bb.162:
	s_waitcnt lgkmcnt(0)
	v_mul_f64 v[158:159], v[154:155], v[24:25]
	v_mul_f64 v[24:25], v[156:157], v[24:25]
	v_fma_f64 v[215:216], v[156:157], v[22:23], v[158:159]
	ds_read2_b64 v[158:161], v214 offset0:36 offset1:37
	ds_read2_b64 v[162:165], v214 offset0:38 offset1:39
	;; [unrolled: 1-line block ×3, first 2 shown]
	v_fma_f64 v[22:23], v[154:155], v[22:23], -v[24:25]
	s_waitcnt lgkmcnt(2)
	v_mul_f64 v[24:25], v[160:161], v[215:216]
	v_mul_f64 v[217:218], v[158:159], v[215:216]
	s_waitcnt lgkmcnt(1)
	v_mul_f64 v[219:220], v[164:165], v[215:216]
	v_mul_f64 v[221:222], v[162:163], v[215:216]
	;; [unrolled: 3-line block ×3, first 2 shown]
	v_fma_f64 v[24:25], v[158:159], v[22:23], -v[24:25]
	v_fma_f64 v[158:159], v[160:161], v[22:23], v[217:218]
	v_fma_f64 v[160:161], v[162:163], v[22:23], -v[219:220]
	v_fma_f64 v[162:163], v[164:165], v[22:23], v[221:222]
	;; [unrolled: 2-line block ×3, first 2 shown]
	v_add_f64 v[18:19], v[18:19], -v[24:25]
	v_add_f64 v[20:21], v[20:21], -v[158:159]
	;; [unrolled: 1-line block ×6, first 2 shown]
	v_mov_b32_e32 v24, v215
	v_mov_b32_e32 v25, v216
.LBB41_163:
	s_or_b32 exec_lo, exec_lo, s1
	s_mov_b32 s2, exec_lo
	s_waitcnt lgkmcnt(0)
	s_barrier
	buffer_gl0_inv
	v_cmpx_eq_u32_e32 18, v0
	s_cbranch_execz .LBB41_170
; %bb.164:
	ds_write2_b64 v1, v[18:19], v[20:21] offset1:1
	ds_write2_b64 v214, v[14:15], v[16:17] offset0:38 offset1:39
	ds_write2_b64 v214, v[10:11], v[12:13] offset0:40 offset1:41
	ds_read2_b64 v[158:161], v1 offset1:1
	s_waitcnt lgkmcnt(0)
	v_cmp_neq_f64_e32 vcc_lo, 0, v[158:159]
	v_cmp_neq_f64_e64 s1, 0, v[160:161]
	s_or_b32 s1, vcc_lo, s1
	s_and_b32 exec_lo, exec_lo, s1
	s_cbranch_execz .LBB41_170
; %bb.165:
	v_cmp_ngt_f64_e64 s1, |v[158:159]|, |v[160:161]|
                                        ; implicit-def: $vgpr162_vgpr163
	s_and_saveexec_b32 s3, s1
	s_xor_b32 s1, exec_lo, s3
                                        ; implicit-def: $vgpr164_vgpr165
	s_cbranch_execz .LBB41_167
; %bb.166:
	v_div_scale_f64 v[162:163], null, v[160:161], v[160:161], v[158:159]
	v_div_scale_f64 v[168:169], vcc_lo, v[158:159], v[160:161], v[158:159]
	v_rcp_f64_e32 v[164:165], v[162:163]
	v_fma_f64 v[166:167], -v[162:163], v[164:165], 1.0
	v_fma_f64 v[164:165], v[164:165], v[166:167], v[164:165]
	v_fma_f64 v[166:167], -v[162:163], v[164:165], 1.0
	v_fma_f64 v[164:165], v[164:165], v[166:167], v[164:165]
	v_mul_f64 v[166:167], v[168:169], v[164:165]
	v_fma_f64 v[162:163], -v[162:163], v[166:167], v[168:169]
	v_div_fmas_f64 v[162:163], v[162:163], v[164:165], v[166:167]
	v_div_fixup_f64 v[162:163], v[162:163], v[160:161], v[158:159]
	v_fma_f64 v[158:159], v[158:159], v[162:163], v[160:161]
	v_div_scale_f64 v[160:161], null, v[158:159], v[158:159], 1.0
	v_rcp_f64_e32 v[164:165], v[160:161]
	v_fma_f64 v[166:167], -v[160:161], v[164:165], 1.0
	v_fma_f64 v[164:165], v[164:165], v[166:167], v[164:165]
	v_fma_f64 v[166:167], -v[160:161], v[164:165], 1.0
	v_fma_f64 v[164:165], v[164:165], v[166:167], v[164:165]
	v_div_scale_f64 v[166:167], vcc_lo, 1.0, v[158:159], 1.0
	v_mul_f64 v[168:169], v[166:167], v[164:165]
	v_fma_f64 v[160:161], -v[160:161], v[168:169], v[166:167]
	v_div_fmas_f64 v[160:161], v[160:161], v[164:165], v[168:169]
	v_div_fixup_f64 v[164:165], v[160:161], v[158:159], 1.0
                                        ; implicit-def: $vgpr158_vgpr159
	v_mul_f64 v[162:163], v[162:163], v[164:165]
	v_xor_b32_e32 v165, 0x80000000, v165
.LBB41_167:
	s_andn2_saveexec_b32 s1, s1
	s_cbranch_execz .LBB41_169
; %bb.168:
	v_div_scale_f64 v[162:163], null, v[158:159], v[158:159], v[160:161]
	v_div_scale_f64 v[168:169], vcc_lo, v[160:161], v[158:159], v[160:161]
	v_rcp_f64_e32 v[164:165], v[162:163]
	v_fma_f64 v[166:167], -v[162:163], v[164:165], 1.0
	v_fma_f64 v[164:165], v[164:165], v[166:167], v[164:165]
	v_fma_f64 v[166:167], -v[162:163], v[164:165], 1.0
	v_fma_f64 v[164:165], v[164:165], v[166:167], v[164:165]
	v_mul_f64 v[166:167], v[168:169], v[164:165]
	v_fma_f64 v[162:163], -v[162:163], v[166:167], v[168:169]
	v_div_fmas_f64 v[162:163], v[162:163], v[164:165], v[166:167]
	v_div_fixup_f64 v[164:165], v[162:163], v[158:159], v[160:161]
	v_fma_f64 v[158:159], v[160:161], v[164:165], v[158:159]
	v_div_scale_f64 v[160:161], null, v[158:159], v[158:159], 1.0
	v_rcp_f64_e32 v[162:163], v[160:161]
	v_fma_f64 v[166:167], -v[160:161], v[162:163], 1.0
	v_fma_f64 v[162:163], v[162:163], v[166:167], v[162:163]
	v_fma_f64 v[166:167], -v[160:161], v[162:163], 1.0
	v_fma_f64 v[162:163], v[162:163], v[166:167], v[162:163]
	v_div_scale_f64 v[166:167], vcc_lo, 1.0, v[158:159], 1.0
	v_mul_f64 v[168:169], v[166:167], v[162:163]
	v_fma_f64 v[160:161], -v[160:161], v[168:169], v[166:167]
	v_div_fmas_f64 v[160:161], v[160:161], v[162:163], v[168:169]
	v_div_fixup_f64 v[162:163], v[160:161], v[158:159], 1.0
	v_mul_f64 v[164:165], v[164:165], -v[162:163]
.LBB41_169:
	s_or_b32 exec_lo, exec_lo, s1
	ds_write2_b64 v1, v[162:163], v[164:165] offset1:1
.LBB41_170:
	s_or_b32 exec_lo, exec_lo, s2
	s_waitcnt lgkmcnt(0)
	s_barrier
	buffer_gl0_inv
	ds_read2_b64 v[158:161], v1 offset1:1
	s_mov_b32 s1, exec_lo
	v_cmpx_lt_u32_e32 18, v0
	s_cbranch_execz .LBB41_172
; %bb.171:
	s_waitcnt lgkmcnt(0)
	v_mul_f64 v[162:163], v[158:159], v[20:21]
	v_mul_f64 v[20:21], v[160:161], v[20:21]
	v_fma_f64 v[215:216], v[160:161], v[18:19], v[162:163]
	ds_read2_b64 v[162:165], v214 offset0:38 offset1:39
	ds_read2_b64 v[166:169], v214 offset0:40 offset1:41
	v_fma_f64 v[18:19], v[158:159], v[18:19], -v[20:21]
	s_waitcnt lgkmcnt(1)
	v_mul_f64 v[20:21], v[164:165], v[215:216]
	v_mul_f64 v[217:218], v[162:163], v[215:216]
	s_waitcnt lgkmcnt(0)
	v_mul_f64 v[219:220], v[168:169], v[215:216]
	v_mul_f64 v[221:222], v[166:167], v[215:216]
	v_fma_f64 v[20:21], v[162:163], v[18:19], -v[20:21]
	v_fma_f64 v[162:163], v[164:165], v[18:19], v[217:218]
	v_fma_f64 v[164:165], v[166:167], v[18:19], -v[219:220]
	v_fma_f64 v[166:167], v[168:169], v[18:19], v[221:222]
	v_add_f64 v[14:15], v[14:15], -v[20:21]
	v_add_f64 v[16:17], v[16:17], -v[162:163]
	v_add_f64 v[10:11], v[10:11], -v[164:165]
	v_add_f64 v[12:13], v[12:13], -v[166:167]
	v_mov_b32_e32 v20, v215
	v_mov_b32_e32 v21, v216
.LBB41_172:
	s_or_b32 exec_lo, exec_lo, s1
	s_mov_b32 s2, exec_lo
	s_waitcnt lgkmcnt(0)
	s_barrier
	buffer_gl0_inv
	v_cmpx_eq_u32_e32 19, v0
	s_cbranch_execz .LBB41_179
; %bb.173:
	ds_write2_b64 v1, v[14:15], v[16:17] offset1:1
	ds_write2_b64 v214, v[10:11], v[12:13] offset0:40 offset1:41
	ds_read2_b64 v[162:165], v1 offset1:1
	s_waitcnt lgkmcnt(0)
	v_cmp_neq_f64_e32 vcc_lo, 0, v[162:163]
	v_cmp_neq_f64_e64 s1, 0, v[164:165]
	s_or_b32 s1, vcc_lo, s1
	s_and_b32 exec_lo, exec_lo, s1
	s_cbranch_execz .LBB41_179
; %bb.174:
	v_cmp_ngt_f64_e64 s1, |v[162:163]|, |v[164:165]|
                                        ; implicit-def: $vgpr166_vgpr167
	s_and_saveexec_b32 s3, s1
	s_xor_b32 s1, exec_lo, s3
                                        ; implicit-def: $vgpr168_vgpr169
	s_cbranch_execz .LBB41_176
; %bb.175:
	v_div_scale_f64 v[166:167], null, v[164:165], v[164:165], v[162:163]
	v_div_scale_f64 v[217:218], vcc_lo, v[162:163], v[164:165], v[162:163]
	v_rcp_f64_e32 v[168:169], v[166:167]
	v_fma_f64 v[215:216], -v[166:167], v[168:169], 1.0
	v_fma_f64 v[168:169], v[168:169], v[215:216], v[168:169]
	v_fma_f64 v[215:216], -v[166:167], v[168:169], 1.0
	v_fma_f64 v[168:169], v[168:169], v[215:216], v[168:169]
	v_mul_f64 v[215:216], v[217:218], v[168:169]
	v_fma_f64 v[166:167], -v[166:167], v[215:216], v[217:218]
	v_div_fmas_f64 v[166:167], v[166:167], v[168:169], v[215:216]
	v_div_fixup_f64 v[166:167], v[166:167], v[164:165], v[162:163]
	v_fma_f64 v[162:163], v[162:163], v[166:167], v[164:165]
	v_div_scale_f64 v[164:165], null, v[162:163], v[162:163], 1.0
	v_rcp_f64_e32 v[168:169], v[164:165]
	v_fma_f64 v[215:216], -v[164:165], v[168:169], 1.0
	v_fma_f64 v[168:169], v[168:169], v[215:216], v[168:169]
	v_fma_f64 v[215:216], -v[164:165], v[168:169], 1.0
	v_fma_f64 v[168:169], v[168:169], v[215:216], v[168:169]
	v_div_scale_f64 v[215:216], vcc_lo, 1.0, v[162:163], 1.0
	v_mul_f64 v[217:218], v[215:216], v[168:169]
	v_fma_f64 v[164:165], -v[164:165], v[217:218], v[215:216]
	v_div_fmas_f64 v[164:165], v[164:165], v[168:169], v[217:218]
	v_div_fixup_f64 v[168:169], v[164:165], v[162:163], 1.0
                                        ; implicit-def: $vgpr162_vgpr163
	v_mul_f64 v[166:167], v[166:167], v[168:169]
	v_xor_b32_e32 v169, 0x80000000, v169
.LBB41_176:
	s_andn2_saveexec_b32 s1, s1
	s_cbranch_execz .LBB41_178
; %bb.177:
	v_div_scale_f64 v[166:167], null, v[162:163], v[162:163], v[164:165]
	v_div_scale_f64 v[217:218], vcc_lo, v[164:165], v[162:163], v[164:165]
	v_rcp_f64_e32 v[168:169], v[166:167]
	v_fma_f64 v[215:216], -v[166:167], v[168:169], 1.0
	v_fma_f64 v[168:169], v[168:169], v[215:216], v[168:169]
	v_fma_f64 v[215:216], -v[166:167], v[168:169], 1.0
	v_fma_f64 v[168:169], v[168:169], v[215:216], v[168:169]
	v_mul_f64 v[215:216], v[217:218], v[168:169]
	v_fma_f64 v[166:167], -v[166:167], v[215:216], v[217:218]
	v_div_fmas_f64 v[166:167], v[166:167], v[168:169], v[215:216]
	v_div_fixup_f64 v[168:169], v[166:167], v[162:163], v[164:165]
	v_fma_f64 v[162:163], v[164:165], v[168:169], v[162:163]
	v_div_scale_f64 v[164:165], null, v[162:163], v[162:163], 1.0
	v_rcp_f64_e32 v[166:167], v[164:165]
	v_fma_f64 v[215:216], -v[164:165], v[166:167], 1.0
	v_fma_f64 v[166:167], v[166:167], v[215:216], v[166:167]
	v_fma_f64 v[215:216], -v[164:165], v[166:167], 1.0
	v_fma_f64 v[166:167], v[166:167], v[215:216], v[166:167]
	v_div_scale_f64 v[215:216], vcc_lo, 1.0, v[162:163], 1.0
	v_mul_f64 v[217:218], v[215:216], v[166:167]
	v_fma_f64 v[164:165], -v[164:165], v[217:218], v[215:216]
	v_div_fmas_f64 v[164:165], v[164:165], v[166:167], v[217:218]
	v_div_fixup_f64 v[166:167], v[164:165], v[162:163], 1.0
	v_mul_f64 v[168:169], v[168:169], -v[166:167]
.LBB41_178:
	s_or_b32 exec_lo, exec_lo, s1
	ds_write2_b64 v1, v[166:167], v[168:169] offset1:1
.LBB41_179:
	s_or_b32 exec_lo, exec_lo, s2
	s_waitcnt lgkmcnt(0)
	s_barrier
	buffer_gl0_inv
	ds_read2_b64 v[162:165], v1 offset1:1
	s_mov_b32 s1, exec_lo
	v_cmpx_lt_u32_e32 19, v0
	s_cbranch_execz .LBB41_181
; %bb.180:
	s_waitcnt lgkmcnt(0)
	v_mul_f64 v[166:167], v[162:163], v[16:17]
	v_mul_f64 v[16:17], v[164:165], v[16:17]
	v_fma_f64 v[215:216], v[164:165], v[14:15], v[166:167]
	ds_read2_b64 v[166:169], v214 offset0:40 offset1:41
	v_fma_f64 v[14:15], v[162:163], v[14:15], -v[16:17]
	s_waitcnt lgkmcnt(0)
	v_mul_f64 v[16:17], v[168:169], v[215:216]
	v_mul_f64 v[217:218], v[166:167], v[215:216]
	v_fma_f64 v[16:17], v[166:167], v[14:15], -v[16:17]
	v_fma_f64 v[166:167], v[168:169], v[14:15], v[217:218]
	v_add_f64 v[10:11], v[10:11], -v[16:17]
	v_add_f64 v[12:13], v[12:13], -v[166:167]
	v_mov_b32_e32 v16, v215
	v_mov_b32_e32 v17, v216
.LBB41_181:
	s_or_b32 exec_lo, exec_lo, s1
	s_mov_b32 s2, exec_lo
	s_waitcnt lgkmcnt(0)
	s_barrier
	buffer_gl0_inv
	v_cmpx_eq_u32_e32 20, v0
	s_cbranch_execz .LBB41_188
; %bb.182:
	v_cmp_neq_f64_e32 vcc_lo, 0, v[10:11]
	v_cmp_neq_f64_e64 s1, 0, v[12:13]
	ds_write2_b64 v1, v[10:11], v[12:13] offset1:1
	s_or_b32 s1, vcc_lo, s1
	s_and_b32 exec_lo, exec_lo, s1
	s_cbranch_execz .LBB41_188
; %bb.183:
	v_cmp_ngt_f64_e64 s1, |v[10:11]|, |v[12:13]|
                                        ; implicit-def: $vgpr166_vgpr167
	s_and_saveexec_b32 s3, s1
	s_xor_b32 s1, exec_lo, s3
                                        ; implicit-def: $vgpr168_vgpr169
	s_cbranch_execz .LBB41_185
; %bb.184:
	v_div_scale_f64 v[166:167], null, v[12:13], v[12:13], v[10:11]
	v_div_scale_f64 v[216:217], vcc_lo, v[10:11], v[12:13], v[10:11]
	v_rcp_f64_e32 v[168:169], v[166:167]
	v_fma_f64 v[214:215], -v[166:167], v[168:169], 1.0
	v_fma_f64 v[168:169], v[168:169], v[214:215], v[168:169]
	v_fma_f64 v[214:215], -v[166:167], v[168:169], 1.0
	v_fma_f64 v[168:169], v[168:169], v[214:215], v[168:169]
	v_mul_f64 v[214:215], v[216:217], v[168:169]
	v_fma_f64 v[166:167], -v[166:167], v[214:215], v[216:217]
	v_div_fmas_f64 v[166:167], v[166:167], v[168:169], v[214:215]
	v_div_fixup_f64 v[166:167], v[166:167], v[12:13], v[10:11]
	v_fma_f64 v[168:169], v[10:11], v[166:167], v[12:13]
	v_div_scale_f64 v[214:215], null, v[168:169], v[168:169], 1.0
	v_rcp_f64_e32 v[216:217], v[214:215]
	v_fma_f64 v[218:219], -v[214:215], v[216:217], 1.0
	v_fma_f64 v[216:217], v[216:217], v[218:219], v[216:217]
	v_fma_f64 v[218:219], -v[214:215], v[216:217], 1.0
	v_fma_f64 v[216:217], v[216:217], v[218:219], v[216:217]
	v_div_scale_f64 v[218:219], vcc_lo, 1.0, v[168:169], 1.0
	v_mul_f64 v[220:221], v[218:219], v[216:217]
	v_fma_f64 v[214:215], -v[214:215], v[220:221], v[218:219]
	v_div_fmas_f64 v[214:215], v[214:215], v[216:217], v[220:221]
	v_div_fixup_f64 v[168:169], v[214:215], v[168:169], 1.0
	v_mul_f64 v[166:167], v[166:167], v[168:169]
	v_xor_b32_e32 v169, 0x80000000, v169
.LBB41_185:
	s_andn2_saveexec_b32 s1, s1
	s_cbranch_execz .LBB41_187
; %bb.186:
	v_div_scale_f64 v[166:167], null, v[10:11], v[10:11], v[12:13]
	v_div_scale_f64 v[216:217], vcc_lo, v[12:13], v[10:11], v[12:13]
	v_rcp_f64_e32 v[168:169], v[166:167]
	v_fma_f64 v[214:215], -v[166:167], v[168:169], 1.0
	v_fma_f64 v[168:169], v[168:169], v[214:215], v[168:169]
	v_fma_f64 v[214:215], -v[166:167], v[168:169], 1.0
	v_fma_f64 v[168:169], v[168:169], v[214:215], v[168:169]
	v_mul_f64 v[214:215], v[216:217], v[168:169]
	v_fma_f64 v[166:167], -v[166:167], v[214:215], v[216:217]
	v_div_fmas_f64 v[166:167], v[166:167], v[168:169], v[214:215]
	v_div_fixup_f64 v[168:169], v[166:167], v[10:11], v[12:13]
	v_fma_f64 v[166:167], v[12:13], v[168:169], v[10:11]
	v_div_scale_f64 v[214:215], null, v[166:167], v[166:167], 1.0
	v_rcp_f64_e32 v[216:217], v[214:215]
	v_fma_f64 v[218:219], -v[214:215], v[216:217], 1.0
	v_fma_f64 v[216:217], v[216:217], v[218:219], v[216:217]
	v_fma_f64 v[218:219], -v[214:215], v[216:217], 1.0
	v_fma_f64 v[216:217], v[216:217], v[218:219], v[216:217]
	v_div_scale_f64 v[218:219], vcc_lo, 1.0, v[166:167], 1.0
	v_mul_f64 v[220:221], v[218:219], v[216:217]
	v_fma_f64 v[214:215], -v[214:215], v[220:221], v[218:219]
	v_div_fmas_f64 v[214:215], v[214:215], v[216:217], v[220:221]
	v_div_fixup_f64 v[166:167], v[214:215], v[166:167], 1.0
	v_mul_f64 v[168:169], v[168:169], -v[166:167]
.LBB41_187:
	s_or_b32 exec_lo, exec_lo, s1
	ds_write2_b64 v1, v[166:167], v[168:169] offset1:1
.LBB41_188:
	s_or_b32 exec_lo, exec_lo, s2
	s_waitcnt lgkmcnt(0)
	s_barrier
	buffer_gl0_inv
	ds_read2_b64 v[166:169], v1 offset1:1
	s_mov_b32 s1, exec_lo
	v_cmpx_lt_u32_e32 20, v0
	s_cbranch_execz .LBB41_190
; %bb.189:
	s_waitcnt lgkmcnt(0)
	v_mul_f64 v[0:1], v[168:169], v[12:13]
	v_mul_f64 v[12:13], v[166:167], v[12:13]
	v_fma_f64 v[0:1], v[166:167], v[10:11], -v[0:1]
	v_fma_f64 v[12:13], v[168:169], v[10:11], v[12:13]
	v_mov_b32_e32 v11, v1
	v_mov_b32_e32 v10, v0
.LBB41_190:
	s_or_b32 exec_lo, exec_lo, s1
	s_waitcnt lgkmcnt(0)
	s_barrier
	buffer_gl0_inv
	s_and_saveexec_b32 s6, s0
	s_cbranch_execz .LBB41_193
; %bb.191:
	v_lshlrev_b64 v[0:1], 2, v[196:197]
	v_cmp_eq_f64_e64 s0, 0, v[88:89]
	v_cmp_neq_f64_e64 s1, 0, v[90:91]
	v_cmp_neq_f64_e64 s2, 0, v[92:93]
	v_cmp_eq_f64_e64 s3, 0, v[94:95]
	v_cmp_eq_f64_e64 s4, 0, v[96:97]
	v_add_co_u32 v0, vcc_lo, s10, v0
	v_add_co_ci_u32_e64 v1, null, s11, v1, vcc_lo
	v_cmp_eq_f64_e32 vcc_lo, 0, v[86:87]
	v_cmp_eq_f64_e64 s5, 0, v[98:99]
	global_load_dword v196, v[0:1], off
	s_or_b32 s1, s1, s2
	v_cmp_eq_f64_e64 s2, 0, v[104:105]
	s_and_b32 s3, s3, s4
	v_cmp_eq_f64_e64 s4, 0, v[108:109]
	s_and_b32 s0, vcc_lo, s0
	v_cmp_eq_f64_e32 vcc_lo, 0, v[100:101]
	v_cndmask_b32_e64 v86, 0, 1, s0
	s_or_b32 s0, s1, s0
	v_cmp_eq_f64_e64 s1, 0, v[102:103]
	v_cndmask_b32_e64 v86, 2, v86, s0
	v_cmp_eq_u32_e64 s0, 0, v86
	s_and_b32 s0, s3, s0
	v_cmp_eq_f64_e64 s3, 0, v[106:107]
	v_cndmask_b32_e64 v86, v86, 3, s0
	s_and_b32 s5, s5, vcc_lo
	v_cmp_eq_u32_e64 s0, 0, v86
	s_and_b32 s1, s1, s2
	v_cmp_eq_f64_e64 s2, 0, v[116:117]
	s_and_b32 s0, s5, s0
	v_cmp_eq_f64_e64 s5, 0, v[112:113]
	v_cndmask_b32_e64 v86, v86, 4, s0
	v_cmp_eq_f64_e64 s0, 0, v[110:111]
	v_cmp_eq_u32_e32 vcc_lo, 0, v86
	s_and_b32 s3, s3, s4
	s_and_b32 s1, s1, vcc_lo
	v_cmp_eq_f64_e64 s4, 0, v[120:121]
	v_cndmask_b32_e64 v86, v86, 5, s1
	v_cmp_eq_f64_e64 s1, 0, v[114:115]
	v_cmp_eq_u32_e32 vcc_lo, 0, v86
	s_and_b32 s3, s3, vcc_lo
	s_and_b32 s0, s0, s5
	v_cndmask_b32_e64 v86, v86, 6, s3
	v_cmp_eq_f64_e64 s3, 0, v[118:119]
	v_cmp_eq_f64_e64 s5, 0, v[124:125]
	v_cmp_eq_u32_e32 vcc_lo, 0, v86
	s_and_b32 s0, s0, vcc_lo
	s_and_b32 s1, s1, s2
	v_cndmask_b32_e64 v86, v86, 7, s0
	v_cmp_eq_f64_e64 s0, 0, v[122:123]
	;; [unrolled: 6-line block ×13, first 2 shown]
	v_cmp_eq_u32_e32 vcc_lo, 0, v86
	s_and_b32 s0, s0, vcc_lo
	v_cndmask_b32_e64 v86, v86, 19, s0
	s_and_b32 s0, s1, s2
	v_cmp_eq_u32_e32 vcc_lo, 0, v86
	s_and_b32 s0, s0, vcc_lo
	v_cndmask_b32_e64 v86, v86, 20, s0
	s_and_b32 s0, s3, s4
	v_cmp_eq_u32_e32 vcc_lo, 0, v86
	s_and_b32 s0, s0, vcc_lo
	v_cndmask_b32_e64 v86, v86, 21, s0
	v_cmp_ne_u32_e64 s0, 0, v86
	s_waitcnt vmcnt(0)
	v_cmp_eq_u32_e32 vcc_lo, 0, v196
	s_and_b32 s0, vcc_lo, s0
	s_and_b32 exec_lo, exec_lo, s0
	s_cbranch_execz .LBB41_193
; %bb.192:
	v_add_nc_u32_e32 v86, s13, v86
	global_store_dword v[0:1], v86, off
.LBB41_193:
	s_or_b32 exec_lo, exec_lo, s6
	global_store_dwordx4 v[176:177], v[6:9], off
	global_store_dwordx4 v[178:179], v[2:5], off
	;; [unrolled: 1-line block ×21, first 2 shown]
.LBB41_194:
	s_endpgm
	.section	.rodata,"a",@progbits
	.p2align	6, 0x0
	.amdhsa_kernel _ZN9rocsolver6v33100L23getf2_npvt_small_kernelILi21E19rocblas_complex_numIdEiiPS3_EEvT1_T3_lS5_lPT2_S5_S5_
		.amdhsa_group_segment_fixed_size 0
		.amdhsa_private_segment_fixed_size 0
		.amdhsa_kernarg_size 312
		.amdhsa_user_sgpr_count 6
		.amdhsa_user_sgpr_private_segment_buffer 1
		.amdhsa_user_sgpr_dispatch_ptr 0
		.amdhsa_user_sgpr_queue_ptr 0
		.amdhsa_user_sgpr_kernarg_segment_ptr 1
		.amdhsa_user_sgpr_dispatch_id 0
		.amdhsa_user_sgpr_flat_scratch_init 0
		.amdhsa_user_sgpr_private_segment_size 0
		.amdhsa_wavefront_size32 1
		.amdhsa_uses_dynamic_stack 0
		.amdhsa_system_sgpr_private_segment_wavefront_offset 0
		.amdhsa_system_sgpr_workgroup_id_x 1
		.amdhsa_system_sgpr_workgroup_id_y 1
		.amdhsa_system_sgpr_workgroup_id_z 0
		.amdhsa_system_sgpr_workgroup_info 0
		.amdhsa_system_vgpr_workitem_id 1
		.amdhsa_next_free_vgpr 251
		.amdhsa_next_free_sgpr 15
		.amdhsa_reserve_vcc 1
		.amdhsa_reserve_flat_scratch 0
		.amdhsa_float_round_mode_32 0
		.amdhsa_float_round_mode_16_64 0
		.amdhsa_float_denorm_mode_32 3
		.amdhsa_float_denorm_mode_16_64 3
		.amdhsa_dx10_clamp 1
		.amdhsa_ieee_mode 1
		.amdhsa_fp16_overflow 0
		.amdhsa_workgroup_processor_mode 1
		.amdhsa_memory_ordered 1
		.amdhsa_forward_progress 1
		.amdhsa_shared_vgpr_count 0
		.amdhsa_exception_fp_ieee_invalid_op 0
		.amdhsa_exception_fp_denorm_src 0
		.amdhsa_exception_fp_ieee_div_zero 0
		.amdhsa_exception_fp_ieee_overflow 0
		.amdhsa_exception_fp_ieee_underflow 0
		.amdhsa_exception_fp_ieee_inexact 0
		.amdhsa_exception_int_div_zero 0
	.end_amdhsa_kernel
	.section	.text._ZN9rocsolver6v33100L23getf2_npvt_small_kernelILi21E19rocblas_complex_numIdEiiPS3_EEvT1_T3_lS5_lPT2_S5_S5_,"axG",@progbits,_ZN9rocsolver6v33100L23getf2_npvt_small_kernelILi21E19rocblas_complex_numIdEiiPS3_EEvT1_T3_lS5_lPT2_S5_S5_,comdat
.Lfunc_end41:
	.size	_ZN9rocsolver6v33100L23getf2_npvt_small_kernelILi21E19rocblas_complex_numIdEiiPS3_EEvT1_T3_lS5_lPT2_S5_S5_, .Lfunc_end41-_ZN9rocsolver6v33100L23getf2_npvt_small_kernelILi21E19rocblas_complex_numIdEiiPS3_EEvT1_T3_lS5_lPT2_S5_S5_
                                        ; -- End function
	.set _ZN9rocsolver6v33100L23getf2_npvt_small_kernelILi21E19rocblas_complex_numIdEiiPS3_EEvT1_T3_lS5_lPT2_S5_S5_.num_vgpr, 251
	.set _ZN9rocsolver6v33100L23getf2_npvt_small_kernelILi21E19rocblas_complex_numIdEiiPS3_EEvT1_T3_lS5_lPT2_S5_S5_.num_agpr, 0
	.set _ZN9rocsolver6v33100L23getf2_npvt_small_kernelILi21E19rocblas_complex_numIdEiiPS3_EEvT1_T3_lS5_lPT2_S5_S5_.numbered_sgpr, 15
	.set _ZN9rocsolver6v33100L23getf2_npvt_small_kernelILi21E19rocblas_complex_numIdEiiPS3_EEvT1_T3_lS5_lPT2_S5_S5_.num_named_barrier, 0
	.set _ZN9rocsolver6v33100L23getf2_npvt_small_kernelILi21E19rocblas_complex_numIdEiiPS3_EEvT1_T3_lS5_lPT2_S5_S5_.private_seg_size, 0
	.set _ZN9rocsolver6v33100L23getf2_npvt_small_kernelILi21E19rocblas_complex_numIdEiiPS3_EEvT1_T3_lS5_lPT2_S5_S5_.uses_vcc, 1
	.set _ZN9rocsolver6v33100L23getf2_npvt_small_kernelILi21E19rocblas_complex_numIdEiiPS3_EEvT1_T3_lS5_lPT2_S5_S5_.uses_flat_scratch, 0
	.set _ZN9rocsolver6v33100L23getf2_npvt_small_kernelILi21E19rocblas_complex_numIdEiiPS3_EEvT1_T3_lS5_lPT2_S5_S5_.has_dyn_sized_stack, 0
	.set _ZN9rocsolver6v33100L23getf2_npvt_small_kernelILi21E19rocblas_complex_numIdEiiPS3_EEvT1_T3_lS5_lPT2_S5_S5_.has_recursion, 0
	.set _ZN9rocsolver6v33100L23getf2_npvt_small_kernelILi21E19rocblas_complex_numIdEiiPS3_EEvT1_T3_lS5_lPT2_S5_S5_.has_indirect_call, 0
	.section	.AMDGPU.csdata,"",@progbits
; Kernel info:
; codeLenInByte = 28472
; TotalNumSgprs: 17
; NumVgprs: 251
; ScratchSize: 0
; MemoryBound: 1
; FloatMode: 240
; IeeeMode: 1
; LDSByteSize: 0 bytes/workgroup (compile time only)
; SGPRBlocks: 0
; VGPRBlocks: 31
; NumSGPRsForWavesPerEU: 17
; NumVGPRsForWavesPerEU: 251
; Occupancy: 4
; WaveLimiterHint : 0
; COMPUTE_PGM_RSRC2:SCRATCH_EN: 0
; COMPUTE_PGM_RSRC2:USER_SGPR: 6
; COMPUTE_PGM_RSRC2:TRAP_HANDLER: 0
; COMPUTE_PGM_RSRC2:TGID_X_EN: 1
; COMPUTE_PGM_RSRC2:TGID_Y_EN: 1
; COMPUTE_PGM_RSRC2:TGID_Z_EN: 0
; COMPUTE_PGM_RSRC2:TIDIG_COMP_CNT: 1
	.section	.text._ZN9rocsolver6v33100L18getf2_small_kernelILi22E19rocblas_complex_numIdEiiPS3_EEvT1_T3_lS5_lPS5_llPT2_S5_S5_S7_l,"axG",@progbits,_ZN9rocsolver6v33100L18getf2_small_kernelILi22E19rocblas_complex_numIdEiiPS3_EEvT1_T3_lS5_lPS5_llPT2_S5_S5_S7_l,comdat
	.globl	_ZN9rocsolver6v33100L18getf2_small_kernelILi22E19rocblas_complex_numIdEiiPS3_EEvT1_T3_lS5_lPS5_llPT2_S5_S5_S7_l ; -- Begin function _ZN9rocsolver6v33100L18getf2_small_kernelILi22E19rocblas_complex_numIdEiiPS3_EEvT1_T3_lS5_lPS5_llPT2_S5_S5_S7_l
	.p2align	8
	.type	_ZN9rocsolver6v33100L18getf2_small_kernelILi22E19rocblas_complex_numIdEiiPS3_EEvT1_T3_lS5_lPS5_llPT2_S5_S5_S7_l,@function
_ZN9rocsolver6v33100L18getf2_small_kernelILi22E19rocblas_complex_numIdEiiPS3_EEvT1_T3_lS5_lPS5_llPT2_S5_S5_S7_l: ; @_ZN9rocsolver6v33100L18getf2_small_kernelILi22E19rocblas_complex_numIdEiiPS3_EEvT1_T3_lS5_lPS5_llPT2_S5_S5_S7_l
; %bb.0:
	s_clause 0x1
	s_load_dword s0, s[4:5], 0x6c
	s_load_dwordx2 s[16:17], s[4:5], 0x48
	s_waitcnt lgkmcnt(0)
	s_lshr_b32 s0, s0, 16
	v_mad_u64_u32 v[94:95], null, s7, s0, v[1:2]
	s_mov_b32 s0, exec_lo
	v_cmpx_gt_i32_e64 s16, v94
	s_cbranch_execz .LBB42_465
; %bb.1:
	s_load_dwordx4 s[0:3], s[4:5], 0x50
	v_mov_b32_e32 v96, 0
	v_ashrrev_i32_e32 v95, 31, v94
	v_mov_b32_e32 v97, 0
	s_waitcnt lgkmcnt(0)
	s_cmp_eq_u64 s[0:1], 0
	s_cselect_b32 s16, -1, 0
	s_and_b32 vcc_lo, exec_lo, s16
	s_cbranch_vccnz .LBB42_3
; %bb.2:
	v_mul_lo_u32 v4, s3, v94
	v_mul_lo_u32 v5, s2, v95
	v_mad_u64_u32 v[2:3], null, s2, v94, 0
	v_add3_u32 v3, v3, v5, v4
	v_lshlrev_b64 v[2:3], 2, v[2:3]
	v_add_co_u32 v96, vcc_lo, s0, v2
	v_add_co_ci_u32_e64 v97, null, s1, v3, vcc_lo
.LBB42_3:
	s_clause 0x2
	s_load_dwordx8 s[8:15], s[4:5], 0x20
	s_load_dword s6, s[4:5], 0x18
	s_load_dwordx4 s[0:3], s[4:5], 0x8
	v_lshlrev_b32_e32 v100, 4, v0
	s_clause 0x1
	s_load_dword s18, s[4:5], 0x0
	s_load_dwordx2 s[4:5], s[4:5], 0x40
	s_waitcnt lgkmcnt(0)
	v_mul_lo_u32 v5, s9, v94
	v_mul_lo_u32 v7, s8, v95
	v_mad_u64_u32 v[2:3], null, s8, v94, 0
	v_add3_u32 v4, s6, s6, v0
	s_lshl_b64 s[2:3], s[2:3], 4
	s_ashr_i32 s7, s6, 31
	s_lshl_b64 s[8:9], s[6:7], 4
	v_add_nc_u32_e32 v6, s6, v4
	v_add3_u32 v3, v3, v7, v5
	v_ashrrev_i32_e32 v5, 31, v4
	v_add_nc_u32_e32 v8, s6, v6
	v_lshlrev_b64 v[2:3], 4, v[2:3]
	v_ashrrev_i32_e32 v7, 31, v6
	v_lshlrev_b64 v[4:5], 4, v[4:5]
	v_add_nc_u32_e32 v10, s6, v8
	v_ashrrev_i32_e32 v9, 31, v8
	v_add_co_u32 v12, vcc_lo, s0, v2
	v_add_co_ci_u32_e64 v3, null, s1, v3, vcc_lo
	v_add_nc_u32_e32 v2, s6, v10
	v_add_co_u32 v101, vcc_lo, v12, s2
	v_add_co_ci_u32_e64 v102, null, s3, v3, vcc_lo
	v_lshlrev_b64 v[6:7], 4, v[6:7]
	v_add_nc_u32_e32 v12, s6, v2
	v_add_co_u32 v14, vcc_lo, v101, v100
	v_add_co_ci_u32_e64 v15, null, 0, v102, vcc_lo
	v_add_co_u32 v4, vcc_lo, v101, v4
	v_add_co_ci_u32_e64 v5, null, v102, v5, vcc_lo
	v_add_co_u32 v6, vcc_lo, v101, v6
	v_add_nc_u32_e32 v16, s6, v12
	v_add_co_ci_u32_e64 v7, null, v102, v7, vcc_lo
	global_load_dwordx4 v[78:81], v[14:15], off
	v_ashrrev_i32_e32 v13, 31, v12
	s_clause 0x1
	global_load_dwordx4 v[66:69], v[4:5], off
	global_load_dwordx4 v[62:65], v[6:7], off
	v_ashrrev_i32_e32 v17, 31, v16
	v_add_nc_u32_e32 v6, s6, v16
	v_ashrrev_i32_e32 v11, 31, v10
	v_lshlrev_b64 v[4:5], 4, v[12:13]
	v_lshlrev_b64 v[8:9], 4, v[8:9]
	;; [unrolled: 1-line block ×3, first 2 shown]
	v_add_nc_u32_e32 v16, s6, v6
	v_ashrrev_i32_e32 v3, 31, v2
	v_lshlrev_b64 v[10:11], 4, v[10:11]
	v_ashrrev_i32_e32 v7, 31, v6
	v_add_co_u32 v8, vcc_lo, v101, v8
	v_add_nc_u32_e32 v18, s6, v16
	v_lshlrev_b64 v[2:3], 4, v[2:3]
	v_add_co_ci_u32_e64 v9, null, v102, v9, vcc_lo
	v_add_co_u32 v10, vcc_lo, v101, v10
	v_add_nc_u32_e32 v20, s6, v18
	v_ashrrev_i32_e32 v17, 31, v16
	v_add_co_ci_u32_e64 v11, null, v102, v11, vcc_lo
	v_add_co_u32 v14, vcc_lo, v14, s8
	v_add_nc_u32_e32 v22, s6, v20
	v_ashrrev_i32_e32 v19, 31, v18
	v_add_co_ci_u32_e64 v15, null, s9, v15, vcc_lo
	v_add_co_u32 v2, vcc_lo, v101, v2
	v_add_nc_u32_e32 v24, s6, v22
	v_lshlrev_b64 v[6:7], 4, v[6:7]
	v_ashrrev_i32_e32 v21, 31, v20
	v_add_co_ci_u32_e64 v3, null, v102, v3, vcc_lo
	v_add_nc_u32_e32 v26, s6, v24
	v_add_co_u32 v4, vcc_lo, v101, v4
	v_lshlrev_b64 v[16:17], 4, v[16:17]
	v_ashrrev_i32_e32 v23, 31, v22
	v_add_nc_u32_e32 v28, s6, v26
	v_add_co_ci_u32_e64 v5, null, v102, v5, vcc_lo
	v_add_co_u32 v12, vcc_lo, v101, v12
	v_lshlrev_b64 v[18:19], 4, v[18:19]
	v_ashrrev_i32_e32 v25, 31, v24
	v_add_co_ci_u32_e64 v13, null, v102, v13, vcc_lo
	v_add_co_u32 v6, vcc_lo, v101, v6
	v_lshlrev_b64 v[20:21], 4, v[20:21]
	v_ashrrev_i32_e32 v27, 31, v26
	v_add_nc_u32_e32 v30, s6, v28
	v_add_co_ci_u32_e64 v7, null, v102, v7, vcc_lo
	v_add_co_u32 v16, vcc_lo, v101, v16
	v_lshlrev_b64 v[22:23], 4, v[22:23]
	v_ashrrev_i32_e32 v29, 31, v28
	v_add_co_ci_u32_e64 v17, null, v102, v17, vcc_lo
	v_add_co_u32 v18, vcc_lo, v101, v18
	v_lshlrev_b64 v[24:25], 4, v[24:25]
	v_add_co_ci_u32_e64 v19, null, v102, v19, vcc_lo
	v_add_co_u32 v20, vcc_lo, v101, v20
	v_lshlrev_b64 v[26:27], 4, v[26:27]
	v_add_nc_u32_e32 v32, s6, v30
	v_add_co_ci_u32_e64 v21, null, v102, v21, vcc_lo
	v_add_co_u32 v22, vcc_lo, v101, v22
	v_lshlrev_b64 v[28:29], 4, v[28:29]
	v_ashrrev_i32_e32 v31, 31, v30
	v_add_co_ci_u32_e64 v23, null, v102, v23, vcc_lo
	v_add_co_u32 v24, vcc_lo, v101, v24
	v_ashrrev_i32_e32 v33, 31, v32
	v_add_nc_u32_e32 v34, s6, v32
	v_add_co_ci_u32_e64 v25, null, v102, v25, vcc_lo
	v_add_co_u32 v26, vcc_lo, v101, v26
	v_lshlrev_b64 v[30:31], 4, v[30:31]
	v_add_co_ci_u32_e64 v27, null, v102, v27, vcc_lo
	v_add_co_u32 v90, vcc_lo, v101, v28
	v_add_co_ci_u32_e64 v91, null, v102, v29, vcc_lo
	v_lshlrev_b64 v[28:29], 4, v[32:33]
	v_ashrrev_i32_e32 v35, 31, v34
	v_add_nc_u32_e32 v32, s6, v34
	v_add_co_u32 v92, vcc_lo, v101, v30
	v_add_co_ci_u32_e64 v93, null, v102, v31, vcc_lo
	v_lshlrev_b64 v[30:31], 4, v[34:35]
	v_add_nc_u32_e32 v34, s6, v32
	v_ashrrev_i32_e32 v33, 31, v32
	v_add_co_u32 v98, vcc_lo, v101, v28
	v_add_co_ci_u32_e64 v99, null, v102, v29, vcc_lo
	v_ashrrev_i32_e32 v35, 31, v34
	v_lshlrev_b64 v[28:29], 4, v[32:33]
	v_add_co_u32 v103, vcc_lo, v101, v30
	v_add_co_ci_u32_e64 v104, null, v102, v31, vcc_lo
	v_lshlrev_b64 v[30:31], 4, v[34:35]
	v_add_co_u32 v105, vcc_lo, v101, v28
	v_add_co_ci_u32_e64 v106, null, v102, v29, vcc_lo
	s_max_i32 s0, s18, 22
	v_add_co_u32 v107, vcc_lo, v101, v30
	v_add_co_ci_u32_e64 v108, null, v102, v31, vcc_lo
	s_clause 0x12
	global_load_dwordx4 v[86:89], v[14:15], off
	global_load_dwordx4 v[82:85], v[8:9], off
	;; [unrolled: 1-line block ×19, first 2 shown]
	v_mul_lo_u32 v98, s0, v1
	s_cmp_lt_i32 s18, 2
	v_lshl_add_u32 v1, v98, 4, 0
	v_add_nc_u32_e32 v90, v1, v100
	v_lshlrev_b32_e32 v100, 4, v98
	v_mov_b32_e32 v98, 0
	s_waitcnt vmcnt(21)
	ds_write2_b64 v90, v[78:79], v[80:81] offset1:1
	s_waitcnt vmcnt(0) lgkmcnt(0)
	s_barrier
	buffer_gl0_inv
	ds_read2_b64 v[90:93], v1 offset1:1
	s_cbranch_scc1 .LBB42_6
; %bb.4:
	v_add3_u32 v99, v100, 0, 16
	v_mov_b32_e32 v98, 0
	s_mov_b32 s3, 1
	s_inst_prefetch 0x1
	.p2align	6
.LBB42_5:                               ; =>This Inner Loop Header: Depth=1
	ds_read2_b64 v[103:106], v99 offset1:1
	s_waitcnt lgkmcnt(1)
	v_cmp_gt_f64_e32 vcc_lo, 0, v[90:91]
	v_cmp_gt_f64_e64 s0, 0, v[92:93]
	v_xor_b32_e32 v108, 0x80000000, v91
	v_xor_b32_e32 v110, 0x80000000, v93
	v_mov_b32_e32 v107, v90
	v_mov_b32_e32 v109, v92
	v_add_nc_u32_e32 v99, 16, v99
	s_waitcnt lgkmcnt(0)
	v_cmp_gt_f64_e64 s1, 0, v[103:104]
	v_cmp_gt_f64_e64 s2, 0, v[105:106]
	v_xor_b32_e32 v112, 0x80000000, v104
	v_xor_b32_e32 v114, 0x80000000, v106
	v_mov_b32_e32 v111, v103
	v_mov_b32_e32 v113, v105
	v_cndmask_b32_e32 v108, v91, v108, vcc_lo
	v_cndmask_b32_e64 v110, v93, v110, s0
	v_add_f64 v[107:108], v[107:108], v[109:110]
	v_cndmask_b32_e64 v112, v104, v112, s1
	v_cndmask_b32_e64 v114, v106, v114, s2
	v_add_f64 v[109:110], v[111:112], v[113:114]
	v_cmp_lt_f64_e32 vcc_lo, v[107:108], v[109:110]
	v_cndmask_b32_e32 v91, v91, v104, vcc_lo
	v_cndmask_b32_e32 v90, v90, v103, vcc_lo
	;; [unrolled: 1-line block ×4, first 2 shown]
	v_cndmask_b32_e64 v98, v98, s3, vcc_lo
	s_add_i32 s3, s3, 1
	s_cmp_eq_u32 s18, s3
	s_cbranch_scc0 .LBB42_5
.LBB42_6:
	s_inst_prefetch 0x2
	s_waitcnt lgkmcnt(0)
	v_cmp_neq_f64_e32 vcc_lo, 0, v[90:91]
	v_cmp_neq_f64_e64 s0, 0, v[92:93]
	v_mov_b32_e32 v103, 1
	v_mov_b32_e32 v105, 1
	s_or_b32 s1, vcc_lo, s0
	s_and_saveexec_b32 s0, s1
	s_cbranch_execz .LBB42_12
; %bb.7:
	v_cmp_ngt_f64_e64 s1, |v[90:91]|, |v[92:93]|
	s_and_saveexec_b32 s2, s1
	s_xor_b32 s1, exec_lo, s2
	s_cbranch_execz .LBB42_9
; %bb.8:
	v_div_scale_f64 v[103:104], null, v[92:93], v[92:93], v[90:91]
	v_div_scale_f64 v[109:110], vcc_lo, v[90:91], v[92:93], v[90:91]
	v_rcp_f64_e32 v[105:106], v[103:104]
	v_fma_f64 v[107:108], -v[103:104], v[105:106], 1.0
	v_fma_f64 v[105:106], v[105:106], v[107:108], v[105:106]
	v_fma_f64 v[107:108], -v[103:104], v[105:106], 1.0
	v_fma_f64 v[105:106], v[105:106], v[107:108], v[105:106]
	v_mul_f64 v[107:108], v[109:110], v[105:106]
	v_fma_f64 v[103:104], -v[103:104], v[107:108], v[109:110]
	v_div_fmas_f64 v[103:104], v[103:104], v[105:106], v[107:108]
	v_div_fixup_f64 v[103:104], v[103:104], v[92:93], v[90:91]
	v_fma_f64 v[90:91], v[90:91], v[103:104], v[92:93]
	v_div_scale_f64 v[92:93], null, v[90:91], v[90:91], 1.0
	v_rcp_f64_e32 v[105:106], v[92:93]
	v_fma_f64 v[107:108], -v[92:93], v[105:106], 1.0
	v_fma_f64 v[105:106], v[105:106], v[107:108], v[105:106]
	v_fma_f64 v[107:108], -v[92:93], v[105:106], 1.0
	v_fma_f64 v[105:106], v[105:106], v[107:108], v[105:106]
	v_div_scale_f64 v[107:108], vcc_lo, 1.0, v[90:91], 1.0
	v_mul_f64 v[109:110], v[107:108], v[105:106]
	v_fma_f64 v[92:93], -v[92:93], v[109:110], v[107:108]
	v_div_fmas_f64 v[92:93], v[92:93], v[105:106], v[109:110]
	v_div_fixup_f64 v[92:93], v[92:93], v[90:91], 1.0
	v_mul_f64 v[90:91], v[103:104], v[92:93]
	v_xor_b32_e32 v93, 0x80000000, v93
.LBB42_9:
	s_andn2_saveexec_b32 s1, s1
	s_cbranch_execz .LBB42_11
; %bb.10:
	v_div_scale_f64 v[103:104], null, v[90:91], v[90:91], v[92:93]
	v_div_scale_f64 v[109:110], vcc_lo, v[92:93], v[90:91], v[92:93]
	v_rcp_f64_e32 v[105:106], v[103:104]
	v_fma_f64 v[107:108], -v[103:104], v[105:106], 1.0
	v_fma_f64 v[105:106], v[105:106], v[107:108], v[105:106]
	v_fma_f64 v[107:108], -v[103:104], v[105:106], 1.0
	v_fma_f64 v[105:106], v[105:106], v[107:108], v[105:106]
	v_mul_f64 v[107:108], v[109:110], v[105:106]
	v_fma_f64 v[103:104], -v[103:104], v[107:108], v[109:110]
	v_div_fmas_f64 v[103:104], v[103:104], v[105:106], v[107:108]
	v_div_fixup_f64 v[103:104], v[103:104], v[90:91], v[92:93]
	v_fma_f64 v[90:91], v[92:93], v[103:104], v[90:91]
	v_div_scale_f64 v[92:93], null, v[90:91], v[90:91], 1.0
	v_rcp_f64_e32 v[105:106], v[92:93]
	v_fma_f64 v[107:108], -v[92:93], v[105:106], 1.0
	v_fma_f64 v[105:106], v[105:106], v[107:108], v[105:106]
	v_fma_f64 v[107:108], -v[92:93], v[105:106], 1.0
	v_fma_f64 v[105:106], v[105:106], v[107:108], v[105:106]
	v_div_scale_f64 v[107:108], vcc_lo, 1.0, v[90:91], 1.0
	v_mul_f64 v[109:110], v[107:108], v[105:106]
	v_fma_f64 v[92:93], -v[92:93], v[109:110], v[107:108]
	v_div_fmas_f64 v[92:93], v[92:93], v[105:106], v[109:110]
	v_div_fixup_f64 v[90:91], v[92:93], v[90:91], 1.0
	v_mul_f64 v[92:93], v[103:104], -v[90:91]
.LBB42_11:
	s_or_b32 exec_lo, exec_lo, s1
	v_mov_b32_e32 v105, 0
	v_mov_b32_e32 v103, 2
.LBB42_12:
	s_or_b32 exec_lo, exec_lo, s0
	s_mov_b32 s0, exec_lo
	v_cmpx_ne_u32_e64 v0, v98
	s_xor_b32 s0, exec_lo, s0
	s_cbranch_execz .LBB42_18
; %bb.13:
	s_mov_b32 s1, exec_lo
	v_cmpx_eq_u32_e32 0, v0
	s_cbranch_execz .LBB42_17
; %bb.14:
	v_cmp_ne_u32_e32 vcc_lo, 0, v98
	s_xor_b32 s2, s16, -1
	s_and_b32 s3, s2, vcc_lo
	s_and_saveexec_b32 s2, s3
	s_cbranch_execz .LBB42_16
; %bb.15:
	v_ashrrev_i32_e32 v99, 31, v98
	v_lshlrev_b64 v[106:107], 2, v[98:99]
	v_add_co_u32 v106, vcc_lo, v96, v106
	v_add_co_ci_u32_e64 v107, null, v97, v107, vcc_lo
	s_clause 0x1
	global_load_dword v0, v[106:107], off
	global_load_dword v99, v[96:97], off
	s_waitcnt vmcnt(1)
	global_store_dword v[96:97], v0, off
	s_waitcnt vmcnt(0)
	global_store_dword v[106:107], v99, off
.LBB42_16:
	s_or_b32 exec_lo, exec_lo, s2
	v_mov_b32_e32 v0, v98
.LBB42_17:
	s_or_b32 exec_lo, exec_lo, s1
.LBB42_18:
	s_or_saveexec_b32 s0, s0
	v_mov_b32_e32 v104, v0
	s_xor_b32 exec_lo, exec_lo, s0
	s_cbranch_execz .LBB42_20
; %bb.19:
	v_mov_b32_e32 v104, 0
	ds_write2_b64 v1, v[86:87], v[88:89] offset0:2 offset1:3
	ds_write2_b64 v1, v[66:67], v[68:69] offset0:4 offset1:5
	;; [unrolled: 1-line block ×21, first 2 shown]
.LBB42_20:
	s_or_b32 exec_lo, exec_lo, s0
	s_mov_b32 s0, exec_lo
	s_waitcnt lgkmcnt(0)
	s_waitcnt_vscnt null, 0x0
	s_barrier
	buffer_gl0_inv
	v_cmpx_lt_i32_e32 0, v104
	s_cbranch_execz .LBB42_22
; %bb.21:
	v_mul_f64 v[98:99], v[92:93], v[80:81]
	v_mul_f64 v[80:81], v[90:91], v[80:81]
	v_fma_f64 v[98:99], v[90:91], v[78:79], -v[98:99]
	v_fma_f64 v[80:81], v[92:93], v[78:79], v[80:81]
	ds_read2_b64 v[90:93], v1 offset0:2 offset1:3
	s_waitcnt lgkmcnt(0)
	v_mul_f64 v[78:79], v[92:93], v[80:81]
	v_fma_f64 v[78:79], v[90:91], v[98:99], -v[78:79]
	v_mul_f64 v[90:91], v[90:91], v[80:81]
	v_add_f64 v[86:87], v[86:87], -v[78:79]
	v_fma_f64 v[90:91], v[92:93], v[98:99], v[90:91]
	v_add_f64 v[88:89], v[88:89], -v[90:91]
	ds_read2_b64 v[90:93], v1 offset0:4 offset1:5
	s_waitcnt lgkmcnt(0)
	v_mul_f64 v[78:79], v[92:93], v[80:81]
	v_fma_f64 v[78:79], v[90:91], v[98:99], -v[78:79]
	v_mul_f64 v[90:91], v[90:91], v[80:81]
	v_add_f64 v[66:67], v[66:67], -v[78:79]
	v_fma_f64 v[90:91], v[92:93], v[98:99], v[90:91]
	v_add_f64 v[68:69], v[68:69], -v[90:91]
	;; [unrolled: 8-line block ×20, first 2 shown]
	ds_read2_b64 v[90:93], v1 offset0:42 offset1:43
	s_waitcnt lgkmcnt(0)
	v_mul_f64 v[78:79], v[92:93], v[80:81]
	v_fma_f64 v[78:79], v[90:91], v[98:99], -v[78:79]
	v_mul_f64 v[90:91], v[90:91], v[80:81]
	v_add_f64 v[2:3], v[2:3], -v[78:79]
	v_fma_f64 v[90:91], v[92:93], v[98:99], v[90:91]
	v_mov_b32_e32 v78, v98
	v_mov_b32_e32 v79, v99
	v_add_f64 v[4:5], v[4:5], -v[90:91]
.LBB42_22:
	s_or_b32 exec_lo, exec_lo, s0
	v_lshl_add_u32 v90, v104, 4, v1
	s_barrier
	buffer_gl0_inv
	v_mov_b32_e32 v98, 1
	ds_write2_b64 v90, v[86:87], v[88:89] offset1:1
	s_waitcnt lgkmcnt(0)
	s_barrier
	buffer_gl0_inv
	ds_read2_b64 v[90:93], v1 offset0:2 offset1:3
	s_cmp_lt_i32 s18, 3
	s_cbranch_scc1 .LBB42_25
; %bb.23:
	v_add3_u32 v99, v100, 0, 32
	v_mov_b32_e32 v98, 1
	s_mov_b32 s1, 2
	s_inst_prefetch 0x1
	.p2align	6
.LBB42_24:                              ; =>This Inner Loop Header: Depth=1
	s_waitcnt lgkmcnt(0)
	v_cmp_gt_f64_e32 vcc_lo, 0, v[92:93]
	v_cmp_gt_f64_e64 s0, 0, v[90:91]
	ds_read2_b64 v[106:109], v99 offset1:1
	v_xor_b32_e32 v111, 0x80000000, v91
	v_xor_b32_e32 v113, 0x80000000, v93
	v_mov_b32_e32 v110, v90
	v_mov_b32_e32 v112, v92
	v_add_nc_u32_e32 v99, 16, v99
	s_waitcnt lgkmcnt(0)
	v_xor_b32_e32 v115, 0x80000000, v109
	v_cndmask_b32_e64 v111, v91, v111, s0
	v_cndmask_b32_e32 v113, v93, v113, vcc_lo
	v_cmp_gt_f64_e32 vcc_lo, 0, v[108:109]
	v_cmp_gt_f64_e64 s0, 0, v[106:107]
	v_mov_b32_e32 v114, v108
	v_add_f64 v[110:111], v[110:111], v[112:113]
	v_xor_b32_e32 v113, 0x80000000, v107
	v_mov_b32_e32 v112, v106
	v_cndmask_b32_e32 v115, v109, v115, vcc_lo
	v_cndmask_b32_e64 v113, v107, v113, s0
	v_add_f64 v[112:113], v[112:113], v[114:115]
	v_cmp_lt_f64_e32 vcc_lo, v[110:111], v[112:113]
	v_cndmask_b32_e32 v91, v91, v107, vcc_lo
	v_cndmask_b32_e32 v90, v90, v106, vcc_lo
	;; [unrolled: 1-line block ×4, first 2 shown]
	v_cndmask_b32_e64 v98, v98, s1, vcc_lo
	s_add_i32 s1, s1, 1
	s_cmp_lg_u32 s18, s1
	s_cbranch_scc1 .LBB42_24
.LBB42_25:
	s_inst_prefetch 0x2
	s_waitcnt lgkmcnt(0)
	v_cmp_neq_f64_e32 vcc_lo, 0, v[90:91]
	v_cmp_neq_f64_e64 s0, 0, v[92:93]
	s_or_b32 s1, vcc_lo, s0
	s_and_saveexec_b32 s0, s1
	s_cbranch_execz .LBB42_31
; %bb.26:
	v_cmp_ngt_f64_e64 s1, |v[90:91]|, |v[92:93]|
	s_and_saveexec_b32 s2, s1
	s_xor_b32 s1, exec_lo, s2
	s_cbranch_execz .LBB42_28
; %bb.27:
	v_div_scale_f64 v[106:107], null, v[92:93], v[92:93], v[90:91]
	v_div_scale_f64 v[112:113], vcc_lo, v[90:91], v[92:93], v[90:91]
	v_rcp_f64_e32 v[108:109], v[106:107]
	v_fma_f64 v[110:111], -v[106:107], v[108:109], 1.0
	v_fma_f64 v[108:109], v[108:109], v[110:111], v[108:109]
	v_fma_f64 v[110:111], -v[106:107], v[108:109], 1.0
	v_fma_f64 v[108:109], v[108:109], v[110:111], v[108:109]
	v_mul_f64 v[110:111], v[112:113], v[108:109]
	v_fma_f64 v[106:107], -v[106:107], v[110:111], v[112:113]
	v_div_fmas_f64 v[106:107], v[106:107], v[108:109], v[110:111]
	v_div_fixup_f64 v[106:107], v[106:107], v[92:93], v[90:91]
	v_fma_f64 v[90:91], v[90:91], v[106:107], v[92:93]
	v_div_scale_f64 v[92:93], null, v[90:91], v[90:91], 1.0
	v_rcp_f64_e32 v[108:109], v[92:93]
	v_fma_f64 v[110:111], -v[92:93], v[108:109], 1.0
	v_fma_f64 v[108:109], v[108:109], v[110:111], v[108:109]
	v_fma_f64 v[110:111], -v[92:93], v[108:109], 1.0
	v_fma_f64 v[108:109], v[108:109], v[110:111], v[108:109]
	v_div_scale_f64 v[110:111], vcc_lo, 1.0, v[90:91], 1.0
	v_mul_f64 v[112:113], v[110:111], v[108:109]
	v_fma_f64 v[92:93], -v[92:93], v[112:113], v[110:111]
	v_div_fmas_f64 v[92:93], v[92:93], v[108:109], v[112:113]
	v_div_fixup_f64 v[92:93], v[92:93], v[90:91], 1.0
	v_mul_f64 v[90:91], v[106:107], v[92:93]
	v_xor_b32_e32 v93, 0x80000000, v93
.LBB42_28:
	s_andn2_saveexec_b32 s1, s1
	s_cbranch_execz .LBB42_30
; %bb.29:
	v_div_scale_f64 v[106:107], null, v[90:91], v[90:91], v[92:93]
	v_div_scale_f64 v[112:113], vcc_lo, v[92:93], v[90:91], v[92:93]
	v_rcp_f64_e32 v[108:109], v[106:107]
	v_fma_f64 v[110:111], -v[106:107], v[108:109], 1.0
	v_fma_f64 v[108:109], v[108:109], v[110:111], v[108:109]
	v_fma_f64 v[110:111], -v[106:107], v[108:109], 1.0
	v_fma_f64 v[108:109], v[108:109], v[110:111], v[108:109]
	v_mul_f64 v[110:111], v[112:113], v[108:109]
	v_fma_f64 v[106:107], -v[106:107], v[110:111], v[112:113]
	v_div_fmas_f64 v[106:107], v[106:107], v[108:109], v[110:111]
	v_div_fixup_f64 v[106:107], v[106:107], v[90:91], v[92:93]
	v_fma_f64 v[90:91], v[92:93], v[106:107], v[90:91]
	v_div_scale_f64 v[92:93], null, v[90:91], v[90:91], 1.0
	v_rcp_f64_e32 v[108:109], v[92:93]
	v_fma_f64 v[110:111], -v[92:93], v[108:109], 1.0
	v_fma_f64 v[108:109], v[108:109], v[110:111], v[108:109]
	v_fma_f64 v[110:111], -v[92:93], v[108:109], 1.0
	v_fma_f64 v[108:109], v[108:109], v[110:111], v[108:109]
	v_div_scale_f64 v[110:111], vcc_lo, 1.0, v[90:91], 1.0
	v_mul_f64 v[112:113], v[110:111], v[108:109]
	v_fma_f64 v[92:93], -v[92:93], v[112:113], v[110:111]
	v_div_fmas_f64 v[92:93], v[92:93], v[108:109], v[112:113]
	v_div_fixup_f64 v[90:91], v[92:93], v[90:91], 1.0
	v_mul_f64 v[92:93], v[106:107], -v[90:91]
.LBB42_30:
	s_or_b32 exec_lo, exec_lo, s1
	v_mov_b32_e32 v103, v105
.LBB42_31:
	s_or_b32 exec_lo, exec_lo, s0
	s_mov_b32 s0, exec_lo
	v_cmpx_ne_u32_e64 v104, v98
	s_xor_b32 s0, exec_lo, s0
	s_cbranch_execz .LBB42_37
; %bb.32:
	s_mov_b32 s1, exec_lo
	v_cmpx_eq_u32_e32 1, v104
	s_cbranch_execz .LBB42_36
; %bb.33:
	v_cmp_ne_u32_e32 vcc_lo, 1, v98
	s_xor_b32 s2, s16, -1
	s_and_b32 s3, s2, vcc_lo
	s_and_saveexec_b32 s2, s3
	s_cbranch_execz .LBB42_35
; %bb.34:
	v_ashrrev_i32_e32 v99, 31, v98
	v_lshlrev_b64 v[104:105], 2, v[98:99]
	v_add_co_u32 v104, vcc_lo, v96, v104
	v_add_co_ci_u32_e64 v105, null, v97, v105, vcc_lo
	s_clause 0x1
	global_load_dword v0, v[104:105], off
	global_load_dword v99, v[96:97], off offset:4
	s_waitcnt vmcnt(1)
	global_store_dword v[96:97], v0, off offset:4
	s_waitcnt vmcnt(0)
	global_store_dword v[104:105], v99, off
.LBB42_35:
	s_or_b32 exec_lo, exec_lo, s2
	v_mov_b32_e32 v104, v98
	v_mov_b32_e32 v0, v98
.LBB42_36:
	s_or_b32 exec_lo, exec_lo, s1
.LBB42_37:
	s_andn2_saveexec_b32 s0, s0
	s_cbranch_execz .LBB42_39
; %bb.38:
	v_mov_b32_e32 v104, 1
	ds_write2_b64 v1, v[66:67], v[68:69] offset0:4 offset1:5
	ds_write2_b64 v1, v[62:63], v[64:65] offset0:6 offset1:7
	;; [unrolled: 1-line block ×20, first 2 shown]
.LBB42_39:
	s_or_b32 exec_lo, exec_lo, s0
	s_mov_b32 s0, exec_lo
	s_waitcnt lgkmcnt(0)
	s_waitcnt_vscnt null, 0x0
	s_barrier
	buffer_gl0_inv
	v_cmpx_lt_i32_e32 1, v104
	s_cbranch_execz .LBB42_41
; %bb.40:
	v_mul_f64 v[98:99], v[92:93], v[88:89]
	v_mul_f64 v[88:89], v[90:91], v[88:89]
	v_fma_f64 v[98:99], v[90:91], v[86:87], -v[98:99]
	v_fma_f64 v[88:89], v[92:93], v[86:87], v[88:89]
	ds_read2_b64 v[90:93], v1 offset0:4 offset1:5
	s_waitcnt lgkmcnt(0)
	v_mul_f64 v[86:87], v[92:93], v[88:89]
	v_fma_f64 v[86:87], v[90:91], v[98:99], -v[86:87]
	v_mul_f64 v[90:91], v[90:91], v[88:89]
	v_add_f64 v[66:67], v[66:67], -v[86:87]
	v_fma_f64 v[90:91], v[92:93], v[98:99], v[90:91]
	v_add_f64 v[68:69], v[68:69], -v[90:91]
	ds_read2_b64 v[90:93], v1 offset0:6 offset1:7
	s_waitcnt lgkmcnt(0)
	v_mul_f64 v[86:87], v[92:93], v[88:89]
	v_fma_f64 v[86:87], v[90:91], v[98:99], -v[86:87]
	v_mul_f64 v[90:91], v[90:91], v[88:89]
	v_add_f64 v[62:63], v[62:63], -v[86:87]
	v_fma_f64 v[90:91], v[92:93], v[98:99], v[90:91]
	v_add_f64 v[64:65], v[64:65], -v[90:91]
	ds_read2_b64 v[90:93], v1 offset0:8 offset1:9
	s_waitcnt lgkmcnt(0)
	v_mul_f64 v[86:87], v[92:93], v[88:89]
	v_fma_f64 v[86:87], v[90:91], v[98:99], -v[86:87]
	v_mul_f64 v[90:91], v[90:91], v[88:89]
	v_add_f64 v[82:83], v[82:83], -v[86:87]
	v_fma_f64 v[90:91], v[92:93], v[98:99], v[90:91]
	v_add_f64 v[84:85], v[84:85], -v[90:91]
	ds_read2_b64 v[90:93], v1 offset0:10 offset1:11
	s_waitcnt lgkmcnt(0)
	v_mul_f64 v[86:87], v[92:93], v[88:89]
	v_fma_f64 v[86:87], v[90:91], v[98:99], -v[86:87]
	v_mul_f64 v[90:91], v[90:91], v[88:89]
	v_add_f64 v[74:75], v[74:75], -v[86:87]
	v_fma_f64 v[90:91], v[92:93], v[98:99], v[90:91]
	v_add_f64 v[76:77], v[76:77], -v[90:91]
	ds_read2_b64 v[90:93], v1 offset0:12 offset1:13
	s_waitcnt lgkmcnt(0)
	v_mul_f64 v[86:87], v[92:93], v[88:89]
	v_fma_f64 v[86:87], v[90:91], v[98:99], -v[86:87]
	v_mul_f64 v[90:91], v[90:91], v[88:89]
	v_add_f64 v[70:71], v[70:71], -v[86:87]
	v_fma_f64 v[90:91], v[92:93], v[98:99], v[90:91]
	v_add_f64 v[72:73], v[72:73], -v[90:91]
	ds_read2_b64 v[90:93], v1 offset0:14 offset1:15
	s_waitcnt lgkmcnt(0)
	v_mul_f64 v[86:87], v[92:93], v[88:89]
	v_fma_f64 v[86:87], v[90:91], v[98:99], -v[86:87]
	v_mul_f64 v[90:91], v[90:91], v[88:89]
	v_add_f64 v[58:59], v[58:59], -v[86:87]
	v_fma_f64 v[90:91], v[92:93], v[98:99], v[90:91]
	v_add_f64 v[60:61], v[60:61], -v[90:91]
	ds_read2_b64 v[90:93], v1 offset0:16 offset1:17
	s_waitcnt lgkmcnt(0)
	v_mul_f64 v[86:87], v[92:93], v[88:89]
	v_fma_f64 v[86:87], v[90:91], v[98:99], -v[86:87]
	v_mul_f64 v[90:91], v[90:91], v[88:89]
	v_add_f64 v[54:55], v[54:55], -v[86:87]
	v_fma_f64 v[90:91], v[92:93], v[98:99], v[90:91]
	v_add_f64 v[56:57], v[56:57], -v[90:91]
	ds_read2_b64 v[90:93], v1 offset0:18 offset1:19
	s_waitcnt lgkmcnt(0)
	v_mul_f64 v[86:87], v[92:93], v[88:89]
	v_fma_f64 v[86:87], v[90:91], v[98:99], -v[86:87]
	v_mul_f64 v[90:91], v[90:91], v[88:89]
	v_add_f64 v[50:51], v[50:51], -v[86:87]
	v_fma_f64 v[90:91], v[92:93], v[98:99], v[90:91]
	v_add_f64 v[52:53], v[52:53], -v[90:91]
	ds_read2_b64 v[90:93], v1 offset0:20 offset1:21
	s_waitcnt lgkmcnt(0)
	v_mul_f64 v[86:87], v[92:93], v[88:89]
	v_fma_f64 v[86:87], v[90:91], v[98:99], -v[86:87]
	v_mul_f64 v[90:91], v[90:91], v[88:89]
	v_add_f64 v[46:47], v[46:47], -v[86:87]
	v_fma_f64 v[90:91], v[92:93], v[98:99], v[90:91]
	v_add_f64 v[48:49], v[48:49], -v[90:91]
	ds_read2_b64 v[90:93], v1 offset0:22 offset1:23
	s_waitcnt lgkmcnt(0)
	v_mul_f64 v[86:87], v[92:93], v[88:89]
	v_fma_f64 v[86:87], v[90:91], v[98:99], -v[86:87]
	v_mul_f64 v[90:91], v[90:91], v[88:89]
	v_add_f64 v[42:43], v[42:43], -v[86:87]
	v_fma_f64 v[90:91], v[92:93], v[98:99], v[90:91]
	v_add_f64 v[44:45], v[44:45], -v[90:91]
	ds_read2_b64 v[90:93], v1 offset0:24 offset1:25
	s_waitcnt lgkmcnt(0)
	v_mul_f64 v[86:87], v[92:93], v[88:89]
	v_fma_f64 v[86:87], v[90:91], v[98:99], -v[86:87]
	v_mul_f64 v[90:91], v[90:91], v[88:89]
	v_add_f64 v[38:39], v[38:39], -v[86:87]
	v_fma_f64 v[90:91], v[92:93], v[98:99], v[90:91]
	v_add_f64 v[40:41], v[40:41], -v[90:91]
	ds_read2_b64 v[90:93], v1 offset0:26 offset1:27
	s_waitcnt lgkmcnt(0)
	v_mul_f64 v[86:87], v[92:93], v[88:89]
	v_fma_f64 v[86:87], v[90:91], v[98:99], -v[86:87]
	v_mul_f64 v[90:91], v[90:91], v[88:89]
	v_add_f64 v[34:35], v[34:35], -v[86:87]
	v_fma_f64 v[90:91], v[92:93], v[98:99], v[90:91]
	v_add_f64 v[36:37], v[36:37], -v[90:91]
	ds_read2_b64 v[90:93], v1 offset0:28 offset1:29
	s_waitcnt lgkmcnt(0)
	v_mul_f64 v[86:87], v[92:93], v[88:89]
	v_fma_f64 v[86:87], v[90:91], v[98:99], -v[86:87]
	v_mul_f64 v[90:91], v[90:91], v[88:89]
	v_add_f64 v[30:31], v[30:31], -v[86:87]
	v_fma_f64 v[90:91], v[92:93], v[98:99], v[90:91]
	v_add_f64 v[32:33], v[32:33], -v[90:91]
	ds_read2_b64 v[90:93], v1 offset0:30 offset1:31
	s_waitcnt lgkmcnt(0)
	v_mul_f64 v[86:87], v[92:93], v[88:89]
	v_fma_f64 v[86:87], v[90:91], v[98:99], -v[86:87]
	v_mul_f64 v[90:91], v[90:91], v[88:89]
	v_add_f64 v[26:27], v[26:27], -v[86:87]
	v_fma_f64 v[90:91], v[92:93], v[98:99], v[90:91]
	v_add_f64 v[28:29], v[28:29], -v[90:91]
	ds_read2_b64 v[90:93], v1 offset0:32 offset1:33
	s_waitcnt lgkmcnt(0)
	v_mul_f64 v[86:87], v[92:93], v[88:89]
	v_fma_f64 v[86:87], v[90:91], v[98:99], -v[86:87]
	v_mul_f64 v[90:91], v[90:91], v[88:89]
	v_add_f64 v[22:23], v[22:23], -v[86:87]
	v_fma_f64 v[90:91], v[92:93], v[98:99], v[90:91]
	v_add_f64 v[24:25], v[24:25], -v[90:91]
	ds_read2_b64 v[90:93], v1 offset0:34 offset1:35
	s_waitcnt lgkmcnt(0)
	v_mul_f64 v[86:87], v[92:93], v[88:89]
	v_fma_f64 v[86:87], v[90:91], v[98:99], -v[86:87]
	v_mul_f64 v[90:91], v[90:91], v[88:89]
	v_add_f64 v[18:19], v[18:19], -v[86:87]
	v_fma_f64 v[90:91], v[92:93], v[98:99], v[90:91]
	v_add_f64 v[20:21], v[20:21], -v[90:91]
	ds_read2_b64 v[90:93], v1 offset0:36 offset1:37
	s_waitcnt lgkmcnt(0)
	v_mul_f64 v[86:87], v[92:93], v[88:89]
	v_fma_f64 v[86:87], v[90:91], v[98:99], -v[86:87]
	v_mul_f64 v[90:91], v[90:91], v[88:89]
	v_add_f64 v[14:15], v[14:15], -v[86:87]
	v_fma_f64 v[90:91], v[92:93], v[98:99], v[90:91]
	v_add_f64 v[16:17], v[16:17], -v[90:91]
	ds_read2_b64 v[90:93], v1 offset0:38 offset1:39
	s_waitcnt lgkmcnt(0)
	v_mul_f64 v[86:87], v[92:93], v[88:89]
	v_fma_f64 v[86:87], v[90:91], v[98:99], -v[86:87]
	v_mul_f64 v[90:91], v[90:91], v[88:89]
	v_add_f64 v[10:11], v[10:11], -v[86:87]
	v_fma_f64 v[90:91], v[92:93], v[98:99], v[90:91]
	v_add_f64 v[12:13], v[12:13], -v[90:91]
	ds_read2_b64 v[90:93], v1 offset0:40 offset1:41
	s_waitcnt lgkmcnt(0)
	v_mul_f64 v[86:87], v[92:93], v[88:89]
	v_fma_f64 v[86:87], v[90:91], v[98:99], -v[86:87]
	v_mul_f64 v[90:91], v[90:91], v[88:89]
	v_add_f64 v[6:7], v[6:7], -v[86:87]
	v_fma_f64 v[90:91], v[92:93], v[98:99], v[90:91]
	v_add_f64 v[8:9], v[8:9], -v[90:91]
	ds_read2_b64 v[90:93], v1 offset0:42 offset1:43
	s_waitcnt lgkmcnt(0)
	v_mul_f64 v[86:87], v[92:93], v[88:89]
	v_fma_f64 v[86:87], v[90:91], v[98:99], -v[86:87]
	v_mul_f64 v[90:91], v[90:91], v[88:89]
	v_add_f64 v[2:3], v[2:3], -v[86:87]
	v_fma_f64 v[90:91], v[92:93], v[98:99], v[90:91]
	v_mov_b32_e32 v86, v98
	v_mov_b32_e32 v87, v99
	v_add_f64 v[4:5], v[4:5], -v[90:91]
.LBB42_41:
	s_or_b32 exec_lo, exec_lo, s0
	v_lshl_add_u32 v90, v104, 4, v1
	s_barrier
	buffer_gl0_inv
	v_mov_b32_e32 v98, 2
	ds_write2_b64 v90, v[66:67], v[68:69] offset1:1
	s_waitcnt lgkmcnt(0)
	s_barrier
	buffer_gl0_inv
	ds_read2_b64 v[90:93], v1 offset0:4 offset1:5
	s_cmp_lt_i32 s18, 4
	s_cbranch_scc1 .LBB42_44
; %bb.42:
	v_add3_u32 v99, v100, 0, 48
	v_mov_b32_e32 v98, 2
	s_mov_b32 s1, 3
	s_inst_prefetch 0x1
	.p2align	6
.LBB42_43:                              ; =>This Inner Loop Header: Depth=1
	s_waitcnt lgkmcnt(0)
	v_cmp_gt_f64_e32 vcc_lo, 0, v[92:93]
	v_cmp_gt_f64_e64 s0, 0, v[90:91]
	ds_read2_b64 v[105:108], v99 offset1:1
	v_xor_b32_e32 v110, 0x80000000, v91
	v_xor_b32_e32 v112, 0x80000000, v93
	v_mov_b32_e32 v109, v90
	v_mov_b32_e32 v111, v92
	v_add_nc_u32_e32 v99, 16, v99
	s_waitcnt lgkmcnt(0)
	v_xor_b32_e32 v114, 0x80000000, v108
	v_cndmask_b32_e64 v110, v91, v110, s0
	v_cndmask_b32_e32 v112, v93, v112, vcc_lo
	v_cmp_gt_f64_e32 vcc_lo, 0, v[107:108]
	v_cmp_gt_f64_e64 s0, 0, v[105:106]
	v_mov_b32_e32 v113, v107
	v_add_f64 v[109:110], v[109:110], v[111:112]
	v_xor_b32_e32 v112, 0x80000000, v106
	v_mov_b32_e32 v111, v105
	v_cndmask_b32_e32 v114, v108, v114, vcc_lo
	v_cndmask_b32_e64 v112, v106, v112, s0
	v_add_f64 v[111:112], v[111:112], v[113:114]
	v_cmp_lt_f64_e32 vcc_lo, v[109:110], v[111:112]
	v_cndmask_b32_e32 v91, v91, v106, vcc_lo
	v_cndmask_b32_e32 v90, v90, v105, vcc_lo
	;; [unrolled: 1-line block ×4, first 2 shown]
	v_cndmask_b32_e64 v98, v98, s1, vcc_lo
	s_add_i32 s1, s1, 1
	s_cmp_lg_u32 s18, s1
	s_cbranch_scc1 .LBB42_43
.LBB42_44:
	s_inst_prefetch 0x2
	s_waitcnt lgkmcnt(0)
	v_cmp_eq_f64_e32 vcc_lo, 0, v[90:91]
	v_cmp_eq_f64_e64 s0, 0, v[92:93]
	s_and_b32 s0, vcc_lo, s0
	s_and_saveexec_b32 s1, s0
	s_xor_b32 s0, exec_lo, s1
; %bb.45:
	v_cmp_ne_u32_e32 vcc_lo, 0, v103
	v_cndmask_b32_e32 v103, 3, v103, vcc_lo
; %bb.46:
	s_andn2_saveexec_b32 s0, s0
	s_cbranch_execz .LBB42_52
; %bb.47:
	v_cmp_ngt_f64_e64 s1, |v[90:91]|, |v[92:93]|
	s_and_saveexec_b32 s2, s1
	s_xor_b32 s1, exec_lo, s2
	s_cbranch_execz .LBB42_49
; %bb.48:
	v_div_scale_f64 v[105:106], null, v[92:93], v[92:93], v[90:91]
	v_div_scale_f64 v[111:112], vcc_lo, v[90:91], v[92:93], v[90:91]
	v_rcp_f64_e32 v[107:108], v[105:106]
	v_fma_f64 v[109:110], -v[105:106], v[107:108], 1.0
	v_fma_f64 v[107:108], v[107:108], v[109:110], v[107:108]
	v_fma_f64 v[109:110], -v[105:106], v[107:108], 1.0
	v_fma_f64 v[107:108], v[107:108], v[109:110], v[107:108]
	v_mul_f64 v[109:110], v[111:112], v[107:108]
	v_fma_f64 v[105:106], -v[105:106], v[109:110], v[111:112]
	v_div_fmas_f64 v[105:106], v[105:106], v[107:108], v[109:110]
	v_div_fixup_f64 v[105:106], v[105:106], v[92:93], v[90:91]
	v_fma_f64 v[90:91], v[90:91], v[105:106], v[92:93]
	v_div_scale_f64 v[92:93], null, v[90:91], v[90:91], 1.0
	v_rcp_f64_e32 v[107:108], v[92:93]
	v_fma_f64 v[109:110], -v[92:93], v[107:108], 1.0
	v_fma_f64 v[107:108], v[107:108], v[109:110], v[107:108]
	v_fma_f64 v[109:110], -v[92:93], v[107:108], 1.0
	v_fma_f64 v[107:108], v[107:108], v[109:110], v[107:108]
	v_div_scale_f64 v[109:110], vcc_lo, 1.0, v[90:91], 1.0
	v_mul_f64 v[111:112], v[109:110], v[107:108]
	v_fma_f64 v[92:93], -v[92:93], v[111:112], v[109:110]
	v_div_fmas_f64 v[92:93], v[92:93], v[107:108], v[111:112]
	v_div_fixup_f64 v[92:93], v[92:93], v[90:91], 1.0
	v_mul_f64 v[90:91], v[105:106], v[92:93]
	v_xor_b32_e32 v93, 0x80000000, v93
.LBB42_49:
	s_andn2_saveexec_b32 s1, s1
	s_cbranch_execz .LBB42_51
; %bb.50:
	v_div_scale_f64 v[105:106], null, v[90:91], v[90:91], v[92:93]
	v_div_scale_f64 v[111:112], vcc_lo, v[92:93], v[90:91], v[92:93]
	v_rcp_f64_e32 v[107:108], v[105:106]
	v_fma_f64 v[109:110], -v[105:106], v[107:108], 1.0
	v_fma_f64 v[107:108], v[107:108], v[109:110], v[107:108]
	v_fma_f64 v[109:110], -v[105:106], v[107:108], 1.0
	v_fma_f64 v[107:108], v[107:108], v[109:110], v[107:108]
	v_mul_f64 v[109:110], v[111:112], v[107:108]
	v_fma_f64 v[105:106], -v[105:106], v[109:110], v[111:112]
	v_div_fmas_f64 v[105:106], v[105:106], v[107:108], v[109:110]
	v_div_fixup_f64 v[105:106], v[105:106], v[90:91], v[92:93]
	v_fma_f64 v[90:91], v[92:93], v[105:106], v[90:91]
	v_div_scale_f64 v[92:93], null, v[90:91], v[90:91], 1.0
	v_rcp_f64_e32 v[107:108], v[92:93]
	v_fma_f64 v[109:110], -v[92:93], v[107:108], 1.0
	v_fma_f64 v[107:108], v[107:108], v[109:110], v[107:108]
	v_fma_f64 v[109:110], -v[92:93], v[107:108], 1.0
	v_fma_f64 v[107:108], v[107:108], v[109:110], v[107:108]
	v_div_scale_f64 v[109:110], vcc_lo, 1.0, v[90:91], 1.0
	v_mul_f64 v[111:112], v[109:110], v[107:108]
	v_fma_f64 v[92:93], -v[92:93], v[111:112], v[109:110]
	v_div_fmas_f64 v[92:93], v[92:93], v[107:108], v[111:112]
	v_div_fixup_f64 v[90:91], v[92:93], v[90:91], 1.0
	v_mul_f64 v[92:93], v[105:106], -v[90:91]
.LBB42_51:
	s_or_b32 exec_lo, exec_lo, s1
.LBB42_52:
	s_or_b32 exec_lo, exec_lo, s0
	s_mov_b32 s0, exec_lo
	v_cmpx_ne_u32_e64 v104, v98
	s_xor_b32 s0, exec_lo, s0
	s_cbranch_execz .LBB42_58
; %bb.53:
	s_mov_b32 s1, exec_lo
	v_cmpx_eq_u32_e32 2, v104
	s_cbranch_execz .LBB42_57
; %bb.54:
	v_cmp_ne_u32_e32 vcc_lo, 2, v98
	s_xor_b32 s2, s16, -1
	s_and_b32 s3, s2, vcc_lo
	s_and_saveexec_b32 s2, s3
	s_cbranch_execz .LBB42_56
; %bb.55:
	v_ashrrev_i32_e32 v99, 31, v98
	v_lshlrev_b64 v[104:105], 2, v[98:99]
	v_add_co_u32 v104, vcc_lo, v96, v104
	v_add_co_ci_u32_e64 v105, null, v97, v105, vcc_lo
	s_clause 0x1
	global_load_dword v0, v[104:105], off
	global_load_dword v99, v[96:97], off offset:8
	s_waitcnt vmcnt(1)
	global_store_dword v[96:97], v0, off offset:8
	s_waitcnt vmcnt(0)
	global_store_dword v[104:105], v99, off
.LBB42_56:
	s_or_b32 exec_lo, exec_lo, s2
	v_mov_b32_e32 v104, v98
	v_mov_b32_e32 v0, v98
.LBB42_57:
	s_or_b32 exec_lo, exec_lo, s1
.LBB42_58:
	s_andn2_saveexec_b32 s0, s0
	s_cbranch_execz .LBB42_60
; %bb.59:
	v_mov_b32_e32 v104, 2
	ds_write2_b64 v1, v[62:63], v[64:65] offset0:6 offset1:7
	ds_write2_b64 v1, v[82:83], v[84:85] offset0:8 offset1:9
	;; [unrolled: 1-line block ×19, first 2 shown]
.LBB42_60:
	s_or_b32 exec_lo, exec_lo, s0
	s_mov_b32 s0, exec_lo
	s_waitcnt lgkmcnt(0)
	s_waitcnt_vscnt null, 0x0
	s_barrier
	buffer_gl0_inv
	v_cmpx_lt_i32_e32 2, v104
	s_cbranch_execz .LBB42_62
; %bb.61:
	v_mul_f64 v[98:99], v[92:93], v[68:69]
	v_mul_f64 v[68:69], v[90:91], v[68:69]
	v_fma_f64 v[98:99], v[90:91], v[66:67], -v[98:99]
	v_fma_f64 v[68:69], v[92:93], v[66:67], v[68:69]
	ds_read2_b64 v[90:93], v1 offset0:6 offset1:7
	s_waitcnt lgkmcnt(0)
	v_mul_f64 v[66:67], v[92:93], v[68:69]
	v_fma_f64 v[66:67], v[90:91], v[98:99], -v[66:67]
	v_mul_f64 v[90:91], v[90:91], v[68:69]
	v_add_f64 v[62:63], v[62:63], -v[66:67]
	v_fma_f64 v[90:91], v[92:93], v[98:99], v[90:91]
	v_add_f64 v[64:65], v[64:65], -v[90:91]
	ds_read2_b64 v[90:93], v1 offset0:8 offset1:9
	s_waitcnt lgkmcnt(0)
	v_mul_f64 v[66:67], v[92:93], v[68:69]
	v_fma_f64 v[66:67], v[90:91], v[98:99], -v[66:67]
	v_mul_f64 v[90:91], v[90:91], v[68:69]
	v_add_f64 v[82:83], v[82:83], -v[66:67]
	v_fma_f64 v[90:91], v[92:93], v[98:99], v[90:91]
	v_add_f64 v[84:85], v[84:85], -v[90:91]
	;; [unrolled: 8-line block ×18, first 2 shown]
	ds_read2_b64 v[90:93], v1 offset0:42 offset1:43
	s_waitcnt lgkmcnt(0)
	v_mul_f64 v[66:67], v[92:93], v[68:69]
	v_fma_f64 v[66:67], v[90:91], v[98:99], -v[66:67]
	v_mul_f64 v[90:91], v[90:91], v[68:69]
	v_add_f64 v[2:3], v[2:3], -v[66:67]
	v_fma_f64 v[90:91], v[92:93], v[98:99], v[90:91]
	v_mov_b32_e32 v66, v98
	v_mov_b32_e32 v67, v99
	v_add_f64 v[4:5], v[4:5], -v[90:91]
.LBB42_62:
	s_or_b32 exec_lo, exec_lo, s0
	v_lshl_add_u32 v90, v104, 4, v1
	s_barrier
	buffer_gl0_inv
	v_mov_b32_e32 v98, 3
	ds_write2_b64 v90, v[62:63], v[64:65] offset1:1
	s_waitcnt lgkmcnt(0)
	s_barrier
	buffer_gl0_inv
	ds_read2_b64 v[90:93], v1 offset0:6 offset1:7
	s_cmp_lt_i32 s18, 5
	s_mov_b32 s1, 4
	s_cbranch_scc1 .LBB42_65
; %bb.63:
	v_add3_u32 v99, v100, 0, 64
	v_mov_b32_e32 v98, 3
	s_inst_prefetch 0x1
	.p2align	6
.LBB42_64:                              ; =>This Inner Loop Header: Depth=1
	s_waitcnt lgkmcnt(0)
	v_cmp_gt_f64_e32 vcc_lo, 0, v[92:93]
	v_cmp_gt_f64_e64 s0, 0, v[90:91]
	ds_read2_b64 v[105:108], v99 offset1:1
	v_xor_b32_e32 v110, 0x80000000, v91
	v_xor_b32_e32 v112, 0x80000000, v93
	v_mov_b32_e32 v109, v90
	v_mov_b32_e32 v111, v92
	v_add_nc_u32_e32 v99, 16, v99
	s_waitcnt lgkmcnt(0)
	v_xor_b32_e32 v114, 0x80000000, v108
	v_cndmask_b32_e64 v110, v91, v110, s0
	v_cndmask_b32_e32 v112, v93, v112, vcc_lo
	v_cmp_gt_f64_e32 vcc_lo, 0, v[107:108]
	v_cmp_gt_f64_e64 s0, 0, v[105:106]
	v_mov_b32_e32 v113, v107
	v_add_f64 v[109:110], v[109:110], v[111:112]
	v_xor_b32_e32 v112, 0x80000000, v106
	v_mov_b32_e32 v111, v105
	v_cndmask_b32_e32 v114, v108, v114, vcc_lo
	v_cndmask_b32_e64 v112, v106, v112, s0
	v_add_f64 v[111:112], v[111:112], v[113:114]
	v_cmp_lt_f64_e32 vcc_lo, v[109:110], v[111:112]
	v_cndmask_b32_e32 v91, v91, v106, vcc_lo
	v_cndmask_b32_e32 v90, v90, v105, vcc_lo
	;; [unrolled: 1-line block ×4, first 2 shown]
	v_cndmask_b32_e64 v98, v98, s1, vcc_lo
	s_add_i32 s1, s1, 1
	s_cmp_lg_u32 s18, s1
	s_cbranch_scc1 .LBB42_64
.LBB42_65:
	s_inst_prefetch 0x2
	s_waitcnt lgkmcnt(0)
	v_cmp_eq_f64_e32 vcc_lo, 0, v[90:91]
	v_cmp_eq_f64_e64 s0, 0, v[92:93]
	s_and_b32 s0, vcc_lo, s0
	s_and_saveexec_b32 s1, s0
	s_xor_b32 s0, exec_lo, s1
; %bb.66:
	v_cmp_ne_u32_e32 vcc_lo, 0, v103
	v_cndmask_b32_e32 v103, 4, v103, vcc_lo
; %bb.67:
	s_andn2_saveexec_b32 s0, s0
	s_cbranch_execz .LBB42_73
; %bb.68:
	v_cmp_ngt_f64_e64 s1, |v[90:91]|, |v[92:93]|
	s_and_saveexec_b32 s2, s1
	s_xor_b32 s1, exec_lo, s2
	s_cbranch_execz .LBB42_70
; %bb.69:
	v_div_scale_f64 v[105:106], null, v[92:93], v[92:93], v[90:91]
	v_div_scale_f64 v[111:112], vcc_lo, v[90:91], v[92:93], v[90:91]
	v_rcp_f64_e32 v[107:108], v[105:106]
	v_fma_f64 v[109:110], -v[105:106], v[107:108], 1.0
	v_fma_f64 v[107:108], v[107:108], v[109:110], v[107:108]
	v_fma_f64 v[109:110], -v[105:106], v[107:108], 1.0
	v_fma_f64 v[107:108], v[107:108], v[109:110], v[107:108]
	v_mul_f64 v[109:110], v[111:112], v[107:108]
	v_fma_f64 v[105:106], -v[105:106], v[109:110], v[111:112]
	v_div_fmas_f64 v[105:106], v[105:106], v[107:108], v[109:110]
	v_div_fixup_f64 v[105:106], v[105:106], v[92:93], v[90:91]
	v_fma_f64 v[90:91], v[90:91], v[105:106], v[92:93]
	v_div_scale_f64 v[92:93], null, v[90:91], v[90:91], 1.0
	v_rcp_f64_e32 v[107:108], v[92:93]
	v_fma_f64 v[109:110], -v[92:93], v[107:108], 1.0
	v_fma_f64 v[107:108], v[107:108], v[109:110], v[107:108]
	v_fma_f64 v[109:110], -v[92:93], v[107:108], 1.0
	v_fma_f64 v[107:108], v[107:108], v[109:110], v[107:108]
	v_div_scale_f64 v[109:110], vcc_lo, 1.0, v[90:91], 1.0
	v_mul_f64 v[111:112], v[109:110], v[107:108]
	v_fma_f64 v[92:93], -v[92:93], v[111:112], v[109:110]
	v_div_fmas_f64 v[92:93], v[92:93], v[107:108], v[111:112]
	v_div_fixup_f64 v[92:93], v[92:93], v[90:91], 1.0
	v_mul_f64 v[90:91], v[105:106], v[92:93]
	v_xor_b32_e32 v93, 0x80000000, v93
.LBB42_70:
	s_andn2_saveexec_b32 s1, s1
	s_cbranch_execz .LBB42_72
; %bb.71:
	v_div_scale_f64 v[105:106], null, v[90:91], v[90:91], v[92:93]
	v_div_scale_f64 v[111:112], vcc_lo, v[92:93], v[90:91], v[92:93]
	v_rcp_f64_e32 v[107:108], v[105:106]
	v_fma_f64 v[109:110], -v[105:106], v[107:108], 1.0
	v_fma_f64 v[107:108], v[107:108], v[109:110], v[107:108]
	v_fma_f64 v[109:110], -v[105:106], v[107:108], 1.0
	v_fma_f64 v[107:108], v[107:108], v[109:110], v[107:108]
	v_mul_f64 v[109:110], v[111:112], v[107:108]
	v_fma_f64 v[105:106], -v[105:106], v[109:110], v[111:112]
	v_div_fmas_f64 v[105:106], v[105:106], v[107:108], v[109:110]
	v_div_fixup_f64 v[105:106], v[105:106], v[90:91], v[92:93]
	v_fma_f64 v[90:91], v[92:93], v[105:106], v[90:91]
	v_div_scale_f64 v[92:93], null, v[90:91], v[90:91], 1.0
	v_rcp_f64_e32 v[107:108], v[92:93]
	v_fma_f64 v[109:110], -v[92:93], v[107:108], 1.0
	v_fma_f64 v[107:108], v[107:108], v[109:110], v[107:108]
	v_fma_f64 v[109:110], -v[92:93], v[107:108], 1.0
	v_fma_f64 v[107:108], v[107:108], v[109:110], v[107:108]
	v_div_scale_f64 v[109:110], vcc_lo, 1.0, v[90:91], 1.0
	v_mul_f64 v[111:112], v[109:110], v[107:108]
	v_fma_f64 v[92:93], -v[92:93], v[111:112], v[109:110]
	v_div_fmas_f64 v[92:93], v[92:93], v[107:108], v[111:112]
	v_div_fixup_f64 v[90:91], v[92:93], v[90:91], 1.0
	v_mul_f64 v[92:93], v[105:106], -v[90:91]
.LBB42_72:
	s_or_b32 exec_lo, exec_lo, s1
.LBB42_73:
	s_or_b32 exec_lo, exec_lo, s0
	s_mov_b32 s0, exec_lo
	v_cmpx_ne_u32_e64 v104, v98
	s_xor_b32 s0, exec_lo, s0
	s_cbranch_execz .LBB42_79
; %bb.74:
	s_mov_b32 s1, exec_lo
	v_cmpx_eq_u32_e32 3, v104
	s_cbranch_execz .LBB42_78
; %bb.75:
	v_cmp_ne_u32_e32 vcc_lo, 3, v98
	s_xor_b32 s2, s16, -1
	s_and_b32 s3, s2, vcc_lo
	s_and_saveexec_b32 s2, s3
	s_cbranch_execz .LBB42_77
; %bb.76:
	v_ashrrev_i32_e32 v99, 31, v98
	v_lshlrev_b64 v[104:105], 2, v[98:99]
	v_add_co_u32 v104, vcc_lo, v96, v104
	v_add_co_ci_u32_e64 v105, null, v97, v105, vcc_lo
	s_clause 0x1
	global_load_dword v0, v[104:105], off
	global_load_dword v99, v[96:97], off offset:12
	s_waitcnt vmcnt(1)
	global_store_dword v[96:97], v0, off offset:12
	s_waitcnt vmcnt(0)
	global_store_dword v[104:105], v99, off
.LBB42_77:
	s_or_b32 exec_lo, exec_lo, s2
	v_mov_b32_e32 v104, v98
	v_mov_b32_e32 v0, v98
.LBB42_78:
	s_or_b32 exec_lo, exec_lo, s1
.LBB42_79:
	s_andn2_saveexec_b32 s0, s0
	s_cbranch_execz .LBB42_81
; %bb.80:
	v_mov_b32_e32 v104, 3
	ds_write2_b64 v1, v[82:83], v[84:85] offset0:8 offset1:9
	ds_write2_b64 v1, v[74:75], v[76:77] offset0:10 offset1:11
	;; [unrolled: 1-line block ×18, first 2 shown]
.LBB42_81:
	s_or_b32 exec_lo, exec_lo, s0
	s_mov_b32 s0, exec_lo
	s_waitcnt lgkmcnt(0)
	s_waitcnt_vscnt null, 0x0
	s_barrier
	buffer_gl0_inv
	v_cmpx_lt_i32_e32 3, v104
	s_cbranch_execz .LBB42_83
; %bb.82:
	v_mul_f64 v[98:99], v[92:93], v[64:65]
	v_mul_f64 v[64:65], v[90:91], v[64:65]
	v_fma_f64 v[98:99], v[90:91], v[62:63], -v[98:99]
	v_fma_f64 v[64:65], v[92:93], v[62:63], v[64:65]
	ds_read2_b64 v[90:93], v1 offset0:8 offset1:9
	s_waitcnt lgkmcnt(0)
	v_mul_f64 v[62:63], v[92:93], v[64:65]
	v_fma_f64 v[62:63], v[90:91], v[98:99], -v[62:63]
	v_mul_f64 v[90:91], v[90:91], v[64:65]
	v_add_f64 v[82:83], v[82:83], -v[62:63]
	v_fma_f64 v[90:91], v[92:93], v[98:99], v[90:91]
	v_add_f64 v[84:85], v[84:85], -v[90:91]
	ds_read2_b64 v[90:93], v1 offset0:10 offset1:11
	s_waitcnt lgkmcnt(0)
	v_mul_f64 v[62:63], v[92:93], v[64:65]
	v_fma_f64 v[62:63], v[90:91], v[98:99], -v[62:63]
	v_mul_f64 v[90:91], v[90:91], v[64:65]
	v_add_f64 v[74:75], v[74:75], -v[62:63]
	v_fma_f64 v[90:91], v[92:93], v[98:99], v[90:91]
	v_add_f64 v[76:77], v[76:77], -v[90:91]
	ds_read2_b64 v[90:93], v1 offset0:12 offset1:13
	s_waitcnt lgkmcnt(0)
	v_mul_f64 v[62:63], v[92:93], v[64:65]
	v_fma_f64 v[62:63], v[90:91], v[98:99], -v[62:63]
	v_mul_f64 v[90:91], v[90:91], v[64:65]
	v_add_f64 v[70:71], v[70:71], -v[62:63]
	v_fma_f64 v[90:91], v[92:93], v[98:99], v[90:91]
	v_add_f64 v[72:73], v[72:73], -v[90:91]
	ds_read2_b64 v[90:93], v1 offset0:14 offset1:15
	s_waitcnt lgkmcnt(0)
	v_mul_f64 v[62:63], v[92:93], v[64:65]
	v_fma_f64 v[62:63], v[90:91], v[98:99], -v[62:63]
	v_mul_f64 v[90:91], v[90:91], v[64:65]
	v_add_f64 v[58:59], v[58:59], -v[62:63]
	v_fma_f64 v[90:91], v[92:93], v[98:99], v[90:91]
	v_add_f64 v[60:61], v[60:61], -v[90:91]
	ds_read2_b64 v[90:93], v1 offset0:16 offset1:17
	s_waitcnt lgkmcnt(0)
	v_mul_f64 v[62:63], v[92:93], v[64:65]
	v_fma_f64 v[62:63], v[90:91], v[98:99], -v[62:63]
	v_mul_f64 v[90:91], v[90:91], v[64:65]
	v_add_f64 v[54:55], v[54:55], -v[62:63]
	v_fma_f64 v[90:91], v[92:93], v[98:99], v[90:91]
	v_add_f64 v[56:57], v[56:57], -v[90:91]
	ds_read2_b64 v[90:93], v1 offset0:18 offset1:19
	s_waitcnt lgkmcnt(0)
	v_mul_f64 v[62:63], v[92:93], v[64:65]
	v_fma_f64 v[62:63], v[90:91], v[98:99], -v[62:63]
	v_mul_f64 v[90:91], v[90:91], v[64:65]
	v_add_f64 v[50:51], v[50:51], -v[62:63]
	v_fma_f64 v[90:91], v[92:93], v[98:99], v[90:91]
	v_add_f64 v[52:53], v[52:53], -v[90:91]
	ds_read2_b64 v[90:93], v1 offset0:20 offset1:21
	s_waitcnt lgkmcnt(0)
	v_mul_f64 v[62:63], v[92:93], v[64:65]
	v_fma_f64 v[62:63], v[90:91], v[98:99], -v[62:63]
	v_mul_f64 v[90:91], v[90:91], v[64:65]
	v_add_f64 v[46:47], v[46:47], -v[62:63]
	v_fma_f64 v[90:91], v[92:93], v[98:99], v[90:91]
	v_add_f64 v[48:49], v[48:49], -v[90:91]
	ds_read2_b64 v[90:93], v1 offset0:22 offset1:23
	s_waitcnt lgkmcnt(0)
	v_mul_f64 v[62:63], v[92:93], v[64:65]
	v_fma_f64 v[62:63], v[90:91], v[98:99], -v[62:63]
	v_mul_f64 v[90:91], v[90:91], v[64:65]
	v_add_f64 v[42:43], v[42:43], -v[62:63]
	v_fma_f64 v[90:91], v[92:93], v[98:99], v[90:91]
	v_add_f64 v[44:45], v[44:45], -v[90:91]
	ds_read2_b64 v[90:93], v1 offset0:24 offset1:25
	s_waitcnt lgkmcnt(0)
	v_mul_f64 v[62:63], v[92:93], v[64:65]
	v_fma_f64 v[62:63], v[90:91], v[98:99], -v[62:63]
	v_mul_f64 v[90:91], v[90:91], v[64:65]
	v_add_f64 v[38:39], v[38:39], -v[62:63]
	v_fma_f64 v[90:91], v[92:93], v[98:99], v[90:91]
	v_add_f64 v[40:41], v[40:41], -v[90:91]
	ds_read2_b64 v[90:93], v1 offset0:26 offset1:27
	s_waitcnt lgkmcnt(0)
	v_mul_f64 v[62:63], v[92:93], v[64:65]
	v_fma_f64 v[62:63], v[90:91], v[98:99], -v[62:63]
	v_mul_f64 v[90:91], v[90:91], v[64:65]
	v_add_f64 v[34:35], v[34:35], -v[62:63]
	v_fma_f64 v[90:91], v[92:93], v[98:99], v[90:91]
	v_add_f64 v[36:37], v[36:37], -v[90:91]
	ds_read2_b64 v[90:93], v1 offset0:28 offset1:29
	s_waitcnt lgkmcnt(0)
	v_mul_f64 v[62:63], v[92:93], v[64:65]
	v_fma_f64 v[62:63], v[90:91], v[98:99], -v[62:63]
	v_mul_f64 v[90:91], v[90:91], v[64:65]
	v_add_f64 v[30:31], v[30:31], -v[62:63]
	v_fma_f64 v[90:91], v[92:93], v[98:99], v[90:91]
	v_add_f64 v[32:33], v[32:33], -v[90:91]
	ds_read2_b64 v[90:93], v1 offset0:30 offset1:31
	s_waitcnt lgkmcnt(0)
	v_mul_f64 v[62:63], v[92:93], v[64:65]
	v_fma_f64 v[62:63], v[90:91], v[98:99], -v[62:63]
	v_mul_f64 v[90:91], v[90:91], v[64:65]
	v_add_f64 v[26:27], v[26:27], -v[62:63]
	v_fma_f64 v[90:91], v[92:93], v[98:99], v[90:91]
	v_add_f64 v[28:29], v[28:29], -v[90:91]
	ds_read2_b64 v[90:93], v1 offset0:32 offset1:33
	s_waitcnt lgkmcnt(0)
	v_mul_f64 v[62:63], v[92:93], v[64:65]
	v_fma_f64 v[62:63], v[90:91], v[98:99], -v[62:63]
	v_mul_f64 v[90:91], v[90:91], v[64:65]
	v_add_f64 v[22:23], v[22:23], -v[62:63]
	v_fma_f64 v[90:91], v[92:93], v[98:99], v[90:91]
	v_add_f64 v[24:25], v[24:25], -v[90:91]
	ds_read2_b64 v[90:93], v1 offset0:34 offset1:35
	s_waitcnt lgkmcnt(0)
	v_mul_f64 v[62:63], v[92:93], v[64:65]
	v_fma_f64 v[62:63], v[90:91], v[98:99], -v[62:63]
	v_mul_f64 v[90:91], v[90:91], v[64:65]
	v_add_f64 v[18:19], v[18:19], -v[62:63]
	v_fma_f64 v[90:91], v[92:93], v[98:99], v[90:91]
	v_add_f64 v[20:21], v[20:21], -v[90:91]
	ds_read2_b64 v[90:93], v1 offset0:36 offset1:37
	s_waitcnt lgkmcnt(0)
	v_mul_f64 v[62:63], v[92:93], v[64:65]
	v_fma_f64 v[62:63], v[90:91], v[98:99], -v[62:63]
	v_mul_f64 v[90:91], v[90:91], v[64:65]
	v_add_f64 v[14:15], v[14:15], -v[62:63]
	v_fma_f64 v[90:91], v[92:93], v[98:99], v[90:91]
	v_add_f64 v[16:17], v[16:17], -v[90:91]
	ds_read2_b64 v[90:93], v1 offset0:38 offset1:39
	s_waitcnt lgkmcnt(0)
	v_mul_f64 v[62:63], v[92:93], v[64:65]
	v_fma_f64 v[62:63], v[90:91], v[98:99], -v[62:63]
	v_mul_f64 v[90:91], v[90:91], v[64:65]
	v_add_f64 v[10:11], v[10:11], -v[62:63]
	v_fma_f64 v[90:91], v[92:93], v[98:99], v[90:91]
	v_add_f64 v[12:13], v[12:13], -v[90:91]
	ds_read2_b64 v[90:93], v1 offset0:40 offset1:41
	s_waitcnt lgkmcnt(0)
	v_mul_f64 v[62:63], v[92:93], v[64:65]
	v_fma_f64 v[62:63], v[90:91], v[98:99], -v[62:63]
	v_mul_f64 v[90:91], v[90:91], v[64:65]
	v_add_f64 v[6:7], v[6:7], -v[62:63]
	v_fma_f64 v[90:91], v[92:93], v[98:99], v[90:91]
	v_add_f64 v[8:9], v[8:9], -v[90:91]
	ds_read2_b64 v[90:93], v1 offset0:42 offset1:43
	s_waitcnt lgkmcnt(0)
	v_mul_f64 v[62:63], v[92:93], v[64:65]
	v_fma_f64 v[62:63], v[90:91], v[98:99], -v[62:63]
	v_mul_f64 v[90:91], v[90:91], v[64:65]
	v_add_f64 v[2:3], v[2:3], -v[62:63]
	v_fma_f64 v[90:91], v[92:93], v[98:99], v[90:91]
	v_mov_b32_e32 v62, v98
	v_mov_b32_e32 v63, v99
	v_add_f64 v[4:5], v[4:5], -v[90:91]
.LBB42_83:
	s_or_b32 exec_lo, exec_lo, s0
	v_lshl_add_u32 v90, v104, 4, v1
	s_barrier
	buffer_gl0_inv
	v_mov_b32_e32 v98, 4
	ds_write2_b64 v90, v[82:83], v[84:85] offset1:1
	s_waitcnt lgkmcnt(0)
	s_barrier
	buffer_gl0_inv
	ds_read2_b64 v[90:93], v1 offset0:8 offset1:9
	s_cmp_lt_i32 s18, 6
	s_cbranch_scc1 .LBB42_86
; %bb.84:
	v_mov_b32_e32 v98, 4
	v_add3_u32 v99, v100, 0, 0x50
	s_mov_b32 s1, 5
	s_inst_prefetch 0x1
	.p2align	6
.LBB42_85:                              ; =>This Inner Loop Header: Depth=1
	s_waitcnt lgkmcnt(0)
	v_cmp_gt_f64_e32 vcc_lo, 0, v[92:93]
	v_cmp_gt_f64_e64 s0, 0, v[90:91]
	ds_read2_b64 v[105:108], v99 offset1:1
	v_xor_b32_e32 v110, 0x80000000, v91
	v_xor_b32_e32 v112, 0x80000000, v93
	v_mov_b32_e32 v109, v90
	v_mov_b32_e32 v111, v92
	v_add_nc_u32_e32 v99, 16, v99
	s_waitcnt lgkmcnt(0)
	v_xor_b32_e32 v114, 0x80000000, v108
	v_cndmask_b32_e64 v110, v91, v110, s0
	v_cndmask_b32_e32 v112, v93, v112, vcc_lo
	v_cmp_gt_f64_e32 vcc_lo, 0, v[107:108]
	v_cmp_gt_f64_e64 s0, 0, v[105:106]
	v_mov_b32_e32 v113, v107
	v_add_f64 v[109:110], v[109:110], v[111:112]
	v_xor_b32_e32 v112, 0x80000000, v106
	v_mov_b32_e32 v111, v105
	v_cndmask_b32_e32 v114, v108, v114, vcc_lo
	v_cndmask_b32_e64 v112, v106, v112, s0
	v_add_f64 v[111:112], v[111:112], v[113:114]
	v_cmp_lt_f64_e32 vcc_lo, v[109:110], v[111:112]
	v_cndmask_b32_e32 v91, v91, v106, vcc_lo
	v_cndmask_b32_e32 v90, v90, v105, vcc_lo
	;; [unrolled: 1-line block ×4, first 2 shown]
	v_cndmask_b32_e64 v98, v98, s1, vcc_lo
	s_add_i32 s1, s1, 1
	s_cmp_lg_u32 s18, s1
	s_cbranch_scc1 .LBB42_85
.LBB42_86:
	s_inst_prefetch 0x2
	s_waitcnt lgkmcnt(0)
	v_cmp_eq_f64_e32 vcc_lo, 0, v[90:91]
	v_cmp_eq_f64_e64 s0, 0, v[92:93]
	s_and_b32 s0, vcc_lo, s0
	s_and_saveexec_b32 s1, s0
	s_xor_b32 s0, exec_lo, s1
; %bb.87:
	v_cmp_ne_u32_e32 vcc_lo, 0, v103
	v_cndmask_b32_e32 v103, 5, v103, vcc_lo
; %bb.88:
	s_andn2_saveexec_b32 s0, s0
	s_cbranch_execz .LBB42_94
; %bb.89:
	v_cmp_ngt_f64_e64 s1, |v[90:91]|, |v[92:93]|
	s_and_saveexec_b32 s2, s1
	s_xor_b32 s1, exec_lo, s2
	s_cbranch_execz .LBB42_91
; %bb.90:
	v_div_scale_f64 v[105:106], null, v[92:93], v[92:93], v[90:91]
	v_div_scale_f64 v[111:112], vcc_lo, v[90:91], v[92:93], v[90:91]
	v_rcp_f64_e32 v[107:108], v[105:106]
	v_fma_f64 v[109:110], -v[105:106], v[107:108], 1.0
	v_fma_f64 v[107:108], v[107:108], v[109:110], v[107:108]
	v_fma_f64 v[109:110], -v[105:106], v[107:108], 1.0
	v_fma_f64 v[107:108], v[107:108], v[109:110], v[107:108]
	v_mul_f64 v[109:110], v[111:112], v[107:108]
	v_fma_f64 v[105:106], -v[105:106], v[109:110], v[111:112]
	v_div_fmas_f64 v[105:106], v[105:106], v[107:108], v[109:110]
	v_div_fixup_f64 v[105:106], v[105:106], v[92:93], v[90:91]
	v_fma_f64 v[90:91], v[90:91], v[105:106], v[92:93]
	v_div_scale_f64 v[92:93], null, v[90:91], v[90:91], 1.0
	v_rcp_f64_e32 v[107:108], v[92:93]
	v_fma_f64 v[109:110], -v[92:93], v[107:108], 1.0
	v_fma_f64 v[107:108], v[107:108], v[109:110], v[107:108]
	v_fma_f64 v[109:110], -v[92:93], v[107:108], 1.0
	v_fma_f64 v[107:108], v[107:108], v[109:110], v[107:108]
	v_div_scale_f64 v[109:110], vcc_lo, 1.0, v[90:91], 1.0
	v_mul_f64 v[111:112], v[109:110], v[107:108]
	v_fma_f64 v[92:93], -v[92:93], v[111:112], v[109:110]
	v_div_fmas_f64 v[92:93], v[92:93], v[107:108], v[111:112]
	v_div_fixup_f64 v[92:93], v[92:93], v[90:91], 1.0
	v_mul_f64 v[90:91], v[105:106], v[92:93]
	v_xor_b32_e32 v93, 0x80000000, v93
.LBB42_91:
	s_andn2_saveexec_b32 s1, s1
	s_cbranch_execz .LBB42_93
; %bb.92:
	v_div_scale_f64 v[105:106], null, v[90:91], v[90:91], v[92:93]
	v_div_scale_f64 v[111:112], vcc_lo, v[92:93], v[90:91], v[92:93]
	v_rcp_f64_e32 v[107:108], v[105:106]
	v_fma_f64 v[109:110], -v[105:106], v[107:108], 1.0
	v_fma_f64 v[107:108], v[107:108], v[109:110], v[107:108]
	v_fma_f64 v[109:110], -v[105:106], v[107:108], 1.0
	v_fma_f64 v[107:108], v[107:108], v[109:110], v[107:108]
	v_mul_f64 v[109:110], v[111:112], v[107:108]
	v_fma_f64 v[105:106], -v[105:106], v[109:110], v[111:112]
	v_div_fmas_f64 v[105:106], v[105:106], v[107:108], v[109:110]
	v_div_fixup_f64 v[105:106], v[105:106], v[90:91], v[92:93]
	v_fma_f64 v[90:91], v[92:93], v[105:106], v[90:91]
	v_div_scale_f64 v[92:93], null, v[90:91], v[90:91], 1.0
	v_rcp_f64_e32 v[107:108], v[92:93]
	v_fma_f64 v[109:110], -v[92:93], v[107:108], 1.0
	v_fma_f64 v[107:108], v[107:108], v[109:110], v[107:108]
	v_fma_f64 v[109:110], -v[92:93], v[107:108], 1.0
	v_fma_f64 v[107:108], v[107:108], v[109:110], v[107:108]
	v_div_scale_f64 v[109:110], vcc_lo, 1.0, v[90:91], 1.0
	v_mul_f64 v[111:112], v[109:110], v[107:108]
	v_fma_f64 v[92:93], -v[92:93], v[111:112], v[109:110]
	v_div_fmas_f64 v[92:93], v[92:93], v[107:108], v[111:112]
	v_div_fixup_f64 v[90:91], v[92:93], v[90:91], 1.0
	v_mul_f64 v[92:93], v[105:106], -v[90:91]
.LBB42_93:
	s_or_b32 exec_lo, exec_lo, s1
.LBB42_94:
	s_or_b32 exec_lo, exec_lo, s0
	s_mov_b32 s0, exec_lo
	v_cmpx_ne_u32_e64 v104, v98
	s_xor_b32 s0, exec_lo, s0
	s_cbranch_execz .LBB42_100
; %bb.95:
	s_mov_b32 s1, exec_lo
	v_cmpx_eq_u32_e32 4, v104
	s_cbranch_execz .LBB42_99
; %bb.96:
	v_cmp_ne_u32_e32 vcc_lo, 4, v98
	s_xor_b32 s2, s16, -1
	s_and_b32 s3, s2, vcc_lo
	s_and_saveexec_b32 s2, s3
	s_cbranch_execz .LBB42_98
; %bb.97:
	v_ashrrev_i32_e32 v99, 31, v98
	v_lshlrev_b64 v[104:105], 2, v[98:99]
	v_add_co_u32 v104, vcc_lo, v96, v104
	v_add_co_ci_u32_e64 v105, null, v97, v105, vcc_lo
	s_clause 0x1
	global_load_dword v0, v[104:105], off
	global_load_dword v99, v[96:97], off offset:16
	s_waitcnt vmcnt(1)
	global_store_dword v[96:97], v0, off offset:16
	s_waitcnt vmcnt(0)
	global_store_dword v[104:105], v99, off
.LBB42_98:
	s_or_b32 exec_lo, exec_lo, s2
	v_mov_b32_e32 v104, v98
	v_mov_b32_e32 v0, v98
.LBB42_99:
	s_or_b32 exec_lo, exec_lo, s1
.LBB42_100:
	s_andn2_saveexec_b32 s0, s0
	s_cbranch_execz .LBB42_102
; %bb.101:
	v_mov_b32_e32 v104, 4
	ds_write2_b64 v1, v[74:75], v[76:77] offset0:10 offset1:11
	ds_write2_b64 v1, v[70:71], v[72:73] offset0:12 offset1:13
	;; [unrolled: 1-line block ×17, first 2 shown]
.LBB42_102:
	s_or_b32 exec_lo, exec_lo, s0
	s_mov_b32 s0, exec_lo
	s_waitcnt lgkmcnt(0)
	s_waitcnt_vscnt null, 0x0
	s_barrier
	buffer_gl0_inv
	v_cmpx_lt_i32_e32 4, v104
	s_cbranch_execz .LBB42_104
; %bb.103:
	v_mul_f64 v[98:99], v[92:93], v[84:85]
	v_mul_f64 v[84:85], v[90:91], v[84:85]
	v_fma_f64 v[98:99], v[90:91], v[82:83], -v[98:99]
	v_fma_f64 v[84:85], v[92:93], v[82:83], v[84:85]
	ds_read2_b64 v[90:93], v1 offset0:10 offset1:11
	s_waitcnt lgkmcnt(0)
	v_mul_f64 v[82:83], v[92:93], v[84:85]
	v_fma_f64 v[82:83], v[90:91], v[98:99], -v[82:83]
	v_mul_f64 v[90:91], v[90:91], v[84:85]
	v_add_f64 v[74:75], v[74:75], -v[82:83]
	v_fma_f64 v[90:91], v[92:93], v[98:99], v[90:91]
	v_add_f64 v[76:77], v[76:77], -v[90:91]
	ds_read2_b64 v[90:93], v1 offset0:12 offset1:13
	s_waitcnt lgkmcnt(0)
	v_mul_f64 v[82:83], v[92:93], v[84:85]
	v_fma_f64 v[82:83], v[90:91], v[98:99], -v[82:83]
	v_mul_f64 v[90:91], v[90:91], v[84:85]
	v_add_f64 v[70:71], v[70:71], -v[82:83]
	v_fma_f64 v[90:91], v[92:93], v[98:99], v[90:91]
	v_add_f64 v[72:73], v[72:73], -v[90:91]
	;; [unrolled: 8-line block ×16, first 2 shown]
	ds_read2_b64 v[90:93], v1 offset0:42 offset1:43
	s_waitcnt lgkmcnt(0)
	v_mul_f64 v[82:83], v[92:93], v[84:85]
	v_fma_f64 v[82:83], v[90:91], v[98:99], -v[82:83]
	v_mul_f64 v[90:91], v[90:91], v[84:85]
	v_add_f64 v[2:3], v[2:3], -v[82:83]
	v_fma_f64 v[90:91], v[92:93], v[98:99], v[90:91]
	v_mov_b32_e32 v82, v98
	v_mov_b32_e32 v83, v99
	v_add_f64 v[4:5], v[4:5], -v[90:91]
.LBB42_104:
	s_or_b32 exec_lo, exec_lo, s0
	v_lshl_add_u32 v90, v104, 4, v1
	s_barrier
	buffer_gl0_inv
	v_mov_b32_e32 v98, 5
	ds_write2_b64 v90, v[74:75], v[76:77] offset1:1
	s_waitcnt lgkmcnt(0)
	s_barrier
	buffer_gl0_inv
	ds_read2_b64 v[90:93], v1 offset0:10 offset1:11
	s_cmp_lt_i32 s18, 7
	s_cbranch_scc1 .LBB42_107
; %bb.105:
	v_add3_u32 v99, v100, 0, 0x60
	v_mov_b32_e32 v98, 5
	s_mov_b32 s1, 6
	s_inst_prefetch 0x1
	.p2align	6
.LBB42_106:                             ; =>This Inner Loop Header: Depth=1
	s_waitcnt lgkmcnt(0)
	v_cmp_gt_f64_e32 vcc_lo, 0, v[92:93]
	v_cmp_gt_f64_e64 s0, 0, v[90:91]
	ds_read2_b64 v[105:108], v99 offset1:1
	v_xor_b32_e32 v110, 0x80000000, v91
	v_xor_b32_e32 v112, 0x80000000, v93
	v_mov_b32_e32 v109, v90
	v_mov_b32_e32 v111, v92
	v_add_nc_u32_e32 v99, 16, v99
	s_waitcnt lgkmcnt(0)
	v_xor_b32_e32 v114, 0x80000000, v108
	v_cndmask_b32_e64 v110, v91, v110, s0
	v_cndmask_b32_e32 v112, v93, v112, vcc_lo
	v_cmp_gt_f64_e32 vcc_lo, 0, v[107:108]
	v_cmp_gt_f64_e64 s0, 0, v[105:106]
	v_mov_b32_e32 v113, v107
	v_add_f64 v[109:110], v[109:110], v[111:112]
	v_xor_b32_e32 v112, 0x80000000, v106
	v_mov_b32_e32 v111, v105
	v_cndmask_b32_e32 v114, v108, v114, vcc_lo
	v_cndmask_b32_e64 v112, v106, v112, s0
	v_add_f64 v[111:112], v[111:112], v[113:114]
	v_cmp_lt_f64_e32 vcc_lo, v[109:110], v[111:112]
	v_cndmask_b32_e32 v91, v91, v106, vcc_lo
	v_cndmask_b32_e32 v90, v90, v105, vcc_lo
	;; [unrolled: 1-line block ×4, first 2 shown]
	v_cndmask_b32_e64 v98, v98, s1, vcc_lo
	s_add_i32 s1, s1, 1
	s_cmp_lg_u32 s18, s1
	s_cbranch_scc1 .LBB42_106
.LBB42_107:
	s_inst_prefetch 0x2
	s_waitcnt lgkmcnt(0)
	v_cmp_eq_f64_e32 vcc_lo, 0, v[90:91]
	v_cmp_eq_f64_e64 s0, 0, v[92:93]
	s_and_b32 s0, vcc_lo, s0
	s_and_saveexec_b32 s1, s0
	s_xor_b32 s0, exec_lo, s1
; %bb.108:
	v_cmp_ne_u32_e32 vcc_lo, 0, v103
	v_cndmask_b32_e32 v103, 6, v103, vcc_lo
; %bb.109:
	s_andn2_saveexec_b32 s0, s0
	s_cbranch_execz .LBB42_115
; %bb.110:
	v_cmp_ngt_f64_e64 s1, |v[90:91]|, |v[92:93]|
	s_and_saveexec_b32 s2, s1
	s_xor_b32 s1, exec_lo, s2
	s_cbranch_execz .LBB42_112
; %bb.111:
	v_div_scale_f64 v[105:106], null, v[92:93], v[92:93], v[90:91]
	v_div_scale_f64 v[111:112], vcc_lo, v[90:91], v[92:93], v[90:91]
	v_rcp_f64_e32 v[107:108], v[105:106]
	v_fma_f64 v[109:110], -v[105:106], v[107:108], 1.0
	v_fma_f64 v[107:108], v[107:108], v[109:110], v[107:108]
	v_fma_f64 v[109:110], -v[105:106], v[107:108], 1.0
	v_fma_f64 v[107:108], v[107:108], v[109:110], v[107:108]
	v_mul_f64 v[109:110], v[111:112], v[107:108]
	v_fma_f64 v[105:106], -v[105:106], v[109:110], v[111:112]
	v_div_fmas_f64 v[105:106], v[105:106], v[107:108], v[109:110]
	v_div_fixup_f64 v[105:106], v[105:106], v[92:93], v[90:91]
	v_fma_f64 v[90:91], v[90:91], v[105:106], v[92:93]
	v_div_scale_f64 v[92:93], null, v[90:91], v[90:91], 1.0
	v_rcp_f64_e32 v[107:108], v[92:93]
	v_fma_f64 v[109:110], -v[92:93], v[107:108], 1.0
	v_fma_f64 v[107:108], v[107:108], v[109:110], v[107:108]
	v_fma_f64 v[109:110], -v[92:93], v[107:108], 1.0
	v_fma_f64 v[107:108], v[107:108], v[109:110], v[107:108]
	v_div_scale_f64 v[109:110], vcc_lo, 1.0, v[90:91], 1.0
	v_mul_f64 v[111:112], v[109:110], v[107:108]
	v_fma_f64 v[92:93], -v[92:93], v[111:112], v[109:110]
	v_div_fmas_f64 v[92:93], v[92:93], v[107:108], v[111:112]
	v_div_fixup_f64 v[92:93], v[92:93], v[90:91], 1.0
	v_mul_f64 v[90:91], v[105:106], v[92:93]
	v_xor_b32_e32 v93, 0x80000000, v93
.LBB42_112:
	s_andn2_saveexec_b32 s1, s1
	s_cbranch_execz .LBB42_114
; %bb.113:
	v_div_scale_f64 v[105:106], null, v[90:91], v[90:91], v[92:93]
	v_div_scale_f64 v[111:112], vcc_lo, v[92:93], v[90:91], v[92:93]
	v_rcp_f64_e32 v[107:108], v[105:106]
	v_fma_f64 v[109:110], -v[105:106], v[107:108], 1.0
	v_fma_f64 v[107:108], v[107:108], v[109:110], v[107:108]
	v_fma_f64 v[109:110], -v[105:106], v[107:108], 1.0
	v_fma_f64 v[107:108], v[107:108], v[109:110], v[107:108]
	v_mul_f64 v[109:110], v[111:112], v[107:108]
	v_fma_f64 v[105:106], -v[105:106], v[109:110], v[111:112]
	v_div_fmas_f64 v[105:106], v[105:106], v[107:108], v[109:110]
	v_div_fixup_f64 v[105:106], v[105:106], v[90:91], v[92:93]
	v_fma_f64 v[90:91], v[92:93], v[105:106], v[90:91]
	v_div_scale_f64 v[92:93], null, v[90:91], v[90:91], 1.0
	v_rcp_f64_e32 v[107:108], v[92:93]
	v_fma_f64 v[109:110], -v[92:93], v[107:108], 1.0
	v_fma_f64 v[107:108], v[107:108], v[109:110], v[107:108]
	v_fma_f64 v[109:110], -v[92:93], v[107:108], 1.0
	v_fma_f64 v[107:108], v[107:108], v[109:110], v[107:108]
	v_div_scale_f64 v[109:110], vcc_lo, 1.0, v[90:91], 1.0
	v_mul_f64 v[111:112], v[109:110], v[107:108]
	v_fma_f64 v[92:93], -v[92:93], v[111:112], v[109:110]
	v_div_fmas_f64 v[92:93], v[92:93], v[107:108], v[111:112]
	v_div_fixup_f64 v[90:91], v[92:93], v[90:91], 1.0
	v_mul_f64 v[92:93], v[105:106], -v[90:91]
.LBB42_114:
	s_or_b32 exec_lo, exec_lo, s1
.LBB42_115:
	s_or_b32 exec_lo, exec_lo, s0
	s_mov_b32 s0, exec_lo
	v_cmpx_ne_u32_e64 v104, v98
	s_xor_b32 s0, exec_lo, s0
	s_cbranch_execz .LBB42_121
; %bb.116:
	s_mov_b32 s1, exec_lo
	v_cmpx_eq_u32_e32 5, v104
	s_cbranch_execz .LBB42_120
; %bb.117:
	v_cmp_ne_u32_e32 vcc_lo, 5, v98
	s_xor_b32 s2, s16, -1
	s_and_b32 s3, s2, vcc_lo
	s_and_saveexec_b32 s2, s3
	s_cbranch_execz .LBB42_119
; %bb.118:
	v_ashrrev_i32_e32 v99, 31, v98
	v_lshlrev_b64 v[104:105], 2, v[98:99]
	v_add_co_u32 v104, vcc_lo, v96, v104
	v_add_co_ci_u32_e64 v105, null, v97, v105, vcc_lo
	s_clause 0x1
	global_load_dword v0, v[104:105], off
	global_load_dword v99, v[96:97], off offset:20
	s_waitcnt vmcnt(1)
	global_store_dword v[96:97], v0, off offset:20
	s_waitcnt vmcnt(0)
	global_store_dword v[104:105], v99, off
.LBB42_119:
	s_or_b32 exec_lo, exec_lo, s2
	v_mov_b32_e32 v104, v98
	v_mov_b32_e32 v0, v98
.LBB42_120:
	s_or_b32 exec_lo, exec_lo, s1
.LBB42_121:
	s_andn2_saveexec_b32 s0, s0
	s_cbranch_execz .LBB42_123
; %bb.122:
	v_mov_b32_e32 v104, 5
	ds_write2_b64 v1, v[70:71], v[72:73] offset0:12 offset1:13
	ds_write2_b64 v1, v[58:59], v[60:61] offset0:14 offset1:15
	;; [unrolled: 1-line block ×16, first 2 shown]
.LBB42_123:
	s_or_b32 exec_lo, exec_lo, s0
	s_mov_b32 s0, exec_lo
	s_waitcnt lgkmcnt(0)
	s_waitcnt_vscnt null, 0x0
	s_barrier
	buffer_gl0_inv
	v_cmpx_lt_i32_e32 5, v104
	s_cbranch_execz .LBB42_125
; %bb.124:
	v_mul_f64 v[98:99], v[90:91], v[76:77]
	v_mul_f64 v[76:77], v[92:93], v[76:77]
	v_fma_f64 v[98:99], v[92:93], v[74:75], v[98:99]
	v_fma_f64 v[74:75], v[90:91], v[74:75], -v[76:77]
	ds_read2_b64 v[90:93], v1 offset0:12 offset1:13
	s_waitcnt lgkmcnt(0)
	v_mul_f64 v[76:77], v[92:93], v[98:99]
	v_fma_f64 v[76:77], v[90:91], v[74:75], -v[76:77]
	v_mul_f64 v[90:91], v[90:91], v[98:99]
	v_add_f64 v[70:71], v[70:71], -v[76:77]
	v_fma_f64 v[90:91], v[92:93], v[74:75], v[90:91]
	v_add_f64 v[72:73], v[72:73], -v[90:91]
	ds_read2_b64 v[90:93], v1 offset0:14 offset1:15
	s_waitcnt lgkmcnt(0)
	v_mul_f64 v[76:77], v[92:93], v[98:99]
	v_fma_f64 v[76:77], v[90:91], v[74:75], -v[76:77]
	v_mul_f64 v[90:91], v[90:91], v[98:99]
	v_add_f64 v[58:59], v[58:59], -v[76:77]
	v_fma_f64 v[90:91], v[92:93], v[74:75], v[90:91]
	v_add_f64 v[60:61], v[60:61], -v[90:91]
	;; [unrolled: 8-line block ×15, first 2 shown]
	ds_read2_b64 v[90:93], v1 offset0:42 offset1:43
	s_waitcnt lgkmcnt(0)
	v_mul_f64 v[76:77], v[92:93], v[98:99]
	v_fma_f64 v[76:77], v[90:91], v[74:75], -v[76:77]
	v_mul_f64 v[90:91], v[90:91], v[98:99]
	v_add_f64 v[2:3], v[2:3], -v[76:77]
	v_fma_f64 v[90:91], v[92:93], v[74:75], v[90:91]
	v_mov_b32_e32 v76, v98
	v_mov_b32_e32 v77, v99
	v_add_f64 v[4:5], v[4:5], -v[90:91]
.LBB42_125:
	s_or_b32 exec_lo, exec_lo, s0
	v_lshl_add_u32 v90, v104, 4, v1
	s_barrier
	buffer_gl0_inv
	v_mov_b32_e32 v98, 6
	ds_write2_b64 v90, v[70:71], v[72:73] offset1:1
	s_waitcnt lgkmcnt(0)
	s_barrier
	buffer_gl0_inv
	ds_read2_b64 v[90:93], v1 offset0:12 offset1:13
	s_cmp_lt_i32 s18, 8
	s_cbranch_scc1 .LBB42_128
; %bb.126:
	v_add3_u32 v99, v100, 0, 0x70
	v_mov_b32_e32 v98, 6
	s_mov_b32 s1, 7
	s_inst_prefetch 0x1
	.p2align	6
.LBB42_127:                             ; =>This Inner Loop Header: Depth=1
	s_waitcnt lgkmcnt(0)
	v_cmp_gt_f64_e32 vcc_lo, 0, v[92:93]
	v_cmp_gt_f64_e64 s0, 0, v[90:91]
	ds_read2_b64 v[105:108], v99 offset1:1
	v_xor_b32_e32 v110, 0x80000000, v91
	v_xor_b32_e32 v112, 0x80000000, v93
	v_mov_b32_e32 v109, v90
	v_mov_b32_e32 v111, v92
	v_add_nc_u32_e32 v99, 16, v99
	s_waitcnt lgkmcnt(0)
	v_xor_b32_e32 v114, 0x80000000, v108
	v_cndmask_b32_e64 v110, v91, v110, s0
	v_cndmask_b32_e32 v112, v93, v112, vcc_lo
	v_cmp_gt_f64_e32 vcc_lo, 0, v[107:108]
	v_cmp_gt_f64_e64 s0, 0, v[105:106]
	v_mov_b32_e32 v113, v107
	v_add_f64 v[109:110], v[109:110], v[111:112]
	v_xor_b32_e32 v112, 0x80000000, v106
	v_mov_b32_e32 v111, v105
	v_cndmask_b32_e32 v114, v108, v114, vcc_lo
	v_cndmask_b32_e64 v112, v106, v112, s0
	v_add_f64 v[111:112], v[111:112], v[113:114]
	v_cmp_lt_f64_e32 vcc_lo, v[109:110], v[111:112]
	v_cndmask_b32_e32 v91, v91, v106, vcc_lo
	v_cndmask_b32_e32 v90, v90, v105, vcc_lo
	;; [unrolled: 1-line block ×4, first 2 shown]
	v_cndmask_b32_e64 v98, v98, s1, vcc_lo
	s_add_i32 s1, s1, 1
	s_cmp_lg_u32 s18, s1
	s_cbranch_scc1 .LBB42_127
.LBB42_128:
	s_inst_prefetch 0x2
	s_waitcnt lgkmcnt(0)
	v_cmp_eq_f64_e32 vcc_lo, 0, v[90:91]
	v_cmp_eq_f64_e64 s0, 0, v[92:93]
	s_and_b32 s0, vcc_lo, s0
	s_and_saveexec_b32 s1, s0
	s_xor_b32 s0, exec_lo, s1
; %bb.129:
	v_cmp_ne_u32_e32 vcc_lo, 0, v103
	v_cndmask_b32_e32 v103, 7, v103, vcc_lo
; %bb.130:
	s_andn2_saveexec_b32 s0, s0
	s_cbranch_execz .LBB42_136
; %bb.131:
	v_cmp_ngt_f64_e64 s1, |v[90:91]|, |v[92:93]|
	s_and_saveexec_b32 s2, s1
	s_xor_b32 s1, exec_lo, s2
	s_cbranch_execz .LBB42_133
; %bb.132:
	v_div_scale_f64 v[105:106], null, v[92:93], v[92:93], v[90:91]
	v_div_scale_f64 v[111:112], vcc_lo, v[90:91], v[92:93], v[90:91]
	v_rcp_f64_e32 v[107:108], v[105:106]
	v_fma_f64 v[109:110], -v[105:106], v[107:108], 1.0
	v_fma_f64 v[107:108], v[107:108], v[109:110], v[107:108]
	v_fma_f64 v[109:110], -v[105:106], v[107:108], 1.0
	v_fma_f64 v[107:108], v[107:108], v[109:110], v[107:108]
	v_mul_f64 v[109:110], v[111:112], v[107:108]
	v_fma_f64 v[105:106], -v[105:106], v[109:110], v[111:112]
	v_div_fmas_f64 v[105:106], v[105:106], v[107:108], v[109:110]
	v_div_fixup_f64 v[105:106], v[105:106], v[92:93], v[90:91]
	v_fma_f64 v[90:91], v[90:91], v[105:106], v[92:93]
	v_div_scale_f64 v[92:93], null, v[90:91], v[90:91], 1.0
	v_rcp_f64_e32 v[107:108], v[92:93]
	v_fma_f64 v[109:110], -v[92:93], v[107:108], 1.0
	v_fma_f64 v[107:108], v[107:108], v[109:110], v[107:108]
	v_fma_f64 v[109:110], -v[92:93], v[107:108], 1.0
	v_fma_f64 v[107:108], v[107:108], v[109:110], v[107:108]
	v_div_scale_f64 v[109:110], vcc_lo, 1.0, v[90:91], 1.0
	v_mul_f64 v[111:112], v[109:110], v[107:108]
	v_fma_f64 v[92:93], -v[92:93], v[111:112], v[109:110]
	v_div_fmas_f64 v[92:93], v[92:93], v[107:108], v[111:112]
	v_div_fixup_f64 v[92:93], v[92:93], v[90:91], 1.0
	v_mul_f64 v[90:91], v[105:106], v[92:93]
	v_xor_b32_e32 v93, 0x80000000, v93
.LBB42_133:
	s_andn2_saveexec_b32 s1, s1
	s_cbranch_execz .LBB42_135
; %bb.134:
	v_div_scale_f64 v[105:106], null, v[90:91], v[90:91], v[92:93]
	v_div_scale_f64 v[111:112], vcc_lo, v[92:93], v[90:91], v[92:93]
	v_rcp_f64_e32 v[107:108], v[105:106]
	v_fma_f64 v[109:110], -v[105:106], v[107:108], 1.0
	v_fma_f64 v[107:108], v[107:108], v[109:110], v[107:108]
	v_fma_f64 v[109:110], -v[105:106], v[107:108], 1.0
	v_fma_f64 v[107:108], v[107:108], v[109:110], v[107:108]
	v_mul_f64 v[109:110], v[111:112], v[107:108]
	v_fma_f64 v[105:106], -v[105:106], v[109:110], v[111:112]
	v_div_fmas_f64 v[105:106], v[105:106], v[107:108], v[109:110]
	v_div_fixup_f64 v[105:106], v[105:106], v[90:91], v[92:93]
	v_fma_f64 v[90:91], v[92:93], v[105:106], v[90:91]
	v_div_scale_f64 v[92:93], null, v[90:91], v[90:91], 1.0
	v_rcp_f64_e32 v[107:108], v[92:93]
	v_fma_f64 v[109:110], -v[92:93], v[107:108], 1.0
	v_fma_f64 v[107:108], v[107:108], v[109:110], v[107:108]
	v_fma_f64 v[109:110], -v[92:93], v[107:108], 1.0
	v_fma_f64 v[107:108], v[107:108], v[109:110], v[107:108]
	v_div_scale_f64 v[109:110], vcc_lo, 1.0, v[90:91], 1.0
	v_mul_f64 v[111:112], v[109:110], v[107:108]
	v_fma_f64 v[92:93], -v[92:93], v[111:112], v[109:110]
	v_div_fmas_f64 v[92:93], v[92:93], v[107:108], v[111:112]
	v_div_fixup_f64 v[90:91], v[92:93], v[90:91], 1.0
	v_mul_f64 v[92:93], v[105:106], -v[90:91]
.LBB42_135:
	s_or_b32 exec_lo, exec_lo, s1
.LBB42_136:
	s_or_b32 exec_lo, exec_lo, s0
	s_mov_b32 s0, exec_lo
	v_cmpx_ne_u32_e64 v104, v98
	s_xor_b32 s0, exec_lo, s0
	s_cbranch_execz .LBB42_142
; %bb.137:
	s_mov_b32 s1, exec_lo
	v_cmpx_eq_u32_e32 6, v104
	s_cbranch_execz .LBB42_141
; %bb.138:
	v_cmp_ne_u32_e32 vcc_lo, 6, v98
	s_xor_b32 s2, s16, -1
	s_and_b32 s3, s2, vcc_lo
	s_and_saveexec_b32 s2, s3
	s_cbranch_execz .LBB42_140
; %bb.139:
	v_ashrrev_i32_e32 v99, 31, v98
	v_lshlrev_b64 v[104:105], 2, v[98:99]
	v_add_co_u32 v104, vcc_lo, v96, v104
	v_add_co_ci_u32_e64 v105, null, v97, v105, vcc_lo
	s_clause 0x1
	global_load_dword v0, v[104:105], off
	global_load_dword v99, v[96:97], off offset:24
	s_waitcnt vmcnt(1)
	global_store_dword v[96:97], v0, off offset:24
	s_waitcnt vmcnt(0)
	global_store_dword v[104:105], v99, off
.LBB42_140:
	s_or_b32 exec_lo, exec_lo, s2
	v_mov_b32_e32 v104, v98
	v_mov_b32_e32 v0, v98
.LBB42_141:
	s_or_b32 exec_lo, exec_lo, s1
.LBB42_142:
	s_andn2_saveexec_b32 s0, s0
	s_cbranch_execz .LBB42_144
; %bb.143:
	v_mov_b32_e32 v104, 6
	ds_write2_b64 v1, v[58:59], v[60:61] offset0:14 offset1:15
	ds_write2_b64 v1, v[54:55], v[56:57] offset0:16 offset1:17
	;; [unrolled: 1-line block ×15, first 2 shown]
.LBB42_144:
	s_or_b32 exec_lo, exec_lo, s0
	s_mov_b32 s0, exec_lo
	s_waitcnt lgkmcnt(0)
	s_waitcnt_vscnt null, 0x0
	s_barrier
	buffer_gl0_inv
	v_cmpx_lt_i32_e32 6, v104
	s_cbranch_execz .LBB42_146
; %bb.145:
	v_mul_f64 v[98:99], v[90:91], v[72:73]
	v_mul_f64 v[72:73], v[92:93], v[72:73]
	v_fma_f64 v[98:99], v[92:93], v[70:71], v[98:99]
	v_fma_f64 v[70:71], v[90:91], v[70:71], -v[72:73]
	ds_read2_b64 v[90:93], v1 offset0:14 offset1:15
	s_waitcnt lgkmcnt(0)
	v_mul_f64 v[72:73], v[92:93], v[98:99]
	v_fma_f64 v[72:73], v[90:91], v[70:71], -v[72:73]
	v_mul_f64 v[90:91], v[90:91], v[98:99]
	v_add_f64 v[58:59], v[58:59], -v[72:73]
	v_fma_f64 v[90:91], v[92:93], v[70:71], v[90:91]
	v_add_f64 v[60:61], v[60:61], -v[90:91]
	ds_read2_b64 v[90:93], v1 offset0:16 offset1:17
	s_waitcnt lgkmcnt(0)
	v_mul_f64 v[72:73], v[92:93], v[98:99]
	v_fma_f64 v[72:73], v[90:91], v[70:71], -v[72:73]
	v_mul_f64 v[90:91], v[90:91], v[98:99]
	v_add_f64 v[54:55], v[54:55], -v[72:73]
	v_fma_f64 v[90:91], v[92:93], v[70:71], v[90:91]
	v_add_f64 v[56:57], v[56:57], -v[90:91]
	;; [unrolled: 8-line block ×14, first 2 shown]
	ds_read2_b64 v[90:93], v1 offset0:42 offset1:43
	s_waitcnt lgkmcnt(0)
	v_mul_f64 v[72:73], v[92:93], v[98:99]
	v_fma_f64 v[72:73], v[90:91], v[70:71], -v[72:73]
	v_mul_f64 v[90:91], v[90:91], v[98:99]
	v_add_f64 v[2:3], v[2:3], -v[72:73]
	v_fma_f64 v[90:91], v[92:93], v[70:71], v[90:91]
	v_mov_b32_e32 v72, v98
	v_mov_b32_e32 v73, v99
	v_add_f64 v[4:5], v[4:5], -v[90:91]
.LBB42_146:
	s_or_b32 exec_lo, exec_lo, s0
	v_lshl_add_u32 v90, v104, 4, v1
	s_barrier
	buffer_gl0_inv
	v_mov_b32_e32 v98, 7
	ds_write2_b64 v90, v[58:59], v[60:61] offset1:1
	s_waitcnt lgkmcnt(0)
	s_barrier
	buffer_gl0_inv
	ds_read2_b64 v[90:93], v1 offset0:14 offset1:15
	s_cmp_lt_i32 s18, 9
	s_cbranch_scc1 .LBB42_149
; %bb.147:
	v_add3_u32 v99, v100, 0, 0x80
	v_mov_b32_e32 v98, 7
	s_mov_b32 s1, 8
	s_inst_prefetch 0x1
	.p2align	6
.LBB42_148:                             ; =>This Inner Loop Header: Depth=1
	s_waitcnt lgkmcnt(0)
	v_cmp_gt_f64_e32 vcc_lo, 0, v[92:93]
	v_cmp_gt_f64_e64 s0, 0, v[90:91]
	ds_read2_b64 v[105:108], v99 offset1:1
	v_xor_b32_e32 v110, 0x80000000, v91
	v_xor_b32_e32 v112, 0x80000000, v93
	v_mov_b32_e32 v109, v90
	v_mov_b32_e32 v111, v92
	v_add_nc_u32_e32 v99, 16, v99
	s_waitcnt lgkmcnt(0)
	v_xor_b32_e32 v114, 0x80000000, v108
	v_cndmask_b32_e64 v110, v91, v110, s0
	v_cndmask_b32_e32 v112, v93, v112, vcc_lo
	v_cmp_gt_f64_e32 vcc_lo, 0, v[107:108]
	v_cmp_gt_f64_e64 s0, 0, v[105:106]
	v_mov_b32_e32 v113, v107
	v_add_f64 v[109:110], v[109:110], v[111:112]
	v_xor_b32_e32 v112, 0x80000000, v106
	v_mov_b32_e32 v111, v105
	v_cndmask_b32_e32 v114, v108, v114, vcc_lo
	v_cndmask_b32_e64 v112, v106, v112, s0
	v_add_f64 v[111:112], v[111:112], v[113:114]
	v_cmp_lt_f64_e32 vcc_lo, v[109:110], v[111:112]
	v_cndmask_b32_e32 v91, v91, v106, vcc_lo
	v_cndmask_b32_e32 v90, v90, v105, vcc_lo
	;; [unrolled: 1-line block ×4, first 2 shown]
	v_cndmask_b32_e64 v98, v98, s1, vcc_lo
	s_add_i32 s1, s1, 1
	s_cmp_lg_u32 s18, s1
	s_cbranch_scc1 .LBB42_148
.LBB42_149:
	s_inst_prefetch 0x2
	s_waitcnt lgkmcnt(0)
	v_cmp_eq_f64_e32 vcc_lo, 0, v[90:91]
	v_cmp_eq_f64_e64 s0, 0, v[92:93]
	s_and_b32 s0, vcc_lo, s0
	s_and_saveexec_b32 s1, s0
	s_xor_b32 s0, exec_lo, s1
; %bb.150:
	v_cmp_ne_u32_e32 vcc_lo, 0, v103
	v_cndmask_b32_e32 v103, 8, v103, vcc_lo
; %bb.151:
	s_andn2_saveexec_b32 s0, s0
	s_cbranch_execz .LBB42_157
; %bb.152:
	v_cmp_ngt_f64_e64 s1, |v[90:91]|, |v[92:93]|
	s_and_saveexec_b32 s2, s1
	s_xor_b32 s1, exec_lo, s2
	s_cbranch_execz .LBB42_154
; %bb.153:
	v_div_scale_f64 v[105:106], null, v[92:93], v[92:93], v[90:91]
	v_div_scale_f64 v[111:112], vcc_lo, v[90:91], v[92:93], v[90:91]
	v_rcp_f64_e32 v[107:108], v[105:106]
	v_fma_f64 v[109:110], -v[105:106], v[107:108], 1.0
	v_fma_f64 v[107:108], v[107:108], v[109:110], v[107:108]
	v_fma_f64 v[109:110], -v[105:106], v[107:108], 1.0
	v_fma_f64 v[107:108], v[107:108], v[109:110], v[107:108]
	v_mul_f64 v[109:110], v[111:112], v[107:108]
	v_fma_f64 v[105:106], -v[105:106], v[109:110], v[111:112]
	v_div_fmas_f64 v[105:106], v[105:106], v[107:108], v[109:110]
	v_div_fixup_f64 v[105:106], v[105:106], v[92:93], v[90:91]
	v_fma_f64 v[90:91], v[90:91], v[105:106], v[92:93]
	v_div_scale_f64 v[92:93], null, v[90:91], v[90:91], 1.0
	v_rcp_f64_e32 v[107:108], v[92:93]
	v_fma_f64 v[109:110], -v[92:93], v[107:108], 1.0
	v_fma_f64 v[107:108], v[107:108], v[109:110], v[107:108]
	v_fma_f64 v[109:110], -v[92:93], v[107:108], 1.0
	v_fma_f64 v[107:108], v[107:108], v[109:110], v[107:108]
	v_div_scale_f64 v[109:110], vcc_lo, 1.0, v[90:91], 1.0
	v_mul_f64 v[111:112], v[109:110], v[107:108]
	v_fma_f64 v[92:93], -v[92:93], v[111:112], v[109:110]
	v_div_fmas_f64 v[92:93], v[92:93], v[107:108], v[111:112]
	v_div_fixup_f64 v[92:93], v[92:93], v[90:91], 1.0
	v_mul_f64 v[90:91], v[105:106], v[92:93]
	v_xor_b32_e32 v93, 0x80000000, v93
.LBB42_154:
	s_andn2_saveexec_b32 s1, s1
	s_cbranch_execz .LBB42_156
; %bb.155:
	v_div_scale_f64 v[105:106], null, v[90:91], v[90:91], v[92:93]
	v_div_scale_f64 v[111:112], vcc_lo, v[92:93], v[90:91], v[92:93]
	v_rcp_f64_e32 v[107:108], v[105:106]
	v_fma_f64 v[109:110], -v[105:106], v[107:108], 1.0
	v_fma_f64 v[107:108], v[107:108], v[109:110], v[107:108]
	v_fma_f64 v[109:110], -v[105:106], v[107:108], 1.0
	v_fma_f64 v[107:108], v[107:108], v[109:110], v[107:108]
	v_mul_f64 v[109:110], v[111:112], v[107:108]
	v_fma_f64 v[105:106], -v[105:106], v[109:110], v[111:112]
	v_div_fmas_f64 v[105:106], v[105:106], v[107:108], v[109:110]
	v_div_fixup_f64 v[105:106], v[105:106], v[90:91], v[92:93]
	v_fma_f64 v[90:91], v[92:93], v[105:106], v[90:91]
	v_div_scale_f64 v[92:93], null, v[90:91], v[90:91], 1.0
	v_rcp_f64_e32 v[107:108], v[92:93]
	v_fma_f64 v[109:110], -v[92:93], v[107:108], 1.0
	v_fma_f64 v[107:108], v[107:108], v[109:110], v[107:108]
	v_fma_f64 v[109:110], -v[92:93], v[107:108], 1.0
	v_fma_f64 v[107:108], v[107:108], v[109:110], v[107:108]
	v_div_scale_f64 v[109:110], vcc_lo, 1.0, v[90:91], 1.0
	v_mul_f64 v[111:112], v[109:110], v[107:108]
	v_fma_f64 v[92:93], -v[92:93], v[111:112], v[109:110]
	v_div_fmas_f64 v[92:93], v[92:93], v[107:108], v[111:112]
	v_div_fixup_f64 v[90:91], v[92:93], v[90:91], 1.0
	v_mul_f64 v[92:93], v[105:106], -v[90:91]
.LBB42_156:
	s_or_b32 exec_lo, exec_lo, s1
.LBB42_157:
	s_or_b32 exec_lo, exec_lo, s0
	s_mov_b32 s0, exec_lo
	v_cmpx_ne_u32_e64 v104, v98
	s_xor_b32 s0, exec_lo, s0
	s_cbranch_execz .LBB42_163
; %bb.158:
	s_mov_b32 s1, exec_lo
	v_cmpx_eq_u32_e32 7, v104
	s_cbranch_execz .LBB42_162
; %bb.159:
	v_cmp_ne_u32_e32 vcc_lo, 7, v98
	s_xor_b32 s2, s16, -1
	s_and_b32 s3, s2, vcc_lo
	s_and_saveexec_b32 s2, s3
	s_cbranch_execz .LBB42_161
; %bb.160:
	v_ashrrev_i32_e32 v99, 31, v98
	v_lshlrev_b64 v[104:105], 2, v[98:99]
	v_add_co_u32 v104, vcc_lo, v96, v104
	v_add_co_ci_u32_e64 v105, null, v97, v105, vcc_lo
	s_clause 0x1
	global_load_dword v0, v[104:105], off
	global_load_dword v99, v[96:97], off offset:28
	s_waitcnt vmcnt(1)
	global_store_dword v[96:97], v0, off offset:28
	s_waitcnt vmcnt(0)
	global_store_dword v[104:105], v99, off
.LBB42_161:
	s_or_b32 exec_lo, exec_lo, s2
	v_mov_b32_e32 v104, v98
	v_mov_b32_e32 v0, v98
.LBB42_162:
	s_or_b32 exec_lo, exec_lo, s1
.LBB42_163:
	s_andn2_saveexec_b32 s0, s0
	s_cbranch_execz .LBB42_165
; %bb.164:
	v_mov_b32_e32 v104, 7
	ds_write2_b64 v1, v[54:55], v[56:57] offset0:16 offset1:17
	ds_write2_b64 v1, v[50:51], v[52:53] offset0:18 offset1:19
	;; [unrolled: 1-line block ×14, first 2 shown]
.LBB42_165:
	s_or_b32 exec_lo, exec_lo, s0
	s_mov_b32 s0, exec_lo
	s_waitcnt lgkmcnt(0)
	s_waitcnt_vscnt null, 0x0
	s_barrier
	buffer_gl0_inv
	v_cmpx_lt_i32_e32 7, v104
	s_cbranch_execz .LBB42_167
; %bb.166:
	v_mul_f64 v[98:99], v[90:91], v[60:61]
	v_mul_f64 v[60:61], v[92:93], v[60:61]
	v_fma_f64 v[98:99], v[92:93], v[58:59], v[98:99]
	v_fma_f64 v[58:59], v[90:91], v[58:59], -v[60:61]
	ds_read2_b64 v[90:93], v1 offset0:16 offset1:17
	s_waitcnt lgkmcnt(0)
	v_mul_f64 v[60:61], v[92:93], v[98:99]
	v_fma_f64 v[60:61], v[90:91], v[58:59], -v[60:61]
	v_mul_f64 v[90:91], v[90:91], v[98:99]
	v_add_f64 v[54:55], v[54:55], -v[60:61]
	v_fma_f64 v[90:91], v[92:93], v[58:59], v[90:91]
	v_add_f64 v[56:57], v[56:57], -v[90:91]
	ds_read2_b64 v[90:93], v1 offset0:18 offset1:19
	s_waitcnt lgkmcnt(0)
	v_mul_f64 v[60:61], v[92:93], v[98:99]
	v_fma_f64 v[60:61], v[90:91], v[58:59], -v[60:61]
	v_mul_f64 v[90:91], v[90:91], v[98:99]
	v_add_f64 v[50:51], v[50:51], -v[60:61]
	v_fma_f64 v[90:91], v[92:93], v[58:59], v[90:91]
	v_add_f64 v[52:53], v[52:53], -v[90:91]
	;; [unrolled: 8-line block ×13, first 2 shown]
	ds_read2_b64 v[90:93], v1 offset0:42 offset1:43
	s_waitcnt lgkmcnt(0)
	v_mul_f64 v[60:61], v[92:93], v[98:99]
	v_fma_f64 v[60:61], v[90:91], v[58:59], -v[60:61]
	v_mul_f64 v[90:91], v[90:91], v[98:99]
	v_add_f64 v[2:3], v[2:3], -v[60:61]
	v_fma_f64 v[90:91], v[92:93], v[58:59], v[90:91]
	v_mov_b32_e32 v60, v98
	v_mov_b32_e32 v61, v99
	v_add_f64 v[4:5], v[4:5], -v[90:91]
.LBB42_167:
	s_or_b32 exec_lo, exec_lo, s0
	v_lshl_add_u32 v90, v104, 4, v1
	s_barrier
	buffer_gl0_inv
	v_mov_b32_e32 v98, 8
	ds_write2_b64 v90, v[54:55], v[56:57] offset1:1
	s_waitcnt lgkmcnt(0)
	s_barrier
	buffer_gl0_inv
	ds_read2_b64 v[90:93], v1 offset0:16 offset1:17
	s_cmp_lt_i32 s18, 10
	s_cbranch_scc1 .LBB42_170
; %bb.168:
	v_add3_u32 v99, v100, 0, 0x90
	v_mov_b32_e32 v98, 8
	s_mov_b32 s1, 9
	s_inst_prefetch 0x1
	.p2align	6
.LBB42_169:                             ; =>This Inner Loop Header: Depth=1
	s_waitcnt lgkmcnt(0)
	v_cmp_gt_f64_e32 vcc_lo, 0, v[92:93]
	v_cmp_gt_f64_e64 s0, 0, v[90:91]
	ds_read2_b64 v[105:108], v99 offset1:1
	v_xor_b32_e32 v110, 0x80000000, v91
	v_xor_b32_e32 v112, 0x80000000, v93
	v_mov_b32_e32 v109, v90
	v_mov_b32_e32 v111, v92
	v_add_nc_u32_e32 v99, 16, v99
	s_waitcnt lgkmcnt(0)
	v_xor_b32_e32 v114, 0x80000000, v108
	v_cndmask_b32_e64 v110, v91, v110, s0
	v_cndmask_b32_e32 v112, v93, v112, vcc_lo
	v_cmp_gt_f64_e32 vcc_lo, 0, v[107:108]
	v_cmp_gt_f64_e64 s0, 0, v[105:106]
	v_mov_b32_e32 v113, v107
	v_add_f64 v[109:110], v[109:110], v[111:112]
	v_xor_b32_e32 v112, 0x80000000, v106
	v_mov_b32_e32 v111, v105
	v_cndmask_b32_e32 v114, v108, v114, vcc_lo
	v_cndmask_b32_e64 v112, v106, v112, s0
	v_add_f64 v[111:112], v[111:112], v[113:114]
	v_cmp_lt_f64_e32 vcc_lo, v[109:110], v[111:112]
	v_cndmask_b32_e32 v91, v91, v106, vcc_lo
	v_cndmask_b32_e32 v90, v90, v105, vcc_lo
	;; [unrolled: 1-line block ×4, first 2 shown]
	v_cndmask_b32_e64 v98, v98, s1, vcc_lo
	s_add_i32 s1, s1, 1
	s_cmp_lg_u32 s18, s1
	s_cbranch_scc1 .LBB42_169
.LBB42_170:
	s_inst_prefetch 0x2
	s_waitcnt lgkmcnt(0)
	v_cmp_eq_f64_e32 vcc_lo, 0, v[90:91]
	v_cmp_eq_f64_e64 s0, 0, v[92:93]
	s_and_b32 s0, vcc_lo, s0
	s_and_saveexec_b32 s1, s0
	s_xor_b32 s0, exec_lo, s1
; %bb.171:
	v_cmp_ne_u32_e32 vcc_lo, 0, v103
	v_cndmask_b32_e32 v103, 9, v103, vcc_lo
; %bb.172:
	s_andn2_saveexec_b32 s0, s0
	s_cbranch_execz .LBB42_178
; %bb.173:
	v_cmp_ngt_f64_e64 s1, |v[90:91]|, |v[92:93]|
	s_and_saveexec_b32 s2, s1
	s_xor_b32 s1, exec_lo, s2
	s_cbranch_execz .LBB42_175
; %bb.174:
	v_div_scale_f64 v[105:106], null, v[92:93], v[92:93], v[90:91]
	v_div_scale_f64 v[111:112], vcc_lo, v[90:91], v[92:93], v[90:91]
	v_rcp_f64_e32 v[107:108], v[105:106]
	v_fma_f64 v[109:110], -v[105:106], v[107:108], 1.0
	v_fma_f64 v[107:108], v[107:108], v[109:110], v[107:108]
	v_fma_f64 v[109:110], -v[105:106], v[107:108], 1.0
	v_fma_f64 v[107:108], v[107:108], v[109:110], v[107:108]
	v_mul_f64 v[109:110], v[111:112], v[107:108]
	v_fma_f64 v[105:106], -v[105:106], v[109:110], v[111:112]
	v_div_fmas_f64 v[105:106], v[105:106], v[107:108], v[109:110]
	v_div_fixup_f64 v[105:106], v[105:106], v[92:93], v[90:91]
	v_fma_f64 v[90:91], v[90:91], v[105:106], v[92:93]
	v_div_scale_f64 v[92:93], null, v[90:91], v[90:91], 1.0
	v_rcp_f64_e32 v[107:108], v[92:93]
	v_fma_f64 v[109:110], -v[92:93], v[107:108], 1.0
	v_fma_f64 v[107:108], v[107:108], v[109:110], v[107:108]
	v_fma_f64 v[109:110], -v[92:93], v[107:108], 1.0
	v_fma_f64 v[107:108], v[107:108], v[109:110], v[107:108]
	v_div_scale_f64 v[109:110], vcc_lo, 1.0, v[90:91], 1.0
	v_mul_f64 v[111:112], v[109:110], v[107:108]
	v_fma_f64 v[92:93], -v[92:93], v[111:112], v[109:110]
	v_div_fmas_f64 v[92:93], v[92:93], v[107:108], v[111:112]
	v_div_fixup_f64 v[92:93], v[92:93], v[90:91], 1.0
	v_mul_f64 v[90:91], v[105:106], v[92:93]
	v_xor_b32_e32 v93, 0x80000000, v93
.LBB42_175:
	s_andn2_saveexec_b32 s1, s1
	s_cbranch_execz .LBB42_177
; %bb.176:
	v_div_scale_f64 v[105:106], null, v[90:91], v[90:91], v[92:93]
	v_div_scale_f64 v[111:112], vcc_lo, v[92:93], v[90:91], v[92:93]
	v_rcp_f64_e32 v[107:108], v[105:106]
	v_fma_f64 v[109:110], -v[105:106], v[107:108], 1.0
	v_fma_f64 v[107:108], v[107:108], v[109:110], v[107:108]
	v_fma_f64 v[109:110], -v[105:106], v[107:108], 1.0
	v_fma_f64 v[107:108], v[107:108], v[109:110], v[107:108]
	v_mul_f64 v[109:110], v[111:112], v[107:108]
	v_fma_f64 v[105:106], -v[105:106], v[109:110], v[111:112]
	v_div_fmas_f64 v[105:106], v[105:106], v[107:108], v[109:110]
	v_div_fixup_f64 v[105:106], v[105:106], v[90:91], v[92:93]
	v_fma_f64 v[90:91], v[92:93], v[105:106], v[90:91]
	v_div_scale_f64 v[92:93], null, v[90:91], v[90:91], 1.0
	v_rcp_f64_e32 v[107:108], v[92:93]
	v_fma_f64 v[109:110], -v[92:93], v[107:108], 1.0
	v_fma_f64 v[107:108], v[107:108], v[109:110], v[107:108]
	v_fma_f64 v[109:110], -v[92:93], v[107:108], 1.0
	v_fma_f64 v[107:108], v[107:108], v[109:110], v[107:108]
	v_div_scale_f64 v[109:110], vcc_lo, 1.0, v[90:91], 1.0
	v_mul_f64 v[111:112], v[109:110], v[107:108]
	v_fma_f64 v[92:93], -v[92:93], v[111:112], v[109:110]
	v_div_fmas_f64 v[92:93], v[92:93], v[107:108], v[111:112]
	v_div_fixup_f64 v[90:91], v[92:93], v[90:91], 1.0
	v_mul_f64 v[92:93], v[105:106], -v[90:91]
.LBB42_177:
	s_or_b32 exec_lo, exec_lo, s1
.LBB42_178:
	s_or_b32 exec_lo, exec_lo, s0
	s_mov_b32 s0, exec_lo
	v_cmpx_ne_u32_e64 v104, v98
	s_xor_b32 s0, exec_lo, s0
	s_cbranch_execz .LBB42_184
; %bb.179:
	s_mov_b32 s1, exec_lo
	v_cmpx_eq_u32_e32 8, v104
	s_cbranch_execz .LBB42_183
; %bb.180:
	v_cmp_ne_u32_e32 vcc_lo, 8, v98
	s_xor_b32 s2, s16, -1
	s_and_b32 s3, s2, vcc_lo
	s_and_saveexec_b32 s2, s3
	s_cbranch_execz .LBB42_182
; %bb.181:
	v_ashrrev_i32_e32 v99, 31, v98
	v_lshlrev_b64 v[104:105], 2, v[98:99]
	v_add_co_u32 v104, vcc_lo, v96, v104
	v_add_co_ci_u32_e64 v105, null, v97, v105, vcc_lo
	s_clause 0x1
	global_load_dword v0, v[104:105], off
	global_load_dword v99, v[96:97], off offset:32
	s_waitcnt vmcnt(1)
	global_store_dword v[96:97], v0, off offset:32
	s_waitcnt vmcnt(0)
	global_store_dword v[104:105], v99, off
.LBB42_182:
	s_or_b32 exec_lo, exec_lo, s2
	v_mov_b32_e32 v104, v98
	v_mov_b32_e32 v0, v98
.LBB42_183:
	s_or_b32 exec_lo, exec_lo, s1
.LBB42_184:
	s_andn2_saveexec_b32 s0, s0
	s_cbranch_execz .LBB42_186
; %bb.185:
	v_mov_b32_e32 v104, 8
	ds_write2_b64 v1, v[50:51], v[52:53] offset0:18 offset1:19
	ds_write2_b64 v1, v[46:47], v[48:49] offset0:20 offset1:21
	;; [unrolled: 1-line block ×13, first 2 shown]
.LBB42_186:
	s_or_b32 exec_lo, exec_lo, s0
	s_mov_b32 s0, exec_lo
	s_waitcnt lgkmcnt(0)
	s_waitcnt_vscnt null, 0x0
	s_barrier
	buffer_gl0_inv
	v_cmpx_lt_i32_e32 8, v104
	s_cbranch_execz .LBB42_188
; %bb.187:
	v_mul_f64 v[98:99], v[90:91], v[56:57]
	v_mul_f64 v[56:57], v[92:93], v[56:57]
	v_fma_f64 v[98:99], v[92:93], v[54:55], v[98:99]
	v_fma_f64 v[54:55], v[90:91], v[54:55], -v[56:57]
	ds_read2_b64 v[90:93], v1 offset0:18 offset1:19
	s_waitcnt lgkmcnt(0)
	v_mul_f64 v[56:57], v[92:93], v[98:99]
	v_fma_f64 v[56:57], v[90:91], v[54:55], -v[56:57]
	v_mul_f64 v[90:91], v[90:91], v[98:99]
	v_add_f64 v[50:51], v[50:51], -v[56:57]
	v_fma_f64 v[90:91], v[92:93], v[54:55], v[90:91]
	v_add_f64 v[52:53], v[52:53], -v[90:91]
	ds_read2_b64 v[90:93], v1 offset0:20 offset1:21
	s_waitcnt lgkmcnt(0)
	v_mul_f64 v[56:57], v[92:93], v[98:99]
	v_fma_f64 v[56:57], v[90:91], v[54:55], -v[56:57]
	v_mul_f64 v[90:91], v[90:91], v[98:99]
	v_add_f64 v[46:47], v[46:47], -v[56:57]
	v_fma_f64 v[90:91], v[92:93], v[54:55], v[90:91]
	v_add_f64 v[48:49], v[48:49], -v[90:91]
	;; [unrolled: 8-line block ×12, first 2 shown]
	ds_read2_b64 v[90:93], v1 offset0:42 offset1:43
	s_waitcnt lgkmcnt(0)
	v_mul_f64 v[56:57], v[92:93], v[98:99]
	v_fma_f64 v[56:57], v[90:91], v[54:55], -v[56:57]
	v_mul_f64 v[90:91], v[90:91], v[98:99]
	v_add_f64 v[2:3], v[2:3], -v[56:57]
	v_fma_f64 v[90:91], v[92:93], v[54:55], v[90:91]
	v_mov_b32_e32 v56, v98
	v_mov_b32_e32 v57, v99
	v_add_f64 v[4:5], v[4:5], -v[90:91]
.LBB42_188:
	s_or_b32 exec_lo, exec_lo, s0
	v_lshl_add_u32 v90, v104, 4, v1
	s_barrier
	buffer_gl0_inv
	v_mov_b32_e32 v98, 9
	ds_write2_b64 v90, v[50:51], v[52:53] offset1:1
	s_waitcnt lgkmcnt(0)
	s_barrier
	buffer_gl0_inv
	ds_read2_b64 v[90:93], v1 offset0:18 offset1:19
	s_cmp_lt_i32 s18, 11
	s_cbranch_scc1 .LBB42_191
; %bb.189:
	v_add3_u32 v99, v100, 0, 0xa0
	v_mov_b32_e32 v98, 9
	s_mov_b32 s1, 10
	s_inst_prefetch 0x1
	.p2align	6
.LBB42_190:                             ; =>This Inner Loop Header: Depth=1
	s_waitcnt lgkmcnt(0)
	v_cmp_gt_f64_e32 vcc_lo, 0, v[92:93]
	v_cmp_gt_f64_e64 s0, 0, v[90:91]
	ds_read2_b64 v[105:108], v99 offset1:1
	v_xor_b32_e32 v110, 0x80000000, v91
	v_xor_b32_e32 v112, 0x80000000, v93
	v_mov_b32_e32 v109, v90
	v_mov_b32_e32 v111, v92
	v_add_nc_u32_e32 v99, 16, v99
	s_waitcnt lgkmcnt(0)
	v_xor_b32_e32 v114, 0x80000000, v108
	v_cndmask_b32_e64 v110, v91, v110, s0
	v_cndmask_b32_e32 v112, v93, v112, vcc_lo
	v_cmp_gt_f64_e32 vcc_lo, 0, v[107:108]
	v_cmp_gt_f64_e64 s0, 0, v[105:106]
	v_mov_b32_e32 v113, v107
	v_add_f64 v[109:110], v[109:110], v[111:112]
	v_xor_b32_e32 v112, 0x80000000, v106
	v_mov_b32_e32 v111, v105
	v_cndmask_b32_e32 v114, v108, v114, vcc_lo
	v_cndmask_b32_e64 v112, v106, v112, s0
	v_add_f64 v[111:112], v[111:112], v[113:114]
	v_cmp_lt_f64_e32 vcc_lo, v[109:110], v[111:112]
	v_cndmask_b32_e32 v91, v91, v106, vcc_lo
	v_cndmask_b32_e32 v90, v90, v105, vcc_lo
	v_cndmask_b32_e32 v93, v93, v108, vcc_lo
	v_cndmask_b32_e32 v92, v92, v107, vcc_lo
	v_cndmask_b32_e64 v98, v98, s1, vcc_lo
	s_add_i32 s1, s1, 1
	s_cmp_lg_u32 s18, s1
	s_cbranch_scc1 .LBB42_190
.LBB42_191:
	s_inst_prefetch 0x2
	s_waitcnt lgkmcnt(0)
	v_cmp_eq_f64_e32 vcc_lo, 0, v[90:91]
	v_cmp_eq_f64_e64 s0, 0, v[92:93]
	s_and_b32 s0, vcc_lo, s0
	s_and_saveexec_b32 s1, s0
	s_xor_b32 s0, exec_lo, s1
; %bb.192:
	v_cmp_ne_u32_e32 vcc_lo, 0, v103
	v_cndmask_b32_e32 v103, 10, v103, vcc_lo
; %bb.193:
	s_andn2_saveexec_b32 s0, s0
	s_cbranch_execz .LBB42_199
; %bb.194:
	v_cmp_ngt_f64_e64 s1, |v[90:91]|, |v[92:93]|
	s_and_saveexec_b32 s2, s1
	s_xor_b32 s1, exec_lo, s2
	s_cbranch_execz .LBB42_196
; %bb.195:
	v_div_scale_f64 v[105:106], null, v[92:93], v[92:93], v[90:91]
	v_div_scale_f64 v[111:112], vcc_lo, v[90:91], v[92:93], v[90:91]
	v_rcp_f64_e32 v[107:108], v[105:106]
	v_fma_f64 v[109:110], -v[105:106], v[107:108], 1.0
	v_fma_f64 v[107:108], v[107:108], v[109:110], v[107:108]
	v_fma_f64 v[109:110], -v[105:106], v[107:108], 1.0
	v_fma_f64 v[107:108], v[107:108], v[109:110], v[107:108]
	v_mul_f64 v[109:110], v[111:112], v[107:108]
	v_fma_f64 v[105:106], -v[105:106], v[109:110], v[111:112]
	v_div_fmas_f64 v[105:106], v[105:106], v[107:108], v[109:110]
	v_div_fixup_f64 v[105:106], v[105:106], v[92:93], v[90:91]
	v_fma_f64 v[90:91], v[90:91], v[105:106], v[92:93]
	v_div_scale_f64 v[92:93], null, v[90:91], v[90:91], 1.0
	v_rcp_f64_e32 v[107:108], v[92:93]
	v_fma_f64 v[109:110], -v[92:93], v[107:108], 1.0
	v_fma_f64 v[107:108], v[107:108], v[109:110], v[107:108]
	v_fma_f64 v[109:110], -v[92:93], v[107:108], 1.0
	v_fma_f64 v[107:108], v[107:108], v[109:110], v[107:108]
	v_div_scale_f64 v[109:110], vcc_lo, 1.0, v[90:91], 1.0
	v_mul_f64 v[111:112], v[109:110], v[107:108]
	v_fma_f64 v[92:93], -v[92:93], v[111:112], v[109:110]
	v_div_fmas_f64 v[92:93], v[92:93], v[107:108], v[111:112]
	v_div_fixup_f64 v[92:93], v[92:93], v[90:91], 1.0
	v_mul_f64 v[90:91], v[105:106], v[92:93]
	v_xor_b32_e32 v93, 0x80000000, v93
.LBB42_196:
	s_andn2_saveexec_b32 s1, s1
	s_cbranch_execz .LBB42_198
; %bb.197:
	v_div_scale_f64 v[105:106], null, v[90:91], v[90:91], v[92:93]
	v_div_scale_f64 v[111:112], vcc_lo, v[92:93], v[90:91], v[92:93]
	v_rcp_f64_e32 v[107:108], v[105:106]
	v_fma_f64 v[109:110], -v[105:106], v[107:108], 1.0
	v_fma_f64 v[107:108], v[107:108], v[109:110], v[107:108]
	v_fma_f64 v[109:110], -v[105:106], v[107:108], 1.0
	v_fma_f64 v[107:108], v[107:108], v[109:110], v[107:108]
	v_mul_f64 v[109:110], v[111:112], v[107:108]
	v_fma_f64 v[105:106], -v[105:106], v[109:110], v[111:112]
	v_div_fmas_f64 v[105:106], v[105:106], v[107:108], v[109:110]
	v_div_fixup_f64 v[105:106], v[105:106], v[90:91], v[92:93]
	v_fma_f64 v[90:91], v[92:93], v[105:106], v[90:91]
	v_div_scale_f64 v[92:93], null, v[90:91], v[90:91], 1.0
	v_rcp_f64_e32 v[107:108], v[92:93]
	v_fma_f64 v[109:110], -v[92:93], v[107:108], 1.0
	v_fma_f64 v[107:108], v[107:108], v[109:110], v[107:108]
	v_fma_f64 v[109:110], -v[92:93], v[107:108], 1.0
	v_fma_f64 v[107:108], v[107:108], v[109:110], v[107:108]
	v_div_scale_f64 v[109:110], vcc_lo, 1.0, v[90:91], 1.0
	v_mul_f64 v[111:112], v[109:110], v[107:108]
	v_fma_f64 v[92:93], -v[92:93], v[111:112], v[109:110]
	v_div_fmas_f64 v[92:93], v[92:93], v[107:108], v[111:112]
	v_div_fixup_f64 v[90:91], v[92:93], v[90:91], 1.0
	v_mul_f64 v[92:93], v[105:106], -v[90:91]
.LBB42_198:
	s_or_b32 exec_lo, exec_lo, s1
.LBB42_199:
	s_or_b32 exec_lo, exec_lo, s0
	s_mov_b32 s0, exec_lo
	v_cmpx_ne_u32_e64 v104, v98
	s_xor_b32 s0, exec_lo, s0
	s_cbranch_execz .LBB42_205
; %bb.200:
	s_mov_b32 s1, exec_lo
	v_cmpx_eq_u32_e32 9, v104
	s_cbranch_execz .LBB42_204
; %bb.201:
	v_cmp_ne_u32_e32 vcc_lo, 9, v98
	s_xor_b32 s2, s16, -1
	s_and_b32 s3, s2, vcc_lo
	s_and_saveexec_b32 s2, s3
	s_cbranch_execz .LBB42_203
; %bb.202:
	v_ashrrev_i32_e32 v99, 31, v98
	v_lshlrev_b64 v[104:105], 2, v[98:99]
	v_add_co_u32 v104, vcc_lo, v96, v104
	v_add_co_ci_u32_e64 v105, null, v97, v105, vcc_lo
	s_clause 0x1
	global_load_dword v0, v[104:105], off
	global_load_dword v99, v[96:97], off offset:36
	s_waitcnt vmcnt(1)
	global_store_dword v[96:97], v0, off offset:36
	s_waitcnt vmcnt(0)
	global_store_dword v[104:105], v99, off
.LBB42_203:
	s_or_b32 exec_lo, exec_lo, s2
	v_mov_b32_e32 v104, v98
	v_mov_b32_e32 v0, v98
.LBB42_204:
	s_or_b32 exec_lo, exec_lo, s1
.LBB42_205:
	s_andn2_saveexec_b32 s0, s0
	s_cbranch_execz .LBB42_207
; %bb.206:
	v_mov_b32_e32 v104, 9
	ds_write2_b64 v1, v[46:47], v[48:49] offset0:20 offset1:21
	ds_write2_b64 v1, v[42:43], v[44:45] offset0:22 offset1:23
	;; [unrolled: 1-line block ×12, first 2 shown]
.LBB42_207:
	s_or_b32 exec_lo, exec_lo, s0
	s_mov_b32 s0, exec_lo
	s_waitcnt lgkmcnt(0)
	s_waitcnt_vscnt null, 0x0
	s_barrier
	buffer_gl0_inv
	v_cmpx_lt_i32_e32 9, v104
	s_cbranch_execz .LBB42_209
; %bb.208:
	v_mul_f64 v[98:99], v[90:91], v[52:53]
	v_mul_f64 v[52:53], v[92:93], v[52:53]
	v_fma_f64 v[98:99], v[92:93], v[50:51], v[98:99]
	v_fma_f64 v[50:51], v[90:91], v[50:51], -v[52:53]
	ds_read2_b64 v[90:93], v1 offset0:20 offset1:21
	s_waitcnt lgkmcnt(0)
	v_mul_f64 v[52:53], v[92:93], v[98:99]
	v_fma_f64 v[52:53], v[90:91], v[50:51], -v[52:53]
	v_mul_f64 v[90:91], v[90:91], v[98:99]
	v_add_f64 v[46:47], v[46:47], -v[52:53]
	v_fma_f64 v[90:91], v[92:93], v[50:51], v[90:91]
	v_add_f64 v[48:49], v[48:49], -v[90:91]
	ds_read2_b64 v[90:93], v1 offset0:22 offset1:23
	s_waitcnt lgkmcnt(0)
	v_mul_f64 v[52:53], v[92:93], v[98:99]
	v_fma_f64 v[52:53], v[90:91], v[50:51], -v[52:53]
	v_mul_f64 v[90:91], v[90:91], v[98:99]
	v_add_f64 v[42:43], v[42:43], -v[52:53]
	v_fma_f64 v[90:91], v[92:93], v[50:51], v[90:91]
	v_add_f64 v[44:45], v[44:45], -v[90:91]
	;; [unrolled: 8-line block ×11, first 2 shown]
	ds_read2_b64 v[90:93], v1 offset0:42 offset1:43
	s_waitcnt lgkmcnt(0)
	v_mul_f64 v[52:53], v[92:93], v[98:99]
	v_fma_f64 v[52:53], v[90:91], v[50:51], -v[52:53]
	v_mul_f64 v[90:91], v[90:91], v[98:99]
	v_add_f64 v[2:3], v[2:3], -v[52:53]
	v_fma_f64 v[90:91], v[92:93], v[50:51], v[90:91]
	v_mov_b32_e32 v52, v98
	v_mov_b32_e32 v53, v99
	v_add_f64 v[4:5], v[4:5], -v[90:91]
.LBB42_209:
	s_or_b32 exec_lo, exec_lo, s0
	v_lshl_add_u32 v90, v104, 4, v1
	s_barrier
	buffer_gl0_inv
	v_mov_b32_e32 v98, 10
	ds_write2_b64 v90, v[46:47], v[48:49] offset1:1
	s_waitcnt lgkmcnt(0)
	s_barrier
	buffer_gl0_inv
	ds_read2_b64 v[90:93], v1 offset0:20 offset1:21
	s_cmp_lt_i32 s18, 12
	s_cbranch_scc1 .LBB42_212
; %bb.210:
	v_add3_u32 v99, v100, 0, 0xb0
	v_mov_b32_e32 v98, 10
	s_mov_b32 s1, 11
	s_inst_prefetch 0x1
	.p2align	6
.LBB42_211:                             ; =>This Inner Loop Header: Depth=1
	s_waitcnt lgkmcnt(0)
	v_cmp_gt_f64_e32 vcc_lo, 0, v[92:93]
	v_cmp_gt_f64_e64 s0, 0, v[90:91]
	ds_read2_b64 v[105:108], v99 offset1:1
	v_xor_b32_e32 v110, 0x80000000, v91
	v_xor_b32_e32 v112, 0x80000000, v93
	v_mov_b32_e32 v109, v90
	v_mov_b32_e32 v111, v92
	v_add_nc_u32_e32 v99, 16, v99
	s_waitcnt lgkmcnt(0)
	v_xor_b32_e32 v114, 0x80000000, v108
	v_cndmask_b32_e64 v110, v91, v110, s0
	v_cndmask_b32_e32 v112, v93, v112, vcc_lo
	v_cmp_gt_f64_e32 vcc_lo, 0, v[107:108]
	v_cmp_gt_f64_e64 s0, 0, v[105:106]
	v_mov_b32_e32 v113, v107
	v_add_f64 v[109:110], v[109:110], v[111:112]
	v_xor_b32_e32 v112, 0x80000000, v106
	v_mov_b32_e32 v111, v105
	v_cndmask_b32_e32 v114, v108, v114, vcc_lo
	v_cndmask_b32_e64 v112, v106, v112, s0
	v_add_f64 v[111:112], v[111:112], v[113:114]
	v_cmp_lt_f64_e32 vcc_lo, v[109:110], v[111:112]
	v_cndmask_b32_e32 v91, v91, v106, vcc_lo
	v_cndmask_b32_e32 v90, v90, v105, vcc_lo
	;; [unrolled: 1-line block ×4, first 2 shown]
	v_cndmask_b32_e64 v98, v98, s1, vcc_lo
	s_add_i32 s1, s1, 1
	s_cmp_lg_u32 s18, s1
	s_cbranch_scc1 .LBB42_211
.LBB42_212:
	s_inst_prefetch 0x2
	s_waitcnt lgkmcnt(0)
	v_cmp_eq_f64_e32 vcc_lo, 0, v[90:91]
	v_cmp_eq_f64_e64 s0, 0, v[92:93]
	s_and_b32 s0, vcc_lo, s0
	s_and_saveexec_b32 s1, s0
	s_xor_b32 s0, exec_lo, s1
; %bb.213:
	v_cmp_ne_u32_e32 vcc_lo, 0, v103
	v_cndmask_b32_e32 v103, 11, v103, vcc_lo
; %bb.214:
	s_andn2_saveexec_b32 s0, s0
	s_cbranch_execz .LBB42_220
; %bb.215:
	v_cmp_ngt_f64_e64 s1, |v[90:91]|, |v[92:93]|
	s_and_saveexec_b32 s2, s1
	s_xor_b32 s1, exec_lo, s2
	s_cbranch_execz .LBB42_217
; %bb.216:
	v_div_scale_f64 v[105:106], null, v[92:93], v[92:93], v[90:91]
	v_div_scale_f64 v[111:112], vcc_lo, v[90:91], v[92:93], v[90:91]
	v_rcp_f64_e32 v[107:108], v[105:106]
	v_fma_f64 v[109:110], -v[105:106], v[107:108], 1.0
	v_fma_f64 v[107:108], v[107:108], v[109:110], v[107:108]
	v_fma_f64 v[109:110], -v[105:106], v[107:108], 1.0
	v_fma_f64 v[107:108], v[107:108], v[109:110], v[107:108]
	v_mul_f64 v[109:110], v[111:112], v[107:108]
	v_fma_f64 v[105:106], -v[105:106], v[109:110], v[111:112]
	v_div_fmas_f64 v[105:106], v[105:106], v[107:108], v[109:110]
	v_div_fixup_f64 v[105:106], v[105:106], v[92:93], v[90:91]
	v_fma_f64 v[90:91], v[90:91], v[105:106], v[92:93]
	v_div_scale_f64 v[92:93], null, v[90:91], v[90:91], 1.0
	v_rcp_f64_e32 v[107:108], v[92:93]
	v_fma_f64 v[109:110], -v[92:93], v[107:108], 1.0
	v_fma_f64 v[107:108], v[107:108], v[109:110], v[107:108]
	v_fma_f64 v[109:110], -v[92:93], v[107:108], 1.0
	v_fma_f64 v[107:108], v[107:108], v[109:110], v[107:108]
	v_div_scale_f64 v[109:110], vcc_lo, 1.0, v[90:91], 1.0
	v_mul_f64 v[111:112], v[109:110], v[107:108]
	v_fma_f64 v[92:93], -v[92:93], v[111:112], v[109:110]
	v_div_fmas_f64 v[92:93], v[92:93], v[107:108], v[111:112]
	v_div_fixup_f64 v[92:93], v[92:93], v[90:91], 1.0
	v_mul_f64 v[90:91], v[105:106], v[92:93]
	v_xor_b32_e32 v93, 0x80000000, v93
.LBB42_217:
	s_andn2_saveexec_b32 s1, s1
	s_cbranch_execz .LBB42_219
; %bb.218:
	v_div_scale_f64 v[105:106], null, v[90:91], v[90:91], v[92:93]
	v_div_scale_f64 v[111:112], vcc_lo, v[92:93], v[90:91], v[92:93]
	v_rcp_f64_e32 v[107:108], v[105:106]
	v_fma_f64 v[109:110], -v[105:106], v[107:108], 1.0
	v_fma_f64 v[107:108], v[107:108], v[109:110], v[107:108]
	v_fma_f64 v[109:110], -v[105:106], v[107:108], 1.0
	v_fma_f64 v[107:108], v[107:108], v[109:110], v[107:108]
	v_mul_f64 v[109:110], v[111:112], v[107:108]
	v_fma_f64 v[105:106], -v[105:106], v[109:110], v[111:112]
	v_div_fmas_f64 v[105:106], v[105:106], v[107:108], v[109:110]
	v_div_fixup_f64 v[105:106], v[105:106], v[90:91], v[92:93]
	v_fma_f64 v[90:91], v[92:93], v[105:106], v[90:91]
	v_div_scale_f64 v[92:93], null, v[90:91], v[90:91], 1.0
	v_rcp_f64_e32 v[107:108], v[92:93]
	v_fma_f64 v[109:110], -v[92:93], v[107:108], 1.0
	v_fma_f64 v[107:108], v[107:108], v[109:110], v[107:108]
	v_fma_f64 v[109:110], -v[92:93], v[107:108], 1.0
	v_fma_f64 v[107:108], v[107:108], v[109:110], v[107:108]
	v_div_scale_f64 v[109:110], vcc_lo, 1.0, v[90:91], 1.0
	v_mul_f64 v[111:112], v[109:110], v[107:108]
	v_fma_f64 v[92:93], -v[92:93], v[111:112], v[109:110]
	v_div_fmas_f64 v[92:93], v[92:93], v[107:108], v[111:112]
	v_div_fixup_f64 v[90:91], v[92:93], v[90:91], 1.0
	v_mul_f64 v[92:93], v[105:106], -v[90:91]
.LBB42_219:
	s_or_b32 exec_lo, exec_lo, s1
.LBB42_220:
	s_or_b32 exec_lo, exec_lo, s0
	s_mov_b32 s0, exec_lo
	v_cmpx_ne_u32_e64 v104, v98
	s_xor_b32 s0, exec_lo, s0
	s_cbranch_execz .LBB42_226
; %bb.221:
	s_mov_b32 s1, exec_lo
	v_cmpx_eq_u32_e32 10, v104
	s_cbranch_execz .LBB42_225
; %bb.222:
	v_cmp_ne_u32_e32 vcc_lo, 10, v98
	s_xor_b32 s2, s16, -1
	s_and_b32 s3, s2, vcc_lo
	s_and_saveexec_b32 s2, s3
	s_cbranch_execz .LBB42_224
; %bb.223:
	v_ashrrev_i32_e32 v99, 31, v98
	v_lshlrev_b64 v[104:105], 2, v[98:99]
	v_add_co_u32 v104, vcc_lo, v96, v104
	v_add_co_ci_u32_e64 v105, null, v97, v105, vcc_lo
	s_clause 0x1
	global_load_dword v0, v[104:105], off
	global_load_dword v99, v[96:97], off offset:40
	s_waitcnt vmcnt(1)
	global_store_dword v[96:97], v0, off offset:40
	s_waitcnt vmcnt(0)
	global_store_dword v[104:105], v99, off
.LBB42_224:
	s_or_b32 exec_lo, exec_lo, s2
	v_mov_b32_e32 v104, v98
	v_mov_b32_e32 v0, v98
.LBB42_225:
	s_or_b32 exec_lo, exec_lo, s1
.LBB42_226:
	s_andn2_saveexec_b32 s0, s0
	s_cbranch_execz .LBB42_228
; %bb.227:
	v_mov_b32_e32 v104, 10
	ds_write2_b64 v1, v[42:43], v[44:45] offset0:22 offset1:23
	ds_write2_b64 v1, v[38:39], v[40:41] offset0:24 offset1:25
	;; [unrolled: 1-line block ×11, first 2 shown]
.LBB42_228:
	s_or_b32 exec_lo, exec_lo, s0
	s_mov_b32 s0, exec_lo
	s_waitcnt lgkmcnt(0)
	s_waitcnt_vscnt null, 0x0
	s_barrier
	buffer_gl0_inv
	v_cmpx_lt_i32_e32 10, v104
	s_cbranch_execz .LBB42_230
; %bb.229:
	v_mul_f64 v[98:99], v[90:91], v[48:49]
	v_mul_f64 v[48:49], v[92:93], v[48:49]
	v_fma_f64 v[98:99], v[92:93], v[46:47], v[98:99]
	v_fma_f64 v[46:47], v[90:91], v[46:47], -v[48:49]
	ds_read2_b64 v[90:93], v1 offset0:22 offset1:23
	s_waitcnt lgkmcnt(0)
	v_mul_f64 v[48:49], v[92:93], v[98:99]
	v_fma_f64 v[48:49], v[90:91], v[46:47], -v[48:49]
	v_mul_f64 v[90:91], v[90:91], v[98:99]
	v_add_f64 v[42:43], v[42:43], -v[48:49]
	v_fma_f64 v[90:91], v[92:93], v[46:47], v[90:91]
	v_add_f64 v[44:45], v[44:45], -v[90:91]
	ds_read2_b64 v[90:93], v1 offset0:24 offset1:25
	s_waitcnt lgkmcnt(0)
	v_mul_f64 v[48:49], v[92:93], v[98:99]
	v_fma_f64 v[48:49], v[90:91], v[46:47], -v[48:49]
	v_mul_f64 v[90:91], v[90:91], v[98:99]
	v_add_f64 v[38:39], v[38:39], -v[48:49]
	v_fma_f64 v[90:91], v[92:93], v[46:47], v[90:91]
	v_add_f64 v[40:41], v[40:41], -v[90:91]
	;; [unrolled: 8-line block ×10, first 2 shown]
	ds_read2_b64 v[90:93], v1 offset0:42 offset1:43
	s_waitcnt lgkmcnt(0)
	v_mul_f64 v[48:49], v[92:93], v[98:99]
	v_fma_f64 v[48:49], v[90:91], v[46:47], -v[48:49]
	v_mul_f64 v[90:91], v[90:91], v[98:99]
	v_add_f64 v[2:3], v[2:3], -v[48:49]
	v_fma_f64 v[90:91], v[92:93], v[46:47], v[90:91]
	v_mov_b32_e32 v48, v98
	v_mov_b32_e32 v49, v99
	v_add_f64 v[4:5], v[4:5], -v[90:91]
.LBB42_230:
	s_or_b32 exec_lo, exec_lo, s0
	v_lshl_add_u32 v90, v104, 4, v1
	s_barrier
	buffer_gl0_inv
	v_mov_b32_e32 v98, 11
	ds_write2_b64 v90, v[42:43], v[44:45] offset1:1
	s_waitcnt lgkmcnt(0)
	s_barrier
	buffer_gl0_inv
	ds_read2_b64 v[90:93], v1 offset0:22 offset1:23
	s_cmp_lt_i32 s18, 13
	s_cbranch_scc1 .LBB42_233
; %bb.231:
	v_add3_u32 v99, v100, 0, 0xc0
	v_mov_b32_e32 v98, 11
	s_mov_b32 s1, 12
	s_inst_prefetch 0x1
	.p2align	6
.LBB42_232:                             ; =>This Inner Loop Header: Depth=1
	s_waitcnt lgkmcnt(0)
	v_cmp_gt_f64_e32 vcc_lo, 0, v[92:93]
	v_cmp_gt_f64_e64 s0, 0, v[90:91]
	ds_read2_b64 v[105:108], v99 offset1:1
	v_xor_b32_e32 v110, 0x80000000, v91
	v_xor_b32_e32 v112, 0x80000000, v93
	v_mov_b32_e32 v109, v90
	v_mov_b32_e32 v111, v92
	v_add_nc_u32_e32 v99, 16, v99
	s_waitcnt lgkmcnt(0)
	v_xor_b32_e32 v114, 0x80000000, v108
	v_cndmask_b32_e64 v110, v91, v110, s0
	v_cndmask_b32_e32 v112, v93, v112, vcc_lo
	v_cmp_gt_f64_e32 vcc_lo, 0, v[107:108]
	v_cmp_gt_f64_e64 s0, 0, v[105:106]
	v_mov_b32_e32 v113, v107
	v_add_f64 v[109:110], v[109:110], v[111:112]
	v_xor_b32_e32 v112, 0x80000000, v106
	v_mov_b32_e32 v111, v105
	v_cndmask_b32_e32 v114, v108, v114, vcc_lo
	v_cndmask_b32_e64 v112, v106, v112, s0
	v_add_f64 v[111:112], v[111:112], v[113:114]
	v_cmp_lt_f64_e32 vcc_lo, v[109:110], v[111:112]
	v_cndmask_b32_e32 v91, v91, v106, vcc_lo
	v_cndmask_b32_e32 v90, v90, v105, vcc_lo
	;; [unrolled: 1-line block ×4, first 2 shown]
	v_cndmask_b32_e64 v98, v98, s1, vcc_lo
	s_add_i32 s1, s1, 1
	s_cmp_lg_u32 s18, s1
	s_cbranch_scc1 .LBB42_232
.LBB42_233:
	s_inst_prefetch 0x2
	s_waitcnt lgkmcnt(0)
	v_cmp_eq_f64_e32 vcc_lo, 0, v[90:91]
	v_cmp_eq_f64_e64 s0, 0, v[92:93]
	s_and_b32 s0, vcc_lo, s0
	s_and_saveexec_b32 s1, s0
	s_xor_b32 s0, exec_lo, s1
; %bb.234:
	v_cmp_ne_u32_e32 vcc_lo, 0, v103
	v_cndmask_b32_e32 v103, 12, v103, vcc_lo
; %bb.235:
	s_andn2_saveexec_b32 s0, s0
	s_cbranch_execz .LBB42_241
; %bb.236:
	v_cmp_ngt_f64_e64 s1, |v[90:91]|, |v[92:93]|
	s_and_saveexec_b32 s2, s1
	s_xor_b32 s1, exec_lo, s2
	s_cbranch_execz .LBB42_238
; %bb.237:
	v_div_scale_f64 v[105:106], null, v[92:93], v[92:93], v[90:91]
	v_div_scale_f64 v[111:112], vcc_lo, v[90:91], v[92:93], v[90:91]
	v_rcp_f64_e32 v[107:108], v[105:106]
	v_fma_f64 v[109:110], -v[105:106], v[107:108], 1.0
	v_fma_f64 v[107:108], v[107:108], v[109:110], v[107:108]
	v_fma_f64 v[109:110], -v[105:106], v[107:108], 1.0
	v_fma_f64 v[107:108], v[107:108], v[109:110], v[107:108]
	v_mul_f64 v[109:110], v[111:112], v[107:108]
	v_fma_f64 v[105:106], -v[105:106], v[109:110], v[111:112]
	v_div_fmas_f64 v[105:106], v[105:106], v[107:108], v[109:110]
	v_div_fixup_f64 v[105:106], v[105:106], v[92:93], v[90:91]
	v_fma_f64 v[90:91], v[90:91], v[105:106], v[92:93]
	v_div_scale_f64 v[92:93], null, v[90:91], v[90:91], 1.0
	v_rcp_f64_e32 v[107:108], v[92:93]
	v_fma_f64 v[109:110], -v[92:93], v[107:108], 1.0
	v_fma_f64 v[107:108], v[107:108], v[109:110], v[107:108]
	v_fma_f64 v[109:110], -v[92:93], v[107:108], 1.0
	v_fma_f64 v[107:108], v[107:108], v[109:110], v[107:108]
	v_div_scale_f64 v[109:110], vcc_lo, 1.0, v[90:91], 1.0
	v_mul_f64 v[111:112], v[109:110], v[107:108]
	v_fma_f64 v[92:93], -v[92:93], v[111:112], v[109:110]
	v_div_fmas_f64 v[92:93], v[92:93], v[107:108], v[111:112]
	v_div_fixup_f64 v[92:93], v[92:93], v[90:91], 1.0
	v_mul_f64 v[90:91], v[105:106], v[92:93]
	v_xor_b32_e32 v93, 0x80000000, v93
.LBB42_238:
	s_andn2_saveexec_b32 s1, s1
	s_cbranch_execz .LBB42_240
; %bb.239:
	v_div_scale_f64 v[105:106], null, v[90:91], v[90:91], v[92:93]
	v_div_scale_f64 v[111:112], vcc_lo, v[92:93], v[90:91], v[92:93]
	v_rcp_f64_e32 v[107:108], v[105:106]
	v_fma_f64 v[109:110], -v[105:106], v[107:108], 1.0
	v_fma_f64 v[107:108], v[107:108], v[109:110], v[107:108]
	v_fma_f64 v[109:110], -v[105:106], v[107:108], 1.0
	v_fma_f64 v[107:108], v[107:108], v[109:110], v[107:108]
	v_mul_f64 v[109:110], v[111:112], v[107:108]
	v_fma_f64 v[105:106], -v[105:106], v[109:110], v[111:112]
	v_div_fmas_f64 v[105:106], v[105:106], v[107:108], v[109:110]
	v_div_fixup_f64 v[105:106], v[105:106], v[90:91], v[92:93]
	v_fma_f64 v[90:91], v[92:93], v[105:106], v[90:91]
	v_div_scale_f64 v[92:93], null, v[90:91], v[90:91], 1.0
	v_rcp_f64_e32 v[107:108], v[92:93]
	v_fma_f64 v[109:110], -v[92:93], v[107:108], 1.0
	v_fma_f64 v[107:108], v[107:108], v[109:110], v[107:108]
	v_fma_f64 v[109:110], -v[92:93], v[107:108], 1.0
	v_fma_f64 v[107:108], v[107:108], v[109:110], v[107:108]
	v_div_scale_f64 v[109:110], vcc_lo, 1.0, v[90:91], 1.0
	v_mul_f64 v[111:112], v[109:110], v[107:108]
	v_fma_f64 v[92:93], -v[92:93], v[111:112], v[109:110]
	v_div_fmas_f64 v[92:93], v[92:93], v[107:108], v[111:112]
	v_div_fixup_f64 v[90:91], v[92:93], v[90:91], 1.0
	v_mul_f64 v[92:93], v[105:106], -v[90:91]
.LBB42_240:
	s_or_b32 exec_lo, exec_lo, s1
.LBB42_241:
	s_or_b32 exec_lo, exec_lo, s0
	s_mov_b32 s0, exec_lo
	v_cmpx_ne_u32_e64 v104, v98
	s_xor_b32 s0, exec_lo, s0
	s_cbranch_execz .LBB42_247
; %bb.242:
	s_mov_b32 s1, exec_lo
	v_cmpx_eq_u32_e32 11, v104
	s_cbranch_execz .LBB42_246
; %bb.243:
	v_cmp_ne_u32_e32 vcc_lo, 11, v98
	s_xor_b32 s2, s16, -1
	s_and_b32 s3, s2, vcc_lo
	s_and_saveexec_b32 s2, s3
	s_cbranch_execz .LBB42_245
; %bb.244:
	v_ashrrev_i32_e32 v99, 31, v98
	v_lshlrev_b64 v[104:105], 2, v[98:99]
	v_add_co_u32 v104, vcc_lo, v96, v104
	v_add_co_ci_u32_e64 v105, null, v97, v105, vcc_lo
	s_clause 0x1
	global_load_dword v0, v[104:105], off
	global_load_dword v99, v[96:97], off offset:44
	s_waitcnt vmcnt(1)
	global_store_dword v[96:97], v0, off offset:44
	s_waitcnt vmcnt(0)
	global_store_dword v[104:105], v99, off
.LBB42_245:
	s_or_b32 exec_lo, exec_lo, s2
	v_mov_b32_e32 v104, v98
	v_mov_b32_e32 v0, v98
.LBB42_246:
	s_or_b32 exec_lo, exec_lo, s1
.LBB42_247:
	s_andn2_saveexec_b32 s0, s0
	s_cbranch_execz .LBB42_249
; %bb.248:
	v_mov_b32_e32 v104, 11
	ds_write2_b64 v1, v[38:39], v[40:41] offset0:24 offset1:25
	ds_write2_b64 v1, v[34:35], v[36:37] offset0:26 offset1:27
	;; [unrolled: 1-line block ×10, first 2 shown]
.LBB42_249:
	s_or_b32 exec_lo, exec_lo, s0
	s_mov_b32 s0, exec_lo
	s_waitcnt lgkmcnt(0)
	s_waitcnt_vscnt null, 0x0
	s_barrier
	buffer_gl0_inv
	v_cmpx_lt_i32_e32 11, v104
	s_cbranch_execz .LBB42_251
; %bb.250:
	v_mul_f64 v[98:99], v[90:91], v[44:45]
	v_mul_f64 v[44:45], v[92:93], v[44:45]
	v_fma_f64 v[98:99], v[92:93], v[42:43], v[98:99]
	v_fma_f64 v[42:43], v[90:91], v[42:43], -v[44:45]
	ds_read2_b64 v[90:93], v1 offset0:24 offset1:25
	s_waitcnt lgkmcnt(0)
	v_mul_f64 v[44:45], v[92:93], v[98:99]
	v_fma_f64 v[44:45], v[90:91], v[42:43], -v[44:45]
	v_mul_f64 v[90:91], v[90:91], v[98:99]
	v_add_f64 v[38:39], v[38:39], -v[44:45]
	v_fma_f64 v[90:91], v[92:93], v[42:43], v[90:91]
	v_add_f64 v[40:41], v[40:41], -v[90:91]
	ds_read2_b64 v[90:93], v1 offset0:26 offset1:27
	s_waitcnt lgkmcnt(0)
	v_mul_f64 v[44:45], v[92:93], v[98:99]
	v_fma_f64 v[44:45], v[90:91], v[42:43], -v[44:45]
	v_mul_f64 v[90:91], v[90:91], v[98:99]
	v_add_f64 v[34:35], v[34:35], -v[44:45]
	v_fma_f64 v[90:91], v[92:93], v[42:43], v[90:91]
	v_add_f64 v[36:37], v[36:37], -v[90:91]
	;; [unrolled: 8-line block ×9, first 2 shown]
	ds_read2_b64 v[90:93], v1 offset0:42 offset1:43
	s_waitcnt lgkmcnt(0)
	v_mul_f64 v[44:45], v[92:93], v[98:99]
	v_fma_f64 v[44:45], v[90:91], v[42:43], -v[44:45]
	v_mul_f64 v[90:91], v[90:91], v[98:99]
	v_add_f64 v[2:3], v[2:3], -v[44:45]
	v_fma_f64 v[90:91], v[92:93], v[42:43], v[90:91]
	v_mov_b32_e32 v44, v98
	v_mov_b32_e32 v45, v99
	v_add_f64 v[4:5], v[4:5], -v[90:91]
.LBB42_251:
	s_or_b32 exec_lo, exec_lo, s0
	v_lshl_add_u32 v90, v104, 4, v1
	s_barrier
	buffer_gl0_inv
	v_mov_b32_e32 v98, 12
	ds_write2_b64 v90, v[38:39], v[40:41] offset1:1
	s_waitcnt lgkmcnt(0)
	s_barrier
	buffer_gl0_inv
	ds_read2_b64 v[90:93], v1 offset0:24 offset1:25
	s_cmp_lt_i32 s18, 14
	s_cbranch_scc1 .LBB42_254
; %bb.252:
	v_add3_u32 v99, v100, 0, 0xd0
	v_mov_b32_e32 v98, 12
	s_mov_b32 s1, 13
	s_inst_prefetch 0x1
	.p2align	6
.LBB42_253:                             ; =>This Inner Loop Header: Depth=1
	s_waitcnt lgkmcnt(0)
	v_cmp_gt_f64_e32 vcc_lo, 0, v[92:93]
	v_cmp_gt_f64_e64 s0, 0, v[90:91]
	ds_read2_b64 v[105:108], v99 offset1:1
	v_xor_b32_e32 v110, 0x80000000, v91
	v_xor_b32_e32 v112, 0x80000000, v93
	v_mov_b32_e32 v109, v90
	v_mov_b32_e32 v111, v92
	v_add_nc_u32_e32 v99, 16, v99
	s_waitcnt lgkmcnt(0)
	v_xor_b32_e32 v114, 0x80000000, v108
	v_cndmask_b32_e64 v110, v91, v110, s0
	v_cndmask_b32_e32 v112, v93, v112, vcc_lo
	v_cmp_gt_f64_e32 vcc_lo, 0, v[107:108]
	v_cmp_gt_f64_e64 s0, 0, v[105:106]
	v_mov_b32_e32 v113, v107
	v_add_f64 v[109:110], v[109:110], v[111:112]
	v_xor_b32_e32 v112, 0x80000000, v106
	v_mov_b32_e32 v111, v105
	v_cndmask_b32_e32 v114, v108, v114, vcc_lo
	v_cndmask_b32_e64 v112, v106, v112, s0
	v_add_f64 v[111:112], v[111:112], v[113:114]
	v_cmp_lt_f64_e32 vcc_lo, v[109:110], v[111:112]
	v_cndmask_b32_e32 v91, v91, v106, vcc_lo
	v_cndmask_b32_e32 v90, v90, v105, vcc_lo
	;; [unrolled: 1-line block ×4, first 2 shown]
	v_cndmask_b32_e64 v98, v98, s1, vcc_lo
	s_add_i32 s1, s1, 1
	s_cmp_lg_u32 s18, s1
	s_cbranch_scc1 .LBB42_253
.LBB42_254:
	s_inst_prefetch 0x2
	s_waitcnt lgkmcnt(0)
	v_cmp_eq_f64_e32 vcc_lo, 0, v[90:91]
	v_cmp_eq_f64_e64 s0, 0, v[92:93]
	s_and_b32 s0, vcc_lo, s0
	s_and_saveexec_b32 s1, s0
	s_xor_b32 s0, exec_lo, s1
; %bb.255:
	v_cmp_ne_u32_e32 vcc_lo, 0, v103
	v_cndmask_b32_e32 v103, 13, v103, vcc_lo
; %bb.256:
	s_andn2_saveexec_b32 s0, s0
	s_cbranch_execz .LBB42_262
; %bb.257:
	v_cmp_ngt_f64_e64 s1, |v[90:91]|, |v[92:93]|
	s_and_saveexec_b32 s2, s1
	s_xor_b32 s1, exec_lo, s2
	s_cbranch_execz .LBB42_259
; %bb.258:
	v_div_scale_f64 v[105:106], null, v[92:93], v[92:93], v[90:91]
	v_div_scale_f64 v[111:112], vcc_lo, v[90:91], v[92:93], v[90:91]
	v_rcp_f64_e32 v[107:108], v[105:106]
	v_fma_f64 v[109:110], -v[105:106], v[107:108], 1.0
	v_fma_f64 v[107:108], v[107:108], v[109:110], v[107:108]
	v_fma_f64 v[109:110], -v[105:106], v[107:108], 1.0
	v_fma_f64 v[107:108], v[107:108], v[109:110], v[107:108]
	v_mul_f64 v[109:110], v[111:112], v[107:108]
	v_fma_f64 v[105:106], -v[105:106], v[109:110], v[111:112]
	v_div_fmas_f64 v[105:106], v[105:106], v[107:108], v[109:110]
	v_div_fixup_f64 v[105:106], v[105:106], v[92:93], v[90:91]
	v_fma_f64 v[90:91], v[90:91], v[105:106], v[92:93]
	v_div_scale_f64 v[92:93], null, v[90:91], v[90:91], 1.0
	v_rcp_f64_e32 v[107:108], v[92:93]
	v_fma_f64 v[109:110], -v[92:93], v[107:108], 1.0
	v_fma_f64 v[107:108], v[107:108], v[109:110], v[107:108]
	v_fma_f64 v[109:110], -v[92:93], v[107:108], 1.0
	v_fma_f64 v[107:108], v[107:108], v[109:110], v[107:108]
	v_div_scale_f64 v[109:110], vcc_lo, 1.0, v[90:91], 1.0
	v_mul_f64 v[111:112], v[109:110], v[107:108]
	v_fma_f64 v[92:93], -v[92:93], v[111:112], v[109:110]
	v_div_fmas_f64 v[92:93], v[92:93], v[107:108], v[111:112]
	v_div_fixup_f64 v[92:93], v[92:93], v[90:91], 1.0
	v_mul_f64 v[90:91], v[105:106], v[92:93]
	v_xor_b32_e32 v93, 0x80000000, v93
.LBB42_259:
	s_andn2_saveexec_b32 s1, s1
	s_cbranch_execz .LBB42_261
; %bb.260:
	v_div_scale_f64 v[105:106], null, v[90:91], v[90:91], v[92:93]
	v_div_scale_f64 v[111:112], vcc_lo, v[92:93], v[90:91], v[92:93]
	v_rcp_f64_e32 v[107:108], v[105:106]
	v_fma_f64 v[109:110], -v[105:106], v[107:108], 1.0
	v_fma_f64 v[107:108], v[107:108], v[109:110], v[107:108]
	v_fma_f64 v[109:110], -v[105:106], v[107:108], 1.0
	v_fma_f64 v[107:108], v[107:108], v[109:110], v[107:108]
	v_mul_f64 v[109:110], v[111:112], v[107:108]
	v_fma_f64 v[105:106], -v[105:106], v[109:110], v[111:112]
	v_div_fmas_f64 v[105:106], v[105:106], v[107:108], v[109:110]
	v_div_fixup_f64 v[105:106], v[105:106], v[90:91], v[92:93]
	v_fma_f64 v[90:91], v[92:93], v[105:106], v[90:91]
	v_div_scale_f64 v[92:93], null, v[90:91], v[90:91], 1.0
	v_rcp_f64_e32 v[107:108], v[92:93]
	v_fma_f64 v[109:110], -v[92:93], v[107:108], 1.0
	v_fma_f64 v[107:108], v[107:108], v[109:110], v[107:108]
	v_fma_f64 v[109:110], -v[92:93], v[107:108], 1.0
	v_fma_f64 v[107:108], v[107:108], v[109:110], v[107:108]
	v_div_scale_f64 v[109:110], vcc_lo, 1.0, v[90:91], 1.0
	v_mul_f64 v[111:112], v[109:110], v[107:108]
	v_fma_f64 v[92:93], -v[92:93], v[111:112], v[109:110]
	v_div_fmas_f64 v[92:93], v[92:93], v[107:108], v[111:112]
	v_div_fixup_f64 v[90:91], v[92:93], v[90:91], 1.0
	v_mul_f64 v[92:93], v[105:106], -v[90:91]
.LBB42_261:
	s_or_b32 exec_lo, exec_lo, s1
.LBB42_262:
	s_or_b32 exec_lo, exec_lo, s0
	s_mov_b32 s0, exec_lo
	v_cmpx_ne_u32_e64 v104, v98
	s_xor_b32 s0, exec_lo, s0
	s_cbranch_execz .LBB42_268
; %bb.263:
	s_mov_b32 s1, exec_lo
	v_cmpx_eq_u32_e32 12, v104
	s_cbranch_execz .LBB42_267
; %bb.264:
	v_cmp_ne_u32_e32 vcc_lo, 12, v98
	s_xor_b32 s2, s16, -1
	s_and_b32 s3, s2, vcc_lo
	s_and_saveexec_b32 s2, s3
	s_cbranch_execz .LBB42_266
; %bb.265:
	v_ashrrev_i32_e32 v99, 31, v98
	v_lshlrev_b64 v[104:105], 2, v[98:99]
	v_add_co_u32 v104, vcc_lo, v96, v104
	v_add_co_ci_u32_e64 v105, null, v97, v105, vcc_lo
	s_clause 0x1
	global_load_dword v0, v[104:105], off
	global_load_dword v99, v[96:97], off offset:48
	s_waitcnt vmcnt(1)
	global_store_dword v[96:97], v0, off offset:48
	s_waitcnt vmcnt(0)
	global_store_dword v[104:105], v99, off
.LBB42_266:
	s_or_b32 exec_lo, exec_lo, s2
	v_mov_b32_e32 v104, v98
	v_mov_b32_e32 v0, v98
.LBB42_267:
	s_or_b32 exec_lo, exec_lo, s1
.LBB42_268:
	s_andn2_saveexec_b32 s0, s0
	s_cbranch_execz .LBB42_270
; %bb.269:
	v_mov_b32_e32 v104, 12
	ds_write2_b64 v1, v[34:35], v[36:37] offset0:26 offset1:27
	ds_write2_b64 v1, v[30:31], v[32:33] offset0:28 offset1:29
	ds_write2_b64 v1, v[26:27], v[28:29] offset0:30 offset1:31
	ds_write2_b64 v1, v[22:23], v[24:25] offset0:32 offset1:33
	ds_write2_b64 v1, v[18:19], v[20:21] offset0:34 offset1:35
	ds_write2_b64 v1, v[14:15], v[16:17] offset0:36 offset1:37
	ds_write2_b64 v1, v[10:11], v[12:13] offset0:38 offset1:39
	ds_write2_b64 v1, v[6:7], v[8:9] offset0:40 offset1:41
	ds_write2_b64 v1, v[2:3], v[4:5] offset0:42 offset1:43
.LBB42_270:
	s_or_b32 exec_lo, exec_lo, s0
	s_mov_b32 s0, exec_lo
	s_waitcnt lgkmcnt(0)
	s_waitcnt_vscnt null, 0x0
	s_barrier
	buffer_gl0_inv
	v_cmpx_lt_i32_e32 12, v104
	s_cbranch_execz .LBB42_272
; %bb.271:
	v_mul_f64 v[98:99], v[90:91], v[40:41]
	v_mul_f64 v[40:41], v[92:93], v[40:41]
	v_fma_f64 v[98:99], v[92:93], v[38:39], v[98:99]
	v_fma_f64 v[38:39], v[90:91], v[38:39], -v[40:41]
	ds_read2_b64 v[90:93], v1 offset0:26 offset1:27
	s_waitcnt lgkmcnt(0)
	v_mul_f64 v[40:41], v[92:93], v[98:99]
	v_fma_f64 v[40:41], v[90:91], v[38:39], -v[40:41]
	v_mul_f64 v[90:91], v[90:91], v[98:99]
	v_add_f64 v[34:35], v[34:35], -v[40:41]
	v_fma_f64 v[90:91], v[92:93], v[38:39], v[90:91]
	v_add_f64 v[36:37], v[36:37], -v[90:91]
	ds_read2_b64 v[90:93], v1 offset0:28 offset1:29
	s_waitcnt lgkmcnt(0)
	v_mul_f64 v[40:41], v[92:93], v[98:99]
	v_fma_f64 v[40:41], v[90:91], v[38:39], -v[40:41]
	v_mul_f64 v[90:91], v[90:91], v[98:99]
	v_add_f64 v[30:31], v[30:31], -v[40:41]
	v_fma_f64 v[90:91], v[92:93], v[38:39], v[90:91]
	v_add_f64 v[32:33], v[32:33], -v[90:91]
	;; [unrolled: 8-line block ×8, first 2 shown]
	ds_read2_b64 v[90:93], v1 offset0:42 offset1:43
	s_waitcnt lgkmcnt(0)
	v_mul_f64 v[40:41], v[92:93], v[98:99]
	v_fma_f64 v[40:41], v[90:91], v[38:39], -v[40:41]
	v_mul_f64 v[90:91], v[90:91], v[98:99]
	v_add_f64 v[2:3], v[2:3], -v[40:41]
	v_fma_f64 v[90:91], v[92:93], v[38:39], v[90:91]
	v_mov_b32_e32 v40, v98
	v_mov_b32_e32 v41, v99
	v_add_f64 v[4:5], v[4:5], -v[90:91]
.LBB42_272:
	s_or_b32 exec_lo, exec_lo, s0
	v_lshl_add_u32 v90, v104, 4, v1
	s_barrier
	buffer_gl0_inv
	v_mov_b32_e32 v98, 13
	ds_write2_b64 v90, v[34:35], v[36:37] offset1:1
	s_waitcnt lgkmcnt(0)
	s_barrier
	buffer_gl0_inv
	ds_read2_b64 v[90:93], v1 offset0:26 offset1:27
	s_cmp_lt_i32 s18, 15
	s_cbranch_scc1 .LBB42_275
; %bb.273:
	v_add3_u32 v99, v100, 0, 0xe0
	v_mov_b32_e32 v98, 13
	s_mov_b32 s1, 14
	s_inst_prefetch 0x1
	.p2align	6
.LBB42_274:                             ; =>This Inner Loop Header: Depth=1
	s_waitcnt lgkmcnt(0)
	v_cmp_gt_f64_e32 vcc_lo, 0, v[92:93]
	v_cmp_gt_f64_e64 s0, 0, v[90:91]
	ds_read2_b64 v[105:108], v99 offset1:1
	v_xor_b32_e32 v110, 0x80000000, v91
	v_xor_b32_e32 v112, 0x80000000, v93
	v_mov_b32_e32 v109, v90
	v_mov_b32_e32 v111, v92
	v_add_nc_u32_e32 v99, 16, v99
	s_waitcnt lgkmcnt(0)
	v_xor_b32_e32 v114, 0x80000000, v108
	v_cndmask_b32_e64 v110, v91, v110, s0
	v_cndmask_b32_e32 v112, v93, v112, vcc_lo
	v_cmp_gt_f64_e32 vcc_lo, 0, v[107:108]
	v_cmp_gt_f64_e64 s0, 0, v[105:106]
	v_mov_b32_e32 v113, v107
	v_add_f64 v[109:110], v[109:110], v[111:112]
	v_xor_b32_e32 v112, 0x80000000, v106
	v_mov_b32_e32 v111, v105
	v_cndmask_b32_e32 v114, v108, v114, vcc_lo
	v_cndmask_b32_e64 v112, v106, v112, s0
	v_add_f64 v[111:112], v[111:112], v[113:114]
	v_cmp_lt_f64_e32 vcc_lo, v[109:110], v[111:112]
	v_cndmask_b32_e32 v91, v91, v106, vcc_lo
	v_cndmask_b32_e32 v90, v90, v105, vcc_lo
	;; [unrolled: 1-line block ×4, first 2 shown]
	v_cndmask_b32_e64 v98, v98, s1, vcc_lo
	s_add_i32 s1, s1, 1
	s_cmp_lg_u32 s18, s1
	s_cbranch_scc1 .LBB42_274
.LBB42_275:
	s_inst_prefetch 0x2
	s_waitcnt lgkmcnt(0)
	v_cmp_eq_f64_e32 vcc_lo, 0, v[90:91]
	v_cmp_eq_f64_e64 s0, 0, v[92:93]
	s_and_b32 s0, vcc_lo, s0
	s_and_saveexec_b32 s1, s0
	s_xor_b32 s0, exec_lo, s1
; %bb.276:
	v_cmp_ne_u32_e32 vcc_lo, 0, v103
	v_cndmask_b32_e32 v103, 14, v103, vcc_lo
; %bb.277:
	s_andn2_saveexec_b32 s0, s0
	s_cbranch_execz .LBB42_283
; %bb.278:
	v_cmp_ngt_f64_e64 s1, |v[90:91]|, |v[92:93]|
	s_and_saveexec_b32 s2, s1
	s_xor_b32 s1, exec_lo, s2
	s_cbranch_execz .LBB42_280
; %bb.279:
	v_div_scale_f64 v[105:106], null, v[92:93], v[92:93], v[90:91]
	v_div_scale_f64 v[111:112], vcc_lo, v[90:91], v[92:93], v[90:91]
	v_rcp_f64_e32 v[107:108], v[105:106]
	v_fma_f64 v[109:110], -v[105:106], v[107:108], 1.0
	v_fma_f64 v[107:108], v[107:108], v[109:110], v[107:108]
	v_fma_f64 v[109:110], -v[105:106], v[107:108], 1.0
	v_fma_f64 v[107:108], v[107:108], v[109:110], v[107:108]
	v_mul_f64 v[109:110], v[111:112], v[107:108]
	v_fma_f64 v[105:106], -v[105:106], v[109:110], v[111:112]
	v_div_fmas_f64 v[105:106], v[105:106], v[107:108], v[109:110]
	v_div_fixup_f64 v[105:106], v[105:106], v[92:93], v[90:91]
	v_fma_f64 v[90:91], v[90:91], v[105:106], v[92:93]
	v_div_scale_f64 v[92:93], null, v[90:91], v[90:91], 1.0
	v_rcp_f64_e32 v[107:108], v[92:93]
	v_fma_f64 v[109:110], -v[92:93], v[107:108], 1.0
	v_fma_f64 v[107:108], v[107:108], v[109:110], v[107:108]
	v_fma_f64 v[109:110], -v[92:93], v[107:108], 1.0
	v_fma_f64 v[107:108], v[107:108], v[109:110], v[107:108]
	v_div_scale_f64 v[109:110], vcc_lo, 1.0, v[90:91], 1.0
	v_mul_f64 v[111:112], v[109:110], v[107:108]
	v_fma_f64 v[92:93], -v[92:93], v[111:112], v[109:110]
	v_div_fmas_f64 v[92:93], v[92:93], v[107:108], v[111:112]
	v_div_fixup_f64 v[92:93], v[92:93], v[90:91], 1.0
	v_mul_f64 v[90:91], v[105:106], v[92:93]
	v_xor_b32_e32 v93, 0x80000000, v93
.LBB42_280:
	s_andn2_saveexec_b32 s1, s1
	s_cbranch_execz .LBB42_282
; %bb.281:
	v_div_scale_f64 v[105:106], null, v[90:91], v[90:91], v[92:93]
	v_div_scale_f64 v[111:112], vcc_lo, v[92:93], v[90:91], v[92:93]
	v_rcp_f64_e32 v[107:108], v[105:106]
	v_fma_f64 v[109:110], -v[105:106], v[107:108], 1.0
	v_fma_f64 v[107:108], v[107:108], v[109:110], v[107:108]
	v_fma_f64 v[109:110], -v[105:106], v[107:108], 1.0
	v_fma_f64 v[107:108], v[107:108], v[109:110], v[107:108]
	v_mul_f64 v[109:110], v[111:112], v[107:108]
	v_fma_f64 v[105:106], -v[105:106], v[109:110], v[111:112]
	v_div_fmas_f64 v[105:106], v[105:106], v[107:108], v[109:110]
	v_div_fixup_f64 v[105:106], v[105:106], v[90:91], v[92:93]
	v_fma_f64 v[90:91], v[92:93], v[105:106], v[90:91]
	v_div_scale_f64 v[92:93], null, v[90:91], v[90:91], 1.0
	v_rcp_f64_e32 v[107:108], v[92:93]
	v_fma_f64 v[109:110], -v[92:93], v[107:108], 1.0
	v_fma_f64 v[107:108], v[107:108], v[109:110], v[107:108]
	v_fma_f64 v[109:110], -v[92:93], v[107:108], 1.0
	v_fma_f64 v[107:108], v[107:108], v[109:110], v[107:108]
	v_div_scale_f64 v[109:110], vcc_lo, 1.0, v[90:91], 1.0
	v_mul_f64 v[111:112], v[109:110], v[107:108]
	v_fma_f64 v[92:93], -v[92:93], v[111:112], v[109:110]
	v_div_fmas_f64 v[92:93], v[92:93], v[107:108], v[111:112]
	v_div_fixup_f64 v[90:91], v[92:93], v[90:91], 1.0
	v_mul_f64 v[92:93], v[105:106], -v[90:91]
.LBB42_282:
	s_or_b32 exec_lo, exec_lo, s1
.LBB42_283:
	s_or_b32 exec_lo, exec_lo, s0
	s_mov_b32 s0, exec_lo
	v_cmpx_ne_u32_e64 v104, v98
	s_xor_b32 s0, exec_lo, s0
	s_cbranch_execz .LBB42_289
; %bb.284:
	s_mov_b32 s1, exec_lo
	v_cmpx_eq_u32_e32 13, v104
	s_cbranch_execz .LBB42_288
; %bb.285:
	v_cmp_ne_u32_e32 vcc_lo, 13, v98
	s_xor_b32 s2, s16, -1
	s_and_b32 s3, s2, vcc_lo
	s_and_saveexec_b32 s2, s3
	s_cbranch_execz .LBB42_287
; %bb.286:
	v_ashrrev_i32_e32 v99, 31, v98
	v_lshlrev_b64 v[104:105], 2, v[98:99]
	v_add_co_u32 v104, vcc_lo, v96, v104
	v_add_co_ci_u32_e64 v105, null, v97, v105, vcc_lo
	s_clause 0x1
	global_load_dword v0, v[104:105], off
	global_load_dword v99, v[96:97], off offset:52
	s_waitcnt vmcnt(1)
	global_store_dword v[96:97], v0, off offset:52
	s_waitcnt vmcnt(0)
	global_store_dword v[104:105], v99, off
.LBB42_287:
	s_or_b32 exec_lo, exec_lo, s2
	v_mov_b32_e32 v104, v98
	v_mov_b32_e32 v0, v98
.LBB42_288:
	s_or_b32 exec_lo, exec_lo, s1
.LBB42_289:
	s_andn2_saveexec_b32 s0, s0
	s_cbranch_execz .LBB42_291
; %bb.290:
	v_mov_b32_e32 v104, 13
	ds_write2_b64 v1, v[30:31], v[32:33] offset0:28 offset1:29
	ds_write2_b64 v1, v[26:27], v[28:29] offset0:30 offset1:31
	;; [unrolled: 1-line block ×8, first 2 shown]
.LBB42_291:
	s_or_b32 exec_lo, exec_lo, s0
	s_mov_b32 s0, exec_lo
	s_waitcnt lgkmcnt(0)
	s_waitcnt_vscnt null, 0x0
	s_barrier
	buffer_gl0_inv
	v_cmpx_lt_i32_e32 13, v104
	s_cbranch_execz .LBB42_293
; %bb.292:
	v_mul_f64 v[98:99], v[90:91], v[36:37]
	v_mul_f64 v[36:37], v[92:93], v[36:37]
	v_fma_f64 v[98:99], v[92:93], v[34:35], v[98:99]
	v_fma_f64 v[34:35], v[90:91], v[34:35], -v[36:37]
	ds_read2_b64 v[90:93], v1 offset0:28 offset1:29
	s_waitcnt lgkmcnt(0)
	v_mul_f64 v[36:37], v[92:93], v[98:99]
	v_fma_f64 v[36:37], v[90:91], v[34:35], -v[36:37]
	v_mul_f64 v[90:91], v[90:91], v[98:99]
	v_add_f64 v[30:31], v[30:31], -v[36:37]
	v_fma_f64 v[90:91], v[92:93], v[34:35], v[90:91]
	v_add_f64 v[32:33], v[32:33], -v[90:91]
	ds_read2_b64 v[90:93], v1 offset0:30 offset1:31
	s_waitcnt lgkmcnt(0)
	v_mul_f64 v[36:37], v[92:93], v[98:99]
	v_fma_f64 v[36:37], v[90:91], v[34:35], -v[36:37]
	v_mul_f64 v[90:91], v[90:91], v[98:99]
	v_add_f64 v[26:27], v[26:27], -v[36:37]
	v_fma_f64 v[90:91], v[92:93], v[34:35], v[90:91]
	v_add_f64 v[28:29], v[28:29], -v[90:91]
	;; [unrolled: 8-line block ×7, first 2 shown]
	ds_read2_b64 v[90:93], v1 offset0:42 offset1:43
	s_waitcnt lgkmcnt(0)
	v_mul_f64 v[36:37], v[92:93], v[98:99]
	v_fma_f64 v[36:37], v[90:91], v[34:35], -v[36:37]
	v_mul_f64 v[90:91], v[90:91], v[98:99]
	v_add_f64 v[2:3], v[2:3], -v[36:37]
	v_fma_f64 v[90:91], v[92:93], v[34:35], v[90:91]
	v_mov_b32_e32 v36, v98
	v_mov_b32_e32 v37, v99
	v_add_f64 v[4:5], v[4:5], -v[90:91]
.LBB42_293:
	s_or_b32 exec_lo, exec_lo, s0
	v_lshl_add_u32 v90, v104, 4, v1
	s_barrier
	buffer_gl0_inv
	v_mov_b32_e32 v98, 14
	ds_write2_b64 v90, v[30:31], v[32:33] offset1:1
	s_waitcnt lgkmcnt(0)
	s_barrier
	buffer_gl0_inv
	ds_read2_b64 v[90:93], v1 offset0:28 offset1:29
	s_cmp_lt_i32 s18, 16
	s_cbranch_scc1 .LBB42_296
; %bb.294:
	v_add3_u32 v99, v100, 0, 0xf0
	v_mov_b32_e32 v98, 14
	s_mov_b32 s1, 15
	s_inst_prefetch 0x1
	.p2align	6
.LBB42_295:                             ; =>This Inner Loop Header: Depth=1
	s_waitcnt lgkmcnt(0)
	v_cmp_gt_f64_e32 vcc_lo, 0, v[92:93]
	v_cmp_gt_f64_e64 s0, 0, v[90:91]
	ds_read2_b64 v[105:108], v99 offset1:1
	v_xor_b32_e32 v110, 0x80000000, v91
	v_xor_b32_e32 v112, 0x80000000, v93
	v_mov_b32_e32 v109, v90
	v_mov_b32_e32 v111, v92
	v_add_nc_u32_e32 v99, 16, v99
	s_waitcnt lgkmcnt(0)
	v_xor_b32_e32 v114, 0x80000000, v108
	v_cndmask_b32_e64 v110, v91, v110, s0
	v_cndmask_b32_e32 v112, v93, v112, vcc_lo
	v_cmp_gt_f64_e32 vcc_lo, 0, v[107:108]
	v_cmp_gt_f64_e64 s0, 0, v[105:106]
	v_mov_b32_e32 v113, v107
	v_add_f64 v[109:110], v[109:110], v[111:112]
	v_xor_b32_e32 v112, 0x80000000, v106
	v_mov_b32_e32 v111, v105
	v_cndmask_b32_e32 v114, v108, v114, vcc_lo
	v_cndmask_b32_e64 v112, v106, v112, s0
	v_add_f64 v[111:112], v[111:112], v[113:114]
	v_cmp_lt_f64_e32 vcc_lo, v[109:110], v[111:112]
	v_cndmask_b32_e32 v91, v91, v106, vcc_lo
	v_cndmask_b32_e32 v90, v90, v105, vcc_lo
	;; [unrolled: 1-line block ×4, first 2 shown]
	v_cndmask_b32_e64 v98, v98, s1, vcc_lo
	s_add_i32 s1, s1, 1
	s_cmp_lg_u32 s18, s1
	s_cbranch_scc1 .LBB42_295
.LBB42_296:
	s_inst_prefetch 0x2
	s_waitcnt lgkmcnt(0)
	v_cmp_eq_f64_e32 vcc_lo, 0, v[90:91]
	v_cmp_eq_f64_e64 s0, 0, v[92:93]
	s_and_b32 s0, vcc_lo, s0
	s_and_saveexec_b32 s1, s0
	s_xor_b32 s0, exec_lo, s1
; %bb.297:
	v_cmp_ne_u32_e32 vcc_lo, 0, v103
	v_cndmask_b32_e32 v103, 15, v103, vcc_lo
; %bb.298:
	s_andn2_saveexec_b32 s0, s0
	s_cbranch_execz .LBB42_304
; %bb.299:
	v_cmp_ngt_f64_e64 s1, |v[90:91]|, |v[92:93]|
	s_and_saveexec_b32 s2, s1
	s_xor_b32 s1, exec_lo, s2
	s_cbranch_execz .LBB42_301
; %bb.300:
	v_div_scale_f64 v[105:106], null, v[92:93], v[92:93], v[90:91]
	v_div_scale_f64 v[111:112], vcc_lo, v[90:91], v[92:93], v[90:91]
	v_rcp_f64_e32 v[107:108], v[105:106]
	v_fma_f64 v[109:110], -v[105:106], v[107:108], 1.0
	v_fma_f64 v[107:108], v[107:108], v[109:110], v[107:108]
	v_fma_f64 v[109:110], -v[105:106], v[107:108], 1.0
	v_fma_f64 v[107:108], v[107:108], v[109:110], v[107:108]
	v_mul_f64 v[109:110], v[111:112], v[107:108]
	v_fma_f64 v[105:106], -v[105:106], v[109:110], v[111:112]
	v_div_fmas_f64 v[105:106], v[105:106], v[107:108], v[109:110]
	v_div_fixup_f64 v[105:106], v[105:106], v[92:93], v[90:91]
	v_fma_f64 v[90:91], v[90:91], v[105:106], v[92:93]
	v_div_scale_f64 v[92:93], null, v[90:91], v[90:91], 1.0
	v_rcp_f64_e32 v[107:108], v[92:93]
	v_fma_f64 v[109:110], -v[92:93], v[107:108], 1.0
	v_fma_f64 v[107:108], v[107:108], v[109:110], v[107:108]
	v_fma_f64 v[109:110], -v[92:93], v[107:108], 1.0
	v_fma_f64 v[107:108], v[107:108], v[109:110], v[107:108]
	v_div_scale_f64 v[109:110], vcc_lo, 1.0, v[90:91], 1.0
	v_mul_f64 v[111:112], v[109:110], v[107:108]
	v_fma_f64 v[92:93], -v[92:93], v[111:112], v[109:110]
	v_div_fmas_f64 v[92:93], v[92:93], v[107:108], v[111:112]
	v_div_fixup_f64 v[92:93], v[92:93], v[90:91], 1.0
	v_mul_f64 v[90:91], v[105:106], v[92:93]
	v_xor_b32_e32 v93, 0x80000000, v93
.LBB42_301:
	s_andn2_saveexec_b32 s1, s1
	s_cbranch_execz .LBB42_303
; %bb.302:
	v_div_scale_f64 v[105:106], null, v[90:91], v[90:91], v[92:93]
	v_div_scale_f64 v[111:112], vcc_lo, v[92:93], v[90:91], v[92:93]
	v_rcp_f64_e32 v[107:108], v[105:106]
	v_fma_f64 v[109:110], -v[105:106], v[107:108], 1.0
	v_fma_f64 v[107:108], v[107:108], v[109:110], v[107:108]
	v_fma_f64 v[109:110], -v[105:106], v[107:108], 1.0
	v_fma_f64 v[107:108], v[107:108], v[109:110], v[107:108]
	v_mul_f64 v[109:110], v[111:112], v[107:108]
	v_fma_f64 v[105:106], -v[105:106], v[109:110], v[111:112]
	v_div_fmas_f64 v[105:106], v[105:106], v[107:108], v[109:110]
	v_div_fixup_f64 v[105:106], v[105:106], v[90:91], v[92:93]
	v_fma_f64 v[90:91], v[92:93], v[105:106], v[90:91]
	v_div_scale_f64 v[92:93], null, v[90:91], v[90:91], 1.0
	v_rcp_f64_e32 v[107:108], v[92:93]
	v_fma_f64 v[109:110], -v[92:93], v[107:108], 1.0
	v_fma_f64 v[107:108], v[107:108], v[109:110], v[107:108]
	v_fma_f64 v[109:110], -v[92:93], v[107:108], 1.0
	v_fma_f64 v[107:108], v[107:108], v[109:110], v[107:108]
	v_div_scale_f64 v[109:110], vcc_lo, 1.0, v[90:91], 1.0
	v_mul_f64 v[111:112], v[109:110], v[107:108]
	v_fma_f64 v[92:93], -v[92:93], v[111:112], v[109:110]
	v_div_fmas_f64 v[92:93], v[92:93], v[107:108], v[111:112]
	v_div_fixup_f64 v[90:91], v[92:93], v[90:91], 1.0
	v_mul_f64 v[92:93], v[105:106], -v[90:91]
.LBB42_303:
	s_or_b32 exec_lo, exec_lo, s1
.LBB42_304:
	s_or_b32 exec_lo, exec_lo, s0
	s_mov_b32 s0, exec_lo
	v_cmpx_ne_u32_e64 v104, v98
	s_xor_b32 s0, exec_lo, s0
	s_cbranch_execz .LBB42_310
; %bb.305:
	s_mov_b32 s1, exec_lo
	v_cmpx_eq_u32_e32 14, v104
	s_cbranch_execz .LBB42_309
; %bb.306:
	v_cmp_ne_u32_e32 vcc_lo, 14, v98
	s_xor_b32 s2, s16, -1
	s_and_b32 s3, s2, vcc_lo
	s_and_saveexec_b32 s2, s3
	s_cbranch_execz .LBB42_308
; %bb.307:
	v_ashrrev_i32_e32 v99, 31, v98
	v_lshlrev_b64 v[104:105], 2, v[98:99]
	v_add_co_u32 v104, vcc_lo, v96, v104
	v_add_co_ci_u32_e64 v105, null, v97, v105, vcc_lo
	s_clause 0x1
	global_load_dword v0, v[104:105], off
	global_load_dword v99, v[96:97], off offset:56
	s_waitcnt vmcnt(1)
	global_store_dword v[96:97], v0, off offset:56
	s_waitcnt vmcnt(0)
	global_store_dword v[104:105], v99, off
.LBB42_308:
	s_or_b32 exec_lo, exec_lo, s2
	v_mov_b32_e32 v104, v98
	v_mov_b32_e32 v0, v98
.LBB42_309:
	s_or_b32 exec_lo, exec_lo, s1
.LBB42_310:
	s_andn2_saveexec_b32 s0, s0
	s_cbranch_execz .LBB42_312
; %bb.311:
	v_mov_b32_e32 v104, 14
	ds_write2_b64 v1, v[26:27], v[28:29] offset0:30 offset1:31
	ds_write2_b64 v1, v[22:23], v[24:25] offset0:32 offset1:33
	;; [unrolled: 1-line block ×7, first 2 shown]
.LBB42_312:
	s_or_b32 exec_lo, exec_lo, s0
	s_mov_b32 s0, exec_lo
	s_waitcnt lgkmcnt(0)
	s_waitcnt_vscnt null, 0x0
	s_barrier
	buffer_gl0_inv
	v_cmpx_lt_i32_e32 14, v104
	s_cbranch_execz .LBB42_314
; %bb.313:
	v_mul_f64 v[98:99], v[90:91], v[32:33]
	v_mul_f64 v[32:33], v[92:93], v[32:33]
	v_fma_f64 v[98:99], v[92:93], v[30:31], v[98:99]
	v_fma_f64 v[30:31], v[90:91], v[30:31], -v[32:33]
	ds_read2_b64 v[90:93], v1 offset0:30 offset1:31
	s_waitcnt lgkmcnt(0)
	v_mul_f64 v[32:33], v[92:93], v[98:99]
	v_fma_f64 v[32:33], v[90:91], v[30:31], -v[32:33]
	v_mul_f64 v[90:91], v[90:91], v[98:99]
	v_add_f64 v[26:27], v[26:27], -v[32:33]
	v_fma_f64 v[90:91], v[92:93], v[30:31], v[90:91]
	v_add_f64 v[28:29], v[28:29], -v[90:91]
	ds_read2_b64 v[90:93], v1 offset0:32 offset1:33
	s_waitcnt lgkmcnt(0)
	v_mul_f64 v[32:33], v[92:93], v[98:99]
	v_fma_f64 v[32:33], v[90:91], v[30:31], -v[32:33]
	v_mul_f64 v[90:91], v[90:91], v[98:99]
	v_add_f64 v[22:23], v[22:23], -v[32:33]
	v_fma_f64 v[90:91], v[92:93], v[30:31], v[90:91]
	v_add_f64 v[24:25], v[24:25], -v[90:91]
	;; [unrolled: 8-line block ×6, first 2 shown]
	ds_read2_b64 v[90:93], v1 offset0:42 offset1:43
	s_waitcnt lgkmcnt(0)
	v_mul_f64 v[32:33], v[92:93], v[98:99]
	v_fma_f64 v[32:33], v[90:91], v[30:31], -v[32:33]
	v_mul_f64 v[90:91], v[90:91], v[98:99]
	v_add_f64 v[2:3], v[2:3], -v[32:33]
	v_fma_f64 v[90:91], v[92:93], v[30:31], v[90:91]
	v_mov_b32_e32 v32, v98
	v_mov_b32_e32 v33, v99
	v_add_f64 v[4:5], v[4:5], -v[90:91]
.LBB42_314:
	s_or_b32 exec_lo, exec_lo, s0
	v_lshl_add_u32 v90, v104, 4, v1
	s_barrier
	buffer_gl0_inv
	v_mov_b32_e32 v98, 15
	ds_write2_b64 v90, v[26:27], v[28:29] offset1:1
	s_waitcnt lgkmcnt(0)
	s_barrier
	buffer_gl0_inv
	ds_read2_b64 v[90:93], v1 offset0:30 offset1:31
	s_cmp_lt_i32 s18, 17
	s_cbranch_scc1 .LBB42_317
; %bb.315:
	v_add3_u32 v99, v100, 0, 0x100
	v_mov_b32_e32 v98, 15
	s_mov_b32 s1, 16
	s_inst_prefetch 0x1
	.p2align	6
.LBB42_316:                             ; =>This Inner Loop Header: Depth=1
	s_waitcnt lgkmcnt(0)
	v_cmp_gt_f64_e32 vcc_lo, 0, v[92:93]
	v_cmp_gt_f64_e64 s0, 0, v[90:91]
	ds_read2_b64 v[105:108], v99 offset1:1
	v_xor_b32_e32 v110, 0x80000000, v91
	v_xor_b32_e32 v112, 0x80000000, v93
	v_mov_b32_e32 v109, v90
	v_mov_b32_e32 v111, v92
	v_add_nc_u32_e32 v99, 16, v99
	s_waitcnt lgkmcnt(0)
	v_xor_b32_e32 v114, 0x80000000, v108
	v_cndmask_b32_e64 v110, v91, v110, s0
	v_cndmask_b32_e32 v112, v93, v112, vcc_lo
	v_cmp_gt_f64_e32 vcc_lo, 0, v[107:108]
	v_cmp_gt_f64_e64 s0, 0, v[105:106]
	v_mov_b32_e32 v113, v107
	v_add_f64 v[109:110], v[109:110], v[111:112]
	v_xor_b32_e32 v112, 0x80000000, v106
	v_mov_b32_e32 v111, v105
	v_cndmask_b32_e32 v114, v108, v114, vcc_lo
	v_cndmask_b32_e64 v112, v106, v112, s0
	v_add_f64 v[111:112], v[111:112], v[113:114]
	v_cmp_lt_f64_e32 vcc_lo, v[109:110], v[111:112]
	v_cndmask_b32_e32 v91, v91, v106, vcc_lo
	v_cndmask_b32_e32 v90, v90, v105, vcc_lo
	;; [unrolled: 1-line block ×4, first 2 shown]
	v_cndmask_b32_e64 v98, v98, s1, vcc_lo
	s_add_i32 s1, s1, 1
	s_cmp_lg_u32 s18, s1
	s_cbranch_scc1 .LBB42_316
.LBB42_317:
	s_inst_prefetch 0x2
	s_waitcnt lgkmcnt(0)
	v_cmp_eq_f64_e32 vcc_lo, 0, v[90:91]
	v_cmp_eq_f64_e64 s0, 0, v[92:93]
	s_and_b32 s0, vcc_lo, s0
	s_and_saveexec_b32 s1, s0
	s_xor_b32 s0, exec_lo, s1
; %bb.318:
	v_cmp_ne_u32_e32 vcc_lo, 0, v103
	v_cndmask_b32_e32 v103, 16, v103, vcc_lo
; %bb.319:
	s_andn2_saveexec_b32 s0, s0
	s_cbranch_execz .LBB42_325
; %bb.320:
	v_cmp_ngt_f64_e64 s1, |v[90:91]|, |v[92:93]|
	s_and_saveexec_b32 s2, s1
	s_xor_b32 s1, exec_lo, s2
	s_cbranch_execz .LBB42_322
; %bb.321:
	v_div_scale_f64 v[105:106], null, v[92:93], v[92:93], v[90:91]
	v_div_scale_f64 v[111:112], vcc_lo, v[90:91], v[92:93], v[90:91]
	v_rcp_f64_e32 v[107:108], v[105:106]
	v_fma_f64 v[109:110], -v[105:106], v[107:108], 1.0
	v_fma_f64 v[107:108], v[107:108], v[109:110], v[107:108]
	v_fma_f64 v[109:110], -v[105:106], v[107:108], 1.0
	v_fma_f64 v[107:108], v[107:108], v[109:110], v[107:108]
	v_mul_f64 v[109:110], v[111:112], v[107:108]
	v_fma_f64 v[105:106], -v[105:106], v[109:110], v[111:112]
	v_div_fmas_f64 v[105:106], v[105:106], v[107:108], v[109:110]
	v_div_fixup_f64 v[105:106], v[105:106], v[92:93], v[90:91]
	v_fma_f64 v[90:91], v[90:91], v[105:106], v[92:93]
	v_div_scale_f64 v[92:93], null, v[90:91], v[90:91], 1.0
	v_rcp_f64_e32 v[107:108], v[92:93]
	v_fma_f64 v[109:110], -v[92:93], v[107:108], 1.0
	v_fma_f64 v[107:108], v[107:108], v[109:110], v[107:108]
	v_fma_f64 v[109:110], -v[92:93], v[107:108], 1.0
	v_fma_f64 v[107:108], v[107:108], v[109:110], v[107:108]
	v_div_scale_f64 v[109:110], vcc_lo, 1.0, v[90:91], 1.0
	v_mul_f64 v[111:112], v[109:110], v[107:108]
	v_fma_f64 v[92:93], -v[92:93], v[111:112], v[109:110]
	v_div_fmas_f64 v[92:93], v[92:93], v[107:108], v[111:112]
	v_div_fixup_f64 v[92:93], v[92:93], v[90:91], 1.0
	v_mul_f64 v[90:91], v[105:106], v[92:93]
	v_xor_b32_e32 v93, 0x80000000, v93
.LBB42_322:
	s_andn2_saveexec_b32 s1, s1
	s_cbranch_execz .LBB42_324
; %bb.323:
	v_div_scale_f64 v[105:106], null, v[90:91], v[90:91], v[92:93]
	v_div_scale_f64 v[111:112], vcc_lo, v[92:93], v[90:91], v[92:93]
	v_rcp_f64_e32 v[107:108], v[105:106]
	v_fma_f64 v[109:110], -v[105:106], v[107:108], 1.0
	v_fma_f64 v[107:108], v[107:108], v[109:110], v[107:108]
	v_fma_f64 v[109:110], -v[105:106], v[107:108], 1.0
	v_fma_f64 v[107:108], v[107:108], v[109:110], v[107:108]
	v_mul_f64 v[109:110], v[111:112], v[107:108]
	v_fma_f64 v[105:106], -v[105:106], v[109:110], v[111:112]
	v_div_fmas_f64 v[105:106], v[105:106], v[107:108], v[109:110]
	v_div_fixup_f64 v[105:106], v[105:106], v[90:91], v[92:93]
	v_fma_f64 v[90:91], v[92:93], v[105:106], v[90:91]
	v_div_scale_f64 v[92:93], null, v[90:91], v[90:91], 1.0
	v_rcp_f64_e32 v[107:108], v[92:93]
	v_fma_f64 v[109:110], -v[92:93], v[107:108], 1.0
	v_fma_f64 v[107:108], v[107:108], v[109:110], v[107:108]
	v_fma_f64 v[109:110], -v[92:93], v[107:108], 1.0
	v_fma_f64 v[107:108], v[107:108], v[109:110], v[107:108]
	v_div_scale_f64 v[109:110], vcc_lo, 1.0, v[90:91], 1.0
	v_mul_f64 v[111:112], v[109:110], v[107:108]
	v_fma_f64 v[92:93], -v[92:93], v[111:112], v[109:110]
	v_div_fmas_f64 v[92:93], v[92:93], v[107:108], v[111:112]
	v_div_fixup_f64 v[90:91], v[92:93], v[90:91], 1.0
	v_mul_f64 v[92:93], v[105:106], -v[90:91]
.LBB42_324:
	s_or_b32 exec_lo, exec_lo, s1
.LBB42_325:
	s_or_b32 exec_lo, exec_lo, s0
	s_mov_b32 s0, exec_lo
	v_cmpx_ne_u32_e64 v104, v98
	s_xor_b32 s0, exec_lo, s0
	s_cbranch_execz .LBB42_331
; %bb.326:
	s_mov_b32 s1, exec_lo
	v_cmpx_eq_u32_e32 15, v104
	s_cbranch_execz .LBB42_330
; %bb.327:
	v_cmp_ne_u32_e32 vcc_lo, 15, v98
	s_xor_b32 s2, s16, -1
	s_and_b32 s3, s2, vcc_lo
	s_and_saveexec_b32 s2, s3
	s_cbranch_execz .LBB42_329
; %bb.328:
	v_ashrrev_i32_e32 v99, 31, v98
	v_lshlrev_b64 v[104:105], 2, v[98:99]
	v_add_co_u32 v104, vcc_lo, v96, v104
	v_add_co_ci_u32_e64 v105, null, v97, v105, vcc_lo
	s_clause 0x1
	global_load_dword v0, v[104:105], off
	global_load_dword v99, v[96:97], off offset:60
	s_waitcnt vmcnt(1)
	global_store_dword v[96:97], v0, off offset:60
	s_waitcnt vmcnt(0)
	global_store_dword v[104:105], v99, off
.LBB42_329:
	s_or_b32 exec_lo, exec_lo, s2
	v_mov_b32_e32 v104, v98
	v_mov_b32_e32 v0, v98
.LBB42_330:
	s_or_b32 exec_lo, exec_lo, s1
.LBB42_331:
	s_andn2_saveexec_b32 s0, s0
	s_cbranch_execz .LBB42_333
; %bb.332:
	v_mov_b32_e32 v104, 15
	ds_write2_b64 v1, v[22:23], v[24:25] offset0:32 offset1:33
	ds_write2_b64 v1, v[18:19], v[20:21] offset0:34 offset1:35
	ds_write2_b64 v1, v[14:15], v[16:17] offset0:36 offset1:37
	ds_write2_b64 v1, v[10:11], v[12:13] offset0:38 offset1:39
	ds_write2_b64 v1, v[6:7], v[8:9] offset0:40 offset1:41
	ds_write2_b64 v1, v[2:3], v[4:5] offset0:42 offset1:43
.LBB42_333:
	s_or_b32 exec_lo, exec_lo, s0
	s_mov_b32 s0, exec_lo
	s_waitcnt lgkmcnt(0)
	s_waitcnt_vscnt null, 0x0
	s_barrier
	buffer_gl0_inv
	v_cmpx_lt_i32_e32 15, v104
	s_cbranch_execz .LBB42_335
; %bb.334:
	v_mul_f64 v[98:99], v[90:91], v[28:29]
	v_mul_f64 v[28:29], v[92:93], v[28:29]
	v_fma_f64 v[98:99], v[92:93], v[26:27], v[98:99]
	v_fma_f64 v[26:27], v[90:91], v[26:27], -v[28:29]
	ds_read2_b64 v[90:93], v1 offset0:32 offset1:33
	s_waitcnt lgkmcnt(0)
	v_mul_f64 v[28:29], v[92:93], v[98:99]
	v_fma_f64 v[28:29], v[90:91], v[26:27], -v[28:29]
	v_mul_f64 v[90:91], v[90:91], v[98:99]
	v_add_f64 v[22:23], v[22:23], -v[28:29]
	v_fma_f64 v[90:91], v[92:93], v[26:27], v[90:91]
	v_add_f64 v[24:25], v[24:25], -v[90:91]
	ds_read2_b64 v[90:93], v1 offset0:34 offset1:35
	s_waitcnt lgkmcnt(0)
	v_mul_f64 v[28:29], v[92:93], v[98:99]
	v_fma_f64 v[28:29], v[90:91], v[26:27], -v[28:29]
	v_mul_f64 v[90:91], v[90:91], v[98:99]
	v_add_f64 v[18:19], v[18:19], -v[28:29]
	v_fma_f64 v[90:91], v[92:93], v[26:27], v[90:91]
	v_add_f64 v[20:21], v[20:21], -v[90:91]
	;; [unrolled: 8-line block ×5, first 2 shown]
	ds_read2_b64 v[90:93], v1 offset0:42 offset1:43
	s_waitcnt lgkmcnt(0)
	v_mul_f64 v[28:29], v[92:93], v[98:99]
	v_fma_f64 v[28:29], v[90:91], v[26:27], -v[28:29]
	v_mul_f64 v[90:91], v[90:91], v[98:99]
	v_add_f64 v[2:3], v[2:3], -v[28:29]
	v_fma_f64 v[90:91], v[92:93], v[26:27], v[90:91]
	v_mov_b32_e32 v28, v98
	v_mov_b32_e32 v29, v99
	v_add_f64 v[4:5], v[4:5], -v[90:91]
.LBB42_335:
	s_or_b32 exec_lo, exec_lo, s0
	v_lshl_add_u32 v90, v104, 4, v1
	s_barrier
	buffer_gl0_inv
	v_mov_b32_e32 v98, 16
	ds_write2_b64 v90, v[22:23], v[24:25] offset1:1
	s_waitcnt lgkmcnt(0)
	s_barrier
	buffer_gl0_inv
	ds_read2_b64 v[90:93], v1 offset0:32 offset1:33
	s_cmp_lt_i32 s18, 18
	s_cbranch_scc1 .LBB42_338
; %bb.336:
	v_add3_u32 v99, v100, 0, 0x110
	v_mov_b32_e32 v98, 16
	s_mov_b32 s1, 17
	s_inst_prefetch 0x1
	.p2align	6
.LBB42_337:                             ; =>This Inner Loop Header: Depth=1
	s_waitcnt lgkmcnt(0)
	v_cmp_gt_f64_e32 vcc_lo, 0, v[92:93]
	v_cmp_gt_f64_e64 s0, 0, v[90:91]
	ds_read2_b64 v[105:108], v99 offset1:1
	v_xor_b32_e32 v110, 0x80000000, v91
	v_xor_b32_e32 v112, 0x80000000, v93
	v_mov_b32_e32 v109, v90
	v_mov_b32_e32 v111, v92
	v_add_nc_u32_e32 v99, 16, v99
	s_waitcnt lgkmcnt(0)
	v_xor_b32_e32 v114, 0x80000000, v108
	v_cndmask_b32_e64 v110, v91, v110, s0
	v_cndmask_b32_e32 v112, v93, v112, vcc_lo
	v_cmp_gt_f64_e32 vcc_lo, 0, v[107:108]
	v_cmp_gt_f64_e64 s0, 0, v[105:106]
	v_mov_b32_e32 v113, v107
	v_add_f64 v[109:110], v[109:110], v[111:112]
	v_xor_b32_e32 v112, 0x80000000, v106
	v_mov_b32_e32 v111, v105
	v_cndmask_b32_e32 v114, v108, v114, vcc_lo
	v_cndmask_b32_e64 v112, v106, v112, s0
	v_add_f64 v[111:112], v[111:112], v[113:114]
	v_cmp_lt_f64_e32 vcc_lo, v[109:110], v[111:112]
	v_cndmask_b32_e32 v91, v91, v106, vcc_lo
	v_cndmask_b32_e32 v90, v90, v105, vcc_lo
	;; [unrolled: 1-line block ×4, first 2 shown]
	v_cndmask_b32_e64 v98, v98, s1, vcc_lo
	s_add_i32 s1, s1, 1
	s_cmp_lg_u32 s18, s1
	s_cbranch_scc1 .LBB42_337
.LBB42_338:
	s_inst_prefetch 0x2
	s_waitcnt lgkmcnt(0)
	v_cmp_eq_f64_e32 vcc_lo, 0, v[90:91]
	v_cmp_eq_f64_e64 s0, 0, v[92:93]
	s_and_b32 s0, vcc_lo, s0
	s_and_saveexec_b32 s1, s0
	s_xor_b32 s0, exec_lo, s1
; %bb.339:
	v_cmp_ne_u32_e32 vcc_lo, 0, v103
	v_cndmask_b32_e32 v103, 17, v103, vcc_lo
; %bb.340:
	s_andn2_saveexec_b32 s0, s0
	s_cbranch_execz .LBB42_346
; %bb.341:
	v_cmp_ngt_f64_e64 s1, |v[90:91]|, |v[92:93]|
	s_and_saveexec_b32 s2, s1
	s_xor_b32 s1, exec_lo, s2
	s_cbranch_execz .LBB42_343
; %bb.342:
	v_div_scale_f64 v[105:106], null, v[92:93], v[92:93], v[90:91]
	v_div_scale_f64 v[111:112], vcc_lo, v[90:91], v[92:93], v[90:91]
	v_rcp_f64_e32 v[107:108], v[105:106]
	v_fma_f64 v[109:110], -v[105:106], v[107:108], 1.0
	v_fma_f64 v[107:108], v[107:108], v[109:110], v[107:108]
	v_fma_f64 v[109:110], -v[105:106], v[107:108], 1.0
	v_fma_f64 v[107:108], v[107:108], v[109:110], v[107:108]
	v_mul_f64 v[109:110], v[111:112], v[107:108]
	v_fma_f64 v[105:106], -v[105:106], v[109:110], v[111:112]
	v_div_fmas_f64 v[105:106], v[105:106], v[107:108], v[109:110]
	v_div_fixup_f64 v[105:106], v[105:106], v[92:93], v[90:91]
	v_fma_f64 v[90:91], v[90:91], v[105:106], v[92:93]
	v_div_scale_f64 v[92:93], null, v[90:91], v[90:91], 1.0
	v_rcp_f64_e32 v[107:108], v[92:93]
	v_fma_f64 v[109:110], -v[92:93], v[107:108], 1.0
	v_fma_f64 v[107:108], v[107:108], v[109:110], v[107:108]
	v_fma_f64 v[109:110], -v[92:93], v[107:108], 1.0
	v_fma_f64 v[107:108], v[107:108], v[109:110], v[107:108]
	v_div_scale_f64 v[109:110], vcc_lo, 1.0, v[90:91], 1.0
	v_mul_f64 v[111:112], v[109:110], v[107:108]
	v_fma_f64 v[92:93], -v[92:93], v[111:112], v[109:110]
	v_div_fmas_f64 v[92:93], v[92:93], v[107:108], v[111:112]
	v_div_fixup_f64 v[92:93], v[92:93], v[90:91], 1.0
	v_mul_f64 v[90:91], v[105:106], v[92:93]
	v_xor_b32_e32 v93, 0x80000000, v93
.LBB42_343:
	s_andn2_saveexec_b32 s1, s1
	s_cbranch_execz .LBB42_345
; %bb.344:
	v_div_scale_f64 v[105:106], null, v[90:91], v[90:91], v[92:93]
	v_div_scale_f64 v[111:112], vcc_lo, v[92:93], v[90:91], v[92:93]
	v_rcp_f64_e32 v[107:108], v[105:106]
	v_fma_f64 v[109:110], -v[105:106], v[107:108], 1.0
	v_fma_f64 v[107:108], v[107:108], v[109:110], v[107:108]
	v_fma_f64 v[109:110], -v[105:106], v[107:108], 1.0
	v_fma_f64 v[107:108], v[107:108], v[109:110], v[107:108]
	v_mul_f64 v[109:110], v[111:112], v[107:108]
	v_fma_f64 v[105:106], -v[105:106], v[109:110], v[111:112]
	v_div_fmas_f64 v[105:106], v[105:106], v[107:108], v[109:110]
	v_div_fixup_f64 v[105:106], v[105:106], v[90:91], v[92:93]
	v_fma_f64 v[90:91], v[92:93], v[105:106], v[90:91]
	v_div_scale_f64 v[92:93], null, v[90:91], v[90:91], 1.0
	v_rcp_f64_e32 v[107:108], v[92:93]
	v_fma_f64 v[109:110], -v[92:93], v[107:108], 1.0
	v_fma_f64 v[107:108], v[107:108], v[109:110], v[107:108]
	v_fma_f64 v[109:110], -v[92:93], v[107:108], 1.0
	v_fma_f64 v[107:108], v[107:108], v[109:110], v[107:108]
	v_div_scale_f64 v[109:110], vcc_lo, 1.0, v[90:91], 1.0
	v_mul_f64 v[111:112], v[109:110], v[107:108]
	v_fma_f64 v[92:93], -v[92:93], v[111:112], v[109:110]
	v_div_fmas_f64 v[92:93], v[92:93], v[107:108], v[111:112]
	v_div_fixup_f64 v[90:91], v[92:93], v[90:91], 1.0
	v_mul_f64 v[92:93], v[105:106], -v[90:91]
.LBB42_345:
	s_or_b32 exec_lo, exec_lo, s1
.LBB42_346:
	s_or_b32 exec_lo, exec_lo, s0
	s_mov_b32 s0, exec_lo
	v_cmpx_ne_u32_e64 v104, v98
	s_xor_b32 s0, exec_lo, s0
	s_cbranch_execz .LBB42_352
; %bb.347:
	s_mov_b32 s1, exec_lo
	v_cmpx_eq_u32_e32 16, v104
	s_cbranch_execz .LBB42_351
; %bb.348:
	v_cmp_ne_u32_e32 vcc_lo, 16, v98
	s_xor_b32 s2, s16, -1
	s_and_b32 s3, s2, vcc_lo
	s_and_saveexec_b32 s2, s3
	s_cbranch_execz .LBB42_350
; %bb.349:
	v_ashrrev_i32_e32 v99, 31, v98
	v_lshlrev_b64 v[104:105], 2, v[98:99]
	v_add_co_u32 v104, vcc_lo, v96, v104
	v_add_co_ci_u32_e64 v105, null, v97, v105, vcc_lo
	s_clause 0x1
	global_load_dword v0, v[104:105], off
	global_load_dword v99, v[96:97], off offset:64
	s_waitcnt vmcnt(1)
	global_store_dword v[96:97], v0, off offset:64
	s_waitcnt vmcnt(0)
	global_store_dword v[104:105], v99, off
.LBB42_350:
	s_or_b32 exec_lo, exec_lo, s2
	v_mov_b32_e32 v104, v98
	v_mov_b32_e32 v0, v98
.LBB42_351:
	s_or_b32 exec_lo, exec_lo, s1
.LBB42_352:
	s_andn2_saveexec_b32 s0, s0
	s_cbranch_execz .LBB42_354
; %bb.353:
	v_mov_b32_e32 v104, 16
	ds_write2_b64 v1, v[18:19], v[20:21] offset0:34 offset1:35
	ds_write2_b64 v1, v[14:15], v[16:17] offset0:36 offset1:37
	;; [unrolled: 1-line block ×5, first 2 shown]
.LBB42_354:
	s_or_b32 exec_lo, exec_lo, s0
	s_mov_b32 s0, exec_lo
	s_waitcnt lgkmcnt(0)
	s_waitcnt_vscnt null, 0x0
	s_barrier
	buffer_gl0_inv
	v_cmpx_lt_i32_e32 16, v104
	s_cbranch_execz .LBB42_356
; %bb.355:
	v_mul_f64 v[98:99], v[90:91], v[24:25]
	v_mul_f64 v[24:25], v[92:93], v[24:25]
	v_fma_f64 v[98:99], v[92:93], v[22:23], v[98:99]
	v_fma_f64 v[22:23], v[90:91], v[22:23], -v[24:25]
	ds_read2_b64 v[90:93], v1 offset0:34 offset1:35
	s_waitcnt lgkmcnt(0)
	v_mul_f64 v[24:25], v[92:93], v[98:99]
	v_fma_f64 v[24:25], v[90:91], v[22:23], -v[24:25]
	v_mul_f64 v[90:91], v[90:91], v[98:99]
	v_add_f64 v[18:19], v[18:19], -v[24:25]
	v_fma_f64 v[90:91], v[92:93], v[22:23], v[90:91]
	v_add_f64 v[20:21], v[20:21], -v[90:91]
	ds_read2_b64 v[90:93], v1 offset0:36 offset1:37
	s_waitcnt lgkmcnt(0)
	v_mul_f64 v[24:25], v[92:93], v[98:99]
	v_fma_f64 v[24:25], v[90:91], v[22:23], -v[24:25]
	v_mul_f64 v[90:91], v[90:91], v[98:99]
	v_add_f64 v[14:15], v[14:15], -v[24:25]
	v_fma_f64 v[90:91], v[92:93], v[22:23], v[90:91]
	v_add_f64 v[16:17], v[16:17], -v[90:91]
	;; [unrolled: 8-line block ×4, first 2 shown]
	ds_read2_b64 v[90:93], v1 offset0:42 offset1:43
	s_waitcnt lgkmcnt(0)
	v_mul_f64 v[24:25], v[92:93], v[98:99]
	v_fma_f64 v[24:25], v[90:91], v[22:23], -v[24:25]
	v_mul_f64 v[90:91], v[90:91], v[98:99]
	v_add_f64 v[2:3], v[2:3], -v[24:25]
	v_fma_f64 v[90:91], v[92:93], v[22:23], v[90:91]
	v_mov_b32_e32 v24, v98
	v_mov_b32_e32 v25, v99
	v_add_f64 v[4:5], v[4:5], -v[90:91]
.LBB42_356:
	s_or_b32 exec_lo, exec_lo, s0
	v_lshl_add_u32 v90, v104, 4, v1
	s_barrier
	buffer_gl0_inv
	v_mov_b32_e32 v98, 17
	ds_write2_b64 v90, v[18:19], v[20:21] offset1:1
	s_waitcnt lgkmcnt(0)
	s_barrier
	buffer_gl0_inv
	ds_read2_b64 v[90:93], v1 offset0:34 offset1:35
	s_cmp_lt_i32 s18, 19
	s_cbranch_scc1 .LBB42_359
; %bb.357:
	v_add3_u32 v99, v100, 0, 0x120
	v_mov_b32_e32 v98, 17
	s_mov_b32 s1, 18
	s_inst_prefetch 0x1
	.p2align	6
.LBB42_358:                             ; =>This Inner Loop Header: Depth=1
	s_waitcnt lgkmcnt(0)
	v_cmp_gt_f64_e32 vcc_lo, 0, v[92:93]
	v_cmp_gt_f64_e64 s0, 0, v[90:91]
	ds_read2_b64 v[105:108], v99 offset1:1
	v_xor_b32_e32 v110, 0x80000000, v91
	v_xor_b32_e32 v112, 0x80000000, v93
	v_mov_b32_e32 v109, v90
	v_mov_b32_e32 v111, v92
	v_add_nc_u32_e32 v99, 16, v99
	s_waitcnt lgkmcnt(0)
	v_xor_b32_e32 v114, 0x80000000, v108
	v_cndmask_b32_e64 v110, v91, v110, s0
	v_cndmask_b32_e32 v112, v93, v112, vcc_lo
	v_cmp_gt_f64_e32 vcc_lo, 0, v[107:108]
	v_cmp_gt_f64_e64 s0, 0, v[105:106]
	v_mov_b32_e32 v113, v107
	v_add_f64 v[109:110], v[109:110], v[111:112]
	v_xor_b32_e32 v112, 0x80000000, v106
	v_mov_b32_e32 v111, v105
	v_cndmask_b32_e32 v114, v108, v114, vcc_lo
	v_cndmask_b32_e64 v112, v106, v112, s0
	v_add_f64 v[111:112], v[111:112], v[113:114]
	v_cmp_lt_f64_e32 vcc_lo, v[109:110], v[111:112]
	v_cndmask_b32_e32 v91, v91, v106, vcc_lo
	v_cndmask_b32_e32 v90, v90, v105, vcc_lo
	;; [unrolled: 1-line block ×4, first 2 shown]
	v_cndmask_b32_e64 v98, v98, s1, vcc_lo
	s_add_i32 s1, s1, 1
	s_cmp_lg_u32 s18, s1
	s_cbranch_scc1 .LBB42_358
.LBB42_359:
	s_inst_prefetch 0x2
	s_waitcnt lgkmcnt(0)
	v_cmp_eq_f64_e32 vcc_lo, 0, v[90:91]
	v_cmp_eq_f64_e64 s0, 0, v[92:93]
	s_and_b32 s0, vcc_lo, s0
	s_and_saveexec_b32 s1, s0
	s_xor_b32 s0, exec_lo, s1
; %bb.360:
	v_cmp_ne_u32_e32 vcc_lo, 0, v103
	v_cndmask_b32_e32 v103, 18, v103, vcc_lo
; %bb.361:
	s_andn2_saveexec_b32 s0, s0
	s_cbranch_execz .LBB42_367
; %bb.362:
	v_cmp_ngt_f64_e64 s1, |v[90:91]|, |v[92:93]|
	s_and_saveexec_b32 s2, s1
	s_xor_b32 s1, exec_lo, s2
	s_cbranch_execz .LBB42_364
; %bb.363:
	v_div_scale_f64 v[105:106], null, v[92:93], v[92:93], v[90:91]
	v_div_scale_f64 v[111:112], vcc_lo, v[90:91], v[92:93], v[90:91]
	v_rcp_f64_e32 v[107:108], v[105:106]
	v_fma_f64 v[109:110], -v[105:106], v[107:108], 1.0
	v_fma_f64 v[107:108], v[107:108], v[109:110], v[107:108]
	v_fma_f64 v[109:110], -v[105:106], v[107:108], 1.0
	v_fma_f64 v[107:108], v[107:108], v[109:110], v[107:108]
	v_mul_f64 v[109:110], v[111:112], v[107:108]
	v_fma_f64 v[105:106], -v[105:106], v[109:110], v[111:112]
	v_div_fmas_f64 v[105:106], v[105:106], v[107:108], v[109:110]
	v_div_fixup_f64 v[105:106], v[105:106], v[92:93], v[90:91]
	v_fma_f64 v[90:91], v[90:91], v[105:106], v[92:93]
	v_div_scale_f64 v[92:93], null, v[90:91], v[90:91], 1.0
	v_rcp_f64_e32 v[107:108], v[92:93]
	v_fma_f64 v[109:110], -v[92:93], v[107:108], 1.0
	v_fma_f64 v[107:108], v[107:108], v[109:110], v[107:108]
	v_fma_f64 v[109:110], -v[92:93], v[107:108], 1.0
	v_fma_f64 v[107:108], v[107:108], v[109:110], v[107:108]
	v_div_scale_f64 v[109:110], vcc_lo, 1.0, v[90:91], 1.0
	v_mul_f64 v[111:112], v[109:110], v[107:108]
	v_fma_f64 v[92:93], -v[92:93], v[111:112], v[109:110]
	v_div_fmas_f64 v[92:93], v[92:93], v[107:108], v[111:112]
	v_div_fixup_f64 v[92:93], v[92:93], v[90:91], 1.0
	v_mul_f64 v[90:91], v[105:106], v[92:93]
	v_xor_b32_e32 v93, 0x80000000, v93
.LBB42_364:
	s_andn2_saveexec_b32 s1, s1
	s_cbranch_execz .LBB42_366
; %bb.365:
	v_div_scale_f64 v[105:106], null, v[90:91], v[90:91], v[92:93]
	v_div_scale_f64 v[111:112], vcc_lo, v[92:93], v[90:91], v[92:93]
	v_rcp_f64_e32 v[107:108], v[105:106]
	v_fma_f64 v[109:110], -v[105:106], v[107:108], 1.0
	v_fma_f64 v[107:108], v[107:108], v[109:110], v[107:108]
	v_fma_f64 v[109:110], -v[105:106], v[107:108], 1.0
	v_fma_f64 v[107:108], v[107:108], v[109:110], v[107:108]
	v_mul_f64 v[109:110], v[111:112], v[107:108]
	v_fma_f64 v[105:106], -v[105:106], v[109:110], v[111:112]
	v_div_fmas_f64 v[105:106], v[105:106], v[107:108], v[109:110]
	v_div_fixup_f64 v[105:106], v[105:106], v[90:91], v[92:93]
	v_fma_f64 v[90:91], v[92:93], v[105:106], v[90:91]
	v_div_scale_f64 v[92:93], null, v[90:91], v[90:91], 1.0
	v_rcp_f64_e32 v[107:108], v[92:93]
	v_fma_f64 v[109:110], -v[92:93], v[107:108], 1.0
	v_fma_f64 v[107:108], v[107:108], v[109:110], v[107:108]
	v_fma_f64 v[109:110], -v[92:93], v[107:108], 1.0
	v_fma_f64 v[107:108], v[107:108], v[109:110], v[107:108]
	v_div_scale_f64 v[109:110], vcc_lo, 1.0, v[90:91], 1.0
	v_mul_f64 v[111:112], v[109:110], v[107:108]
	v_fma_f64 v[92:93], -v[92:93], v[111:112], v[109:110]
	v_div_fmas_f64 v[92:93], v[92:93], v[107:108], v[111:112]
	v_div_fixup_f64 v[90:91], v[92:93], v[90:91], 1.0
	v_mul_f64 v[92:93], v[105:106], -v[90:91]
.LBB42_366:
	s_or_b32 exec_lo, exec_lo, s1
.LBB42_367:
	s_or_b32 exec_lo, exec_lo, s0
	s_mov_b32 s0, exec_lo
	v_cmpx_ne_u32_e64 v104, v98
	s_xor_b32 s0, exec_lo, s0
	s_cbranch_execz .LBB42_373
; %bb.368:
	s_mov_b32 s1, exec_lo
	v_cmpx_eq_u32_e32 17, v104
	s_cbranch_execz .LBB42_372
; %bb.369:
	v_cmp_ne_u32_e32 vcc_lo, 17, v98
	s_xor_b32 s2, s16, -1
	s_and_b32 s3, s2, vcc_lo
	s_and_saveexec_b32 s2, s3
	s_cbranch_execz .LBB42_371
; %bb.370:
	v_ashrrev_i32_e32 v99, 31, v98
	v_lshlrev_b64 v[104:105], 2, v[98:99]
	v_add_co_u32 v104, vcc_lo, v96, v104
	v_add_co_ci_u32_e64 v105, null, v97, v105, vcc_lo
	s_clause 0x1
	global_load_dword v0, v[104:105], off
	global_load_dword v99, v[96:97], off offset:68
	s_waitcnt vmcnt(1)
	global_store_dword v[96:97], v0, off offset:68
	s_waitcnt vmcnt(0)
	global_store_dword v[104:105], v99, off
.LBB42_371:
	s_or_b32 exec_lo, exec_lo, s2
	v_mov_b32_e32 v104, v98
	v_mov_b32_e32 v0, v98
.LBB42_372:
	s_or_b32 exec_lo, exec_lo, s1
.LBB42_373:
	s_andn2_saveexec_b32 s0, s0
	s_cbranch_execz .LBB42_375
; %bb.374:
	v_mov_b32_e32 v104, 17
	ds_write2_b64 v1, v[14:15], v[16:17] offset0:36 offset1:37
	ds_write2_b64 v1, v[10:11], v[12:13] offset0:38 offset1:39
	;; [unrolled: 1-line block ×4, first 2 shown]
.LBB42_375:
	s_or_b32 exec_lo, exec_lo, s0
	s_mov_b32 s0, exec_lo
	s_waitcnt lgkmcnt(0)
	s_waitcnt_vscnt null, 0x0
	s_barrier
	buffer_gl0_inv
	v_cmpx_lt_i32_e32 17, v104
	s_cbranch_execz .LBB42_377
; %bb.376:
	v_mul_f64 v[98:99], v[90:91], v[20:21]
	v_mul_f64 v[20:21], v[92:93], v[20:21]
	v_fma_f64 v[98:99], v[92:93], v[18:19], v[98:99]
	v_fma_f64 v[18:19], v[90:91], v[18:19], -v[20:21]
	ds_read2_b64 v[90:93], v1 offset0:36 offset1:37
	s_waitcnt lgkmcnt(0)
	v_mul_f64 v[20:21], v[92:93], v[98:99]
	v_fma_f64 v[20:21], v[90:91], v[18:19], -v[20:21]
	v_mul_f64 v[90:91], v[90:91], v[98:99]
	v_add_f64 v[14:15], v[14:15], -v[20:21]
	v_fma_f64 v[90:91], v[92:93], v[18:19], v[90:91]
	v_add_f64 v[16:17], v[16:17], -v[90:91]
	ds_read2_b64 v[90:93], v1 offset0:38 offset1:39
	s_waitcnt lgkmcnt(0)
	v_mul_f64 v[20:21], v[92:93], v[98:99]
	v_fma_f64 v[20:21], v[90:91], v[18:19], -v[20:21]
	v_mul_f64 v[90:91], v[90:91], v[98:99]
	v_add_f64 v[10:11], v[10:11], -v[20:21]
	v_fma_f64 v[90:91], v[92:93], v[18:19], v[90:91]
	v_add_f64 v[12:13], v[12:13], -v[90:91]
	;; [unrolled: 8-line block ×3, first 2 shown]
	ds_read2_b64 v[90:93], v1 offset0:42 offset1:43
	s_waitcnt lgkmcnt(0)
	v_mul_f64 v[20:21], v[92:93], v[98:99]
	v_fma_f64 v[20:21], v[90:91], v[18:19], -v[20:21]
	v_mul_f64 v[90:91], v[90:91], v[98:99]
	v_add_f64 v[2:3], v[2:3], -v[20:21]
	v_fma_f64 v[90:91], v[92:93], v[18:19], v[90:91]
	v_mov_b32_e32 v20, v98
	v_mov_b32_e32 v21, v99
	v_add_f64 v[4:5], v[4:5], -v[90:91]
.LBB42_377:
	s_or_b32 exec_lo, exec_lo, s0
	v_lshl_add_u32 v90, v104, 4, v1
	s_barrier
	buffer_gl0_inv
	v_mov_b32_e32 v98, 18
	ds_write2_b64 v90, v[14:15], v[16:17] offset1:1
	s_waitcnt lgkmcnt(0)
	s_barrier
	buffer_gl0_inv
	ds_read2_b64 v[90:93], v1 offset0:36 offset1:37
	s_cmp_lt_i32 s18, 20
	s_cbranch_scc1 .LBB42_380
; %bb.378:
	v_add3_u32 v99, v100, 0, 0x130
	v_mov_b32_e32 v98, 18
	s_mov_b32 s1, 19
	s_inst_prefetch 0x1
	.p2align	6
.LBB42_379:                             ; =>This Inner Loop Header: Depth=1
	s_waitcnt lgkmcnt(0)
	v_cmp_gt_f64_e32 vcc_lo, 0, v[92:93]
	v_cmp_gt_f64_e64 s0, 0, v[90:91]
	ds_read2_b64 v[105:108], v99 offset1:1
	v_xor_b32_e32 v110, 0x80000000, v91
	v_xor_b32_e32 v112, 0x80000000, v93
	v_mov_b32_e32 v109, v90
	v_mov_b32_e32 v111, v92
	v_add_nc_u32_e32 v99, 16, v99
	s_waitcnt lgkmcnt(0)
	v_xor_b32_e32 v114, 0x80000000, v108
	v_cndmask_b32_e64 v110, v91, v110, s0
	v_cndmask_b32_e32 v112, v93, v112, vcc_lo
	v_cmp_gt_f64_e32 vcc_lo, 0, v[107:108]
	v_cmp_gt_f64_e64 s0, 0, v[105:106]
	v_mov_b32_e32 v113, v107
	v_add_f64 v[109:110], v[109:110], v[111:112]
	v_xor_b32_e32 v112, 0x80000000, v106
	v_mov_b32_e32 v111, v105
	v_cndmask_b32_e32 v114, v108, v114, vcc_lo
	v_cndmask_b32_e64 v112, v106, v112, s0
	v_add_f64 v[111:112], v[111:112], v[113:114]
	v_cmp_lt_f64_e32 vcc_lo, v[109:110], v[111:112]
	v_cndmask_b32_e32 v91, v91, v106, vcc_lo
	v_cndmask_b32_e32 v90, v90, v105, vcc_lo
	;; [unrolled: 1-line block ×4, first 2 shown]
	v_cndmask_b32_e64 v98, v98, s1, vcc_lo
	s_add_i32 s1, s1, 1
	s_cmp_lg_u32 s18, s1
	s_cbranch_scc1 .LBB42_379
.LBB42_380:
	s_inst_prefetch 0x2
	s_waitcnt lgkmcnt(0)
	v_cmp_eq_f64_e32 vcc_lo, 0, v[90:91]
	v_cmp_eq_f64_e64 s0, 0, v[92:93]
	s_and_b32 s0, vcc_lo, s0
	s_and_saveexec_b32 s1, s0
	s_xor_b32 s0, exec_lo, s1
; %bb.381:
	v_cmp_ne_u32_e32 vcc_lo, 0, v103
	v_cndmask_b32_e32 v103, 19, v103, vcc_lo
; %bb.382:
	s_andn2_saveexec_b32 s0, s0
	s_cbranch_execz .LBB42_388
; %bb.383:
	v_cmp_ngt_f64_e64 s1, |v[90:91]|, |v[92:93]|
	s_and_saveexec_b32 s2, s1
	s_xor_b32 s1, exec_lo, s2
	s_cbranch_execz .LBB42_385
; %bb.384:
	v_div_scale_f64 v[105:106], null, v[92:93], v[92:93], v[90:91]
	v_div_scale_f64 v[111:112], vcc_lo, v[90:91], v[92:93], v[90:91]
	v_rcp_f64_e32 v[107:108], v[105:106]
	v_fma_f64 v[109:110], -v[105:106], v[107:108], 1.0
	v_fma_f64 v[107:108], v[107:108], v[109:110], v[107:108]
	v_fma_f64 v[109:110], -v[105:106], v[107:108], 1.0
	v_fma_f64 v[107:108], v[107:108], v[109:110], v[107:108]
	v_mul_f64 v[109:110], v[111:112], v[107:108]
	v_fma_f64 v[105:106], -v[105:106], v[109:110], v[111:112]
	v_div_fmas_f64 v[105:106], v[105:106], v[107:108], v[109:110]
	v_div_fixup_f64 v[105:106], v[105:106], v[92:93], v[90:91]
	v_fma_f64 v[90:91], v[90:91], v[105:106], v[92:93]
	v_div_scale_f64 v[92:93], null, v[90:91], v[90:91], 1.0
	v_rcp_f64_e32 v[107:108], v[92:93]
	v_fma_f64 v[109:110], -v[92:93], v[107:108], 1.0
	v_fma_f64 v[107:108], v[107:108], v[109:110], v[107:108]
	v_fma_f64 v[109:110], -v[92:93], v[107:108], 1.0
	v_fma_f64 v[107:108], v[107:108], v[109:110], v[107:108]
	v_div_scale_f64 v[109:110], vcc_lo, 1.0, v[90:91], 1.0
	v_mul_f64 v[111:112], v[109:110], v[107:108]
	v_fma_f64 v[92:93], -v[92:93], v[111:112], v[109:110]
	v_div_fmas_f64 v[92:93], v[92:93], v[107:108], v[111:112]
	v_div_fixup_f64 v[92:93], v[92:93], v[90:91], 1.0
	v_mul_f64 v[90:91], v[105:106], v[92:93]
	v_xor_b32_e32 v93, 0x80000000, v93
.LBB42_385:
	s_andn2_saveexec_b32 s1, s1
	s_cbranch_execz .LBB42_387
; %bb.386:
	v_div_scale_f64 v[105:106], null, v[90:91], v[90:91], v[92:93]
	v_div_scale_f64 v[111:112], vcc_lo, v[92:93], v[90:91], v[92:93]
	v_rcp_f64_e32 v[107:108], v[105:106]
	v_fma_f64 v[109:110], -v[105:106], v[107:108], 1.0
	v_fma_f64 v[107:108], v[107:108], v[109:110], v[107:108]
	v_fma_f64 v[109:110], -v[105:106], v[107:108], 1.0
	v_fma_f64 v[107:108], v[107:108], v[109:110], v[107:108]
	v_mul_f64 v[109:110], v[111:112], v[107:108]
	v_fma_f64 v[105:106], -v[105:106], v[109:110], v[111:112]
	v_div_fmas_f64 v[105:106], v[105:106], v[107:108], v[109:110]
	v_div_fixup_f64 v[105:106], v[105:106], v[90:91], v[92:93]
	v_fma_f64 v[90:91], v[92:93], v[105:106], v[90:91]
	v_div_scale_f64 v[92:93], null, v[90:91], v[90:91], 1.0
	v_rcp_f64_e32 v[107:108], v[92:93]
	v_fma_f64 v[109:110], -v[92:93], v[107:108], 1.0
	v_fma_f64 v[107:108], v[107:108], v[109:110], v[107:108]
	v_fma_f64 v[109:110], -v[92:93], v[107:108], 1.0
	v_fma_f64 v[107:108], v[107:108], v[109:110], v[107:108]
	v_div_scale_f64 v[109:110], vcc_lo, 1.0, v[90:91], 1.0
	v_mul_f64 v[111:112], v[109:110], v[107:108]
	v_fma_f64 v[92:93], -v[92:93], v[111:112], v[109:110]
	v_div_fmas_f64 v[92:93], v[92:93], v[107:108], v[111:112]
	v_div_fixup_f64 v[90:91], v[92:93], v[90:91], 1.0
	v_mul_f64 v[92:93], v[105:106], -v[90:91]
.LBB42_387:
	s_or_b32 exec_lo, exec_lo, s1
.LBB42_388:
	s_or_b32 exec_lo, exec_lo, s0
	s_mov_b32 s0, exec_lo
	v_cmpx_ne_u32_e64 v104, v98
	s_xor_b32 s0, exec_lo, s0
	s_cbranch_execz .LBB42_394
; %bb.389:
	s_mov_b32 s1, exec_lo
	v_cmpx_eq_u32_e32 18, v104
	s_cbranch_execz .LBB42_393
; %bb.390:
	v_cmp_ne_u32_e32 vcc_lo, 18, v98
	s_xor_b32 s2, s16, -1
	s_and_b32 s3, s2, vcc_lo
	s_and_saveexec_b32 s2, s3
	s_cbranch_execz .LBB42_392
; %bb.391:
	v_ashrrev_i32_e32 v99, 31, v98
	v_lshlrev_b64 v[104:105], 2, v[98:99]
	v_add_co_u32 v104, vcc_lo, v96, v104
	v_add_co_ci_u32_e64 v105, null, v97, v105, vcc_lo
	s_clause 0x1
	global_load_dword v0, v[104:105], off
	global_load_dword v99, v[96:97], off offset:72
	s_waitcnt vmcnt(1)
	global_store_dword v[96:97], v0, off offset:72
	s_waitcnt vmcnt(0)
	global_store_dword v[104:105], v99, off
.LBB42_392:
	s_or_b32 exec_lo, exec_lo, s2
	v_mov_b32_e32 v104, v98
	v_mov_b32_e32 v0, v98
.LBB42_393:
	s_or_b32 exec_lo, exec_lo, s1
.LBB42_394:
	s_andn2_saveexec_b32 s0, s0
	s_cbranch_execz .LBB42_396
; %bb.395:
	v_mov_b32_e32 v104, 18
	ds_write2_b64 v1, v[10:11], v[12:13] offset0:38 offset1:39
	ds_write2_b64 v1, v[6:7], v[8:9] offset0:40 offset1:41
	;; [unrolled: 1-line block ×3, first 2 shown]
.LBB42_396:
	s_or_b32 exec_lo, exec_lo, s0
	s_mov_b32 s0, exec_lo
	s_waitcnt lgkmcnt(0)
	s_waitcnt_vscnt null, 0x0
	s_barrier
	buffer_gl0_inv
	v_cmpx_lt_i32_e32 18, v104
	s_cbranch_execz .LBB42_398
; %bb.397:
	v_mul_f64 v[98:99], v[90:91], v[16:17]
	v_mul_f64 v[16:17], v[92:93], v[16:17]
	ds_read2_b64 v[105:108], v1 offset0:38 offset1:39
	ds_read2_b64 v[109:112], v1 offset0:40 offset1:41
	;; [unrolled: 1-line block ×3, first 2 shown]
	v_fma_f64 v[92:93], v[92:93], v[14:15], v[98:99]
	v_fma_f64 v[14:15], v[90:91], v[14:15], -v[16:17]
	s_waitcnt lgkmcnt(2)
	v_mul_f64 v[16:17], v[107:108], v[92:93]
	v_mul_f64 v[90:91], v[105:106], v[92:93]
	s_waitcnt lgkmcnt(1)
	v_mul_f64 v[98:99], v[111:112], v[92:93]
	v_mul_f64 v[117:118], v[109:110], v[92:93]
	;; [unrolled: 3-line block ×3, first 2 shown]
	v_fma_f64 v[16:17], v[105:106], v[14:15], -v[16:17]
	v_fma_f64 v[90:91], v[107:108], v[14:15], v[90:91]
	v_fma_f64 v[98:99], v[109:110], v[14:15], -v[98:99]
	v_fma_f64 v[105:106], v[111:112], v[14:15], v[117:118]
	;; [unrolled: 2-line block ×3, first 2 shown]
	v_add_f64 v[10:11], v[10:11], -v[16:17]
	v_add_f64 v[12:13], v[12:13], -v[90:91]
	;; [unrolled: 1-line block ×6, first 2 shown]
	v_mov_b32_e32 v16, v92
	v_mov_b32_e32 v17, v93
.LBB42_398:
	s_or_b32 exec_lo, exec_lo, s0
	v_lshl_add_u32 v90, v104, 4, v1
	s_barrier
	buffer_gl0_inv
	v_mov_b32_e32 v98, 19
	ds_write2_b64 v90, v[10:11], v[12:13] offset1:1
	s_waitcnt lgkmcnt(0)
	s_barrier
	buffer_gl0_inv
	ds_read2_b64 v[90:93], v1 offset0:38 offset1:39
	s_cmp_lt_i32 s18, 21
	s_cbranch_scc1 .LBB42_401
; %bb.399:
	v_add3_u32 v99, v100, 0, 0x140
	v_mov_b32_e32 v98, 19
	s_mov_b32 s1, 20
	s_inst_prefetch 0x1
	.p2align	6
.LBB42_400:                             ; =>This Inner Loop Header: Depth=1
	s_waitcnt lgkmcnt(0)
	v_cmp_gt_f64_e32 vcc_lo, 0, v[92:93]
	v_cmp_gt_f64_e64 s0, 0, v[90:91]
	ds_read2_b64 v[105:108], v99 offset1:1
	v_xor_b32_e32 v110, 0x80000000, v91
	v_xor_b32_e32 v112, 0x80000000, v93
	v_mov_b32_e32 v109, v90
	v_mov_b32_e32 v111, v92
	v_add_nc_u32_e32 v99, 16, v99
	s_waitcnt lgkmcnt(0)
	v_xor_b32_e32 v114, 0x80000000, v108
	v_cndmask_b32_e64 v110, v91, v110, s0
	v_cndmask_b32_e32 v112, v93, v112, vcc_lo
	v_cmp_gt_f64_e32 vcc_lo, 0, v[107:108]
	v_cmp_gt_f64_e64 s0, 0, v[105:106]
	v_mov_b32_e32 v113, v107
	v_add_f64 v[109:110], v[109:110], v[111:112]
	v_xor_b32_e32 v112, 0x80000000, v106
	v_mov_b32_e32 v111, v105
	v_cndmask_b32_e32 v114, v108, v114, vcc_lo
	v_cndmask_b32_e64 v112, v106, v112, s0
	v_add_f64 v[111:112], v[111:112], v[113:114]
	v_cmp_lt_f64_e32 vcc_lo, v[109:110], v[111:112]
	v_cndmask_b32_e32 v91, v91, v106, vcc_lo
	v_cndmask_b32_e32 v90, v90, v105, vcc_lo
	;; [unrolled: 1-line block ×4, first 2 shown]
	v_cndmask_b32_e64 v98, v98, s1, vcc_lo
	s_add_i32 s1, s1, 1
	s_cmp_lg_u32 s18, s1
	s_cbranch_scc1 .LBB42_400
.LBB42_401:
	s_inst_prefetch 0x2
	s_waitcnt lgkmcnt(0)
	v_cmp_eq_f64_e32 vcc_lo, 0, v[90:91]
	v_cmp_eq_f64_e64 s0, 0, v[92:93]
	s_and_b32 s0, vcc_lo, s0
	s_and_saveexec_b32 s1, s0
	s_xor_b32 s0, exec_lo, s1
; %bb.402:
	v_cmp_ne_u32_e32 vcc_lo, 0, v103
	v_cndmask_b32_e32 v103, 20, v103, vcc_lo
; %bb.403:
	s_andn2_saveexec_b32 s0, s0
	s_cbranch_execz .LBB42_409
; %bb.404:
	v_cmp_ngt_f64_e64 s1, |v[90:91]|, |v[92:93]|
	s_and_saveexec_b32 s2, s1
	s_xor_b32 s1, exec_lo, s2
	s_cbranch_execz .LBB42_406
; %bb.405:
	v_div_scale_f64 v[105:106], null, v[92:93], v[92:93], v[90:91]
	v_div_scale_f64 v[111:112], vcc_lo, v[90:91], v[92:93], v[90:91]
	v_rcp_f64_e32 v[107:108], v[105:106]
	v_fma_f64 v[109:110], -v[105:106], v[107:108], 1.0
	v_fma_f64 v[107:108], v[107:108], v[109:110], v[107:108]
	v_fma_f64 v[109:110], -v[105:106], v[107:108], 1.0
	v_fma_f64 v[107:108], v[107:108], v[109:110], v[107:108]
	v_mul_f64 v[109:110], v[111:112], v[107:108]
	v_fma_f64 v[105:106], -v[105:106], v[109:110], v[111:112]
	v_div_fmas_f64 v[105:106], v[105:106], v[107:108], v[109:110]
	v_div_fixup_f64 v[105:106], v[105:106], v[92:93], v[90:91]
	v_fma_f64 v[90:91], v[90:91], v[105:106], v[92:93]
	v_div_scale_f64 v[92:93], null, v[90:91], v[90:91], 1.0
	v_rcp_f64_e32 v[107:108], v[92:93]
	v_fma_f64 v[109:110], -v[92:93], v[107:108], 1.0
	v_fma_f64 v[107:108], v[107:108], v[109:110], v[107:108]
	v_fma_f64 v[109:110], -v[92:93], v[107:108], 1.0
	v_fma_f64 v[107:108], v[107:108], v[109:110], v[107:108]
	v_div_scale_f64 v[109:110], vcc_lo, 1.0, v[90:91], 1.0
	v_mul_f64 v[111:112], v[109:110], v[107:108]
	v_fma_f64 v[92:93], -v[92:93], v[111:112], v[109:110]
	v_div_fmas_f64 v[92:93], v[92:93], v[107:108], v[111:112]
	v_div_fixup_f64 v[92:93], v[92:93], v[90:91], 1.0
	v_mul_f64 v[90:91], v[105:106], v[92:93]
	v_xor_b32_e32 v93, 0x80000000, v93
.LBB42_406:
	s_andn2_saveexec_b32 s1, s1
	s_cbranch_execz .LBB42_408
; %bb.407:
	v_div_scale_f64 v[105:106], null, v[90:91], v[90:91], v[92:93]
	v_div_scale_f64 v[111:112], vcc_lo, v[92:93], v[90:91], v[92:93]
	v_rcp_f64_e32 v[107:108], v[105:106]
	v_fma_f64 v[109:110], -v[105:106], v[107:108], 1.0
	v_fma_f64 v[107:108], v[107:108], v[109:110], v[107:108]
	v_fma_f64 v[109:110], -v[105:106], v[107:108], 1.0
	v_fma_f64 v[107:108], v[107:108], v[109:110], v[107:108]
	v_mul_f64 v[109:110], v[111:112], v[107:108]
	v_fma_f64 v[105:106], -v[105:106], v[109:110], v[111:112]
	v_div_fmas_f64 v[105:106], v[105:106], v[107:108], v[109:110]
	v_div_fixup_f64 v[105:106], v[105:106], v[90:91], v[92:93]
	v_fma_f64 v[90:91], v[92:93], v[105:106], v[90:91]
	v_div_scale_f64 v[92:93], null, v[90:91], v[90:91], 1.0
	v_rcp_f64_e32 v[107:108], v[92:93]
	v_fma_f64 v[109:110], -v[92:93], v[107:108], 1.0
	v_fma_f64 v[107:108], v[107:108], v[109:110], v[107:108]
	v_fma_f64 v[109:110], -v[92:93], v[107:108], 1.0
	v_fma_f64 v[107:108], v[107:108], v[109:110], v[107:108]
	v_div_scale_f64 v[109:110], vcc_lo, 1.0, v[90:91], 1.0
	v_mul_f64 v[111:112], v[109:110], v[107:108]
	v_fma_f64 v[92:93], -v[92:93], v[111:112], v[109:110]
	v_div_fmas_f64 v[92:93], v[92:93], v[107:108], v[111:112]
	v_div_fixup_f64 v[90:91], v[92:93], v[90:91], 1.0
	v_mul_f64 v[92:93], v[105:106], -v[90:91]
.LBB42_408:
	s_or_b32 exec_lo, exec_lo, s1
.LBB42_409:
	s_or_b32 exec_lo, exec_lo, s0
	s_mov_b32 s0, exec_lo
	v_cmpx_ne_u32_e64 v104, v98
	s_xor_b32 s0, exec_lo, s0
	s_cbranch_execz .LBB42_415
; %bb.410:
	s_mov_b32 s1, exec_lo
	v_cmpx_eq_u32_e32 19, v104
	s_cbranch_execz .LBB42_414
; %bb.411:
	v_cmp_ne_u32_e32 vcc_lo, 19, v98
	s_xor_b32 s2, s16, -1
	s_and_b32 s3, s2, vcc_lo
	s_and_saveexec_b32 s2, s3
	s_cbranch_execz .LBB42_413
; %bb.412:
	v_ashrrev_i32_e32 v99, 31, v98
	v_lshlrev_b64 v[104:105], 2, v[98:99]
	v_add_co_u32 v104, vcc_lo, v96, v104
	v_add_co_ci_u32_e64 v105, null, v97, v105, vcc_lo
	s_clause 0x1
	global_load_dword v0, v[104:105], off
	global_load_dword v99, v[96:97], off offset:76
	s_waitcnt vmcnt(1)
	global_store_dword v[96:97], v0, off offset:76
	s_waitcnt vmcnt(0)
	global_store_dword v[104:105], v99, off
.LBB42_413:
	s_or_b32 exec_lo, exec_lo, s2
	v_mov_b32_e32 v104, v98
	v_mov_b32_e32 v0, v98
.LBB42_414:
	s_or_b32 exec_lo, exec_lo, s1
.LBB42_415:
	s_andn2_saveexec_b32 s0, s0
	s_cbranch_execz .LBB42_417
; %bb.416:
	v_mov_b32_e32 v104, 19
	ds_write2_b64 v1, v[6:7], v[8:9] offset0:40 offset1:41
	ds_write2_b64 v1, v[2:3], v[4:5] offset0:42 offset1:43
.LBB42_417:
	s_or_b32 exec_lo, exec_lo, s0
	s_mov_b32 s0, exec_lo
	s_waitcnt lgkmcnt(0)
	s_waitcnt_vscnt null, 0x0
	s_barrier
	buffer_gl0_inv
	v_cmpx_lt_i32_e32 19, v104
	s_cbranch_execz .LBB42_419
; %bb.418:
	v_mul_f64 v[98:99], v[90:91], v[12:13]
	v_mul_f64 v[12:13], v[92:93], v[12:13]
	ds_read2_b64 v[105:108], v1 offset0:40 offset1:41
	ds_read2_b64 v[109:112], v1 offset0:42 offset1:43
	v_fma_f64 v[92:93], v[92:93], v[10:11], v[98:99]
	v_fma_f64 v[10:11], v[90:91], v[10:11], -v[12:13]
	s_waitcnt lgkmcnt(1)
	v_mul_f64 v[12:13], v[107:108], v[92:93]
	v_mul_f64 v[90:91], v[105:106], v[92:93]
	s_waitcnt lgkmcnt(0)
	v_mul_f64 v[98:99], v[111:112], v[92:93]
	v_mul_f64 v[113:114], v[109:110], v[92:93]
	v_fma_f64 v[12:13], v[105:106], v[10:11], -v[12:13]
	v_fma_f64 v[90:91], v[107:108], v[10:11], v[90:91]
	v_fma_f64 v[98:99], v[109:110], v[10:11], -v[98:99]
	v_fma_f64 v[105:106], v[111:112], v[10:11], v[113:114]
	v_add_f64 v[6:7], v[6:7], -v[12:13]
	v_add_f64 v[8:9], v[8:9], -v[90:91]
	;; [unrolled: 1-line block ×4, first 2 shown]
	v_mov_b32_e32 v12, v92
	v_mov_b32_e32 v13, v93
.LBB42_419:
	s_or_b32 exec_lo, exec_lo, s0
	v_lshl_add_u32 v90, v104, 4, v1
	s_barrier
	buffer_gl0_inv
	v_mov_b32_e32 v98, 20
	ds_write2_b64 v90, v[6:7], v[8:9] offset1:1
	s_waitcnt lgkmcnt(0)
	s_barrier
	buffer_gl0_inv
	ds_read2_b64 v[90:93], v1 offset0:40 offset1:41
	s_cmp_lt_i32 s18, 22
	s_cbranch_scc1 .LBB42_422
; %bb.420:
	v_add3_u32 v99, v100, 0, 0x150
	v_mov_b32_e32 v98, 20
	s_mov_b32 s1, 21
	s_inst_prefetch 0x1
	.p2align	6
.LBB42_421:                             ; =>This Inner Loop Header: Depth=1
	s_waitcnt lgkmcnt(0)
	v_cmp_gt_f64_e32 vcc_lo, 0, v[92:93]
	v_cmp_gt_f64_e64 s0, 0, v[90:91]
	ds_read2_b64 v[105:108], v99 offset1:1
	v_xor_b32_e32 v110, 0x80000000, v91
	v_xor_b32_e32 v112, 0x80000000, v93
	v_mov_b32_e32 v109, v90
	v_mov_b32_e32 v111, v92
	v_add_nc_u32_e32 v99, 16, v99
	s_waitcnt lgkmcnt(0)
	v_xor_b32_e32 v114, 0x80000000, v108
	v_cndmask_b32_e64 v110, v91, v110, s0
	v_cndmask_b32_e32 v112, v93, v112, vcc_lo
	v_cmp_gt_f64_e32 vcc_lo, 0, v[107:108]
	v_cmp_gt_f64_e64 s0, 0, v[105:106]
	v_mov_b32_e32 v113, v107
	v_add_f64 v[109:110], v[109:110], v[111:112]
	v_xor_b32_e32 v112, 0x80000000, v106
	v_mov_b32_e32 v111, v105
	v_cndmask_b32_e32 v114, v108, v114, vcc_lo
	v_cndmask_b32_e64 v112, v106, v112, s0
	v_add_f64 v[111:112], v[111:112], v[113:114]
	v_cmp_lt_f64_e32 vcc_lo, v[109:110], v[111:112]
	v_cndmask_b32_e32 v91, v91, v106, vcc_lo
	v_cndmask_b32_e32 v90, v90, v105, vcc_lo
	;; [unrolled: 1-line block ×4, first 2 shown]
	v_cndmask_b32_e64 v98, v98, s1, vcc_lo
	s_add_i32 s1, s1, 1
	s_cmp_lg_u32 s18, s1
	s_cbranch_scc1 .LBB42_421
.LBB42_422:
	s_inst_prefetch 0x2
	s_waitcnt lgkmcnt(0)
	v_cmp_eq_f64_e32 vcc_lo, 0, v[90:91]
	v_cmp_eq_f64_e64 s0, 0, v[92:93]
	s_and_b32 s0, vcc_lo, s0
	s_and_saveexec_b32 s1, s0
	s_xor_b32 s0, exec_lo, s1
; %bb.423:
	v_cmp_ne_u32_e32 vcc_lo, 0, v103
	v_cndmask_b32_e32 v103, 21, v103, vcc_lo
; %bb.424:
	s_andn2_saveexec_b32 s0, s0
	s_cbranch_execz .LBB42_430
; %bb.425:
	v_cmp_ngt_f64_e64 s1, |v[90:91]|, |v[92:93]|
	s_and_saveexec_b32 s2, s1
	s_xor_b32 s1, exec_lo, s2
	s_cbranch_execz .LBB42_427
; %bb.426:
	v_div_scale_f64 v[105:106], null, v[92:93], v[92:93], v[90:91]
	v_div_scale_f64 v[111:112], vcc_lo, v[90:91], v[92:93], v[90:91]
	v_rcp_f64_e32 v[107:108], v[105:106]
	v_fma_f64 v[109:110], -v[105:106], v[107:108], 1.0
	v_fma_f64 v[107:108], v[107:108], v[109:110], v[107:108]
	v_fma_f64 v[109:110], -v[105:106], v[107:108], 1.0
	v_fma_f64 v[107:108], v[107:108], v[109:110], v[107:108]
	v_mul_f64 v[109:110], v[111:112], v[107:108]
	v_fma_f64 v[105:106], -v[105:106], v[109:110], v[111:112]
	v_div_fmas_f64 v[105:106], v[105:106], v[107:108], v[109:110]
	v_div_fixup_f64 v[105:106], v[105:106], v[92:93], v[90:91]
	v_fma_f64 v[90:91], v[90:91], v[105:106], v[92:93]
	v_div_scale_f64 v[92:93], null, v[90:91], v[90:91], 1.0
	v_rcp_f64_e32 v[107:108], v[92:93]
	v_fma_f64 v[109:110], -v[92:93], v[107:108], 1.0
	v_fma_f64 v[107:108], v[107:108], v[109:110], v[107:108]
	v_fma_f64 v[109:110], -v[92:93], v[107:108], 1.0
	v_fma_f64 v[107:108], v[107:108], v[109:110], v[107:108]
	v_div_scale_f64 v[109:110], vcc_lo, 1.0, v[90:91], 1.0
	v_mul_f64 v[111:112], v[109:110], v[107:108]
	v_fma_f64 v[92:93], -v[92:93], v[111:112], v[109:110]
	v_div_fmas_f64 v[92:93], v[92:93], v[107:108], v[111:112]
	v_div_fixup_f64 v[92:93], v[92:93], v[90:91], 1.0
	v_mul_f64 v[90:91], v[105:106], v[92:93]
	v_xor_b32_e32 v93, 0x80000000, v93
.LBB42_427:
	s_andn2_saveexec_b32 s1, s1
	s_cbranch_execz .LBB42_429
; %bb.428:
	v_div_scale_f64 v[105:106], null, v[90:91], v[90:91], v[92:93]
	v_div_scale_f64 v[111:112], vcc_lo, v[92:93], v[90:91], v[92:93]
	v_rcp_f64_e32 v[107:108], v[105:106]
	v_fma_f64 v[109:110], -v[105:106], v[107:108], 1.0
	v_fma_f64 v[107:108], v[107:108], v[109:110], v[107:108]
	v_fma_f64 v[109:110], -v[105:106], v[107:108], 1.0
	v_fma_f64 v[107:108], v[107:108], v[109:110], v[107:108]
	v_mul_f64 v[109:110], v[111:112], v[107:108]
	v_fma_f64 v[105:106], -v[105:106], v[109:110], v[111:112]
	v_div_fmas_f64 v[105:106], v[105:106], v[107:108], v[109:110]
	v_div_fixup_f64 v[105:106], v[105:106], v[90:91], v[92:93]
	v_fma_f64 v[90:91], v[92:93], v[105:106], v[90:91]
	v_div_scale_f64 v[92:93], null, v[90:91], v[90:91], 1.0
	v_rcp_f64_e32 v[107:108], v[92:93]
	v_fma_f64 v[109:110], -v[92:93], v[107:108], 1.0
	v_fma_f64 v[107:108], v[107:108], v[109:110], v[107:108]
	v_fma_f64 v[109:110], -v[92:93], v[107:108], 1.0
	v_fma_f64 v[107:108], v[107:108], v[109:110], v[107:108]
	v_div_scale_f64 v[109:110], vcc_lo, 1.0, v[90:91], 1.0
	v_mul_f64 v[111:112], v[109:110], v[107:108]
	v_fma_f64 v[92:93], -v[92:93], v[111:112], v[109:110]
	v_div_fmas_f64 v[92:93], v[92:93], v[107:108], v[111:112]
	v_div_fixup_f64 v[90:91], v[92:93], v[90:91], 1.0
	v_mul_f64 v[92:93], v[105:106], -v[90:91]
.LBB42_429:
	s_or_b32 exec_lo, exec_lo, s1
.LBB42_430:
	s_or_b32 exec_lo, exec_lo, s0
	s_mov_b32 s0, exec_lo
	v_cmpx_ne_u32_e64 v104, v98
	s_xor_b32 s0, exec_lo, s0
	s_cbranch_execz .LBB42_436
; %bb.431:
	s_mov_b32 s1, exec_lo
	v_cmpx_eq_u32_e32 20, v104
	s_cbranch_execz .LBB42_435
; %bb.432:
	v_cmp_ne_u32_e32 vcc_lo, 20, v98
	s_xor_b32 s2, s16, -1
	s_and_b32 s3, s2, vcc_lo
	s_and_saveexec_b32 s2, s3
	s_cbranch_execz .LBB42_434
; %bb.433:
	v_ashrrev_i32_e32 v99, 31, v98
	v_lshlrev_b64 v[104:105], 2, v[98:99]
	v_add_co_u32 v104, vcc_lo, v96, v104
	v_add_co_ci_u32_e64 v105, null, v97, v105, vcc_lo
	s_clause 0x1
	global_load_dword v0, v[104:105], off
	global_load_dword v99, v[96:97], off offset:80
	s_waitcnt vmcnt(1)
	global_store_dword v[96:97], v0, off offset:80
	s_waitcnt vmcnt(0)
	global_store_dword v[104:105], v99, off
.LBB42_434:
	s_or_b32 exec_lo, exec_lo, s2
	v_mov_b32_e32 v104, v98
	v_mov_b32_e32 v0, v98
.LBB42_435:
	s_or_b32 exec_lo, exec_lo, s1
.LBB42_436:
	s_andn2_saveexec_b32 s0, s0
; %bb.437:
	v_mov_b32_e32 v104, 20
	ds_write2_b64 v1, v[2:3], v[4:5] offset0:42 offset1:43
; %bb.438:
	s_or_b32 exec_lo, exec_lo, s0
	s_mov_b32 s0, exec_lo
	s_waitcnt lgkmcnt(0)
	s_waitcnt_vscnt null, 0x0
	s_barrier
	buffer_gl0_inv
	v_cmpx_lt_i32_e32 20, v104
	s_cbranch_execz .LBB42_440
; %bb.439:
	v_mul_f64 v[98:99], v[90:91], v[8:9]
	v_mul_f64 v[8:9], v[92:93], v[8:9]
	ds_read2_b64 v[105:108], v1 offset0:42 offset1:43
	v_fma_f64 v[92:93], v[92:93], v[6:7], v[98:99]
	v_fma_f64 v[6:7], v[90:91], v[6:7], -v[8:9]
	s_waitcnt lgkmcnt(0)
	v_mul_f64 v[8:9], v[107:108], v[92:93]
	v_mul_f64 v[90:91], v[105:106], v[92:93]
	v_fma_f64 v[8:9], v[105:106], v[6:7], -v[8:9]
	v_fma_f64 v[90:91], v[107:108], v[6:7], v[90:91]
	v_add_f64 v[2:3], v[2:3], -v[8:9]
	v_add_f64 v[4:5], v[4:5], -v[90:91]
	v_mov_b32_e32 v8, v92
	v_mov_b32_e32 v9, v93
.LBB42_440:
	s_or_b32 exec_lo, exec_lo, s0
	v_lshl_add_u32 v90, v104, 4, v1
	s_barrier
	buffer_gl0_inv
	v_mov_b32_e32 v98, 21
	ds_write2_b64 v90, v[2:3], v[4:5] offset1:1
	s_waitcnt lgkmcnt(0)
	s_barrier
	buffer_gl0_inv
	ds_read2_b64 v[90:93], v1 offset0:42 offset1:43
	s_cmp_lt_i32 s18, 23
	s_cbranch_scc1 .LBB42_443
; %bb.441:
	v_add3_u32 v1, v100, 0, 0x160
	v_mov_b32_e32 v98, 21
	s_mov_b32 s1, 22
	s_inst_prefetch 0x1
	.p2align	6
.LBB42_442:                             ; =>This Inner Loop Header: Depth=1
	s_waitcnt lgkmcnt(0)
	v_cmp_gt_f64_e32 vcc_lo, 0, v[92:93]
	v_cmp_gt_f64_e64 s0, 0, v[90:91]
	ds_read2_b64 v[105:108], v1 offset1:1
	v_xor_b32_e32 v100, 0x80000000, v91
	v_xor_b32_e32 v110, 0x80000000, v93
	v_mov_b32_e32 v99, v90
	v_mov_b32_e32 v109, v92
	v_add_nc_u32_e32 v1, 16, v1
	s_waitcnt lgkmcnt(0)
	v_xor_b32_e32 v112, 0x80000000, v108
	v_cndmask_b32_e64 v100, v91, v100, s0
	v_cndmask_b32_e32 v110, v93, v110, vcc_lo
	v_cmp_gt_f64_e32 vcc_lo, 0, v[107:108]
	v_cmp_gt_f64_e64 s0, 0, v[105:106]
	v_mov_b32_e32 v111, v107
	v_add_f64 v[99:100], v[99:100], v[109:110]
	v_xor_b32_e32 v110, 0x80000000, v106
	v_mov_b32_e32 v109, v105
	v_cndmask_b32_e32 v112, v108, v112, vcc_lo
	v_cndmask_b32_e64 v110, v106, v110, s0
	v_add_f64 v[109:110], v[109:110], v[111:112]
	v_cmp_lt_f64_e32 vcc_lo, v[99:100], v[109:110]
	v_cndmask_b32_e32 v91, v91, v106, vcc_lo
	v_cndmask_b32_e32 v90, v90, v105, vcc_lo
	;; [unrolled: 1-line block ×4, first 2 shown]
	v_cndmask_b32_e64 v98, v98, s1, vcc_lo
	s_add_i32 s1, s1, 1
	s_cmp_lg_u32 s18, s1
	s_cbranch_scc1 .LBB42_442
.LBB42_443:
	s_inst_prefetch 0x2
	s_waitcnt lgkmcnt(0)
	v_cmp_eq_f64_e32 vcc_lo, 0, v[90:91]
	v_cmp_eq_f64_e64 s0, 0, v[92:93]
	s_and_b32 s0, vcc_lo, s0
	s_and_saveexec_b32 s1, s0
	s_xor_b32 s0, exec_lo, s1
; %bb.444:
	v_cmp_ne_u32_e32 vcc_lo, 0, v103
	v_cndmask_b32_e32 v103, 22, v103, vcc_lo
; %bb.445:
	s_andn2_saveexec_b32 s0, s0
	s_cbranch_execz .LBB42_451
; %bb.446:
	v_cmp_ngt_f64_e64 s1, |v[90:91]|, |v[92:93]|
	s_and_saveexec_b32 s2, s1
	s_xor_b32 s1, exec_lo, s2
	s_cbranch_execz .LBB42_448
; %bb.447:
	v_div_scale_f64 v[99:100], null, v[92:93], v[92:93], v[90:91]
	v_div_scale_f64 v[109:110], vcc_lo, v[90:91], v[92:93], v[90:91]
	v_rcp_f64_e32 v[105:106], v[99:100]
	v_fma_f64 v[107:108], -v[99:100], v[105:106], 1.0
	v_fma_f64 v[105:106], v[105:106], v[107:108], v[105:106]
	v_fma_f64 v[107:108], -v[99:100], v[105:106], 1.0
	v_fma_f64 v[105:106], v[105:106], v[107:108], v[105:106]
	v_mul_f64 v[107:108], v[109:110], v[105:106]
	v_fma_f64 v[99:100], -v[99:100], v[107:108], v[109:110]
	v_div_fmas_f64 v[99:100], v[99:100], v[105:106], v[107:108]
	v_div_fixup_f64 v[99:100], v[99:100], v[92:93], v[90:91]
	v_fma_f64 v[90:91], v[90:91], v[99:100], v[92:93]
	v_div_scale_f64 v[92:93], null, v[90:91], v[90:91], 1.0
	v_rcp_f64_e32 v[105:106], v[92:93]
	v_fma_f64 v[107:108], -v[92:93], v[105:106], 1.0
	v_fma_f64 v[105:106], v[105:106], v[107:108], v[105:106]
	v_fma_f64 v[107:108], -v[92:93], v[105:106], 1.0
	v_fma_f64 v[105:106], v[105:106], v[107:108], v[105:106]
	v_div_scale_f64 v[107:108], vcc_lo, 1.0, v[90:91], 1.0
	v_mul_f64 v[109:110], v[107:108], v[105:106]
	v_fma_f64 v[92:93], -v[92:93], v[109:110], v[107:108]
	v_div_fmas_f64 v[92:93], v[92:93], v[105:106], v[109:110]
	v_div_fixup_f64 v[92:93], v[92:93], v[90:91], 1.0
	v_mul_f64 v[90:91], v[99:100], v[92:93]
	v_xor_b32_e32 v93, 0x80000000, v93
.LBB42_448:
	s_andn2_saveexec_b32 s1, s1
	s_cbranch_execz .LBB42_450
; %bb.449:
	v_div_scale_f64 v[99:100], null, v[90:91], v[90:91], v[92:93]
	v_div_scale_f64 v[109:110], vcc_lo, v[92:93], v[90:91], v[92:93]
	v_rcp_f64_e32 v[105:106], v[99:100]
	v_fma_f64 v[107:108], -v[99:100], v[105:106], 1.0
	v_fma_f64 v[105:106], v[105:106], v[107:108], v[105:106]
	v_fma_f64 v[107:108], -v[99:100], v[105:106], 1.0
	v_fma_f64 v[105:106], v[105:106], v[107:108], v[105:106]
	v_mul_f64 v[107:108], v[109:110], v[105:106]
	v_fma_f64 v[99:100], -v[99:100], v[107:108], v[109:110]
	v_div_fmas_f64 v[99:100], v[99:100], v[105:106], v[107:108]
	v_div_fixup_f64 v[99:100], v[99:100], v[90:91], v[92:93]
	v_fma_f64 v[90:91], v[92:93], v[99:100], v[90:91]
	v_div_scale_f64 v[92:93], null, v[90:91], v[90:91], 1.0
	v_rcp_f64_e32 v[105:106], v[92:93]
	v_fma_f64 v[107:108], -v[92:93], v[105:106], 1.0
	v_fma_f64 v[105:106], v[105:106], v[107:108], v[105:106]
	v_fma_f64 v[107:108], -v[92:93], v[105:106], 1.0
	v_fma_f64 v[105:106], v[105:106], v[107:108], v[105:106]
	v_div_scale_f64 v[107:108], vcc_lo, 1.0, v[90:91], 1.0
	v_mul_f64 v[109:110], v[107:108], v[105:106]
	v_fma_f64 v[92:93], -v[92:93], v[109:110], v[107:108]
	v_div_fmas_f64 v[92:93], v[92:93], v[105:106], v[109:110]
	v_div_fixup_f64 v[90:91], v[92:93], v[90:91], 1.0
	v_mul_f64 v[92:93], v[99:100], -v[90:91]
.LBB42_450:
	s_or_b32 exec_lo, exec_lo, s1
.LBB42_451:
	s_or_b32 exec_lo, exec_lo, s0
	v_mov_b32_e32 v99, 21
	s_mov_b32 s0, exec_lo
	v_cmpx_ne_u32_e64 v104, v98
	s_cbranch_execz .LBB42_457
; %bb.452:
	s_mov_b32 s1, exec_lo
	v_cmpx_eq_u32_e32 21, v104
	s_cbranch_execz .LBB42_456
; %bb.453:
	v_cmp_ne_u32_e32 vcc_lo, 21, v98
	s_xor_b32 s2, s16, -1
	s_and_b32 s3, s2, vcc_lo
	s_and_saveexec_b32 s2, s3
	s_cbranch_execz .LBB42_455
; %bb.454:
	v_ashrrev_i32_e32 v99, 31, v98
	v_lshlrev_b64 v[0:1], 2, v[98:99]
	v_add_co_u32 v0, vcc_lo, v96, v0
	v_add_co_ci_u32_e64 v1, null, v97, v1, vcc_lo
	s_clause 0x1
	global_load_dword v99, v[0:1], off
	global_load_dword v100, v[96:97], off offset:84
	s_waitcnt vmcnt(1)
	global_store_dword v[96:97], v99, off offset:84
	s_waitcnt vmcnt(0)
	global_store_dword v[0:1], v100, off
.LBB42_455:
	s_or_b32 exec_lo, exec_lo, s2
	v_mov_b32_e32 v104, v98
	v_mov_b32_e32 v0, v98
.LBB42_456:
	s_or_b32 exec_lo, exec_lo, s1
	v_mov_b32_e32 v99, v104
.LBB42_457:
	s_or_b32 exec_lo, exec_lo, s0
	s_mov_b32 s0, exec_lo
	s_waitcnt_vscnt null, 0x0
	s_barrier
	buffer_gl0_inv
	v_cmpx_lt_i32_e32 21, v99
	s_cbranch_execz .LBB42_459
; %bb.458:
	v_mul_f64 v[96:97], v[92:93], v[4:5]
	v_mul_f64 v[4:5], v[90:91], v[4:5]
	v_fma_f64 v[90:91], v[90:91], v[2:3], -v[96:97]
	v_fma_f64 v[4:5], v[92:93], v[2:3], v[4:5]
	v_mov_b32_e32 v2, v90
	v_mov_b32_e32 v3, v91
.LBB42_459:
	s_or_b32 exec_lo, exec_lo, s0
	v_ashrrev_i32_e32 v100, 31, v99
	s_mov_b32 s0, exec_lo
	s_barrier
	buffer_gl0_inv
	v_cmpx_gt_i32_e32 22, v99
	s_cbranch_execz .LBB42_461
; %bb.460:
	v_mul_lo_u32 v1, s15, v94
	v_mul_lo_u32 v92, s14, v95
	v_mad_u64_u32 v[90:91], null, s14, v94, 0
	s_lshl_b64 s[2:3], s[12:13], 2
	v_add3_u32 v0, v0, s17, 1
	v_add3_u32 v91, v91, v92, v1
	v_lshlrev_b64 v[90:91], 2, v[90:91]
	v_add_co_u32 v1, vcc_lo, s10, v90
	v_add_co_ci_u32_e64 v92, null, s11, v91, vcc_lo
	v_lshlrev_b64 v[90:91], 2, v[99:100]
	v_add_co_u32 v1, vcc_lo, v1, s2
	v_add_co_ci_u32_e64 v92, null, s3, v92, vcc_lo
	v_add_co_u32 v90, vcc_lo, v1, v90
	v_add_co_ci_u32_e64 v91, null, v92, v91, vcc_lo
	global_store_dword v[90:91], v0, off
.LBB42_461:
	s_or_b32 exec_lo, exec_lo, s0
	s_mov_b32 s1, exec_lo
	v_cmpx_eq_u32_e32 0, v99
	s_cbranch_execz .LBB42_464
; %bb.462:
	v_lshlrev_b64 v[0:1], 2, v[94:95]
	v_cmp_ne_u32_e64 s0, 0, v103
	v_add_co_u32 v0, vcc_lo, s4, v0
	v_add_co_ci_u32_e64 v1, null, s5, v1, vcc_lo
	global_load_dword v90, v[0:1], off
	s_waitcnt vmcnt(0)
	v_cmp_eq_u32_e32 vcc_lo, 0, v90
	s_and_b32 s0, vcc_lo, s0
	s_and_b32 exec_lo, exec_lo, s0
	s_cbranch_execz .LBB42_464
; %bb.463:
	v_add_nc_u32_e32 v90, s17, v103
	global_store_dword v[0:1], v90, off
.LBB42_464:
	s_or_b32 exec_lo, exec_lo, s1
	v_add3_u32 v0, s6, s6, v99
	v_lshlrev_b64 v[90:91], 4, v[99:100]
	v_add_nc_u32_e32 v92, s6, v0
	v_ashrrev_i32_e32 v1, 31, v0
	v_add_co_u32 v90, vcc_lo, v101, v90
	v_add_co_ci_u32_e64 v91, null, v102, v91, vcc_lo
	v_add_nc_u32_e32 v96, s6, v92
	v_add_co_u32 v94, vcc_lo, v90, s8
	v_ashrrev_i32_e32 v93, 31, v92
	v_add_co_ci_u32_e64 v95, null, s9, v91, vcc_lo
	v_ashrrev_i32_e32 v97, 31, v96
	v_lshlrev_b64 v[0:1], 4, v[0:1]
	global_store_dwordx4 v[90:91], v[78:81], off
	global_store_dwordx4 v[94:95], v[86:89], off
	v_lshlrev_b64 v[78:79], 4, v[92:93]
	v_add_nc_u32_e32 v86, s6, v96
	v_lshlrev_b64 v[80:81], 4, v[96:97]
	v_add_co_u32 v0, vcc_lo, v101, v0
	v_add_co_ci_u32_e64 v1, null, v102, v1, vcc_lo
	v_add_co_u32 v78, vcc_lo, v101, v78
	v_add_co_ci_u32_e64 v79, null, v102, v79, vcc_lo
	v_add_co_u32 v80, vcc_lo, v101, v80
	v_add_nc_u32_e32 v88, s6, v86
	v_add_co_ci_u32_e64 v81, null, v102, v81, vcc_lo
	v_ashrrev_i32_e32 v87, 31, v86
	global_store_dwordx4 v[0:1], v[66:69], off
	global_store_dwordx4 v[78:79], v[62:65], off
	;; [unrolled: 1-line block ×3, first 2 shown]
	v_add_nc_u32_e32 v64, s6, v88
	v_ashrrev_i32_e32 v89, 31, v88
	v_lshlrev_b64 v[0:1], 4, v[86:87]
	v_add_nc_u32_e32 v66, s6, v64
	v_lshlrev_b64 v[62:63], 4, v[88:89]
	v_ashrrev_i32_e32 v65, 31, v64
	v_add_co_u32 v0, vcc_lo, v101, v0
	v_add_nc_u32_e32 v68, s6, v66
	v_add_co_ci_u32_e64 v1, null, v102, v1, vcc_lo
	v_add_co_u32 v62, vcc_lo, v101, v62
	v_lshlrev_b64 v[64:65], 4, v[64:65]
	v_ashrrev_i32_e32 v67, 31, v66
	v_add_co_ci_u32_e64 v63, null, v102, v63, vcc_lo
	v_ashrrev_i32_e32 v69, 31, v68
	global_store_dwordx4 v[0:1], v[74:77], off
	global_store_dwordx4 v[62:63], v[70:73], off
	v_lshlrev_b64 v[0:1], 4, v[66:67]
	v_add_co_u32 v62, vcc_lo, v101, v64
	v_add_co_ci_u32_e64 v63, null, v102, v65, vcc_lo
	v_lshlrev_b64 v[64:65], 4, v[68:69]
	v_add_nc_u32_e32 v66, s6, v68
	v_add_co_u32 v0, vcc_lo, v101, v0
	v_add_co_ci_u32_e64 v1, null, v102, v1, vcc_lo
	v_add_co_u32 v64, vcc_lo, v101, v64
	v_add_nc_u32_e32 v68, s6, v66
	v_add_co_ci_u32_e64 v65, null, v102, v65, vcc_lo
	v_ashrrev_i32_e32 v67, 31, v66
	global_store_dwordx4 v[62:63], v[58:61], off
	global_store_dwordx4 v[0:1], v[54:57], off
	;; [unrolled: 1-line block ×3, first 2 shown]
	v_add_nc_u32_e32 v50, s6, v68
	v_ashrrev_i32_e32 v69, 31, v68
	v_lshlrev_b64 v[58:59], 4, v[66:67]
	v_add_nc_u32_e32 v54, s6, v50
	v_lshlrev_b64 v[0:1], 4, v[68:69]
	v_ashrrev_i32_e32 v51, 31, v50
	v_add_co_u32 v52, vcc_lo, v101, v58
	v_add_nc_u32_e32 v56, s6, v54
	v_add_co_ci_u32_e64 v53, null, v102, v59, vcc_lo
	v_add_co_u32 v0, vcc_lo, v101, v0
	v_ashrrev_i32_e32 v55, 31, v54
	v_add_co_ci_u32_e64 v1, null, v102, v1, vcc_lo
	v_ashrrev_i32_e32 v57, 31, v56
	v_lshlrev_b64 v[50:51], 4, v[50:51]
	global_store_dwordx4 v[52:53], v[46:49], off
	global_store_dwordx4 v[0:1], v[42:45], off
	v_lshlrev_b64 v[0:1], 4, v[54:55]
	v_add_nc_u32_e32 v46, s6, v56
	v_lshlrev_b64 v[44:45], 4, v[56:57]
	v_add_co_u32 v42, vcc_lo, v101, v50
	v_add_co_ci_u32_e64 v43, null, v102, v51, vcc_lo
	v_add_co_u32 v0, vcc_lo, v101, v0
	v_add_nc_u32_e32 v48, s6, v46
	v_add_co_ci_u32_e64 v1, null, v102, v1, vcc_lo
	v_add_co_u32 v44, vcc_lo, v101, v44
	v_ashrrev_i32_e32 v47, 31, v46
	v_add_co_ci_u32_e64 v45, null, v102, v45, vcc_lo
	v_ashrrev_i32_e32 v49, 31, v48
	global_store_dwordx4 v[42:43], v[38:41], off
	v_lshlrev_b64 v[38:39], 4, v[46:47]
	global_store_dwordx4 v[0:1], v[34:37], off
	global_store_dwordx4 v[44:45], v[30:33], off
	v_add_nc_u32_e32 v30, s6, v48
	v_lshlrev_b64 v[0:1], 4, v[48:49]
	v_add_co_u32 v32, vcc_lo, v101, v38
	v_add_nc_u32_e32 v34, s6, v30
	v_add_co_ci_u32_e64 v33, null, v102, v39, vcc_lo
	v_add_co_u32 v0, vcc_lo, v101, v0
	v_add_co_ci_u32_e64 v1, null, v102, v1, vcc_lo
	v_add_nc_u32_e32 v36, s6, v34
	v_ashrrev_i32_e32 v31, 31, v30
	global_store_dwordx4 v[32:33], v[26:29], off
	global_store_dwordx4 v[0:1], v[22:25], off
	v_ashrrev_i32_e32 v35, 31, v34
	v_add_nc_u32_e32 v22, s6, v36
	v_lshlrev_b64 v[26:27], 4, v[30:31]
	v_ashrrev_i32_e32 v37, 31, v36
	v_lshlrev_b64 v[0:1], 4, v[34:35]
	v_add_nc_u32_e32 v28, s6, v22
	v_ashrrev_i32_e32 v23, 31, v22
	v_add_co_u32 v24, vcc_lo, v101, v26
	v_add_co_ci_u32_e64 v25, null, v102, v27, vcc_lo
	v_ashrrev_i32_e32 v29, 31, v28
	v_lshlrev_b64 v[26:27], 4, v[36:37]
	v_lshlrev_b64 v[22:23], 4, v[22:23]
	v_add_co_u32 v0, vcc_lo, v101, v0
	v_lshlrev_b64 v[28:29], 4, v[28:29]
	v_add_co_ci_u32_e64 v1, null, v102, v1, vcc_lo
	v_add_co_u32 v26, vcc_lo, v101, v26
	v_add_co_ci_u32_e64 v27, null, v102, v27, vcc_lo
	v_add_co_u32 v22, vcc_lo, v101, v22
	;; [unrolled: 2-line block ×3, first 2 shown]
	v_add_co_ci_u32_e64 v29, null, v102, v29, vcc_lo
	global_store_dwordx4 v[24:25], v[18:21], off
	global_store_dwordx4 v[0:1], v[14:17], off
	;; [unrolled: 1-line block ×5, first 2 shown]
.LBB42_465:
	s_endpgm
	.section	.rodata,"a",@progbits
	.p2align	6, 0x0
	.amdhsa_kernel _ZN9rocsolver6v33100L18getf2_small_kernelILi22E19rocblas_complex_numIdEiiPS3_EEvT1_T3_lS5_lPS5_llPT2_S5_S5_S7_l
		.amdhsa_group_segment_fixed_size 0
		.amdhsa_private_segment_fixed_size 0
		.amdhsa_kernarg_size 352
		.amdhsa_user_sgpr_count 6
		.amdhsa_user_sgpr_private_segment_buffer 1
		.amdhsa_user_sgpr_dispatch_ptr 0
		.amdhsa_user_sgpr_queue_ptr 0
		.amdhsa_user_sgpr_kernarg_segment_ptr 1
		.amdhsa_user_sgpr_dispatch_id 0
		.amdhsa_user_sgpr_flat_scratch_init 0
		.amdhsa_user_sgpr_private_segment_size 0
		.amdhsa_wavefront_size32 1
		.amdhsa_uses_dynamic_stack 0
		.amdhsa_system_sgpr_private_segment_wavefront_offset 0
		.amdhsa_system_sgpr_workgroup_id_x 1
		.amdhsa_system_sgpr_workgroup_id_y 1
		.amdhsa_system_sgpr_workgroup_id_z 0
		.amdhsa_system_sgpr_workgroup_info 0
		.amdhsa_system_vgpr_workitem_id 1
		.amdhsa_next_free_vgpr 123
		.amdhsa_next_free_sgpr 19
		.amdhsa_reserve_vcc 1
		.amdhsa_reserve_flat_scratch 0
		.amdhsa_float_round_mode_32 0
		.amdhsa_float_round_mode_16_64 0
		.amdhsa_float_denorm_mode_32 3
		.amdhsa_float_denorm_mode_16_64 3
		.amdhsa_dx10_clamp 1
		.amdhsa_ieee_mode 1
		.amdhsa_fp16_overflow 0
		.amdhsa_workgroup_processor_mode 1
		.amdhsa_memory_ordered 1
		.amdhsa_forward_progress 1
		.amdhsa_shared_vgpr_count 0
		.amdhsa_exception_fp_ieee_invalid_op 0
		.amdhsa_exception_fp_denorm_src 0
		.amdhsa_exception_fp_ieee_div_zero 0
		.amdhsa_exception_fp_ieee_overflow 0
		.amdhsa_exception_fp_ieee_underflow 0
		.amdhsa_exception_fp_ieee_inexact 0
		.amdhsa_exception_int_div_zero 0
	.end_amdhsa_kernel
	.section	.text._ZN9rocsolver6v33100L18getf2_small_kernelILi22E19rocblas_complex_numIdEiiPS3_EEvT1_T3_lS5_lPS5_llPT2_S5_S5_S7_l,"axG",@progbits,_ZN9rocsolver6v33100L18getf2_small_kernelILi22E19rocblas_complex_numIdEiiPS3_EEvT1_T3_lS5_lPS5_llPT2_S5_S5_S7_l,comdat
.Lfunc_end42:
	.size	_ZN9rocsolver6v33100L18getf2_small_kernelILi22E19rocblas_complex_numIdEiiPS3_EEvT1_T3_lS5_lPS5_llPT2_S5_S5_S7_l, .Lfunc_end42-_ZN9rocsolver6v33100L18getf2_small_kernelILi22E19rocblas_complex_numIdEiiPS3_EEvT1_T3_lS5_lPS5_llPT2_S5_S5_S7_l
                                        ; -- End function
	.set _ZN9rocsolver6v33100L18getf2_small_kernelILi22E19rocblas_complex_numIdEiiPS3_EEvT1_T3_lS5_lPS5_llPT2_S5_S5_S7_l.num_vgpr, 123
	.set _ZN9rocsolver6v33100L18getf2_small_kernelILi22E19rocblas_complex_numIdEiiPS3_EEvT1_T3_lS5_lPS5_llPT2_S5_S5_S7_l.num_agpr, 0
	.set _ZN9rocsolver6v33100L18getf2_small_kernelILi22E19rocblas_complex_numIdEiiPS3_EEvT1_T3_lS5_lPS5_llPT2_S5_S5_S7_l.numbered_sgpr, 19
	.set _ZN9rocsolver6v33100L18getf2_small_kernelILi22E19rocblas_complex_numIdEiiPS3_EEvT1_T3_lS5_lPS5_llPT2_S5_S5_S7_l.num_named_barrier, 0
	.set _ZN9rocsolver6v33100L18getf2_small_kernelILi22E19rocblas_complex_numIdEiiPS3_EEvT1_T3_lS5_lPS5_llPT2_S5_S5_S7_l.private_seg_size, 0
	.set _ZN9rocsolver6v33100L18getf2_small_kernelILi22E19rocblas_complex_numIdEiiPS3_EEvT1_T3_lS5_lPS5_llPT2_S5_S5_S7_l.uses_vcc, 1
	.set _ZN9rocsolver6v33100L18getf2_small_kernelILi22E19rocblas_complex_numIdEiiPS3_EEvT1_T3_lS5_lPS5_llPT2_S5_S5_S7_l.uses_flat_scratch, 0
	.set _ZN9rocsolver6v33100L18getf2_small_kernelILi22E19rocblas_complex_numIdEiiPS3_EEvT1_T3_lS5_lPS5_llPT2_S5_S5_S7_l.has_dyn_sized_stack, 0
	.set _ZN9rocsolver6v33100L18getf2_small_kernelILi22E19rocblas_complex_numIdEiiPS3_EEvT1_T3_lS5_lPS5_llPT2_S5_S5_S7_l.has_recursion, 0
	.set _ZN9rocsolver6v33100L18getf2_small_kernelILi22E19rocblas_complex_numIdEiiPS3_EEvT1_T3_lS5_lPS5_llPT2_S5_S5_S7_l.has_indirect_call, 0
	.section	.AMDGPU.csdata,"",@progbits
; Kernel info:
; codeLenInByte = 39456
; TotalNumSgprs: 21
; NumVgprs: 123
; ScratchSize: 0
; MemoryBound: 0
; FloatMode: 240
; IeeeMode: 1
; LDSByteSize: 0 bytes/workgroup (compile time only)
; SGPRBlocks: 0
; VGPRBlocks: 15
; NumSGPRsForWavesPerEU: 21
; NumVGPRsForWavesPerEU: 123
; Occupancy: 8
; WaveLimiterHint : 0
; COMPUTE_PGM_RSRC2:SCRATCH_EN: 0
; COMPUTE_PGM_RSRC2:USER_SGPR: 6
; COMPUTE_PGM_RSRC2:TRAP_HANDLER: 0
; COMPUTE_PGM_RSRC2:TGID_X_EN: 1
; COMPUTE_PGM_RSRC2:TGID_Y_EN: 1
; COMPUTE_PGM_RSRC2:TGID_Z_EN: 0
; COMPUTE_PGM_RSRC2:TIDIG_COMP_CNT: 1
	.section	.text._ZN9rocsolver6v33100L23getf2_npvt_small_kernelILi22E19rocblas_complex_numIdEiiPS3_EEvT1_T3_lS5_lPT2_S5_S5_,"axG",@progbits,_ZN9rocsolver6v33100L23getf2_npvt_small_kernelILi22E19rocblas_complex_numIdEiiPS3_EEvT1_T3_lS5_lPT2_S5_S5_,comdat
	.globl	_ZN9rocsolver6v33100L23getf2_npvt_small_kernelILi22E19rocblas_complex_numIdEiiPS3_EEvT1_T3_lS5_lPT2_S5_S5_ ; -- Begin function _ZN9rocsolver6v33100L23getf2_npvt_small_kernelILi22E19rocblas_complex_numIdEiiPS3_EEvT1_T3_lS5_lPT2_S5_S5_
	.p2align	8
	.type	_ZN9rocsolver6v33100L23getf2_npvt_small_kernelILi22E19rocblas_complex_numIdEiiPS3_EEvT1_T3_lS5_lPT2_S5_S5_,@function
_ZN9rocsolver6v33100L23getf2_npvt_small_kernelILi22E19rocblas_complex_numIdEiiPS3_EEvT1_T3_lS5_lPT2_S5_S5_: ; @_ZN9rocsolver6v33100L23getf2_npvt_small_kernelILi22E19rocblas_complex_numIdEiiPS3_EEvT1_T3_lS5_lPT2_S5_S5_
; %bb.0:
	s_clause 0x1
	s_load_dword s0, s[4:5], 0x44
	s_load_dwordx2 s[12:13], s[4:5], 0x30
	s_waitcnt lgkmcnt(0)
	s_lshr_b32 s14, s0, 16
	s_mov_b32 s0, exec_lo
	v_mad_u64_u32 v[206:207], null, s7, s14, v[1:2]
	v_cmpx_gt_i32_e64 s12, v206
	s_cbranch_execz .LBB43_203
; %bb.1:
	s_clause 0x2
	s_load_dwordx4 s[8:11], s[4:5], 0x20
	s_load_dword s6, s[4:5], 0x18
	s_load_dwordx4 s[0:3], s[4:5], 0x8
	v_ashrrev_i32_e32 v207, 31, v206
	v_lshlrev_b32_e32 v13, 4, v0
	v_lshlrev_b32_e32 v90, 4, v1
	s_mulk_i32 s14, 0x160
	v_mad_u32_u24 v224, 0x160, v1, 0
	v_add3_u32 v1, 0, s14, v90
	s_waitcnt lgkmcnt(0)
	v_mul_lo_u32 v5, s9, v206
	v_mul_lo_u32 v7, s8, v207
	v_mad_u64_u32 v[2:3], null, s8, v206, 0
	v_add3_u32 v4, s6, s6, v0
	s_lshl_b64 s[2:3], s[2:3], 4
	s_ashr_i32 s7, s6, 31
	s_lshl_b64 s[4:5], s[6:7], 4
	v_add_nc_u32_e32 v6, s6, v4
	v_add3_u32 v3, v3, v7, v5
	v_ashrrev_i32_e32 v5, 31, v4
	v_add_nc_u32_e32 v8, s6, v6
	v_lshlrev_b64 v[2:3], 4, v[2:3]
	v_ashrrev_i32_e32 v7, 31, v6
	v_lshlrev_b64 v[4:5], 4, v[4:5]
	v_ashrrev_i32_e32 v9, 31, v8
	v_add_nc_u32_e32 v10, s6, v8
	v_add_co_u32 v12, vcc_lo, s0, v2
	v_add_co_ci_u32_e64 v14, null, s1, v3, vcc_lo
	v_lshlrev_b64 v[6:7], 4, v[6:7]
	v_add_co_u32 v15, vcc_lo, v12, s2
	v_add_co_ci_u32_e64 v14, null, s3, v14, vcc_lo
	v_lshlrev_b64 v[2:3], 4, v[8:9]
	v_add_nc_u32_e32 v8, s6, v10
	v_add_co_u32 v184, vcc_lo, v15, v13
	v_add_co_ci_u32_e64 v185, null, 0, v14, vcc_lo
	v_add_co_u32 v182, vcc_lo, v15, v4
	v_ashrrev_i32_e32 v11, 31, v10
	v_add_nc_u32_e32 v12, s6, v8
	v_add_co_ci_u32_e64 v183, null, v14, v5, vcc_lo
	v_add_co_u32 v180, vcc_lo, v15, v6
	v_ashrrev_i32_e32 v9, 31, v8
	v_add_co_ci_u32_e64 v181, null, v14, v7, vcc_lo
	v_add_co_u32 v186, vcc_lo, v184, s4
	v_lshlrev_b64 v[10:11], 4, v[10:11]
	v_add_co_ci_u32_e64 v187, null, s5, v185, vcc_lo
	v_add_co_u32 v178, vcc_lo, v15, v2
	v_add_nc_u32_e32 v4, s6, v12
	v_add_co_ci_u32_e64 v179, null, v14, v3, vcc_lo
	v_lshlrev_b64 v[2:3], 4, v[8:9]
	v_ashrrev_i32_e32 v13, 31, v12
	v_ashrrev_i32_e32 v5, 31, v4
	v_add_nc_u32_e32 v8, s6, v4
	v_add_co_u32 v188, vcc_lo, v15, v10
	v_lshlrev_b64 v[6:7], 4, v[12:13]
	v_add_co_ci_u32_e64 v189, null, v14, v11, vcc_lo
	v_add_co_u32 v190, vcc_lo, v15, v2
	v_add_co_ci_u32_e64 v191, null, v14, v3, vcc_lo
	v_lshlrev_b64 v[2:3], 4, v[4:5]
	v_ashrrev_i32_e32 v9, 31, v8
	v_add_nc_u32_e32 v4, s6, v8
	v_add_co_u32 v192, vcc_lo, v15, v6
	v_add_co_ci_u32_e64 v193, null, v14, v7, vcc_lo
	v_lshlrev_b64 v[6:7], 4, v[8:9]
	v_ashrrev_i32_e32 v5, 31, v4
	v_add_nc_u32_e32 v8, s6, v4
	;; [unrolled: 5-line block ×11, first 2 shown]
	v_add_co_u32 v214, vcc_lo, v15, v6
	v_add_co_ci_u32_e64 v215, null, v14, v7, vcc_lo
	v_lshlrev_b64 v[6:7], 4, v[8:9]
	v_add_nc_u32_e32 v8, s6, v4
	v_ashrrev_i32_e32 v5, 31, v4
	v_add_co_u32 v220, vcc_lo, v15, v2
	v_add_co_ci_u32_e64 v221, null, v14, v3, vcc_lo
	v_ashrrev_i32_e32 v9, 31, v8
	v_lshlrev_b64 v[2:3], 4, v[4:5]
	v_add_co_u32 v216, vcc_lo, v15, v6
	v_add_co_ci_u32_e64 v217, null, v14, v7, vcc_lo
	v_lshlrev_b64 v[4:5], 4, v[8:9]
	v_add_co_u32 v218, vcc_lo, v15, v2
	v_add_co_ci_u32_e64 v219, null, v14, v3, vcc_lo
	v_cmp_ne_u32_e64 s1, 0, v0
	v_add_co_u32 v222, vcc_lo, v15, v4
	v_add_co_ci_u32_e64 v223, null, v14, v5, vcc_lo
	s_clause 0x15
	global_load_dwordx4 v[86:89], v[184:185], off
	global_load_dwordx4 v[82:85], v[186:187], off
	;; [unrolled: 1-line block ×22, first 2 shown]
	v_cmp_eq_u32_e64 s0, 0, v0
	s_and_saveexec_b32 s3, s0
	s_cbranch_execz .LBB43_8
; %bb.2:
	s_waitcnt vmcnt(21)
	ds_write2_b64 v1, v[86:87], v[88:89] offset1:1
	s_waitcnt vmcnt(20)
	ds_write2_b64 v224, v[82:83], v[84:85] offset0:2 offset1:3
	s_waitcnt vmcnt(19)
	ds_write2_b64 v224, v[78:79], v[80:81] offset0:4 offset1:5
	;; [unrolled: 2-line block ×21, first 2 shown]
	ds_read2_b64 v[90:93], v1 offset1:1
	s_waitcnt lgkmcnt(0)
	v_cmp_neq_f64_e32 vcc_lo, 0, v[90:91]
	v_cmp_neq_f64_e64 s2, 0, v[92:93]
	s_or_b32 s2, vcc_lo, s2
	s_and_b32 exec_lo, exec_lo, s2
	s_cbranch_execz .LBB43_8
; %bb.3:
	v_cmp_ngt_f64_e64 s2, |v[90:91]|, |v[92:93]|
                                        ; implicit-def: $vgpr94_vgpr95
	s_and_saveexec_b32 s4, s2
	s_xor_b32 s2, exec_lo, s4
                                        ; implicit-def: $vgpr96_vgpr97
	s_cbranch_execz .LBB43_5
; %bb.4:
	v_div_scale_f64 v[94:95], null, v[92:93], v[92:93], v[90:91]
	v_div_scale_f64 v[100:101], vcc_lo, v[90:91], v[92:93], v[90:91]
	v_rcp_f64_e32 v[96:97], v[94:95]
	v_fma_f64 v[98:99], -v[94:95], v[96:97], 1.0
	v_fma_f64 v[96:97], v[96:97], v[98:99], v[96:97]
	v_fma_f64 v[98:99], -v[94:95], v[96:97], 1.0
	v_fma_f64 v[96:97], v[96:97], v[98:99], v[96:97]
	v_mul_f64 v[98:99], v[100:101], v[96:97]
	v_fma_f64 v[94:95], -v[94:95], v[98:99], v[100:101]
	v_div_fmas_f64 v[94:95], v[94:95], v[96:97], v[98:99]
	v_div_fixup_f64 v[94:95], v[94:95], v[92:93], v[90:91]
	v_fma_f64 v[90:91], v[90:91], v[94:95], v[92:93]
	v_div_scale_f64 v[92:93], null, v[90:91], v[90:91], 1.0
	v_rcp_f64_e32 v[96:97], v[92:93]
	v_fma_f64 v[98:99], -v[92:93], v[96:97], 1.0
	v_fma_f64 v[96:97], v[96:97], v[98:99], v[96:97]
	v_fma_f64 v[98:99], -v[92:93], v[96:97], 1.0
	v_fma_f64 v[96:97], v[96:97], v[98:99], v[96:97]
	v_div_scale_f64 v[98:99], vcc_lo, 1.0, v[90:91], 1.0
	v_mul_f64 v[100:101], v[98:99], v[96:97]
	v_fma_f64 v[92:93], -v[92:93], v[100:101], v[98:99]
	v_div_fmas_f64 v[92:93], v[92:93], v[96:97], v[100:101]
	v_div_fixup_f64 v[96:97], v[92:93], v[90:91], 1.0
                                        ; implicit-def: $vgpr90_vgpr91
	v_mul_f64 v[94:95], v[94:95], v[96:97]
	v_xor_b32_e32 v97, 0x80000000, v97
.LBB43_5:
	s_andn2_saveexec_b32 s2, s2
	s_cbranch_execz .LBB43_7
; %bb.6:
	v_div_scale_f64 v[94:95], null, v[90:91], v[90:91], v[92:93]
	v_div_scale_f64 v[100:101], vcc_lo, v[92:93], v[90:91], v[92:93]
	v_rcp_f64_e32 v[96:97], v[94:95]
	v_fma_f64 v[98:99], -v[94:95], v[96:97], 1.0
	v_fma_f64 v[96:97], v[96:97], v[98:99], v[96:97]
	v_fma_f64 v[98:99], -v[94:95], v[96:97], 1.0
	v_fma_f64 v[96:97], v[96:97], v[98:99], v[96:97]
	v_mul_f64 v[98:99], v[100:101], v[96:97]
	v_fma_f64 v[94:95], -v[94:95], v[98:99], v[100:101]
	v_div_fmas_f64 v[94:95], v[94:95], v[96:97], v[98:99]
	v_div_fixup_f64 v[96:97], v[94:95], v[90:91], v[92:93]
	v_fma_f64 v[90:91], v[92:93], v[96:97], v[90:91]
	v_div_scale_f64 v[92:93], null, v[90:91], v[90:91], 1.0
	v_rcp_f64_e32 v[94:95], v[92:93]
	v_fma_f64 v[98:99], -v[92:93], v[94:95], 1.0
	v_fma_f64 v[94:95], v[94:95], v[98:99], v[94:95]
	v_fma_f64 v[98:99], -v[92:93], v[94:95], 1.0
	v_fma_f64 v[94:95], v[94:95], v[98:99], v[94:95]
	v_div_scale_f64 v[98:99], vcc_lo, 1.0, v[90:91], 1.0
	v_mul_f64 v[100:101], v[98:99], v[94:95]
	v_fma_f64 v[92:93], -v[92:93], v[100:101], v[98:99]
	v_div_fmas_f64 v[92:93], v[92:93], v[94:95], v[100:101]
	v_div_fixup_f64 v[94:95], v[92:93], v[90:91], 1.0
	v_mul_f64 v[96:97], v[96:97], -v[94:95]
.LBB43_7:
	s_or_b32 exec_lo, exec_lo, s2
	ds_write2_b64 v1, v[94:95], v[96:97] offset1:1
.LBB43_8:
	s_or_b32 exec_lo, exec_lo, s3
	s_waitcnt vmcnt(0) lgkmcnt(0)
	s_barrier
	buffer_gl0_inv
	ds_read2_b64 v[90:93], v1 offset1:1
	s_and_saveexec_b32 s2, s1
	s_cbranch_execz .LBB43_10
; %bb.9:
	s_waitcnt lgkmcnt(0)
	v_mul_f64 v[94:95], v[90:91], v[88:89]
	v_mul_f64 v[130:131], v[92:93], v[88:89]
	v_fma_f64 v[88:89], v[92:93], v[86:87], v[94:95]
	ds_read2_b64 v[94:97], v224 offset0:2 offset1:3
	ds_read2_b64 v[98:101], v224 offset0:4 offset1:5
	;; [unrolled: 1-line block ×9, first 2 shown]
	v_fma_f64 v[86:87], v[90:91], v[86:87], -v[130:131]
	ds_read2_b64 v[130:133], v224 offset0:20 offset1:21
	ds_read2_b64 v[134:137], v224 offset0:22 offset1:23
	;; [unrolled: 1-line block ×4, first 2 shown]
	s_waitcnt lgkmcnt(12)
	v_mul_f64 v[146:147], v[96:97], v[88:89]
	v_mul_f64 v[148:149], v[94:95], v[88:89]
	s_waitcnt lgkmcnt(11)
	v_mul_f64 v[150:151], v[100:101], v[88:89]
	v_mul_f64 v[152:153], v[98:99], v[88:89]
	;; [unrolled: 3-line block ×10, first 2 shown]
	v_fma_f64 v[146:147], v[94:95], v[86:87], -v[146:147]
	v_fma_f64 v[148:149], v[96:97], v[86:87], v[148:149]
	v_fma_f64 v[150:151], v[98:99], v[86:87], -v[150:151]
	v_fma_f64 v[152:153], v[100:101], v[86:87], v[152:153]
	;; [unrolled: 2-line block ×9, first 2 shown]
	v_fma_f64 v[130:131], v[130:131], v[86:87], -v[229:230]
	s_waitcnt lgkmcnt(2)
	v_mul_f64 v[225:226], v[136:137], v[88:89]
	ds_read2_b64 v[94:97], v224 offset0:28 offset1:29
	ds_read2_b64 v[98:101], v224 offset0:30 offset1:31
	v_add_f64 v[82:83], v[82:83], -v[146:147]
	v_mul_f64 v[146:147], v[134:135], v[88:89]
	ds_read2_b64 v[102:105], v224 offset0:32 offset1:33
	ds_read2_b64 v[106:109], v224 offset0:34 offset1:35
	;; [unrolled: 1-line block ×6, first 2 shown]
	v_fma_f64 v[132:133], v[132:133], v[86:87], v[231:232]
	v_add_f64 v[84:85], v[84:85], -v[148:149]
	s_waitcnt lgkmcnt(9)
	v_mul_f64 v[148:149], v[140:141], v[88:89]
	v_add_f64 v[78:79], v[78:79], -v[150:151]
	v_mul_f64 v[150:151], v[138:139], v[88:89]
	v_add_f64 v[80:81], v[80:81], -v[152:153]
	s_waitcnt lgkmcnt(8)
	v_mul_f64 v[152:153], v[144:145], v[88:89]
	v_add_f64 v[74:75], v[74:75], -v[154:155]
	v_mul_f64 v[154:155], v[142:143], v[88:89]
	;; [unrolled: 5-line block ×3, first 2 shown]
	v_add_f64 v[72:73], v[72:73], -v[160:161]
	v_add_f64 v[66:67], v[66:67], -v[162:163]
	;; [unrolled: 1-line block ×12, first 2 shown]
	s_waitcnt lgkmcnt(6)
	v_mul_f64 v[126:127], v[100:101], v[88:89]
	v_mul_f64 v[128:129], v[98:99], v[88:89]
	s_waitcnt lgkmcnt(5)
	v_mul_f64 v[130:131], v[104:105], v[88:89]
	v_mul_f64 v[160:161], v[102:103], v[88:89]
	;; [unrolled: 3-line block ×3, first 2 shown]
	v_fma_f64 v[134:135], v[134:135], v[86:87], -v[225:226]
	v_fma_f64 v[136:137], v[136:137], v[86:87], v[146:147]
	s_waitcnt lgkmcnt(3)
	v_mul_f64 v[146:147], v[112:113], v[88:89]
	v_mul_f64 v[166:167], v[110:111], v[88:89]
	s_waitcnt lgkmcnt(2)
	v_mul_f64 v[168:169], v[116:117], v[88:89]
	v_mul_f64 v[170:171], v[114:115], v[88:89]
	;; [unrolled: 3-line block ×4, first 2 shown]
	v_add_f64 v[48:49], v[48:49], -v[132:133]
	v_fma_f64 v[132:133], v[138:139], v[86:87], -v[148:149]
	v_fma_f64 v[138:139], v[140:141], v[86:87], v[150:151]
	v_fma_f64 v[140:141], v[142:143], v[86:87], -v[152:153]
	v_fma_f64 v[142:143], v[144:145], v[86:87], v[154:155]
	;; [unrolled: 2-line block ×6, first 2 shown]
	v_add_f64 v[42:43], v[42:43], -v[134:135]
	v_fma_f64 v[110:111], v[110:111], v[86:87], -v[146:147]
	v_fma_f64 v[112:113], v[112:113], v[86:87], v[166:167]
	v_fma_f64 v[114:115], v[114:115], v[86:87], -v[168:169]
	v_fma_f64 v[116:117], v[116:117], v[86:87], v[170:171]
	;; [unrolled: 2-line block ×4, first 2 shown]
	v_add_f64 v[44:45], v[44:45], -v[136:137]
	v_add_f64 v[38:39], v[38:39], -v[132:133]
	;; [unrolled: 1-line block ×21, first 2 shown]
.LBB43_10:
	s_or_b32 exec_lo, exec_lo, s2
	s_mov_b32 s2, exec_lo
	s_waitcnt lgkmcnt(0)
	s_barrier
	buffer_gl0_inv
	v_cmpx_eq_u32_e32 1, v0
	s_cbranch_execz .LBB43_17
; %bb.11:
	ds_write2_b64 v1, v[82:83], v[84:85] offset1:1
	ds_write2_b64 v224, v[78:79], v[80:81] offset0:4 offset1:5
	ds_write2_b64 v224, v[74:75], v[76:77] offset0:6 offset1:7
	ds_write2_b64 v224, v[70:71], v[72:73] offset0:8 offset1:9
	ds_write2_b64 v224, v[66:67], v[68:69] offset0:10 offset1:11
	ds_write2_b64 v224, v[62:63], v[64:65] offset0:12 offset1:13
	ds_write2_b64 v224, v[58:59], v[60:61] offset0:14 offset1:15
	ds_write2_b64 v224, v[54:55], v[56:57] offset0:16 offset1:17
	ds_write2_b64 v224, v[50:51], v[52:53] offset0:18 offset1:19
	ds_write2_b64 v224, v[46:47], v[48:49] offset0:20 offset1:21
	ds_write2_b64 v224, v[42:43], v[44:45] offset0:22 offset1:23
	ds_write2_b64 v224, v[38:39], v[40:41] offset0:24 offset1:25
	ds_write2_b64 v224, v[34:35], v[36:37] offset0:26 offset1:27
	ds_write2_b64 v224, v[30:31], v[32:33] offset0:28 offset1:29
	ds_write2_b64 v224, v[26:27], v[28:29] offset0:30 offset1:31
	ds_write2_b64 v224, v[22:23], v[24:25] offset0:32 offset1:33
	ds_write2_b64 v224, v[18:19], v[20:21] offset0:34 offset1:35
	ds_write2_b64 v224, v[14:15], v[16:17] offset0:36 offset1:37
	ds_write2_b64 v224, v[10:11], v[12:13] offset0:38 offset1:39
	ds_write2_b64 v224, v[6:7], v[8:9] offset0:40 offset1:41
	ds_write2_b64 v224, v[2:3], v[4:5] offset0:42 offset1:43
	ds_read2_b64 v[94:97], v1 offset1:1
	s_waitcnt lgkmcnt(0)
	v_cmp_neq_f64_e32 vcc_lo, 0, v[94:95]
	v_cmp_neq_f64_e64 s1, 0, v[96:97]
	s_or_b32 s1, vcc_lo, s1
	s_and_b32 exec_lo, exec_lo, s1
	s_cbranch_execz .LBB43_17
; %bb.12:
	v_cmp_ngt_f64_e64 s1, |v[94:95]|, |v[96:97]|
                                        ; implicit-def: $vgpr98_vgpr99
	s_and_saveexec_b32 s3, s1
	s_xor_b32 s1, exec_lo, s3
                                        ; implicit-def: $vgpr100_vgpr101
	s_cbranch_execz .LBB43_14
; %bb.13:
	v_div_scale_f64 v[98:99], null, v[96:97], v[96:97], v[94:95]
	v_div_scale_f64 v[104:105], vcc_lo, v[94:95], v[96:97], v[94:95]
	v_rcp_f64_e32 v[100:101], v[98:99]
	v_fma_f64 v[102:103], -v[98:99], v[100:101], 1.0
	v_fma_f64 v[100:101], v[100:101], v[102:103], v[100:101]
	v_fma_f64 v[102:103], -v[98:99], v[100:101], 1.0
	v_fma_f64 v[100:101], v[100:101], v[102:103], v[100:101]
	v_mul_f64 v[102:103], v[104:105], v[100:101]
	v_fma_f64 v[98:99], -v[98:99], v[102:103], v[104:105]
	v_div_fmas_f64 v[98:99], v[98:99], v[100:101], v[102:103]
	v_div_fixup_f64 v[98:99], v[98:99], v[96:97], v[94:95]
	v_fma_f64 v[94:95], v[94:95], v[98:99], v[96:97]
	v_div_scale_f64 v[96:97], null, v[94:95], v[94:95], 1.0
	v_rcp_f64_e32 v[100:101], v[96:97]
	v_fma_f64 v[102:103], -v[96:97], v[100:101], 1.0
	v_fma_f64 v[100:101], v[100:101], v[102:103], v[100:101]
	v_fma_f64 v[102:103], -v[96:97], v[100:101], 1.0
	v_fma_f64 v[100:101], v[100:101], v[102:103], v[100:101]
	v_div_scale_f64 v[102:103], vcc_lo, 1.0, v[94:95], 1.0
	v_mul_f64 v[104:105], v[102:103], v[100:101]
	v_fma_f64 v[96:97], -v[96:97], v[104:105], v[102:103]
	v_div_fmas_f64 v[96:97], v[96:97], v[100:101], v[104:105]
	v_div_fixup_f64 v[100:101], v[96:97], v[94:95], 1.0
                                        ; implicit-def: $vgpr94_vgpr95
	v_mul_f64 v[98:99], v[98:99], v[100:101]
	v_xor_b32_e32 v101, 0x80000000, v101
.LBB43_14:
	s_andn2_saveexec_b32 s1, s1
	s_cbranch_execz .LBB43_16
; %bb.15:
	v_div_scale_f64 v[98:99], null, v[94:95], v[94:95], v[96:97]
	v_div_scale_f64 v[104:105], vcc_lo, v[96:97], v[94:95], v[96:97]
	v_rcp_f64_e32 v[100:101], v[98:99]
	v_fma_f64 v[102:103], -v[98:99], v[100:101], 1.0
	v_fma_f64 v[100:101], v[100:101], v[102:103], v[100:101]
	v_fma_f64 v[102:103], -v[98:99], v[100:101], 1.0
	v_fma_f64 v[100:101], v[100:101], v[102:103], v[100:101]
	v_mul_f64 v[102:103], v[104:105], v[100:101]
	v_fma_f64 v[98:99], -v[98:99], v[102:103], v[104:105]
	v_div_fmas_f64 v[98:99], v[98:99], v[100:101], v[102:103]
	v_div_fixup_f64 v[100:101], v[98:99], v[94:95], v[96:97]
	v_fma_f64 v[94:95], v[96:97], v[100:101], v[94:95]
	v_div_scale_f64 v[96:97], null, v[94:95], v[94:95], 1.0
	v_rcp_f64_e32 v[98:99], v[96:97]
	v_fma_f64 v[102:103], -v[96:97], v[98:99], 1.0
	v_fma_f64 v[98:99], v[98:99], v[102:103], v[98:99]
	v_fma_f64 v[102:103], -v[96:97], v[98:99], 1.0
	v_fma_f64 v[98:99], v[98:99], v[102:103], v[98:99]
	v_div_scale_f64 v[102:103], vcc_lo, 1.0, v[94:95], 1.0
	v_mul_f64 v[104:105], v[102:103], v[98:99]
	v_fma_f64 v[96:97], -v[96:97], v[104:105], v[102:103]
	v_div_fmas_f64 v[96:97], v[96:97], v[98:99], v[104:105]
	v_div_fixup_f64 v[98:99], v[96:97], v[94:95], 1.0
	v_mul_f64 v[100:101], v[100:101], -v[98:99]
.LBB43_16:
	s_or_b32 exec_lo, exec_lo, s1
	ds_write2_b64 v1, v[98:99], v[100:101] offset1:1
.LBB43_17:
	s_or_b32 exec_lo, exec_lo, s2
	s_waitcnt lgkmcnt(0)
	s_barrier
	buffer_gl0_inv
	ds_read2_b64 v[94:97], v1 offset1:1
	s_mov_b32 s1, exec_lo
	v_cmpx_lt_u32_e32 1, v0
	s_cbranch_execz .LBB43_19
; %bb.18:
	s_waitcnt lgkmcnt(0)
	v_mul_f64 v[98:99], v[96:97], v[84:85]
	v_mul_f64 v[84:85], v[94:95], v[84:85]
	ds_read2_b64 v[100:103], v224 offset0:4 offset1:5
	v_fma_f64 v[98:99], v[94:95], v[82:83], -v[98:99]
	v_fma_f64 v[84:85], v[96:97], v[82:83], v[84:85]
	s_waitcnt lgkmcnt(0)
	v_mul_f64 v[82:83], v[102:103], v[84:85]
	v_fma_f64 v[82:83], v[100:101], v[98:99], -v[82:83]
	v_mul_f64 v[100:101], v[100:101], v[84:85]
	v_add_f64 v[78:79], v[78:79], -v[82:83]
	v_fma_f64 v[100:101], v[102:103], v[98:99], v[100:101]
	v_add_f64 v[80:81], v[80:81], -v[100:101]
	ds_read2_b64 v[100:103], v224 offset0:6 offset1:7
	s_waitcnt lgkmcnt(0)
	v_mul_f64 v[82:83], v[102:103], v[84:85]
	v_fma_f64 v[82:83], v[100:101], v[98:99], -v[82:83]
	v_mul_f64 v[100:101], v[100:101], v[84:85]
	v_add_f64 v[74:75], v[74:75], -v[82:83]
	v_fma_f64 v[100:101], v[102:103], v[98:99], v[100:101]
	v_add_f64 v[76:77], v[76:77], -v[100:101]
	ds_read2_b64 v[100:103], v224 offset0:8 offset1:9
	s_waitcnt lgkmcnt(0)
	v_mul_f64 v[82:83], v[102:103], v[84:85]
	v_fma_f64 v[82:83], v[100:101], v[98:99], -v[82:83]
	v_mul_f64 v[100:101], v[100:101], v[84:85]
	v_add_f64 v[70:71], v[70:71], -v[82:83]
	v_fma_f64 v[100:101], v[102:103], v[98:99], v[100:101]
	v_add_f64 v[72:73], v[72:73], -v[100:101]
	ds_read2_b64 v[100:103], v224 offset0:10 offset1:11
	s_waitcnt lgkmcnt(0)
	v_mul_f64 v[82:83], v[102:103], v[84:85]
	v_fma_f64 v[82:83], v[100:101], v[98:99], -v[82:83]
	v_mul_f64 v[100:101], v[100:101], v[84:85]
	v_add_f64 v[66:67], v[66:67], -v[82:83]
	v_fma_f64 v[100:101], v[102:103], v[98:99], v[100:101]
	v_add_f64 v[68:69], v[68:69], -v[100:101]
	ds_read2_b64 v[100:103], v224 offset0:12 offset1:13
	s_waitcnt lgkmcnt(0)
	v_mul_f64 v[82:83], v[102:103], v[84:85]
	v_fma_f64 v[82:83], v[100:101], v[98:99], -v[82:83]
	v_mul_f64 v[100:101], v[100:101], v[84:85]
	v_add_f64 v[62:63], v[62:63], -v[82:83]
	v_fma_f64 v[100:101], v[102:103], v[98:99], v[100:101]
	v_add_f64 v[64:65], v[64:65], -v[100:101]
	ds_read2_b64 v[100:103], v224 offset0:14 offset1:15
	s_waitcnt lgkmcnt(0)
	v_mul_f64 v[82:83], v[102:103], v[84:85]
	v_fma_f64 v[82:83], v[100:101], v[98:99], -v[82:83]
	v_mul_f64 v[100:101], v[100:101], v[84:85]
	v_add_f64 v[58:59], v[58:59], -v[82:83]
	v_fma_f64 v[100:101], v[102:103], v[98:99], v[100:101]
	v_add_f64 v[60:61], v[60:61], -v[100:101]
	ds_read2_b64 v[100:103], v224 offset0:16 offset1:17
	s_waitcnt lgkmcnt(0)
	v_mul_f64 v[82:83], v[102:103], v[84:85]
	v_fma_f64 v[82:83], v[100:101], v[98:99], -v[82:83]
	v_mul_f64 v[100:101], v[100:101], v[84:85]
	v_add_f64 v[54:55], v[54:55], -v[82:83]
	v_fma_f64 v[100:101], v[102:103], v[98:99], v[100:101]
	v_add_f64 v[56:57], v[56:57], -v[100:101]
	ds_read2_b64 v[100:103], v224 offset0:18 offset1:19
	s_waitcnt lgkmcnt(0)
	v_mul_f64 v[82:83], v[102:103], v[84:85]
	v_fma_f64 v[82:83], v[100:101], v[98:99], -v[82:83]
	v_mul_f64 v[100:101], v[100:101], v[84:85]
	v_add_f64 v[50:51], v[50:51], -v[82:83]
	v_fma_f64 v[100:101], v[102:103], v[98:99], v[100:101]
	v_add_f64 v[52:53], v[52:53], -v[100:101]
	ds_read2_b64 v[100:103], v224 offset0:20 offset1:21
	s_waitcnt lgkmcnt(0)
	v_mul_f64 v[82:83], v[102:103], v[84:85]
	v_fma_f64 v[82:83], v[100:101], v[98:99], -v[82:83]
	v_mul_f64 v[100:101], v[100:101], v[84:85]
	v_add_f64 v[46:47], v[46:47], -v[82:83]
	v_fma_f64 v[100:101], v[102:103], v[98:99], v[100:101]
	v_add_f64 v[48:49], v[48:49], -v[100:101]
	ds_read2_b64 v[100:103], v224 offset0:22 offset1:23
	s_waitcnt lgkmcnt(0)
	v_mul_f64 v[82:83], v[102:103], v[84:85]
	v_fma_f64 v[82:83], v[100:101], v[98:99], -v[82:83]
	v_mul_f64 v[100:101], v[100:101], v[84:85]
	v_add_f64 v[42:43], v[42:43], -v[82:83]
	v_fma_f64 v[100:101], v[102:103], v[98:99], v[100:101]
	v_add_f64 v[44:45], v[44:45], -v[100:101]
	ds_read2_b64 v[100:103], v224 offset0:24 offset1:25
	s_waitcnt lgkmcnt(0)
	v_mul_f64 v[82:83], v[102:103], v[84:85]
	v_fma_f64 v[82:83], v[100:101], v[98:99], -v[82:83]
	v_mul_f64 v[100:101], v[100:101], v[84:85]
	v_add_f64 v[38:39], v[38:39], -v[82:83]
	v_fma_f64 v[100:101], v[102:103], v[98:99], v[100:101]
	v_add_f64 v[40:41], v[40:41], -v[100:101]
	ds_read2_b64 v[100:103], v224 offset0:26 offset1:27
	s_waitcnt lgkmcnt(0)
	v_mul_f64 v[82:83], v[102:103], v[84:85]
	v_fma_f64 v[82:83], v[100:101], v[98:99], -v[82:83]
	v_mul_f64 v[100:101], v[100:101], v[84:85]
	v_add_f64 v[34:35], v[34:35], -v[82:83]
	v_fma_f64 v[100:101], v[102:103], v[98:99], v[100:101]
	v_add_f64 v[36:37], v[36:37], -v[100:101]
	ds_read2_b64 v[100:103], v224 offset0:28 offset1:29
	s_waitcnt lgkmcnt(0)
	v_mul_f64 v[82:83], v[102:103], v[84:85]
	v_fma_f64 v[82:83], v[100:101], v[98:99], -v[82:83]
	v_mul_f64 v[100:101], v[100:101], v[84:85]
	v_add_f64 v[30:31], v[30:31], -v[82:83]
	v_fma_f64 v[100:101], v[102:103], v[98:99], v[100:101]
	v_add_f64 v[32:33], v[32:33], -v[100:101]
	ds_read2_b64 v[100:103], v224 offset0:30 offset1:31
	s_waitcnt lgkmcnt(0)
	v_mul_f64 v[82:83], v[102:103], v[84:85]
	v_fma_f64 v[82:83], v[100:101], v[98:99], -v[82:83]
	v_mul_f64 v[100:101], v[100:101], v[84:85]
	v_add_f64 v[26:27], v[26:27], -v[82:83]
	v_fma_f64 v[100:101], v[102:103], v[98:99], v[100:101]
	v_add_f64 v[28:29], v[28:29], -v[100:101]
	ds_read2_b64 v[100:103], v224 offset0:32 offset1:33
	s_waitcnt lgkmcnt(0)
	v_mul_f64 v[82:83], v[102:103], v[84:85]
	v_fma_f64 v[82:83], v[100:101], v[98:99], -v[82:83]
	v_mul_f64 v[100:101], v[100:101], v[84:85]
	v_add_f64 v[22:23], v[22:23], -v[82:83]
	v_fma_f64 v[100:101], v[102:103], v[98:99], v[100:101]
	v_add_f64 v[24:25], v[24:25], -v[100:101]
	ds_read2_b64 v[100:103], v224 offset0:34 offset1:35
	s_waitcnt lgkmcnt(0)
	v_mul_f64 v[82:83], v[102:103], v[84:85]
	v_fma_f64 v[82:83], v[100:101], v[98:99], -v[82:83]
	v_mul_f64 v[100:101], v[100:101], v[84:85]
	v_add_f64 v[18:19], v[18:19], -v[82:83]
	v_fma_f64 v[100:101], v[102:103], v[98:99], v[100:101]
	v_add_f64 v[20:21], v[20:21], -v[100:101]
	ds_read2_b64 v[100:103], v224 offset0:36 offset1:37
	s_waitcnt lgkmcnt(0)
	v_mul_f64 v[82:83], v[102:103], v[84:85]
	v_fma_f64 v[82:83], v[100:101], v[98:99], -v[82:83]
	v_mul_f64 v[100:101], v[100:101], v[84:85]
	v_add_f64 v[14:15], v[14:15], -v[82:83]
	v_fma_f64 v[100:101], v[102:103], v[98:99], v[100:101]
	v_add_f64 v[16:17], v[16:17], -v[100:101]
	ds_read2_b64 v[100:103], v224 offset0:38 offset1:39
	s_waitcnt lgkmcnt(0)
	v_mul_f64 v[82:83], v[102:103], v[84:85]
	v_fma_f64 v[82:83], v[100:101], v[98:99], -v[82:83]
	v_mul_f64 v[100:101], v[100:101], v[84:85]
	v_add_f64 v[10:11], v[10:11], -v[82:83]
	v_fma_f64 v[100:101], v[102:103], v[98:99], v[100:101]
	v_add_f64 v[12:13], v[12:13], -v[100:101]
	ds_read2_b64 v[100:103], v224 offset0:40 offset1:41
	s_waitcnt lgkmcnt(0)
	v_mul_f64 v[82:83], v[102:103], v[84:85]
	v_fma_f64 v[82:83], v[100:101], v[98:99], -v[82:83]
	v_mul_f64 v[100:101], v[100:101], v[84:85]
	v_add_f64 v[6:7], v[6:7], -v[82:83]
	v_fma_f64 v[100:101], v[102:103], v[98:99], v[100:101]
	v_add_f64 v[8:9], v[8:9], -v[100:101]
	ds_read2_b64 v[100:103], v224 offset0:42 offset1:43
	s_waitcnt lgkmcnt(0)
	v_mul_f64 v[82:83], v[102:103], v[84:85]
	v_fma_f64 v[82:83], v[100:101], v[98:99], -v[82:83]
	v_mul_f64 v[100:101], v[100:101], v[84:85]
	v_add_f64 v[2:3], v[2:3], -v[82:83]
	v_fma_f64 v[100:101], v[102:103], v[98:99], v[100:101]
	v_mov_b32_e32 v82, v98
	v_mov_b32_e32 v83, v99
	v_add_f64 v[4:5], v[4:5], -v[100:101]
.LBB43_19:
	s_or_b32 exec_lo, exec_lo, s1
	s_mov_b32 s2, exec_lo
	s_waitcnt lgkmcnt(0)
	s_barrier
	buffer_gl0_inv
	v_cmpx_eq_u32_e32 2, v0
	s_cbranch_execz .LBB43_26
; %bb.20:
	ds_write2_b64 v1, v[78:79], v[80:81] offset1:1
	ds_write2_b64 v224, v[74:75], v[76:77] offset0:6 offset1:7
	ds_write2_b64 v224, v[70:71], v[72:73] offset0:8 offset1:9
	;; [unrolled: 1-line block ×19, first 2 shown]
	ds_read2_b64 v[98:101], v1 offset1:1
	s_waitcnt lgkmcnt(0)
	v_cmp_neq_f64_e32 vcc_lo, 0, v[98:99]
	v_cmp_neq_f64_e64 s1, 0, v[100:101]
	s_or_b32 s1, vcc_lo, s1
	s_and_b32 exec_lo, exec_lo, s1
	s_cbranch_execz .LBB43_26
; %bb.21:
	v_cmp_ngt_f64_e64 s1, |v[98:99]|, |v[100:101]|
                                        ; implicit-def: $vgpr102_vgpr103
	s_and_saveexec_b32 s3, s1
	s_xor_b32 s1, exec_lo, s3
                                        ; implicit-def: $vgpr104_vgpr105
	s_cbranch_execz .LBB43_23
; %bb.22:
	v_div_scale_f64 v[102:103], null, v[100:101], v[100:101], v[98:99]
	v_div_scale_f64 v[108:109], vcc_lo, v[98:99], v[100:101], v[98:99]
	v_rcp_f64_e32 v[104:105], v[102:103]
	v_fma_f64 v[106:107], -v[102:103], v[104:105], 1.0
	v_fma_f64 v[104:105], v[104:105], v[106:107], v[104:105]
	v_fma_f64 v[106:107], -v[102:103], v[104:105], 1.0
	v_fma_f64 v[104:105], v[104:105], v[106:107], v[104:105]
	v_mul_f64 v[106:107], v[108:109], v[104:105]
	v_fma_f64 v[102:103], -v[102:103], v[106:107], v[108:109]
	v_div_fmas_f64 v[102:103], v[102:103], v[104:105], v[106:107]
	v_div_fixup_f64 v[102:103], v[102:103], v[100:101], v[98:99]
	v_fma_f64 v[98:99], v[98:99], v[102:103], v[100:101]
	v_div_scale_f64 v[100:101], null, v[98:99], v[98:99], 1.0
	v_rcp_f64_e32 v[104:105], v[100:101]
	v_fma_f64 v[106:107], -v[100:101], v[104:105], 1.0
	v_fma_f64 v[104:105], v[104:105], v[106:107], v[104:105]
	v_fma_f64 v[106:107], -v[100:101], v[104:105], 1.0
	v_fma_f64 v[104:105], v[104:105], v[106:107], v[104:105]
	v_div_scale_f64 v[106:107], vcc_lo, 1.0, v[98:99], 1.0
	v_mul_f64 v[108:109], v[106:107], v[104:105]
	v_fma_f64 v[100:101], -v[100:101], v[108:109], v[106:107]
	v_div_fmas_f64 v[100:101], v[100:101], v[104:105], v[108:109]
	v_div_fixup_f64 v[104:105], v[100:101], v[98:99], 1.0
                                        ; implicit-def: $vgpr98_vgpr99
	v_mul_f64 v[102:103], v[102:103], v[104:105]
	v_xor_b32_e32 v105, 0x80000000, v105
.LBB43_23:
	s_andn2_saveexec_b32 s1, s1
	s_cbranch_execz .LBB43_25
; %bb.24:
	v_div_scale_f64 v[102:103], null, v[98:99], v[98:99], v[100:101]
	v_div_scale_f64 v[108:109], vcc_lo, v[100:101], v[98:99], v[100:101]
	v_rcp_f64_e32 v[104:105], v[102:103]
	v_fma_f64 v[106:107], -v[102:103], v[104:105], 1.0
	v_fma_f64 v[104:105], v[104:105], v[106:107], v[104:105]
	v_fma_f64 v[106:107], -v[102:103], v[104:105], 1.0
	v_fma_f64 v[104:105], v[104:105], v[106:107], v[104:105]
	v_mul_f64 v[106:107], v[108:109], v[104:105]
	v_fma_f64 v[102:103], -v[102:103], v[106:107], v[108:109]
	v_div_fmas_f64 v[102:103], v[102:103], v[104:105], v[106:107]
	v_div_fixup_f64 v[104:105], v[102:103], v[98:99], v[100:101]
	v_fma_f64 v[98:99], v[100:101], v[104:105], v[98:99]
	v_div_scale_f64 v[100:101], null, v[98:99], v[98:99], 1.0
	v_rcp_f64_e32 v[102:103], v[100:101]
	v_fma_f64 v[106:107], -v[100:101], v[102:103], 1.0
	v_fma_f64 v[102:103], v[102:103], v[106:107], v[102:103]
	v_fma_f64 v[106:107], -v[100:101], v[102:103], 1.0
	v_fma_f64 v[102:103], v[102:103], v[106:107], v[102:103]
	v_div_scale_f64 v[106:107], vcc_lo, 1.0, v[98:99], 1.0
	v_mul_f64 v[108:109], v[106:107], v[102:103]
	v_fma_f64 v[100:101], -v[100:101], v[108:109], v[106:107]
	v_div_fmas_f64 v[100:101], v[100:101], v[102:103], v[108:109]
	v_div_fixup_f64 v[102:103], v[100:101], v[98:99], 1.0
	v_mul_f64 v[104:105], v[104:105], -v[102:103]
.LBB43_25:
	s_or_b32 exec_lo, exec_lo, s1
	ds_write2_b64 v1, v[102:103], v[104:105] offset1:1
.LBB43_26:
	s_or_b32 exec_lo, exec_lo, s2
	s_waitcnt lgkmcnt(0)
	s_barrier
	buffer_gl0_inv
	ds_read2_b64 v[98:101], v1 offset1:1
	s_mov_b32 s1, exec_lo
	v_cmpx_lt_u32_e32 2, v0
	s_cbranch_execz .LBB43_28
; %bb.27:
	s_waitcnt lgkmcnt(0)
	v_mul_f64 v[102:103], v[100:101], v[80:81]
	v_mul_f64 v[80:81], v[98:99], v[80:81]
	ds_read2_b64 v[104:107], v224 offset0:6 offset1:7
	v_fma_f64 v[102:103], v[98:99], v[78:79], -v[102:103]
	v_fma_f64 v[80:81], v[100:101], v[78:79], v[80:81]
	s_waitcnt lgkmcnt(0)
	v_mul_f64 v[78:79], v[106:107], v[80:81]
	v_fma_f64 v[78:79], v[104:105], v[102:103], -v[78:79]
	v_mul_f64 v[104:105], v[104:105], v[80:81]
	v_add_f64 v[74:75], v[74:75], -v[78:79]
	v_fma_f64 v[104:105], v[106:107], v[102:103], v[104:105]
	v_add_f64 v[76:77], v[76:77], -v[104:105]
	ds_read2_b64 v[104:107], v224 offset0:8 offset1:9
	s_waitcnt lgkmcnt(0)
	v_mul_f64 v[78:79], v[106:107], v[80:81]
	v_fma_f64 v[78:79], v[104:105], v[102:103], -v[78:79]
	v_mul_f64 v[104:105], v[104:105], v[80:81]
	v_add_f64 v[70:71], v[70:71], -v[78:79]
	v_fma_f64 v[104:105], v[106:107], v[102:103], v[104:105]
	v_add_f64 v[72:73], v[72:73], -v[104:105]
	ds_read2_b64 v[104:107], v224 offset0:10 offset1:11
	;; [unrolled: 8-line block ×18, first 2 shown]
	s_waitcnt lgkmcnt(0)
	v_mul_f64 v[78:79], v[106:107], v[80:81]
	v_fma_f64 v[78:79], v[104:105], v[102:103], -v[78:79]
	v_mul_f64 v[104:105], v[104:105], v[80:81]
	v_add_f64 v[2:3], v[2:3], -v[78:79]
	v_fma_f64 v[104:105], v[106:107], v[102:103], v[104:105]
	v_mov_b32_e32 v78, v102
	v_mov_b32_e32 v79, v103
	v_add_f64 v[4:5], v[4:5], -v[104:105]
.LBB43_28:
	s_or_b32 exec_lo, exec_lo, s1
	s_mov_b32 s2, exec_lo
	s_waitcnt lgkmcnt(0)
	s_barrier
	buffer_gl0_inv
	v_cmpx_eq_u32_e32 3, v0
	s_cbranch_execz .LBB43_35
; %bb.29:
	ds_write2_b64 v1, v[74:75], v[76:77] offset1:1
	ds_write2_b64 v224, v[70:71], v[72:73] offset0:8 offset1:9
	ds_write2_b64 v224, v[66:67], v[68:69] offset0:10 offset1:11
	;; [unrolled: 1-line block ×18, first 2 shown]
	ds_read2_b64 v[102:105], v1 offset1:1
	s_waitcnt lgkmcnt(0)
	v_cmp_neq_f64_e32 vcc_lo, 0, v[102:103]
	v_cmp_neq_f64_e64 s1, 0, v[104:105]
	s_or_b32 s1, vcc_lo, s1
	s_and_b32 exec_lo, exec_lo, s1
	s_cbranch_execz .LBB43_35
; %bb.30:
	v_cmp_ngt_f64_e64 s1, |v[102:103]|, |v[104:105]|
                                        ; implicit-def: $vgpr106_vgpr107
	s_and_saveexec_b32 s3, s1
	s_xor_b32 s1, exec_lo, s3
                                        ; implicit-def: $vgpr108_vgpr109
	s_cbranch_execz .LBB43_32
; %bb.31:
	v_div_scale_f64 v[106:107], null, v[104:105], v[104:105], v[102:103]
	v_div_scale_f64 v[112:113], vcc_lo, v[102:103], v[104:105], v[102:103]
	v_rcp_f64_e32 v[108:109], v[106:107]
	v_fma_f64 v[110:111], -v[106:107], v[108:109], 1.0
	v_fma_f64 v[108:109], v[108:109], v[110:111], v[108:109]
	v_fma_f64 v[110:111], -v[106:107], v[108:109], 1.0
	v_fma_f64 v[108:109], v[108:109], v[110:111], v[108:109]
	v_mul_f64 v[110:111], v[112:113], v[108:109]
	v_fma_f64 v[106:107], -v[106:107], v[110:111], v[112:113]
	v_div_fmas_f64 v[106:107], v[106:107], v[108:109], v[110:111]
	v_div_fixup_f64 v[106:107], v[106:107], v[104:105], v[102:103]
	v_fma_f64 v[102:103], v[102:103], v[106:107], v[104:105]
	v_div_scale_f64 v[104:105], null, v[102:103], v[102:103], 1.0
	v_rcp_f64_e32 v[108:109], v[104:105]
	v_fma_f64 v[110:111], -v[104:105], v[108:109], 1.0
	v_fma_f64 v[108:109], v[108:109], v[110:111], v[108:109]
	v_fma_f64 v[110:111], -v[104:105], v[108:109], 1.0
	v_fma_f64 v[108:109], v[108:109], v[110:111], v[108:109]
	v_div_scale_f64 v[110:111], vcc_lo, 1.0, v[102:103], 1.0
	v_mul_f64 v[112:113], v[110:111], v[108:109]
	v_fma_f64 v[104:105], -v[104:105], v[112:113], v[110:111]
	v_div_fmas_f64 v[104:105], v[104:105], v[108:109], v[112:113]
	v_div_fixup_f64 v[108:109], v[104:105], v[102:103], 1.0
                                        ; implicit-def: $vgpr102_vgpr103
	v_mul_f64 v[106:107], v[106:107], v[108:109]
	v_xor_b32_e32 v109, 0x80000000, v109
.LBB43_32:
	s_andn2_saveexec_b32 s1, s1
	s_cbranch_execz .LBB43_34
; %bb.33:
	v_div_scale_f64 v[106:107], null, v[102:103], v[102:103], v[104:105]
	v_div_scale_f64 v[112:113], vcc_lo, v[104:105], v[102:103], v[104:105]
	v_rcp_f64_e32 v[108:109], v[106:107]
	v_fma_f64 v[110:111], -v[106:107], v[108:109], 1.0
	v_fma_f64 v[108:109], v[108:109], v[110:111], v[108:109]
	v_fma_f64 v[110:111], -v[106:107], v[108:109], 1.0
	v_fma_f64 v[108:109], v[108:109], v[110:111], v[108:109]
	v_mul_f64 v[110:111], v[112:113], v[108:109]
	v_fma_f64 v[106:107], -v[106:107], v[110:111], v[112:113]
	v_div_fmas_f64 v[106:107], v[106:107], v[108:109], v[110:111]
	v_div_fixup_f64 v[108:109], v[106:107], v[102:103], v[104:105]
	v_fma_f64 v[102:103], v[104:105], v[108:109], v[102:103]
	v_div_scale_f64 v[104:105], null, v[102:103], v[102:103], 1.0
	v_rcp_f64_e32 v[106:107], v[104:105]
	v_fma_f64 v[110:111], -v[104:105], v[106:107], 1.0
	v_fma_f64 v[106:107], v[106:107], v[110:111], v[106:107]
	v_fma_f64 v[110:111], -v[104:105], v[106:107], 1.0
	v_fma_f64 v[106:107], v[106:107], v[110:111], v[106:107]
	v_div_scale_f64 v[110:111], vcc_lo, 1.0, v[102:103], 1.0
	v_mul_f64 v[112:113], v[110:111], v[106:107]
	v_fma_f64 v[104:105], -v[104:105], v[112:113], v[110:111]
	v_div_fmas_f64 v[104:105], v[104:105], v[106:107], v[112:113]
	v_div_fixup_f64 v[106:107], v[104:105], v[102:103], 1.0
	v_mul_f64 v[108:109], v[108:109], -v[106:107]
.LBB43_34:
	s_or_b32 exec_lo, exec_lo, s1
	ds_write2_b64 v1, v[106:107], v[108:109] offset1:1
.LBB43_35:
	s_or_b32 exec_lo, exec_lo, s2
	s_waitcnt lgkmcnt(0)
	s_barrier
	buffer_gl0_inv
	ds_read2_b64 v[102:105], v1 offset1:1
	s_mov_b32 s1, exec_lo
	v_cmpx_lt_u32_e32 3, v0
	s_cbranch_execz .LBB43_37
; %bb.36:
	s_waitcnt lgkmcnt(0)
	v_mul_f64 v[106:107], v[104:105], v[76:77]
	v_mul_f64 v[76:77], v[102:103], v[76:77]
	ds_read2_b64 v[108:111], v224 offset0:8 offset1:9
	v_fma_f64 v[106:107], v[102:103], v[74:75], -v[106:107]
	v_fma_f64 v[76:77], v[104:105], v[74:75], v[76:77]
	s_waitcnt lgkmcnt(0)
	v_mul_f64 v[74:75], v[110:111], v[76:77]
	v_fma_f64 v[74:75], v[108:109], v[106:107], -v[74:75]
	v_mul_f64 v[108:109], v[108:109], v[76:77]
	v_add_f64 v[70:71], v[70:71], -v[74:75]
	v_fma_f64 v[108:109], v[110:111], v[106:107], v[108:109]
	v_add_f64 v[72:73], v[72:73], -v[108:109]
	ds_read2_b64 v[108:111], v224 offset0:10 offset1:11
	s_waitcnt lgkmcnt(0)
	v_mul_f64 v[74:75], v[110:111], v[76:77]
	v_fma_f64 v[74:75], v[108:109], v[106:107], -v[74:75]
	v_mul_f64 v[108:109], v[108:109], v[76:77]
	v_add_f64 v[66:67], v[66:67], -v[74:75]
	v_fma_f64 v[108:109], v[110:111], v[106:107], v[108:109]
	v_add_f64 v[68:69], v[68:69], -v[108:109]
	ds_read2_b64 v[108:111], v224 offset0:12 offset1:13
	;; [unrolled: 8-line block ×17, first 2 shown]
	s_waitcnt lgkmcnt(0)
	v_mul_f64 v[74:75], v[110:111], v[76:77]
	v_fma_f64 v[74:75], v[108:109], v[106:107], -v[74:75]
	v_mul_f64 v[108:109], v[108:109], v[76:77]
	v_add_f64 v[2:3], v[2:3], -v[74:75]
	v_fma_f64 v[108:109], v[110:111], v[106:107], v[108:109]
	v_mov_b32_e32 v74, v106
	v_mov_b32_e32 v75, v107
	v_add_f64 v[4:5], v[4:5], -v[108:109]
.LBB43_37:
	s_or_b32 exec_lo, exec_lo, s1
	s_mov_b32 s2, exec_lo
	s_waitcnt lgkmcnt(0)
	s_barrier
	buffer_gl0_inv
	v_cmpx_eq_u32_e32 4, v0
	s_cbranch_execz .LBB43_44
; %bb.38:
	ds_write2_b64 v1, v[70:71], v[72:73] offset1:1
	ds_write2_b64 v224, v[66:67], v[68:69] offset0:10 offset1:11
	ds_write2_b64 v224, v[62:63], v[64:65] offset0:12 offset1:13
	;; [unrolled: 1-line block ×17, first 2 shown]
	ds_read2_b64 v[106:109], v1 offset1:1
	s_waitcnt lgkmcnt(0)
	v_cmp_neq_f64_e32 vcc_lo, 0, v[106:107]
	v_cmp_neq_f64_e64 s1, 0, v[108:109]
	s_or_b32 s1, vcc_lo, s1
	s_and_b32 exec_lo, exec_lo, s1
	s_cbranch_execz .LBB43_44
; %bb.39:
	v_cmp_ngt_f64_e64 s1, |v[106:107]|, |v[108:109]|
                                        ; implicit-def: $vgpr110_vgpr111
	s_and_saveexec_b32 s3, s1
	s_xor_b32 s1, exec_lo, s3
                                        ; implicit-def: $vgpr112_vgpr113
	s_cbranch_execz .LBB43_41
; %bb.40:
	v_div_scale_f64 v[110:111], null, v[108:109], v[108:109], v[106:107]
	v_div_scale_f64 v[116:117], vcc_lo, v[106:107], v[108:109], v[106:107]
	v_rcp_f64_e32 v[112:113], v[110:111]
	v_fma_f64 v[114:115], -v[110:111], v[112:113], 1.0
	v_fma_f64 v[112:113], v[112:113], v[114:115], v[112:113]
	v_fma_f64 v[114:115], -v[110:111], v[112:113], 1.0
	v_fma_f64 v[112:113], v[112:113], v[114:115], v[112:113]
	v_mul_f64 v[114:115], v[116:117], v[112:113]
	v_fma_f64 v[110:111], -v[110:111], v[114:115], v[116:117]
	v_div_fmas_f64 v[110:111], v[110:111], v[112:113], v[114:115]
	v_div_fixup_f64 v[110:111], v[110:111], v[108:109], v[106:107]
	v_fma_f64 v[106:107], v[106:107], v[110:111], v[108:109]
	v_div_scale_f64 v[108:109], null, v[106:107], v[106:107], 1.0
	v_rcp_f64_e32 v[112:113], v[108:109]
	v_fma_f64 v[114:115], -v[108:109], v[112:113], 1.0
	v_fma_f64 v[112:113], v[112:113], v[114:115], v[112:113]
	v_fma_f64 v[114:115], -v[108:109], v[112:113], 1.0
	v_fma_f64 v[112:113], v[112:113], v[114:115], v[112:113]
	v_div_scale_f64 v[114:115], vcc_lo, 1.0, v[106:107], 1.0
	v_mul_f64 v[116:117], v[114:115], v[112:113]
	v_fma_f64 v[108:109], -v[108:109], v[116:117], v[114:115]
	v_div_fmas_f64 v[108:109], v[108:109], v[112:113], v[116:117]
	v_div_fixup_f64 v[112:113], v[108:109], v[106:107], 1.0
                                        ; implicit-def: $vgpr106_vgpr107
	v_mul_f64 v[110:111], v[110:111], v[112:113]
	v_xor_b32_e32 v113, 0x80000000, v113
.LBB43_41:
	s_andn2_saveexec_b32 s1, s1
	s_cbranch_execz .LBB43_43
; %bb.42:
	v_div_scale_f64 v[110:111], null, v[106:107], v[106:107], v[108:109]
	v_div_scale_f64 v[116:117], vcc_lo, v[108:109], v[106:107], v[108:109]
	v_rcp_f64_e32 v[112:113], v[110:111]
	v_fma_f64 v[114:115], -v[110:111], v[112:113], 1.0
	v_fma_f64 v[112:113], v[112:113], v[114:115], v[112:113]
	v_fma_f64 v[114:115], -v[110:111], v[112:113], 1.0
	v_fma_f64 v[112:113], v[112:113], v[114:115], v[112:113]
	v_mul_f64 v[114:115], v[116:117], v[112:113]
	v_fma_f64 v[110:111], -v[110:111], v[114:115], v[116:117]
	v_div_fmas_f64 v[110:111], v[110:111], v[112:113], v[114:115]
	v_div_fixup_f64 v[112:113], v[110:111], v[106:107], v[108:109]
	v_fma_f64 v[106:107], v[108:109], v[112:113], v[106:107]
	v_div_scale_f64 v[108:109], null, v[106:107], v[106:107], 1.0
	v_rcp_f64_e32 v[110:111], v[108:109]
	v_fma_f64 v[114:115], -v[108:109], v[110:111], 1.0
	v_fma_f64 v[110:111], v[110:111], v[114:115], v[110:111]
	v_fma_f64 v[114:115], -v[108:109], v[110:111], 1.0
	v_fma_f64 v[110:111], v[110:111], v[114:115], v[110:111]
	v_div_scale_f64 v[114:115], vcc_lo, 1.0, v[106:107], 1.0
	v_mul_f64 v[116:117], v[114:115], v[110:111]
	v_fma_f64 v[108:109], -v[108:109], v[116:117], v[114:115]
	v_div_fmas_f64 v[108:109], v[108:109], v[110:111], v[116:117]
	v_div_fixup_f64 v[110:111], v[108:109], v[106:107], 1.0
	v_mul_f64 v[112:113], v[112:113], -v[110:111]
.LBB43_43:
	s_or_b32 exec_lo, exec_lo, s1
	ds_write2_b64 v1, v[110:111], v[112:113] offset1:1
.LBB43_44:
	s_or_b32 exec_lo, exec_lo, s2
	s_waitcnt lgkmcnt(0)
	s_barrier
	buffer_gl0_inv
	ds_read2_b64 v[106:109], v1 offset1:1
	s_mov_b32 s1, exec_lo
	v_cmpx_lt_u32_e32 4, v0
	s_cbranch_execz .LBB43_46
; %bb.45:
	s_waitcnt lgkmcnt(0)
	v_mul_f64 v[110:111], v[108:109], v[72:73]
	v_mul_f64 v[72:73], v[106:107], v[72:73]
	ds_read2_b64 v[112:115], v224 offset0:10 offset1:11
	v_fma_f64 v[110:111], v[106:107], v[70:71], -v[110:111]
	v_fma_f64 v[72:73], v[108:109], v[70:71], v[72:73]
	s_waitcnt lgkmcnt(0)
	v_mul_f64 v[70:71], v[114:115], v[72:73]
	v_fma_f64 v[70:71], v[112:113], v[110:111], -v[70:71]
	v_mul_f64 v[112:113], v[112:113], v[72:73]
	v_add_f64 v[66:67], v[66:67], -v[70:71]
	v_fma_f64 v[112:113], v[114:115], v[110:111], v[112:113]
	v_add_f64 v[68:69], v[68:69], -v[112:113]
	ds_read2_b64 v[112:115], v224 offset0:12 offset1:13
	s_waitcnt lgkmcnt(0)
	v_mul_f64 v[70:71], v[114:115], v[72:73]
	v_fma_f64 v[70:71], v[112:113], v[110:111], -v[70:71]
	v_mul_f64 v[112:113], v[112:113], v[72:73]
	v_add_f64 v[62:63], v[62:63], -v[70:71]
	v_fma_f64 v[112:113], v[114:115], v[110:111], v[112:113]
	v_add_f64 v[64:65], v[64:65], -v[112:113]
	ds_read2_b64 v[112:115], v224 offset0:14 offset1:15
	;; [unrolled: 8-line block ×16, first 2 shown]
	s_waitcnt lgkmcnt(0)
	v_mul_f64 v[70:71], v[114:115], v[72:73]
	v_fma_f64 v[70:71], v[112:113], v[110:111], -v[70:71]
	v_mul_f64 v[112:113], v[112:113], v[72:73]
	v_add_f64 v[2:3], v[2:3], -v[70:71]
	v_fma_f64 v[112:113], v[114:115], v[110:111], v[112:113]
	v_mov_b32_e32 v70, v110
	v_mov_b32_e32 v71, v111
	v_add_f64 v[4:5], v[4:5], -v[112:113]
.LBB43_46:
	s_or_b32 exec_lo, exec_lo, s1
	s_mov_b32 s2, exec_lo
	s_waitcnt lgkmcnt(0)
	s_barrier
	buffer_gl0_inv
	v_cmpx_eq_u32_e32 5, v0
	s_cbranch_execz .LBB43_53
; %bb.47:
	ds_write2_b64 v1, v[66:67], v[68:69] offset1:1
	ds_write2_b64 v224, v[62:63], v[64:65] offset0:12 offset1:13
	ds_write2_b64 v224, v[58:59], v[60:61] offset0:14 offset1:15
	;; [unrolled: 1-line block ×16, first 2 shown]
	ds_read2_b64 v[110:113], v1 offset1:1
	s_waitcnt lgkmcnt(0)
	v_cmp_neq_f64_e32 vcc_lo, 0, v[110:111]
	v_cmp_neq_f64_e64 s1, 0, v[112:113]
	s_or_b32 s1, vcc_lo, s1
	s_and_b32 exec_lo, exec_lo, s1
	s_cbranch_execz .LBB43_53
; %bb.48:
	v_cmp_ngt_f64_e64 s1, |v[110:111]|, |v[112:113]|
                                        ; implicit-def: $vgpr114_vgpr115
	s_and_saveexec_b32 s3, s1
	s_xor_b32 s1, exec_lo, s3
                                        ; implicit-def: $vgpr116_vgpr117
	s_cbranch_execz .LBB43_50
; %bb.49:
	v_div_scale_f64 v[114:115], null, v[112:113], v[112:113], v[110:111]
	v_div_scale_f64 v[120:121], vcc_lo, v[110:111], v[112:113], v[110:111]
	v_rcp_f64_e32 v[116:117], v[114:115]
	v_fma_f64 v[118:119], -v[114:115], v[116:117], 1.0
	v_fma_f64 v[116:117], v[116:117], v[118:119], v[116:117]
	v_fma_f64 v[118:119], -v[114:115], v[116:117], 1.0
	v_fma_f64 v[116:117], v[116:117], v[118:119], v[116:117]
	v_mul_f64 v[118:119], v[120:121], v[116:117]
	v_fma_f64 v[114:115], -v[114:115], v[118:119], v[120:121]
	v_div_fmas_f64 v[114:115], v[114:115], v[116:117], v[118:119]
	v_div_fixup_f64 v[114:115], v[114:115], v[112:113], v[110:111]
	v_fma_f64 v[110:111], v[110:111], v[114:115], v[112:113]
	v_div_scale_f64 v[112:113], null, v[110:111], v[110:111], 1.0
	v_rcp_f64_e32 v[116:117], v[112:113]
	v_fma_f64 v[118:119], -v[112:113], v[116:117], 1.0
	v_fma_f64 v[116:117], v[116:117], v[118:119], v[116:117]
	v_fma_f64 v[118:119], -v[112:113], v[116:117], 1.0
	v_fma_f64 v[116:117], v[116:117], v[118:119], v[116:117]
	v_div_scale_f64 v[118:119], vcc_lo, 1.0, v[110:111], 1.0
	v_mul_f64 v[120:121], v[118:119], v[116:117]
	v_fma_f64 v[112:113], -v[112:113], v[120:121], v[118:119]
	v_div_fmas_f64 v[112:113], v[112:113], v[116:117], v[120:121]
	v_div_fixup_f64 v[116:117], v[112:113], v[110:111], 1.0
                                        ; implicit-def: $vgpr110_vgpr111
	v_mul_f64 v[114:115], v[114:115], v[116:117]
	v_xor_b32_e32 v117, 0x80000000, v117
.LBB43_50:
	s_andn2_saveexec_b32 s1, s1
	s_cbranch_execz .LBB43_52
; %bb.51:
	v_div_scale_f64 v[114:115], null, v[110:111], v[110:111], v[112:113]
	v_div_scale_f64 v[120:121], vcc_lo, v[112:113], v[110:111], v[112:113]
	v_rcp_f64_e32 v[116:117], v[114:115]
	v_fma_f64 v[118:119], -v[114:115], v[116:117], 1.0
	v_fma_f64 v[116:117], v[116:117], v[118:119], v[116:117]
	v_fma_f64 v[118:119], -v[114:115], v[116:117], 1.0
	v_fma_f64 v[116:117], v[116:117], v[118:119], v[116:117]
	v_mul_f64 v[118:119], v[120:121], v[116:117]
	v_fma_f64 v[114:115], -v[114:115], v[118:119], v[120:121]
	v_div_fmas_f64 v[114:115], v[114:115], v[116:117], v[118:119]
	v_div_fixup_f64 v[116:117], v[114:115], v[110:111], v[112:113]
	v_fma_f64 v[110:111], v[112:113], v[116:117], v[110:111]
	v_div_scale_f64 v[112:113], null, v[110:111], v[110:111], 1.0
	v_rcp_f64_e32 v[114:115], v[112:113]
	v_fma_f64 v[118:119], -v[112:113], v[114:115], 1.0
	v_fma_f64 v[114:115], v[114:115], v[118:119], v[114:115]
	v_fma_f64 v[118:119], -v[112:113], v[114:115], 1.0
	v_fma_f64 v[114:115], v[114:115], v[118:119], v[114:115]
	v_div_scale_f64 v[118:119], vcc_lo, 1.0, v[110:111], 1.0
	v_mul_f64 v[120:121], v[118:119], v[114:115]
	v_fma_f64 v[112:113], -v[112:113], v[120:121], v[118:119]
	v_div_fmas_f64 v[112:113], v[112:113], v[114:115], v[120:121]
	v_div_fixup_f64 v[114:115], v[112:113], v[110:111], 1.0
	v_mul_f64 v[116:117], v[116:117], -v[114:115]
.LBB43_52:
	s_or_b32 exec_lo, exec_lo, s1
	ds_write2_b64 v1, v[114:115], v[116:117] offset1:1
.LBB43_53:
	s_or_b32 exec_lo, exec_lo, s2
	s_waitcnt lgkmcnt(0)
	s_barrier
	buffer_gl0_inv
	ds_read2_b64 v[110:113], v1 offset1:1
	s_mov_b32 s1, exec_lo
	v_cmpx_lt_u32_e32 5, v0
	s_cbranch_execz .LBB43_55
; %bb.54:
	s_waitcnt lgkmcnt(0)
	v_mul_f64 v[114:115], v[110:111], v[68:69]
	v_mul_f64 v[68:69], v[112:113], v[68:69]
	ds_read2_b64 v[116:119], v224 offset0:12 offset1:13
	v_fma_f64 v[114:115], v[112:113], v[66:67], v[114:115]
	v_fma_f64 v[66:67], v[110:111], v[66:67], -v[68:69]
	s_waitcnt lgkmcnt(0)
	v_mul_f64 v[68:69], v[118:119], v[114:115]
	v_fma_f64 v[68:69], v[116:117], v[66:67], -v[68:69]
	v_mul_f64 v[116:117], v[116:117], v[114:115]
	v_add_f64 v[62:63], v[62:63], -v[68:69]
	v_fma_f64 v[116:117], v[118:119], v[66:67], v[116:117]
	v_add_f64 v[64:65], v[64:65], -v[116:117]
	ds_read2_b64 v[116:119], v224 offset0:14 offset1:15
	s_waitcnt lgkmcnt(0)
	v_mul_f64 v[68:69], v[118:119], v[114:115]
	v_fma_f64 v[68:69], v[116:117], v[66:67], -v[68:69]
	v_mul_f64 v[116:117], v[116:117], v[114:115]
	v_add_f64 v[58:59], v[58:59], -v[68:69]
	v_fma_f64 v[116:117], v[118:119], v[66:67], v[116:117]
	v_add_f64 v[60:61], v[60:61], -v[116:117]
	ds_read2_b64 v[116:119], v224 offset0:16 offset1:17
	;; [unrolled: 8-line block ×15, first 2 shown]
	s_waitcnt lgkmcnt(0)
	v_mul_f64 v[68:69], v[118:119], v[114:115]
	v_fma_f64 v[68:69], v[116:117], v[66:67], -v[68:69]
	v_mul_f64 v[116:117], v[116:117], v[114:115]
	v_add_f64 v[2:3], v[2:3], -v[68:69]
	v_fma_f64 v[116:117], v[118:119], v[66:67], v[116:117]
	v_mov_b32_e32 v68, v114
	v_mov_b32_e32 v69, v115
	v_add_f64 v[4:5], v[4:5], -v[116:117]
.LBB43_55:
	s_or_b32 exec_lo, exec_lo, s1
	s_mov_b32 s2, exec_lo
	s_waitcnt lgkmcnt(0)
	s_barrier
	buffer_gl0_inv
	v_cmpx_eq_u32_e32 6, v0
	s_cbranch_execz .LBB43_62
; %bb.56:
	ds_write2_b64 v1, v[62:63], v[64:65] offset1:1
	ds_write2_b64 v224, v[58:59], v[60:61] offset0:14 offset1:15
	ds_write2_b64 v224, v[54:55], v[56:57] offset0:16 offset1:17
	;; [unrolled: 1-line block ×15, first 2 shown]
	ds_read2_b64 v[114:117], v1 offset1:1
	s_waitcnt lgkmcnt(0)
	v_cmp_neq_f64_e32 vcc_lo, 0, v[114:115]
	v_cmp_neq_f64_e64 s1, 0, v[116:117]
	s_or_b32 s1, vcc_lo, s1
	s_and_b32 exec_lo, exec_lo, s1
	s_cbranch_execz .LBB43_62
; %bb.57:
	v_cmp_ngt_f64_e64 s1, |v[114:115]|, |v[116:117]|
                                        ; implicit-def: $vgpr118_vgpr119
	s_and_saveexec_b32 s3, s1
	s_xor_b32 s1, exec_lo, s3
                                        ; implicit-def: $vgpr120_vgpr121
	s_cbranch_execz .LBB43_59
; %bb.58:
	v_div_scale_f64 v[118:119], null, v[116:117], v[116:117], v[114:115]
	v_div_scale_f64 v[124:125], vcc_lo, v[114:115], v[116:117], v[114:115]
	v_rcp_f64_e32 v[120:121], v[118:119]
	v_fma_f64 v[122:123], -v[118:119], v[120:121], 1.0
	v_fma_f64 v[120:121], v[120:121], v[122:123], v[120:121]
	v_fma_f64 v[122:123], -v[118:119], v[120:121], 1.0
	v_fma_f64 v[120:121], v[120:121], v[122:123], v[120:121]
	v_mul_f64 v[122:123], v[124:125], v[120:121]
	v_fma_f64 v[118:119], -v[118:119], v[122:123], v[124:125]
	v_div_fmas_f64 v[118:119], v[118:119], v[120:121], v[122:123]
	v_div_fixup_f64 v[118:119], v[118:119], v[116:117], v[114:115]
	v_fma_f64 v[114:115], v[114:115], v[118:119], v[116:117]
	v_div_scale_f64 v[116:117], null, v[114:115], v[114:115], 1.0
	v_rcp_f64_e32 v[120:121], v[116:117]
	v_fma_f64 v[122:123], -v[116:117], v[120:121], 1.0
	v_fma_f64 v[120:121], v[120:121], v[122:123], v[120:121]
	v_fma_f64 v[122:123], -v[116:117], v[120:121], 1.0
	v_fma_f64 v[120:121], v[120:121], v[122:123], v[120:121]
	v_div_scale_f64 v[122:123], vcc_lo, 1.0, v[114:115], 1.0
	v_mul_f64 v[124:125], v[122:123], v[120:121]
	v_fma_f64 v[116:117], -v[116:117], v[124:125], v[122:123]
	v_div_fmas_f64 v[116:117], v[116:117], v[120:121], v[124:125]
	v_div_fixup_f64 v[120:121], v[116:117], v[114:115], 1.0
                                        ; implicit-def: $vgpr114_vgpr115
	v_mul_f64 v[118:119], v[118:119], v[120:121]
	v_xor_b32_e32 v121, 0x80000000, v121
.LBB43_59:
	s_andn2_saveexec_b32 s1, s1
	s_cbranch_execz .LBB43_61
; %bb.60:
	v_div_scale_f64 v[118:119], null, v[114:115], v[114:115], v[116:117]
	v_div_scale_f64 v[124:125], vcc_lo, v[116:117], v[114:115], v[116:117]
	v_rcp_f64_e32 v[120:121], v[118:119]
	v_fma_f64 v[122:123], -v[118:119], v[120:121], 1.0
	v_fma_f64 v[120:121], v[120:121], v[122:123], v[120:121]
	v_fma_f64 v[122:123], -v[118:119], v[120:121], 1.0
	v_fma_f64 v[120:121], v[120:121], v[122:123], v[120:121]
	v_mul_f64 v[122:123], v[124:125], v[120:121]
	v_fma_f64 v[118:119], -v[118:119], v[122:123], v[124:125]
	v_div_fmas_f64 v[118:119], v[118:119], v[120:121], v[122:123]
	v_div_fixup_f64 v[120:121], v[118:119], v[114:115], v[116:117]
	v_fma_f64 v[114:115], v[116:117], v[120:121], v[114:115]
	v_div_scale_f64 v[116:117], null, v[114:115], v[114:115], 1.0
	v_rcp_f64_e32 v[118:119], v[116:117]
	v_fma_f64 v[122:123], -v[116:117], v[118:119], 1.0
	v_fma_f64 v[118:119], v[118:119], v[122:123], v[118:119]
	v_fma_f64 v[122:123], -v[116:117], v[118:119], 1.0
	v_fma_f64 v[118:119], v[118:119], v[122:123], v[118:119]
	v_div_scale_f64 v[122:123], vcc_lo, 1.0, v[114:115], 1.0
	v_mul_f64 v[124:125], v[122:123], v[118:119]
	v_fma_f64 v[116:117], -v[116:117], v[124:125], v[122:123]
	v_div_fmas_f64 v[116:117], v[116:117], v[118:119], v[124:125]
	v_div_fixup_f64 v[118:119], v[116:117], v[114:115], 1.0
	v_mul_f64 v[120:121], v[120:121], -v[118:119]
.LBB43_61:
	s_or_b32 exec_lo, exec_lo, s1
	ds_write2_b64 v1, v[118:119], v[120:121] offset1:1
.LBB43_62:
	s_or_b32 exec_lo, exec_lo, s2
	s_waitcnt lgkmcnt(0)
	s_barrier
	buffer_gl0_inv
	ds_read2_b64 v[114:117], v1 offset1:1
	s_mov_b32 s1, exec_lo
	v_cmpx_lt_u32_e32 6, v0
	s_cbranch_execz .LBB43_64
; %bb.63:
	s_waitcnt lgkmcnt(0)
	v_mul_f64 v[118:119], v[114:115], v[64:65]
	v_mul_f64 v[64:65], v[116:117], v[64:65]
	ds_read2_b64 v[120:123], v224 offset0:14 offset1:15
	v_fma_f64 v[118:119], v[116:117], v[62:63], v[118:119]
	v_fma_f64 v[62:63], v[114:115], v[62:63], -v[64:65]
	s_waitcnt lgkmcnt(0)
	v_mul_f64 v[64:65], v[122:123], v[118:119]
	v_fma_f64 v[64:65], v[120:121], v[62:63], -v[64:65]
	v_mul_f64 v[120:121], v[120:121], v[118:119]
	v_add_f64 v[58:59], v[58:59], -v[64:65]
	v_fma_f64 v[120:121], v[122:123], v[62:63], v[120:121]
	v_add_f64 v[60:61], v[60:61], -v[120:121]
	ds_read2_b64 v[120:123], v224 offset0:16 offset1:17
	s_waitcnt lgkmcnt(0)
	v_mul_f64 v[64:65], v[122:123], v[118:119]
	v_fma_f64 v[64:65], v[120:121], v[62:63], -v[64:65]
	v_mul_f64 v[120:121], v[120:121], v[118:119]
	v_add_f64 v[54:55], v[54:55], -v[64:65]
	v_fma_f64 v[120:121], v[122:123], v[62:63], v[120:121]
	v_add_f64 v[56:57], v[56:57], -v[120:121]
	ds_read2_b64 v[120:123], v224 offset0:18 offset1:19
	;; [unrolled: 8-line block ×14, first 2 shown]
	s_waitcnt lgkmcnt(0)
	v_mul_f64 v[64:65], v[122:123], v[118:119]
	v_fma_f64 v[64:65], v[120:121], v[62:63], -v[64:65]
	v_mul_f64 v[120:121], v[120:121], v[118:119]
	v_add_f64 v[2:3], v[2:3], -v[64:65]
	v_fma_f64 v[120:121], v[122:123], v[62:63], v[120:121]
	v_mov_b32_e32 v64, v118
	v_mov_b32_e32 v65, v119
	v_add_f64 v[4:5], v[4:5], -v[120:121]
.LBB43_64:
	s_or_b32 exec_lo, exec_lo, s1
	s_mov_b32 s2, exec_lo
	s_waitcnt lgkmcnt(0)
	s_barrier
	buffer_gl0_inv
	v_cmpx_eq_u32_e32 7, v0
	s_cbranch_execz .LBB43_71
; %bb.65:
	ds_write2_b64 v1, v[58:59], v[60:61] offset1:1
	ds_write2_b64 v224, v[54:55], v[56:57] offset0:16 offset1:17
	ds_write2_b64 v224, v[50:51], v[52:53] offset0:18 offset1:19
	;; [unrolled: 1-line block ×14, first 2 shown]
	ds_read2_b64 v[118:121], v1 offset1:1
	s_waitcnt lgkmcnt(0)
	v_cmp_neq_f64_e32 vcc_lo, 0, v[118:119]
	v_cmp_neq_f64_e64 s1, 0, v[120:121]
	s_or_b32 s1, vcc_lo, s1
	s_and_b32 exec_lo, exec_lo, s1
	s_cbranch_execz .LBB43_71
; %bb.66:
	v_cmp_ngt_f64_e64 s1, |v[118:119]|, |v[120:121]|
                                        ; implicit-def: $vgpr122_vgpr123
	s_and_saveexec_b32 s3, s1
	s_xor_b32 s1, exec_lo, s3
                                        ; implicit-def: $vgpr124_vgpr125
	s_cbranch_execz .LBB43_68
; %bb.67:
	v_div_scale_f64 v[122:123], null, v[120:121], v[120:121], v[118:119]
	v_div_scale_f64 v[128:129], vcc_lo, v[118:119], v[120:121], v[118:119]
	v_rcp_f64_e32 v[124:125], v[122:123]
	v_fma_f64 v[126:127], -v[122:123], v[124:125], 1.0
	v_fma_f64 v[124:125], v[124:125], v[126:127], v[124:125]
	v_fma_f64 v[126:127], -v[122:123], v[124:125], 1.0
	v_fma_f64 v[124:125], v[124:125], v[126:127], v[124:125]
	v_mul_f64 v[126:127], v[128:129], v[124:125]
	v_fma_f64 v[122:123], -v[122:123], v[126:127], v[128:129]
	v_div_fmas_f64 v[122:123], v[122:123], v[124:125], v[126:127]
	v_div_fixup_f64 v[122:123], v[122:123], v[120:121], v[118:119]
	v_fma_f64 v[118:119], v[118:119], v[122:123], v[120:121]
	v_div_scale_f64 v[120:121], null, v[118:119], v[118:119], 1.0
	v_rcp_f64_e32 v[124:125], v[120:121]
	v_fma_f64 v[126:127], -v[120:121], v[124:125], 1.0
	v_fma_f64 v[124:125], v[124:125], v[126:127], v[124:125]
	v_fma_f64 v[126:127], -v[120:121], v[124:125], 1.0
	v_fma_f64 v[124:125], v[124:125], v[126:127], v[124:125]
	v_div_scale_f64 v[126:127], vcc_lo, 1.0, v[118:119], 1.0
	v_mul_f64 v[128:129], v[126:127], v[124:125]
	v_fma_f64 v[120:121], -v[120:121], v[128:129], v[126:127]
	v_div_fmas_f64 v[120:121], v[120:121], v[124:125], v[128:129]
	v_div_fixup_f64 v[124:125], v[120:121], v[118:119], 1.0
                                        ; implicit-def: $vgpr118_vgpr119
	v_mul_f64 v[122:123], v[122:123], v[124:125]
	v_xor_b32_e32 v125, 0x80000000, v125
.LBB43_68:
	s_andn2_saveexec_b32 s1, s1
	s_cbranch_execz .LBB43_70
; %bb.69:
	v_div_scale_f64 v[122:123], null, v[118:119], v[118:119], v[120:121]
	v_div_scale_f64 v[128:129], vcc_lo, v[120:121], v[118:119], v[120:121]
	v_rcp_f64_e32 v[124:125], v[122:123]
	v_fma_f64 v[126:127], -v[122:123], v[124:125], 1.0
	v_fma_f64 v[124:125], v[124:125], v[126:127], v[124:125]
	v_fma_f64 v[126:127], -v[122:123], v[124:125], 1.0
	v_fma_f64 v[124:125], v[124:125], v[126:127], v[124:125]
	v_mul_f64 v[126:127], v[128:129], v[124:125]
	v_fma_f64 v[122:123], -v[122:123], v[126:127], v[128:129]
	v_div_fmas_f64 v[122:123], v[122:123], v[124:125], v[126:127]
	v_div_fixup_f64 v[124:125], v[122:123], v[118:119], v[120:121]
	v_fma_f64 v[118:119], v[120:121], v[124:125], v[118:119]
	v_div_scale_f64 v[120:121], null, v[118:119], v[118:119], 1.0
	v_rcp_f64_e32 v[122:123], v[120:121]
	v_fma_f64 v[126:127], -v[120:121], v[122:123], 1.0
	v_fma_f64 v[122:123], v[122:123], v[126:127], v[122:123]
	v_fma_f64 v[126:127], -v[120:121], v[122:123], 1.0
	v_fma_f64 v[122:123], v[122:123], v[126:127], v[122:123]
	v_div_scale_f64 v[126:127], vcc_lo, 1.0, v[118:119], 1.0
	v_mul_f64 v[128:129], v[126:127], v[122:123]
	v_fma_f64 v[120:121], -v[120:121], v[128:129], v[126:127]
	v_div_fmas_f64 v[120:121], v[120:121], v[122:123], v[128:129]
	v_div_fixup_f64 v[122:123], v[120:121], v[118:119], 1.0
	v_mul_f64 v[124:125], v[124:125], -v[122:123]
.LBB43_70:
	s_or_b32 exec_lo, exec_lo, s1
	ds_write2_b64 v1, v[122:123], v[124:125] offset1:1
.LBB43_71:
	s_or_b32 exec_lo, exec_lo, s2
	s_waitcnt lgkmcnt(0)
	s_barrier
	buffer_gl0_inv
	ds_read2_b64 v[118:121], v1 offset1:1
	s_mov_b32 s1, exec_lo
	v_cmpx_lt_u32_e32 7, v0
	s_cbranch_execz .LBB43_73
; %bb.72:
	s_waitcnt lgkmcnt(0)
	v_mul_f64 v[122:123], v[118:119], v[60:61]
	v_mul_f64 v[60:61], v[120:121], v[60:61]
	v_fma_f64 v[126:127], v[120:121], v[58:59], v[122:123]
	ds_read2_b64 v[122:125], v224 offset0:16 offset1:17
	v_fma_f64 v[58:59], v[118:119], v[58:59], -v[60:61]
	s_waitcnt lgkmcnt(0)
	v_mul_f64 v[60:61], v[124:125], v[126:127]
	v_fma_f64 v[60:61], v[122:123], v[58:59], -v[60:61]
	v_mul_f64 v[122:123], v[122:123], v[126:127]
	v_add_f64 v[54:55], v[54:55], -v[60:61]
	v_fma_f64 v[122:123], v[124:125], v[58:59], v[122:123]
	v_add_f64 v[56:57], v[56:57], -v[122:123]
	ds_read2_b64 v[122:125], v224 offset0:18 offset1:19
	s_waitcnt lgkmcnt(0)
	v_mul_f64 v[60:61], v[124:125], v[126:127]
	v_fma_f64 v[60:61], v[122:123], v[58:59], -v[60:61]
	v_mul_f64 v[122:123], v[122:123], v[126:127]
	v_add_f64 v[50:51], v[50:51], -v[60:61]
	v_fma_f64 v[122:123], v[124:125], v[58:59], v[122:123]
	v_add_f64 v[52:53], v[52:53], -v[122:123]
	ds_read2_b64 v[122:125], v224 offset0:20 offset1:21
	;; [unrolled: 8-line block ×13, first 2 shown]
	s_waitcnt lgkmcnt(0)
	v_mul_f64 v[60:61], v[124:125], v[126:127]
	v_fma_f64 v[60:61], v[122:123], v[58:59], -v[60:61]
	v_mul_f64 v[122:123], v[122:123], v[126:127]
	v_add_f64 v[2:3], v[2:3], -v[60:61]
	v_fma_f64 v[122:123], v[124:125], v[58:59], v[122:123]
	v_mov_b32_e32 v60, v126
	v_mov_b32_e32 v61, v127
	v_add_f64 v[4:5], v[4:5], -v[122:123]
.LBB43_73:
	s_or_b32 exec_lo, exec_lo, s1
	s_mov_b32 s2, exec_lo
	s_waitcnt lgkmcnt(0)
	s_barrier
	buffer_gl0_inv
	v_cmpx_eq_u32_e32 8, v0
	s_cbranch_execz .LBB43_80
; %bb.74:
	ds_write2_b64 v1, v[54:55], v[56:57] offset1:1
	ds_write2_b64 v224, v[50:51], v[52:53] offset0:18 offset1:19
	ds_write2_b64 v224, v[46:47], v[48:49] offset0:20 offset1:21
	;; [unrolled: 1-line block ×13, first 2 shown]
	ds_read2_b64 v[122:125], v1 offset1:1
	s_waitcnt lgkmcnt(0)
	v_cmp_neq_f64_e32 vcc_lo, 0, v[122:123]
	v_cmp_neq_f64_e64 s1, 0, v[124:125]
	s_or_b32 s1, vcc_lo, s1
	s_and_b32 exec_lo, exec_lo, s1
	s_cbranch_execz .LBB43_80
; %bb.75:
	v_cmp_ngt_f64_e64 s1, |v[122:123]|, |v[124:125]|
                                        ; implicit-def: $vgpr126_vgpr127
	s_and_saveexec_b32 s3, s1
	s_xor_b32 s1, exec_lo, s3
                                        ; implicit-def: $vgpr128_vgpr129
	s_cbranch_execz .LBB43_77
; %bb.76:
	v_div_scale_f64 v[126:127], null, v[124:125], v[124:125], v[122:123]
	v_div_scale_f64 v[132:133], vcc_lo, v[122:123], v[124:125], v[122:123]
	v_rcp_f64_e32 v[128:129], v[126:127]
	v_fma_f64 v[130:131], -v[126:127], v[128:129], 1.0
	v_fma_f64 v[128:129], v[128:129], v[130:131], v[128:129]
	v_fma_f64 v[130:131], -v[126:127], v[128:129], 1.0
	v_fma_f64 v[128:129], v[128:129], v[130:131], v[128:129]
	v_mul_f64 v[130:131], v[132:133], v[128:129]
	v_fma_f64 v[126:127], -v[126:127], v[130:131], v[132:133]
	v_div_fmas_f64 v[126:127], v[126:127], v[128:129], v[130:131]
	v_div_fixup_f64 v[126:127], v[126:127], v[124:125], v[122:123]
	v_fma_f64 v[122:123], v[122:123], v[126:127], v[124:125]
	v_div_scale_f64 v[124:125], null, v[122:123], v[122:123], 1.0
	v_rcp_f64_e32 v[128:129], v[124:125]
	v_fma_f64 v[130:131], -v[124:125], v[128:129], 1.0
	v_fma_f64 v[128:129], v[128:129], v[130:131], v[128:129]
	v_fma_f64 v[130:131], -v[124:125], v[128:129], 1.0
	v_fma_f64 v[128:129], v[128:129], v[130:131], v[128:129]
	v_div_scale_f64 v[130:131], vcc_lo, 1.0, v[122:123], 1.0
	v_mul_f64 v[132:133], v[130:131], v[128:129]
	v_fma_f64 v[124:125], -v[124:125], v[132:133], v[130:131]
	v_div_fmas_f64 v[124:125], v[124:125], v[128:129], v[132:133]
	v_div_fixup_f64 v[128:129], v[124:125], v[122:123], 1.0
                                        ; implicit-def: $vgpr122_vgpr123
	v_mul_f64 v[126:127], v[126:127], v[128:129]
	v_xor_b32_e32 v129, 0x80000000, v129
.LBB43_77:
	s_andn2_saveexec_b32 s1, s1
	s_cbranch_execz .LBB43_79
; %bb.78:
	v_div_scale_f64 v[126:127], null, v[122:123], v[122:123], v[124:125]
	v_div_scale_f64 v[132:133], vcc_lo, v[124:125], v[122:123], v[124:125]
	v_rcp_f64_e32 v[128:129], v[126:127]
	v_fma_f64 v[130:131], -v[126:127], v[128:129], 1.0
	v_fma_f64 v[128:129], v[128:129], v[130:131], v[128:129]
	v_fma_f64 v[130:131], -v[126:127], v[128:129], 1.0
	v_fma_f64 v[128:129], v[128:129], v[130:131], v[128:129]
	v_mul_f64 v[130:131], v[132:133], v[128:129]
	v_fma_f64 v[126:127], -v[126:127], v[130:131], v[132:133]
	v_div_fmas_f64 v[126:127], v[126:127], v[128:129], v[130:131]
	v_div_fixup_f64 v[128:129], v[126:127], v[122:123], v[124:125]
	v_fma_f64 v[122:123], v[124:125], v[128:129], v[122:123]
	v_div_scale_f64 v[124:125], null, v[122:123], v[122:123], 1.0
	v_rcp_f64_e32 v[126:127], v[124:125]
	v_fma_f64 v[130:131], -v[124:125], v[126:127], 1.0
	v_fma_f64 v[126:127], v[126:127], v[130:131], v[126:127]
	v_fma_f64 v[130:131], -v[124:125], v[126:127], 1.0
	v_fma_f64 v[126:127], v[126:127], v[130:131], v[126:127]
	v_div_scale_f64 v[130:131], vcc_lo, 1.0, v[122:123], 1.0
	v_mul_f64 v[132:133], v[130:131], v[126:127]
	v_fma_f64 v[124:125], -v[124:125], v[132:133], v[130:131]
	v_div_fmas_f64 v[124:125], v[124:125], v[126:127], v[132:133]
	v_div_fixup_f64 v[126:127], v[124:125], v[122:123], 1.0
	v_mul_f64 v[128:129], v[128:129], -v[126:127]
.LBB43_79:
	s_or_b32 exec_lo, exec_lo, s1
	ds_write2_b64 v1, v[126:127], v[128:129] offset1:1
.LBB43_80:
	s_or_b32 exec_lo, exec_lo, s2
	s_waitcnt lgkmcnt(0)
	s_barrier
	buffer_gl0_inv
	ds_read2_b64 v[122:125], v1 offset1:1
	s_mov_b32 s1, exec_lo
	v_cmpx_lt_u32_e32 8, v0
	s_cbranch_execz .LBB43_82
; %bb.81:
	s_waitcnt lgkmcnt(0)
	v_mul_f64 v[126:127], v[122:123], v[56:57]
	v_mul_f64 v[56:57], v[124:125], v[56:57]
	v_fma_f64 v[130:131], v[124:125], v[54:55], v[126:127]
	ds_read2_b64 v[126:129], v224 offset0:18 offset1:19
	v_fma_f64 v[54:55], v[122:123], v[54:55], -v[56:57]
	s_waitcnt lgkmcnt(0)
	v_mul_f64 v[56:57], v[128:129], v[130:131]
	v_fma_f64 v[56:57], v[126:127], v[54:55], -v[56:57]
	v_mul_f64 v[126:127], v[126:127], v[130:131]
	v_add_f64 v[50:51], v[50:51], -v[56:57]
	v_fma_f64 v[126:127], v[128:129], v[54:55], v[126:127]
	v_add_f64 v[52:53], v[52:53], -v[126:127]
	ds_read2_b64 v[126:129], v224 offset0:20 offset1:21
	s_waitcnt lgkmcnt(0)
	v_mul_f64 v[56:57], v[128:129], v[130:131]
	v_fma_f64 v[56:57], v[126:127], v[54:55], -v[56:57]
	v_mul_f64 v[126:127], v[126:127], v[130:131]
	v_add_f64 v[46:47], v[46:47], -v[56:57]
	v_fma_f64 v[126:127], v[128:129], v[54:55], v[126:127]
	v_add_f64 v[48:49], v[48:49], -v[126:127]
	ds_read2_b64 v[126:129], v224 offset0:22 offset1:23
	;; [unrolled: 8-line block ×12, first 2 shown]
	s_waitcnt lgkmcnt(0)
	v_mul_f64 v[56:57], v[128:129], v[130:131]
	v_fma_f64 v[56:57], v[126:127], v[54:55], -v[56:57]
	v_mul_f64 v[126:127], v[126:127], v[130:131]
	v_add_f64 v[2:3], v[2:3], -v[56:57]
	v_fma_f64 v[126:127], v[128:129], v[54:55], v[126:127]
	v_mov_b32_e32 v56, v130
	v_mov_b32_e32 v57, v131
	v_add_f64 v[4:5], v[4:5], -v[126:127]
.LBB43_82:
	s_or_b32 exec_lo, exec_lo, s1
	s_mov_b32 s2, exec_lo
	s_waitcnt lgkmcnt(0)
	s_barrier
	buffer_gl0_inv
	v_cmpx_eq_u32_e32 9, v0
	s_cbranch_execz .LBB43_89
; %bb.83:
	ds_write2_b64 v1, v[50:51], v[52:53] offset1:1
	ds_write2_b64 v224, v[46:47], v[48:49] offset0:20 offset1:21
	ds_write2_b64 v224, v[42:43], v[44:45] offset0:22 offset1:23
	;; [unrolled: 1-line block ×12, first 2 shown]
	ds_read2_b64 v[126:129], v1 offset1:1
	s_waitcnt lgkmcnt(0)
	v_cmp_neq_f64_e32 vcc_lo, 0, v[126:127]
	v_cmp_neq_f64_e64 s1, 0, v[128:129]
	s_or_b32 s1, vcc_lo, s1
	s_and_b32 exec_lo, exec_lo, s1
	s_cbranch_execz .LBB43_89
; %bb.84:
	v_cmp_ngt_f64_e64 s1, |v[126:127]|, |v[128:129]|
                                        ; implicit-def: $vgpr130_vgpr131
	s_and_saveexec_b32 s3, s1
	s_xor_b32 s1, exec_lo, s3
                                        ; implicit-def: $vgpr132_vgpr133
	s_cbranch_execz .LBB43_86
; %bb.85:
	v_div_scale_f64 v[130:131], null, v[128:129], v[128:129], v[126:127]
	v_div_scale_f64 v[136:137], vcc_lo, v[126:127], v[128:129], v[126:127]
	v_rcp_f64_e32 v[132:133], v[130:131]
	v_fma_f64 v[134:135], -v[130:131], v[132:133], 1.0
	v_fma_f64 v[132:133], v[132:133], v[134:135], v[132:133]
	v_fma_f64 v[134:135], -v[130:131], v[132:133], 1.0
	v_fma_f64 v[132:133], v[132:133], v[134:135], v[132:133]
	v_mul_f64 v[134:135], v[136:137], v[132:133]
	v_fma_f64 v[130:131], -v[130:131], v[134:135], v[136:137]
	v_div_fmas_f64 v[130:131], v[130:131], v[132:133], v[134:135]
	v_div_fixup_f64 v[130:131], v[130:131], v[128:129], v[126:127]
	v_fma_f64 v[126:127], v[126:127], v[130:131], v[128:129]
	v_div_scale_f64 v[128:129], null, v[126:127], v[126:127], 1.0
	v_rcp_f64_e32 v[132:133], v[128:129]
	v_fma_f64 v[134:135], -v[128:129], v[132:133], 1.0
	v_fma_f64 v[132:133], v[132:133], v[134:135], v[132:133]
	v_fma_f64 v[134:135], -v[128:129], v[132:133], 1.0
	v_fma_f64 v[132:133], v[132:133], v[134:135], v[132:133]
	v_div_scale_f64 v[134:135], vcc_lo, 1.0, v[126:127], 1.0
	v_mul_f64 v[136:137], v[134:135], v[132:133]
	v_fma_f64 v[128:129], -v[128:129], v[136:137], v[134:135]
	v_div_fmas_f64 v[128:129], v[128:129], v[132:133], v[136:137]
	v_div_fixup_f64 v[132:133], v[128:129], v[126:127], 1.0
                                        ; implicit-def: $vgpr126_vgpr127
	v_mul_f64 v[130:131], v[130:131], v[132:133]
	v_xor_b32_e32 v133, 0x80000000, v133
.LBB43_86:
	s_andn2_saveexec_b32 s1, s1
	s_cbranch_execz .LBB43_88
; %bb.87:
	v_div_scale_f64 v[130:131], null, v[126:127], v[126:127], v[128:129]
	v_div_scale_f64 v[136:137], vcc_lo, v[128:129], v[126:127], v[128:129]
	v_rcp_f64_e32 v[132:133], v[130:131]
	v_fma_f64 v[134:135], -v[130:131], v[132:133], 1.0
	v_fma_f64 v[132:133], v[132:133], v[134:135], v[132:133]
	v_fma_f64 v[134:135], -v[130:131], v[132:133], 1.0
	v_fma_f64 v[132:133], v[132:133], v[134:135], v[132:133]
	v_mul_f64 v[134:135], v[136:137], v[132:133]
	v_fma_f64 v[130:131], -v[130:131], v[134:135], v[136:137]
	v_div_fmas_f64 v[130:131], v[130:131], v[132:133], v[134:135]
	v_div_fixup_f64 v[132:133], v[130:131], v[126:127], v[128:129]
	v_fma_f64 v[126:127], v[128:129], v[132:133], v[126:127]
	v_div_scale_f64 v[128:129], null, v[126:127], v[126:127], 1.0
	v_rcp_f64_e32 v[130:131], v[128:129]
	v_fma_f64 v[134:135], -v[128:129], v[130:131], 1.0
	v_fma_f64 v[130:131], v[130:131], v[134:135], v[130:131]
	v_fma_f64 v[134:135], -v[128:129], v[130:131], 1.0
	v_fma_f64 v[130:131], v[130:131], v[134:135], v[130:131]
	v_div_scale_f64 v[134:135], vcc_lo, 1.0, v[126:127], 1.0
	v_mul_f64 v[136:137], v[134:135], v[130:131]
	v_fma_f64 v[128:129], -v[128:129], v[136:137], v[134:135]
	v_div_fmas_f64 v[128:129], v[128:129], v[130:131], v[136:137]
	v_div_fixup_f64 v[130:131], v[128:129], v[126:127], 1.0
	v_mul_f64 v[132:133], v[132:133], -v[130:131]
.LBB43_88:
	s_or_b32 exec_lo, exec_lo, s1
	ds_write2_b64 v1, v[130:131], v[132:133] offset1:1
.LBB43_89:
	s_or_b32 exec_lo, exec_lo, s2
	s_waitcnt lgkmcnt(0)
	s_barrier
	buffer_gl0_inv
	ds_read2_b64 v[126:129], v1 offset1:1
	s_mov_b32 s1, exec_lo
	v_cmpx_lt_u32_e32 9, v0
	s_cbranch_execz .LBB43_91
; %bb.90:
	s_waitcnt lgkmcnt(0)
	v_mul_f64 v[130:131], v[126:127], v[52:53]
	v_mul_f64 v[52:53], v[128:129], v[52:53]
	v_fma_f64 v[134:135], v[128:129], v[50:51], v[130:131]
	ds_read2_b64 v[130:133], v224 offset0:20 offset1:21
	v_fma_f64 v[50:51], v[126:127], v[50:51], -v[52:53]
	s_waitcnt lgkmcnt(0)
	v_mul_f64 v[52:53], v[132:133], v[134:135]
	v_fma_f64 v[52:53], v[130:131], v[50:51], -v[52:53]
	v_mul_f64 v[130:131], v[130:131], v[134:135]
	v_add_f64 v[46:47], v[46:47], -v[52:53]
	v_fma_f64 v[130:131], v[132:133], v[50:51], v[130:131]
	v_add_f64 v[48:49], v[48:49], -v[130:131]
	ds_read2_b64 v[130:133], v224 offset0:22 offset1:23
	s_waitcnt lgkmcnt(0)
	v_mul_f64 v[52:53], v[132:133], v[134:135]
	v_fma_f64 v[52:53], v[130:131], v[50:51], -v[52:53]
	v_mul_f64 v[130:131], v[130:131], v[134:135]
	v_add_f64 v[42:43], v[42:43], -v[52:53]
	v_fma_f64 v[130:131], v[132:133], v[50:51], v[130:131]
	v_add_f64 v[44:45], v[44:45], -v[130:131]
	ds_read2_b64 v[130:133], v224 offset0:24 offset1:25
	;; [unrolled: 8-line block ×11, first 2 shown]
	s_waitcnt lgkmcnt(0)
	v_mul_f64 v[52:53], v[132:133], v[134:135]
	v_fma_f64 v[52:53], v[130:131], v[50:51], -v[52:53]
	v_mul_f64 v[130:131], v[130:131], v[134:135]
	v_add_f64 v[2:3], v[2:3], -v[52:53]
	v_fma_f64 v[130:131], v[132:133], v[50:51], v[130:131]
	v_mov_b32_e32 v52, v134
	v_mov_b32_e32 v53, v135
	v_add_f64 v[4:5], v[4:5], -v[130:131]
.LBB43_91:
	s_or_b32 exec_lo, exec_lo, s1
	s_mov_b32 s2, exec_lo
	s_waitcnt lgkmcnt(0)
	s_barrier
	buffer_gl0_inv
	v_cmpx_eq_u32_e32 10, v0
	s_cbranch_execz .LBB43_98
; %bb.92:
	ds_write2_b64 v1, v[46:47], v[48:49] offset1:1
	ds_write2_b64 v224, v[42:43], v[44:45] offset0:22 offset1:23
	ds_write2_b64 v224, v[38:39], v[40:41] offset0:24 offset1:25
	;; [unrolled: 1-line block ×11, first 2 shown]
	ds_read2_b64 v[130:133], v1 offset1:1
	s_waitcnt lgkmcnt(0)
	v_cmp_neq_f64_e32 vcc_lo, 0, v[130:131]
	v_cmp_neq_f64_e64 s1, 0, v[132:133]
	s_or_b32 s1, vcc_lo, s1
	s_and_b32 exec_lo, exec_lo, s1
	s_cbranch_execz .LBB43_98
; %bb.93:
	v_cmp_ngt_f64_e64 s1, |v[130:131]|, |v[132:133]|
                                        ; implicit-def: $vgpr134_vgpr135
	s_and_saveexec_b32 s3, s1
	s_xor_b32 s1, exec_lo, s3
                                        ; implicit-def: $vgpr136_vgpr137
	s_cbranch_execz .LBB43_95
; %bb.94:
	v_div_scale_f64 v[134:135], null, v[132:133], v[132:133], v[130:131]
	v_div_scale_f64 v[140:141], vcc_lo, v[130:131], v[132:133], v[130:131]
	v_rcp_f64_e32 v[136:137], v[134:135]
	v_fma_f64 v[138:139], -v[134:135], v[136:137], 1.0
	v_fma_f64 v[136:137], v[136:137], v[138:139], v[136:137]
	v_fma_f64 v[138:139], -v[134:135], v[136:137], 1.0
	v_fma_f64 v[136:137], v[136:137], v[138:139], v[136:137]
	v_mul_f64 v[138:139], v[140:141], v[136:137]
	v_fma_f64 v[134:135], -v[134:135], v[138:139], v[140:141]
	v_div_fmas_f64 v[134:135], v[134:135], v[136:137], v[138:139]
	v_div_fixup_f64 v[134:135], v[134:135], v[132:133], v[130:131]
	v_fma_f64 v[130:131], v[130:131], v[134:135], v[132:133]
	v_div_scale_f64 v[132:133], null, v[130:131], v[130:131], 1.0
	v_rcp_f64_e32 v[136:137], v[132:133]
	v_fma_f64 v[138:139], -v[132:133], v[136:137], 1.0
	v_fma_f64 v[136:137], v[136:137], v[138:139], v[136:137]
	v_fma_f64 v[138:139], -v[132:133], v[136:137], 1.0
	v_fma_f64 v[136:137], v[136:137], v[138:139], v[136:137]
	v_div_scale_f64 v[138:139], vcc_lo, 1.0, v[130:131], 1.0
	v_mul_f64 v[140:141], v[138:139], v[136:137]
	v_fma_f64 v[132:133], -v[132:133], v[140:141], v[138:139]
	v_div_fmas_f64 v[132:133], v[132:133], v[136:137], v[140:141]
	v_div_fixup_f64 v[136:137], v[132:133], v[130:131], 1.0
                                        ; implicit-def: $vgpr130_vgpr131
	v_mul_f64 v[134:135], v[134:135], v[136:137]
	v_xor_b32_e32 v137, 0x80000000, v137
.LBB43_95:
	s_andn2_saveexec_b32 s1, s1
	s_cbranch_execz .LBB43_97
; %bb.96:
	v_div_scale_f64 v[134:135], null, v[130:131], v[130:131], v[132:133]
	v_div_scale_f64 v[140:141], vcc_lo, v[132:133], v[130:131], v[132:133]
	v_rcp_f64_e32 v[136:137], v[134:135]
	v_fma_f64 v[138:139], -v[134:135], v[136:137], 1.0
	v_fma_f64 v[136:137], v[136:137], v[138:139], v[136:137]
	v_fma_f64 v[138:139], -v[134:135], v[136:137], 1.0
	v_fma_f64 v[136:137], v[136:137], v[138:139], v[136:137]
	v_mul_f64 v[138:139], v[140:141], v[136:137]
	v_fma_f64 v[134:135], -v[134:135], v[138:139], v[140:141]
	v_div_fmas_f64 v[134:135], v[134:135], v[136:137], v[138:139]
	v_div_fixup_f64 v[136:137], v[134:135], v[130:131], v[132:133]
	v_fma_f64 v[130:131], v[132:133], v[136:137], v[130:131]
	v_div_scale_f64 v[132:133], null, v[130:131], v[130:131], 1.0
	v_rcp_f64_e32 v[134:135], v[132:133]
	v_fma_f64 v[138:139], -v[132:133], v[134:135], 1.0
	v_fma_f64 v[134:135], v[134:135], v[138:139], v[134:135]
	v_fma_f64 v[138:139], -v[132:133], v[134:135], 1.0
	v_fma_f64 v[134:135], v[134:135], v[138:139], v[134:135]
	v_div_scale_f64 v[138:139], vcc_lo, 1.0, v[130:131], 1.0
	v_mul_f64 v[140:141], v[138:139], v[134:135]
	v_fma_f64 v[132:133], -v[132:133], v[140:141], v[138:139]
	v_div_fmas_f64 v[132:133], v[132:133], v[134:135], v[140:141]
	v_div_fixup_f64 v[134:135], v[132:133], v[130:131], 1.0
	v_mul_f64 v[136:137], v[136:137], -v[134:135]
.LBB43_97:
	s_or_b32 exec_lo, exec_lo, s1
	ds_write2_b64 v1, v[134:135], v[136:137] offset1:1
.LBB43_98:
	s_or_b32 exec_lo, exec_lo, s2
	s_waitcnt lgkmcnt(0)
	s_barrier
	buffer_gl0_inv
	ds_read2_b64 v[130:133], v1 offset1:1
	s_mov_b32 s1, exec_lo
	v_cmpx_lt_u32_e32 10, v0
	s_cbranch_execz .LBB43_100
; %bb.99:
	s_waitcnt lgkmcnt(0)
	v_mul_f64 v[134:135], v[130:131], v[48:49]
	v_mul_f64 v[48:49], v[132:133], v[48:49]
	v_fma_f64 v[138:139], v[132:133], v[46:47], v[134:135]
	ds_read2_b64 v[134:137], v224 offset0:22 offset1:23
	v_fma_f64 v[46:47], v[130:131], v[46:47], -v[48:49]
	s_waitcnt lgkmcnt(0)
	v_mul_f64 v[48:49], v[136:137], v[138:139]
	v_fma_f64 v[48:49], v[134:135], v[46:47], -v[48:49]
	v_mul_f64 v[134:135], v[134:135], v[138:139]
	v_add_f64 v[42:43], v[42:43], -v[48:49]
	v_fma_f64 v[134:135], v[136:137], v[46:47], v[134:135]
	v_add_f64 v[44:45], v[44:45], -v[134:135]
	ds_read2_b64 v[134:137], v224 offset0:24 offset1:25
	s_waitcnt lgkmcnt(0)
	v_mul_f64 v[48:49], v[136:137], v[138:139]
	v_fma_f64 v[48:49], v[134:135], v[46:47], -v[48:49]
	v_mul_f64 v[134:135], v[134:135], v[138:139]
	v_add_f64 v[38:39], v[38:39], -v[48:49]
	v_fma_f64 v[134:135], v[136:137], v[46:47], v[134:135]
	v_add_f64 v[40:41], v[40:41], -v[134:135]
	ds_read2_b64 v[134:137], v224 offset0:26 offset1:27
	;; [unrolled: 8-line block ×10, first 2 shown]
	s_waitcnt lgkmcnt(0)
	v_mul_f64 v[48:49], v[136:137], v[138:139]
	v_fma_f64 v[48:49], v[134:135], v[46:47], -v[48:49]
	v_mul_f64 v[134:135], v[134:135], v[138:139]
	v_add_f64 v[2:3], v[2:3], -v[48:49]
	v_fma_f64 v[134:135], v[136:137], v[46:47], v[134:135]
	v_mov_b32_e32 v48, v138
	v_mov_b32_e32 v49, v139
	v_add_f64 v[4:5], v[4:5], -v[134:135]
.LBB43_100:
	s_or_b32 exec_lo, exec_lo, s1
	s_mov_b32 s2, exec_lo
	s_waitcnt lgkmcnt(0)
	s_barrier
	buffer_gl0_inv
	v_cmpx_eq_u32_e32 11, v0
	s_cbranch_execz .LBB43_107
; %bb.101:
	ds_write2_b64 v1, v[42:43], v[44:45] offset1:1
	ds_write2_b64 v224, v[38:39], v[40:41] offset0:24 offset1:25
	ds_write2_b64 v224, v[34:35], v[36:37] offset0:26 offset1:27
	;; [unrolled: 1-line block ×10, first 2 shown]
	ds_read2_b64 v[134:137], v1 offset1:1
	s_waitcnt lgkmcnt(0)
	v_cmp_neq_f64_e32 vcc_lo, 0, v[134:135]
	v_cmp_neq_f64_e64 s1, 0, v[136:137]
	s_or_b32 s1, vcc_lo, s1
	s_and_b32 exec_lo, exec_lo, s1
	s_cbranch_execz .LBB43_107
; %bb.102:
	v_cmp_ngt_f64_e64 s1, |v[134:135]|, |v[136:137]|
                                        ; implicit-def: $vgpr138_vgpr139
	s_and_saveexec_b32 s3, s1
	s_xor_b32 s1, exec_lo, s3
                                        ; implicit-def: $vgpr140_vgpr141
	s_cbranch_execz .LBB43_104
; %bb.103:
	v_div_scale_f64 v[138:139], null, v[136:137], v[136:137], v[134:135]
	v_div_scale_f64 v[144:145], vcc_lo, v[134:135], v[136:137], v[134:135]
	v_rcp_f64_e32 v[140:141], v[138:139]
	v_fma_f64 v[142:143], -v[138:139], v[140:141], 1.0
	v_fma_f64 v[140:141], v[140:141], v[142:143], v[140:141]
	v_fma_f64 v[142:143], -v[138:139], v[140:141], 1.0
	v_fma_f64 v[140:141], v[140:141], v[142:143], v[140:141]
	v_mul_f64 v[142:143], v[144:145], v[140:141]
	v_fma_f64 v[138:139], -v[138:139], v[142:143], v[144:145]
	v_div_fmas_f64 v[138:139], v[138:139], v[140:141], v[142:143]
	v_div_fixup_f64 v[138:139], v[138:139], v[136:137], v[134:135]
	v_fma_f64 v[134:135], v[134:135], v[138:139], v[136:137]
	v_div_scale_f64 v[136:137], null, v[134:135], v[134:135], 1.0
	v_rcp_f64_e32 v[140:141], v[136:137]
	v_fma_f64 v[142:143], -v[136:137], v[140:141], 1.0
	v_fma_f64 v[140:141], v[140:141], v[142:143], v[140:141]
	v_fma_f64 v[142:143], -v[136:137], v[140:141], 1.0
	v_fma_f64 v[140:141], v[140:141], v[142:143], v[140:141]
	v_div_scale_f64 v[142:143], vcc_lo, 1.0, v[134:135], 1.0
	v_mul_f64 v[144:145], v[142:143], v[140:141]
	v_fma_f64 v[136:137], -v[136:137], v[144:145], v[142:143]
	v_div_fmas_f64 v[136:137], v[136:137], v[140:141], v[144:145]
	v_div_fixup_f64 v[140:141], v[136:137], v[134:135], 1.0
                                        ; implicit-def: $vgpr134_vgpr135
	v_mul_f64 v[138:139], v[138:139], v[140:141]
	v_xor_b32_e32 v141, 0x80000000, v141
.LBB43_104:
	s_andn2_saveexec_b32 s1, s1
	s_cbranch_execz .LBB43_106
; %bb.105:
	v_div_scale_f64 v[138:139], null, v[134:135], v[134:135], v[136:137]
	v_div_scale_f64 v[144:145], vcc_lo, v[136:137], v[134:135], v[136:137]
	v_rcp_f64_e32 v[140:141], v[138:139]
	v_fma_f64 v[142:143], -v[138:139], v[140:141], 1.0
	v_fma_f64 v[140:141], v[140:141], v[142:143], v[140:141]
	v_fma_f64 v[142:143], -v[138:139], v[140:141], 1.0
	v_fma_f64 v[140:141], v[140:141], v[142:143], v[140:141]
	v_mul_f64 v[142:143], v[144:145], v[140:141]
	v_fma_f64 v[138:139], -v[138:139], v[142:143], v[144:145]
	v_div_fmas_f64 v[138:139], v[138:139], v[140:141], v[142:143]
	v_div_fixup_f64 v[140:141], v[138:139], v[134:135], v[136:137]
	v_fma_f64 v[134:135], v[136:137], v[140:141], v[134:135]
	v_div_scale_f64 v[136:137], null, v[134:135], v[134:135], 1.0
	v_rcp_f64_e32 v[138:139], v[136:137]
	v_fma_f64 v[142:143], -v[136:137], v[138:139], 1.0
	v_fma_f64 v[138:139], v[138:139], v[142:143], v[138:139]
	v_fma_f64 v[142:143], -v[136:137], v[138:139], 1.0
	v_fma_f64 v[138:139], v[138:139], v[142:143], v[138:139]
	v_div_scale_f64 v[142:143], vcc_lo, 1.0, v[134:135], 1.0
	v_mul_f64 v[144:145], v[142:143], v[138:139]
	v_fma_f64 v[136:137], -v[136:137], v[144:145], v[142:143]
	v_div_fmas_f64 v[136:137], v[136:137], v[138:139], v[144:145]
	v_div_fixup_f64 v[138:139], v[136:137], v[134:135], 1.0
	v_mul_f64 v[140:141], v[140:141], -v[138:139]
.LBB43_106:
	s_or_b32 exec_lo, exec_lo, s1
	ds_write2_b64 v1, v[138:139], v[140:141] offset1:1
.LBB43_107:
	s_or_b32 exec_lo, exec_lo, s2
	s_waitcnt lgkmcnt(0)
	s_barrier
	buffer_gl0_inv
	ds_read2_b64 v[134:137], v1 offset1:1
	s_mov_b32 s1, exec_lo
	v_cmpx_lt_u32_e32 11, v0
	s_cbranch_execz .LBB43_109
; %bb.108:
	s_waitcnt lgkmcnt(0)
	v_mul_f64 v[138:139], v[134:135], v[44:45]
	v_mul_f64 v[44:45], v[136:137], v[44:45]
	v_fma_f64 v[142:143], v[136:137], v[42:43], v[138:139]
	ds_read2_b64 v[138:141], v224 offset0:24 offset1:25
	v_fma_f64 v[42:43], v[134:135], v[42:43], -v[44:45]
	s_waitcnt lgkmcnt(0)
	v_mul_f64 v[44:45], v[140:141], v[142:143]
	v_fma_f64 v[44:45], v[138:139], v[42:43], -v[44:45]
	v_mul_f64 v[138:139], v[138:139], v[142:143]
	v_add_f64 v[38:39], v[38:39], -v[44:45]
	v_fma_f64 v[138:139], v[140:141], v[42:43], v[138:139]
	v_add_f64 v[40:41], v[40:41], -v[138:139]
	ds_read2_b64 v[138:141], v224 offset0:26 offset1:27
	s_waitcnt lgkmcnt(0)
	v_mul_f64 v[44:45], v[140:141], v[142:143]
	v_fma_f64 v[44:45], v[138:139], v[42:43], -v[44:45]
	v_mul_f64 v[138:139], v[138:139], v[142:143]
	v_add_f64 v[34:35], v[34:35], -v[44:45]
	v_fma_f64 v[138:139], v[140:141], v[42:43], v[138:139]
	v_add_f64 v[36:37], v[36:37], -v[138:139]
	ds_read2_b64 v[138:141], v224 offset0:28 offset1:29
	;; [unrolled: 8-line block ×9, first 2 shown]
	s_waitcnt lgkmcnt(0)
	v_mul_f64 v[44:45], v[140:141], v[142:143]
	v_fma_f64 v[44:45], v[138:139], v[42:43], -v[44:45]
	v_mul_f64 v[138:139], v[138:139], v[142:143]
	v_add_f64 v[2:3], v[2:3], -v[44:45]
	v_fma_f64 v[138:139], v[140:141], v[42:43], v[138:139]
	v_mov_b32_e32 v44, v142
	v_mov_b32_e32 v45, v143
	v_add_f64 v[4:5], v[4:5], -v[138:139]
.LBB43_109:
	s_or_b32 exec_lo, exec_lo, s1
	s_mov_b32 s2, exec_lo
	s_waitcnt lgkmcnt(0)
	s_barrier
	buffer_gl0_inv
	v_cmpx_eq_u32_e32 12, v0
	s_cbranch_execz .LBB43_116
; %bb.110:
	ds_write2_b64 v1, v[38:39], v[40:41] offset1:1
	ds_write2_b64 v224, v[34:35], v[36:37] offset0:26 offset1:27
	ds_write2_b64 v224, v[30:31], v[32:33] offset0:28 offset1:29
	;; [unrolled: 1-line block ×9, first 2 shown]
	ds_read2_b64 v[138:141], v1 offset1:1
	s_waitcnt lgkmcnt(0)
	v_cmp_neq_f64_e32 vcc_lo, 0, v[138:139]
	v_cmp_neq_f64_e64 s1, 0, v[140:141]
	s_or_b32 s1, vcc_lo, s1
	s_and_b32 exec_lo, exec_lo, s1
	s_cbranch_execz .LBB43_116
; %bb.111:
	v_cmp_ngt_f64_e64 s1, |v[138:139]|, |v[140:141]|
                                        ; implicit-def: $vgpr142_vgpr143
	s_and_saveexec_b32 s3, s1
	s_xor_b32 s1, exec_lo, s3
                                        ; implicit-def: $vgpr144_vgpr145
	s_cbranch_execz .LBB43_113
; %bb.112:
	v_div_scale_f64 v[142:143], null, v[140:141], v[140:141], v[138:139]
	v_div_scale_f64 v[148:149], vcc_lo, v[138:139], v[140:141], v[138:139]
	v_rcp_f64_e32 v[144:145], v[142:143]
	v_fma_f64 v[146:147], -v[142:143], v[144:145], 1.0
	v_fma_f64 v[144:145], v[144:145], v[146:147], v[144:145]
	v_fma_f64 v[146:147], -v[142:143], v[144:145], 1.0
	v_fma_f64 v[144:145], v[144:145], v[146:147], v[144:145]
	v_mul_f64 v[146:147], v[148:149], v[144:145]
	v_fma_f64 v[142:143], -v[142:143], v[146:147], v[148:149]
	v_div_fmas_f64 v[142:143], v[142:143], v[144:145], v[146:147]
	v_div_fixup_f64 v[142:143], v[142:143], v[140:141], v[138:139]
	v_fma_f64 v[138:139], v[138:139], v[142:143], v[140:141]
	v_div_scale_f64 v[140:141], null, v[138:139], v[138:139], 1.0
	v_rcp_f64_e32 v[144:145], v[140:141]
	v_fma_f64 v[146:147], -v[140:141], v[144:145], 1.0
	v_fma_f64 v[144:145], v[144:145], v[146:147], v[144:145]
	v_fma_f64 v[146:147], -v[140:141], v[144:145], 1.0
	v_fma_f64 v[144:145], v[144:145], v[146:147], v[144:145]
	v_div_scale_f64 v[146:147], vcc_lo, 1.0, v[138:139], 1.0
	v_mul_f64 v[148:149], v[146:147], v[144:145]
	v_fma_f64 v[140:141], -v[140:141], v[148:149], v[146:147]
	v_div_fmas_f64 v[140:141], v[140:141], v[144:145], v[148:149]
	v_div_fixup_f64 v[144:145], v[140:141], v[138:139], 1.0
                                        ; implicit-def: $vgpr138_vgpr139
	v_mul_f64 v[142:143], v[142:143], v[144:145]
	v_xor_b32_e32 v145, 0x80000000, v145
.LBB43_113:
	s_andn2_saveexec_b32 s1, s1
	s_cbranch_execz .LBB43_115
; %bb.114:
	v_div_scale_f64 v[142:143], null, v[138:139], v[138:139], v[140:141]
	v_div_scale_f64 v[148:149], vcc_lo, v[140:141], v[138:139], v[140:141]
	v_rcp_f64_e32 v[144:145], v[142:143]
	v_fma_f64 v[146:147], -v[142:143], v[144:145], 1.0
	v_fma_f64 v[144:145], v[144:145], v[146:147], v[144:145]
	v_fma_f64 v[146:147], -v[142:143], v[144:145], 1.0
	v_fma_f64 v[144:145], v[144:145], v[146:147], v[144:145]
	v_mul_f64 v[146:147], v[148:149], v[144:145]
	v_fma_f64 v[142:143], -v[142:143], v[146:147], v[148:149]
	v_div_fmas_f64 v[142:143], v[142:143], v[144:145], v[146:147]
	v_div_fixup_f64 v[144:145], v[142:143], v[138:139], v[140:141]
	v_fma_f64 v[138:139], v[140:141], v[144:145], v[138:139]
	v_div_scale_f64 v[140:141], null, v[138:139], v[138:139], 1.0
	v_rcp_f64_e32 v[142:143], v[140:141]
	v_fma_f64 v[146:147], -v[140:141], v[142:143], 1.0
	v_fma_f64 v[142:143], v[142:143], v[146:147], v[142:143]
	v_fma_f64 v[146:147], -v[140:141], v[142:143], 1.0
	v_fma_f64 v[142:143], v[142:143], v[146:147], v[142:143]
	v_div_scale_f64 v[146:147], vcc_lo, 1.0, v[138:139], 1.0
	v_mul_f64 v[148:149], v[146:147], v[142:143]
	v_fma_f64 v[140:141], -v[140:141], v[148:149], v[146:147]
	v_div_fmas_f64 v[140:141], v[140:141], v[142:143], v[148:149]
	v_div_fixup_f64 v[142:143], v[140:141], v[138:139], 1.0
	v_mul_f64 v[144:145], v[144:145], -v[142:143]
.LBB43_115:
	s_or_b32 exec_lo, exec_lo, s1
	ds_write2_b64 v1, v[142:143], v[144:145] offset1:1
.LBB43_116:
	s_or_b32 exec_lo, exec_lo, s2
	s_waitcnt lgkmcnt(0)
	s_barrier
	buffer_gl0_inv
	ds_read2_b64 v[138:141], v1 offset1:1
	s_mov_b32 s1, exec_lo
	v_cmpx_lt_u32_e32 12, v0
	s_cbranch_execz .LBB43_118
; %bb.117:
	s_waitcnt lgkmcnt(0)
	v_mul_f64 v[142:143], v[138:139], v[40:41]
	v_mul_f64 v[40:41], v[140:141], v[40:41]
	v_fma_f64 v[146:147], v[140:141], v[38:39], v[142:143]
	ds_read2_b64 v[142:145], v224 offset0:26 offset1:27
	v_fma_f64 v[38:39], v[138:139], v[38:39], -v[40:41]
	s_waitcnt lgkmcnt(0)
	v_mul_f64 v[40:41], v[144:145], v[146:147]
	v_fma_f64 v[40:41], v[142:143], v[38:39], -v[40:41]
	v_mul_f64 v[142:143], v[142:143], v[146:147]
	v_add_f64 v[34:35], v[34:35], -v[40:41]
	v_fma_f64 v[142:143], v[144:145], v[38:39], v[142:143]
	v_add_f64 v[36:37], v[36:37], -v[142:143]
	ds_read2_b64 v[142:145], v224 offset0:28 offset1:29
	s_waitcnt lgkmcnt(0)
	v_mul_f64 v[40:41], v[144:145], v[146:147]
	v_fma_f64 v[40:41], v[142:143], v[38:39], -v[40:41]
	v_mul_f64 v[142:143], v[142:143], v[146:147]
	v_add_f64 v[30:31], v[30:31], -v[40:41]
	v_fma_f64 v[142:143], v[144:145], v[38:39], v[142:143]
	v_add_f64 v[32:33], v[32:33], -v[142:143]
	ds_read2_b64 v[142:145], v224 offset0:30 offset1:31
	;; [unrolled: 8-line block ×8, first 2 shown]
	s_waitcnt lgkmcnt(0)
	v_mul_f64 v[40:41], v[144:145], v[146:147]
	v_fma_f64 v[40:41], v[142:143], v[38:39], -v[40:41]
	v_mul_f64 v[142:143], v[142:143], v[146:147]
	v_add_f64 v[2:3], v[2:3], -v[40:41]
	v_fma_f64 v[142:143], v[144:145], v[38:39], v[142:143]
	v_mov_b32_e32 v40, v146
	v_mov_b32_e32 v41, v147
	v_add_f64 v[4:5], v[4:5], -v[142:143]
.LBB43_118:
	s_or_b32 exec_lo, exec_lo, s1
	s_mov_b32 s2, exec_lo
	s_waitcnt lgkmcnt(0)
	s_barrier
	buffer_gl0_inv
	v_cmpx_eq_u32_e32 13, v0
	s_cbranch_execz .LBB43_125
; %bb.119:
	ds_write2_b64 v1, v[34:35], v[36:37] offset1:1
	ds_write2_b64 v224, v[30:31], v[32:33] offset0:28 offset1:29
	ds_write2_b64 v224, v[26:27], v[28:29] offset0:30 offset1:31
	;; [unrolled: 1-line block ×8, first 2 shown]
	ds_read2_b64 v[142:145], v1 offset1:1
	s_waitcnt lgkmcnt(0)
	v_cmp_neq_f64_e32 vcc_lo, 0, v[142:143]
	v_cmp_neq_f64_e64 s1, 0, v[144:145]
	s_or_b32 s1, vcc_lo, s1
	s_and_b32 exec_lo, exec_lo, s1
	s_cbranch_execz .LBB43_125
; %bb.120:
	v_cmp_ngt_f64_e64 s1, |v[142:143]|, |v[144:145]|
                                        ; implicit-def: $vgpr146_vgpr147
	s_and_saveexec_b32 s3, s1
	s_xor_b32 s1, exec_lo, s3
                                        ; implicit-def: $vgpr148_vgpr149
	s_cbranch_execz .LBB43_122
; %bb.121:
	v_div_scale_f64 v[146:147], null, v[144:145], v[144:145], v[142:143]
	v_div_scale_f64 v[152:153], vcc_lo, v[142:143], v[144:145], v[142:143]
	v_rcp_f64_e32 v[148:149], v[146:147]
	v_fma_f64 v[150:151], -v[146:147], v[148:149], 1.0
	v_fma_f64 v[148:149], v[148:149], v[150:151], v[148:149]
	v_fma_f64 v[150:151], -v[146:147], v[148:149], 1.0
	v_fma_f64 v[148:149], v[148:149], v[150:151], v[148:149]
	v_mul_f64 v[150:151], v[152:153], v[148:149]
	v_fma_f64 v[146:147], -v[146:147], v[150:151], v[152:153]
	v_div_fmas_f64 v[146:147], v[146:147], v[148:149], v[150:151]
	v_div_fixup_f64 v[146:147], v[146:147], v[144:145], v[142:143]
	v_fma_f64 v[142:143], v[142:143], v[146:147], v[144:145]
	v_div_scale_f64 v[144:145], null, v[142:143], v[142:143], 1.0
	v_rcp_f64_e32 v[148:149], v[144:145]
	v_fma_f64 v[150:151], -v[144:145], v[148:149], 1.0
	v_fma_f64 v[148:149], v[148:149], v[150:151], v[148:149]
	v_fma_f64 v[150:151], -v[144:145], v[148:149], 1.0
	v_fma_f64 v[148:149], v[148:149], v[150:151], v[148:149]
	v_div_scale_f64 v[150:151], vcc_lo, 1.0, v[142:143], 1.0
	v_mul_f64 v[152:153], v[150:151], v[148:149]
	v_fma_f64 v[144:145], -v[144:145], v[152:153], v[150:151]
	v_div_fmas_f64 v[144:145], v[144:145], v[148:149], v[152:153]
	v_div_fixup_f64 v[148:149], v[144:145], v[142:143], 1.0
                                        ; implicit-def: $vgpr142_vgpr143
	v_mul_f64 v[146:147], v[146:147], v[148:149]
	v_xor_b32_e32 v149, 0x80000000, v149
.LBB43_122:
	s_andn2_saveexec_b32 s1, s1
	s_cbranch_execz .LBB43_124
; %bb.123:
	v_div_scale_f64 v[146:147], null, v[142:143], v[142:143], v[144:145]
	v_div_scale_f64 v[152:153], vcc_lo, v[144:145], v[142:143], v[144:145]
	v_rcp_f64_e32 v[148:149], v[146:147]
	v_fma_f64 v[150:151], -v[146:147], v[148:149], 1.0
	v_fma_f64 v[148:149], v[148:149], v[150:151], v[148:149]
	v_fma_f64 v[150:151], -v[146:147], v[148:149], 1.0
	v_fma_f64 v[148:149], v[148:149], v[150:151], v[148:149]
	v_mul_f64 v[150:151], v[152:153], v[148:149]
	v_fma_f64 v[146:147], -v[146:147], v[150:151], v[152:153]
	v_div_fmas_f64 v[146:147], v[146:147], v[148:149], v[150:151]
	v_div_fixup_f64 v[148:149], v[146:147], v[142:143], v[144:145]
	v_fma_f64 v[142:143], v[144:145], v[148:149], v[142:143]
	v_div_scale_f64 v[144:145], null, v[142:143], v[142:143], 1.0
	v_rcp_f64_e32 v[146:147], v[144:145]
	v_fma_f64 v[150:151], -v[144:145], v[146:147], 1.0
	v_fma_f64 v[146:147], v[146:147], v[150:151], v[146:147]
	v_fma_f64 v[150:151], -v[144:145], v[146:147], 1.0
	v_fma_f64 v[146:147], v[146:147], v[150:151], v[146:147]
	v_div_scale_f64 v[150:151], vcc_lo, 1.0, v[142:143], 1.0
	v_mul_f64 v[152:153], v[150:151], v[146:147]
	v_fma_f64 v[144:145], -v[144:145], v[152:153], v[150:151]
	v_div_fmas_f64 v[144:145], v[144:145], v[146:147], v[152:153]
	v_div_fixup_f64 v[146:147], v[144:145], v[142:143], 1.0
	v_mul_f64 v[148:149], v[148:149], -v[146:147]
.LBB43_124:
	s_or_b32 exec_lo, exec_lo, s1
	ds_write2_b64 v1, v[146:147], v[148:149] offset1:1
.LBB43_125:
	s_or_b32 exec_lo, exec_lo, s2
	s_waitcnt lgkmcnt(0)
	s_barrier
	buffer_gl0_inv
	ds_read2_b64 v[142:145], v1 offset1:1
	s_mov_b32 s1, exec_lo
	v_cmpx_lt_u32_e32 13, v0
	s_cbranch_execz .LBB43_127
; %bb.126:
	s_waitcnt lgkmcnt(0)
	v_mul_f64 v[146:147], v[142:143], v[36:37]
	v_mul_f64 v[36:37], v[144:145], v[36:37]
	v_fma_f64 v[150:151], v[144:145], v[34:35], v[146:147]
	ds_read2_b64 v[146:149], v224 offset0:28 offset1:29
	v_fma_f64 v[34:35], v[142:143], v[34:35], -v[36:37]
	s_waitcnt lgkmcnt(0)
	v_mul_f64 v[36:37], v[148:149], v[150:151]
	v_fma_f64 v[36:37], v[146:147], v[34:35], -v[36:37]
	v_mul_f64 v[146:147], v[146:147], v[150:151]
	v_add_f64 v[30:31], v[30:31], -v[36:37]
	v_fma_f64 v[146:147], v[148:149], v[34:35], v[146:147]
	v_add_f64 v[32:33], v[32:33], -v[146:147]
	ds_read2_b64 v[146:149], v224 offset0:30 offset1:31
	s_waitcnt lgkmcnt(0)
	v_mul_f64 v[36:37], v[148:149], v[150:151]
	v_fma_f64 v[36:37], v[146:147], v[34:35], -v[36:37]
	v_mul_f64 v[146:147], v[146:147], v[150:151]
	v_add_f64 v[26:27], v[26:27], -v[36:37]
	v_fma_f64 v[146:147], v[148:149], v[34:35], v[146:147]
	v_add_f64 v[28:29], v[28:29], -v[146:147]
	ds_read2_b64 v[146:149], v224 offset0:32 offset1:33
	;; [unrolled: 8-line block ×7, first 2 shown]
	s_waitcnt lgkmcnt(0)
	v_mul_f64 v[36:37], v[148:149], v[150:151]
	v_fma_f64 v[36:37], v[146:147], v[34:35], -v[36:37]
	v_mul_f64 v[146:147], v[146:147], v[150:151]
	v_add_f64 v[2:3], v[2:3], -v[36:37]
	v_fma_f64 v[146:147], v[148:149], v[34:35], v[146:147]
	v_mov_b32_e32 v36, v150
	v_mov_b32_e32 v37, v151
	v_add_f64 v[4:5], v[4:5], -v[146:147]
.LBB43_127:
	s_or_b32 exec_lo, exec_lo, s1
	s_mov_b32 s2, exec_lo
	s_waitcnt lgkmcnt(0)
	s_barrier
	buffer_gl0_inv
	v_cmpx_eq_u32_e32 14, v0
	s_cbranch_execz .LBB43_134
; %bb.128:
	ds_write2_b64 v1, v[30:31], v[32:33] offset1:1
	ds_write2_b64 v224, v[26:27], v[28:29] offset0:30 offset1:31
	ds_write2_b64 v224, v[22:23], v[24:25] offset0:32 offset1:33
	;; [unrolled: 1-line block ×7, first 2 shown]
	ds_read2_b64 v[146:149], v1 offset1:1
	s_waitcnt lgkmcnt(0)
	v_cmp_neq_f64_e32 vcc_lo, 0, v[146:147]
	v_cmp_neq_f64_e64 s1, 0, v[148:149]
	s_or_b32 s1, vcc_lo, s1
	s_and_b32 exec_lo, exec_lo, s1
	s_cbranch_execz .LBB43_134
; %bb.129:
	v_cmp_ngt_f64_e64 s1, |v[146:147]|, |v[148:149]|
                                        ; implicit-def: $vgpr150_vgpr151
	s_and_saveexec_b32 s3, s1
	s_xor_b32 s1, exec_lo, s3
                                        ; implicit-def: $vgpr152_vgpr153
	s_cbranch_execz .LBB43_131
; %bb.130:
	v_div_scale_f64 v[150:151], null, v[148:149], v[148:149], v[146:147]
	v_div_scale_f64 v[156:157], vcc_lo, v[146:147], v[148:149], v[146:147]
	v_rcp_f64_e32 v[152:153], v[150:151]
	v_fma_f64 v[154:155], -v[150:151], v[152:153], 1.0
	v_fma_f64 v[152:153], v[152:153], v[154:155], v[152:153]
	v_fma_f64 v[154:155], -v[150:151], v[152:153], 1.0
	v_fma_f64 v[152:153], v[152:153], v[154:155], v[152:153]
	v_mul_f64 v[154:155], v[156:157], v[152:153]
	v_fma_f64 v[150:151], -v[150:151], v[154:155], v[156:157]
	v_div_fmas_f64 v[150:151], v[150:151], v[152:153], v[154:155]
	v_div_fixup_f64 v[150:151], v[150:151], v[148:149], v[146:147]
	v_fma_f64 v[146:147], v[146:147], v[150:151], v[148:149]
	v_div_scale_f64 v[148:149], null, v[146:147], v[146:147], 1.0
	v_rcp_f64_e32 v[152:153], v[148:149]
	v_fma_f64 v[154:155], -v[148:149], v[152:153], 1.0
	v_fma_f64 v[152:153], v[152:153], v[154:155], v[152:153]
	v_fma_f64 v[154:155], -v[148:149], v[152:153], 1.0
	v_fma_f64 v[152:153], v[152:153], v[154:155], v[152:153]
	v_div_scale_f64 v[154:155], vcc_lo, 1.0, v[146:147], 1.0
	v_mul_f64 v[156:157], v[154:155], v[152:153]
	v_fma_f64 v[148:149], -v[148:149], v[156:157], v[154:155]
	v_div_fmas_f64 v[148:149], v[148:149], v[152:153], v[156:157]
	v_div_fixup_f64 v[152:153], v[148:149], v[146:147], 1.0
                                        ; implicit-def: $vgpr146_vgpr147
	v_mul_f64 v[150:151], v[150:151], v[152:153]
	v_xor_b32_e32 v153, 0x80000000, v153
.LBB43_131:
	s_andn2_saveexec_b32 s1, s1
	s_cbranch_execz .LBB43_133
; %bb.132:
	v_div_scale_f64 v[150:151], null, v[146:147], v[146:147], v[148:149]
	v_div_scale_f64 v[156:157], vcc_lo, v[148:149], v[146:147], v[148:149]
	v_rcp_f64_e32 v[152:153], v[150:151]
	v_fma_f64 v[154:155], -v[150:151], v[152:153], 1.0
	v_fma_f64 v[152:153], v[152:153], v[154:155], v[152:153]
	v_fma_f64 v[154:155], -v[150:151], v[152:153], 1.0
	v_fma_f64 v[152:153], v[152:153], v[154:155], v[152:153]
	v_mul_f64 v[154:155], v[156:157], v[152:153]
	v_fma_f64 v[150:151], -v[150:151], v[154:155], v[156:157]
	v_div_fmas_f64 v[150:151], v[150:151], v[152:153], v[154:155]
	v_div_fixup_f64 v[152:153], v[150:151], v[146:147], v[148:149]
	v_fma_f64 v[146:147], v[148:149], v[152:153], v[146:147]
	v_div_scale_f64 v[148:149], null, v[146:147], v[146:147], 1.0
	v_rcp_f64_e32 v[150:151], v[148:149]
	v_fma_f64 v[154:155], -v[148:149], v[150:151], 1.0
	v_fma_f64 v[150:151], v[150:151], v[154:155], v[150:151]
	v_fma_f64 v[154:155], -v[148:149], v[150:151], 1.0
	v_fma_f64 v[150:151], v[150:151], v[154:155], v[150:151]
	v_div_scale_f64 v[154:155], vcc_lo, 1.0, v[146:147], 1.0
	v_mul_f64 v[156:157], v[154:155], v[150:151]
	v_fma_f64 v[148:149], -v[148:149], v[156:157], v[154:155]
	v_div_fmas_f64 v[148:149], v[148:149], v[150:151], v[156:157]
	v_div_fixup_f64 v[150:151], v[148:149], v[146:147], 1.0
	v_mul_f64 v[152:153], v[152:153], -v[150:151]
.LBB43_133:
	s_or_b32 exec_lo, exec_lo, s1
	ds_write2_b64 v1, v[150:151], v[152:153] offset1:1
.LBB43_134:
	s_or_b32 exec_lo, exec_lo, s2
	s_waitcnt lgkmcnt(0)
	s_barrier
	buffer_gl0_inv
	ds_read2_b64 v[146:149], v1 offset1:1
	s_mov_b32 s1, exec_lo
	v_cmpx_lt_u32_e32 14, v0
	s_cbranch_execz .LBB43_136
; %bb.135:
	s_waitcnt lgkmcnt(0)
	v_mul_f64 v[150:151], v[146:147], v[32:33]
	v_mul_f64 v[32:33], v[148:149], v[32:33]
	v_fma_f64 v[225:226], v[148:149], v[30:31], v[150:151]
	ds_read2_b64 v[150:153], v224 offset0:30 offset1:31
	ds_read2_b64 v[154:157], v224 offset0:32 offset1:33
	;; [unrolled: 1-line block ×7, first 2 shown]
	v_fma_f64 v[30:31], v[146:147], v[30:31], -v[32:33]
	s_waitcnt lgkmcnt(6)
	v_mul_f64 v[32:33], v[152:153], v[225:226]
	v_mul_f64 v[227:228], v[150:151], v[225:226]
	s_waitcnt lgkmcnt(5)
	v_mul_f64 v[229:230], v[156:157], v[225:226]
	v_mul_f64 v[231:232], v[154:155], v[225:226]
	;; [unrolled: 3-line block ×7, first 2 shown]
	v_fma_f64 v[32:33], v[150:151], v[30:31], -v[32:33]
	v_fma_f64 v[150:151], v[152:153], v[30:31], v[227:228]
	v_fma_f64 v[152:153], v[154:155], v[30:31], -v[229:230]
	v_fma_f64 v[154:155], v[156:157], v[30:31], v[231:232]
	;; [unrolled: 2-line block ×7, first 2 shown]
	v_add_f64 v[26:27], v[26:27], -v[32:33]
	v_add_f64 v[28:29], v[28:29], -v[150:151]
	;; [unrolled: 1-line block ×14, first 2 shown]
	v_mov_b32_e32 v32, v225
	v_mov_b32_e32 v33, v226
.LBB43_136:
	s_or_b32 exec_lo, exec_lo, s1
	s_mov_b32 s2, exec_lo
	s_waitcnt lgkmcnt(0)
	s_barrier
	buffer_gl0_inv
	v_cmpx_eq_u32_e32 15, v0
	s_cbranch_execz .LBB43_143
; %bb.137:
	ds_write2_b64 v1, v[26:27], v[28:29] offset1:1
	ds_write2_b64 v224, v[22:23], v[24:25] offset0:32 offset1:33
	ds_write2_b64 v224, v[18:19], v[20:21] offset0:34 offset1:35
	;; [unrolled: 1-line block ×6, first 2 shown]
	ds_read2_b64 v[150:153], v1 offset1:1
	s_waitcnt lgkmcnt(0)
	v_cmp_neq_f64_e32 vcc_lo, 0, v[150:151]
	v_cmp_neq_f64_e64 s1, 0, v[152:153]
	s_or_b32 s1, vcc_lo, s1
	s_and_b32 exec_lo, exec_lo, s1
	s_cbranch_execz .LBB43_143
; %bb.138:
	v_cmp_ngt_f64_e64 s1, |v[150:151]|, |v[152:153]|
                                        ; implicit-def: $vgpr154_vgpr155
	s_and_saveexec_b32 s3, s1
	s_xor_b32 s1, exec_lo, s3
                                        ; implicit-def: $vgpr156_vgpr157
	s_cbranch_execz .LBB43_140
; %bb.139:
	v_div_scale_f64 v[154:155], null, v[152:153], v[152:153], v[150:151]
	v_div_scale_f64 v[160:161], vcc_lo, v[150:151], v[152:153], v[150:151]
	v_rcp_f64_e32 v[156:157], v[154:155]
	v_fma_f64 v[158:159], -v[154:155], v[156:157], 1.0
	v_fma_f64 v[156:157], v[156:157], v[158:159], v[156:157]
	v_fma_f64 v[158:159], -v[154:155], v[156:157], 1.0
	v_fma_f64 v[156:157], v[156:157], v[158:159], v[156:157]
	v_mul_f64 v[158:159], v[160:161], v[156:157]
	v_fma_f64 v[154:155], -v[154:155], v[158:159], v[160:161]
	v_div_fmas_f64 v[154:155], v[154:155], v[156:157], v[158:159]
	v_div_fixup_f64 v[154:155], v[154:155], v[152:153], v[150:151]
	v_fma_f64 v[150:151], v[150:151], v[154:155], v[152:153]
	v_div_scale_f64 v[152:153], null, v[150:151], v[150:151], 1.0
	v_rcp_f64_e32 v[156:157], v[152:153]
	v_fma_f64 v[158:159], -v[152:153], v[156:157], 1.0
	v_fma_f64 v[156:157], v[156:157], v[158:159], v[156:157]
	v_fma_f64 v[158:159], -v[152:153], v[156:157], 1.0
	v_fma_f64 v[156:157], v[156:157], v[158:159], v[156:157]
	v_div_scale_f64 v[158:159], vcc_lo, 1.0, v[150:151], 1.0
	v_mul_f64 v[160:161], v[158:159], v[156:157]
	v_fma_f64 v[152:153], -v[152:153], v[160:161], v[158:159]
	v_div_fmas_f64 v[152:153], v[152:153], v[156:157], v[160:161]
	v_div_fixup_f64 v[156:157], v[152:153], v[150:151], 1.0
                                        ; implicit-def: $vgpr150_vgpr151
	v_mul_f64 v[154:155], v[154:155], v[156:157]
	v_xor_b32_e32 v157, 0x80000000, v157
.LBB43_140:
	s_andn2_saveexec_b32 s1, s1
	s_cbranch_execz .LBB43_142
; %bb.141:
	v_div_scale_f64 v[154:155], null, v[150:151], v[150:151], v[152:153]
	v_div_scale_f64 v[160:161], vcc_lo, v[152:153], v[150:151], v[152:153]
	v_rcp_f64_e32 v[156:157], v[154:155]
	v_fma_f64 v[158:159], -v[154:155], v[156:157], 1.0
	v_fma_f64 v[156:157], v[156:157], v[158:159], v[156:157]
	v_fma_f64 v[158:159], -v[154:155], v[156:157], 1.0
	v_fma_f64 v[156:157], v[156:157], v[158:159], v[156:157]
	v_mul_f64 v[158:159], v[160:161], v[156:157]
	v_fma_f64 v[154:155], -v[154:155], v[158:159], v[160:161]
	v_div_fmas_f64 v[154:155], v[154:155], v[156:157], v[158:159]
	v_div_fixup_f64 v[156:157], v[154:155], v[150:151], v[152:153]
	v_fma_f64 v[150:151], v[152:153], v[156:157], v[150:151]
	v_div_scale_f64 v[152:153], null, v[150:151], v[150:151], 1.0
	v_rcp_f64_e32 v[154:155], v[152:153]
	v_fma_f64 v[158:159], -v[152:153], v[154:155], 1.0
	v_fma_f64 v[154:155], v[154:155], v[158:159], v[154:155]
	v_fma_f64 v[158:159], -v[152:153], v[154:155], 1.0
	v_fma_f64 v[154:155], v[154:155], v[158:159], v[154:155]
	v_div_scale_f64 v[158:159], vcc_lo, 1.0, v[150:151], 1.0
	v_mul_f64 v[160:161], v[158:159], v[154:155]
	v_fma_f64 v[152:153], -v[152:153], v[160:161], v[158:159]
	v_div_fmas_f64 v[152:153], v[152:153], v[154:155], v[160:161]
	v_div_fixup_f64 v[154:155], v[152:153], v[150:151], 1.0
	v_mul_f64 v[156:157], v[156:157], -v[154:155]
.LBB43_142:
	s_or_b32 exec_lo, exec_lo, s1
	ds_write2_b64 v1, v[154:155], v[156:157] offset1:1
.LBB43_143:
	s_or_b32 exec_lo, exec_lo, s2
	s_waitcnt lgkmcnt(0)
	s_barrier
	buffer_gl0_inv
	ds_read2_b64 v[150:153], v1 offset1:1
	s_mov_b32 s1, exec_lo
	v_cmpx_lt_u32_e32 15, v0
	s_cbranch_execz .LBB43_145
; %bb.144:
	s_waitcnt lgkmcnt(0)
	v_mul_f64 v[154:155], v[150:151], v[28:29]
	v_mul_f64 v[28:29], v[152:153], v[28:29]
	v_fma_f64 v[225:226], v[152:153], v[26:27], v[154:155]
	ds_read2_b64 v[154:157], v224 offset0:32 offset1:33
	ds_read2_b64 v[158:161], v224 offset0:34 offset1:35
	;; [unrolled: 1-line block ×6, first 2 shown]
	v_fma_f64 v[26:27], v[150:151], v[26:27], -v[28:29]
	s_waitcnt lgkmcnt(5)
	v_mul_f64 v[28:29], v[156:157], v[225:226]
	v_mul_f64 v[227:228], v[154:155], v[225:226]
	s_waitcnt lgkmcnt(4)
	v_mul_f64 v[229:230], v[160:161], v[225:226]
	v_mul_f64 v[231:232], v[158:159], v[225:226]
	;; [unrolled: 3-line block ×6, first 2 shown]
	v_fma_f64 v[28:29], v[154:155], v[26:27], -v[28:29]
	v_fma_f64 v[154:155], v[156:157], v[26:27], v[227:228]
	v_fma_f64 v[156:157], v[158:159], v[26:27], -v[229:230]
	v_fma_f64 v[158:159], v[160:161], v[26:27], v[231:232]
	;; [unrolled: 2-line block ×6, first 2 shown]
	v_add_f64 v[22:23], v[22:23], -v[28:29]
	v_add_f64 v[24:25], v[24:25], -v[154:155]
	;; [unrolled: 1-line block ×12, first 2 shown]
	v_mov_b32_e32 v28, v225
	v_mov_b32_e32 v29, v226
.LBB43_145:
	s_or_b32 exec_lo, exec_lo, s1
	s_mov_b32 s2, exec_lo
	s_waitcnt lgkmcnt(0)
	s_barrier
	buffer_gl0_inv
	v_cmpx_eq_u32_e32 16, v0
	s_cbranch_execz .LBB43_152
; %bb.146:
	ds_write2_b64 v1, v[22:23], v[24:25] offset1:1
	ds_write2_b64 v224, v[18:19], v[20:21] offset0:34 offset1:35
	ds_write2_b64 v224, v[14:15], v[16:17] offset0:36 offset1:37
	;; [unrolled: 1-line block ×5, first 2 shown]
	ds_read2_b64 v[154:157], v1 offset1:1
	s_waitcnt lgkmcnt(0)
	v_cmp_neq_f64_e32 vcc_lo, 0, v[154:155]
	v_cmp_neq_f64_e64 s1, 0, v[156:157]
	s_or_b32 s1, vcc_lo, s1
	s_and_b32 exec_lo, exec_lo, s1
	s_cbranch_execz .LBB43_152
; %bb.147:
	v_cmp_ngt_f64_e64 s1, |v[154:155]|, |v[156:157]|
                                        ; implicit-def: $vgpr158_vgpr159
	s_and_saveexec_b32 s3, s1
	s_xor_b32 s1, exec_lo, s3
                                        ; implicit-def: $vgpr160_vgpr161
	s_cbranch_execz .LBB43_149
; %bb.148:
	v_div_scale_f64 v[158:159], null, v[156:157], v[156:157], v[154:155]
	v_div_scale_f64 v[164:165], vcc_lo, v[154:155], v[156:157], v[154:155]
	v_rcp_f64_e32 v[160:161], v[158:159]
	v_fma_f64 v[162:163], -v[158:159], v[160:161], 1.0
	v_fma_f64 v[160:161], v[160:161], v[162:163], v[160:161]
	v_fma_f64 v[162:163], -v[158:159], v[160:161], 1.0
	v_fma_f64 v[160:161], v[160:161], v[162:163], v[160:161]
	v_mul_f64 v[162:163], v[164:165], v[160:161]
	v_fma_f64 v[158:159], -v[158:159], v[162:163], v[164:165]
	v_div_fmas_f64 v[158:159], v[158:159], v[160:161], v[162:163]
	v_div_fixup_f64 v[158:159], v[158:159], v[156:157], v[154:155]
	v_fma_f64 v[154:155], v[154:155], v[158:159], v[156:157]
	v_div_scale_f64 v[156:157], null, v[154:155], v[154:155], 1.0
	v_rcp_f64_e32 v[160:161], v[156:157]
	v_fma_f64 v[162:163], -v[156:157], v[160:161], 1.0
	v_fma_f64 v[160:161], v[160:161], v[162:163], v[160:161]
	v_fma_f64 v[162:163], -v[156:157], v[160:161], 1.0
	v_fma_f64 v[160:161], v[160:161], v[162:163], v[160:161]
	v_div_scale_f64 v[162:163], vcc_lo, 1.0, v[154:155], 1.0
	v_mul_f64 v[164:165], v[162:163], v[160:161]
	v_fma_f64 v[156:157], -v[156:157], v[164:165], v[162:163]
	v_div_fmas_f64 v[156:157], v[156:157], v[160:161], v[164:165]
	v_div_fixup_f64 v[160:161], v[156:157], v[154:155], 1.0
                                        ; implicit-def: $vgpr154_vgpr155
	v_mul_f64 v[158:159], v[158:159], v[160:161]
	v_xor_b32_e32 v161, 0x80000000, v161
.LBB43_149:
	s_andn2_saveexec_b32 s1, s1
	s_cbranch_execz .LBB43_151
; %bb.150:
	v_div_scale_f64 v[158:159], null, v[154:155], v[154:155], v[156:157]
	v_div_scale_f64 v[164:165], vcc_lo, v[156:157], v[154:155], v[156:157]
	v_rcp_f64_e32 v[160:161], v[158:159]
	v_fma_f64 v[162:163], -v[158:159], v[160:161], 1.0
	v_fma_f64 v[160:161], v[160:161], v[162:163], v[160:161]
	v_fma_f64 v[162:163], -v[158:159], v[160:161], 1.0
	v_fma_f64 v[160:161], v[160:161], v[162:163], v[160:161]
	v_mul_f64 v[162:163], v[164:165], v[160:161]
	v_fma_f64 v[158:159], -v[158:159], v[162:163], v[164:165]
	v_div_fmas_f64 v[158:159], v[158:159], v[160:161], v[162:163]
	v_div_fixup_f64 v[160:161], v[158:159], v[154:155], v[156:157]
	v_fma_f64 v[154:155], v[156:157], v[160:161], v[154:155]
	v_div_scale_f64 v[156:157], null, v[154:155], v[154:155], 1.0
	v_rcp_f64_e32 v[158:159], v[156:157]
	v_fma_f64 v[162:163], -v[156:157], v[158:159], 1.0
	v_fma_f64 v[158:159], v[158:159], v[162:163], v[158:159]
	v_fma_f64 v[162:163], -v[156:157], v[158:159], 1.0
	v_fma_f64 v[158:159], v[158:159], v[162:163], v[158:159]
	v_div_scale_f64 v[162:163], vcc_lo, 1.0, v[154:155], 1.0
	v_mul_f64 v[164:165], v[162:163], v[158:159]
	v_fma_f64 v[156:157], -v[156:157], v[164:165], v[162:163]
	v_div_fmas_f64 v[156:157], v[156:157], v[158:159], v[164:165]
	v_div_fixup_f64 v[158:159], v[156:157], v[154:155], 1.0
	v_mul_f64 v[160:161], v[160:161], -v[158:159]
.LBB43_151:
	s_or_b32 exec_lo, exec_lo, s1
	ds_write2_b64 v1, v[158:159], v[160:161] offset1:1
.LBB43_152:
	s_or_b32 exec_lo, exec_lo, s2
	s_waitcnt lgkmcnt(0)
	s_barrier
	buffer_gl0_inv
	ds_read2_b64 v[154:157], v1 offset1:1
	s_mov_b32 s1, exec_lo
	v_cmpx_lt_u32_e32 16, v0
	s_cbranch_execz .LBB43_154
; %bb.153:
	s_waitcnt lgkmcnt(0)
	v_mul_f64 v[158:159], v[154:155], v[24:25]
	v_mul_f64 v[24:25], v[156:157], v[24:25]
	v_fma_f64 v[225:226], v[156:157], v[22:23], v[158:159]
	ds_read2_b64 v[158:161], v224 offset0:34 offset1:35
	ds_read2_b64 v[162:165], v224 offset0:36 offset1:37
	;; [unrolled: 1-line block ×5, first 2 shown]
	v_fma_f64 v[22:23], v[154:155], v[22:23], -v[24:25]
	s_waitcnt lgkmcnt(4)
	v_mul_f64 v[24:25], v[160:161], v[225:226]
	v_mul_f64 v[227:228], v[158:159], v[225:226]
	s_waitcnt lgkmcnt(3)
	v_mul_f64 v[229:230], v[164:165], v[225:226]
	v_mul_f64 v[231:232], v[162:163], v[225:226]
	;; [unrolled: 3-line block ×5, first 2 shown]
	v_fma_f64 v[24:25], v[158:159], v[22:23], -v[24:25]
	v_fma_f64 v[158:159], v[160:161], v[22:23], v[227:228]
	v_fma_f64 v[160:161], v[162:163], v[22:23], -v[229:230]
	v_fma_f64 v[162:163], v[164:165], v[22:23], v[231:232]
	;; [unrolled: 2-line block ×5, first 2 shown]
	v_add_f64 v[18:19], v[18:19], -v[24:25]
	v_add_f64 v[20:21], v[20:21], -v[158:159]
	;; [unrolled: 1-line block ×10, first 2 shown]
	v_mov_b32_e32 v24, v225
	v_mov_b32_e32 v25, v226
.LBB43_154:
	s_or_b32 exec_lo, exec_lo, s1
	s_mov_b32 s2, exec_lo
	s_waitcnt lgkmcnt(0)
	s_barrier
	buffer_gl0_inv
	v_cmpx_eq_u32_e32 17, v0
	s_cbranch_execz .LBB43_161
; %bb.155:
	ds_write2_b64 v1, v[18:19], v[20:21] offset1:1
	ds_write2_b64 v224, v[14:15], v[16:17] offset0:36 offset1:37
	ds_write2_b64 v224, v[10:11], v[12:13] offset0:38 offset1:39
	;; [unrolled: 1-line block ×4, first 2 shown]
	ds_read2_b64 v[158:161], v1 offset1:1
	s_waitcnt lgkmcnt(0)
	v_cmp_neq_f64_e32 vcc_lo, 0, v[158:159]
	v_cmp_neq_f64_e64 s1, 0, v[160:161]
	s_or_b32 s1, vcc_lo, s1
	s_and_b32 exec_lo, exec_lo, s1
	s_cbranch_execz .LBB43_161
; %bb.156:
	v_cmp_ngt_f64_e64 s1, |v[158:159]|, |v[160:161]|
                                        ; implicit-def: $vgpr162_vgpr163
	s_and_saveexec_b32 s3, s1
	s_xor_b32 s1, exec_lo, s3
                                        ; implicit-def: $vgpr164_vgpr165
	s_cbranch_execz .LBB43_158
; %bb.157:
	v_div_scale_f64 v[162:163], null, v[160:161], v[160:161], v[158:159]
	v_div_scale_f64 v[168:169], vcc_lo, v[158:159], v[160:161], v[158:159]
	v_rcp_f64_e32 v[164:165], v[162:163]
	v_fma_f64 v[166:167], -v[162:163], v[164:165], 1.0
	v_fma_f64 v[164:165], v[164:165], v[166:167], v[164:165]
	v_fma_f64 v[166:167], -v[162:163], v[164:165], 1.0
	v_fma_f64 v[164:165], v[164:165], v[166:167], v[164:165]
	v_mul_f64 v[166:167], v[168:169], v[164:165]
	v_fma_f64 v[162:163], -v[162:163], v[166:167], v[168:169]
	v_div_fmas_f64 v[162:163], v[162:163], v[164:165], v[166:167]
	v_div_fixup_f64 v[162:163], v[162:163], v[160:161], v[158:159]
	v_fma_f64 v[158:159], v[158:159], v[162:163], v[160:161]
	v_div_scale_f64 v[160:161], null, v[158:159], v[158:159], 1.0
	v_rcp_f64_e32 v[164:165], v[160:161]
	v_fma_f64 v[166:167], -v[160:161], v[164:165], 1.0
	v_fma_f64 v[164:165], v[164:165], v[166:167], v[164:165]
	v_fma_f64 v[166:167], -v[160:161], v[164:165], 1.0
	v_fma_f64 v[164:165], v[164:165], v[166:167], v[164:165]
	v_div_scale_f64 v[166:167], vcc_lo, 1.0, v[158:159], 1.0
	v_mul_f64 v[168:169], v[166:167], v[164:165]
	v_fma_f64 v[160:161], -v[160:161], v[168:169], v[166:167]
	v_div_fmas_f64 v[160:161], v[160:161], v[164:165], v[168:169]
	v_div_fixup_f64 v[164:165], v[160:161], v[158:159], 1.0
                                        ; implicit-def: $vgpr158_vgpr159
	v_mul_f64 v[162:163], v[162:163], v[164:165]
	v_xor_b32_e32 v165, 0x80000000, v165
.LBB43_158:
	s_andn2_saveexec_b32 s1, s1
	s_cbranch_execz .LBB43_160
; %bb.159:
	v_div_scale_f64 v[162:163], null, v[158:159], v[158:159], v[160:161]
	v_div_scale_f64 v[168:169], vcc_lo, v[160:161], v[158:159], v[160:161]
	v_rcp_f64_e32 v[164:165], v[162:163]
	v_fma_f64 v[166:167], -v[162:163], v[164:165], 1.0
	v_fma_f64 v[164:165], v[164:165], v[166:167], v[164:165]
	v_fma_f64 v[166:167], -v[162:163], v[164:165], 1.0
	v_fma_f64 v[164:165], v[164:165], v[166:167], v[164:165]
	v_mul_f64 v[166:167], v[168:169], v[164:165]
	v_fma_f64 v[162:163], -v[162:163], v[166:167], v[168:169]
	v_div_fmas_f64 v[162:163], v[162:163], v[164:165], v[166:167]
	v_div_fixup_f64 v[164:165], v[162:163], v[158:159], v[160:161]
	v_fma_f64 v[158:159], v[160:161], v[164:165], v[158:159]
	v_div_scale_f64 v[160:161], null, v[158:159], v[158:159], 1.0
	v_rcp_f64_e32 v[162:163], v[160:161]
	v_fma_f64 v[166:167], -v[160:161], v[162:163], 1.0
	v_fma_f64 v[162:163], v[162:163], v[166:167], v[162:163]
	v_fma_f64 v[166:167], -v[160:161], v[162:163], 1.0
	v_fma_f64 v[162:163], v[162:163], v[166:167], v[162:163]
	v_div_scale_f64 v[166:167], vcc_lo, 1.0, v[158:159], 1.0
	v_mul_f64 v[168:169], v[166:167], v[162:163]
	v_fma_f64 v[160:161], -v[160:161], v[168:169], v[166:167]
	v_div_fmas_f64 v[160:161], v[160:161], v[162:163], v[168:169]
	v_div_fixup_f64 v[162:163], v[160:161], v[158:159], 1.0
	v_mul_f64 v[164:165], v[164:165], -v[162:163]
.LBB43_160:
	s_or_b32 exec_lo, exec_lo, s1
	ds_write2_b64 v1, v[162:163], v[164:165] offset1:1
.LBB43_161:
	s_or_b32 exec_lo, exec_lo, s2
	s_waitcnt lgkmcnt(0)
	s_barrier
	buffer_gl0_inv
	ds_read2_b64 v[158:161], v1 offset1:1
	s_mov_b32 s1, exec_lo
	v_cmpx_lt_u32_e32 17, v0
	s_cbranch_execz .LBB43_163
; %bb.162:
	s_waitcnt lgkmcnt(0)
	v_mul_f64 v[162:163], v[158:159], v[20:21]
	v_mul_f64 v[20:21], v[160:161], v[20:21]
	v_fma_f64 v[225:226], v[160:161], v[18:19], v[162:163]
	ds_read2_b64 v[162:165], v224 offset0:36 offset1:37
	ds_read2_b64 v[166:169], v224 offset0:38 offset1:39
	;; [unrolled: 1-line block ×4, first 2 shown]
	v_fma_f64 v[18:19], v[158:159], v[18:19], -v[20:21]
	s_waitcnt lgkmcnt(3)
	v_mul_f64 v[20:21], v[164:165], v[225:226]
	v_mul_f64 v[227:228], v[162:163], v[225:226]
	s_waitcnt lgkmcnt(2)
	v_mul_f64 v[229:230], v[168:169], v[225:226]
	v_mul_f64 v[231:232], v[166:167], v[225:226]
	;; [unrolled: 3-line block ×4, first 2 shown]
	v_fma_f64 v[20:21], v[162:163], v[18:19], -v[20:21]
	v_fma_f64 v[162:163], v[164:165], v[18:19], v[227:228]
	v_fma_f64 v[164:165], v[166:167], v[18:19], -v[229:230]
	v_fma_f64 v[166:167], v[168:169], v[18:19], v[231:232]
	;; [unrolled: 2-line block ×4, first 2 shown]
	v_add_f64 v[14:15], v[14:15], -v[20:21]
	v_add_f64 v[16:17], v[16:17], -v[162:163]
	;; [unrolled: 1-line block ×8, first 2 shown]
	v_mov_b32_e32 v20, v225
	v_mov_b32_e32 v21, v226
.LBB43_163:
	s_or_b32 exec_lo, exec_lo, s1
	s_mov_b32 s2, exec_lo
	s_waitcnt lgkmcnt(0)
	s_barrier
	buffer_gl0_inv
	v_cmpx_eq_u32_e32 18, v0
	s_cbranch_execz .LBB43_170
; %bb.164:
	ds_write2_b64 v1, v[14:15], v[16:17] offset1:1
	ds_write2_b64 v224, v[10:11], v[12:13] offset0:38 offset1:39
	ds_write2_b64 v224, v[6:7], v[8:9] offset0:40 offset1:41
	ds_write2_b64 v224, v[2:3], v[4:5] offset0:42 offset1:43
	ds_read2_b64 v[162:165], v1 offset1:1
	s_waitcnt lgkmcnt(0)
	v_cmp_neq_f64_e32 vcc_lo, 0, v[162:163]
	v_cmp_neq_f64_e64 s1, 0, v[164:165]
	s_or_b32 s1, vcc_lo, s1
	s_and_b32 exec_lo, exec_lo, s1
	s_cbranch_execz .LBB43_170
; %bb.165:
	v_cmp_ngt_f64_e64 s1, |v[162:163]|, |v[164:165]|
                                        ; implicit-def: $vgpr166_vgpr167
	s_and_saveexec_b32 s3, s1
	s_xor_b32 s1, exec_lo, s3
                                        ; implicit-def: $vgpr168_vgpr169
	s_cbranch_execz .LBB43_167
; %bb.166:
	v_div_scale_f64 v[166:167], null, v[164:165], v[164:165], v[162:163]
	v_div_scale_f64 v[172:173], vcc_lo, v[162:163], v[164:165], v[162:163]
	v_rcp_f64_e32 v[168:169], v[166:167]
	v_fma_f64 v[170:171], -v[166:167], v[168:169], 1.0
	v_fma_f64 v[168:169], v[168:169], v[170:171], v[168:169]
	v_fma_f64 v[170:171], -v[166:167], v[168:169], 1.0
	v_fma_f64 v[168:169], v[168:169], v[170:171], v[168:169]
	v_mul_f64 v[170:171], v[172:173], v[168:169]
	v_fma_f64 v[166:167], -v[166:167], v[170:171], v[172:173]
	v_div_fmas_f64 v[166:167], v[166:167], v[168:169], v[170:171]
	v_div_fixup_f64 v[166:167], v[166:167], v[164:165], v[162:163]
	v_fma_f64 v[162:163], v[162:163], v[166:167], v[164:165]
	v_div_scale_f64 v[164:165], null, v[162:163], v[162:163], 1.0
	v_rcp_f64_e32 v[168:169], v[164:165]
	v_fma_f64 v[170:171], -v[164:165], v[168:169], 1.0
	v_fma_f64 v[168:169], v[168:169], v[170:171], v[168:169]
	v_fma_f64 v[170:171], -v[164:165], v[168:169], 1.0
	v_fma_f64 v[168:169], v[168:169], v[170:171], v[168:169]
	v_div_scale_f64 v[170:171], vcc_lo, 1.0, v[162:163], 1.0
	v_mul_f64 v[172:173], v[170:171], v[168:169]
	v_fma_f64 v[164:165], -v[164:165], v[172:173], v[170:171]
	v_div_fmas_f64 v[164:165], v[164:165], v[168:169], v[172:173]
	v_div_fixup_f64 v[168:169], v[164:165], v[162:163], 1.0
                                        ; implicit-def: $vgpr162_vgpr163
	v_mul_f64 v[166:167], v[166:167], v[168:169]
	v_xor_b32_e32 v169, 0x80000000, v169
.LBB43_167:
	s_andn2_saveexec_b32 s1, s1
	s_cbranch_execz .LBB43_169
; %bb.168:
	v_div_scale_f64 v[166:167], null, v[162:163], v[162:163], v[164:165]
	v_div_scale_f64 v[172:173], vcc_lo, v[164:165], v[162:163], v[164:165]
	v_rcp_f64_e32 v[168:169], v[166:167]
	v_fma_f64 v[170:171], -v[166:167], v[168:169], 1.0
	v_fma_f64 v[168:169], v[168:169], v[170:171], v[168:169]
	v_fma_f64 v[170:171], -v[166:167], v[168:169], 1.0
	v_fma_f64 v[168:169], v[168:169], v[170:171], v[168:169]
	v_mul_f64 v[170:171], v[172:173], v[168:169]
	v_fma_f64 v[166:167], -v[166:167], v[170:171], v[172:173]
	v_div_fmas_f64 v[166:167], v[166:167], v[168:169], v[170:171]
	v_div_fixup_f64 v[168:169], v[166:167], v[162:163], v[164:165]
	v_fma_f64 v[162:163], v[164:165], v[168:169], v[162:163]
	v_div_scale_f64 v[164:165], null, v[162:163], v[162:163], 1.0
	v_rcp_f64_e32 v[166:167], v[164:165]
	v_fma_f64 v[170:171], -v[164:165], v[166:167], 1.0
	v_fma_f64 v[166:167], v[166:167], v[170:171], v[166:167]
	v_fma_f64 v[170:171], -v[164:165], v[166:167], 1.0
	v_fma_f64 v[166:167], v[166:167], v[170:171], v[166:167]
	v_div_scale_f64 v[170:171], vcc_lo, 1.0, v[162:163], 1.0
	v_mul_f64 v[172:173], v[170:171], v[166:167]
	v_fma_f64 v[164:165], -v[164:165], v[172:173], v[170:171]
	v_div_fmas_f64 v[164:165], v[164:165], v[166:167], v[172:173]
	v_div_fixup_f64 v[166:167], v[164:165], v[162:163], 1.0
	v_mul_f64 v[168:169], v[168:169], -v[166:167]
.LBB43_169:
	s_or_b32 exec_lo, exec_lo, s1
	ds_write2_b64 v1, v[166:167], v[168:169] offset1:1
.LBB43_170:
	s_or_b32 exec_lo, exec_lo, s2
	s_waitcnt lgkmcnt(0)
	s_barrier
	buffer_gl0_inv
	ds_read2_b64 v[162:165], v1 offset1:1
	s_mov_b32 s1, exec_lo
	v_cmpx_lt_u32_e32 18, v0
	s_cbranch_execz .LBB43_172
; %bb.171:
	s_waitcnt lgkmcnt(0)
	v_mul_f64 v[166:167], v[162:163], v[16:17]
	v_mul_f64 v[16:17], v[164:165], v[16:17]
	v_fma_f64 v[225:226], v[164:165], v[14:15], v[166:167]
	ds_read2_b64 v[166:169], v224 offset0:38 offset1:39
	ds_read2_b64 v[170:173], v224 offset0:40 offset1:41
	;; [unrolled: 1-line block ×3, first 2 shown]
	v_fma_f64 v[14:15], v[162:163], v[14:15], -v[16:17]
	s_waitcnt lgkmcnt(2)
	v_mul_f64 v[16:17], v[168:169], v[225:226]
	v_mul_f64 v[227:228], v[166:167], v[225:226]
	s_waitcnt lgkmcnt(1)
	v_mul_f64 v[229:230], v[172:173], v[225:226]
	v_mul_f64 v[231:232], v[170:171], v[225:226]
	;; [unrolled: 3-line block ×3, first 2 shown]
	v_fma_f64 v[16:17], v[166:167], v[14:15], -v[16:17]
	v_fma_f64 v[166:167], v[168:169], v[14:15], v[227:228]
	v_fma_f64 v[168:169], v[170:171], v[14:15], -v[229:230]
	v_fma_f64 v[170:171], v[172:173], v[14:15], v[231:232]
	;; [unrolled: 2-line block ×3, first 2 shown]
	v_add_f64 v[10:11], v[10:11], -v[16:17]
	v_add_f64 v[12:13], v[12:13], -v[166:167]
	;; [unrolled: 1-line block ×6, first 2 shown]
	v_mov_b32_e32 v16, v225
	v_mov_b32_e32 v17, v226
.LBB43_172:
	s_or_b32 exec_lo, exec_lo, s1
	s_mov_b32 s2, exec_lo
	s_waitcnt lgkmcnt(0)
	s_barrier
	buffer_gl0_inv
	v_cmpx_eq_u32_e32 19, v0
	s_cbranch_execz .LBB43_179
; %bb.173:
	ds_write2_b64 v1, v[10:11], v[12:13] offset1:1
	ds_write2_b64 v224, v[6:7], v[8:9] offset0:40 offset1:41
	ds_write2_b64 v224, v[2:3], v[4:5] offset0:42 offset1:43
	ds_read2_b64 v[166:169], v1 offset1:1
	s_waitcnt lgkmcnt(0)
	v_cmp_neq_f64_e32 vcc_lo, 0, v[166:167]
	v_cmp_neq_f64_e64 s1, 0, v[168:169]
	s_or_b32 s1, vcc_lo, s1
	s_and_b32 exec_lo, exec_lo, s1
	s_cbranch_execz .LBB43_179
; %bb.174:
	v_cmp_ngt_f64_e64 s1, |v[166:167]|, |v[168:169]|
                                        ; implicit-def: $vgpr170_vgpr171
	s_and_saveexec_b32 s3, s1
	s_xor_b32 s1, exec_lo, s3
                                        ; implicit-def: $vgpr172_vgpr173
	s_cbranch_execz .LBB43_176
; %bb.175:
	v_div_scale_f64 v[170:171], null, v[168:169], v[168:169], v[166:167]
	v_div_scale_f64 v[176:177], vcc_lo, v[166:167], v[168:169], v[166:167]
	v_rcp_f64_e32 v[172:173], v[170:171]
	v_fma_f64 v[174:175], -v[170:171], v[172:173], 1.0
	v_fma_f64 v[172:173], v[172:173], v[174:175], v[172:173]
	v_fma_f64 v[174:175], -v[170:171], v[172:173], 1.0
	v_fma_f64 v[172:173], v[172:173], v[174:175], v[172:173]
	v_mul_f64 v[174:175], v[176:177], v[172:173]
	v_fma_f64 v[170:171], -v[170:171], v[174:175], v[176:177]
	v_div_fmas_f64 v[170:171], v[170:171], v[172:173], v[174:175]
	v_div_fixup_f64 v[170:171], v[170:171], v[168:169], v[166:167]
	v_fma_f64 v[166:167], v[166:167], v[170:171], v[168:169]
	v_div_scale_f64 v[168:169], null, v[166:167], v[166:167], 1.0
	v_rcp_f64_e32 v[172:173], v[168:169]
	v_fma_f64 v[174:175], -v[168:169], v[172:173], 1.0
	v_fma_f64 v[172:173], v[172:173], v[174:175], v[172:173]
	v_fma_f64 v[174:175], -v[168:169], v[172:173], 1.0
	v_fma_f64 v[172:173], v[172:173], v[174:175], v[172:173]
	v_div_scale_f64 v[174:175], vcc_lo, 1.0, v[166:167], 1.0
	v_mul_f64 v[176:177], v[174:175], v[172:173]
	v_fma_f64 v[168:169], -v[168:169], v[176:177], v[174:175]
	v_div_fmas_f64 v[168:169], v[168:169], v[172:173], v[176:177]
	v_div_fixup_f64 v[172:173], v[168:169], v[166:167], 1.0
                                        ; implicit-def: $vgpr166_vgpr167
	v_mul_f64 v[170:171], v[170:171], v[172:173]
	v_xor_b32_e32 v173, 0x80000000, v173
.LBB43_176:
	s_andn2_saveexec_b32 s1, s1
	s_cbranch_execz .LBB43_178
; %bb.177:
	v_div_scale_f64 v[170:171], null, v[166:167], v[166:167], v[168:169]
	v_div_scale_f64 v[176:177], vcc_lo, v[168:169], v[166:167], v[168:169]
	v_rcp_f64_e32 v[172:173], v[170:171]
	v_fma_f64 v[174:175], -v[170:171], v[172:173], 1.0
	v_fma_f64 v[172:173], v[172:173], v[174:175], v[172:173]
	v_fma_f64 v[174:175], -v[170:171], v[172:173], 1.0
	v_fma_f64 v[172:173], v[172:173], v[174:175], v[172:173]
	v_mul_f64 v[174:175], v[176:177], v[172:173]
	v_fma_f64 v[170:171], -v[170:171], v[174:175], v[176:177]
	v_div_fmas_f64 v[170:171], v[170:171], v[172:173], v[174:175]
	v_div_fixup_f64 v[172:173], v[170:171], v[166:167], v[168:169]
	v_fma_f64 v[166:167], v[168:169], v[172:173], v[166:167]
	v_div_scale_f64 v[168:169], null, v[166:167], v[166:167], 1.0
	v_rcp_f64_e32 v[170:171], v[168:169]
	v_fma_f64 v[174:175], -v[168:169], v[170:171], 1.0
	v_fma_f64 v[170:171], v[170:171], v[174:175], v[170:171]
	v_fma_f64 v[174:175], -v[168:169], v[170:171], 1.0
	v_fma_f64 v[170:171], v[170:171], v[174:175], v[170:171]
	v_div_scale_f64 v[174:175], vcc_lo, 1.0, v[166:167], 1.0
	v_mul_f64 v[176:177], v[174:175], v[170:171]
	v_fma_f64 v[168:169], -v[168:169], v[176:177], v[174:175]
	v_div_fmas_f64 v[168:169], v[168:169], v[170:171], v[176:177]
	v_div_fixup_f64 v[170:171], v[168:169], v[166:167], 1.0
	v_mul_f64 v[172:173], v[172:173], -v[170:171]
.LBB43_178:
	s_or_b32 exec_lo, exec_lo, s1
	ds_write2_b64 v1, v[170:171], v[172:173] offset1:1
.LBB43_179:
	s_or_b32 exec_lo, exec_lo, s2
	s_waitcnt lgkmcnt(0)
	s_barrier
	buffer_gl0_inv
	ds_read2_b64 v[166:169], v1 offset1:1
	s_mov_b32 s1, exec_lo
	v_cmpx_lt_u32_e32 19, v0
	s_cbranch_execz .LBB43_181
; %bb.180:
	s_waitcnt lgkmcnt(0)
	v_mul_f64 v[170:171], v[166:167], v[12:13]
	v_mul_f64 v[12:13], v[168:169], v[12:13]
	v_fma_f64 v[225:226], v[168:169], v[10:11], v[170:171]
	ds_read2_b64 v[170:173], v224 offset0:40 offset1:41
	ds_read2_b64 v[174:177], v224 offset0:42 offset1:43
	v_fma_f64 v[10:11], v[166:167], v[10:11], -v[12:13]
	s_waitcnt lgkmcnt(1)
	v_mul_f64 v[12:13], v[172:173], v[225:226]
	v_mul_f64 v[227:228], v[170:171], v[225:226]
	s_waitcnt lgkmcnt(0)
	v_mul_f64 v[229:230], v[176:177], v[225:226]
	v_mul_f64 v[231:232], v[174:175], v[225:226]
	v_fma_f64 v[12:13], v[170:171], v[10:11], -v[12:13]
	v_fma_f64 v[170:171], v[172:173], v[10:11], v[227:228]
	v_fma_f64 v[172:173], v[174:175], v[10:11], -v[229:230]
	v_fma_f64 v[174:175], v[176:177], v[10:11], v[231:232]
	v_add_f64 v[6:7], v[6:7], -v[12:13]
	v_add_f64 v[8:9], v[8:9], -v[170:171]
	;; [unrolled: 1-line block ×4, first 2 shown]
	v_mov_b32_e32 v12, v225
	v_mov_b32_e32 v13, v226
.LBB43_181:
	s_or_b32 exec_lo, exec_lo, s1
	s_mov_b32 s2, exec_lo
	s_waitcnt lgkmcnt(0)
	s_barrier
	buffer_gl0_inv
	v_cmpx_eq_u32_e32 20, v0
	s_cbranch_execz .LBB43_188
; %bb.182:
	ds_write2_b64 v1, v[6:7], v[8:9] offset1:1
	ds_write2_b64 v224, v[2:3], v[4:5] offset0:42 offset1:43
	ds_read2_b64 v[170:173], v1 offset1:1
	s_waitcnt lgkmcnt(0)
	v_cmp_neq_f64_e32 vcc_lo, 0, v[170:171]
	v_cmp_neq_f64_e64 s1, 0, v[172:173]
	s_or_b32 s1, vcc_lo, s1
	s_and_b32 exec_lo, exec_lo, s1
	s_cbranch_execz .LBB43_188
; %bb.183:
	v_cmp_ngt_f64_e64 s1, |v[170:171]|, |v[172:173]|
                                        ; implicit-def: $vgpr174_vgpr175
	s_and_saveexec_b32 s3, s1
	s_xor_b32 s1, exec_lo, s3
                                        ; implicit-def: $vgpr176_vgpr177
	s_cbranch_execz .LBB43_185
; %bb.184:
	v_div_scale_f64 v[174:175], null, v[172:173], v[172:173], v[170:171]
	v_div_scale_f64 v[227:228], vcc_lo, v[170:171], v[172:173], v[170:171]
	v_rcp_f64_e32 v[176:177], v[174:175]
	v_fma_f64 v[225:226], -v[174:175], v[176:177], 1.0
	v_fma_f64 v[176:177], v[176:177], v[225:226], v[176:177]
	v_fma_f64 v[225:226], -v[174:175], v[176:177], 1.0
	v_fma_f64 v[176:177], v[176:177], v[225:226], v[176:177]
	v_mul_f64 v[225:226], v[227:228], v[176:177]
	v_fma_f64 v[174:175], -v[174:175], v[225:226], v[227:228]
	v_div_fmas_f64 v[174:175], v[174:175], v[176:177], v[225:226]
	v_div_fixup_f64 v[174:175], v[174:175], v[172:173], v[170:171]
	v_fma_f64 v[170:171], v[170:171], v[174:175], v[172:173]
	v_div_scale_f64 v[172:173], null, v[170:171], v[170:171], 1.0
	v_rcp_f64_e32 v[176:177], v[172:173]
	v_fma_f64 v[225:226], -v[172:173], v[176:177], 1.0
	v_fma_f64 v[176:177], v[176:177], v[225:226], v[176:177]
	v_fma_f64 v[225:226], -v[172:173], v[176:177], 1.0
	v_fma_f64 v[176:177], v[176:177], v[225:226], v[176:177]
	v_div_scale_f64 v[225:226], vcc_lo, 1.0, v[170:171], 1.0
	v_mul_f64 v[227:228], v[225:226], v[176:177]
	v_fma_f64 v[172:173], -v[172:173], v[227:228], v[225:226]
	v_div_fmas_f64 v[172:173], v[172:173], v[176:177], v[227:228]
	v_div_fixup_f64 v[176:177], v[172:173], v[170:171], 1.0
                                        ; implicit-def: $vgpr170_vgpr171
	v_mul_f64 v[174:175], v[174:175], v[176:177]
	v_xor_b32_e32 v177, 0x80000000, v177
.LBB43_185:
	s_andn2_saveexec_b32 s1, s1
	s_cbranch_execz .LBB43_187
; %bb.186:
	v_div_scale_f64 v[174:175], null, v[170:171], v[170:171], v[172:173]
	v_div_scale_f64 v[227:228], vcc_lo, v[172:173], v[170:171], v[172:173]
	v_rcp_f64_e32 v[176:177], v[174:175]
	v_fma_f64 v[225:226], -v[174:175], v[176:177], 1.0
	v_fma_f64 v[176:177], v[176:177], v[225:226], v[176:177]
	v_fma_f64 v[225:226], -v[174:175], v[176:177], 1.0
	v_fma_f64 v[176:177], v[176:177], v[225:226], v[176:177]
	v_mul_f64 v[225:226], v[227:228], v[176:177]
	v_fma_f64 v[174:175], -v[174:175], v[225:226], v[227:228]
	v_div_fmas_f64 v[174:175], v[174:175], v[176:177], v[225:226]
	v_div_fixup_f64 v[176:177], v[174:175], v[170:171], v[172:173]
	v_fma_f64 v[170:171], v[172:173], v[176:177], v[170:171]
	v_div_scale_f64 v[172:173], null, v[170:171], v[170:171], 1.0
	v_rcp_f64_e32 v[174:175], v[172:173]
	v_fma_f64 v[225:226], -v[172:173], v[174:175], 1.0
	v_fma_f64 v[174:175], v[174:175], v[225:226], v[174:175]
	v_fma_f64 v[225:226], -v[172:173], v[174:175], 1.0
	v_fma_f64 v[174:175], v[174:175], v[225:226], v[174:175]
	v_div_scale_f64 v[225:226], vcc_lo, 1.0, v[170:171], 1.0
	v_mul_f64 v[227:228], v[225:226], v[174:175]
	v_fma_f64 v[172:173], -v[172:173], v[227:228], v[225:226]
	v_div_fmas_f64 v[172:173], v[172:173], v[174:175], v[227:228]
	v_div_fixup_f64 v[174:175], v[172:173], v[170:171], 1.0
	v_mul_f64 v[176:177], v[176:177], -v[174:175]
.LBB43_187:
	s_or_b32 exec_lo, exec_lo, s1
	ds_write2_b64 v1, v[174:175], v[176:177] offset1:1
.LBB43_188:
	s_or_b32 exec_lo, exec_lo, s2
	s_waitcnt lgkmcnt(0)
	s_barrier
	buffer_gl0_inv
	ds_read2_b64 v[170:173], v1 offset1:1
	s_mov_b32 s1, exec_lo
	v_cmpx_lt_u32_e32 20, v0
	s_cbranch_execz .LBB43_190
; %bb.189:
	s_waitcnt lgkmcnt(0)
	v_mul_f64 v[174:175], v[170:171], v[8:9]
	v_mul_f64 v[8:9], v[172:173], v[8:9]
	v_fma_f64 v[225:226], v[172:173], v[6:7], v[174:175]
	ds_read2_b64 v[174:177], v224 offset0:42 offset1:43
	v_fma_f64 v[6:7], v[170:171], v[6:7], -v[8:9]
	s_waitcnt lgkmcnt(0)
	v_mul_f64 v[8:9], v[176:177], v[225:226]
	v_mul_f64 v[227:228], v[174:175], v[225:226]
	v_fma_f64 v[8:9], v[174:175], v[6:7], -v[8:9]
	v_fma_f64 v[174:175], v[176:177], v[6:7], v[227:228]
	v_add_f64 v[2:3], v[2:3], -v[8:9]
	v_add_f64 v[4:5], v[4:5], -v[174:175]
	v_mov_b32_e32 v8, v225
	v_mov_b32_e32 v9, v226
.LBB43_190:
	s_or_b32 exec_lo, exec_lo, s1
	s_mov_b32 s2, exec_lo
	s_waitcnt lgkmcnt(0)
	s_barrier
	buffer_gl0_inv
	v_cmpx_eq_u32_e32 21, v0
	s_cbranch_execz .LBB43_197
; %bb.191:
	v_cmp_neq_f64_e32 vcc_lo, 0, v[2:3]
	v_cmp_neq_f64_e64 s1, 0, v[4:5]
	ds_write2_b64 v1, v[2:3], v[4:5] offset1:1
	s_or_b32 s1, vcc_lo, s1
	s_and_b32 exec_lo, exec_lo, s1
	s_cbranch_execz .LBB43_197
; %bb.192:
	v_cmp_ngt_f64_e64 s1, |v[2:3]|, |v[4:5]|
                                        ; implicit-def: $vgpr174_vgpr175
	s_and_saveexec_b32 s3, s1
	s_xor_b32 s1, exec_lo, s3
                                        ; implicit-def: $vgpr176_vgpr177
	s_cbranch_execz .LBB43_194
; %bb.193:
	v_div_scale_f64 v[174:175], null, v[4:5], v[4:5], v[2:3]
	v_div_scale_f64 v[226:227], vcc_lo, v[2:3], v[4:5], v[2:3]
	v_rcp_f64_e32 v[176:177], v[174:175]
	v_fma_f64 v[224:225], -v[174:175], v[176:177], 1.0
	v_fma_f64 v[176:177], v[176:177], v[224:225], v[176:177]
	v_fma_f64 v[224:225], -v[174:175], v[176:177], 1.0
	v_fma_f64 v[176:177], v[176:177], v[224:225], v[176:177]
	v_mul_f64 v[224:225], v[226:227], v[176:177]
	v_fma_f64 v[174:175], -v[174:175], v[224:225], v[226:227]
	v_div_fmas_f64 v[174:175], v[174:175], v[176:177], v[224:225]
	v_div_fixup_f64 v[174:175], v[174:175], v[4:5], v[2:3]
	v_fma_f64 v[176:177], v[2:3], v[174:175], v[4:5]
	v_div_scale_f64 v[224:225], null, v[176:177], v[176:177], 1.0
	v_rcp_f64_e32 v[226:227], v[224:225]
	v_fma_f64 v[228:229], -v[224:225], v[226:227], 1.0
	v_fma_f64 v[226:227], v[226:227], v[228:229], v[226:227]
	v_fma_f64 v[228:229], -v[224:225], v[226:227], 1.0
	v_fma_f64 v[226:227], v[226:227], v[228:229], v[226:227]
	v_div_scale_f64 v[228:229], vcc_lo, 1.0, v[176:177], 1.0
	v_mul_f64 v[230:231], v[228:229], v[226:227]
	v_fma_f64 v[224:225], -v[224:225], v[230:231], v[228:229]
	v_div_fmas_f64 v[224:225], v[224:225], v[226:227], v[230:231]
	v_div_fixup_f64 v[176:177], v[224:225], v[176:177], 1.0
	v_mul_f64 v[174:175], v[174:175], v[176:177]
	v_xor_b32_e32 v177, 0x80000000, v177
.LBB43_194:
	s_andn2_saveexec_b32 s1, s1
	s_cbranch_execz .LBB43_196
; %bb.195:
	v_div_scale_f64 v[174:175], null, v[2:3], v[2:3], v[4:5]
	v_div_scale_f64 v[226:227], vcc_lo, v[4:5], v[2:3], v[4:5]
	v_rcp_f64_e32 v[176:177], v[174:175]
	v_fma_f64 v[224:225], -v[174:175], v[176:177], 1.0
	v_fma_f64 v[176:177], v[176:177], v[224:225], v[176:177]
	v_fma_f64 v[224:225], -v[174:175], v[176:177], 1.0
	v_fma_f64 v[176:177], v[176:177], v[224:225], v[176:177]
	v_mul_f64 v[224:225], v[226:227], v[176:177]
	v_fma_f64 v[174:175], -v[174:175], v[224:225], v[226:227]
	v_div_fmas_f64 v[174:175], v[174:175], v[176:177], v[224:225]
	v_div_fixup_f64 v[176:177], v[174:175], v[2:3], v[4:5]
	v_fma_f64 v[174:175], v[4:5], v[176:177], v[2:3]
	v_div_scale_f64 v[224:225], null, v[174:175], v[174:175], 1.0
	v_rcp_f64_e32 v[226:227], v[224:225]
	v_fma_f64 v[228:229], -v[224:225], v[226:227], 1.0
	v_fma_f64 v[226:227], v[226:227], v[228:229], v[226:227]
	v_fma_f64 v[228:229], -v[224:225], v[226:227], 1.0
	v_fma_f64 v[226:227], v[226:227], v[228:229], v[226:227]
	v_div_scale_f64 v[228:229], vcc_lo, 1.0, v[174:175], 1.0
	v_mul_f64 v[230:231], v[228:229], v[226:227]
	v_fma_f64 v[224:225], -v[224:225], v[230:231], v[228:229]
	v_div_fmas_f64 v[224:225], v[224:225], v[226:227], v[230:231]
	v_div_fixup_f64 v[174:175], v[224:225], v[174:175], 1.0
	v_mul_f64 v[176:177], v[176:177], -v[174:175]
.LBB43_196:
	s_or_b32 exec_lo, exec_lo, s1
	ds_write2_b64 v1, v[174:175], v[176:177] offset1:1
.LBB43_197:
	s_or_b32 exec_lo, exec_lo, s2
	s_waitcnt lgkmcnt(0)
	s_barrier
	buffer_gl0_inv
	ds_read2_b64 v[174:177], v1 offset1:1
	s_mov_b32 s1, exec_lo
	v_cmpx_lt_u32_e32 21, v0
	s_cbranch_execz .LBB43_199
; %bb.198:
	s_waitcnt lgkmcnt(0)
	v_mul_f64 v[0:1], v[176:177], v[4:5]
	v_mul_f64 v[4:5], v[174:175], v[4:5]
	v_fma_f64 v[0:1], v[174:175], v[2:3], -v[0:1]
	v_fma_f64 v[4:5], v[176:177], v[2:3], v[4:5]
	v_mov_b32_e32 v3, v1
	v_mov_b32_e32 v2, v0
.LBB43_199:
	s_or_b32 exec_lo, exec_lo, s1
	s_waitcnt lgkmcnt(0)
	s_barrier
	buffer_gl0_inv
	s_and_saveexec_b32 s6, s0
	s_cbranch_execz .LBB43_202
; %bb.200:
	v_lshlrev_b64 v[0:1], 2, v[206:207]
	v_cmp_eq_f64_e64 s0, 0, v[92:93]
	v_cmp_neq_f64_e64 s1, 0, v[94:95]
	v_cmp_neq_f64_e64 s2, 0, v[96:97]
	v_cmp_eq_f64_e64 s3, 0, v[98:99]
	v_cmp_eq_f64_e64 s4, 0, v[100:101]
	v_add_co_u32 v0, vcc_lo, s10, v0
	v_add_co_ci_u32_e64 v1, null, s11, v1, vcc_lo
	v_cmp_eq_f64_e32 vcc_lo, 0, v[90:91]
	v_cmp_eq_f64_e64 s5, 0, v[102:103]
	global_load_dword v206, v[0:1], off
	s_or_b32 s1, s1, s2
	v_cmp_eq_f64_e64 s2, 0, v[108:109]
	s_and_b32 s3, s3, s4
	v_cmp_eq_f64_e64 s4, 0, v[112:113]
	s_and_b32 s0, vcc_lo, s0
	v_cmp_eq_f64_e32 vcc_lo, 0, v[104:105]
	v_cndmask_b32_e64 v90, 0, 1, s0
	s_or_b32 s0, s1, s0
	v_cmp_eq_f64_e64 s1, 0, v[106:107]
	v_cndmask_b32_e64 v90, 2, v90, s0
	v_cmp_eq_u32_e64 s0, 0, v90
	s_and_b32 s0, s3, s0
	v_cmp_eq_f64_e64 s3, 0, v[110:111]
	v_cndmask_b32_e64 v90, v90, 3, s0
	s_and_b32 s5, s5, vcc_lo
	v_cmp_eq_u32_e64 s0, 0, v90
	s_and_b32 s1, s1, s2
	v_cmp_eq_f64_e64 s2, 0, v[120:121]
	s_and_b32 s0, s5, s0
	v_cmp_eq_f64_e64 s5, 0, v[116:117]
	v_cndmask_b32_e64 v90, v90, 4, s0
	v_cmp_eq_f64_e64 s0, 0, v[114:115]
	v_cmp_eq_u32_e32 vcc_lo, 0, v90
	s_and_b32 s3, s3, s4
	s_and_b32 s1, s1, vcc_lo
	v_cmp_eq_f64_e64 s4, 0, v[124:125]
	v_cndmask_b32_e64 v90, v90, 5, s1
	v_cmp_eq_f64_e64 s1, 0, v[118:119]
	v_cmp_eq_u32_e32 vcc_lo, 0, v90
	s_and_b32 s3, s3, vcc_lo
	s_and_b32 s0, s0, s5
	v_cndmask_b32_e64 v90, v90, 6, s3
	v_cmp_eq_f64_e64 s3, 0, v[122:123]
	v_cmp_eq_f64_e64 s5, 0, v[128:129]
	v_cmp_eq_u32_e32 vcc_lo, 0, v90
	s_and_b32 s0, s0, vcc_lo
	s_and_b32 s1, s1, s2
	v_cndmask_b32_e64 v90, v90, 7, s0
	v_cmp_eq_f64_e64 s0, 0, v[126:127]
	;; [unrolled: 6-line block ×14, first 2 shown]
	v_cmp_eq_u32_e32 vcc_lo, 0, v90
	s_and_b32 s1, s1, vcc_lo
	v_cndmask_b32_e64 v90, v90, 20, s1
	s_and_b32 s1, s3, s4
	v_cmp_eq_u32_e32 vcc_lo, 0, v90
	s_and_b32 s1, s1, vcc_lo
	s_and_b32 s0, s0, s5
	v_cndmask_b32_e64 v90, v90, 21, s1
	v_cmp_eq_u32_e32 vcc_lo, 0, v90
	s_and_b32 s0, s0, vcc_lo
	v_cndmask_b32_e64 v90, v90, 22, s0
	v_cmp_ne_u32_e64 s0, 0, v90
	s_waitcnt vmcnt(0)
	v_cmp_eq_u32_e32 vcc_lo, 0, v206
	s_and_b32 s0, vcc_lo, s0
	s_and_b32 exec_lo, exec_lo, s0
	s_cbranch_execz .LBB43_202
; %bb.201:
	v_add_nc_u32_e32 v90, s13, v90
	global_store_dword v[0:1], v90, off
.LBB43_202:
	s_or_b32 exec_lo, exec_lo, s6
	global_store_dwordx4 v[184:185], v[86:89], off
	global_store_dwordx4 v[186:187], v[82:85], off
	;; [unrolled: 1-line block ×22, first 2 shown]
.LBB43_203:
	s_endpgm
	.section	.rodata,"a",@progbits
	.p2align	6, 0x0
	.amdhsa_kernel _ZN9rocsolver6v33100L23getf2_npvt_small_kernelILi22E19rocblas_complex_numIdEiiPS3_EEvT1_T3_lS5_lPT2_S5_S5_
		.amdhsa_group_segment_fixed_size 0
		.amdhsa_private_segment_fixed_size 0
		.amdhsa_kernarg_size 312
		.amdhsa_user_sgpr_count 6
		.amdhsa_user_sgpr_private_segment_buffer 1
		.amdhsa_user_sgpr_dispatch_ptr 0
		.amdhsa_user_sgpr_queue_ptr 0
		.amdhsa_user_sgpr_kernarg_segment_ptr 1
		.amdhsa_user_sgpr_dispatch_id 0
		.amdhsa_user_sgpr_flat_scratch_init 0
		.amdhsa_user_sgpr_private_segment_size 0
		.amdhsa_wavefront_size32 1
		.amdhsa_uses_dynamic_stack 0
		.amdhsa_system_sgpr_private_segment_wavefront_offset 0
		.amdhsa_system_sgpr_workgroup_id_x 1
		.amdhsa_system_sgpr_workgroup_id_y 1
		.amdhsa_system_sgpr_workgroup_id_z 0
		.amdhsa_system_sgpr_workgroup_info 0
		.amdhsa_system_vgpr_workitem_id 1
		.amdhsa_next_free_vgpr 253
		.amdhsa_next_free_sgpr 15
		.amdhsa_reserve_vcc 1
		.amdhsa_reserve_flat_scratch 0
		.amdhsa_float_round_mode_32 0
		.amdhsa_float_round_mode_16_64 0
		.amdhsa_float_denorm_mode_32 3
		.amdhsa_float_denorm_mode_16_64 3
		.amdhsa_dx10_clamp 1
		.amdhsa_ieee_mode 1
		.amdhsa_fp16_overflow 0
		.amdhsa_workgroup_processor_mode 1
		.amdhsa_memory_ordered 1
		.amdhsa_forward_progress 1
		.amdhsa_shared_vgpr_count 0
		.amdhsa_exception_fp_ieee_invalid_op 0
		.amdhsa_exception_fp_denorm_src 0
		.amdhsa_exception_fp_ieee_div_zero 0
		.amdhsa_exception_fp_ieee_overflow 0
		.amdhsa_exception_fp_ieee_underflow 0
		.amdhsa_exception_fp_ieee_inexact 0
		.amdhsa_exception_int_div_zero 0
	.end_amdhsa_kernel
	.section	.text._ZN9rocsolver6v33100L23getf2_npvt_small_kernelILi22E19rocblas_complex_numIdEiiPS3_EEvT1_T3_lS5_lPT2_S5_S5_,"axG",@progbits,_ZN9rocsolver6v33100L23getf2_npvt_small_kernelILi22E19rocblas_complex_numIdEiiPS3_EEvT1_T3_lS5_lPT2_S5_S5_,comdat
.Lfunc_end43:
	.size	_ZN9rocsolver6v33100L23getf2_npvt_small_kernelILi22E19rocblas_complex_numIdEiiPS3_EEvT1_T3_lS5_lPT2_S5_S5_, .Lfunc_end43-_ZN9rocsolver6v33100L23getf2_npvt_small_kernelILi22E19rocblas_complex_numIdEiiPS3_EEvT1_T3_lS5_lPT2_S5_S5_
                                        ; -- End function
	.set _ZN9rocsolver6v33100L23getf2_npvt_small_kernelILi22E19rocblas_complex_numIdEiiPS3_EEvT1_T3_lS5_lPT2_S5_S5_.num_vgpr, 253
	.set _ZN9rocsolver6v33100L23getf2_npvt_small_kernelILi22E19rocblas_complex_numIdEiiPS3_EEvT1_T3_lS5_lPT2_S5_S5_.num_agpr, 0
	.set _ZN9rocsolver6v33100L23getf2_npvt_small_kernelILi22E19rocblas_complex_numIdEiiPS3_EEvT1_T3_lS5_lPT2_S5_S5_.numbered_sgpr, 15
	.set _ZN9rocsolver6v33100L23getf2_npvt_small_kernelILi22E19rocblas_complex_numIdEiiPS3_EEvT1_T3_lS5_lPT2_S5_S5_.num_named_barrier, 0
	.set _ZN9rocsolver6v33100L23getf2_npvt_small_kernelILi22E19rocblas_complex_numIdEiiPS3_EEvT1_T3_lS5_lPT2_S5_S5_.private_seg_size, 0
	.set _ZN9rocsolver6v33100L23getf2_npvt_small_kernelILi22E19rocblas_complex_numIdEiiPS3_EEvT1_T3_lS5_lPT2_S5_S5_.uses_vcc, 1
	.set _ZN9rocsolver6v33100L23getf2_npvt_small_kernelILi22E19rocblas_complex_numIdEiiPS3_EEvT1_T3_lS5_lPT2_S5_S5_.uses_flat_scratch, 0
	.set _ZN9rocsolver6v33100L23getf2_npvt_small_kernelILi22E19rocblas_complex_numIdEiiPS3_EEvT1_T3_lS5_lPT2_S5_S5_.has_dyn_sized_stack, 0
	.set _ZN9rocsolver6v33100L23getf2_npvt_small_kernelILi22E19rocblas_complex_numIdEiiPS3_EEvT1_T3_lS5_lPT2_S5_S5_.has_recursion, 0
	.set _ZN9rocsolver6v33100L23getf2_npvt_small_kernelILi22E19rocblas_complex_numIdEiiPS3_EEvT1_T3_lS5_lPT2_S5_S5_.has_indirect_call, 0
	.section	.AMDGPU.csdata,"",@progbits
; Kernel info:
; codeLenInByte = 30560
; TotalNumSgprs: 17
; NumVgprs: 253
; ScratchSize: 0
; MemoryBound: 1
; FloatMode: 240
; IeeeMode: 1
; LDSByteSize: 0 bytes/workgroup (compile time only)
; SGPRBlocks: 0
; VGPRBlocks: 31
; NumSGPRsForWavesPerEU: 17
; NumVGPRsForWavesPerEU: 253
; Occupancy: 4
; WaveLimiterHint : 0
; COMPUTE_PGM_RSRC2:SCRATCH_EN: 0
; COMPUTE_PGM_RSRC2:USER_SGPR: 6
; COMPUTE_PGM_RSRC2:TRAP_HANDLER: 0
; COMPUTE_PGM_RSRC2:TGID_X_EN: 1
; COMPUTE_PGM_RSRC2:TGID_Y_EN: 1
; COMPUTE_PGM_RSRC2:TGID_Z_EN: 0
; COMPUTE_PGM_RSRC2:TIDIG_COMP_CNT: 1
	.section	.text._ZN9rocsolver6v33100L18getf2_small_kernelILi23E19rocblas_complex_numIdEiiPS3_EEvT1_T3_lS5_lPS5_llPT2_S5_S5_S7_l,"axG",@progbits,_ZN9rocsolver6v33100L18getf2_small_kernelILi23E19rocblas_complex_numIdEiiPS3_EEvT1_T3_lS5_lPS5_llPT2_S5_S5_S7_l,comdat
	.globl	_ZN9rocsolver6v33100L18getf2_small_kernelILi23E19rocblas_complex_numIdEiiPS3_EEvT1_T3_lS5_lPS5_llPT2_S5_S5_S7_l ; -- Begin function _ZN9rocsolver6v33100L18getf2_small_kernelILi23E19rocblas_complex_numIdEiiPS3_EEvT1_T3_lS5_lPS5_llPT2_S5_S5_S7_l
	.p2align	8
	.type	_ZN9rocsolver6v33100L18getf2_small_kernelILi23E19rocblas_complex_numIdEiiPS3_EEvT1_T3_lS5_lPS5_llPT2_S5_S5_S7_l,@function
_ZN9rocsolver6v33100L18getf2_small_kernelILi23E19rocblas_complex_numIdEiiPS3_EEvT1_T3_lS5_lPS5_llPT2_S5_S5_S7_l: ; @_ZN9rocsolver6v33100L18getf2_small_kernelILi23E19rocblas_complex_numIdEiiPS3_EEvT1_T3_lS5_lPS5_llPT2_S5_S5_S7_l
; %bb.0:
	s_clause 0x1
	s_load_dword s0, s[4:5], 0x6c
	s_load_dwordx2 s[16:17], s[4:5], 0x48
	s_waitcnt lgkmcnt(0)
	s_lshr_b32 s0, s0, 16
	v_mad_u64_u32 v[98:99], null, s7, s0, v[1:2]
	s_mov_b32 s0, exec_lo
	v_cmpx_gt_i32_e64 s16, v98
	s_cbranch_execz .LBB44_486
; %bb.1:
	s_load_dwordx4 s[0:3], s[4:5], 0x50
	v_mov_b32_e32 v100, 0
	v_ashrrev_i32_e32 v99, 31, v98
	v_mov_b32_e32 v101, 0
	s_waitcnt lgkmcnt(0)
	s_cmp_eq_u64 s[0:1], 0
	s_cselect_b32 s16, -1, 0
	s_and_b32 vcc_lo, exec_lo, s16
	s_cbranch_vccnz .LBB44_3
; %bb.2:
	v_mul_lo_u32 v4, s3, v98
	v_mul_lo_u32 v5, s2, v99
	v_mad_u64_u32 v[2:3], null, s2, v98, 0
	v_add3_u32 v3, v3, v5, v4
	v_lshlrev_b64 v[2:3], 2, v[2:3]
	v_add_co_u32 v100, vcc_lo, s0, v2
	v_add_co_ci_u32_e64 v101, null, s1, v3, vcc_lo
.LBB44_3:
	s_clause 0x2
	s_load_dwordx8 s[8:15], s[4:5], 0x20
	s_load_dword s6, s[4:5], 0x18
	s_load_dwordx4 s[0:3], s[4:5], 0x8
	v_lshlrev_b32_e32 v104, 4, v0
	s_clause 0x1
	s_load_dword s18, s[4:5], 0x0
	s_load_dwordx2 s[4:5], s[4:5], 0x40
	s_waitcnt lgkmcnt(0)
	v_mul_lo_u32 v5, s9, v98
	v_mul_lo_u32 v7, s8, v99
	v_mad_u64_u32 v[2:3], null, s8, v98, 0
	v_add3_u32 v4, s6, s6, v0
	s_lshl_b64 s[2:3], s[2:3], 4
	s_ashr_i32 s7, s6, 31
	s_lshl_b64 s[8:9], s[6:7], 4
	v_add_nc_u32_e32 v6, s6, v4
	v_add3_u32 v3, v3, v7, v5
	v_ashrrev_i32_e32 v5, 31, v4
	v_add_nc_u32_e32 v8, s6, v6
	v_lshlrev_b64 v[2:3], 4, v[2:3]
	v_ashrrev_i32_e32 v7, 31, v6
	v_lshlrev_b64 v[4:5], 4, v[4:5]
	v_add_nc_u32_e32 v10, s6, v8
	v_ashrrev_i32_e32 v9, 31, v8
	v_add_co_u32 v12, vcc_lo, s0, v2
	v_add_co_ci_u32_e64 v3, null, s1, v3, vcc_lo
	v_add_nc_u32_e32 v2, s6, v10
	v_add_co_u32 v105, vcc_lo, v12, s2
	v_ashrrev_i32_e32 v11, 31, v10
	v_add_co_ci_u32_e64 v106, null, s3, v3, vcc_lo
	v_lshlrev_b64 v[6:7], 4, v[6:7]
	v_lshlrev_b64 v[8:9], 4, v[8:9]
	v_add_co_u32 v14, vcc_lo, v105, v104
	v_add_nc_u32_e32 v12, s6, v2
	v_lshlrev_b64 v[10:11], 4, v[10:11]
	v_add_co_ci_u32_e64 v15, null, 0, v106, vcc_lo
	v_add_co_u32 v4, vcc_lo, v105, v4
	v_add_co_ci_u32_e64 v5, null, v106, v5, vcc_lo
	v_add_co_u32 v6, vcc_lo, v105, v6
	;; [unrolled: 2-line block ×3, first 2 shown]
	v_add_nc_u32_e32 v16, s6, v12
	v_add_co_ci_u32_e64 v9, null, v106, v9, vcc_lo
	v_add_co_u32 v10, vcc_lo, v105, v10
	v_add_co_ci_u32_e64 v11, null, v106, v11, vcc_lo
	v_add_co_u32 v18, vcc_lo, v14, s8
	v_ashrrev_i32_e32 v17, 31, v16
	v_add_nc_u32_e32 v20, s6, v16
	v_add_co_ci_u32_e64 v19, null, s9, v15, vcc_lo
	s_clause 0x1
	global_load_dwordx4 v[74:77], v[14:15], off
	global_load_dwordx4 v[70:73], v[18:19], off
	v_lshlrev_b64 v[14:15], 4, v[16:17]
	v_ashrrev_i32_e32 v21, 31, v20
	v_add_nc_u32_e32 v16, s6, v20
	v_ashrrev_i32_e32 v3, 31, v2
	v_ashrrev_i32_e32 v13, 31, v12
	s_max_i32 s0, s18, 23
	v_lshlrev_b64 v[18:19], 4, v[20:21]
	v_add_nc_u32_e32 v20, s6, v16
	v_lshlrev_b64 v[2:3], 4, v[2:3]
	v_lshlrev_b64 v[12:13], 4, v[12:13]
	v_ashrrev_i32_e32 v17, 31, v16
	s_cmp_lt_i32 s18, 2
	v_add_nc_u32_e32 v22, s6, v20
	v_ashrrev_i32_e32 v21, 31, v20
	v_add_co_u32 v2, vcc_lo, v105, v2
	v_add_co_ci_u32_e64 v3, null, v106, v3, vcc_lo
	v_add_nc_u32_e32 v24, s6, v22
	v_ashrrev_i32_e32 v23, 31, v22
	v_add_co_u32 v12, vcc_lo, v105, v12
	v_lshlrev_b64 v[16:17], 4, v[16:17]
	v_add_nc_u32_e32 v26, s6, v24
	v_ashrrev_i32_e32 v25, 31, v24
	v_add_co_ci_u32_e64 v13, null, v106, v13, vcc_lo
	v_add_co_u32 v14, vcc_lo, v105, v14
	v_add_nc_u32_e32 v28, s6, v26
	v_lshlrev_b64 v[20:21], 4, v[20:21]
	v_ashrrev_i32_e32 v27, 31, v26
	v_add_co_ci_u32_e64 v15, null, v106, v15, vcc_lo
	v_add_nc_u32_e32 v30, s6, v28
	v_add_co_u32 v18, vcc_lo, v105, v18
	v_lshlrev_b64 v[22:23], 4, v[22:23]
	v_ashrrev_i32_e32 v29, 31, v28
	v_add_nc_u32_e32 v32, s6, v30
	v_add_co_ci_u32_e64 v19, null, v106, v19, vcc_lo
	v_add_co_u32 v16, vcc_lo, v105, v16
	v_lshlrev_b64 v[24:25], 4, v[24:25]
	v_ashrrev_i32_e32 v31, 31, v30
	v_add_co_ci_u32_e64 v17, null, v106, v17, vcc_lo
	v_add_co_u32 v20, vcc_lo, v105, v20
	v_lshlrev_b64 v[26:27], 4, v[26:27]
	v_add_co_ci_u32_e64 v21, null, v106, v21, vcc_lo
	v_add_co_u32 v22, vcc_lo, v105, v22
	v_lshlrev_b64 v[28:29], 4, v[28:29]
	v_add_nc_u32_e32 v34, s6, v32
	v_add_co_ci_u32_e64 v23, null, v106, v23, vcc_lo
	v_add_co_u32 v24, vcc_lo, v105, v24
	v_lshlrev_b64 v[30:31], 4, v[30:31]
	v_ashrrev_i32_e32 v33, 31, v32
	v_add_co_ci_u32_e64 v25, null, v106, v25, vcc_lo
	v_add_co_u32 v26, vcc_lo, v105, v26
	v_ashrrev_i32_e32 v35, 31, v34
	v_add_nc_u32_e32 v36, s6, v34
	v_add_co_ci_u32_e64 v27, null, v106, v27, vcc_lo
	v_add_co_u32 v28, vcc_lo, v105, v28
	v_lshlrev_b64 v[32:33], 4, v[32:33]
	v_add_co_ci_u32_e64 v29, null, v106, v29, vcc_lo
	v_add_co_u32 v94, vcc_lo, v105, v30
	v_add_co_ci_u32_e64 v95, null, v106, v31, vcc_lo
	v_lshlrev_b64 v[30:31], 4, v[34:35]
	v_ashrrev_i32_e32 v37, 31, v36
	v_add_nc_u32_e32 v34, s6, v36
	v_add_co_u32 v96, vcc_lo, v105, v32
	v_add_co_ci_u32_e64 v97, null, v106, v33, vcc_lo
	v_lshlrev_b64 v[32:33], 4, v[36:37]
	v_ashrrev_i32_e32 v35, 31, v34
	v_add_nc_u32_e32 v36, s6, v34
	v_add_co_u32 v102, vcc_lo, v105, v30
	v_add_co_ci_u32_e64 v103, null, v106, v31, vcc_lo
	v_lshlrev_b64 v[30:31], 4, v[34:35]
	v_add_nc_u32_e32 v34, s6, v36
	v_ashrrev_i32_e32 v37, 31, v36
	v_add_co_u32 v107, vcc_lo, v105, v32
	v_add_co_ci_u32_e64 v108, null, v106, v33, vcc_lo
	v_ashrrev_i32_e32 v35, 31, v34
	v_lshlrev_b64 v[32:33], 4, v[36:37]
	v_add_co_u32 v109, vcc_lo, v105, v30
	v_add_co_ci_u32_e64 v110, null, v106, v31, vcc_lo
	v_lshlrev_b64 v[30:31], 4, v[34:35]
	v_add_co_u32 v111, vcc_lo, v105, v32
	v_add_co_ci_u32_e64 v112, null, v106, v33, vcc_lo
	v_add_co_u32 v113, vcc_lo, v105, v30
	v_add_co_ci_u32_e64 v114, null, v106, v31, vcc_lo
	s_clause 0x14
	global_load_dwordx4 v[90:93], v[4:5], off
	global_load_dwordx4 v[86:89], v[6:7], off
	;; [unrolled: 1-line block ×21, first 2 shown]
	v_mul_lo_u32 v102, s0, v1
	v_lshl_add_u32 v1, v102, 4, 0
	v_add_nc_u32_e32 v94, v1, v104
	v_lshlrev_b32_e32 v104, 4, v102
	v_mov_b32_e32 v102, 0
	s_waitcnt vmcnt(22)
	ds_write2_b64 v94, v[74:75], v[76:77] offset1:1
	s_waitcnt vmcnt(0) lgkmcnt(0)
	s_barrier
	buffer_gl0_inv
	ds_read2_b64 v[94:97], v1 offset1:1
	s_cbranch_scc1 .LBB44_6
; %bb.4:
	v_add3_u32 v103, v104, 0, 16
	v_mov_b32_e32 v102, 0
	s_mov_b32 s3, 1
	s_inst_prefetch 0x1
	.p2align	6
.LBB44_5:                               ; =>This Inner Loop Header: Depth=1
	ds_read2_b64 v[107:110], v103 offset1:1
	s_waitcnt lgkmcnt(1)
	v_cmp_gt_f64_e32 vcc_lo, 0, v[94:95]
	v_cmp_gt_f64_e64 s0, 0, v[96:97]
	v_xor_b32_e32 v112, 0x80000000, v95
	v_xor_b32_e32 v114, 0x80000000, v97
	v_mov_b32_e32 v111, v94
	v_mov_b32_e32 v113, v96
	v_add_nc_u32_e32 v103, 16, v103
	s_waitcnt lgkmcnt(0)
	v_cmp_gt_f64_e64 s1, 0, v[107:108]
	v_cmp_gt_f64_e64 s2, 0, v[109:110]
	v_xor_b32_e32 v116, 0x80000000, v108
	v_xor_b32_e32 v118, 0x80000000, v110
	v_mov_b32_e32 v115, v107
	v_mov_b32_e32 v117, v109
	v_cndmask_b32_e32 v112, v95, v112, vcc_lo
	v_cndmask_b32_e64 v114, v97, v114, s0
	v_add_f64 v[111:112], v[111:112], v[113:114]
	v_cndmask_b32_e64 v116, v108, v116, s1
	v_cndmask_b32_e64 v118, v110, v118, s2
	v_add_f64 v[113:114], v[115:116], v[117:118]
	v_cmp_lt_f64_e32 vcc_lo, v[111:112], v[113:114]
	v_cndmask_b32_e32 v95, v95, v108, vcc_lo
	v_cndmask_b32_e32 v94, v94, v107, vcc_lo
	;; [unrolled: 1-line block ×4, first 2 shown]
	v_cndmask_b32_e64 v102, v102, s3, vcc_lo
	s_add_i32 s3, s3, 1
	s_cmp_eq_u32 s18, s3
	s_cbranch_scc0 .LBB44_5
.LBB44_6:
	s_inst_prefetch 0x2
	s_waitcnt lgkmcnt(0)
	v_cmp_neq_f64_e32 vcc_lo, 0, v[94:95]
	v_cmp_neq_f64_e64 s0, 0, v[96:97]
	v_mov_b32_e32 v107, 1
	v_mov_b32_e32 v109, 1
	s_or_b32 s1, vcc_lo, s0
	s_and_saveexec_b32 s0, s1
	s_cbranch_execz .LBB44_12
; %bb.7:
	v_cmp_ngt_f64_e64 s1, |v[94:95]|, |v[96:97]|
	s_and_saveexec_b32 s2, s1
	s_xor_b32 s1, exec_lo, s2
	s_cbranch_execz .LBB44_9
; %bb.8:
	v_div_scale_f64 v[107:108], null, v[96:97], v[96:97], v[94:95]
	v_div_scale_f64 v[113:114], vcc_lo, v[94:95], v[96:97], v[94:95]
	v_rcp_f64_e32 v[109:110], v[107:108]
	v_fma_f64 v[111:112], -v[107:108], v[109:110], 1.0
	v_fma_f64 v[109:110], v[109:110], v[111:112], v[109:110]
	v_fma_f64 v[111:112], -v[107:108], v[109:110], 1.0
	v_fma_f64 v[109:110], v[109:110], v[111:112], v[109:110]
	v_mul_f64 v[111:112], v[113:114], v[109:110]
	v_fma_f64 v[107:108], -v[107:108], v[111:112], v[113:114]
	v_div_fmas_f64 v[107:108], v[107:108], v[109:110], v[111:112]
	v_div_fixup_f64 v[107:108], v[107:108], v[96:97], v[94:95]
	v_fma_f64 v[94:95], v[94:95], v[107:108], v[96:97]
	v_div_scale_f64 v[96:97], null, v[94:95], v[94:95], 1.0
	v_rcp_f64_e32 v[109:110], v[96:97]
	v_fma_f64 v[111:112], -v[96:97], v[109:110], 1.0
	v_fma_f64 v[109:110], v[109:110], v[111:112], v[109:110]
	v_fma_f64 v[111:112], -v[96:97], v[109:110], 1.0
	v_fma_f64 v[109:110], v[109:110], v[111:112], v[109:110]
	v_div_scale_f64 v[111:112], vcc_lo, 1.0, v[94:95], 1.0
	v_mul_f64 v[113:114], v[111:112], v[109:110]
	v_fma_f64 v[96:97], -v[96:97], v[113:114], v[111:112]
	v_div_fmas_f64 v[96:97], v[96:97], v[109:110], v[113:114]
	v_div_fixup_f64 v[96:97], v[96:97], v[94:95], 1.0
	v_mul_f64 v[94:95], v[107:108], v[96:97]
	v_xor_b32_e32 v97, 0x80000000, v97
.LBB44_9:
	s_andn2_saveexec_b32 s1, s1
	s_cbranch_execz .LBB44_11
; %bb.10:
	v_div_scale_f64 v[107:108], null, v[94:95], v[94:95], v[96:97]
	v_div_scale_f64 v[113:114], vcc_lo, v[96:97], v[94:95], v[96:97]
	v_rcp_f64_e32 v[109:110], v[107:108]
	v_fma_f64 v[111:112], -v[107:108], v[109:110], 1.0
	v_fma_f64 v[109:110], v[109:110], v[111:112], v[109:110]
	v_fma_f64 v[111:112], -v[107:108], v[109:110], 1.0
	v_fma_f64 v[109:110], v[109:110], v[111:112], v[109:110]
	v_mul_f64 v[111:112], v[113:114], v[109:110]
	v_fma_f64 v[107:108], -v[107:108], v[111:112], v[113:114]
	v_div_fmas_f64 v[107:108], v[107:108], v[109:110], v[111:112]
	v_div_fixup_f64 v[107:108], v[107:108], v[94:95], v[96:97]
	v_fma_f64 v[94:95], v[96:97], v[107:108], v[94:95]
	v_div_scale_f64 v[96:97], null, v[94:95], v[94:95], 1.0
	v_rcp_f64_e32 v[109:110], v[96:97]
	v_fma_f64 v[111:112], -v[96:97], v[109:110], 1.0
	v_fma_f64 v[109:110], v[109:110], v[111:112], v[109:110]
	v_fma_f64 v[111:112], -v[96:97], v[109:110], 1.0
	v_fma_f64 v[109:110], v[109:110], v[111:112], v[109:110]
	v_div_scale_f64 v[111:112], vcc_lo, 1.0, v[94:95], 1.0
	v_mul_f64 v[113:114], v[111:112], v[109:110]
	v_fma_f64 v[96:97], -v[96:97], v[113:114], v[111:112]
	v_div_fmas_f64 v[96:97], v[96:97], v[109:110], v[113:114]
	v_div_fixup_f64 v[94:95], v[96:97], v[94:95], 1.0
	v_mul_f64 v[96:97], v[107:108], -v[94:95]
.LBB44_11:
	s_or_b32 exec_lo, exec_lo, s1
	v_mov_b32_e32 v109, 0
	v_mov_b32_e32 v107, 2
.LBB44_12:
	s_or_b32 exec_lo, exec_lo, s0
	s_mov_b32 s0, exec_lo
	v_cmpx_ne_u32_e64 v0, v102
	s_xor_b32 s0, exec_lo, s0
	s_cbranch_execz .LBB44_18
; %bb.13:
	s_mov_b32 s1, exec_lo
	v_cmpx_eq_u32_e32 0, v0
	s_cbranch_execz .LBB44_17
; %bb.14:
	v_cmp_ne_u32_e32 vcc_lo, 0, v102
	s_xor_b32 s2, s16, -1
	s_and_b32 s3, s2, vcc_lo
	s_and_saveexec_b32 s2, s3
	s_cbranch_execz .LBB44_16
; %bb.15:
	v_ashrrev_i32_e32 v103, 31, v102
	v_lshlrev_b64 v[110:111], 2, v[102:103]
	v_add_co_u32 v110, vcc_lo, v100, v110
	v_add_co_ci_u32_e64 v111, null, v101, v111, vcc_lo
	s_clause 0x1
	global_load_dword v0, v[110:111], off
	global_load_dword v103, v[100:101], off
	s_waitcnt vmcnt(1)
	global_store_dword v[100:101], v0, off
	s_waitcnt vmcnt(0)
	global_store_dword v[110:111], v103, off
.LBB44_16:
	s_or_b32 exec_lo, exec_lo, s2
	v_mov_b32_e32 v0, v102
.LBB44_17:
	s_or_b32 exec_lo, exec_lo, s1
.LBB44_18:
	s_or_saveexec_b32 s0, s0
	v_mov_b32_e32 v108, v0
	s_xor_b32 exec_lo, exec_lo, s0
	s_cbranch_execz .LBB44_20
; %bb.19:
	v_mov_b32_e32 v108, 0
	ds_write2_b64 v1, v[70:71], v[72:73] offset0:2 offset1:3
	ds_write2_b64 v1, v[90:91], v[92:93] offset0:4 offset1:5
	;; [unrolled: 1-line block ×22, first 2 shown]
.LBB44_20:
	s_or_b32 exec_lo, exec_lo, s0
	s_mov_b32 s0, exec_lo
	s_waitcnt lgkmcnt(0)
	s_waitcnt_vscnt null, 0x0
	s_barrier
	buffer_gl0_inv
	v_cmpx_lt_i32_e32 0, v108
	s_cbranch_execz .LBB44_22
; %bb.21:
	v_mul_f64 v[102:103], v[96:97], v[76:77]
	v_mul_f64 v[76:77], v[94:95], v[76:77]
	v_fma_f64 v[102:103], v[94:95], v[74:75], -v[102:103]
	v_fma_f64 v[76:77], v[96:97], v[74:75], v[76:77]
	ds_read2_b64 v[94:97], v1 offset0:2 offset1:3
	s_waitcnt lgkmcnt(0)
	v_mul_f64 v[74:75], v[96:97], v[76:77]
	v_fma_f64 v[74:75], v[94:95], v[102:103], -v[74:75]
	v_mul_f64 v[94:95], v[94:95], v[76:77]
	v_add_f64 v[70:71], v[70:71], -v[74:75]
	v_fma_f64 v[94:95], v[96:97], v[102:103], v[94:95]
	v_add_f64 v[72:73], v[72:73], -v[94:95]
	ds_read2_b64 v[94:97], v1 offset0:4 offset1:5
	s_waitcnt lgkmcnt(0)
	v_mul_f64 v[74:75], v[96:97], v[76:77]
	v_fma_f64 v[74:75], v[94:95], v[102:103], -v[74:75]
	v_mul_f64 v[94:95], v[94:95], v[76:77]
	v_add_f64 v[90:91], v[90:91], -v[74:75]
	v_fma_f64 v[94:95], v[96:97], v[102:103], v[94:95]
	v_add_f64 v[92:93], v[92:93], -v[94:95]
	;; [unrolled: 8-line block ×21, first 2 shown]
	ds_read2_b64 v[94:97], v1 offset0:44 offset1:45
	s_waitcnt lgkmcnt(0)
	v_mul_f64 v[74:75], v[96:97], v[76:77]
	v_fma_f64 v[74:75], v[94:95], v[102:103], -v[74:75]
	v_mul_f64 v[94:95], v[94:95], v[76:77]
	v_add_f64 v[2:3], v[2:3], -v[74:75]
	v_fma_f64 v[94:95], v[96:97], v[102:103], v[94:95]
	v_mov_b32_e32 v74, v102
	v_mov_b32_e32 v75, v103
	v_add_f64 v[4:5], v[4:5], -v[94:95]
.LBB44_22:
	s_or_b32 exec_lo, exec_lo, s0
	v_lshl_add_u32 v94, v108, 4, v1
	s_barrier
	buffer_gl0_inv
	v_mov_b32_e32 v102, 1
	ds_write2_b64 v94, v[70:71], v[72:73] offset1:1
	s_waitcnt lgkmcnt(0)
	s_barrier
	buffer_gl0_inv
	ds_read2_b64 v[94:97], v1 offset0:2 offset1:3
	s_cmp_lt_i32 s18, 3
	s_cbranch_scc1 .LBB44_25
; %bb.23:
	v_add3_u32 v103, v104, 0, 32
	v_mov_b32_e32 v102, 1
	s_mov_b32 s1, 2
	s_inst_prefetch 0x1
	.p2align	6
.LBB44_24:                              ; =>This Inner Loop Header: Depth=1
	s_waitcnt lgkmcnt(0)
	v_cmp_gt_f64_e32 vcc_lo, 0, v[96:97]
	v_cmp_gt_f64_e64 s0, 0, v[94:95]
	ds_read2_b64 v[110:113], v103 offset1:1
	v_xor_b32_e32 v115, 0x80000000, v95
	v_xor_b32_e32 v117, 0x80000000, v97
	v_mov_b32_e32 v114, v94
	v_mov_b32_e32 v116, v96
	v_add_nc_u32_e32 v103, 16, v103
	s_waitcnt lgkmcnt(0)
	v_xor_b32_e32 v119, 0x80000000, v113
	v_cndmask_b32_e64 v115, v95, v115, s0
	v_cndmask_b32_e32 v117, v97, v117, vcc_lo
	v_cmp_gt_f64_e32 vcc_lo, 0, v[112:113]
	v_cmp_gt_f64_e64 s0, 0, v[110:111]
	v_mov_b32_e32 v118, v112
	v_add_f64 v[114:115], v[114:115], v[116:117]
	v_xor_b32_e32 v117, 0x80000000, v111
	v_mov_b32_e32 v116, v110
	v_cndmask_b32_e32 v119, v113, v119, vcc_lo
	v_cndmask_b32_e64 v117, v111, v117, s0
	v_add_f64 v[116:117], v[116:117], v[118:119]
	v_cmp_lt_f64_e32 vcc_lo, v[114:115], v[116:117]
	v_cndmask_b32_e32 v95, v95, v111, vcc_lo
	v_cndmask_b32_e32 v94, v94, v110, vcc_lo
	;; [unrolled: 1-line block ×4, first 2 shown]
	v_cndmask_b32_e64 v102, v102, s1, vcc_lo
	s_add_i32 s1, s1, 1
	s_cmp_lg_u32 s18, s1
	s_cbranch_scc1 .LBB44_24
.LBB44_25:
	s_inst_prefetch 0x2
	s_waitcnt lgkmcnt(0)
	v_cmp_neq_f64_e32 vcc_lo, 0, v[94:95]
	v_cmp_neq_f64_e64 s0, 0, v[96:97]
	s_or_b32 s1, vcc_lo, s0
	s_and_saveexec_b32 s0, s1
	s_cbranch_execz .LBB44_31
; %bb.26:
	v_cmp_ngt_f64_e64 s1, |v[94:95]|, |v[96:97]|
	s_and_saveexec_b32 s2, s1
	s_xor_b32 s1, exec_lo, s2
	s_cbranch_execz .LBB44_28
; %bb.27:
	v_div_scale_f64 v[110:111], null, v[96:97], v[96:97], v[94:95]
	v_div_scale_f64 v[116:117], vcc_lo, v[94:95], v[96:97], v[94:95]
	v_rcp_f64_e32 v[112:113], v[110:111]
	v_fma_f64 v[114:115], -v[110:111], v[112:113], 1.0
	v_fma_f64 v[112:113], v[112:113], v[114:115], v[112:113]
	v_fma_f64 v[114:115], -v[110:111], v[112:113], 1.0
	v_fma_f64 v[112:113], v[112:113], v[114:115], v[112:113]
	v_mul_f64 v[114:115], v[116:117], v[112:113]
	v_fma_f64 v[110:111], -v[110:111], v[114:115], v[116:117]
	v_div_fmas_f64 v[110:111], v[110:111], v[112:113], v[114:115]
	v_div_fixup_f64 v[110:111], v[110:111], v[96:97], v[94:95]
	v_fma_f64 v[94:95], v[94:95], v[110:111], v[96:97]
	v_div_scale_f64 v[96:97], null, v[94:95], v[94:95], 1.0
	v_rcp_f64_e32 v[112:113], v[96:97]
	v_fma_f64 v[114:115], -v[96:97], v[112:113], 1.0
	v_fma_f64 v[112:113], v[112:113], v[114:115], v[112:113]
	v_fma_f64 v[114:115], -v[96:97], v[112:113], 1.0
	v_fma_f64 v[112:113], v[112:113], v[114:115], v[112:113]
	v_div_scale_f64 v[114:115], vcc_lo, 1.0, v[94:95], 1.0
	v_mul_f64 v[116:117], v[114:115], v[112:113]
	v_fma_f64 v[96:97], -v[96:97], v[116:117], v[114:115]
	v_div_fmas_f64 v[96:97], v[96:97], v[112:113], v[116:117]
	v_div_fixup_f64 v[96:97], v[96:97], v[94:95], 1.0
	v_mul_f64 v[94:95], v[110:111], v[96:97]
	v_xor_b32_e32 v97, 0x80000000, v97
.LBB44_28:
	s_andn2_saveexec_b32 s1, s1
	s_cbranch_execz .LBB44_30
; %bb.29:
	v_div_scale_f64 v[110:111], null, v[94:95], v[94:95], v[96:97]
	v_div_scale_f64 v[116:117], vcc_lo, v[96:97], v[94:95], v[96:97]
	v_rcp_f64_e32 v[112:113], v[110:111]
	v_fma_f64 v[114:115], -v[110:111], v[112:113], 1.0
	v_fma_f64 v[112:113], v[112:113], v[114:115], v[112:113]
	v_fma_f64 v[114:115], -v[110:111], v[112:113], 1.0
	v_fma_f64 v[112:113], v[112:113], v[114:115], v[112:113]
	v_mul_f64 v[114:115], v[116:117], v[112:113]
	v_fma_f64 v[110:111], -v[110:111], v[114:115], v[116:117]
	v_div_fmas_f64 v[110:111], v[110:111], v[112:113], v[114:115]
	v_div_fixup_f64 v[110:111], v[110:111], v[94:95], v[96:97]
	v_fma_f64 v[94:95], v[96:97], v[110:111], v[94:95]
	v_div_scale_f64 v[96:97], null, v[94:95], v[94:95], 1.0
	v_rcp_f64_e32 v[112:113], v[96:97]
	v_fma_f64 v[114:115], -v[96:97], v[112:113], 1.0
	v_fma_f64 v[112:113], v[112:113], v[114:115], v[112:113]
	v_fma_f64 v[114:115], -v[96:97], v[112:113], 1.0
	v_fma_f64 v[112:113], v[112:113], v[114:115], v[112:113]
	v_div_scale_f64 v[114:115], vcc_lo, 1.0, v[94:95], 1.0
	v_mul_f64 v[116:117], v[114:115], v[112:113]
	v_fma_f64 v[96:97], -v[96:97], v[116:117], v[114:115]
	v_div_fmas_f64 v[96:97], v[96:97], v[112:113], v[116:117]
	v_div_fixup_f64 v[94:95], v[96:97], v[94:95], 1.0
	v_mul_f64 v[96:97], v[110:111], -v[94:95]
.LBB44_30:
	s_or_b32 exec_lo, exec_lo, s1
	v_mov_b32_e32 v107, v109
.LBB44_31:
	s_or_b32 exec_lo, exec_lo, s0
	s_mov_b32 s0, exec_lo
	v_cmpx_ne_u32_e64 v108, v102
	s_xor_b32 s0, exec_lo, s0
	s_cbranch_execz .LBB44_37
; %bb.32:
	s_mov_b32 s1, exec_lo
	v_cmpx_eq_u32_e32 1, v108
	s_cbranch_execz .LBB44_36
; %bb.33:
	v_cmp_ne_u32_e32 vcc_lo, 1, v102
	s_xor_b32 s2, s16, -1
	s_and_b32 s3, s2, vcc_lo
	s_and_saveexec_b32 s2, s3
	s_cbranch_execz .LBB44_35
; %bb.34:
	v_ashrrev_i32_e32 v103, 31, v102
	v_lshlrev_b64 v[108:109], 2, v[102:103]
	v_add_co_u32 v108, vcc_lo, v100, v108
	v_add_co_ci_u32_e64 v109, null, v101, v109, vcc_lo
	s_clause 0x1
	global_load_dword v0, v[108:109], off
	global_load_dword v103, v[100:101], off offset:4
	s_waitcnt vmcnt(1)
	global_store_dword v[100:101], v0, off offset:4
	s_waitcnt vmcnt(0)
	global_store_dword v[108:109], v103, off
.LBB44_35:
	s_or_b32 exec_lo, exec_lo, s2
	v_mov_b32_e32 v108, v102
	v_mov_b32_e32 v0, v102
.LBB44_36:
	s_or_b32 exec_lo, exec_lo, s1
.LBB44_37:
	s_andn2_saveexec_b32 s0, s0
	s_cbranch_execz .LBB44_39
; %bb.38:
	v_mov_b32_e32 v108, 1
	ds_write2_b64 v1, v[90:91], v[92:93] offset0:4 offset1:5
	ds_write2_b64 v1, v[86:87], v[88:89] offset0:6 offset1:7
	;; [unrolled: 1-line block ×21, first 2 shown]
.LBB44_39:
	s_or_b32 exec_lo, exec_lo, s0
	s_mov_b32 s0, exec_lo
	s_waitcnt lgkmcnt(0)
	s_waitcnt_vscnt null, 0x0
	s_barrier
	buffer_gl0_inv
	v_cmpx_lt_i32_e32 1, v108
	s_cbranch_execz .LBB44_41
; %bb.40:
	v_mul_f64 v[102:103], v[96:97], v[72:73]
	v_mul_f64 v[72:73], v[94:95], v[72:73]
	v_fma_f64 v[102:103], v[94:95], v[70:71], -v[102:103]
	v_fma_f64 v[72:73], v[96:97], v[70:71], v[72:73]
	ds_read2_b64 v[94:97], v1 offset0:4 offset1:5
	s_waitcnt lgkmcnt(0)
	v_mul_f64 v[70:71], v[96:97], v[72:73]
	v_fma_f64 v[70:71], v[94:95], v[102:103], -v[70:71]
	v_mul_f64 v[94:95], v[94:95], v[72:73]
	v_add_f64 v[90:91], v[90:91], -v[70:71]
	v_fma_f64 v[94:95], v[96:97], v[102:103], v[94:95]
	v_add_f64 v[92:93], v[92:93], -v[94:95]
	ds_read2_b64 v[94:97], v1 offset0:6 offset1:7
	s_waitcnt lgkmcnt(0)
	v_mul_f64 v[70:71], v[96:97], v[72:73]
	v_fma_f64 v[70:71], v[94:95], v[102:103], -v[70:71]
	v_mul_f64 v[94:95], v[94:95], v[72:73]
	v_add_f64 v[86:87], v[86:87], -v[70:71]
	v_fma_f64 v[94:95], v[96:97], v[102:103], v[94:95]
	v_add_f64 v[88:89], v[88:89], -v[94:95]
	;; [unrolled: 8-line block ×20, first 2 shown]
	ds_read2_b64 v[94:97], v1 offset0:44 offset1:45
	s_waitcnt lgkmcnt(0)
	v_mul_f64 v[70:71], v[96:97], v[72:73]
	v_fma_f64 v[70:71], v[94:95], v[102:103], -v[70:71]
	v_mul_f64 v[94:95], v[94:95], v[72:73]
	v_add_f64 v[2:3], v[2:3], -v[70:71]
	v_fma_f64 v[94:95], v[96:97], v[102:103], v[94:95]
	v_mov_b32_e32 v70, v102
	v_mov_b32_e32 v71, v103
	v_add_f64 v[4:5], v[4:5], -v[94:95]
.LBB44_41:
	s_or_b32 exec_lo, exec_lo, s0
	v_lshl_add_u32 v94, v108, 4, v1
	s_barrier
	buffer_gl0_inv
	v_mov_b32_e32 v102, 2
	ds_write2_b64 v94, v[90:91], v[92:93] offset1:1
	s_waitcnt lgkmcnt(0)
	s_barrier
	buffer_gl0_inv
	ds_read2_b64 v[94:97], v1 offset0:4 offset1:5
	s_cmp_lt_i32 s18, 4
	s_cbranch_scc1 .LBB44_44
; %bb.42:
	v_add3_u32 v103, v104, 0, 48
	v_mov_b32_e32 v102, 2
	s_mov_b32 s1, 3
	s_inst_prefetch 0x1
	.p2align	6
.LBB44_43:                              ; =>This Inner Loop Header: Depth=1
	s_waitcnt lgkmcnt(0)
	v_cmp_gt_f64_e32 vcc_lo, 0, v[96:97]
	v_cmp_gt_f64_e64 s0, 0, v[94:95]
	ds_read2_b64 v[109:112], v103 offset1:1
	v_xor_b32_e32 v114, 0x80000000, v95
	v_xor_b32_e32 v116, 0x80000000, v97
	v_mov_b32_e32 v113, v94
	v_mov_b32_e32 v115, v96
	v_add_nc_u32_e32 v103, 16, v103
	s_waitcnt lgkmcnt(0)
	v_xor_b32_e32 v118, 0x80000000, v112
	v_cndmask_b32_e64 v114, v95, v114, s0
	v_cndmask_b32_e32 v116, v97, v116, vcc_lo
	v_cmp_gt_f64_e32 vcc_lo, 0, v[111:112]
	v_cmp_gt_f64_e64 s0, 0, v[109:110]
	v_mov_b32_e32 v117, v111
	v_add_f64 v[113:114], v[113:114], v[115:116]
	v_xor_b32_e32 v116, 0x80000000, v110
	v_mov_b32_e32 v115, v109
	v_cndmask_b32_e32 v118, v112, v118, vcc_lo
	v_cndmask_b32_e64 v116, v110, v116, s0
	v_add_f64 v[115:116], v[115:116], v[117:118]
	v_cmp_lt_f64_e32 vcc_lo, v[113:114], v[115:116]
	v_cndmask_b32_e32 v95, v95, v110, vcc_lo
	v_cndmask_b32_e32 v94, v94, v109, vcc_lo
	;; [unrolled: 1-line block ×4, first 2 shown]
	v_cndmask_b32_e64 v102, v102, s1, vcc_lo
	s_add_i32 s1, s1, 1
	s_cmp_lg_u32 s18, s1
	s_cbranch_scc1 .LBB44_43
.LBB44_44:
	s_inst_prefetch 0x2
	s_waitcnt lgkmcnt(0)
	v_cmp_eq_f64_e32 vcc_lo, 0, v[94:95]
	v_cmp_eq_f64_e64 s0, 0, v[96:97]
	s_and_b32 s0, vcc_lo, s0
	s_and_saveexec_b32 s1, s0
	s_xor_b32 s0, exec_lo, s1
; %bb.45:
	v_cmp_ne_u32_e32 vcc_lo, 0, v107
	v_cndmask_b32_e32 v107, 3, v107, vcc_lo
; %bb.46:
	s_andn2_saveexec_b32 s0, s0
	s_cbranch_execz .LBB44_52
; %bb.47:
	v_cmp_ngt_f64_e64 s1, |v[94:95]|, |v[96:97]|
	s_and_saveexec_b32 s2, s1
	s_xor_b32 s1, exec_lo, s2
	s_cbranch_execz .LBB44_49
; %bb.48:
	v_div_scale_f64 v[109:110], null, v[96:97], v[96:97], v[94:95]
	v_div_scale_f64 v[115:116], vcc_lo, v[94:95], v[96:97], v[94:95]
	v_rcp_f64_e32 v[111:112], v[109:110]
	v_fma_f64 v[113:114], -v[109:110], v[111:112], 1.0
	v_fma_f64 v[111:112], v[111:112], v[113:114], v[111:112]
	v_fma_f64 v[113:114], -v[109:110], v[111:112], 1.0
	v_fma_f64 v[111:112], v[111:112], v[113:114], v[111:112]
	v_mul_f64 v[113:114], v[115:116], v[111:112]
	v_fma_f64 v[109:110], -v[109:110], v[113:114], v[115:116]
	v_div_fmas_f64 v[109:110], v[109:110], v[111:112], v[113:114]
	v_div_fixup_f64 v[109:110], v[109:110], v[96:97], v[94:95]
	v_fma_f64 v[94:95], v[94:95], v[109:110], v[96:97]
	v_div_scale_f64 v[96:97], null, v[94:95], v[94:95], 1.0
	v_rcp_f64_e32 v[111:112], v[96:97]
	v_fma_f64 v[113:114], -v[96:97], v[111:112], 1.0
	v_fma_f64 v[111:112], v[111:112], v[113:114], v[111:112]
	v_fma_f64 v[113:114], -v[96:97], v[111:112], 1.0
	v_fma_f64 v[111:112], v[111:112], v[113:114], v[111:112]
	v_div_scale_f64 v[113:114], vcc_lo, 1.0, v[94:95], 1.0
	v_mul_f64 v[115:116], v[113:114], v[111:112]
	v_fma_f64 v[96:97], -v[96:97], v[115:116], v[113:114]
	v_div_fmas_f64 v[96:97], v[96:97], v[111:112], v[115:116]
	v_div_fixup_f64 v[96:97], v[96:97], v[94:95], 1.0
	v_mul_f64 v[94:95], v[109:110], v[96:97]
	v_xor_b32_e32 v97, 0x80000000, v97
.LBB44_49:
	s_andn2_saveexec_b32 s1, s1
	s_cbranch_execz .LBB44_51
; %bb.50:
	v_div_scale_f64 v[109:110], null, v[94:95], v[94:95], v[96:97]
	v_div_scale_f64 v[115:116], vcc_lo, v[96:97], v[94:95], v[96:97]
	v_rcp_f64_e32 v[111:112], v[109:110]
	v_fma_f64 v[113:114], -v[109:110], v[111:112], 1.0
	v_fma_f64 v[111:112], v[111:112], v[113:114], v[111:112]
	v_fma_f64 v[113:114], -v[109:110], v[111:112], 1.0
	v_fma_f64 v[111:112], v[111:112], v[113:114], v[111:112]
	v_mul_f64 v[113:114], v[115:116], v[111:112]
	v_fma_f64 v[109:110], -v[109:110], v[113:114], v[115:116]
	v_div_fmas_f64 v[109:110], v[109:110], v[111:112], v[113:114]
	v_div_fixup_f64 v[109:110], v[109:110], v[94:95], v[96:97]
	v_fma_f64 v[94:95], v[96:97], v[109:110], v[94:95]
	v_div_scale_f64 v[96:97], null, v[94:95], v[94:95], 1.0
	v_rcp_f64_e32 v[111:112], v[96:97]
	v_fma_f64 v[113:114], -v[96:97], v[111:112], 1.0
	v_fma_f64 v[111:112], v[111:112], v[113:114], v[111:112]
	v_fma_f64 v[113:114], -v[96:97], v[111:112], 1.0
	v_fma_f64 v[111:112], v[111:112], v[113:114], v[111:112]
	v_div_scale_f64 v[113:114], vcc_lo, 1.0, v[94:95], 1.0
	v_mul_f64 v[115:116], v[113:114], v[111:112]
	v_fma_f64 v[96:97], -v[96:97], v[115:116], v[113:114]
	v_div_fmas_f64 v[96:97], v[96:97], v[111:112], v[115:116]
	v_div_fixup_f64 v[94:95], v[96:97], v[94:95], 1.0
	v_mul_f64 v[96:97], v[109:110], -v[94:95]
.LBB44_51:
	s_or_b32 exec_lo, exec_lo, s1
.LBB44_52:
	s_or_b32 exec_lo, exec_lo, s0
	s_mov_b32 s0, exec_lo
	v_cmpx_ne_u32_e64 v108, v102
	s_xor_b32 s0, exec_lo, s0
	s_cbranch_execz .LBB44_58
; %bb.53:
	s_mov_b32 s1, exec_lo
	v_cmpx_eq_u32_e32 2, v108
	s_cbranch_execz .LBB44_57
; %bb.54:
	v_cmp_ne_u32_e32 vcc_lo, 2, v102
	s_xor_b32 s2, s16, -1
	s_and_b32 s3, s2, vcc_lo
	s_and_saveexec_b32 s2, s3
	s_cbranch_execz .LBB44_56
; %bb.55:
	v_ashrrev_i32_e32 v103, 31, v102
	v_lshlrev_b64 v[108:109], 2, v[102:103]
	v_add_co_u32 v108, vcc_lo, v100, v108
	v_add_co_ci_u32_e64 v109, null, v101, v109, vcc_lo
	s_clause 0x1
	global_load_dword v0, v[108:109], off
	global_load_dword v103, v[100:101], off offset:8
	s_waitcnt vmcnt(1)
	global_store_dword v[100:101], v0, off offset:8
	s_waitcnt vmcnt(0)
	global_store_dword v[108:109], v103, off
.LBB44_56:
	s_or_b32 exec_lo, exec_lo, s2
	v_mov_b32_e32 v108, v102
	v_mov_b32_e32 v0, v102
.LBB44_57:
	s_or_b32 exec_lo, exec_lo, s1
.LBB44_58:
	s_andn2_saveexec_b32 s0, s0
	s_cbranch_execz .LBB44_60
; %bb.59:
	v_mov_b32_e32 v108, 2
	ds_write2_b64 v1, v[86:87], v[88:89] offset0:6 offset1:7
	ds_write2_b64 v1, v[82:83], v[84:85] offset0:8 offset1:9
	;; [unrolled: 1-line block ×20, first 2 shown]
.LBB44_60:
	s_or_b32 exec_lo, exec_lo, s0
	s_mov_b32 s0, exec_lo
	s_waitcnt lgkmcnt(0)
	s_waitcnt_vscnt null, 0x0
	s_barrier
	buffer_gl0_inv
	v_cmpx_lt_i32_e32 2, v108
	s_cbranch_execz .LBB44_62
; %bb.61:
	v_mul_f64 v[102:103], v[96:97], v[92:93]
	v_mul_f64 v[92:93], v[94:95], v[92:93]
	v_fma_f64 v[102:103], v[94:95], v[90:91], -v[102:103]
	v_fma_f64 v[92:93], v[96:97], v[90:91], v[92:93]
	ds_read2_b64 v[94:97], v1 offset0:6 offset1:7
	s_waitcnt lgkmcnt(0)
	v_mul_f64 v[90:91], v[96:97], v[92:93]
	v_fma_f64 v[90:91], v[94:95], v[102:103], -v[90:91]
	v_mul_f64 v[94:95], v[94:95], v[92:93]
	v_add_f64 v[86:87], v[86:87], -v[90:91]
	v_fma_f64 v[94:95], v[96:97], v[102:103], v[94:95]
	v_add_f64 v[88:89], v[88:89], -v[94:95]
	ds_read2_b64 v[94:97], v1 offset0:8 offset1:9
	s_waitcnt lgkmcnt(0)
	v_mul_f64 v[90:91], v[96:97], v[92:93]
	v_fma_f64 v[90:91], v[94:95], v[102:103], -v[90:91]
	v_mul_f64 v[94:95], v[94:95], v[92:93]
	v_add_f64 v[82:83], v[82:83], -v[90:91]
	v_fma_f64 v[94:95], v[96:97], v[102:103], v[94:95]
	v_add_f64 v[84:85], v[84:85], -v[94:95]
	;; [unrolled: 8-line block ×19, first 2 shown]
	ds_read2_b64 v[94:97], v1 offset0:44 offset1:45
	s_waitcnt lgkmcnt(0)
	v_mul_f64 v[90:91], v[96:97], v[92:93]
	v_fma_f64 v[90:91], v[94:95], v[102:103], -v[90:91]
	v_mul_f64 v[94:95], v[94:95], v[92:93]
	v_add_f64 v[2:3], v[2:3], -v[90:91]
	v_fma_f64 v[94:95], v[96:97], v[102:103], v[94:95]
	v_mov_b32_e32 v90, v102
	v_mov_b32_e32 v91, v103
	v_add_f64 v[4:5], v[4:5], -v[94:95]
.LBB44_62:
	s_or_b32 exec_lo, exec_lo, s0
	v_lshl_add_u32 v94, v108, 4, v1
	s_barrier
	buffer_gl0_inv
	v_mov_b32_e32 v102, 3
	ds_write2_b64 v94, v[86:87], v[88:89] offset1:1
	s_waitcnt lgkmcnt(0)
	s_barrier
	buffer_gl0_inv
	ds_read2_b64 v[94:97], v1 offset0:6 offset1:7
	s_cmp_lt_i32 s18, 5
	s_mov_b32 s1, 4
	s_cbranch_scc1 .LBB44_65
; %bb.63:
	v_add3_u32 v103, v104, 0, 64
	v_mov_b32_e32 v102, 3
	s_inst_prefetch 0x1
	.p2align	6
.LBB44_64:                              ; =>This Inner Loop Header: Depth=1
	s_waitcnt lgkmcnt(0)
	v_cmp_gt_f64_e32 vcc_lo, 0, v[96:97]
	v_cmp_gt_f64_e64 s0, 0, v[94:95]
	ds_read2_b64 v[109:112], v103 offset1:1
	v_xor_b32_e32 v114, 0x80000000, v95
	v_xor_b32_e32 v116, 0x80000000, v97
	v_mov_b32_e32 v113, v94
	v_mov_b32_e32 v115, v96
	v_add_nc_u32_e32 v103, 16, v103
	s_waitcnt lgkmcnt(0)
	v_xor_b32_e32 v118, 0x80000000, v112
	v_cndmask_b32_e64 v114, v95, v114, s0
	v_cndmask_b32_e32 v116, v97, v116, vcc_lo
	v_cmp_gt_f64_e32 vcc_lo, 0, v[111:112]
	v_cmp_gt_f64_e64 s0, 0, v[109:110]
	v_mov_b32_e32 v117, v111
	v_add_f64 v[113:114], v[113:114], v[115:116]
	v_xor_b32_e32 v116, 0x80000000, v110
	v_mov_b32_e32 v115, v109
	v_cndmask_b32_e32 v118, v112, v118, vcc_lo
	v_cndmask_b32_e64 v116, v110, v116, s0
	v_add_f64 v[115:116], v[115:116], v[117:118]
	v_cmp_lt_f64_e32 vcc_lo, v[113:114], v[115:116]
	v_cndmask_b32_e32 v95, v95, v110, vcc_lo
	v_cndmask_b32_e32 v94, v94, v109, vcc_lo
	;; [unrolled: 1-line block ×4, first 2 shown]
	v_cndmask_b32_e64 v102, v102, s1, vcc_lo
	s_add_i32 s1, s1, 1
	s_cmp_lg_u32 s18, s1
	s_cbranch_scc1 .LBB44_64
.LBB44_65:
	s_inst_prefetch 0x2
	s_waitcnt lgkmcnt(0)
	v_cmp_eq_f64_e32 vcc_lo, 0, v[94:95]
	v_cmp_eq_f64_e64 s0, 0, v[96:97]
	s_and_b32 s0, vcc_lo, s0
	s_and_saveexec_b32 s1, s0
	s_xor_b32 s0, exec_lo, s1
; %bb.66:
	v_cmp_ne_u32_e32 vcc_lo, 0, v107
	v_cndmask_b32_e32 v107, 4, v107, vcc_lo
; %bb.67:
	s_andn2_saveexec_b32 s0, s0
	s_cbranch_execz .LBB44_73
; %bb.68:
	v_cmp_ngt_f64_e64 s1, |v[94:95]|, |v[96:97]|
	s_and_saveexec_b32 s2, s1
	s_xor_b32 s1, exec_lo, s2
	s_cbranch_execz .LBB44_70
; %bb.69:
	v_div_scale_f64 v[109:110], null, v[96:97], v[96:97], v[94:95]
	v_div_scale_f64 v[115:116], vcc_lo, v[94:95], v[96:97], v[94:95]
	v_rcp_f64_e32 v[111:112], v[109:110]
	v_fma_f64 v[113:114], -v[109:110], v[111:112], 1.0
	v_fma_f64 v[111:112], v[111:112], v[113:114], v[111:112]
	v_fma_f64 v[113:114], -v[109:110], v[111:112], 1.0
	v_fma_f64 v[111:112], v[111:112], v[113:114], v[111:112]
	v_mul_f64 v[113:114], v[115:116], v[111:112]
	v_fma_f64 v[109:110], -v[109:110], v[113:114], v[115:116]
	v_div_fmas_f64 v[109:110], v[109:110], v[111:112], v[113:114]
	v_div_fixup_f64 v[109:110], v[109:110], v[96:97], v[94:95]
	v_fma_f64 v[94:95], v[94:95], v[109:110], v[96:97]
	v_div_scale_f64 v[96:97], null, v[94:95], v[94:95], 1.0
	v_rcp_f64_e32 v[111:112], v[96:97]
	v_fma_f64 v[113:114], -v[96:97], v[111:112], 1.0
	v_fma_f64 v[111:112], v[111:112], v[113:114], v[111:112]
	v_fma_f64 v[113:114], -v[96:97], v[111:112], 1.0
	v_fma_f64 v[111:112], v[111:112], v[113:114], v[111:112]
	v_div_scale_f64 v[113:114], vcc_lo, 1.0, v[94:95], 1.0
	v_mul_f64 v[115:116], v[113:114], v[111:112]
	v_fma_f64 v[96:97], -v[96:97], v[115:116], v[113:114]
	v_div_fmas_f64 v[96:97], v[96:97], v[111:112], v[115:116]
	v_div_fixup_f64 v[96:97], v[96:97], v[94:95], 1.0
	v_mul_f64 v[94:95], v[109:110], v[96:97]
	v_xor_b32_e32 v97, 0x80000000, v97
.LBB44_70:
	s_andn2_saveexec_b32 s1, s1
	s_cbranch_execz .LBB44_72
; %bb.71:
	v_div_scale_f64 v[109:110], null, v[94:95], v[94:95], v[96:97]
	v_div_scale_f64 v[115:116], vcc_lo, v[96:97], v[94:95], v[96:97]
	v_rcp_f64_e32 v[111:112], v[109:110]
	v_fma_f64 v[113:114], -v[109:110], v[111:112], 1.0
	v_fma_f64 v[111:112], v[111:112], v[113:114], v[111:112]
	v_fma_f64 v[113:114], -v[109:110], v[111:112], 1.0
	v_fma_f64 v[111:112], v[111:112], v[113:114], v[111:112]
	v_mul_f64 v[113:114], v[115:116], v[111:112]
	v_fma_f64 v[109:110], -v[109:110], v[113:114], v[115:116]
	v_div_fmas_f64 v[109:110], v[109:110], v[111:112], v[113:114]
	v_div_fixup_f64 v[109:110], v[109:110], v[94:95], v[96:97]
	v_fma_f64 v[94:95], v[96:97], v[109:110], v[94:95]
	v_div_scale_f64 v[96:97], null, v[94:95], v[94:95], 1.0
	v_rcp_f64_e32 v[111:112], v[96:97]
	v_fma_f64 v[113:114], -v[96:97], v[111:112], 1.0
	v_fma_f64 v[111:112], v[111:112], v[113:114], v[111:112]
	v_fma_f64 v[113:114], -v[96:97], v[111:112], 1.0
	v_fma_f64 v[111:112], v[111:112], v[113:114], v[111:112]
	v_div_scale_f64 v[113:114], vcc_lo, 1.0, v[94:95], 1.0
	v_mul_f64 v[115:116], v[113:114], v[111:112]
	v_fma_f64 v[96:97], -v[96:97], v[115:116], v[113:114]
	v_div_fmas_f64 v[96:97], v[96:97], v[111:112], v[115:116]
	v_div_fixup_f64 v[94:95], v[96:97], v[94:95], 1.0
	v_mul_f64 v[96:97], v[109:110], -v[94:95]
.LBB44_72:
	s_or_b32 exec_lo, exec_lo, s1
.LBB44_73:
	s_or_b32 exec_lo, exec_lo, s0
	s_mov_b32 s0, exec_lo
	v_cmpx_ne_u32_e64 v108, v102
	s_xor_b32 s0, exec_lo, s0
	s_cbranch_execz .LBB44_79
; %bb.74:
	s_mov_b32 s1, exec_lo
	v_cmpx_eq_u32_e32 3, v108
	s_cbranch_execz .LBB44_78
; %bb.75:
	v_cmp_ne_u32_e32 vcc_lo, 3, v102
	s_xor_b32 s2, s16, -1
	s_and_b32 s3, s2, vcc_lo
	s_and_saveexec_b32 s2, s3
	s_cbranch_execz .LBB44_77
; %bb.76:
	v_ashrrev_i32_e32 v103, 31, v102
	v_lshlrev_b64 v[108:109], 2, v[102:103]
	v_add_co_u32 v108, vcc_lo, v100, v108
	v_add_co_ci_u32_e64 v109, null, v101, v109, vcc_lo
	s_clause 0x1
	global_load_dword v0, v[108:109], off
	global_load_dword v103, v[100:101], off offset:12
	s_waitcnt vmcnt(1)
	global_store_dword v[100:101], v0, off offset:12
	s_waitcnt vmcnt(0)
	global_store_dword v[108:109], v103, off
.LBB44_77:
	s_or_b32 exec_lo, exec_lo, s2
	v_mov_b32_e32 v108, v102
	v_mov_b32_e32 v0, v102
.LBB44_78:
	s_or_b32 exec_lo, exec_lo, s1
.LBB44_79:
	s_andn2_saveexec_b32 s0, s0
	s_cbranch_execz .LBB44_81
; %bb.80:
	v_mov_b32_e32 v108, 3
	ds_write2_b64 v1, v[82:83], v[84:85] offset0:8 offset1:9
	ds_write2_b64 v1, v[78:79], v[80:81] offset0:10 offset1:11
	;; [unrolled: 1-line block ×19, first 2 shown]
.LBB44_81:
	s_or_b32 exec_lo, exec_lo, s0
	s_mov_b32 s0, exec_lo
	s_waitcnt lgkmcnt(0)
	s_waitcnt_vscnt null, 0x0
	s_barrier
	buffer_gl0_inv
	v_cmpx_lt_i32_e32 3, v108
	s_cbranch_execz .LBB44_83
; %bb.82:
	v_mul_f64 v[102:103], v[96:97], v[88:89]
	v_mul_f64 v[88:89], v[94:95], v[88:89]
	v_fma_f64 v[102:103], v[94:95], v[86:87], -v[102:103]
	v_fma_f64 v[88:89], v[96:97], v[86:87], v[88:89]
	ds_read2_b64 v[94:97], v1 offset0:8 offset1:9
	s_waitcnt lgkmcnt(0)
	v_mul_f64 v[86:87], v[96:97], v[88:89]
	v_fma_f64 v[86:87], v[94:95], v[102:103], -v[86:87]
	v_mul_f64 v[94:95], v[94:95], v[88:89]
	v_add_f64 v[82:83], v[82:83], -v[86:87]
	v_fma_f64 v[94:95], v[96:97], v[102:103], v[94:95]
	v_add_f64 v[84:85], v[84:85], -v[94:95]
	ds_read2_b64 v[94:97], v1 offset0:10 offset1:11
	s_waitcnt lgkmcnt(0)
	v_mul_f64 v[86:87], v[96:97], v[88:89]
	v_fma_f64 v[86:87], v[94:95], v[102:103], -v[86:87]
	v_mul_f64 v[94:95], v[94:95], v[88:89]
	v_add_f64 v[78:79], v[78:79], -v[86:87]
	v_fma_f64 v[94:95], v[96:97], v[102:103], v[94:95]
	v_add_f64 v[80:81], v[80:81], -v[94:95]
	ds_read2_b64 v[94:97], v1 offset0:12 offset1:13
	s_waitcnt lgkmcnt(0)
	v_mul_f64 v[86:87], v[96:97], v[88:89]
	v_fma_f64 v[86:87], v[94:95], v[102:103], -v[86:87]
	v_mul_f64 v[94:95], v[94:95], v[88:89]
	v_add_f64 v[66:67], v[66:67], -v[86:87]
	v_fma_f64 v[94:95], v[96:97], v[102:103], v[94:95]
	v_add_f64 v[68:69], v[68:69], -v[94:95]
	ds_read2_b64 v[94:97], v1 offset0:14 offset1:15
	s_waitcnt lgkmcnt(0)
	v_mul_f64 v[86:87], v[96:97], v[88:89]
	v_fma_f64 v[86:87], v[94:95], v[102:103], -v[86:87]
	v_mul_f64 v[94:95], v[94:95], v[88:89]
	v_add_f64 v[62:63], v[62:63], -v[86:87]
	v_fma_f64 v[94:95], v[96:97], v[102:103], v[94:95]
	v_add_f64 v[64:65], v[64:65], -v[94:95]
	ds_read2_b64 v[94:97], v1 offset0:16 offset1:17
	s_waitcnt lgkmcnt(0)
	v_mul_f64 v[86:87], v[96:97], v[88:89]
	v_fma_f64 v[86:87], v[94:95], v[102:103], -v[86:87]
	v_mul_f64 v[94:95], v[94:95], v[88:89]
	v_add_f64 v[58:59], v[58:59], -v[86:87]
	v_fma_f64 v[94:95], v[96:97], v[102:103], v[94:95]
	v_add_f64 v[60:61], v[60:61], -v[94:95]
	ds_read2_b64 v[94:97], v1 offset0:18 offset1:19
	s_waitcnt lgkmcnt(0)
	v_mul_f64 v[86:87], v[96:97], v[88:89]
	v_fma_f64 v[86:87], v[94:95], v[102:103], -v[86:87]
	v_mul_f64 v[94:95], v[94:95], v[88:89]
	v_add_f64 v[54:55], v[54:55], -v[86:87]
	v_fma_f64 v[94:95], v[96:97], v[102:103], v[94:95]
	v_add_f64 v[56:57], v[56:57], -v[94:95]
	ds_read2_b64 v[94:97], v1 offset0:20 offset1:21
	s_waitcnt lgkmcnt(0)
	v_mul_f64 v[86:87], v[96:97], v[88:89]
	v_fma_f64 v[86:87], v[94:95], v[102:103], -v[86:87]
	v_mul_f64 v[94:95], v[94:95], v[88:89]
	v_add_f64 v[50:51], v[50:51], -v[86:87]
	v_fma_f64 v[94:95], v[96:97], v[102:103], v[94:95]
	v_add_f64 v[52:53], v[52:53], -v[94:95]
	ds_read2_b64 v[94:97], v1 offset0:22 offset1:23
	s_waitcnt lgkmcnt(0)
	v_mul_f64 v[86:87], v[96:97], v[88:89]
	v_fma_f64 v[86:87], v[94:95], v[102:103], -v[86:87]
	v_mul_f64 v[94:95], v[94:95], v[88:89]
	v_add_f64 v[46:47], v[46:47], -v[86:87]
	v_fma_f64 v[94:95], v[96:97], v[102:103], v[94:95]
	v_add_f64 v[48:49], v[48:49], -v[94:95]
	ds_read2_b64 v[94:97], v1 offset0:24 offset1:25
	s_waitcnt lgkmcnt(0)
	v_mul_f64 v[86:87], v[96:97], v[88:89]
	v_fma_f64 v[86:87], v[94:95], v[102:103], -v[86:87]
	v_mul_f64 v[94:95], v[94:95], v[88:89]
	v_add_f64 v[42:43], v[42:43], -v[86:87]
	v_fma_f64 v[94:95], v[96:97], v[102:103], v[94:95]
	v_add_f64 v[44:45], v[44:45], -v[94:95]
	ds_read2_b64 v[94:97], v1 offset0:26 offset1:27
	s_waitcnt lgkmcnt(0)
	v_mul_f64 v[86:87], v[96:97], v[88:89]
	v_fma_f64 v[86:87], v[94:95], v[102:103], -v[86:87]
	v_mul_f64 v[94:95], v[94:95], v[88:89]
	v_add_f64 v[38:39], v[38:39], -v[86:87]
	v_fma_f64 v[94:95], v[96:97], v[102:103], v[94:95]
	v_add_f64 v[40:41], v[40:41], -v[94:95]
	ds_read2_b64 v[94:97], v1 offset0:28 offset1:29
	s_waitcnt lgkmcnt(0)
	v_mul_f64 v[86:87], v[96:97], v[88:89]
	v_fma_f64 v[86:87], v[94:95], v[102:103], -v[86:87]
	v_mul_f64 v[94:95], v[94:95], v[88:89]
	v_add_f64 v[34:35], v[34:35], -v[86:87]
	v_fma_f64 v[94:95], v[96:97], v[102:103], v[94:95]
	v_add_f64 v[36:37], v[36:37], -v[94:95]
	ds_read2_b64 v[94:97], v1 offset0:30 offset1:31
	s_waitcnt lgkmcnt(0)
	v_mul_f64 v[86:87], v[96:97], v[88:89]
	v_fma_f64 v[86:87], v[94:95], v[102:103], -v[86:87]
	v_mul_f64 v[94:95], v[94:95], v[88:89]
	v_add_f64 v[30:31], v[30:31], -v[86:87]
	v_fma_f64 v[94:95], v[96:97], v[102:103], v[94:95]
	v_add_f64 v[32:33], v[32:33], -v[94:95]
	ds_read2_b64 v[94:97], v1 offset0:32 offset1:33
	s_waitcnt lgkmcnt(0)
	v_mul_f64 v[86:87], v[96:97], v[88:89]
	v_fma_f64 v[86:87], v[94:95], v[102:103], -v[86:87]
	v_mul_f64 v[94:95], v[94:95], v[88:89]
	v_add_f64 v[26:27], v[26:27], -v[86:87]
	v_fma_f64 v[94:95], v[96:97], v[102:103], v[94:95]
	v_add_f64 v[28:29], v[28:29], -v[94:95]
	ds_read2_b64 v[94:97], v1 offset0:34 offset1:35
	s_waitcnt lgkmcnt(0)
	v_mul_f64 v[86:87], v[96:97], v[88:89]
	v_fma_f64 v[86:87], v[94:95], v[102:103], -v[86:87]
	v_mul_f64 v[94:95], v[94:95], v[88:89]
	v_add_f64 v[22:23], v[22:23], -v[86:87]
	v_fma_f64 v[94:95], v[96:97], v[102:103], v[94:95]
	v_add_f64 v[24:25], v[24:25], -v[94:95]
	ds_read2_b64 v[94:97], v1 offset0:36 offset1:37
	s_waitcnt lgkmcnt(0)
	v_mul_f64 v[86:87], v[96:97], v[88:89]
	v_fma_f64 v[86:87], v[94:95], v[102:103], -v[86:87]
	v_mul_f64 v[94:95], v[94:95], v[88:89]
	v_add_f64 v[18:19], v[18:19], -v[86:87]
	v_fma_f64 v[94:95], v[96:97], v[102:103], v[94:95]
	v_add_f64 v[20:21], v[20:21], -v[94:95]
	ds_read2_b64 v[94:97], v1 offset0:38 offset1:39
	s_waitcnt lgkmcnt(0)
	v_mul_f64 v[86:87], v[96:97], v[88:89]
	v_fma_f64 v[86:87], v[94:95], v[102:103], -v[86:87]
	v_mul_f64 v[94:95], v[94:95], v[88:89]
	v_add_f64 v[14:15], v[14:15], -v[86:87]
	v_fma_f64 v[94:95], v[96:97], v[102:103], v[94:95]
	v_add_f64 v[16:17], v[16:17], -v[94:95]
	ds_read2_b64 v[94:97], v1 offset0:40 offset1:41
	s_waitcnt lgkmcnt(0)
	v_mul_f64 v[86:87], v[96:97], v[88:89]
	v_fma_f64 v[86:87], v[94:95], v[102:103], -v[86:87]
	v_mul_f64 v[94:95], v[94:95], v[88:89]
	v_add_f64 v[10:11], v[10:11], -v[86:87]
	v_fma_f64 v[94:95], v[96:97], v[102:103], v[94:95]
	v_add_f64 v[12:13], v[12:13], -v[94:95]
	ds_read2_b64 v[94:97], v1 offset0:42 offset1:43
	s_waitcnt lgkmcnt(0)
	v_mul_f64 v[86:87], v[96:97], v[88:89]
	v_fma_f64 v[86:87], v[94:95], v[102:103], -v[86:87]
	v_mul_f64 v[94:95], v[94:95], v[88:89]
	v_add_f64 v[6:7], v[6:7], -v[86:87]
	v_fma_f64 v[94:95], v[96:97], v[102:103], v[94:95]
	v_add_f64 v[8:9], v[8:9], -v[94:95]
	ds_read2_b64 v[94:97], v1 offset0:44 offset1:45
	s_waitcnt lgkmcnt(0)
	v_mul_f64 v[86:87], v[96:97], v[88:89]
	v_fma_f64 v[86:87], v[94:95], v[102:103], -v[86:87]
	v_mul_f64 v[94:95], v[94:95], v[88:89]
	v_add_f64 v[2:3], v[2:3], -v[86:87]
	v_fma_f64 v[94:95], v[96:97], v[102:103], v[94:95]
	v_mov_b32_e32 v86, v102
	v_mov_b32_e32 v87, v103
	v_add_f64 v[4:5], v[4:5], -v[94:95]
.LBB44_83:
	s_or_b32 exec_lo, exec_lo, s0
	v_lshl_add_u32 v94, v108, 4, v1
	s_barrier
	buffer_gl0_inv
	v_mov_b32_e32 v102, 4
	ds_write2_b64 v94, v[82:83], v[84:85] offset1:1
	s_waitcnt lgkmcnt(0)
	s_barrier
	buffer_gl0_inv
	ds_read2_b64 v[94:97], v1 offset0:8 offset1:9
	s_cmp_lt_i32 s18, 6
	s_cbranch_scc1 .LBB44_86
; %bb.84:
	v_mov_b32_e32 v102, 4
	v_add3_u32 v103, v104, 0, 0x50
	s_mov_b32 s1, 5
	s_inst_prefetch 0x1
	.p2align	6
.LBB44_85:                              ; =>This Inner Loop Header: Depth=1
	s_waitcnt lgkmcnt(0)
	v_cmp_gt_f64_e32 vcc_lo, 0, v[96:97]
	v_cmp_gt_f64_e64 s0, 0, v[94:95]
	ds_read2_b64 v[109:112], v103 offset1:1
	v_xor_b32_e32 v114, 0x80000000, v95
	v_xor_b32_e32 v116, 0x80000000, v97
	v_mov_b32_e32 v113, v94
	v_mov_b32_e32 v115, v96
	v_add_nc_u32_e32 v103, 16, v103
	s_waitcnt lgkmcnt(0)
	v_xor_b32_e32 v118, 0x80000000, v112
	v_cndmask_b32_e64 v114, v95, v114, s0
	v_cndmask_b32_e32 v116, v97, v116, vcc_lo
	v_cmp_gt_f64_e32 vcc_lo, 0, v[111:112]
	v_cmp_gt_f64_e64 s0, 0, v[109:110]
	v_mov_b32_e32 v117, v111
	v_add_f64 v[113:114], v[113:114], v[115:116]
	v_xor_b32_e32 v116, 0x80000000, v110
	v_mov_b32_e32 v115, v109
	v_cndmask_b32_e32 v118, v112, v118, vcc_lo
	v_cndmask_b32_e64 v116, v110, v116, s0
	v_add_f64 v[115:116], v[115:116], v[117:118]
	v_cmp_lt_f64_e32 vcc_lo, v[113:114], v[115:116]
	v_cndmask_b32_e32 v95, v95, v110, vcc_lo
	v_cndmask_b32_e32 v94, v94, v109, vcc_lo
	;; [unrolled: 1-line block ×4, first 2 shown]
	v_cndmask_b32_e64 v102, v102, s1, vcc_lo
	s_add_i32 s1, s1, 1
	s_cmp_lg_u32 s18, s1
	s_cbranch_scc1 .LBB44_85
.LBB44_86:
	s_inst_prefetch 0x2
	s_waitcnt lgkmcnt(0)
	v_cmp_eq_f64_e32 vcc_lo, 0, v[94:95]
	v_cmp_eq_f64_e64 s0, 0, v[96:97]
	s_and_b32 s0, vcc_lo, s0
	s_and_saveexec_b32 s1, s0
	s_xor_b32 s0, exec_lo, s1
; %bb.87:
	v_cmp_ne_u32_e32 vcc_lo, 0, v107
	v_cndmask_b32_e32 v107, 5, v107, vcc_lo
; %bb.88:
	s_andn2_saveexec_b32 s0, s0
	s_cbranch_execz .LBB44_94
; %bb.89:
	v_cmp_ngt_f64_e64 s1, |v[94:95]|, |v[96:97]|
	s_and_saveexec_b32 s2, s1
	s_xor_b32 s1, exec_lo, s2
	s_cbranch_execz .LBB44_91
; %bb.90:
	v_div_scale_f64 v[109:110], null, v[96:97], v[96:97], v[94:95]
	v_div_scale_f64 v[115:116], vcc_lo, v[94:95], v[96:97], v[94:95]
	v_rcp_f64_e32 v[111:112], v[109:110]
	v_fma_f64 v[113:114], -v[109:110], v[111:112], 1.0
	v_fma_f64 v[111:112], v[111:112], v[113:114], v[111:112]
	v_fma_f64 v[113:114], -v[109:110], v[111:112], 1.0
	v_fma_f64 v[111:112], v[111:112], v[113:114], v[111:112]
	v_mul_f64 v[113:114], v[115:116], v[111:112]
	v_fma_f64 v[109:110], -v[109:110], v[113:114], v[115:116]
	v_div_fmas_f64 v[109:110], v[109:110], v[111:112], v[113:114]
	v_div_fixup_f64 v[109:110], v[109:110], v[96:97], v[94:95]
	v_fma_f64 v[94:95], v[94:95], v[109:110], v[96:97]
	v_div_scale_f64 v[96:97], null, v[94:95], v[94:95], 1.0
	v_rcp_f64_e32 v[111:112], v[96:97]
	v_fma_f64 v[113:114], -v[96:97], v[111:112], 1.0
	v_fma_f64 v[111:112], v[111:112], v[113:114], v[111:112]
	v_fma_f64 v[113:114], -v[96:97], v[111:112], 1.0
	v_fma_f64 v[111:112], v[111:112], v[113:114], v[111:112]
	v_div_scale_f64 v[113:114], vcc_lo, 1.0, v[94:95], 1.0
	v_mul_f64 v[115:116], v[113:114], v[111:112]
	v_fma_f64 v[96:97], -v[96:97], v[115:116], v[113:114]
	v_div_fmas_f64 v[96:97], v[96:97], v[111:112], v[115:116]
	v_div_fixup_f64 v[96:97], v[96:97], v[94:95], 1.0
	v_mul_f64 v[94:95], v[109:110], v[96:97]
	v_xor_b32_e32 v97, 0x80000000, v97
.LBB44_91:
	s_andn2_saveexec_b32 s1, s1
	s_cbranch_execz .LBB44_93
; %bb.92:
	v_div_scale_f64 v[109:110], null, v[94:95], v[94:95], v[96:97]
	v_div_scale_f64 v[115:116], vcc_lo, v[96:97], v[94:95], v[96:97]
	v_rcp_f64_e32 v[111:112], v[109:110]
	v_fma_f64 v[113:114], -v[109:110], v[111:112], 1.0
	v_fma_f64 v[111:112], v[111:112], v[113:114], v[111:112]
	v_fma_f64 v[113:114], -v[109:110], v[111:112], 1.0
	v_fma_f64 v[111:112], v[111:112], v[113:114], v[111:112]
	v_mul_f64 v[113:114], v[115:116], v[111:112]
	v_fma_f64 v[109:110], -v[109:110], v[113:114], v[115:116]
	v_div_fmas_f64 v[109:110], v[109:110], v[111:112], v[113:114]
	v_div_fixup_f64 v[109:110], v[109:110], v[94:95], v[96:97]
	v_fma_f64 v[94:95], v[96:97], v[109:110], v[94:95]
	v_div_scale_f64 v[96:97], null, v[94:95], v[94:95], 1.0
	v_rcp_f64_e32 v[111:112], v[96:97]
	v_fma_f64 v[113:114], -v[96:97], v[111:112], 1.0
	v_fma_f64 v[111:112], v[111:112], v[113:114], v[111:112]
	v_fma_f64 v[113:114], -v[96:97], v[111:112], 1.0
	v_fma_f64 v[111:112], v[111:112], v[113:114], v[111:112]
	v_div_scale_f64 v[113:114], vcc_lo, 1.0, v[94:95], 1.0
	v_mul_f64 v[115:116], v[113:114], v[111:112]
	v_fma_f64 v[96:97], -v[96:97], v[115:116], v[113:114]
	v_div_fmas_f64 v[96:97], v[96:97], v[111:112], v[115:116]
	v_div_fixup_f64 v[94:95], v[96:97], v[94:95], 1.0
	v_mul_f64 v[96:97], v[109:110], -v[94:95]
.LBB44_93:
	s_or_b32 exec_lo, exec_lo, s1
.LBB44_94:
	s_or_b32 exec_lo, exec_lo, s0
	s_mov_b32 s0, exec_lo
	v_cmpx_ne_u32_e64 v108, v102
	s_xor_b32 s0, exec_lo, s0
	s_cbranch_execz .LBB44_100
; %bb.95:
	s_mov_b32 s1, exec_lo
	v_cmpx_eq_u32_e32 4, v108
	s_cbranch_execz .LBB44_99
; %bb.96:
	v_cmp_ne_u32_e32 vcc_lo, 4, v102
	s_xor_b32 s2, s16, -1
	s_and_b32 s3, s2, vcc_lo
	s_and_saveexec_b32 s2, s3
	s_cbranch_execz .LBB44_98
; %bb.97:
	v_ashrrev_i32_e32 v103, 31, v102
	v_lshlrev_b64 v[108:109], 2, v[102:103]
	v_add_co_u32 v108, vcc_lo, v100, v108
	v_add_co_ci_u32_e64 v109, null, v101, v109, vcc_lo
	s_clause 0x1
	global_load_dword v0, v[108:109], off
	global_load_dword v103, v[100:101], off offset:16
	s_waitcnt vmcnt(1)
	global_store_dword v[100:101], v0, off offset:16
	s_waitcnt vmcnt(0)
	global_store_dword v[108:109], v103, off
.LBB44_98:
	s_or_b32 exec_lo, exec_lo, s2
	v_mov_b32_e32 v108, v102
	v_mov_b32_e32 v0, v102
.LBB44_99:
	s_or_b32 exec_lo, exec_lo, s1
.LBB44_100:
	s_andn2_saveexec_b32 s0, s0
	s_cbranch_execz .LBB44_102
; %bb.101:
	v_mov_b32_e32 v108, 4
	ds_write2_b64 v1, v[78:79], v[80:81] offset0:10 offset1:11
	ds_write2_b64 v1, v[66:67], v[68:69] offset0:12 offset1:13
	ds_write2_b64 v1, v[62:63], v[64:65] offset0:14 offset1:15
	ds_write2_b64 v1, v[58:59], v[60:61] offset0:16 offset1:17
	ds_write2_b64 v1, v[54:55], v[56:57] offset0:18 offset1:19
	ds_write2_b64 v1, v[50:51], v[52:53] offset0:20 offset1:21
	ds_write2_b64 v1, v[46:47], v[48:49] offset0:22 offset1:23
	ds_write2_b64 v1, v[42:43], v[44:45] offset0:24 offset1:25
	ds_write2_b64 v1, v[38:39], v[40:41] offset0:26 offset1:27
	ds_write2_b64 v1, v[34:35], v[36:37] offset0:28 offset1:29
	ds_write2_b64 v1, v[30:31], v[32:33] offset0:30 offset1:31
	ds_write2_b64 v1, v[26:27], v[28:29] offset0:32 offset1:33
	ds_write2_b64 v1, v[22:23], v[24:25] offset0:34 offset1:35
	ds_write2_b64 v1, v[18:19], v[20:21] offset0:36 offset1:37
	ds_write2_b64 v1, v[14:15], v[16:17] offset0:38 offset1:39
	ds_write2_b64 v1, v[10:11], v[12:13] offset0:40 offset1:41
	ds_write2_b64 v1, v[6:7], v[8:9] offset0:42 offset1:43
	ds_write2_b64 v1, v[2:3], v[4:5] offset0:44 offset1:45
.LBB44_102:
	s_or_b32 exec_lo, exec_lo, s0
	s_mov_b32 s0, exec_lo
	s_waitcnt lgkmcnt(0)
	s_waitcnt_vscnt null, 0x0
	s_barrier
	buffer_gl0_inv
	v_cmpx_lt_i32_e32 4, v108
	s_cbranch_execz .LBB44_104
; %bb.103:
	v_mul_f64 v[102:103], v[96:97], v[84:85]
	v_mul_f64 v[84:85], v[94:95], v[84:85]
	v_fma_f64 v[102:103], v[94:95], v[82:83], -v[102:103]
	v_fma_f64 v[84:85], v[96:97], v[82:83], v[84:85]
	ds_read2_b64 v[94:97], v1 offset0:10 offset1:11
	s_waitcnt lgkmcnt(0)
	v_mul_f64 v[82:83], v[96:97], v[84:85]
	v_fma_f64 v[82:83], v[94:95], v[102:103], -v[82:83]
	v_mul_f64 v[94:95], v[94:95], v[84:85]
	v_add_f64 v[78:79], v[78:79], -v[82:83]
	v_fma_f64 v[94:95], v[96:97], v[102:103], v[94:95]
	v_add_f64 v[80:81], v[80:81], -v[94:95]
	ds_read2_b64 v[94:97], v1 offset0:12 offset1:13
	s_waitcnt lgkmcnt(0)
	v_mul_f64 v[82:83], v[96:97], v[84:85]
	v_fma_f64 v[82:83], v[94:95], v[102:103], -v[82:83]
	v_mul_f64 v[94:95], v[94:95], v[84:85]
	v_add_f64 v[66:67], v[66:67], -v[82:83]
	v_fma_f64 v[94:95], v[96:97], v[102:103], v[94:95]
	v_add_f64 v[68:69], v[68:69], -v[94:95]
	;; [unrolled: 8-line block ×17, first 2 shown]
	ds_read2_b64 v[94:97], v1 offset0:44 offset1:45
	s_waitcnt lgkmcnt(0)
	v_mul_f64 v[82:83], v[96:97], v[84:85]
	v_fma_f64 v[82:83], v[94:95], v[102:103], -v[82:83]
	v_mul_f64 v[94:95], v[94:95], v[84:85]
	v_add_f64 v[2:3], v[2:3], -v[82:83]
	v_fma_f64 v[94:95], v[96:97], v[102:103], v[94:95]
	v_mov_b32_e32 v82, v102
	v_mov_b32_e32 v83, v103
	v_add_f64 v[4:5], v[4:5], -v[94:95]
.LBB44_104:
	s_or_b32 exec_lo, exec_lo, s0
	v_lshl_add_u32 v94, v108, 4, v1
	s_barrier
	buffer_gl0_inv
	v_mov_b32_e32 v102, 5
	ds_write2_b64 v94, v[78:79], v[80:81] offset1:1
	s_waitcnt lgkmcnt(0)
	s_barrier
	buffer_gl0_inv
	ds_read2_b64 v[94:97], v1 offset0:10 offset1:11
	s_cmp_lt_i32 s18, 7
	s_cbranch_scc1 .LBB44_107
; %bb.105:
	v_add3_u32 v103, v104, 0, 0x60
	v_mov_b32_e32 v102, 5
	s_mov_b32 s1, 6
	s_inst_prefetch 0x1
	.p2align	6
.LBB44_106:                             ; =>This Inner Loop Header: Depth=1
	s_waitcnt lgkmcnt(0)
	v_cmp_gt_f64_e32 vcc_lo, 0, v[96:97]
	v_cmp_gt_f64_e64 s0, 0, v[94:95]
	ds_read2_b64 v[109:112], v103 offset1:1
	v_xor_b32_e32 v114, 0x80000000, v95
	v_xor_b32_e32 v116, 0x80000000, v97
	v_mov_b32_e32 v113, v94
	v_mov_b32_e32 v115, v96
	v_add_nc_u32_e32 v103, 16, v103
	s_waitcnt lgkmcnt(0)
	v_xor_b32_e32 v118, 0x80000000, v112
	v_cndmask_b32_e64 v114, v95, v114, s0
	v_cndmask_b32_e32 v116, v97, v116, vcc_lo
	v_cmp_gt_f64_e32 vcc_lo, 0, v[111:112]
	v_cmp_gt_f64_e64 s0, 0, v[109:110]
	v_mov_b32_e32 v117, v111
	v_add_f64 v[113:114], v[113:114], v[115:116]
	v_xor_b32_e32 v116, 0x80000000, v110
	v_mov_b32_e32 v115, v109
	v_cndmask_b32_e32 v118, v112, v118, vcc_lo
	v_cndmask_b32_e64 v116, v110, v116, s0
	v_add_f64 v[115:116], v[115:116], v[117:118]
	v_cmp_lt_f64_e32 vcc_lo, v[113:114], v[115:116]
	v_cndmask_b32_e32 v95, v95, v110, vcc_lo
	v_cndmask_b32_e32 v94, v94, v109, vcc_lo
	;; [unrolled: 1-line block ×4, first 2 shown]
	v_cndmask_b32_e64 v102, v102, s1, vcc_lo
	s_add_i32 s1, s1, 1
	s_cmp_lg_u32 s18, s1
	s_cbranch_scc1 .LBB44_106
.LBB44_107:
	s_inst_prefetch 0x2
	s_waitcnt lgkmcnt(0)
	v_cmp_eq_f64_e32 vcc_lo, 0, v[94:95]
	v_cmp_eq_f64_e64 s0, 0, v[96:97]
	s_and_b32 s0, vcc_lo, s0
	s_and_saveexec_b32 s1, s0
	s_xor_b32 s0, exec_lo, s1
; %bb.108:
	v_cmp_ne_u32_e32 vcc_lo, 0, v107
	v_cndmask_b32_e32 v107, 6, v107, vcc_lo
; %bb.109:
	s_andn2_saveexec_b32 s0, s0
	s_cbranch_execz .LBB44_115
; %bb.110:
	v_cmp_ngt_f64_e64 s1, |v[94:95]|, |v[96:97]|
	s_and_saveexec_b32 s2, s1
	s_xor_b32 s1, exec_lo, s2
	s_cbranch_execz .LBB44_112
; %bb.111:
	v_div_scale_f64 v[109:110], null, v[96:97], v[96:97], v[94:95]
	v_div_scale_f64 v[115:116], vcc_lo, v[94:95], v[96:97], v[94:95]
	v_rcp_f64_e32 v[111:112], v[109:110]
	v_fma_f64 v[113:114], -v[109:110], v[111:112], 1.0
	v_fma_f64 v[111:112], v[111:112], v[113:114], v[111:112]
	v_fma_f64 v[113:114], -v[109:110], v[111:112], 1.0
	v_fma_f64 v[111:112], v[111:112], v[113:114], v[111:112]
	v_mul_f64 v[113:114], v[115:116], v[111:112]
	v_fma_f64 v[109:110], -v[109:110], v[113:114], v[115:116]
	v_div_fmas_f64 v[109:110], v[109:110], v[111:112], v[113:114]
	v_div_fixup_f64 v[109:110], v[109:110], v[96:97], v[94:95]
	v_fma_f64 v[94:95], v[94:95], v[109:110], v[96:97]
	v_div_scale_f64 v[96:97], null, v[94:95], v[94:95], 1.0
	v_rcp_f64_e32 v[111:112], v[96:97]
	v_fma_f64 v[113:114], -v[96:97], v[111:112], 1.0
	v_fma_f64 v[111:112], v[111:112], v[113:114], v[111:112]
	v_fma_f64 v[113:114], -v[96:97], v[111:112], 1.0
	v_fma_f64 v[111:112], v[111:112], v[113:114], v[111:112]
	v_div_scale_f64 v[113:114], vcc_lo, 1.0, v[94:95], 1.0
	v_mul_f64 v[115:116], v[113:114], v[111:112]
	v_fma_f64 v[96:97], -v[96:97], v[115:116], v[113:114]
	v_div_fmas_f64 v[96:97], v[96:97], v[111:112], v[115:116]
	v_div_fixup_f64 v[96:97], v[96:97], v[94:95], 1.0
	v_mul_f64 v[94:95], v[109:110], v[96:97]
	v_xor_b32_e32 v97, 0x80000000, v97
.LBB44_112:
	s_andn2_saveexec_b32 s1, s1
	s_cbranch_execz .LBB44_114
; %bb.113:
	v_div_scale_f64 v[109:110], null, v[94:95], v[94:95], v[96:97]
	v_div_scale_f64 v[115:116], vcc_lo, v[96:97], v[94:95], v[96:97]
	v_rcp_f64_e32 v[111:112], v[109:110]
	v_fma_f64 v[113:114], -v[109:110], v[111:112], 1.0
	v_fma_f64 v[111:112], v[111:112], v[113:114], v[111:112]
	v_fma_f64 v[113:114], -v[109:110], v[111:112], 1.0
	v_fma_f64 v[111:112], v[111:112], v[113:114], v[111:112]
	v_mul_f64 v[113:114], v[115:116], v[111:112]
	v_fma_f64 v[109:110], -v[109:110], v[113:114], v[115:116]
	v_div_fmas_f64 v[109:110], v[109:110], v[111:112], v[113:114]
	v_div_fixup_f64 v[109:110], v[109:110], v[94:95], v[96:97]
	v_fma_f64 v[94:95], v[96:97], v[109:110], v[94:95]
	v_div_scale_f64 v[96:97], null, v[94:95], v[94:95], 1.0
	v_rcp_f64_e32 v[111:112], v[96:97]
	v_fma_f64 v[113:114], -v[96:97], v[111:112], 1.0
	v_fma_f64 v[111:112], v[111:112], v[113:114], v[111:112]
	v_fma_f64 v[113:114], -v[96:97], v[111:112], 1.0
	v_fma_f64 v[111:112], v[111:112], v[113:114], v[111:112]
	v_div_scale_f64 v[113:114], vcc_lo, 1.0, v[94:95], 1.0
	v_mul_f64 v[115:116], v[113:114], v[111:112]
	v_fma_f64 v[96:97], -v[96:97], v[115:116], v[113:114]
	v_div_fmas_f64 v[96:97], v[96:97], v[111:112], v[115:116]
	v_div_fixup_f64 v[94:95], v[96:97], v[94:95], 1.0
	v_mul_f64 v[96:97], v[109:110], -v[94:95]
.LBB44_114:
	s_or_b32 exec_lo, exec_lo, s1
.LBB44_115:
	s_or_b32 exec_lo, exec_lo, s0
	s_mov_b32 s0, exec_lo
	v_cmpx_ne_u32_e64 v108, v102
	s_xor_b32 s0, exec_lo, s0
	s_cbranch_execz .LBB44_121
; %bb.116:
	s_mov_b32 s1, exec_lo
	v_cmpx_eq_u32_e32 5, v108
	s_cbranch_execz .LBB44_120
; %bb.117:
	v_cmp_ne_u32_e32 vcc_lo, 5, v102
	s_xor_b32 s2, s16, -1
	s_and_b32 s3, s2, vcc_lo
	s_and_saveexec_b32 s2, s3
	s_cbranch_execz .LBB44_119
; %bb.118:
	v_ashrrev_i32_e32 v103, 31, v102
	v_lshlrev_b64 v[108:109], 2, v[102:103]
	v_add_co_u32 v108, vcc_lo, v100, v108
	v_add_co_ci_u32_e64 v109, null, v101, v109, vcc_lo
	s_clause 0x1
	global_load_dword v0, v[108:109], off
	global_load_dword v103, v[100:101], off offset:20
	s_waitcnt vmcnt(1)
	global_store_dword v[100:101], v0, off offset:20
	s_waitcnt vmcnt(0)
	global_store_dword v[108:109], v103, off
.LBB44_119:
	s_or_b32 exec_lo, exec_lo, s2
	v_mov_b32_e32 v108, v102
	v_mov_b32_e32 v0, v102
.LBB44_120:
	s_or_b32 exec_lo, exec_lo, s1
.LBB44_121:
	s_andn2_saveexec_b32 s0, s0
	s_cbranch_execz .LBB44_123
; %bb.122:
	v_mov_b32_e32 v108, 5
	ds_write2_b64 v1, v[66:67], v[68:69] offset0:12 offset1:13
	ds_write2_b64 v1, v[62:63], v[64:65] offset0:14 offset1:15
	;; [unrolled: 1-line block ×17, first 2 shown]
.LBB44_123:
	s_or_b32 exec_lo, exec_lo, s0
	s_mov_b32 s0, exec_lo
	s_waitcnt lgkmcnt(0)
	s_waitcnt_vscnt null, 0x0
	s_barrier
	buffer_gl0_inv
	v_cmpx_lt_i32_e32 5, v108
	s_cbranch_execz .LBB44_125
; %bb.124:
	v_mul_f64 v[102:103], v[96:97], v[80:81]
	v_mul_f64 v[80:81], v[94:95], v[80:81]
	v_fma_f64 v[102:103], v[94:95], v[78:79], -v[102:103]
	v_fma_f64 v[80:81], v[96:97], v[78:79], v[80:81]
	ds_read2_b64 v[94:97], v1 offset0:12 offset1:13
	s_waitcnt lgkmcnt(0)
	v_mul_f64 v[78:79], v[96:97], v[80:81]
	v_fma_f64 v[78:79], v[94:95], v[102:103], -v[78:79]
	v_mul_f64 v[94:95], v[94:95], v[80:81]
	v_add_f64 v[66:67], v[66:67], -v[78:79]
	v_fma_f64 v[94:95], v[96:97], v[102:103], v[94:95]
	v_add_f64 v[68:69], v[68:69], -v[94:95]
	ds_read2_b64 v[94:97], v1 offset0:14 offset1:15
	s_waitcnt lgkmcnt(0)
	v_mul_f64 v[78:79], v[96:97], v[80:81]
	v_fma_f64 v[78:79], v[94:95], v[102:103], -v[78:79]
	v_mul_f64 v[94:95], v[94:95], v[80:81]
	v_add_f64 v[62:63], v[62:63], -v[78:79]
	v_fma_f64 v[94:95], v[96:97], v[102:103], v[94:95]
	v_add_f64 v[64:65], v[64:65], -v[94:95]
	;; [unrolled: 8-line block ×16, first 2 shown]
	ds_read2_b64 v[94:97], v1 offset0:44 offset1:45
	s_waitcnt lgkmcnt(0)
	v_mul_f64 v[78:79], v[96:97], v[80:81]
	v_fma_f64 v[78:79], v[94:95], v[102:103], -v[78:79]
	v_mul_f64 v[94:95], v[94:95], v[80:81]
	v_add_f64 v[2:3], v[2:3], -v[78:79]
	v_fma_f64 v[94:95], v[96:97], v[102:103], v[94:95]
	v_mov_b32_e32 v78, v102
	v_mov_b32_e32 v79, v103
	v_add_f64 v[4:5], v[4:5], -v[94:95]
.LBB44_125:
	s_or_b32 exec_lo, exec_lo, s0
	v_lshl_add_u32 v94, v108, 4, v1
	s_barrier
	buffer_gl0_inv
	v_mov_b32_e32 v102, 6
	ds_write2_b64 v94, v[66:67], v[68:69] offset1:1
	s_waitcnt lgkmcnt(0)
	s_barrier
	buffer_gl0_inv
	ds_read2_b64 v[94:97], v1 offset0:12 offset1:13
	s_cmp_lt_i32 s18, 8
	s_cbranch_scc1 .LBB44_128
; %bb.126:
	v_add3_u32 v103, v104, 0, 0x70
	v_mov_b32_e32 v102, 6
	s_mov_b32 s1, 7
	s_inst_prefetch 0x1
	.p2align	6
.LBB44_127:                             ; =>This Inner Loop Header: Depth=1
	s_waitcnt lgkmcnt(0)
	v_cmp_gt_f64_e32 vcc_lo, 0, v[96:97]
	v_cmp_gt_f64_e64 s0, 0, v[94:95]
	ds_read2_b64 v[109:112], v103 offset1:1
	v_xor_b32_e32 v114, 0x80000000, v95
	v_xor_b32_e32 v116, 0x80000000, v97
	v_mov_b32_e32 v113, v94
	v_mov_b32_e32 v115, v96
	v_add_nc_u32_e32 v103, 16, v103
	s_waitcnt lgkmcnt(0)
	v_xor_b32_e32 v118, 0x80000000, v112
	v_cndmask_b32_e64 v114, v95, v114, s0
	v_cndmask_b32_e32 v116, v97, v116, vcc_lo
	v_cmp_gt_f64_e32 vcc_lo, 0, v[111:112]
	v_cmp_gt_f64_e64 s0, 0, v[109:110]
	v_mov_b32_e32 v117, v111
	v_add_f64 v[113:114], v[113:114], v[115:116]
	v_xor_b32_e32 v116, 0x80000000, v110
	v_mov_b32_e32 v115, v109
	v_cndmask_b32_e32 v118, v112, v118, vcc_lo
	v_cndmask_b32_e64 v116, v110, v116, s0
	v_add_f64 v[115:116], v[115:116], v[117:118]
	v_cmp_lt_f64_e32 vcc_lo, v[113:114], v[115:116]
	v_cndmask_b32_e32 v95, v95, v110, vcc_lo
	v_cndmask_b32_e32 v94, v94, v109, vcc_lo
	;; [unrolled: 1-line block ×4, first 2 shown]
	v_cndmask_b32_e64 v102, v102, s1, vcc_lo
	s_add_i32 s1, s1, 1
	s_cmp_lg_u32 s18, s1
	s_cbranch_scc1 .LBB44_127
.LBB44_128:
	s_inst_prefetch 0x2
	s_waitcnt lgkmcnt(0)
	v_cmp_eq_f64_e32 vcc_lo, 0, v[94:95]
	v_cmp_eq_f64_e64 s0, 0, v[96:97]
	s_and_b32 s0, vcc_lo, s0
	s_and_saveexec_b32 s1, s0
	s_xor_b32 s0, exec_lo, s1
; %bb.129:
	v_cmp_ne_u32_e32 vcc_lo, 0, v107
	v_cndmask_b32_e32 v107, 7, v107, vcc_lo
; %bb.130:
	s_andn2_saveexec_b32 s0, s0
	s_cbranch_execz .LBB44_136
; %bb.131:
	v_cmp_ngt_f64_e64 s1, |v[94:95]|, |v[96:97]|
	s_and_saveexec_b32 s2, s1
	s_xor_b32 s1, exec_lo, s2
	s_cbranch_execz .LBB44_133
; %bb.132:
	v_div_scale_f64 v[109:110], null, v[96:97], v[96:97], v[94:95]
	v_div_scale_f64 v[115:116], vcc_lo, v[94:95], v[96:97], v[94:95]
	v_rcp_f64_e32 v[111:112], v[109:110]
	v_fma_f64 v[113:114], -v[109:110], v[111:112], 1.0
	v_fma_f64 v[111:112], v[111:112], v[113:114], v[111:112]
	v_fma_f64 v[113:114], -v[109:110], v[111:112], 1.0
	v_fma_f64 v[111:112], v[111:112], v[113:114], v[111:112]
	v_mul_f64 v[113:114], v[115:116], v[111:112]
	v_fma_f64 v[109:110], -v[109:110], v[113:114], v[115:116]
	v_div_fmas_f64 v[109:110], v[109:110], v[111:112], v[113:114]
	v_div_fixup_f64 v[109:110], v[109:110], v[96:97], v[94:95]
	v_fma_f64 v[94:95], v[94:95], v[109:110], v[96:97]
	v_div_scale_f64 v[96:97], null, v[94:95], v[94:95], 1.0
	v_rcp_f64_e32 v[111:112], v[96:97]
	v_fma_f64 v[113:114], -v[96:97], v[111:112], 1.0
	v_fma_f64 v[111:112], v[111:112], v[113:114], v[111:112]
	v_fma_f64 v[113:114], -v[96:97], v[111:112], 1.0
	v_fma_f64 v[111:112], v[111:112], v[113:114], v[111:112]
	v_div_scale_f64 v[113:114], vcc_lo, 1.0, v[94:95], 1.0
	v_mul_f64 v[115:116], v[113:114], v[111:112]
	v_fma_f64 v[96:97], -v[96:97], v[115:116], v[113:114]
	v_div_fmas_f64 v[96:97], v[96:97], v[111:112], v[115:116]
	v_div_fixup_f64 v[96:97], v[96:97], v[94:95], 1.0
	v_mul_f64 v[94:95], v[109:110], v[96:97]
	v_xor_b32_e32 v97, 0x80000000, v97
.LBB44_133:
	s_andn2_saveexec_b32 s1, s1
	s_cbranch_execz .LBB44_135
; %bb.134:
	v_div_scale_f64 v[109:110], null, v[94:95], v[94:95], v[96:97]
	v_div_scale_f64 v[115:116], vcc_lo, v[96:97], v[94:95], v[96:97]
	v_rcp_f64_e32 v[111:112], v[109:110]
	v_fma_f64 v[113:114], -v[109:110], v[111:112], 1.0
	v_fma_f64 v[111:112], v[111:112], v[113:114], v[111:112]
	v_fma_f64 v[113:114], -v[109:110], v[111:112], 1.0
	v_fma_f64 v[111:112], v[111:112], v[113:114], v[111:112]
	v_mul_f64 v[113:114], v[115:116], v[111:112]
	v_fma_f64 v[109:110], -v[109:110], v[113:114], v[115:116]
	v_div_fmas_f64 v[109:110], v[109:110], v[111:112], v[113:114]
	v_div_fixup_f64 v[109:110], v[109:110], v[94:95], v[96:97]
	v_fma_f64 v[94:95], v[96:97], v[109:110], v[94:95]
	v_div_scale_f64 v[96:97], null, v[94:95], v[94:95], 1.0
	v_rcp_f64_e32 v[111:112], v[96:97]
	v_fma_f64 v[113:114], -v[96:97], v[111:112], 1.0
	v_fma_f64 v[111:112], v[111:112], v[113:114], v[111:112]
	v_fma_f64 v[113:114], -v[96:97], v[111:112], 1.0
	v_fma_f64 v[111:112], v[111:112], v[113:114], v[111:112]
	v_div_scale_f64 v[113:114], vcc_lo, 1.0, v[94:95], 1.0
	v_mul_f64 v[115:116], v[113:114], v[111:112]
	v_fma_f64 v[96:97], -v[96:97], v[115:116], v[113:114]
	v_div_fmas_f64 v[96:97], v[96:97], v[111:112], v[115:116]
	v_div_fixup_f64 v[94:95], v[96:97], v[94:95], 1.0
	v_mul_f64 v[96:97], v[109:110], -v[94:95]
.LBB44_135:
	s_or_b32 exec_lo, exec_lo, s1
.LBB44_136:
	s_or_b32 exec_lo, exec_lo, s0
	s_mov_b32 s0, exec_lo
	v_cmpx_ne_u32_e64 v108, v102
	s_xor_b32 s0, exec_lo, s0
	s_cbranch_execz .LBB44_142
; %bb.137:
	s_mov_b32 s1, exec_lo
	v_cmpx_eq_u32_e32 6, v108
	s_cbranch_execz .LBB44_141
; %bb.138:
	v_cmp_ne_u32_e32 vcc_lo, 6, v102
	s_xor_b32 s2, s16, -1
	s_and_b32 s3, s2, vcc_lo
	s_and_saveexec_b32 s2, s3
	s_cbranch_execz .LBB44_140
; %bb.139:
	v_ashrrev_i32_e32 v103, 31, v102
	v_lshlrev_b64 v[108:109], 2, v[102:103]
	v_add_co_u32 v108, vcc_lo, v100, v108
	v_add_co_ci_u32_e64 v109, null, v101, v109, vcc_lo
	s_clause 0x1
	global_load_dword v0, v[108:109], off
	global_load_dword v103, v[100:101], off offset:24
	s_waitcnt vmcnt(1)
	global_store_dword v[100:101], v0, off offset:24
	s_waitcnt vmcnt(0)
	global_store_dword v[108:109], v103, off
.LBB44_140:
	s_or_b32 exec_lo, exec_lo, s2
	v_mov_b32_e32 v108, v102
	v_mov_b32_e32 v0, v102
.LBB44_141:
	s_or_b32 exec_lo, exec_lo, s1
.LBB44_142:
	s_andn2_saveexec_b32 s0, s0
	s_cbranch_execz .LBB44_144
; %bb.143:
	v_mov_b32_e32 v108, 6
	ds_write2_b64 v1, v[62:63], v[64:65] offset0:14 offset1:15
	ds_write2_b64 v1, v[58:59], v[60:61] offset0:16 offset1:17
	;; [unrolled: 1-line block ×16, first 2 shown]
.LBB44_144:
	s_or_b32 exec_lo, exec_lo, s0
	s_mov_b32 s0, exec_lo
	s_waitcnt lgkmcnt(0)
	s_waitcnt_vscnt null, 0x0
	s_barrier
	buffer_gl0_inv
	v_cmpx_lt_i32_e32 6, v108
	s_cbranch_execz .LBB44_146
; %bb.145:
	v_mul_f64 v[102:103], v[94:95], v[68:69]
	v_mul_f64 v[68:69], v[96:97], v[68:69]
	v_fma_f64 v[102:103], v[96:97], v[66:67], v[102:103]
	v_fma_f64 v[66:67], v[94:95], v[66:67], -v[68:69]
	ds_read2_b64 v[94:97], v1 offset0:14 offset1:15
	s_waitcnt lgkmcnt(0)
	v_mul_f64 v[68:69], v[96:97], v[102:103]
	v_fma_f64 v[68:69], v[94:95], v[66:67], -v[68:69]
	v_mul_f64 v[94:95], v[94:95], v[102:103]
	v_add_f64 v[62:63], v[62:63], -v[68:69]
	v_fma_f64 v[94:95], v[96:97], v[66:67], v[94:95]
	v_add_f64 v[64:65], v[64:65], -v[94:95]
	ds_read2_b64 v[94:97], v1 offset0:16 offset1:17
	s_waitcnt lgkmcnt(0)
	v_mul_f64 v[68:69], v[96:97], v[102:103]
	v_fma_f64 v[68:69], v[94:95], v[66:67], -v[68:69]
	v_mul_f64 v[94:95], v[94:95], v[102:103]
	v_add_f64 v[58:59], v[58:59], -v[68:69]
	v_fma_f64 v[94:95], v[96:97], v[66:67], v[94:95]
	v_add_f64 v[60:61], v[60:61], -v[94:95]
	ds_read2_b64 v[94:97], v1 offset0:18 offset1:19
	s_waitcnt lgkmcnt(0)
	v_mul_f64 v[68:69], v[96:97], v[102:103]
	v_fma_f64 v[68:69], v[94:95], v[66:67], -v[68:69]
	v_mul_f64 v[94:95], v[94:95], v[102:103]
	v_add_f64 v[54:55], v[54:55], -v[68:69]
	v_fma_f64 v[94:95], v[96:97], v[66:67], v[94:95]
	v_add_f64 v[56:57], v[56:57], -v[94:95]
	ds_read2_b64 v[94:97], v1 offset0:20 offset1:21
	s_waitcnt lgkmcnt(0)
	v_mul_f64 v[68:69], v[96:97], v[102:103]
	v_fma_f64 v[68:69], v[94:95], v[66:67], -v[68:69]
	v_mul_f64 v[94:95], v[94:95], v[102:103]
	v_add_f64 v[50:51], v[50:51], -v[68:69]
	v_fma_f64 v[94:95], v[96:97], v[66:67], v[94:95]
	v_add_f64 v[52:53], v[52:53], -v[94:95]
	ds_read2_b64 v[94:97], v1 offset0:22 offset1:23
	s_waitcnt lgkmcnt(0)
	v_mul_f64 v[68:69], v[96:97], v[102:103]
	v_fma_f64 v[68:69], v[94:95], v[66:67], -v[68:69]
	v_mul_f64 v[94:95], v[94:95], v[102:103]
	v_add_f64 v[46:47], v[46:47], -v[68:69]
	v_fma_f64 v[94:95], v[96:97], v[66:67], v[94:95]
	v_add_f64 v[48:49], v[48:49], -v[94:95]
	ds_read2_b64 v[94:97], v1 offset0:24 offset1:25
	s_waitcnt lgkmcnt(0)
	v_mul_f64 v[68:69], v[96:97], v[102:103]
	v_fma_f64 v[68:69], v[94:95], v[66:67], -v[68:69]
	v_mul_f64 v[94:95], v[94:95], v[102:103]
	v_add_f64 v[42:43], v[42:43], -v[68:69]
	v_fma_f64 v[94:95], v[96:97], v[66:67], v[94:95]
	v_add_f64 v[44:45], v[44:45], -v[94:95]
	ds_read2_b64 v[94:97], v1 offset0:26 offset1:27
	s_waitcnt lgkmcnt(0)
	v_mul_f64 v[68:69], v[96:97], v[102:103]
	v_fma_f64 v[68:69], v[94:95], v[66:67], -v[68:69]
	v_mul_f64 v[94:95], v[94:95], v[102:103]
	v_add_f64 v[38:39], v[38:39], -v[68:69]
	v_fma_f64 v[94:95], v[96:97], v[66:67], v[94:95]
	v_add_f64 v[40:41], v[40:41], -v[94:95]
	ds_read2_b64 v[94:97], v1 offset0:28 offset1:29
	s_waitcnt lgkmcnt(0)
	v_mul_f64 v[68:69], v[96:97], v[102:103]
	v_fma_f64 v[68:69], v[94:95], v[66:67], -v[68:69]
	v_mul_f64 v[94:95], v[94:95], v[102:103]
	v_add_f64 v[34:35], v[34:35], -v[68:69]
	v_fma_f64 v[94:95], v[96:97], v[66:67], v[94:95]
	v_add_f64 v[36:37], v[36:37], -v[94:95]
	ds_read2_b64 v[94:97], v1 offset0:30 offset1:31
	s_waitcnt lgkmcnt(0)
	v_mul_f64 v[68:69], v[96:97], v[102:103]
	v_fma_f64 v[68:69], v[94:95], v[66:67], -v[68:69]
	v_mul_f64 v[94:95], v[94:95], v[102:103]
	v_add_f64 v[30:31], v[30:31], -v[68:69]
	v_fma_f64 v[94:95], v[96:97], v[66:67], v[94:95]
	v_add_f64 v[32:33], v[32:33], -v[94:95]
	ds_read2_b64 v[94:97], v1 offset0:32 offset1:33
	s_waitcnt lgkmcnt(0)
	v_mul_f64 v[68:69], v[96:97], v[102:103]
	v_fma_f64 v[68:69], v[94:95], v[66:67], -v[68:69]
	v_mul_f64 v[94:95], v[94:95], v[102:103]
	v_add_f64 v[26:27], v[26:27], -v[68:69]
	v_fma_f64 v[94:95], v[96:97], v[66:67], v[94:95]
	v_add_f64 v[28:29], v[28:29], -v[94:95]
	ds_read2_b64 v[94:97], v1 offset0:34 offset1:35
	s_waitcnt lgkmcnt(0)
	v_mul_f64 v[68:69], v[96:97], v[102:103]
	v_fma_f64 v[68:69], v[94:95], v[66:67], -v[68:69]
	v_mul_f64 v[94:95], v[94:95], v[102:103]
	v_add_f64 v[22:23], v[22:23], -v[68:69]
	v_fma_f64 v[94:95], v[96:97], v[66:67], v[94:95]
	v_add_f64 v[24:25], v[24:25], -v[94:95]
	ds_read2_b64 v[94:97], v1 offset0:36 offset1:37
	s_waitcnt lgkmcnt(0)
	v_mul_f64 v[68:69], v[96:97], v[102:103]
	v_fma_f64 v[68:69], v[94:95], v[66:67], -v[68:69]
	v_mul_f64 v[94:95], v[94:95], v[102:103]
	v_add_f64 v[18:19], v[18:19], -v[68:69]
	v_fma_f64 v[94:95], v[96:97], v[66:67], v[94:95]
	v_add_f64 v[20:21], v[20:21], -v[94:95]
	ds_read2_b64 v[94:97], v1 offset0:38 offset1:39
	s_waitcnt lgkmcnt(0)
	v_mul_f64 v[68:69], v[96:97], v[102:103]
	v_fma_f64 v[68:69], v[94:95], v[66:67], -v[68:69]
	v_mul_f64 v[94:95], v[94:95], v[102:103]
	v_add_f64 v[14:15], v[14:15], -v[68:69]
	v_fma_f64 v[94:95], v[96:97], v[66:67], v[94:95]
	v_add_f64 v[16:17], v[16:17], -v[94:95]
	ds_read2_b64 v[94:97], v1 offset0:40 offset1:41
	s_waitcnt lgkmcnt(0)
	v_mul_f64 v[68:69], v[96:97], v[102:103]
	v_fma_f64 v[68:69], v[94:95], v[66:67], -v[68:69]
	v_mul_f64 v[94:95], v[94:95], v[102:103]
	v_add_f64 v[10:11], v[10:11], -v[68:69]
	v_fma_f64 v[94:95], v[96:97], v[66:67], v[94:95]
	v_add_f64 v[12:13], v[12:13], -v[94:95]
	ds_read2_b64 v[94:97], v1 offset0:42 offset1:43
	s_waitcnt lgkmcnt(0)
	v_mul_f64 v[68:69], v[96:97], v[102:103]
	v_fma_f64 v[68:69], v[94:95], v[66:67], -v[68:69]
	v_mul_f64 v[94:95], v[94:95], v[102:103]
	v_add_f64 v[6:7], v[6:7], -v[68:69]
	v_fma_f64 v[94:95], v[96:97], v[66:67], v[94:95]
	v_add_f64 v[8:9], v[8:9], -v[94:95]
	ds_read2_b64 v[94:97], v1 offset0:44 offset1:45
	s_waitcnt lgkmcnt(0)
	v_mul_f64 v[68:69], v[96:97], v[102:103]
	v_fma_f64 v[68:69], v[94:95], v[66:67], -v[68:69]
	v_mul_f64 v[94:95], v[94:95], v[102:103]
	v_add_f64 v[2:3], v[2:3], -v[68:69]
	v_fma_f64 v[94:95], v[96:97], v[66:67], v[94:95]
	v_mov_b32_e32 v68, v102
	v_mov_b32_e32 v69, v103
	v_add_f64 v[4:5], v[4:5], -v[94:95]
.LBB44_146:
	s_or_b32 exec_lo, exec_lo, s0
	v_lshl_add_u32 v94, v108, 4, v1
	s_barrier
	buffer_gl0_inv
	v_mov_b32_e32 v102, 7
	ds_write2_b64 v94, v[62:63], v[64:65] offset1:1
	s_waitcnt lgkmcnt(0)
	s_barrier
	buffer_gl0_inv
	ds_read2_b64 v[94:97], v1 offset0:14 offset1:15
	s_cmp_lt_i32 s18, 9
	s_cbranch_scc1 .LBB44_149
; %bb.147:
	v_add3_u32 v103, v104, 0, 0x80
	v_mov_b32_e32 v102, 7
	s_mov_b32 s1, 8
	s_inst_prefetch 0x1
	.p2align	6
.LBB44_148:                             ; =>This Inner Loop Header: Depth=1
	s_waitcnt lgkmcnt(0)
	v_cmp_gt_f64_e32 vcc_lo, 0, v[96:97]
	v_cmp_gt_f64_e64 s0, 0, v[94:95]
	ds_read2_b64 v[109:112], v103 offset1:1
	v_xor_b32_e32 v114, 0x80000000, v95
	v_xor_b32_e32 v116, 0x80000000, v97
	v_mov_b32_e32 v113, v94
	v_mov_b32_e32 v115, v96
	v_add_nc_u32_e32 v103, 16, v103
	s_waitcnt lgkmcnt(0)
	v_xor_b32_e32 v118, 0x80000000, v112
	v_cndmask_b32_e64 v114, v95, v114, s0
	v_cndmask_b32_e32 v116, v97, v116, vcc_lo
	v_cmp_gt_f64_e32 vcc_lo, 0, v[111:112]
	v_cmp_gt_f64_e64 s0, 0, v[109:110]
	v_mov_b32_e32 v117, v111
	v_add_f64 v[113:114], v[113:114], v[115:116]
	v_xor_b32_e32 v116, 0x80000000, v110
	v_mov_b32_e32 v115, v109
	v_cndmask_b32_e32 v118, v112, v118, vcc_lo
	v_cndmask_b32_e64 v116, v110, v116, s0
	v_add_f64 v[115:116], v[115:116], v[117:118]
	v_cmp_lt_f64_e32 vcc_lo, v[113:114], v[115:116]
	v_cndmask_b32_e32 v95, v95, v110, vcc_lo
	v_cndmask_b32_e32 v94, v94, v109, vcc_lo
	;; [unrolled: 1-line block ×4, first 2 shown]
	v_cndmask_b32_e64 v102, v102, s1, vcc_lo
	s_add_i32 s1, s1, 1
	s_cmp_lg_u32 s18, s1
	s_cbranch_scc1 .LBB44_148
.LBB44_149:
	s_inst_prefetch 0x2
	s_waitcnt lgkmcnt(0)
	v_cmp_eq_f64_e32 vcc_lo, 0, v[94:95]
	v_cmp_eq_f64_e64 s0, 0, v[96:97]
	s_and_b32 s0, vcc_lo, s0
	s_and_saveexec_b32 s1, s0
	s_xor_b32 s0, exec_lo, s1
; %bb.150:
	v_cmp_ne_u32_e32 vcc_lo, 0, v107
	v_cndmask_b32_e32 v107, 8, v107, vcc_lo
; %bb.151:
	s_andn2_saveexec_b32 s0, s0
	s_cbranch_execz .LBB44_157
; %bb.152:
	v_cmp_ngt_f64_e64 s1, |v[94:95]|, |v[96:97]|
	s_and_saveexec_b32 s2, s1
	s_xor_b32 s1, exec_lo, s2
	s_cbranch_execz .LBB44_154
; %bb.153:
	v_div_scale_f64 v[109:110], null, v[96:97], v[96:97], v[94:95]
	v_div_scale_f64 v[115:116], vcc_lo, v[94:95], v[96:97], v[94:95]
	v_rcp_f64_e32 v[111:112], v[109:110]
	v_fma_f64 v[113:114], -v[109:110], v[111:112], 1.0
	v_fma_f64 v[111:112], v[111:112], v[113:114], v[111:112]
	v_fma_f64 v[113:114], -v[109:110], v[111:112], 1.0
	v_fma_f64 v[111:112], v[111:112], v[113:114], v[111:112]
	v_mul_f64 v[113:114], v[115:116], v[111:112]
	v_fma_f64 v[109:110], -v[109:110], v[113:114], v[115:116]
	v_div_fmas_f64 v[109:110], v[109:110], v[111:112], v[113:114]
	v_div_fixup_f64 v[109:110], v[109:110], v[96:97], v[94:95]
	v_fma_f64 v[94:95], v[94:95], v[109:110], v[96:97]
	v_div_scale_f64 v[96:97], null, v[94:95], v[94:95], 1.0
	v_rcp_f64_e32 v[111:112], v[96:97]
	v_fma_f64 v[113:114], -v[96:97], v[111:112], 1.0
	v_fma_f64 v[111:112], v[111:112], v[113:114], v[111:112]
	v_fma_f64 v[113:114], -v[96:97], v[111:112], 1.0
	v_fma_f64 v[111:112], v[111:112], v[113:114], v[111:112]
	v_div_scale_f64 v[113:114], vcc_lo, 1.0, v[94:95], 1.0
	v_mul_f64 v[115:116], v[113:114], v[111:112]
	v_fma_f64 v[96:97], -v[96:97], v[115:116], v[113:114]
	v_div_fmas_f64 v[96:97], v[96:97], v[111:112], v[115:116]
	v_div_fixup_f64 v[96:97], v[96:97], v[94:95], 1.0
	v_mul_f64 v[94:95], v[109:110], v[96:97]
	v_xor_b32_e32 v97, 0x80000000, v97
.LBB44_154:
	s_andn2_saveexec_b32 s1, s1
	s_cbranch_execz .LBB44_156
; %bb.155:
	v_div_scale_f64 v[109:110], null, v[94:95], v[94:95], v[96:97]
	v_div_scale_f64 v[115:116], vcc_lo, v[96:97], v[94:95], v[96:97]
	v_rcp_f64_e32 v[111:112], v[109:110]
	v_fma_f64 v[113:114], -v[109:110], v[111:112], 1.0
	v_fma_f64 v[111:112], v[111:112], v[113:114], v[111:112]
	v_fma_f64 v[113:114], -v[109:110], v[111:112], 1.0
	v_fma_f64 v[111:112], v[111:112], v[113:114], v[111:112]
	v_mul_f64 v[113:114], v[115:116], v[111:112]
	v_fma_f64 v[109:110], -v[109:110], v[113:114], v[115:116]
	v_div_fmas_f64 v[109:110], v[109:110], v[111:112], v[113:114]
	v_div_fixup_f64 v[109:110], v[109:110], v[94:95], v[96:97]
	v_fma_f64 v[94:95], v[96:97], v[109:110], v[94:95]
	v_div_scale_f64 v[96:97], null, v[94:95], v[94:95], 1.0
	v_rcp_f64_e32 v[111:112], v[96:97]
	v_fma_f64 v[113:114], -v[96:97], v[111:112], 1.0
	v_fma_f64 v[111:112], v[111:112], v[113:114], v[111:112]
	v_fma_f64 v[113:114], -v[96:97], v[111:112], 1.0
	v_fma_f64 v[111:112], v[111:112], v[113:114], v[111:112]
	v_div_scale_f64 v[113:114], vcc_lo, 1.0, v[94:95], 1.0
	v_mul_f64 v[115:116], v[113:114], v[111:112]
	v_fma_f64 v[96:97], -v[96:97], v[115:116], v[113:114]
	v_div_fmas_f64 v[96:97], v[96:97], v[111:112], v[115:116]
	v_div_fixup_f64 v[94:95], v[96:97], v[94:95], 1.0
	v_mul_f64 v[96:97], v[109:110], -v[94:95]
.LBB44_156:
	s_or_b32 exec_lo, exec_lo, s1
.LBB44_157:
	s_or_b32 exec_lo, exec_lo, s0
	s_mov_b32 s0, exec_lo
	v_cmpx_ne_u32_e64 v108, v102
	s_xor_b32 s0, exec_lo, s0
	s_cbranch_execz .LBB44_163
; %bb.158:
	s_mov_b32 s1, exec_lo
	v_cmpx_eq_u32_e32 7, v108
	s_cbranch_execz .LBB44_162
; %bb.159:
	v_cmp_ne_u32_e32 vcc_lo, 7, v102
	s_xor_b32 s2, s16, -1
	s_and_b32 s3, s2, vcc_lo
	s_and_saveexec_b32 s2, s3
	s_cbranch_execz .LBB44_161
; %bb.160:
	v_ashrrev_i32_e32 v103, 31, v102
	v_lshlrev_b64 v[108:109], 2, v[102:103]
	v_add_co_u32 v108, vcc_lo, v100, v108
	v_add_co_ci_u32_e64 v109, null, v101, v109, vcc_lo
	s_clause 0x1
	global_load_dword v0, v[108:109], off
	global_load_dword v103, v[100:101], off offset:28
	s_waitcnt vmcnt(1)
	global_store_dword v[100:101], v0, off offset:28
	s_waitcnt vmcnt(0)
	global_store_dword v[108:109], v103, off
.LBB44_161:
	s_or_b32 exec_lo, exec_lo, s2
	v_mov_b32_e32 v108, v102
	v_mov_b32_e32 v0, v102
.LBB44_162:
	s_or_b32 exec_lo, exec_lo, s1
.LBB44_163:
	s_andn2_saveexec_b32 s0, s0
	s_cbranch_execz .LBB44_165
; %bb.164:
	v_mov_b32_e32 v108, 7
	ds_write2_b64 v1, v[58:59], v[60:61] offset0:16 offset1:17
	ds_write2_b64 v1, v[54:55], v[56:57] offset0:18 offset1:19
	;; [unrolled: 1-line block ×15, first 2 shown]
.LBB44_165:
	s_or_b32 exec_lo, exec_lo, s0
	s_mov_b32 s0, exec_lo
	s_waitcnt lgkmcnt(0)
	s_waitcnt_vscnt null, 0x0
	s_barrier
	buffer_gl0_inv
	v_cmpx_lt_i32_e32 7, v108
	s_cbranch_execz .LBB44_167
; %bb.166:
	v_mul_f64 v[102:103], v[94:95], v[64:65]
	v_mul_f64 v[64:65], v[96:97], v[64:65]
	v_fma_f64 v[102:103], v[96:97], v[62:63], v[102:103]
	v_fma_f64 v[62:63], v[94:95], v[62:63], -v[64:65]
	ds_read2_b64 v[94:97], v1 offset0:16 offset1:17
	s_waitcnt lgkmcnt(0)
	v_mul_f64 v[64:65], v[96:97], v[102:103]
	v_fma_f64 v[64:65], v[94:95], v[62:63], -v[64:65]
	v_mul_f64 v[94:95], v[94:95], v[102:103]
	v_add_f64 v[58:59], v[58:59], -v[64:65]
	v_fma_f64 v[94:95], v[96:97], v[62:63], v[94:95]
	v_add_f64 v[60:61], v[60:61], -v[94:95]
	ds_read2_b64 v[94:97], v1 offset0:18 offset1:19
	s_waitcnt lgkmcnt(0)
	v_mul_f64 v[64:65], v[96:97], v[102:103]
	v_fma_f64 v[64:65], v[94:95], v[62:63], -v[64:65]
	v_mul_f64 v[94:95], v[94:95], v[102:103]
	v_add_f64 v[54:55], v[54:55], -v[64:65]
	v_fma_f64 v[94:95], v[96:97], v[62:63], v[94:95]
	v_add_f64 v[56:57], v[56:57], -v[94:95]
	ds_read2_b64 v[94:97], v1 offset0:20 offset1:21
	s_waitcnt lgkmcnt(0)
	v_mul_f64 v[64:65], v[96:97], v[102:103]
	v_fma_f64 v[64:65], v[94:95], v[62:63], -v[64:65]
	v_mul_f64 v[94:95], v[94:95], v[102:103]
	v_add_f64 v[50:51], v[50:51], -v[64:65]
	v_fma_f64 v[94:95], v[96:97], v[62:63], v[94:95]
	v_add_f64 v[52:53], v[52:53], -v[94:95]
	ds_read2_b64 v[94:97], v1 offset0:22 offset1:23
	s_waitcnt lgkmcnt(0)
	v_mul_f64 v[64:65], v[96:97], v[102:103]
	v_fma_f64 v[64:65], v[94:95], v[62:63], -v[64:65]
	v_mul_f64 v[94:95], v[94:95], v[102:103]
	v_add_f64 v[46:47], v[46:47], -v[64:65]
	v_fma_f64 v[94:95], v[96:97], v[62:63], v[94:95]
	v_add_f64 v[48:49], v[48:49], -v[94:95]
	ds_read2_b64 v[94:97], v1 offset0:24 offset1:25
	s_waitcnt lgkmcnt(0)
	v_mul_f64 v[64:65], v[96:97], v[102:103]
	v_fma_f64 v[64:65], v[94:95], v[62:63], -v[64:65]
	v_mul_f64 v[94:95], v[94:95], v[102:103]
	v_add_f64 v[42:43], v[42:43], -v[64:65]
	v_fma_f64 v[94:95], v[96:97], v[62:63], v[94:95]
	v_add_f64 v[44:45], v[44:45], -v[94:95]
	ds_read2_b64 v[94:97], v1 offset0:26 offset1:27
	s_waitcnt lgkmcnt(0)
	v_mul_f64 v[64:65], v[96:97], v[102:103]
	v_fma_f64 v[64:65], v[94:95], v[62:63], -v[64:65]
	v_mul_f64 v[94:95], v[94:95], v[102:103]
	v_add_f64 v[38:39], v[38:39], -v[64:65]
	v_fma_f64 v[94:95], v[96:97], v[62:63], v[94:95]
	v_add_f64 v[40:41], v[40:41], -v[94:95]
	ds_read2_b64 v[94:97], v1 offset0:28 offset1:29
	s_waitcnt lgkmcnt(0)
	v_mul_f64 v[64:65], v[96:97], v[102:103]
	v_fma_f64 v[64:65], v[94:95], v[62:63], -v[64:65]
	v_mul_f64 v[94:95], v[94:95], v[102:103]
	v_add_f64 v[34:35], v[34:35], -v[64:65]
	v_fma_f64 v[94:95], v[96:97], v[62:63], v[94:95]
	v_add_f64 v[36:37], v[36:37], -v[94:95]
	ds_read2_b64 v[94:97], v1 offset0:30 offset1:31
	s_waitcnt lgkmcnt(0)
	v_mul_f64 v[64:65], v[96:97], v[102:103]
	v_fma_f64 v[64:65], v[94:95], v[62:63], -v[64:65]
	v_mul_f64 v[94:95], v[94:95], v[102:103]
	v_add_f64 v[30:31], v[30:31], -v[64:65]
	v_fma_f64 v[94:95], v[96:97], v[62:63], v[94:95]
	v_add_f64 v[32:33], v[32:33], -v[94:95]
	ds_read2_b64 v[94:97], v1 offset0:32 offset1:33
	s_waitcnt lgkmcnt(0)
	v_mul_f64 v[64:65], v[96:97], v[102:103]
	v_fma_f64 v[64:65], v[94:95], v[62:63], -v[64:65]
	v_mul_f64 v[94:95], v[94:95], v[102:103]
	v_add_f64 v[26:27], v[26:27], -v[64:65]
	v_fma_f64 v[94:95], v[96:97], v[62:63], v[94:95]
	v_add_f64 v[28:29], v[28:29], -v[94:95]
	ds_read2_b64 v[94:97], v1 offset0:34 offset1:35
	s_waitcnt lgkmcnt(0)
	v_mul_f64 v[64:65], v[96:97], v[102:103]
	v_fma_f64 v[64:65], v[94:95], v[62:63], -v[64:65]
	v_mul_f64 v[94:95], v[94:95], v[102:103]
	v_add_f64 v[22:23], v[22:23], -v[64:65]
	v_fma_f64 v[94:95], v[96:97], v[62:63], v[94:95]
	v_add_f64 v[24:25], v[24:25], -v[94:95]
	ds_read2_b64 v[94:97], v1 offset0:36 offset1:37
	s_waitcnt lgkmcnt(0)
	v_mul_f64 v[64:65], v[96:97], v[102:103]
	v_fma_f64 v[64:65], v[94:95], v[62:63], -v[64:65]
	v_mul_f64 v[94:95], v[94:95], v[102:103]
	v_add_f64 v[18:19], v[18:19], -v[64:65]
	v_fma_f64 v[94:95], v[96:97], v[62:63], v[94:95]
	v_add_f64 v[20:21], v[20:21], -v[94:95]
	ds_read2_b64 v[94:97], v1 offset0:38 offset1:39
	s_waitcnt lgkmcnt(0)
	v_mul_f64 v[64:65], v[96:97], v[102:103]
	v_fma_f64 v[64:65], v[94:95], v[62:63], -v[64:65]
	v_mul_f64 v[94:95], v[94:95], v[102:103]
	v_add_f64 v[14:15], v[14:15], -v[64:65]
	v_fma_f64 v[94:95], v[96:97], v[62:63], v[94:95]
	v_add_f64 v[16:17], v[16:17], -v[94:95]
	ds_read2_b64 v[94:97], v1 offset0:40 offset1:41
	s_waitcnt lgkmcnt(0)
	v_mul_f64 v[64:65], v[96:97], v[102:103]
	v_fma_f64 v[64:65], v[94:95], v[62:63], -v[64:65]
	v_mul_f64 v[94:95], v[94:95], v[102:103]
	v_add_f64 v[10:11], v[10:11], -v[64:65]
	v_fma_f64 v[94:95], v[96:97], v[62:63], v[94:95]
	v_add_f64 v[12:13], v[12:13], -v[94:95]
	ds_read2_b64 v[94:97], v1 offset0:42 offset1:43
	s_waitcnt lgkmcnt(0)
	v_mul_f64 v[64:65], v[96:97], v[102:103]
	v_fma_f64 v[64:65], v[94:95], v[62:63], -v[64:65]
	v_mul_f64 v[94:95], v[94:95], v[102:103]
	v_add_f64 v[6:7], v[6:7], -v[64:65]
	v_fma_f64 v[94:95], v[96:97], v[62:63], v[94:95]
	v_add_f64 v[8:9], v[8:9], -v[94:95]
	ds_read2_b64 v[94:97], v1 offset0:44 offset1:45
	s_waitcnt lgkmcnt(0)
	v_mul_f64 v[64:65], v[96:97], v[102:103]
	v_fma_f64 v[64:65], v[94:95], v[62:63], -v[64:65]
	v_mul_f64 v[94:95], v[94:95], v[102:103]
	v_add_f64 v[2:3], v[2:3], -v[64:65]
	v_fma_f64 v[94:95], v[96:97], v[62:63], v[94:95]
	v_mov_b32_e32 v64, v102
	v_mov_b32_e32 v65, v103
	v_add_f64 v[4:5], v[4:5], -v[94:95]
.LBB44_167:
	s_or_b32 exec_lo, exec_lo, s0
	v_lshl_add_u32 v94, v108, 4, v1
	s_barrier
	buffer_gl0_inv
	v_mov_b32_e32 v102, 8
	ds_write2_b64 v94, v[58:59], v[60:61] offset1:1
	s_waitcnt lgkmcnt(0)
	s_barrier
	buffer_gl0_inv
	ds_read2_b64 v[94:97], v1 offset0:16 offset1:17
	s_cmp_lt_i32 s18, 10
	s_cbranch_scc1 .LBB44_170
; %bb.168:
	v_add3_u32 v103, v104, 0, 0x90
	v_mov_b32_e32 v102, 8
	s_mov_b32 s1, 9
	s_inst_prefetch 0x1
	.p2align	6
.LBB44_169:                             ; =>This Inner Loop Header: Depth=1
	s_waitcnt lgkmcnt(0)
	v_cmp_gt_f64_e32 vcc_lo, 0, v[96:97]
	v_cmp_gt_f64_e64 s0, 0, v[94:95]
	ds_read2_b64 v[109:112], v103 offset1:1
	v_xor_b32_e32 v114, 0x80000000, v95
	v_xor_b32_e32 v116, 0x80000000, v97
	v_mov_b32_e32 v113, v94
	v_mov_b32_e32 v115, v96
	v_add_nc_u32_e32 v103, 16, v103
	s_waitcnt lgkmcnt(0)
	v_xor_b32_e32 v118, 0x80000000, v112
	v_cndmask_b32_e64 v114, v95, v114, s0
	v_cndmask_b32_e32 v116, v97, v116, vcc_lo
	v_cmp_gt_f64_e32 vcc_lo, 0, v[111:112]
	v_cmp_gt_f64_e64 s0, 0, v[109:110]
	v_mov_b32_e32 v117, v111
	v_add_f64 v[113:114], v[113:114], v[115:116]
	v_xor_b32_e32 v116, 0x80000000, v110
	v_mov_b32_e32 v115, v109
	v_cndmask_b32_e32 v118, v112, v118, vcc_lo
	v_cndmask_b32_e64 v116, v110, v116, s0
	v_add_f64 v[115:116], v[115:116], v[117:118]
	v_cmp_lt_f64_e32 vcc_lo, v[113:114], v[115:116]
	v_cndmask_b32_e32 v95, v95, v110, vcc_lo
	v_cndmask_b32_e32 v94, v94, v109, vcc_lo
	;; [unrolled: 1-line block ×4, first 2 shown]
	v_cndmask_b32_e64 v102, v102, s1, vcc_lo
	s_add_i32 s1, s1, 1
	s_cmp_lg_u32 s18, s1
	s_cbranch_scc1 .LBB44_169
.LBB44_170:
	s_inst_prefetch 0x2
	s_waitcnt lgkmcnt(0)
	v_cmp_eq_f64_e32 vcc_lo, 0, v[94:95]
	v_cmp_eq_f64_e64 s0, 0, v[96:97]
	s_and_b32 s0, vcc_lo, s0
	s_and_saveexec_b32 s1, s0
	s_xor_b32 s0, exec_lo, s1
; %bb.171:
	v_cmp_ne_u32_e32 vcc_lo, 0, v107
	v_cndmask_b32_e32 v107, 9, v107, vcc_lo
; %bb.172:
	s_andn2_saveexec_b32 s0, s0
	s_cbranch_execz .LBB44_178
; %bb.173:
	v_cmp_ngt_f64_e64 s1, |v[94:95]|, |v[96:97]|
	s_and_saveexec_b32 s2, s1
	s_xor_b32 s1, exec_lo, s2
	s_cbranch_execz .LBB44_175
; %bb.174:
	v_div_scale_f64 v[109:110], null, v[96:97], v[96:97], v[94:95]
	v_div_scale_f64 v[115:116], vcc_lo, v[94:95], v[96:97], v[94:95]
	v_rcp_f64_e32 v[111:112], v[109:110]
	v_fma_f64 v[113:114], -v[109:110], v[111:112], 1.0
	v_fma_f64 v[111:112], v[111:112], v[113:114], v[111:112]
	v_fma_f64 v[113:114], -v[109:110], v[111:112], 1.0
	v_fma_f64 v[111:112], v[111:112], v[113:114], v[111:112]
	v_mul_f64 v[113:114], v[115:116], v[111:112]
	v_fma_f64 v[109:110], -v[109:110], v[113:114], v[115:116]
	v_div_fmas_f64 v[109:110], v[109:110], v[111:112], v[113:114]
	v_div_fixup_f64 v[109:110], v[109:110], v[96:97], v[94:95]
	v_fma_f64 v[94:95], v[94:95], v[109:110], v[96:97]
	v_div_scale_f64 v[96:97], null, v[94:95], v[94:95], 1.0
	v_rcp_f64_e32 v[111:112], v[96:97]
	v_fma_f64 v[113:114], -v[96:97], v[111:112], 1.0
	v_fma_f64 v[111:112], v[111:112], v[113:114], v[111:112]
	v_fma_f64 v[113:114], -v[96:97], v[111:112], 1.0
	v_fma_f64 v[111:112], v[111:112], v[113:114], v[111:112]
	v_div_scale_f64 v[113:114], vcc_lo, 1.0, v[94:95], 1.0
	v_mul_f64 v[115:116], v[113:114], v[111:112]
	v_fma_f64 v[96:97], -v[96:97], v[115:116], v[113:114]
	v_div_fmas_f64 v[96:97], v[96:97], v[111:112], v[115:116]
	v_div_fixup_f64 v[96:97], v[96:97], v[94:95], 1.0
	v_mul_f64 v[94:95], v[109:110], v[96:97]
	v_xor_b32_e32 v97, 0x80000000, v97
.LBB44_175:
	s_andn2_saveexec_b32 s1, s1
	s_cbranch_execz .LBB44_177
; %bb.176:
	v_div_scale_f64 v[109:110], null, v[94:95], v[94:95], v[96:97]
	v_div_scale_f64 v[115:116], vcc_lo, v[96:97], v[94:95], v[96:97]
	v_rcp_f64_e32 v[111:112], v[109:110]
	v_fma_f64 v[113:114], -v[109:110], v[111:112], 1.0
	v_fma_f64 v[111:112], v[111:112], v[113:114], v[111:112]
	v_fma_f64 v[113:114], -v[109:110], v[111:112], 1.0
	v_fma_f64 v[111:112], v[111:112], v[113:114], v[111:112]
	v_mul_f64 v[113:114], v[115:116], v[111:112]
	v_fma_f64 v[109:110], -v[109:110], v[113:114], v[115:116]
	v_div_fmas_f64 v[109:110], v[109:110], v[111:112], v[113:114]
	v_div_fixup_f64 v[109:110], v[109:110], v[94:95], v[96:97]
	v_fma_f64 v[94:95], v[96:97], v[109:110], v[94:95]
	v_div_scale_f64 v[96:97], null, v[94:95], v[94:95], 1.0
	v_rcp_f64_e32 v[111:112], v[96:97]
	v_fma_f64 v[113:114], -v[96:97], v[111:112], 1.0
	v_fma_f64 v[111:112], v[111:112], v[113:114], v[111:112]
	v_fma_f64 v[113:114], -v[96:97], v[111:112], 1.0
	v_fma_f64 v[111:112], v[111:112], v[113:114], v[111:112]
	v_div_scale_f64 v[113:114], vcc_lo, 1.0, v[94:95], 1.0
	v_mul_f64 v[115:116], v[113:114], v[111:112]
	v_fma_f64 v[96:97], -v[96:97], v[115:116], v[113:114]
	v_div_fmas_f64 v[96:97], v[96:97], v[111:112], v[115:116]
	v_div_fixup_f64 v[94:95], v[96:97], v[94:95], 1.0
	v_mul_f64 v[96:97], v[109:110], -v[94:95]
.LBB44_177:
	s_or_b32 exec_lo, exec_lo, s1
.LBB44_178:
	s_or_b32 exec_lo, exec_lo, s0
	s_mov_b32 s0, exec_lo
	v_cmpx_ne_u32_e64 v108, v102
	s_xor_b32 s0, exec_lo, s0
	s_cbranch_execz .LBB44_184
; %bb.179:
	s_mov_b32 s1, exec_lo
	v_cmpx_eq_u32_e32 8, v108
	s_cbranch_execz .LBB44_183
; %bb.180:
	v_cmp_ne_u32_e32 vcc_lo, 8, v102
	s_xor_b32 s2, s16, -1
	s_and_b32 s3, s2, vcc_lo
	s_and_saveexec_b32 s2, s3
	s_cbranch_execz .LBB44_182
; %bb.181:
	v_ashrrev_i32_e32 v103, 31, v102
	v_lshlrev_b64 v[108:109], 2, v[102:103]
	v_add_co_u32 v108, vcc_lo, v100, v108
	v_add_co_ci_u32_e64 v109, null, v101, v109, vcc_lo
	s_clause 0x1
	global_load_dword v0, v[108:109], off
	global_load_dword v103, v[100:101], off offset:32
	s_waitcnt vmcnt(1)
	global_store_dword v[100:101], v0, off offset:32
	s_waitcnt vmcnt(0)
	global_store_dword v[108:109], v103, off
.LBB44_182:
	s_or_b32 exec_lo, exec_lo, s2
	v_mov_b32_e32 v108, v102
	v_mov_b32_e32 v0, v102
.LBB44_183:
	s_or_b32 exec_lo, exec_lo, s1
.LBB44_184:
	s_andn2_saveexec_b32 s0, s0
	s_cbranch_execz .LBB44_186
; %bb.185:
	v_mov_b32_e32 v108, 8
	ds_write2_b64 v1, v[54:55], v[56:57] offset0:18 offset1:19
	ds_write2_b64 v1, v[50:51], v[52:53] offset0:20 offset1:21
	;; [unrolled: 1-line block ×14, first 2 shown]
.LBB44_186:
	s_or_b32 exec_lo, exec_lo, s0
	s_mov_b32 s0, exec_lo
	s_waitcnt lgkmcnt(0)
	s_waitcnt_vscnt null, 0x0
	s_barrier
	buffer_gl0_inv
	v_cmpx_lt_i32_e32 8, v108
	s_cbranch_execz .LBB44_188
; %bb.187:
	v_mul_f64 v[102:103], v[94:95], v[60:61]
	v_mul_f64 v[60:61], v[96:97], v[60:61]
	v_fma_f64 v[102:103], v[96:97], v[58:59], v[102:103]
	v_fma_f64 v[58:59], v[94:95], v[58:59], -v[60:61]
	ds_read2_b64 v[94:97], v1 offset0:18 offset1:19
	s_waitcnt lgkmcnt(0)
	v_mul_f64 v[60:61], v[96:97], v[102:103]
	v_fma_f64 v[60:61], v[94:95], v[58:59], -v[60:61]
	v_mul_f64 v[94:95], v[94:95], v[102:103]
	v_add_f64 v[54:55], v[54:55], -v[60:61]
	v_fma_f64 v[94:95], v[96:97], v[58:59], v[94:95]
	v_add_f64 v[56:57], v[56:57], -v[94:95]
	ds_read2_b64 v[94:97], v1 offset0:20 offset1:21
	s_waitcnt lgkmcnt(0)
	v_mul_f64 v[60:61], v[96:97], v[102:103]
	v_fma_f64 v[60:61], v[94:95], v[58:59], -v[60:61]
	v_mul_f64 v[94:95], v[94:95], v[102:103]
	v_add_f64 v[50:51], v[50:51], -v[60:61]
	v_fma_f64 v[94:95], v[96:97], v[58:59], v[94:95]
	v_add_f64 v[52:53], v[52:53], -v[94:95]
	;; [unrolled: 8-line block ×13, first 2 shown]
	ds_read2_b64 v[94:97], v1 offset0:44 offset1:45
	s_waitcnt lgkmcnt(0)
	v_mul_f64 v[60:61], v[96:97], v[102:103]
	v_fma_f64 v[60:61], v[94:95], v[58:59], -v[60:61]
	v_mul_f64 v[94:95], v[94:95], v[102:103]
	v_add_f64 v[2:3], v[2:3], -v[60:61]
	v_fma_f64 v[94:95], v[96:97], v[58:59], v[94:95]
	v_mov_b32_e32 v60, v102
	v_mov_b32_e32 v61, v103
	v_add_f64 v[4:5], v[4:5], -v[94:95]
.LBB44_188:
	s_or_b32 exec_lo, exec_lo, s0
	v_lshl_add_u32 v94, v108, 4, v1
	s_barrier
	buffer_gl0_inv
	v_mov_b32_e32 v102, 9
	ds_write2_b64 v94, v[54:55], v[56:57] offset1:1
	s_waitcnt lgkmcnt(0)
	s_barrier
	buffer_gl0_inv
	ds_read2_b64 v[94:97], v1 offset0:18 offset1:19
	s_cmp_lt_i32 s18, 11
	s_cbranch_scc1 .LBB44_191
; %bb.189:
	v_add3_u32 v103, v104, 0, 0xa0
	v_mov_b32_e32 v102, 9
	s_mov_b32 s1, 10
	s_inst_prefetch 0x1
	.p2align	6
.LBB44_190:                             ; =>This Inner Loop Header: Depth=1
	s_waitcnt lgkmcnt(0)
	v_cmp_gt_f64_e32 vcc_lo, 0, v[96:97]
	v_cmp_gt_f64_e64 s0, 0, v[94:95]
	ds_read2_b64 v[109:112], v103 offset1:1
	v_xor_b32_e32 v114, 0x80000000, v95
	v_xor_b32_e32 v116, 0x80000000, v97
	v_mov_b32_e32 v113, v94
	v_mov_b32_e32 v115, v96
	v_add_nc_u32_e32 v103, 16, v103
	s_waitcnt lgkmcnt(0)
	v_xor_b32_e32 v118, 0x80000000, v112
	v_cndmask_b32_e64 v114, v95, v114, s0
	v_cndmask_b32_e32 v116, v97, v116, vcc_lo
	v_cmp_gt_f64_e32 vcc_lo, 0, v[111:112]
	v_cmp_gt_f64_e64 s0, 0, v[109:110]
	v_mov_b32_e32 v117, v111
	v_add_f64 v[113:114], v[113:114], v[115:116]
	v_xor_b32_e32 v116, 0x80000000, v110
	v_mov_b32_e32 v115, v109
	v_cndmask_b32_e32 v118, v112, v118, vcc_lo
	v_cndmask_b32_e64 v116, v110, v116, s0
	v_add_f64 v[115:116], v[115:116], v[117:118]
	v_cmp_lt_f64_e32 vcc_lo, v[113:114], v[115:116]
	v_cndmask_b32_e32 v95, v95, v110, vcc_lo
	v_cndmask_b32_e32 v94, v94, v109, vcc_lo
	;; [unrolled: 1-line block ×4, first 2 shown]
	v_cndmask_b32_e64 v102, v102, s1, vcc_lo
	s_add_i32 s1, s1, 1
	s_cmp_lg_u32 s18, s1
	s_cbranch_scc1 .LBB44_190
.LBB44_191:
	s_inst_prefetch 0x2
	s_waitcnt lgkmcnt(0)
	v_cmp_eq_f64_e32 vcc_lo, 0, v[94:95]
	v_cmp_eq_f64_e64 s0, 0, v[96:97]
	s_and_b32 s0, vcc_lo, s0
	s_and_saveexec_b32 s1, s0
	s_xor_b32 s0, exec_lo, s1
; %bb.192:
	v_cmp_ne_u32_e32 vcc_lo, 0, v107
	v_cndmask_b32_e32 v107, 10, v107, vcc_lo
; %bb.193:
	s_andn2_saveexec_b32 s0, s0
	s_cbranch_execz .LBB44_199
; %bb.194:
	v_cmp_ngt_f64_e64 s1, |v[94:95]|, |v[96:97]|
	s_and_saveexec_b32 s2, s1
	s_xor_b32 s1, exec_lo, s2
	s_cbranch_execz .LBB44_196
; %bb.195:
	v_div_scale_f64 v[109:110], null, v[96:97], v[96:97], v[94:95]
	v_div_scale_f64 v[115:116], vcc_lo, v[94:95], v[96:97], v[94:95]
	v_rcp_f64_e32 v[111:112], v[109:110]
	v_fma_f64 v[113:114], -v[109:110], v[111:112], 1.0
	v_fma_f64 v[111:112], v[111:112], v[113:114], v[111:112]
	v_fma_f64 v[113:114], -v[109:110], v[111:112], 1.0
	v_fma_f64 v[111:112], v[111:112], v[113:114], v[111:112]
	v_mul_f64 v[113:114], v[115:116], v[111:112]
	v_fma_f64 v[109:110], -v[109:110], v[113:114], v[115:116]
	v_div_fmas_f64 v[109:110], v[109:110], v[111:112], v[113:114]
	v_div_fixup_f64 v[109:110], v[109:110], v[96:97], v[94:95]
	v_fma_f64 v[94:95], v[94:95], v[109:110], v[96:97]
	v_div_scale_f64 v[96:97], null, v[94:95], v[94:95], 1.0
	v_rcp_f64_e32 v[111:112], v[96:97]
	v_fma_f64 v[113:114], -v[96:97], v[111:112], 1.0
	v_fma_f64 v[111:112], v[111:112], v[113:114], v[111:112]
	v_fma_f64 v[113:114], -v[96:97], v[111:112], 1.0
	v_fma_f64 v[111:112], v[111:112], v[113:114], v[111:112]
	v_div_scale_f64 v[113:114], vcc_lo, 1.0, v[94:95], 1.0
	v_mul_f64 v[115:116], v[113:114], v[111:112]
	v_fma_f64 v[96:97], -v[96:97], v[115:116], v[113:114]
	v_div_fmas_f64 v[96:97], v[96:97], v[111:112], v[115:116]
	v_div_fixup_f64 v[96:97], v[96:97], v[94:95], 1.0
	v_mul_f64 v[94:95], v[109:110], v[96:97]
	v_xor_b32_e32 v97, 0x80000000, v97
.LBB44_196:
	s_andn2_saveexec_b32 s1, s1
	s_cbranch_execz .LBB44_198
; %bb.197:
	v_div_scale_f64 v[109:110], null, v[94:95], v[94:95], v[96:97]
	v_div_scale_f64 v[115:116], vcc_lo, v[96:97], v[94:95], v[96:97]
	v_rcp_f64_e32 v[111:112], v[109:110]
	v_fma_f64 v[113:114], -v[109:110], v[111:112], 1.0
	v_fma_f64 v[111:112], v[111:112], v[113:114], v[111:112]
	v_fma_f64 v[113:114], -v[109:110], v[111:112], 1.0
	v_fma_f64 v[111:112], v[111:112], v[113:114], v[111:112]
	v_mul_f64 v[113:114], v[115:116], v[111:112]
	v_fma_f64 v[109:110], -v[109:110], v[113:114], v[115:116]
	v_div_fmas_f64 v[109:110], v[109:110], v[111:112], v[113:114]
	v_div_fixup_f64 v[109:110], v[109:110], v[94:95], v[96:97]
	v_fma_f64 v[94:95], v[96:97], v[109:110], v[94:95]
	v_div_scale_f64 v[96:97], null, v[94:95], v[94:95], 1.0
	v_rcp_f64_e32 v[111:112], v[96:97]
	v_fma_f64 v[113:114], -v[96:97], v[111:112], 1.0
	v_fma_f64 v[111:112], v[111:112], v[113:114], v[111:112]
	v_fma_f64 v[113:114], -v[96:97], v[111:112], 1.0
	v_fma_f64 v[111:112], v[111:112], v[113:114], v[111:112]
	v_div_scale_f64 v[113:114], vcc_lo, 1.0, v[94:95], 1.0
	v_mul_f64 v[115:116], v[113:114], v[111:112]
	v_fma_f64 v[96:97], -v[96:97], v[115:116], v[113:114]
	v_div_fmas_f64 v[96:97], v[96:97], v[111:112], v[115:116]
	v_div_fixup_f64 v[94:95], v[96:97], v[94:95], 1.0
	v_mul_f64 v[96:97], v[109:110], -v[94:95]
.LBB44_198:
	s_or_b32 exec_lo, exec_lo, s1
.LBB44_199:
	s_or_b32 exec_lo, exec_lo, s0
	s_mov_b32 s0, exec_lo
	v_cmpx_ne_u32_e64 v108, v102
	s_xor_b32 s0, exec_lo, s0
	s_cbranch_execz .LBB44_205
; %bb.200:
	s_mov_b32 s1, exec_lo
	v_cmpx_eq_u32_e32 9, v108
	s_cbranch_execz .LBB44_204
; %bb.201:
	v_cmp_ne_u32_e32 vcc_lo, 9, v102
	s_xor_b32 s2, s16, -1
	s_and_b32 s3, s2, vcc_lo
	s_and_saveexec_b32 s2, s3
	s_cbranch_execz .LBB44_203
; %bb.202:
	v_ashrrev_i32_e32 v103, 31, v102
	v_lshlrev_b64 v[108:109], 2, v[102:103]
	v_add_co_u32 v108, vcc_lo, v100, v108
	v_add_co_ci_u32_e64 v109, null, v101, v109, vcc_lo
	s_clause 0x1
	global_load_dword v0, v[108:109], off
	global_load_dword v103, v[100:101], off offset:36
	s_waitcnt vmcnt(1)
	global_store_dword v[100:101], v0, off offset:36
	s_waitcnt vmcnt(0)
	global_store_dword v[108:109], v103, off
.LBB44_203:
	s_or_b32 exec_lo, exec_lo, s2
	v_mov_b32_e32 v108, v102
	v_mov_b32_e32 v0, v102
.LBB44_204:
	s_or_b32 exec_lo, exec_lo, s1
.LBB44_205:
	s_andn2_saveexec_b32 s0, s0
	s_cbranch_execz .LBB44_207
; %bb.206:
	v_mov_b32_e32 v108, 9
	ds_write2_b64 v1, v[50:51], v[52:53] offset0:20 offset1:21
	ds_write2_b64 v1, v[46:47], v[48:49] offset0:22 offset1:23
	;; [unrolled: 1-line block ×13, first 2 shown]
.LBB44_207:
	s_or_b32 exec_lo, exec_lo, s0
	s_mov_b32 s0, exec_lo
	s_waitcnt lgkmcnt(0)
	s_waitcnt_vscnt null, 0x0
	s_barrier
	buffer_gl0_inv
	v_cmpx_lt_i32_e32 9, v108
	s_cbranch_execz .LBB44_209
; %bb.208:
	v_mul_f64 v[102:103], v[94:95], v[56:57]
	v_mul_f64 v[56:57], v[96:97], v[56:57]
	v_fma_f64 v[102:103], v[96:97], v[54:55], v[102:103]
	v_fma_f64 v[54:55], v[94:95], v[54:55], -v[56:57]
	ds_read2_b64 v[94:97], v1 offset0:20 offset1:21
	s_waitcnt lgkmcnt(0)
	v_mul_f64 v[56:57], v[96:97], v[102:103]
	v_fma_f64 v[56:57], v[94:95], v[54:55], -v[56:57]
	v_mul_f64 v[94:95], v[94:95], v[102:103]
	v_add_f64 v[50:51], v[50:51], -v[56:57]
	v_fma_f64 v[94:95], v[96:97], v[54:55], v[94:95]
	v_add_f64 v[52:53], v[52:53], -v[94:95]
	ds_read2_b64 v[94:97], v1 offset0:22 offset1:23
	s_waitcnt lgkmcnt(0)
	v_mul_f64 v[56:57], v[96:97], v[102:103]
	v_fma_f64 v[56:57], v[94:95], v[54:55], -v[56:57]
	v_mul_f64 v[94:95], v[94:95], v[102:103]
	v_add_f64 v[46:47], v[46:47], -v[56:57]
	v_fma_f64 v[94:95], v[96:97], v[54:55], v[94:95]
	v_add_f64 v[48:49], v[48:49], -v[94:95]
	;; [unrolled: 8-line block ×12, first 2 shown]
	ds_read2_b64 v[94:97], v1 offset0:44 offset1:45
	s_waitcnt lgkmcnt(0)
	v_mul_f64 v[56:57], v[96:97], v[102:103]
	v_fma_f64 v[56:57], v[94:95], v[54:55], -v[56:57]
	v_mul_f64 v[94:95], v[94:95], v[102:103]
	v_add_f64 v[2:3], v[2:3], -v[56:57]
	v_fma_f64 v[94:95], v[96:97], v[54:55], v[94:95]
	v_mov_b32_e32 v56, v102
	v_mov_b32_e32 v57, v103
	v_add_f64 v[4:5], v[4:5], -v[94:95]
.LBB44_209:
	s_or_b32 exec_lo, exec_lo, s0
	v_lshl_add_u32 v94, v108, 4, v1
	s_barrier
	buffer_gl0_inv
	v_mov_b32_e32 v102, 10
	ds_write2_b64 v94, v[50:51], v[52:53] offset1:1
	s_waitcnt lgkmcnt(0)
	s_barrier
	buffer_gl0_inv
	ds_read2_b64 v[94:97], v1 offset0:20 offset1:21
	s_cmp_lt_i32 s18, 12
	s_cbranch_scc1 .LBB44_212
; %bb.210:
	v_add3_u32 v103, v104, 0, 0xb0
	v_mov_b32_e32 v102, 10
	s_mov_b32 s1, 11
	s_inst_prefetch 0x1
	.p2align	6
.LBB44_211:                             ; =>This Inner Loop Header: Depth=1
	s_waitcnt lgkmcnt(0)
	v_cmp_gt_f64_e32 vcc_lo, 0, v[96:97]
	v_cmp_gt_f64_e64 s0, 0, v[94:95]
	ds_read2_b64 v[109:112], v103 offset1:1
	v_xor_b32_e32 v114, 0x80000000, v95
	v_xor_b32_e32 v116, 0x80000000, v97
	v_mov_b32_e32 v113, v94
	v_mov_b32_e32 v115, v96
	v_add_nc_u32_e32 v103, 16, v103
	s_waitcnt lgkmcnt(0)
	v_xor_b32_e32 v118, 0x80000000, v112
	v_cndmask_b32_e64 v114, v95, v114, s0
	v_cndmask_b32_e32 v116, v97, v116, vcc_lo
	v_cmp_gt_f64_e32 vcc_lo, 0, v[111:112]
	v_cmp_gt_f64_e64 s0, 0, v[109:110]
	v_mov_b32_e32 v117, v111
	v_add_f64 v[113:114], v[113:114], v[115:116]
	v_xor_b32_e32 v116, 0x80000000, v110
	v_mov_b32_e32 v115, v109
	v_cndmask_b32_e32 v118, v112, v118, vcc_lo
	v_cndmask_b32_e64 v116, v110, v116, s0
	v_add_f64 v[115:116], v[115:116], v[117:118]
	v_cmp_lt_f64_e32 vcc_lo, v[113:114], v[115:116]
	v_cndmask_b32_e32 v95, v95, v110, vcc_lo
	v_cndmask_b32_e32 v94, v94, v109, vcc_lo
	;; [unrolled: 1-line block ×4, first 2 shown]
	v_cndmask_b32_e64 v102, v102, s1, vcc_lo
	s_add_i32 s1, s1, 1
	s_cmp_lg_u32 s18, s1
	s_cbranch_scc1 .LBB44_211
.LBB44_212:
	s_inst_prefetch 0x2
	s_waitcnt lgkmcnt(0)
	v_cmp_eq_f64_e32 vcc_lo, 0, v[94:95]
	v_cmp_eq_f64_e64 s0, 0, v[96:97]
	s_and_b32 s0, vcc_lo, s0
	s_and_saveexec_b32 s1, s0
	s_xor_b32 s0, exec_lo, s1
; %bb.213:
	v_cmp_ne_u32_e32 vcc_lo, 0, v107
	v_cndmask_b32_e32 v107, 11, v107, vcc_lo
; %bb.214:
	s_andn2_saveexec_b32 s0, s0
	s_cbranch_execz .LBB44_220
; %bb.215:
	v_cmp_ngt_f64_e64 s1, |v[94:95]|, |v[96:97]|
	s_and_saveexec_b32 s2, s1
	s_xor_b32 s1, exec_lo, s2
	s_cbranch_execz .LBB44_217
; %bb.216:
	v_div_scale_f64 v[109:110], null, v[96:97], v[96:97], v[94:95]
	v_div_scale_f64 v[115:116], vcc_lo, v[94:95], v[96:97], v[94:95]
	v_rcp_f64_e32 v[111:112], v[109:110]
	v_fma_f64 v[113:114], -v[109:110], v[111:112], 1.0
	v_fma_f64 v[111:112], v[111:112], v[113:114], v[111:112]
	v_fma_f64 v[113:114], -v[109:110], v[111:112], 1.0
	v_fma_f64 v[111:112], v[111:112], v[113:114], v[111:112]
	v_mul_f64 v[113:114], v[115:116], v[111:112]
	v_fma_f64 v[109:110], -v[109:110], v[113:114], v[115:116]
	v_div_fmas_f64 v[109:110], v[109:110], v[111:112], v[113:114]
	v_div_fixup_f64 v[109:110], v[109:110], v[96:97], v[94:95]
	v_fma_f64 v[94:95], v[94:95], v[109:110], v[96:97]
	v_div_scale_f64 v[96:97], null, v[94:95], v[94:95], 1.0
	v_rcp_f64_e32 v[111:112], v[96:97]
	v_fma_f64 v[113:114], -v[96:97], v[111:112], 1.0
	v_fma_f64 v[111:112], v[111:112], v[113:114], v[111:112]
	v_fma_f64 v[113:114], -v[96:97], v[111:112], 1.0
	v_fma_f64 v[111:112], v[111:112], v[113:114], v[111:112]
	v_div_scale_f64 v[113:114], vcc_lo, 1.0, v[94:95], 1.0
	v_mul_f64 v[115:116], v[113:114], v[111:112]
	v_fma_f64 v[96:97], -v[96:97], v[115:116], v[113:114]
	v_div_fmas_f64 v[96:97], v[96:97], v[111:112], v[115:116]
	v_div_fixup_f64 v[96:97], v[96:97], v[94:95], 1.0
	v_mul_f64 v[94:95], v[109:110], v[96:97]
	v_xor_b32_e32 v97, 0x80000000, v97
.LBB44_217:
	s_andn2_saveexec_b32 s1, s1
	s_cbranch_execz .LBB44_219
; %bb.218:
	v_div_scale_f64 v[109:110], null, v[94:95], v[94:95], v[96:97]
	v_div_scale_f64 v[115:116], vcc_lo, v[96:97], v[94:95], v[96:97]
	v_rcp_f64_e32 v[111:112], v[109:110]
	v_fma_f64 v[113:114], -v[109:110], v[111:112], 1.0
	v_fma_f64 v[111:112], v[111:112], v[113:114], v[111:112]
	v_fma_f64 v[113:114], -v[109:110], v[111:112], 1.0
	v_fma_f64 v[111:112], v[111:112], v[113:114], v[111:112]
	v_mul_f64 v[113:114], v[115:116], v[111:112]
	v_fma_f64 v[109:110], -v[109:110], v[113:114], v[115:116]
	v_div_fmas_f64 v[109:110], v[109:110], v[111:112], v[113:114]
	v_div_fixup_f64 v[109:110], v[109:110], v[94:95], v[96:97]
	v_fma_f64 v[94:95], v[96:97], v[109:110], v[94:95]
	v_div_scale_f64 v[96:97], null, v[94:95], v[94:95], 1.0
	v_rcp_f64_e32 v[111:112], v[96:97]
	v_fma_f64 v[113:114], -v[96:97], v[111:112], 1.0
	v_fma_f64 v[111:112], v[111:112], v[113:114], v[111:112]
	v_fma_f64 v[113:114], -v[96:97], v[111:112], 1.0
	v_fma_f64 v[111:112], v[111:112], v[113:114], v[111:112]
	v_div_scale_f64 v[113:114], vcc_lo, 1.0, v[94:95], 1.0
	v_mul_f64 v[115:116], v[113:114], v[111:112]
	v_fma_f64 v[96:97], -v[96:97], v[115:116], v[113:114]
	v_div_fmas_f64 v[96:97], v[96:97], v[111:112], v[115:116]
	v_div_fixup_f64 v[94:95], v[96:97], v[94:95], 1.0
	v_mul_f64 v[96:97], v[109:110], -v[94:95]
.LBB44_219:
	s_or_b32 exec_lo, exec_lo, s1
.LBB44_220:
	s_or_b32 exec_lo, exec_lo, s0
	s_mov_b32 s0, exec_lo
	v_cmpx_ne_u32_e64 v108, v102
	s_xor_b32 s0, exec_lo, s0
	s_cbranch_execz .LBB44_226
; %bb.221:
	s_mov_b32 s1, exec_lo
	v_cmpx_eq_u32_e32 10, v108
	s_cbranch_execz .LBB44_225
; %bb.222:
	v_cmp_ne_u32_e32 vcc_lo, 10, v102
	s_xor_b32 s2, s16, -1
	s_and_b32 s3, s2, vcc_lo
	s_and_saveexec_b32 s2, s3
	s_cbranch_execz .LBB44_224
; %bb.223:
	v_ashrrev_i32_e32 v103, 31, v102
	v_lshlrev_b64 v[108:109], 2, v[102:103]
	v_add_co_u32 v108, vcc_lo, v100, v108
	v_add_co_ci_u32_e64 v109, null, v101, v109, vcc_lo
	s_clause 0x1
	global_load_dword v0, v[108:109], off
	global_load_dword v103, v[100:101], off offset:40
	s_waitcnt vmcnt(1)
	global_store_dword v[100:101], v0, off offset:40
	s_waitcnt vmcnt(0)
	global_store_dword v[108:109], v103, off
.LBB44_224:
	s_or_b32 exec_lo, exec_lo, s2
	v_mov_b32_e32 v108, v102
	v_mov_b32_e32 v0, v102
.LBB44_225:
	s_or_b32 exec_lo, exec_lo, s1
.LBB44_226:
	s_andn2_saveexec_b32 s0, s0
	s_cbranch_execz .LBB44_228
; %bb.227:
	v_mov_b32_e32 v108, 10
	ds_write2_b64 v1, v[46:47], v[48:49] offset0:22 offset1:23
	ds_write2_b64 v1, v[42:43], v[44:45] offset0:24 offset1:25
	;; [unrolled: 1-line block ×12, first 2 shown]
.LBB44_228:
	s_or_b32 exec_lo, exec_lo, s0
	s_mov_b32 s0, exec_lo
	s_waitcnt lgkmcnt(0)
	s_waitcnt_vscnt null, 0x0
	s_barrier
	buffer_gl0_inv
	v_cmpx_lt_i32_e32 10, v108
	s_cbranch_execz .LBB44_230
; %bb.229:
	v_mul_f64 v[102:103], v[94:95], v[52:53]
	v_mul_f64 v[52:53], v[96:97], v[52:53]
	v_fma_f64 v[102:103], v[96:97], v[50:51], v[102:103]
	v_fma_f64 v[50:51], v[94:95], v[50:51], -v[52:53]
	ds_read2_b64 v[94:97], v1 offset0:22 offset1:23
	s_waitcnt lgkmcnt(0)
	v_mul_f64 v[52:53], v[96:97], v[102:103]
	v_fma_f64 v[52:53], v[94:95], v[50:51], -v[52:53]
	v_mul_f64 v[94:95], v[94:95], v[102:103]
	v_add_f64 v[46:47], v[46:47], -v[52:53]
	v_fma_f64 v[94:95], v[96:97], v[50:51], v[94:95]
	v_add_f64 v[48:49], v[48:49], -v[94:95]
	ds_read2_b64 v[94:97], v1 offset0:24 offset1:25
	s_waitcnt lgkmcnt(0)
	v_mul_f64 v[52:53], v[96:97], v[102:103]
	v_fma_f64 v[52:53], v[94:95], v[50:51], -v[52:53]
	v_mul_f64 v[94:95], v[94:95], v[102:103]
	v_add_f64 v[42:43], v[42:43], -v[52:53]
	v_fma_f64 v[94:95], v[96:97], v[50:51], v[94:95]
	v_add_f64 v[44:45], v[44:45], -v[94:95]
	;; [unrolled: 8-line block ×11, first 2 shown]
	ds_read2_b64 v[94:97], v1 offset0:44 offset1:45
	s_waitcnt lgkmcnt(0)
	v_mul_f64 v[52:53], v[96:97], v[102:103]
	v_fma_f64 v[52:53], v[94:95], v[50:51], -v[52:53]
	v_mul_f64 v[94:95], v[94:95], v[102:103]
	v_add_f64 v[2:3], v[2:3], -v[52:53]
	v_fma_f64 v[94:95], v[96:97], v[50:51], v[94:95]
	v_mov_b32_e32 v52, v102
	v_mov_b32_e32 v53, v103
	v_add_f64 v[4:5], v[4:5], -v[94:95]
.LBB44_230:
	s_or_b32 exec_lo, exec_lo, s0
	v_lshl_add_u32 v94, v108, 4, v1
	s_barrier
	buffer_gl0_inv
	v_mov_b32_e32 v102, 11
	ds_write2_b64 v94, v[46:47], v[48:49] offset1:1
	s_waitcnt lgkmcnt(0)
	s_barrier
	buffer_gl0_inv
	ds_read2_b64 v[94:97], v1 offset0:22 offset1:23
	s_cmp_lt_i32 s18, 13
	s_cbranch_scc1 .LBB44_233
; %bb.231:
	v_add3_u32 v103, v104, 0, 0xc0
	v_mov_b32_e32 v102, 11
	s_mov_b32 s1, 12
	s_inst_prefetch 0x1
	.p2align	6
.LBB44_232:                             ; =>This Inner Loop Header: Depth=1
	s_waitcnt lgkmcnt(0)
	v_cmp_gt_f64_e32 vcc_lo, 0, v[96:97]
	v_cmp_gt_f64_e64 s0, 0, v[94:95]
	ds_read2_b64 v[109:112], v103 offset1:1
	v_xor_b32_e32 v114, 0x80000000, v95
	v_xor_b32_e32 v116, 0x80000000, v97
	v_mov_b32_e32 v113, v94
	v_mov_b32_e32 v115, v96
	v_add_nc_u32_e32 v103, 16, v103
	s_waitcnt lgkmcnt(0)
	v_xor_b32_e32 v118, 0x80000000, v112
	v_cndmask_b32_e64 v114, v95, v114, s0
	v_cndmask_b32_e32 v116, v97, v116, vcc_lo
	v_cmp_gt_f64_e32 vcc_lo, 0, v[111:112]
	v_cmp_gt_f64_e64 s0, 0, v[109:110]
	v_mov_b32_e32 v117, v111
	v_add_f64 v[113:114], v[113:114], v[115:116]
	v_xor_b32_e32 v116, 0x80000000, v110
	v_mov_b32_e32 v115, v109
	v_cndmask_b32_e32 v118, v112, v118, vcc_lo
	v_cndmask_b32_e64 v116, v110, v116, s0
	v_add_f64 v[115:116], v[115:116], v[117:118]
	v_cmp_lt_f64_e32 vcc_lo, v[113:114], v[115:116]
	v_cndmask_b32_e32 v95, v95, v110, vcc_lo
	v_cndmask_b32_e32 v94, v94, v109, vcc_lo
	;; [unrolled: 1-line block ×4, first 2 shown]
	v_cndmask_b32_e64 v102, v102, s1, vcc_lo
	s_add_i32 s1, s1, 1
	s_cmp_lg_u32 s18, s1
	s_cbranch_scc1 .LBB44_232
.LBB44_233:
	s_inst_prefetch 0x2
	s_waitcnt lgkmcnt(0)
	v_cmp_eq_f64_e32 vcc_lo, 0, v[94:95]
	v_cmp_eq_f64_e64 s0, 0, v[96:97]
	s_and_b32 s0, vcc_lo, s0
	s_and_saveexec_b32 s1, s0
	s_xor_b32 s0, exec_lo, s1
; %bb.234:
	v_cmp_ne_u32_e32 vcc_lo, 0, v107
	v_cndmask_b32_e32 v107, 12, v107, vcc_lo
; %bb.235:
	s_andn2_saveexec_b32 s0, s0
	s_cbranch_execz .LBB44_241
; %bb.236:
	v_cmp_ngt_f64_e64 s1, |v[94:95]|, |v[96:97]|
	s_and_saveexec_b32 s2, s1
	s_xor_b32 s1, exec_lo, s2
	s_cbranch_execz .LBB44_238
; %bb.237:
	v_div_scale_f64 v[109:110], null, v[96:97], v[96:97], v[94:95]
	v_div_scale_f64 v[115:116], vcc_lo, v[94:95], v[96:97], v[94:95]
	v_rcp_f64_e32 v[111:112], v[109:110]
	v_fma_f64 v[113:114], -v[109:110], v[111:112], 1.0
	v_fma_f64 v[111:112], v[111:112], v[113:114], v[111:112]
	v_fma_f64 v[113:114], -v[109:110], v[111:112], 1.0
	v_fma_f64 v[111:112], v[111:112], v[113:114], v[111:112]
	v_mul_f64 v[113:114], v[115:116], v[111:112]
	v_fma_f64 v[109:110], -v[109:110], v[113:114], v[115:116]
	v_div_fmas_f64 v[109:110], v[109:110], v[111:112], v[113:114]
	v_div_fixup_f64 v[109:110], v[109:110], v[96:97], v[94:95]
	v_fma_f64 v[94:95], v[94:95], v[109:110], v[96:97]
	v_div_scale_f64 v[96:97], null, v[94:95], v[94:95], 1.0
	v_rcp_f64_e32 v[111:112], v[96:97]
	v_fma_f64 v[113:114], -v[96:97], v[111:112], 1.0
	v_fma_f64 v[111:112], v[111:112], v[113:114], v[111:112]
	v_fma_f64 v[113:114], -v[96:97], v[111:112], 1.0
	v_fma_f64 v[111:112], v[111:112], v[113:114], v[111:112]
	v_div_scale_f64 v[113:114], vcc_lo, 1.0, v[94:95], 1.0
	v_mul_f64 v[115:116], v[113:114], v[111:112]
	v_fma_f64 v[96:97], -v[96:97], v[115:116], v[113:114]
	v_div_fmas_f64 v[96:97], v[96:97], v[111:112], v[115:116]
	v_div_fixup_f64 v[96:97], v[96:97], v[94:95], 1.0
	v_mul_f64 v[94:95], v[109:110], v[96:97]
	v_xor_b32_e32 v97, 0x80000000, v97
.LBB44_238:
	s_andn2_saveexec_b32 s1, s1
	s_cbranch_execz .LBB44_240
; %bb.239:
	v_div_scale_f64 v[109:110], null, v[94:95], v[94:95], v[96:97]
	v_div_scale_f64 v[115:116], vcc_lo, v[96:97], v[94:95], v[96:97]
	v_rcp_f64_e32 v[111:112], v[109:110]
	v_fma_f64 v[113:114], -v[109:110], v[111:112], 1.0
	v_fma_f64 v[111:112], v[111:112], v[113:114], v[111:112]
	v_fma_f64 v[113:114], -v[109:110], v[111:112], 1.0
	v_fma_f64 v[111:112], v[111:112], v[113:114], v[111:112]
	v_mul_f64 v[113:114], v[115:116], v[111:112]
	v_fma_f64 v[109:110], -v[109:110], v[113:114], v[115:116]
	v_div_fmas_f64 v[109:110], v[109:110], v[111:112], v[113:114]
	v_div_fixup_f64 v[109:110], v[109:110], v[94:95], v[96:97]
	v_fma_f64 v[94:95], v[96:97], v[109:110], v[94:95]
	v_div_scale_f64 v[96:97], null, v[94:95], v[94:95], 1.0
	v_rcp_f64_e32 v[111:112], v[96:97]
	v_fma_f64 v[113:114], -v[96:97], v[111:112], 1.0
	v_fma_f64 v[111:112], v[111:112], v[113:114], v[111:112]
	v_fma_f64 v[113:114], -v[96:97], v[111:112], 1.0
	v_fma_f64 v[111:112], v[111:112], v[113:114], v[111:112]
	v_div_scale_f64 v[113:114], vcc_lo, 1.0, v[94:95], 1.0
	v_mul_f64 v[115:116], v[113:114], v[111:112]
	v_fma_f64 v[96:97], -v[96:97], v[115:116], v[113:114]
	v_div_fmas_f64 v[96:97], v[96:97], v[111:112], v[115:116]
	v_div_fixup_f64 v[94:95], v[96:97], v[94:95], 1.0
	v_mul_f64 v[96:97], v[109:110], -v[94:95]
.LBB44_240:
	s_or_b32 exec_lo, exec_lo, s1
.LBB44_241:
	s_or_b32 exec_lo, exec_lo, s0
	s_mov_b32 s0, exec_lo
	v_cmpx_ne_u32_e64 v108, v102
	s_xor_b32 s0, exec_lo, s0
	s_cbranch_execz .LBB44_247
; %bb.242:
	s_mov_b32 s1, exec_lo
	v_cmpx_eq_u32_e32 11, v108
	s_cbranch_execz .LBB44_246
; %bb.243:
	v_cmp_ne_u32_e32 vcc_lo, 11, v102
	s_xor_b32 s2, s16, -1
	s_and_b32 s3, s2, vcc_lo
	s_and_saveexec_b32 s2, s3
	s_cbranch_execz .LBB44_245
; %bb.244:
	v_ashrrev_i32_e32 v103, 31, v102
	v_lshlrev_b64 v[108:109], 2, v[102:103]
	v_add_co_u32 v108, vcc_lo, v100, v108
	v_add_co_ci_u32_e64 v109, null, v101, v109, vcc_lo
	s_clause 0x1
	global_load_dword v0, v[108:109], off
	global_load_dword v103, v[100:101], off offset:44
	s_waitcnt vmcnt(1)
	global_store_dword v[100:101], v0, off offset:44
	s_waitcnt vmcnt(0)
	global_store_dword v[108:109], v103, off
.LBB44_245:
	s_or_b32 exec_lo, exec_lo, s2
	v_mov_b32_e32 v108, v102
	v_mov_b32_e32 v0, v102
.LBB44_246:
	s_or_b32 exec_lo, exec_lo, s1
.LBB44_247:
	s_andn2_saveexec_b32 s0, s0
	s_cbranch_execz .LBB44_249
; %bb.248:
	v_mov_b32_e32 v108, 11
	ds_write2_b64 v1, v[42:43], v[44:45] offset0:24 offset1:25
	ds_write2_b64 v1, v[38:39], v[40:41] offset0:26 offset1:27
	;; [unrolled: 1-line block ×11, first 2 shown]
.LBB44_249:
	s_or_b32 exec_lo, exec_lo, s0
	s_mov_b32 s0, exec_lo
	s_waitcnt lgkmcnt(0)
	s_waitcnt_vscnt null, 0x0
	s_barrier
	buffer_gl0_inv
	v_cmpx_lt_i32_e32 11, v108
	s_cbranch_execz .LBB44_251
; %bb.250:
	v_mul_f64 v[102:103], v[94:95], v[48:49]
	v_mul_f64 v[48:49], v[96:97], v[48:49]
	v_fma_f64 v[102:103], v[96:97], v[46:47], v[102:103]
	v_fma_f64 v[46:47], v[94:95], v[46:47], -v[48:49]
	ds_read2_b64 v[94:97], v1 offset0:24 offset1:25
	s_waitcnt lgkmcnt(0)
	v_mul_f64 v[48:49], v[96:97], v[102:103]
	v_fma_f64 v[48:49], v[94:95], v[46:47], -v[48:49]
	v_mul_f64 v[94:95], v[94:95], v[102:103]
	v_add_f64 v[42:43], v[42:43], -v[48:49]
	v_fma_f64 v[94:95], v[96:97], v[46:47], v[94:95]
	v_add_f64 v[44:45], v[44:45], -v[94:95]
	ds_read2_b64 v[94:97], v1 offset0:26 offset1:27
	s_waitcnt lgkmcnt(0)
	v_mul_f64 v[48:49], v[96:97], v[102:103]
	v_fma_f64 v[48:49], v[94:95], v[46:47], -v[48:49]
	v_mul_f64 v[94:95], v[94:95], v[102:103]
	v_add_f64 v[38:39], v[38:39], -v[48:49]
	v_fma_f64 v[94:95], v[96:97], v[46:47], v[94:95]
	v_add_f64 v[40:41], v[40:41], -v[94:95]
	;; [unrolled: 8-line block ×10, first 2 shown]
	ds_read2_b64 v[94:97], v1 offset0:44 offset1:45
	s_waitcnt lgkmcnt(0)
	v_mul_f64 v[48:49], v[96:97], v[102:103]
	v_fma_f64 v[48:49], v[94:95], v[46:47], -v[48:49]
	v_mul_f64 v[94:95], v[94:95], v[102:103]
	v_add_f64 v[2:3], v[2:3], -v[48:49]
	v_fma_f64 v[94:95], v[96:97], v[46:47], v[94:95]
	v_mov_b32_e32 v48, v102
	v_mov_b32_e32 v49, v103
	v_add_f64 v[4:5], v[4:5], -v[94:95]
.LBB44_251:
	s_or_b32 exec_lo, exec_lo, s0
	v_lshl_add_u32 v94, v108, 4, v1
	s_barrier
	buffer_gl0_inv
	v_mov_b32_e32 v102, 12
	ds_write2_b64 v94, v[42:43], v[44:45] offset1:1
	s_waitcnt lgkmcnt(0)
	s_barrier
	buffer_gl0_inv
	ds_read2_b64 v[94:97], v1 offset0:24 offset1:25
	s_cmp_lt_i32 s18, 14
	s_cbranch_scc1 .LBB44_254
; %bb.252:
	v_add3_u32 v103, v104, 0, 0xd0
	v_mov_b32_e32 v102, 12
	s_mov_b32 s1, 13
	s_inst_prefetch 0x1
	.p2align	6
.LBB44_253:                             ; =>This Inner Loop Header: Depth=1
	s_waitcnt lgkmcnt(0)
	v_cmp_gt_f64_e32 vcc_lo, 0, v[96:97]
	v_cmp_gt_f64_e64 s0, 0, v[94:95]
	ds_read2_b64 v[109:112], v103 offset1:1
	v_xor_b32_e32 v114, 0x80000000, v95
	v_xor_b32_e32 v116, 0x80000000, v97
	v_mov_b32_e32 v113, v94
	v_mov_b32_e32 v115, v96
	v_add_nc_u32_e32 v103, 16, v103
	s_waitcnt lgkmcnt(0)
	v_xor_b32_e32 v118, 0x80000000, v112
	v_cndmask_b32_e64 v114, v95, v114, s0
	v_cndmask_b32_e32 v116, v97, v116, vcc_lo
	v_cmp_gt_f64_e32 vcc_lo, 0, v[111:112]
	v_cmp_gt_f64_e64 s0, 0, v[109:110]
	v_mov_b32_e32 v117, v111
	v_add_f64 v[113:114], v[113:114], v[115:116]
	v_xor_b32_e32 v116, 0x80000000, v110
	v_mov_b32_e32 v115, v109
	v_cndmask_b32_e32 v118, v112, v118, vcc_lo
	v_cndmask_b32_e64 v116, v110, v116, s0
	v_add_f64 v[115:116], v[115:116], v[117:118]
	v_cmp_lt_f64_e32 vcc_lo, v[113:114], v[115:116]
	v_cndmask_b32_e32 v95, v95, v110, vcc_lo
	v_cndmask_b32_e32 v94, v94, v109, vcc_lo
	;; [unrolled: 1-line block ×4, first 2 shown]
	v_cndmask_b32_e64 v102, v102, s1, vcc_lo
	s_add_i32 s1, s1, 1
	s_cmp_lg_u32 s18, s1
	s_cbranch_scc1 .LBB44_253
.LBB44_254:
	s_inst_prefetch 0x2
	s_waitcnt lgkmcnt(0)
	v_cmp_eq_f64_e32 vcc_lo, 0, v[94:95]
	v_cmp_eq_f64_e64 s0, 0, v[96:97]
	s_and_b32 s0, vcc_lo, s0
	s_and_saveexec_b32 s1, s0
	s_xor_b32 s0, exec_lo, s1
; %bb.255:
	v_cmp_ne_u32_e32 vcc_lo, 0, v107
	v_cndmask_b32_e32 v107, 13, v107, vcc_lo
; %bb.256:
	s_andn2_saveexec_b32 s0, s0
	s_cbranch_execz .LBB44_262
; %bb.257:
	v_cmp_ngt_f64_e64 s1, |v[94:95]|, |v[96:97]|
	s_and_saveexec_b32 s2, s1
	s_xor_b32 s1, exec_lo, s2
	s_cbranch_execz .LBB44_259
; %bb.258:
	v_div_scale_f64 v[109:110], null, v[96:97], v[96:97], v[94:95]
	v_div_scale_f64 v[115:116], vcc_lo, v[94:95], v[96:97], v[94:95]
	v_rcp_f64_e32 v[111:112], v[109:110]
	v_fma_f64 v[113:114], -v[109:110], v[111:112], 1.0
	v_fma_f64 v[111:112], v[111:112], v[113:114], v[111:112]
	v_fma_f64 v[113:114], -v[109:110], v[111:112], 1.0
	v_fma_f64 v[111:112], v[111:112], v[113:114], v[111:112]
	v_mul_f64 v[113:114], v[115:116], v[111:112]
	v_fma_f64 v[109:110], -v[109:110], v[113:114], v[115:116]
	v_div_fmas_f64 v[109:110], v[109:110], v[111:112], v[113:114]
	v_div_fixup_f64 v[109:110], v[109:110], v[96:97], v[94:95]
	v_fma_f64 v[94:95], v[94:95], v[109:110], v[96:97]
	v_div_scale_f64 v[96:97], null, v[94:95], v[94:95], 1.0
	v_rcp_f64_e32 v[111:112], v[96:97]
	v_fma_f64 v[113:114], -v[96:97], v[111:112], 1.0
	v_fma_f64 v[111:112], v[111:112], v[113:114], v[111:112]
	v_fma_f64 v[113:114], -v[96:97], v[111:112], 1.0
	v_fma_f64 v[111:112], v[111:112], v[113:114], v[111:112]
	v_div_scale_f64 v[113:114], vcc_lo, 1.0, v[94:95], 1.0
	v_mul_f64 v[115:116], v[113:114], v[111:112]
	v_fma_f64 v[96:97], -v[96:97], v[115:116], v[113:114]
	v_div_fmas_f64 v[96:97], v[96:97], v[111:112], v[115:116]
	v_div_fixup_f64 v[96:97], v[96:97], v[94:95], 1.0
	v_mul_f64 v[94:95], v[109:110], v[96:97]
	v_xor_b32_e32 v97, 0x80000000, v97
.LBB44_259:
	s_andn2_saveexec_b32 s1, s1
	s_cbranch_execz .LBB44_261
; %bb.260:
	v_div_scale_f64 v[109:110], null, v[94:95], v[94:95], v[96:97]
	v_div_scale_f64 v[115:116], vcc_lo, v[96:97], v[94:95], v[96:97]
	v_rcp_f64_e32 v[111:112], v[109:110]
	v_fma_f64 v[113:114], -v[109:110], v[111:112], 1.0
	v_fma_f64 v[111:112], v[111:112], v[113:114], v[111:112]
	v_fma_f64 v[113:114], -v[109:110], v[111:112], 1.0
	v_fma_f64 v[111:112], v[111:112], v[113:114], v[111:112]
	v_mul_f64 v[113:114], v[115:116], v[111:112]
	v_fma_f64 v[109:110], -v[109:110], v[113:114], v[115:116]
	v_div_fmas_f64 v[109:110], v[109:110], v[111:112], v[113:114]
	v_div_fixup_f64 v[109:110], v[109:110], v[94:95], v[96:97]
	v_fma_f64 v[94:95], v[96:97], v[109:110], v[94:95]
	v_div_scale_f64 v[96:97], null, v[94:95], v[94:95], 1.0
	v_rcp_f64_e32 v[111:112], v[96:97]
	v_fma_f64 v[113:114], -v[96:97], v[111:112], 1.0
	v_fma_f64 v[111:112], v[111:112], v[113:114], v[111:112]
	v_fma_f64 v[113:114], -v[96:97], v[111:112], 1.0
	v_fma_f64 v[111:112], v[111:112], v[113:114], v[111:112]
	v_div_scale_f64 v[113:114], vcc_lo, 1.0, v[94:95], 1.0
	v_mul_f64 v[115:116], v[113:114], v[111:112]
	v_fma_f64 v[96:97], -v[96:97], v[115:116], v[113:114]
	v_div_fmas_f64 v[96:97], v[96:97], v[111:112], v[115:116]
	v_div_fixup_f64 v[94:95], v[96:97], v[94:95], 1.0
	v_mul_f64 v[96:97], v[109:110], -v[94:95]
.LBB44_261:
	s_or_b32 exec_lo, exec_lo, s1
.LBB44_262:
	s_or_b32 exec_lo, exec_lo, s0
	s_mov_b32 s0, exec_lo
	v_cmpx_ne_u32_e64 v108, v102
	s_xor_b32 s0, exec_lo, s0
	s_cbranch_execz .LBB44_268
; %bb.263:
	s_mov_b32 s1, exec_lo
	v_cmpx_eq_u32_e32 12, v108
	s_cbranch_execz .LBB44_267
; %bb.264:
	v_cmp_ne_u32_e32 vcc_lo, 12, v102
	s_xor_b32 s2, s16, -1
	s_and_b32 s3, s2, vcc_lo
	s_and_saveexec_b32 s2, s3
	s_cbranch_execz .LBB44_266
; %bb.265:
	v_ashrrev_i32_e32 v103, 31, v102
	v_lshlrev_b64 v[108:109], 2, v[102:103]
	v_add_co_u32 v108, vcc_lo, v100, v108
	v_add_co_ci_u32_e64 v109, null, v101, v109, vcc_lo
	s_clause 0x1
	global_load_dword v0, v[108:109], off
	global_load_dword v103, v[100:101], off offset:48
	s_waitcnt vmcnt(1)
	global_store_dword v[100:101], v0, off offset:48
	s_waitcnt vmcnt(0)
	global_store_dword v[108:109], v103, off
.LBB44_266:
	s_or_b32 exec_lo, exec_lo, s2
	v_mov_b32_e32 v108, v102
	v_mov_b32_e32 v0, v102
.LBB44_267:
	s_or_b32 exec_lo, exec_lo, s1
.LBB44_268:
	s_andn2_saveexec_b32 s0, s0
	s_cbranch_execz .LBB44_270
; %bb.269:
	v_mov_b32_e32 v108, 12
	ds_write2_b64 v1, v[38:39], v[40:41] offset0:26 offset1:27
	ds_write2_b64 v1, v[34:35], v[36:37] offset0:28 offset1:29
	;; [unrolled: 1-line block ×10, first 2 shown]
.LBB44_270:
	s_or_b32 exec_lo, exec_lo, s0
	s_mov_b32 s0, exec_lo
	s_waitcnt lgkmcnt(0)
	s_waitcnt_vscnt null, 0x0
	s_barrier
	buffer_gl0_inv
	v_cmpx_lt_i32_e32 12, v108
	s_cbranch_execz .LBB44_272
; %bb.271:
	v_mul_f64 v[102:103], v[94:95], v[44:45]
	v_mul_f64 v[44:45], v[96:97], v[44:45]
	v_fma_f64 v[102:103], v[96:97], v[42:43], v[102:103]
	v_fma_f64 v[42:43], v[94:95], v[42:43], -v[44:45]
	ds_read2_b64 v[94:97], v1 offset0:26 offset1:27
	s_waitcnt lgkmcnt(0)
	v_mul_f64 v[44:45], v[96:97], v[102:103]
	v_fma_f64 v[44:45], v[94:95], v[42:43], -v[44:45]
	v_mul_f64 v[94:95], v[94:95], v[102:103]
	v_add_f64 v[38:39], v[38:39], -v[44:45]
	v_fma_f64 v[94:95], v[96:97], v[42:43], v[94:95]
	v_add_f64 v[40:41], v[40:41], -v[94:95]
	ds_read2_b64 v[94:97], v1 offset0:28 offset1:29
	s_waitcnt lgkmcnt(0)
	v_mul_f64 v[44:45], v[96:97], v[102:103]
	v_fma_f64 v[44:45], v[94:95], v[42:43], -v[44:45]
	v_mul_f64 v[94:95], v[94:95], v[102:103]
	v_add_f64 v[34:35], v[34:35], -v[44:45]
	v_fma_f64 v[94:95], v[96:97], v[42:43], v[94:95]
	v_add_f64 v[36:37], v[36:37], -v[94:95]
	;; [unrolled: 8-line block ×9, first 2 shown]
	ds_read2_b64 v[94:97], v1 offset0:44 offset1:45
	s_waitcnt lgkmcnt(0)
	v_mul_f64 v[44:45], v[96:97], v[102:103]
	v_fma_f64 v[44:45], v[94:95], v[42:43], -v[44:45]
	v_mul_f64 v[94:95], v[94:95], v[102:103]
	v_add_f64 v[2:3], v[2:3], -v[44:45]
	v_fma_f64 v[94:95], v[96:97], v[42:43], v[94:95]
	v_mov_b32_e32 v44, v102
	v_mov_b32_e32 v45, v103
	v_add_f64 v[4:5], v[4:5], -v[94:95]
.LBB44_272:
	s_or_b32 exec_lo, exec_lo, s0
	v_lshl_add_u32 v94, v108, 4, v1
	s_barrier
	buffer_gl0_inv
	v_mov_b32_e32 v102, 13
	ds_write2_b64 v94, v[38:39], v[40:41] offset1:1
	s_waitcnt lgkmcnt(0)
	s_barrier
	buffer_gl0_inv
	ds_read2_b64 v[94:97], v1 offset0:26 offset1:27
	s_cmp_lt_i32 s18, 15
	s_cbranch_scc1 .LBB44_275
; %bb.273:
	v_add3_u32 v103, v104, 0, 0xe0
	v_mov_b32_e32 v102, 13
	s_mov_b32 s1, 14
	s_inst_prefetch 0x1
	.p2align	6
.LBB44_274:                             ; =>This Inner Loop Header: Depth=1
	s_waitcnt lgkmcnt(0)
	v_cmp_gt_f64_e32 vcc_lo, 0, v[96:97]
	v_cmp_gt_f64_e64 s0, 0, v[94:95]
	ds_read2_b64 v[109:112], v103 offset1:1
	v_xor_b32_e32 v114, 0x80000000, v95
	v_xor_b32_e32 v116, 0x80000000, v97
	v_mov_b32_e32 v113, v94
	v_mov_b32_e32 v115, v96
	v_add_nc_u32_e32 v103, 16, v103
	s_waitcnt lgkmcnt(0)
	v_xor_b32_e32 v118, 0x80000000, v112
	v_cndmask_b32_e64 v114, v95, v114, s0
	v_cndmask_b32_e32 v116, v97, v116, vcc_lo
	v_cmp_gt_f64_e32 vcc_lo, 0, v[111:112]
	v_cmp_gt_f64_e64 s0, 0, v[109:110]
	v_mov_b32_e32 v117, v111
	v_add_f64 v[113:114], v[113:114], v[115:116]
	v_xor_b32_e32 v116, 0x80000000, v110
	v_mov_b32_e32 v115, v109
	v_cndmask_b32_e32 v118, v112, v118, vcc_lo
	v_cndmask_b32_e64 v116, v110, v116, s0
	v_add_f64 v[115:116], v[115:116], v[117:118]
	v_cmp_lt_f64_e32 vcc_lo, v[113:114], v[115:116]
	v_cndmask_b32_e32 v95, v95, v110, vcc_lo
	v_cndmask_b32_e32 v94, v94, v109, vcc_lo
	;; [unrolled: 1-line block ×4, first 2 shown]
	v_cndmask_b32_e64 v102, v102, s1, vcc_lo
	s_add_i32 s1, s1, 1
	s_cmp_lg_u32 s18, s1
	s_cbranch_scc1 .LBB44_274
.LBB44_275:
	s_inst_prefetch 0x2
	s_waitcnt lgkmcnt(0)
	v_cmp_eq_f64_e32 vcc_lo, 0, v[94:95]
	v_cmp_eq_f64_e64 s0, 0, v[96:97]
	s_and_b32 s0, vcc_lo, s0
	s_and_saveexec_b32 s1, s0
	s_xor_b32 s0, exec_lo, s1
; %bb.276:
	v_cmp_ne_u32_e32 vcc_lo, 0, v107
	v_cndmask_b32_e32 v107, 14, v107, vcc_lo
; %bb.277:
	s_andn2_saveexec_b32 s0, s0
	s_cbranch_execz .LBB44_283
; %bb.278:
	v_cmp_ngt_f64_e64 s1, |v[94:95]|, |v[96:97]|
	s_and_saveexec_b32 s2, s1
	s_xor_b32 s1, exec_lo, s2
	s_cbranch_execz .LBB44_280
; %bb.279:
	v_div_scale_f64 v[109:110], null, v[96:97], v[96:97], v[94:95]
	v_div_scale_f64 v[115:116], vcc_lo, v[94:95], v[96:97], v[94:95]
	v_rcp_f64_e32 v[111:112], v[109:110]
	v_fma_f64 v[113:114], -v[109:110], v[111:112], 1.0
	v_fma_f64 v[111:112], v[111:112], v[113:114], v[111:112]
	v_fma_f64 v[113:114], -v[109:110], v[111:112], 1.0
	v_fma_f64 v[111:112], v[111:112], v[113:114], v[111:112]
	v_mul_f64 v[113:114], v[115:116], v[111:112]
	v_fma_f64 v[109:110], -v[109:110], v[113:114], v[115:116]
	v_div_fmas_f64 v[109:110], v[109:110], v[111:112], v[113:114]
	v_div_fixup_f64 v[109:110], v[109:110], v[96:97], v[94:95]
	v_fma_f64 v[94:95], v[94:95], v[109:110], v[96:97]
	v_div_scale_f64 v[96:97], null, v[94:95], v[94:95], 1.0
	v_rcp_f64_e32 v[111:112], v[96:97]
	v_fma_f64 v[113:114], -v[96:97], v[111:112], 1.0
	v_fma_f64 v[111:112], v[111:112], v[113:114], v[111:112]
	v_fma_f64 v[113:114], -v[96:97], v[111:112], 1.0
	v_fma_f64 v[111:112], v[111:112], v[113:114], v[111:112]
	v_div_scale_f64 v[113:114], vcc_lo, 1.0, v[94:95], 1.0
	v_mul_f64 v[115:116], v[113:114], v[111:112]
	v_fma_f64 v[96:97], -v[96:97], v[115:116], v[113:114]
	v_div_fmas_f64 v[96:97], v[96:97], v[111:112], v[115:116]
	v_div_fixup_f64 v[96:97], v[96:97], v[94:95], 1.0
	v_mul_f64 v[94:95], v[109:110], v[96:97]
	v_xor_b32_e32 v97, 0x80000000, v97
.LBB44_280:
	s_andn2_saveexec_b32 s1, s1
	s_cbranch_execz .LBB44_282
; %bb.281:
	v_div_scale_f64 v[109:110], null, v[94:95], v[94:95], v[96:97]
	v_div_scale_f64 v[115:116], vcc_lo, v[96:97], v[94:95], v[96:97]
	v_rcp_f64_e32 v[111:112], v[109:110]
	v_fma_f64 v[113:114], -v[109:110], v[111:112], 1.0
	v_fma_f64 v[111:112], v[111:112], v[113:114], v[111:112]
	v_fma_f64 v[113:114], -v[109:110], v[111:112], 1.0
	v_fma_f64 v[111:112], v[111:112], v[113:114], v[111:112]
	v_mul_f64 v[113:114], v[115:116], v[111:112]
	v_fma_f64 v[109:110], -v[109:110], v[113:114], v[115:116]
	v_div_fmas_f64 v[109:110], v[109:110], v[111:112], v[113:114]
	v_div_fixup_f64 v[109:110], v[109:110], v[94:95], v[96:97]
	v_fma_f64 v[94:95], v[96:97], v[109:110], v[94:95]
	v_div_scale_f64 v[96:97], null, v[94:95], v[94:95], 1.0
	v_rcp_f64_e32 v[111:112], v[96:97]
	v_fma_f64 v[113:114], -v[96:97], v[111:112], 1.0
	v_fma_f64 v[111:112], v[111:112], v[113:114], v[111:112]
	v_fma_f64 v[113:114], -v[96:97], v[111:112], 1.0
	v_fma_f64 v[111:112], v[111:112], v[113:114], v[111:112]
	v_div_scale_f64 v[113:114], vcc_lo, 1.0, v[94:95], 1.0
	v_mul_f64 v[115:116], v[113:114], v[111:112]
	v_fma_f64 v[96:97], -v[96:97], v[115:116], v[113:114]
	v_div_fmas_f64 v[96:97], v[96:97], v[111:112], v[115:116]
	v_div_fixup_f64 v[94:95], v[96:97], v[94:95], 1.0
	v_mul_f64 v[96:97], v[109:110], -v[94:95]
.LBB44_282:
	s_or_b32 exec_lo, exec_lo, s1
.LBB44_283:
	s_or_b32 exec_lo, exec_lo, s0
	s_mov_b32 s0, exec_lo
	v_cmpx_ne_u32_e64 v108, v102
	s_xor_b32 s0, exec_lo, s0
	s_cbranch_execz .LBB44_289
; %bb.284:
	s_mov_b32 s1, exec_lo
	v_cmpx_eq_u32_e32 13, v108
	s_cbranch_execz .LBB44_288
; %bb.285:
	v_cmp_ne_u32_e32 vcc_lo, 13, v102
	s_xor_b32 s2, s16, -1
	s_and_b32 s3, s2, vcc_lo
	s_and_saveexec_b32 s2, s3
	s_cbranch_execz .LBB44_287
; %bb.286:
	v_ashrrev_i32_e32 v103, 31, v102
	v_lshlrev_b64 v[108:109], 2, v[102:103]
	v_add_co_u32 v108, vcc_lo, v100, v108
	v_add_co_ci_u32_e64 v109, null, v101, v109, vcc_lo
	s_clause 0x1
	global_load_dword v0, v[108:109], off
	global_load_dword v103, v[100:101], off offset:52
	s_waitcnt vmcnt(1)
	global_store_dword v[100:101], v0, off offset:52
	s_waitcnt vmcnt(0)
	global_store_dword v[108:109], v103, off
.LBB44_287:
	s_or_b32 exec_lo, exec_lo, s2
	v_mov_b32_e32 v108, v102
	v_mov_b32_e32 v0, v102
.LBB44_288:
	s_or_b32 exec_lo, exec_lo, s1
.LBB44_289:
	s_andn2_saveexec_b32 s0, s0
	s_cbranch_execz .LBB44_291
; %bb.290:
	v_mov_b32_e32 v108, 13
	ds_write2_b64 v1, v[34:35], v[36:37] offset0:28 offset1:29
	ds_write2_b64 v1, v[30:31], v[32:33] offset0:30 offset1:31
	;; [unrolled: 1-line block ×9, first 2 shown]
.LBB44_291:
	s_or_b32 exec_lo, exec_lo, s0
	s_mov_b32 s0, exec_lo
	s_waitcnt lgkmcnt(0)
	s_waitcnt_vscnt null, 0x0
	s_barrier
	buffer_gl0_inv
	v_cmpx_lt_i32_e32 13, v108
	s_cbranch_execz .LBB44_293
; %bb.292:
	v_mul_f64 v[102:103], v[94:95], v[40:41]
	v_mul_f64 v[40:41], v[96:97], v[40:41]
	v_fma_f64 v[102:103], v[96:97], v[38:39], v[102:103]
	v_fma_f64 v[38:39], v[94:95], v[38:39], -v[40:41]
	ds_read2_b64 v[94:97], v1 offset0:28 offset1:29
	s_waitcnt lgkmcnt(0)
	v_mul_f64 v[40:41], v[96:97], v[102:103]
	v_fma_f64 v[40:41], v[94:95], v[38:39], -v[40:41]
	v_mul_f64 v[94:95], v[94:95], v[102:103]
	v_add_f64 v[34:35], v[34:35], -v[40:41]
	v_fma_f64 v[94:95], v[96:97], v[38:39], v[94:95]
	v_add_f64 v[36:37], v[36:37], -v[94:95]
	ds_read2_b64 v[94:97], v1 offset0:30 offset1:31
	s_waitcnt lgkmcnt(0)
	v_mul_f64 v[40:41], v[96:97], v[102:103]
	v_fma_f64 v[40:41], v[94:95], v[38:39], -v[40:41]
	v_mul_f64 v[94:95], v[94:95], v[102:103]
	v_add_f64 v[30:31], v[30:31], -v[40:41]
	v_fma_f64 v[94:95], v[96:97], v[38:39], v[94:95]
	v_add_f64 v[32:33], v[32:33], -v[94:95]
	;; [unrolled: 8-line block ×8, first 2 shown]
	ds_read2_b64 v[94:97], v1 offset0:44 offset1:45
	s_waitcnt lgkmcnt(0)
	v_mul_f64 v[40:41], v[96:97], v[102:103]
	v_fma_f64 v[40:41], v[94:95], v[38:39], -v[40:41]
	v_mul_f64 v[94:95], v[94:95], v[102:103]
	v_add_f64 v[2:3], v[2:3], -v[40:41]
	v_fma_f64 v[94:95], v[96:97], v[38:39], v[94:95]
	v_mov_b32_e32 v40, v102
	v_mov_b32_e32 v41, v103
	v_add_f64 v[4:5], v[4:5], -v[94:95]
.LBB44_293:
	s_or_b32 exec_lo, exec_lo, s0
	v_lshl_add_u32 v94, v108, 4, v1
	s_barrier
	buffer_gl0_inv
	v_mov_b32_e32 v102, 14
	ds_write2_b64 v94, v[34:35], v[36:37] offset1:1
	s_waitcnt lgkmcnt(0)
	s_barrier
	buffer_gl0_inv
	ds_read2_b64 v[94:97], v1 offset0:28 offset1:29
	s_cmp_lt_i32 s18, 16
	s_cbranch_scc1 .LBB44_296
; %bb.294:
	v_add3_u32 v103, v104, 0, 0xf0
	v_mov_b32_e32 v102, 14
	s_mov_b32 s1, 15
	s_inst_prefetch 0x1
	.p2align	6
.LBB44_295:                             ; =>This Inner Loop Header: Depth=1
	s_waitcnt lgkmcnt(0)
	v_cmp_gt_f64_e32 vcc_lo, 0, v[96:97]
	v_cmp_gt_f64_e64 s0, 0, v[94:95]
	ds_read2_b64 v[109:112], v103 offset1:1
	v_xor_b32_e32 v114, 0x80000000, v95
	v_xor_b32_e32 v116, 0x80000000, v97
	v_mov_b32_e32 v113, v94
	v_mov_b32_e32 v115, v96
	v_add_nc_u32_e32 v103, 16, v103
	s_waitcnt lgkmcnt(0)
	v_xor_b32_e32 v118, 0x80000000, v112
	v_cndmask_b32_e64 v114, v95, v114, s0
	v_cndmask_b32_e32 v116, v97, v116, vcc_lo
	v_cmp_gt_f64_e32 vcc_lo, 0, v[111:112]
	v_cmp_gt_f64_e64 s0, 0, v[109:110]
	v_mov_b32_e32 v117, v111
	v_add_f64 v[113:114], v[113:114], v[115:116]
	v_xor_b32_e32 v116, 0x80000000, v110
	v_mov_b32_e32 v115, v109
	v_cndmask_b32_e32 v118, v112, v118, vcc_lo
	v_cndmask_b32_e64 v116, v110, v116, s0
	v_add_f64 v[115:116], v[115:116], v[117:118]
	v_cmp_lt_f64_e32 vcc_lo, v[113:114], v[115:116]
	v_cndmask_b32_e32 v95, v95, v110, vcc_lo
	v_cndmask_b32_e32 v94, v94, v109, vcc_lo
	;; [unrolled: 1-line block ×4, first 2 shown]
	v_cndmask_b32_e64 v102, v102, s1, vcc_lo
	s_add_i32 s1, s1, 1
	s_cmp_lg_u32 s18, s1
	s_cbranch_scc1 .LBB44_295
.LBB44_296:
	s_inst_prefetch 0x2
	s_waitcnt lgkmcnt(0)
	v_cmp_eq_f64_e32 vcc_lo, 0, v[94:95]
	v_cmp_eq_f64_e64 s0, 0, v[96:97]
	s_and_b32 s0, vcc_lo, s0
	s_and_saveexec_b32 s1, s0
	s_xor_b32 s0, exec_lo, s1
; %bb.297:
	v_cmp_ne_u32_e32 vcc_lo, 0, v107
	v_cndmask_b32_e32 v107, 15, v107, vcc_lo
; %bb.298:
	s_andn2_saveexec_b32 s0, s0
	s_cbranch_execz .LBB44_304
; %bb.299:
	v_cmp_ngt_f64_e64 s1, |v[94:95]|, |v[96:97]|
	s_and_saveexec_b32 s2, s1
	s_xor_b32 s1, exec_lo, s2
	s_cbranch_execz .LBB44_301
; %bb.300:
	v_div_scale_f64 v[109:110], null, v[96:97], v[96:97], v[94:95]
	v_div_scale_f64 v[115:116], vcc_lo, v[94:95], v[96:97], v[94:95]
	v_rcp_f64_e32 v[111:112], v[109:110]
	v_fma_f64 v[113:114], -v[109:110], v[111:112], 1.0
	v_fma_f64 v[111:112], v[111:112], v[113:114], v[111:112]
	v_fma_f64 v[113:114], -v[109:110], v[111:112], 1.0
	v_fma_f64 v[111:112], v[111:112], v[113:114], v[111:112]
	v_mul_f64 v[113:114], v[115:116], v[111:112]
	v_fma_f64 v[109:110], -v[109:110], v[113:114], v[115:116]
	v_div_fmas_f64 v[109:110], v[109:110], v[111:112], v[113:114]
	v_div_fixup_f64 v[109:110], v[109:110], v[96:97], v[94:95]
	v_fma_f64 v[94:95], v[94:95], v[109:110], v[96:97]
	v_div_scale_f64 v[96:97], null, v[94:95], v[94:95], 1.0
	v_rcp_f64_e32 v[111:112], v[96:97]
	v_fma_f64 v[113:114], -v[96:97], v[111:112], 1.0
	v_fma_f64 v[111:112], v[111:112], v[113:114], v[111:112]
	v_fma_f64 v[113:114], -v[96:97], v[111:112], 1.0
	v_fma_f64 v[111:112], v[111:112], v[113:114], v[111:112]
	v_div_scale_f64 v[113:114], vcc_lo, 1.0, v[94:95], 1.0
	v_mul_f64 v[115:116], v[113:114], v[111:112]
	v_fma_f64 v[96:97], -v[96:97], v[115:116], v[113:114]
	v_div_fmas_f64 v[96:97], v[96:97], v[111:112], v[115:116]
	v_div_fixup_f64 v[96:97], v[96:97], v[94:95], 1.0
	v_mul_f64 v[94:95], v[109:110], v[96:97]
	v_xor_b32_e32 v97, 0x80000000, v97
.LBB44_301:
	s_andn2_saveexec_b32 s1, s1
	s_cbranch_execz .LBB44_303
; %bb.302:
	v_div_scale_f64 v[109:110], null, v[94:95], v[94:95], v[96:97]
	v_div_scale_f64 v[115:116], vcc_lo, v[96:97], v[94:95], v[96:97]
	v_rcp_f64_e32 v[111:112], v[109:110]
	v_fma_f64 v[113:114], -v[109:110], v[111:112], 1.0
	v_fma_f64 v[111:112], v[111:112], v[113:114], v[111:112]
	v_fma_f64 v[113:114], -v[109:110], v[111:112], 1.0
	v_fma_f64 v[111:112], v[111:112], v[113:114], v[111:112]
	v_mul_f64 v[113:114], v[115:116], v[111:112]
	v_fma_f64 v[109:110], -v[109:110], v[113:114], v[115:116]
	v_div_fmas_f64 v[109:110], v[109:110], v[111:112], v[113:114]
	v_div_fixup_f64 v[109:110], v[109:110], v[94:95], v[96:97]
	v_fma_f64 v[94:95], v[96:97], v[109:110], v[94:95]
	v_div_scale_f64 v[96:97], null, v[94:95], v[94:95], 1.0
	v_rcp_f64_e32 v[111:112], v[96:97]
	v_fma_f64 v[113:114], -v[96:97], v[111:112], 1.0
	v_fma_f64 v[111:112], v[111:112], v[113:114], v[111:112]
	v_fma_f64 v[113:114], -v[96:97], v[111:112], 1.0
	v_fma_f64 v[111:112], v[111:112], v[113:114], v[111:112]
	v_div_scale_f64 v[113:114], vcc_lo, 1.0, v[94:95], 1.0
	v_mul_f64 v[115:116], v[113:114], v[111:112]
	v_fma_f64 v[96:97], -v[96:97], v[115:116], v[113:114]
	v_div_fmas_f64 v[96:97], v[96:97], v[111:112], v[115:116]
	v_div_fixup_f64 v[94:95], v[96:97], v[94:95], 1.0
	v_mul_f64 v[96:97], v[109:110], -v[94:95]
.LBB44_303:
	s_or_b32 exec_lo, exec_lo, s1
.LBB44_304:
	s_or_b32 exec_lo, exec_lo, s0
	s_mov_b32 s0, exec_lo
	v_cmpx_ne_u32_e64 v108, v102
	s_xor_b32 s0, exec_lo, s0
	s_cbranch_execz .LBB44_310
; %bb.305:
	s_mov_b32 s1, exec_lo
	v_cmpx_eq_u32_e32 14, v108
	s_cbranch_execz .LBB44_309
; %bb.306:
	v_cmp_ne_u32_e32 vcc_lo, 14, v102
	s_xor_b32 s2, s16, -1
	s_and_b32 s3, s2, vcc_lo
	s_and_saveexec_b32 s2, s3
	s_cbranch_execz .LBB44_308
; %bb.307:
	v_ashrrev_i32_e32 v103, 31, v102
	v_lshlrev_b64 v[108:109], 2, v[102:103]
	v_add_co_u32 v108, vcc_lo, v100, v108
	v_add_co_ci_u32_e64 v109, null, v101, v109, vcc_lo
	s_clause 0x1
	global_load_dword v0, v[108:109], off
	global_load_dword v103, v[100:101], off offset:56
	s_waitcnt vmcnt(1)
	global_store_dword v[100:101], v0, off offset:56
	s_waitcnt vmcnt(0)
	global_store_dword v[108:109], v103, off
.LBB44_308:
	s_or_b32 exec_lo, exec_lo, s2
	v_mov_b32_e32 v108, v102
	v_mov_b32_e32 v0, v102
.LBB44_309:
	s_or_b32 exec_lo, exec_lo, s1
.LBB44_310:
	s_andn2_saveexec_b32 s0, s0
	s_cbranch_execz .LBB44_312
; %bb.311:
	v_mov_b32_e32 v108, 14
	ds_write2_b64 v1, v[30:31], v[32:33] offset0:30 offset1:31
	ds_write2_b64 v1, v[26:27], v[28:29] offset0:32 offset1:33
	;; [unrolled: 1-line block ×8, first 2 shown]
.LBB44_312:
	s_or_b32 exec_lo, exec_lo, s0
	s_mov_b32 s0, exec_lo
	s_waitcnt lgkmcnt(0)
	s_waitcnt_vscnt null, 0x0
	s_barrier
	buffer_gl0_inv
	v_cmpx_lt_i32_e32 14, v108
	s_cbranch_execz .LBB44_314
; %bb.313:
	v_mul_f64 v[102:103], v[94:95], v[36:37]
	v_mul_f64 v[36:37], v[96:97], v[36:37]
	v_fma_f64 v[102:103], v[96:97], v[34:35], v[102:103]
	v_fma_f64 v[34:35], v[94:95], v[34:35], -v[36:37]
	ds_read2_b64 v[94:97], v1 offset0:30 offset1:31
	s_waitcnt lgkmcnt(0)
	v_mul_f64 v[36:37], v[96:97], v[102:103]
	v_fma_f64 v[36:37], v[94:95], v[34:35], -v[36:37]
	v_mul_f64 v[94:95], v[94:95], v[102:103]
	v_add_f64 v[30:31], v[30:31], -v[36:37]
	v_fma_f64 v[94:95], v[96:97], v[34:35], v[94:95]
	v_add_f64 v[32:33], v[32:33], -v[94:95]
	ds_read2_b64 v[94:97], v1 offset0:32 offset1:33
	s_waitcnt lgkmcnt(0)
	v_mul_f64 v[36:37], v[96:97], v[102:103]
	v_fma_f64 v[36:37], v[94:95], v[34:35], -v[36:37]
	v_mul_f64 v[94:95], v[94:95], v[102:103]
	v_add_f64 v[26:27], v[26:27], -v[36:37]
	v_fma_f64 v[94:95], v[96:97], v[34:35], v[94:95]
	v_add_f64 v[28:29], v[28:29], -v[94:95]
	;; [unrolled: 8-line block ×7, first 2 shown]
	ds_read2_b64 v[94:97], v1 offset0:44 offset1:45
	s_waitcnt lgkmcnt(0)
	v_mul_f64 v[36:37], v[96:97], v[102:103]
	v_fma_f64 v[36:37], v[94:95], v[34:35], -v[36:37]
	v_mul_f64 v[94:95], v[94:95], v[102:103]
	v_add_f64 v[2:3], v[2:3], -v[36:37]
	v_fma_f64 v[94:95], v[96:97], v[34:35], v[94:95]
	v_mov_b32_e32 v36, v102
	v_mov_b32_e32 v37, v103
	v_add_f64 v[4:5], v[4:5], -v[94:95]
.LBB44_314:
	s_or_b32 exec_lo, exec_lo, s0
	v_lshl_add_u32 v94, v108, 4, v1
	s_barrier
	buffer_gl0_inv
	v_mov_b32_e32 v102, 15
	ds_write2_b64 v94, v[30:31], v[32:33] offset1:1
	s_waitcnt lgkmcnt(0)
	s_barrier
	buffer_gl0_inv
	ds_read2_b64 v[94:97], v1 offset0:30 offset1:31
	s_cmp_lt_i32 s18, 17
	s_cbranch_scc1 .LBB44_317
; %bb.315:
	v_add3_u32 v103, v104, 0, 0x100
	v_mov_b32_e32 v102, 15
	s_mov_b32 s1, 16
	s_inst_prefetch 0x1
	.p2align	6
.LBB44_316:                             ; =>This Inner Loop Header: Depth=1
	s_waitcnt lgkmcnt(0)
	v_cmp_gt_f64_e32 vcc_lo, 0, v[96:97]
	v_cmp_gt_f64_e64 s0, 0, v[94:95]
	ds_read2_b64 v[109:112], v103 offset1:1
	v_xor_b32_e32 v114, 0x80000000, v95
	v_xor_b32_e32 v116, 0x80000000, v97
	v_mov_b32_e32 v113, v94
	v_mov_b32_e32 v115, v96
	v_add_nc_u32_e32 v103, 16, v103
	s_waitcnt lgkmcnt(0)
	v_xor_b32_e32 v118, 0x80000000, v112
	v_cndmask_b32_e64 v114, v95, v114, s0
	v_cndmask_b32_e32 v116, v97, v116, vcc_lo
	v_cmp_gt_f64_e32 vcc_lo, 0, v[111:112]
	v_cmp_gt_f64_e64 s0, 0, v[109:110]
	v_mov_b32_e32 v117, v111
	v_add_f64 v[113:114], v[113:114], v[115:116]
	v_xor_b32_e32 v116, 0x80000000, v110
	v_mov_b32_e32 v115, v109
	v_cndmask_b32_e32 v118, v112, v118, vcc_lo
	v_cndmask_b32_e64 v116, v110, v116, s0
	v_add_f64 v[115:116], v[115:116], v[117:118]
	v_cmp_lt_f64_e32 vcc_lo, v[113:114], v[115:116]
	v_cndmask_b32_e32 v95, v95, v110, vcc_lo
	v_cndmask_b32_e32 v94, v94, v109, vcc_lo
	v_cndmask_b32_e32 v97, v97, v112, vcc_lo
	v_cndmask_b32_e32 v96, v96, v111, vcc_lo
	v_cndmask_b32_e64 v102, v102, s1, vcc_lo
	s_add_i32 s1, s1, 1
	s_cmp_lg_u32 s18, s1
	s_cbranch_scc1 .LBB44_316
.LBB44_317:
	s_inst_prefetch 0x2
	s_waitcnt lgkmcnt(0)
	v_cmp_eq_f64_e32 vcc_lo, 0, v[94:95]
	v_cmp_eq_f64_e64 s0, 0, v[96:97]
	s_and_b32 s0, vcc_lo, s0
	s_and_saveexec_b32 s1, s0
	s_xor_b32 s0, exec_lo, s1
; %bb.318:
	v_cmp_ne_u32_e32 vcc_lo, 0, v107
	v_cndmask_b32_e32 v107, 16, v107, vcc_lo
; %bb.319:
	s_andn2_saveexec_b32 s0, s0
	s_cbranch_execz .LBB44_325
; %bb.320:
	v_cmp_ngt_f64_e64 s1, |v[94:95]|, |v[96:97]|
	s_and_saveexec_b32 s2, s1
	s_xor_b32 s1, exec_lo, s2
	s_cbranch_execz .LBB44_322
; %bb.321:
	v_div_scale_f64 v[109:110], null, v[96:97], v[96:97], v[94:95]
	v_div_scale_f64 v[115:116], vcc_lo, v[94:95], v[96:97], v[94:95]
	v_rcp_f64_e32 v[111:112], v[109:110]
	v_fma_f64 v[113:114], -v[109:110], v[111:112], 1.0
	v_fma_f64 v[111:112], v[111:112], v[113:114], v[111:112]
	v_fma_f64 v[113:114], -v[109:110], v[111:112], 1.0
	v_fma_f64 v[111:112], v[111:112], v[113:114], v[111:112]
	v_mul_f64 v[113:114], v[115:116], v[111:112]
	v_fma_f64 v[109:110], -v[109:110], v[113:114], v[115:116]
	v_div_fmas_f64 v[109:110], v[109:110], v[111:112], v[113:114]
	v_div_fixup_f64 v[109:110], v[109:110], v[96:97], v[94:95]
	v_fma_f64 v[94:95], v[94:95], v[109:110], v[96:97]
	v_div_scale_f64 v[96:97], null, v[94:95], v[94:95], 1.0
	v_rcp_f64_e32 v[111:112], v[96:97]
	v_fma_f64 v[113:114], -v[96:97], v[111:112], 1.0
	v_fma_f64 v[111:112], v[111:112], v[113:114], v[111:112]
	v_fma_f64 v[113:114], -v[96:97], v[111:112], 1.0
	v_fma_f64 v[111:112], v[111:112], v[113:114], v[111:112]
	v_div_scale_f64 v[113:114], vcc_lo, 1.0, v[94:95], 1.0
	v_mul_f64 v[115:116], v[113:114], v[111:112]
	v_fma_f64 v[96:97], -v[96:97], v[115:116], v[113:114]
	v_div_fmas_f64 v[96:97], v[96:97], v[111:112], v[115:116]
	v_div_fixup_f64 v[96:97], v[96:97], v[94:95], 1.0
	v_mul_f64 v[94:95], v[109:110], v[96:97]
	v_xor_b32_e32 v97, 0x80000000, v97
.LBB44_322:
	s_andn2_saveexec_b32 s1, s1
	s_cbranch_execz .LBB44_324
; %bb.323:
	v_div_scale_f64 v[109:110], null, v[94:95], v[94:95], v[96:97]
	v_div_scale_f64 v[115:116], vcc_lo, v[96:97], v[94:95], v[96:97]
	v_rcp_f64_e32 v[111:112], v[109:110]
	v_fma_f64 v[113:114], -v[109:110], v[111:112], 1.0
	v_fma_f64 v[111:112], v[111:112], v[113:114], v[111:112]
	v_fma_f64 v[113:114], -v[109:110], v[111:112], 1.0
	v_fma_f64 v[111:112], v[111:112], v[113:114], v[111:112]
	v_mul_f64 v[113:114], v[115:116], v[111:112]
	v_fma_f64 v[109:110], -v[109:110], v[113:114], v[115:116]
	v_div_fmas_f64 v[109:110], v[109:110], v[111:112], v[113:114]
	v_div_fixup_f64 v[109:110], v[109:110], v[94:95], v[96:97]
	v_fma_f64 v[94:95], v[96:97], v[109:110], v[94:95]
	v_div_scale_f64 v[96:97], null, v[94:95], v[94:95], 1.0
	v_rcp_f64_e32 v[111:112], v[96:97]
	v_fma_f64 v[113:114], -v[96:97], v[111:112], 1.0
	v_fma_f64 v[111:112], v[111:112], v[113:114], v[111:112]
	v_fma_f64 v[113:114], -v[96:97], v[111:112], 1.0
	v_fma_f64 v[111:112], v[111:112], v[113:114], v[111:112]
	v_div_scale_f64 v[113:114], vcc_lo, 1.0, v[94:95], 1.0
	v_mul_f64 v[115:116], v[113:114], v[111:112]
	v_fma_f64 v[96:97], -v[96:97], v[115:116], v[113:114]
	v_div_fmas_f64 v[96:97], v[96:97], v[111:112], v[115:116]
	v_div_fixup_f64 v[94:95], v[96:97], v[94:95], 1.0
	v_mul_f64 v[96:97], v[109:110], -v[94:95]
.LBB44_324:
	s_or_b32 exec_lo, exec_lo, s1
.LBB44_325:
	s_or_b32 exec_lo, exec_lo, s0
	s_mov_b32 s0, exec_lo
	v_cmpx_ne_u32_e64 v108, v102
	s_xor_b32 s0, exec_lo, s0
	s_cbranch_execz .LBB44_331
; %bb.326:
	s_mov_b32 s1, exec_lo
	v_cmpx_eq_u32_e32 15, v108
	s_cbranch_execz .LBB44_330
; %bb.327:
	v_cmp_ne_u32_e32 vcc_lo, 15, v102
	s_xor_b32 s2, s16, -1
	s_and_b32 s3, s2, vcc_lo
	s_and_saveexec_b32 s2, s3
	s_cbranch_execz .LBB44_329
; %bb.328:
	v_ashrrev_i32_e32 v103, 31, v102
	v_lshlrev_b64 v[108:109], 2, v[102:103]
	v_add_co_u32 v108, vcc_lo, v100, v108
	v_add_co_ci_u32_e64 v109, null, v101, v109, vcc_lo
	s_clause 0x1
	global_load_dword v0, v[108:109], off
	global_load_dword v103, v[100:101], off offset:60
	s_waitcnt vmcnt(1)
	global_store_dword v[100:101], v0, off offset:60
	s_waitcnt vmcnt(0)
	global_store_dword v[108:109], v103, off
.LBB44_329:
	s_or_b32 exec_lo, exec_lo, s2
	v_mov_b32_e32 v108, v102
	v_mov_b32_e32 v0, v102
.LBB44_330:
	s_or_b32 exec_lo, exec_lo, s1
.LBB44_331:
	s_andn2_saveexec_b32 s0, s0
	s_cbranch_execz .LBB44_333
; %bb.332:
	v_mov_b32_e32 v108, 15
	ds_write2_b64 v1, v[26:27], v[28:29] offset0:32 offset1:33
	ds_write2_b64 v1, v[22:23], v[24:25] offset0:34 offset1:35
	;; [unrolled: 1-line block ×7, first 2 shown]
.LBB44_333:
	s_or_b32 exec_lo, exec_lo, s0
	s_mov_b32 s0, exec_lo
	s_waitcnt lgkmcnt(0)
	s_waitcnt_vscnt null, 0x0
	s_barrier
	buffer_gl0_inv
	v_cmpx_lt_i32_e32 15, v108
	s_cbranch_execz .LBB44_335
; %bb.334:
	v_mul_f64 v[102:103], v[94:95], v[32:33]
	v_mul_f64 v[32:33], v[96:97], v[32:33]
	v_fma_f64 v[102:103], v[96:97], v[30:31], v[102:103]
	v_fma_f64 v[30:31], v[94:95], v[30:31], -v[32:33]
	ds_read2_b64 v[94:97], v1 offset0:32 offset1:33
	s_waitcnt lgkmcnt(0)
	v_mul_f64 v[32:33], v[96:97], v[102:103]
	v_fma_f64 v[32:33], v[94:95], v[30:31], -v[32:33]
	v_mul_f64 v[94:95], v[94:95], v[102:103]
	v_add_f64 v[26:27], v[26:27], -v[32:33]
	v_fma_f64 v[94:95], v[96:97], v[30:31], v[94:95]
	v_add_f64 v[28:29], v[28:29], -v[94:95]
	ds_read2_b64 v[94:97], v1 offset0:34 offset1:35
	s_waitcnt lgkmcnt(0)
	v_mul_f64 v[32:33], v[96:97], v[102:103]
	v_fma_f64 v[32:33], v[94:95], v[30:31], -v[32:33]
	v_mul_f64 v[94:95], v[94:95], v[102:103]
	v_add_f64 v[22:23], v[22:23], -v[32:33]
	v_fma_f64 v[94:95], v[96:97], v[30:31], v[94:95]
	v_add_f64 v[24:25], v[24:25], -v[94:95]
	;; [unrolled: 8-line block ×6, first 2 shown]
	ds_read2_b64 v[94:97], v1 offset0:44 offset1:45
	s_waitcnt lgkmcnt(0)
	v_mul_f64 v[32:33], v[96:97], v[102:103]
	v_fma_f64 v[32:33], v[94:95], v[30:31], -v[32:33]
	v_mul_f64 v[94:95], v[94:95], v[102:103]
	v_add_f64 v[2:3], v[2:3], -v[32:33]
	v_fma_f64 v[94:95], v[96:97], v[30:31], v[94:95]
	v_mov_b32_e32 v32, v102
	v_mov_b32_e32 v33, v103
	v_add_f64 v[4:5], v[4:5], -v[94:95]
.LBB44_335:
	s_or_b32 exec_lo, exec_lo, s0
	v_lshl_add_u32 v94, v108, 4, v1
	s_barrier
	buffer_gl0_inv
	v_mov_b32_e32 v102, 16
	ds_write2_b64 v94, v[26:27], v[28:29] offset1:1
	s_waitcnt lgkmcnt(0)
	s_barrier
	buffer_gl0_inv
	ds_read2_b64 v[94:97], v1 offset0:32 offset1:33
	s_cmp_lt_i32 s18, 18
	s_cbranch_scc1 .LBB44_338
; %bb.336:
	v_add3_u32 v103, v104, 0, 0x110
	v_mov_b32_e32 v102, 16
	s_mov_b32 s1, 17
	s_inst_prefetch 0x1
	.p2align	6
.LBB44_337:                             ; =>This Inner Loop Header: Depth=1
	s_waitcnt lgkmcnt(0)
	v_cmp_gt_f64_e32 vcc_lo, 0, v[96:97]
	v_cmp_gt_f64_e64 s0, 0, v[94:95]
	ds_read2_b64 v[109:112], v103 offset1:1
	v_xor_b32_e32 v114, 0x80000000, v95
	v_xor_b32_e32 v116, 0x80000000, v97
	v_mov_b32_e32 v113, v94
	v_mov_b32_e32 v115, v96
	v_add_nc_u32_e32 v103, 16, v103
	s_waitcnt lgkmcnt(0)
	v_xor_b32_e32 v118, 0x80000000, v112
	v_cndmask_b32_e64 v114, v95, v114, s0
	v_cndmask_b32_e32 v116, v97, v116, vcc_lo
	v_cmp_gt_f64_e32 vcc_lo, 0, v[111:112]
	v_cmp_gt_f64_e64 s0, 0, v[109:110]
	v_mov_b32_e32 v117, v111
	v_add_f64 v[113:114], v[113:114], v[115:116]
	v_xor_b32_e32 v116, 0x80000000, v110
	v_mov_b32_e32 v115, v109
	v_cndmask_b32_e32 v118, v112, v118, vcc_lo
	v_cndmask_b32_e64 v116, v110, v116, s0
	v_add_f64 v[115:116], v[115:116], v[117:118]
	v_cmp_lt_f64_e32 vcc_lo, v[113:114], v[115:116]
	v_cndmask_b32_e32 v95, v95, v110, vcc_lo
	v_cndmask_b32_e32 v94, v94, v109, vcc_lo
	;; [unrolled: 1-line block ×4, first 2 shown]
	v_cndmask_b32_e64 v102, v102, s1, vcc_lo
	s_add_i32 s1, s1, 1
	s_cmp_lg_u32 s18, s1
	s_cbranch_scc1 .LBB44_337
.LBB44_338:
	s_inst_prefetch 0x2
	s_waitcnt lgkmcnt(0)
	v_cmp_eq_f64_e32 vcc_lo, 0, v[94:95]
	v_cmp_eq_f64_e64 s0, 0, v[96:97]
	s_and_b32 s0, vcc_lo, s0
	s_and_saveexec_b32 s1, s0
	s_xor_b32 s0, exec_lo, s1
; %bb.339:
	v_cmp_ne_u32_e32 vcc_lo, 0, v107
	v_cndmask_b32_e32 v107, 17, v107, vcc_lo
; %bb.340:
	s_andn2_saveexec_b32 s0, s0
	s_cbranch_execz .LBB44_346
; %bb.341:
	v_cmp_ngt_f64_e64 s1, |v[94:95]|, |v[96:97]|
	s_and_saveexec_b32 s2, s1
	s_xor_b32 s1, exec_lo, s2
	s_cbranch_execz .LBB44_343
; %bb.342:
	v_div_scale_f64 v[109:110], null, v[96:97], v[96:97], v[94:95]
	v_div_scale_f64 v[115:116], vcc_lo, v[94:95], v[96:97], v[94:95]
	v_rcp_f64_e32 v[111:112], v[109:110]
	v_fma_f64 v[113:114], -v[109:110], v[111:112], 1.0
	v_fma_f64 v[111:112], v[111:112], v[113:114], v[111:112]
	v_fma_f64 v[113:114], -v[109:110], v[111:112], 1.0
	v_fma_f64 v[111:112], v[111:112], v[113:114], v[111:112]
	v_mul_f64 v[113:114], v[115:116], v[111:112]
	v_fma_f64 v[109:110], -v[109:110], v[113:114], v[115:116]
	v_div_fmas_f64 v[109:110], v[109:110], v[111:112], v[113:114]
	v_div_fixup_f64 v[109:110], v[109:110], v[96:97], v[94:95]
	v_fma_f64 v[94:95], v[94:95], v[109:110], v[96:97]
	v_div_scale_f64 v[96:97], null, v[94:95], v[94:95], 1.0
	v_rcp_f64_e32 v[111:112], v[96:97]
	v_fma_f64 v[113:114], -v[96:97], v[111:112], 1.0
	v_fma_f64 v[111:112], v[111:112], v[113:114], v[111:112]
	v_fma_f64 v[113:114], -v[96:97], v[111:112], 1.0
	v_fma_f64 v[111:112], v[111:112], v[113:114], v[111:112]
	v_div_scale_f64 v[113:114], vcc_lo, 1.0, v[94:95], 1.0
	v_mul_f64 v[115:116], v[113:114], v[111:112]
	v_fma_f64 v[96:97], -v[96:97], v[115:116], v[113:114]
	v_div_fmas_f64 v[96:97], v[96:97], v[111:112], v[115:116]
	v_div_fixup_f64 v[96:97], v[96:97], v[94:95], 1.0
	v_mul_f64 v[94:95], v[109:110], v[96:97]
	v_xor_b32_e32 v97, 0x80000000, v97
.LBB44_343:
	s_andn2_saveexec_b32 s1, s1
	s_cbranch_execz .LBB44_345
; %bb.344:
	v_div_scale_f64 v[109:110], null, v[94:95], v[94:95], v[96:97]
	v_div_scale_f64 v[115:116], vcc_lo, v[96:97], v[94:95], v[96:97]
	v_rcp_f64_e32 v[111:112], v[109:110]
	v_fma_f64 v[113:114], -v[109:110], v[111:112], 1.0
	v_fma_f64 v[111:112], v[111:112], v[113:114], v[111:112]
	v_fma_f64 v[113:114], -v[109:110], v[111:112], 1.0
	v_fma_f64 v[111:112], v[111:112], v[113:114], v[111:112]
	v_mul_f64 v[113:114], v[115:116], v[111:112]
	v_fma_f64 v[109:110], -v[109:110], v[113:114], v[115:116]
	v_div_fmas_f64 v[109:110], v[109:110], v[111:112], v[113:114]
	v_div_fixup_f64 v[109:110], v[109:110], v[94:95], v[96:97]
	v_fma_f64 v[94:95], v[96:97], v[109:110], v[94:95]
	v_div_scale_f64 v[96:97], null, v[94:95], v[94:95], 1.0
	v_rcp_f64_e32 v[111:112], v[96:97]
	v_fma_f64 v[113:114], -v[96:97], v[111:112], 1.0
	v_fma_f64 v[111:112], v[111:112], v[113:114], v[111:112]
	v_fma_f64 v[113:114], -v[96:97], v[111:112], 1.0
	v_fma_f64 v[111:112], v[111:112], v[113:114], v[111:112]
	v_div_scale_f64 v[113:114], vcc_lo, 1.0, v[94:95], 1.0
	v_mul_f64 v[115:116], v[113:114], v[111:112]
	v_fma_f64 v[96:97], -v[96:97], v[115:116], v[113:114]
	v_div_fmas_f64 v[96:97], v[96:97], v[111:112], v[115:116]
	v_div_fixup_f64 v[94:95], v[96:97], v[94:95], 1.0
	v_mul_f64 v[96:97], v[109:110], -v[94:95]
.LBB44_345:
	s_or_b32 exec_lo, exec_lo, s1
.LBB44_346:
	s_or_b32 exec_lo, exec_lo, s0
	s_mov_b32 s0, exec_lo
	v_cmpx_ne_u32_e64 v108, v102
	s_xor_b32 s0, exec_lo, s0
	s_cbranch_execz .LBB44_352
; %bb.347:
	s_mov_b32 s1, exec_lo
	v_cmpx_eq_u32_e32 16, v108
	s_cbranch_execz .LBB44_351
; %bb.348:
	v_cmp_ne_u32_e32 vcc_lo, 16, v102
	s_xor_b32 s2, s16, -1
	s_and_b32 s3, s2, vcc_lo
	s_and_saveexec_b32 s2, s3
	s_cbranch_execz .LBB44_350
; %bb.349:
	v_ashrrev_i32_e32 v103, 31, v102
	v_lshlrev_b64 v[108:109], 2, v[102:103]
	v_add_co_u32 v108, vcc_lo, v100, v108
	v_add_co_ci_u32_e64 v109, null, v101, v109, vcc_lo
	s_clause 0x1
	global_load_dword v0, v[108:109], off
	global_load_dword v103, v[100:101], off offset:64
	s_waitcnt vmcnt(1)
	global_store_dword v[100:101], v0, off offset:64
	s_waitcnt vmcnt(0)
	global_store_dword v[108:109], v103, off
.LBB44_350:
	s_or_b32 exec_lo, exec_lo, s2
	v_mov_b32_e32 v108, v102
	v_mov_b32_e32 v0, v102
.LBB44_351:
	s_or_b32 exec_lo, exec_lo, s1
.LBB44_352:
	s_andn2_saveexec_b32 s0, s0
	s_cbranch_execz .LBB44_354
; %bb.353:
	v_mov_b32_e32 v108, 16
	ds_write2_b64 v1, v[22:23], v[24:25] offset0:34 offset1:35
	ds_write2_b64 v1, v[18:19], v[20:21] offset0:36 offset1:37
	;; [unrolled: 1-line block ×6, first 2 shown]
.LBB44_354:
	s_or_b32 exec_lo, exec_lo, s0
	s_mov_b32 s0, exec_lo
	s_waitcnt lgkmcnt(0)
	s_waitcnt_vscnt null, 0x0
	s_barrier
	buffer_gl0_inv
	v_cmpx_lt_i32_e32 16, v108
	s_cbranch_execz .LBB44_356
; %bb.355:
	v_mul_f64 v[102:103], v[94:95], v[28:29]
	v_mul_f64 v[28:29], v[96:97], v[28:29]
	v_fma_f64 v[102:103], v[96:97], v[26:27], v[102:103]
	v_fma_f64 v[26:27], v[94:95], v[26:27], -v[28:29]
	ds_read2_b64 v[94:97], v1 offset0:34 offset1:35
	s_waitcnt lgkmcnt(0)
	v_mul_f64 v[28:29], v[96:97], v[102:103]
	v_fma_f64 v[28:29], v[94:95], v[26:27], -v[28:29]
	v_mul_f64 v[94:95], v[94:95], v[102:103]
	v_add_f64 v[22:23], v[22:23], -v[28:29]
	v_fma_f64 v[94:95], v[96:97], v[26:27], v[94:95]
	v_add_f64 v[24:25], v[24:25], -v[94:95]
	ds_read2_b64 v[94:97], v1 offset0:36 offset1:37
	s_waitcnt lgkmcnt(0)
	v_mul_f64 v[28:29], v[96:97], v[102:103]
	v_fma_f64 v[28:29], v[94:95], v[26:27], -v[28:29]
	v_mul_f64 v[94:95], v[94:95], v[102:103]
	v_add_f64 v[18:19], v[18:19], -v[28:29]
	v_fma_f64 v[94:95], v[96:97], v[26:27], v[94:95]
	v_add_f64 v[20:21], v[20:21], -v[94:95]
	;; [unrolled: 8-line block ×5, first 2 shown]
	ds_read2_b64 v[94:97], v1 offset0:44 offset1:45
	s_waitcnt lgkmcnt(0)
	v_mul_f64 v[28:29], v[96:97], v[102:103]
	v_fma_f64 v[28:29], v[94:95], v[26:27], -v[28:29]
	v_mul_f64 v[94:95], v[94:95], v[102:103]
	v_add_f64 v[2:3], v[2:3], -v[28:29]
	v_fma_f64 v[94:95], v[96:97], v[26:27], v[94:95]
	v_mov_b32_e32 v28, v102
	v_mov_b32_e32 v29, v103
	v_add_f64 v[4:5], v[4:5], -v[94:95]
.LBB44_356:
	s_or_b32 exec_lo, exec_lo, s0
	v_lshl_add_u32 v94, v108, 4, v1
	s_barrier
	buffer_gl0_inv
	v_mov_b32_e32 v102, 17
	ds_write2_b64 v94, v[22:23], v[24:25] offset1:1
	s_waitcnt lgkmcnt(0)
	s_barrier
	buffer_gl0_inv
	ds_read2_b64 v[94:97], v1 offset0:34 offset1:35
	s_cmp_lt_i32 s18, 19
	s_cbranch_scc1 .LBB44_359
; %bb.357:
	v_add3_u32 v103, v104, 0, 0x120
	v_mov_b32_e32 v102, 17
	s_mov_b32 s1, 18
	s_inst_prefetch 0x1
	.p2align	6
.LBB44_358:                             ; =>This Inner Loop Header: Depth=1
	s_waitcnt lgkmcnt(0)
	v_cmp_gt_f64_e32 vcc_lo, 0, v[96:97]
	v_cmp_gt_f64_e64 s0, 0, v[94:95]
	ds_read2_b64 v[109:112], v103 offset1:1
	v_xor_b32_e32 v114, 0x80000000, v95
	v_xor_b32_e32 v116, 0x80000000, v97
	v_mov_b32_e32 v113, v94
	v_mov_b32_e32 v115, v96
	v_add_nc_u32_e32 v103, 16, v103
	s_waitcnt lgkmcnt(0)
	v_xor_b32_e32 v118, 0x80000000, v112
	v_cndmask_b32_e64 v114, v95, v114, s0
	v_cndmask_b32_e32 v116, v97, v116, vcc_lo
	v_cmp_gt_f64_e32 vcc_lo, 0, v[111:112]
	v_cmp_gt_f64_e64 s0, 0, v[109:110]
	v_mov_b32_e32 v117, v111
	v_add_f64 v[113:114], v[113:114], v[115:116]
	v_xor_b32_e32 v116, 0x80000000, v110
	v_mov_b32_e32 v115, v109
	v_cndmask_b32_e32 v118, v112, v118, vcc_lo
	v_cndmask_b32_e64 v116, v110, v116, s0
	v_add_f64 v[115:116], v[115:116], v[117:118]
	v_cmp_lt_f64_e32 vcc_lo, v[113:114], v[115:116]
	v_cndmask_b32_e32 v95, v95, v110, vcc_lo
	v_cndmask_b32_e32 v94, v94, v109, vcc_lo
	v_cndmask_b32_e32 v97, v97, v112, vcc_lo
	v_cndmask_b32_e32 v96, v96, v111, vcc_lo
	v_cndmask_b32_e64 v102, v102, s1, vcc_lo
	s_add_i32 s1, s1, 1
	s_cmp_lg_u32 s18, s1
	s_cbranch_scc1 .LBB44_358
.LBB44_359:
	s_inst_prefetch 0x2
	s_waitcnt lgkmcnt(0)
	v_cmp_eq_f64_e32 vcc_lo, 0, v[94:95]
	v_cmp_eq_f64_e64 s0, 0, v[96:97]
	s_and_b32 s0, vcc_lo, s0
	s_and_saveexec_b32 s1, s0
	s_xor_b32 s0, exec_lo, s1
; %bb.360:
	v_cmp_ne_u32_e32 vcc_lo, 0, v107
	v_cndmask_b32_e32 v107, 18, v107, vcc_lo
; %bb.361:
	s_andn2_saveexec_b32 s0, s0
	s_cbranch_execz .LBB44_367
; %bb.362:
	v_cmp_ngt_f64_e64 s1, |v[94:95]|, |v[96:97]|
	s_and_saveexec_b32 s2, s1
	s_xor_b32 s1, exec_lo, s2
	s_cbranch_execz .LBB44_364
; %bb.363:
	v_div_scale_f64 v[109:110], null, v[96:97], v[96:97], v[94:95]
	v_div_scale_f64 v[115:116], vcc_lo, v[94:95], v[96:97], v[94:95]
	v_rcp_f64_e32 v[111:112], v[109:110]
	v_fma_f64 v[113:114], -v[109:110], v[111:112], 1.0
	v_fma_f64 v[111:112], v[111:112], v[113:114], v[111:112]
	v_fma_f64 v[113:114], -v[109:110], v[111:112], 1.0
	v_fma_f64 v[111:112], v[111:112], v[113:114], v[111:112]
	v_mul_f64 v[113:114], v[115:116], v[111:112]
	v_fma_f64 v[109:110], -v[109:110], v[113:114], v[115:116]
	v_div_fmas_f64 v[109:110], v[109:110], v[111:112], v[113:114]
	v_div_fixup_f64 v[109:110], v[109:110], v[96:97], v[94:95]
	v_fma_f64 v[94:95], v[94:95], v[109:110], v[96:97]
	v_div_scale_f64 v[96:97], null, v[94:95], v[94:95], 1.0
	v_rcp_f64_e32 v[111:112], v[96:97]
	v_fma_f64 v[113:114], -v[96:97], v[111:112], 1.0
	v_fma_f64 v[111:112], v[111:112], v[113:114], v[111:112]
	v_fma_f64 v[113:114], -v[96:97], v[111:112], 1.0
	v_fma_f64 v[111:112], v[111:112], v[113:114], v[111:112]
	v_div_scale_f64 v[113:114], vcc_lo, 1.0, v[94:95], 1.0
	v_mul_f64 v[115:116], v[113:114], v[111:112]
	v_fma_f64 v[96:97], -v[96:97], v[115:116], v[113:114]
	v_div_fmas_f64 v[96:97], v[96:97], v[111:112], v[115:116]
	v_div_fixup_f64 v[96:97], v[96:97], v[94:95], 1.0
	v_mul_f64 v[94:95], v[109:110], v[96:97]
	v_xor_b32_e32 v97, 0x80000000, v97
.LBB44_364:
	s_andn2_saveexec_b32 s1, s1
	s_cbranch_execz .LBB44_366
; %bb.365:
	v_div_scale_f64 v[109:110], null, v[94:95], v[94:95], v[96:97]
	v_div_scale_f64 v[115:116], vcc_lo, v[96:97], v[94:95], v[96:97]
	v_rcp_f64_e32 v[111:112], v[109:110]
	v_fma_f64 v[113:114], -v[109:110], v[111:112], 1.0
	v_fma_f64 v[111:112], v[111:112], v[113:114], v[111:112]
	v_fma_f64 v[113:114], -v[109:110], v[111:112], 1.0
	v_fma_f64 v[111:112], v[111:112], v[113:114], v[111:112]
	v_mul_f64 v[113:114], v[115:116], v[111:112]
	v_fma_f64 v[109:110], -v[109:110], v[113:114], v[115:116]
	v_div_fmas_f64 v[109:110], v[109:110], v[111:112], v[113:114]
	v_div_fixup_f64 v[109:110], v[109:110], v[94:95], v[96:97]
	v_fma_f64 v[94:95], v[96:97], v[109:110], v[94:95]
	v_div_scale_f64 v[96:97], null, v[94:95], v[94:95], 1.0
	v_rcp_f64_e32 v[111:112], v[96:97]
	v_fma_f64 v[113:114], -v[96:97], v[111:112], 1.0
	v_fma_f64 v[111:112], v[111:112], v[113:114], v[111:112]
	v_fma_f64 v[113:114], -v[96:97], v[111:112], 1.0
	v_fma_f64 v[111:112], v[111:112], v[113:114], v[111:112]
	v_div_scale_f64 v[113:114], vcc_lo, 1.0, v[94:95], 1.0
	v_mul_f64 v[115:116], v[113:114], v[111:112]
	v_fma_f64 v[96:97], -v[96:97], v[115:116], v[113:114]
	v_div_fmas_f64 v[96:97], v[96:97], v[111:112], v[115:116]
	v_div_fixup_f64 v[94:95], v[96:97], v[94:95], 1.0
	v_mul_f64 v[96:97], v[109:110], -v[94:95]
.LBB44_366:
	s_or_b32 exec_lo, exec_lo, s1
.LBB44_367:
	s_or_b32 exec_lo, exec_lo, s0
	s_mov_b32 s0, exec_lo
	v_cmpx_ne_u32_e64 v108, v102
	s_xor_b32 s0, exec_lo, s0
	s_cbranch_execz .LBB44_373
; %bb.368:
	s_mov_b32 s1, exec_lo
	v_cmpx_eq_u32_e32 17, v108
	s_cbranch_execz .LBB44_372
; %bb.369:
	v_cmp_ne_u32_e32 vcc_lo, 17, v102
	s_xor_b32 s2, s16, -1
	s_and_b32 s3, s2, vcc_lo
	s_and_saveexec_b32 s2, s3
	s_cbranch_execz .LBB44_371
; %bb.370:
	v_ashrrev_i32_e32 v103, 31, v102
	v_lshlrev_b64 v[108:109], 2, v[102:103]
	v_add_co_u32 v108, vcc_lo, v100, v108
	v_add_co_ci_u32_e64 v109, null, v101, v109, vcc_lo
	s_clause 0x1
	global_load_dword v0, v[108:109], off
	global_load_dword v103, v[100:101], off offset:68
	s_waitcnt vmcnt(1)
	global_store_dword v[100:101], v0, off offset:68
	s_waitcnt vmcnt(0)
	global_store_dword v[108:109], v103, off
.LBB44_371:
	s_or_b32 exec_lo, exec_lo, s2
	v_mov_b32_e32 v108, v102
	v_mov_b32_e32 v0, v102
.LBB44_372:
	s_or_b32 exec_lo, exec_lo, s1
.LBB44_373:
	s_andn2_saveexec_b32 s0, s0
	s_cbranch_execz .LBB44_375
; %bb.374:
	v_mov_b32_e32 v108, 17
	ds_write2_b64 v1, v[18:19], v[20:21] offset0:36 offset1:37
	ds_write2_b64 v1, v[14:15], v[16:17] offset0:38 offset1:39
	;; [unrolled: 1-line block ×5, first 2 shown]
.LBB44_375:
	s_or_b32 exec_lo, exec_lo, s0
	s_mov_b32 s0, exec_lo
	s_waitcnt lgkmcnt(0)
	s_waitcnt_vscnt null, 0x0
	s_barrier
	buffer_gl0_inv
	v_cmpx_lt_i32_e32 17, v108
	s_cbranch_execz .LBB44_377
; %bb.376:
	v_mul_f64 v[102:103], v[94:95], v[24:25]
	v_mul_f64 v[24:25], v[96:97], v[24:25]
	v_fma_f64 v[102:103], v[96:97], v[22:23], v[102:103]
	v_fma_f64 v[22:23], v[94:95], v[22:23], -v[24:25]
	ds_read2_b64 v[94:97], v1 offset0:36 offset1:37
	s_waitcnt lgkmcnt(0)
	v_mul_f64 v[24:25], v[96:97], v[102:103]
	v_fma_f64 v[24:25], v[94:95], v[22:23], -v[24:25]
	v_mul_f64 v[94:95], v[94:95], v[102:103]
	v_add_f64 v[18:19], v[18:19], -v[24:25]
	v_fma_f64 v[94:95], v[96:97], v[22:23], v[94:95]
	v_add_f64 v[20:21], v[20:21], -v[94:95]
	ds_read2_b64 v[94:97], v1 offset0:38 offset1:39
	s_waitcnt lgkmcnt(0)
	v_mul_f64 v[24:25], v[96:97], v[102:103]
	v_fma_f64 v[24:25], v[94:95], v[22:23], -v[24:25]
	v_mul_f64 v[94:95], v[94:95], v[102:103]
	v_add_f64 v[14:15], v[14:15], -v[24:25]
	v_fma_f64 v[94:95], v[96:97], v[22:23], v[94:95]
	v_add_f64 v[16:17], v[16:17], -v[94:95]
	;; [unrolled: 8-line block ×4, first 2 shown]
	ds_read2_b64 v[94:97], v1 offset0:44 offset1:45
	s_waitcnt lgkmcnt(0)
	v_mul_f64 v[24:25], v[96:97], v[102:103]
	v_fma_f64 v[24:25], v[94:95], v[22:23], -v[24:25]
	v_mul_f64 v[94:95], v[94:95], v[102:103]
	v_add_f64 v[2:3], v[2:3], -v[24:25]
	v_fma_f64 v[94:95], v[96:97], v[22:23], v[94:95]
	v_mov_b32_e32 v24, v102
	v_mov_b32_e32 v25, v103
	v_add_f64 v[4:5], v[4:5], -v[94:95]
.LBB44_377:
	s_or_b32 exec_lo, exec_lo, s0
	v_lshl_add_u32 v94, v108, 4, v1
	s_barrier
	buffer_gl0_inv
	v_mov_b32_e32 v102, 18
	ds_write2_b64 v94, v[18:19], v[20:21] offset1:1
	s_waitcnt lgkmcnt(0)
	s_barrier
	buffer_gl0_inv
	ds_read2_b64 v[94:97], v1 offset0:36 offset1:37
	s_cmp_lt_i32 s18, 20
	s_cbranch_scc1 .LBB44_380
; %bb.378:
	v_add3_u32 v103, v104, 0, 0x130
	v_mov_b32_e32 v102, 18
	s_mov_b32 s1, 19
	s_inst_prefetch 0x1
	.p2align	6
.LBB44_379:                             ; =>This Inner Loop Header: Depth=1
	s_waitcnt lgkmcnt(0)
	v_cmp_gt_f64_e32 vcc_lo, 0, v[96:97]
	v_cmp_gt_f64_e64 s0, 0, v[94:95]
	ds_read2_b64 v[109:112], v103 offset1:1
	v_xor_b32_e32 v114, 0x80000000, v95
	v_xor_b32_e32 v116, 0x80000000, v97
	v_mov_b32_e32 v113, v94
	v_mov_b32_e32 v115, v96
	v_add_nc_u32_e32 v103, 16, v103
	s_waitcnt lgkmcnt(0)
	v_xor_b32_e32 v118, 0x80000000, v112
	v_cndmask_b32_e64 v114, v95, v114, s0
	v_cndmask_b32_e32 v116, v97, v116, vcc_lo
	v_cmp_gt_f64_e32 vcc_lo, 0, v[111:112]
	v_cmp_gt_f64_e64 s0, 0, v[109:110]
	v_mov_b32_e32 v117, v111
	v_add_f64 v[113:114], v[113:114], v[115:116]
	v_xor_b32_e32 v116, 0x80000000, v110
	v_mov_b32_e32 v115, v109
	v_cndmask_b32_e32 v118, v112, v118, vcc_lo
	v_cndmask_b32_e64 v116, v110, v116, s0
	v_add_f64 v[115:116], v[115:116], v[117:118]
	v_cmp_lt_f64_e32 vcc_lo, v[113:114], v[115:116]
	v_cndmask_b32_e32 v95, v95, v110, vcc_lo
	v_cndmask_b32_e32 v94, v94, v109, vcc_lo
	;; [unrolled: 1-line block ×4, first 2 shown]
	v_cndmask_b32_e64 v102, v102, s1, vcc_lo
	s_add_i32 s1, s1, 1
	s_cmp_lg_u32 s18, s1
	s_cbranch_scc1 .LBB44_379
.LBB44_380:
	s_inst_prefetch 0x2
	s_waitcnt lgkmcnt(0)
	v_cmp_eq_f64_e32 vcc_lo, 0, v[94:95]
	v_cmp_eq_f64_e64 s0, 0, v[96:97]
	s_and_b32 s0, vcc_lo, s0
	s_and_saveexec_b32 s1, s0
	s_xor_b32 s0, exec_lo, s1
; %bb.381:
	v_cmp_ne_u32_e32 vcc_lo, 0, v107
	v_cndmask_b32_e32 v107, 19, v107, vcc_lo
; %bb.382:
	s_andn2_saveexec_b32 s0, s0
	s_cbranch_execz .LBB44_388
; %bb.383:
	v_cmp_ngt_f64_e64 s1, |v[94:95]|, |v[96:97]|
	s_and_saveexec_b32 s2, s1
	s_xor_b32 s1, exec_lo, s2
	s_cbranch_execz .LBB44_385
; %bb.384:
	v_div_scale_f64 v[109:110], null, v[96:97], v[96:97], v[94:95]
	v_div_scale_f64 v[115:116], vcc_lo, v[94:95], v[96:97], v[94:95]
	v_rcp_f64_e32 v[111:112], v[109:110]
	v_fma_f64 v[113:114], -v[109:110], v[111:112], 1.0
	v_fma_f64 v[111:112], v[111:112], v[113:114], v[111:112]
	v_fma_f64 v[113:114], -v[109:110], v[111:112], 1.0
	v_fma_f64 v[111:112], v[111:112], v[113:114], v[111:112]
	v_mul_f64 v[113:114], v[115:116], v[111:112]
	v_fma_f64 v[109:110], -v[109:110], v[113:114], v[115:116]
	v_div_fmas_f64 v[109:110], v[109:110], v[111:112], v[113:114]
	v_div_fixup_f64 v[109:110], v[109:110], v[96:97], v[94:95]
	v_fma_f64 v[94:95], v[94:95], v[109:110], v[96:97]
	v_div_scale_f64 v[96:97], null, v[94:95], v[94:95], 1.0
	v_rcp_f64_e32 v[111:112], v[96:97]
	v_fma_f64 v[113:114], -v[96:97], v[111:112], 1.0
	v_fma_f64 v[111:112], v[111:112], v[113:114], v[111:112]
	v_fma_f64 v[113:114], -v[96:97], v[111:112], 1.0
	v_fma_f64 v[111:112], v[111:112], v[113:114], v[111:112]
	v_div_scale_f64 v[113:114], vcc_lo, 1.0, v[94:95], 1.0
	v_mul_f64 v[115:116], v[113:114], v[111:112]
	v_fma_f64 v[96:97], -v[96:97], v[115:116], v[113:114]
	v_div_fmas_f64 v[96:97], v[96:97], v[111:112], v[115:116]
	v_div_fixup_f64 v[96:97], v[96:97], v[94:95], 1.0
	v_mul_f64 v[94:95], v[109:110], v[96:97]
	v_xor_b32_e32 v97, 0x80000000, v97
.LBB44_385:
	s_andn2_saveexec_b32 s1, s1
	s_cbranch_execz .LBB44_387
; %bb.386:
	v_div_scale_f64 v[109:110], null, v[94:95], v[94:95], v[96:97]
	v_div_scale_f64 v[115:116], vcc_lo, v[96:97], v[94:95], v[96:97]
	v_rcp_f64_e32 v[111:112], v[109:110]
	v_fma_f64 v[113:114], -v[109:110], v[111:112], 1.0
	v_fma_f64 v[111:112], v[111:112], v[113:114], v[111:112]
	v_fma_f64 v[113:114], -v[109:110], v[111:112], 1.0
	v_fma_f64 v[111:112], v[111:112], v[113:114], v[111:112]
	v_mul_f64 v[113:114], v[115:116], v[111:112]
	v_fma_f64 v[109:110], -v[109:110], v[113:114], v[115:116]
	v_div_fmas_f64 v[109:110], v[109:110], v[111:112], v[113:114]
	v_div_fixup_f64 v[109:110], v[109:110], v[94:95], v[96:97]
	v_fma_f64 v[94:95], v[96:97], v[109:110], v[94:95]
	v_div_scale_f64 v[96:97], null, v[94:95], v[94:95], 1.0
	v_rcp_f64_e32 v[111:112], v[96:97]
	v_fma_f64 v[113:114], -v[96:97], v[111:112], 1.0
	v_fma_f64 v[111:112], v[111:112], v[113:114], v[111:112]
	v_fma_f64 v[113:114], -v[96:97], v[111:112], 1.0
	v_fma_f64 v[111:112], v[111:112], v[113:114], v[111:112]
	v_div_scale_f64 v[113:114], vcc_lo, 1.0, v[94:95], 1.0
	v_mul_f64 v[115:116], v[113:114], v[111:112]
	v_fma_f64 v[96:97], -v[96:97], v[115:116], v[113:114]
	v_div_fmas_f64 v[96:97], v[96:97], v[111:112], v[115:116]
	v_div_fixup_f64 v[94:95], v[96:97], v[94:95], 1.0
	v_mul_f64 v[96:97], v[109:110], -v[94:95]
.LBB44_387:
	s_or_b32 exec_lo, exec_lo, s1
.LBB44_388:
	s_or_b32 exec_lo, exec_lo, s0
	s_mov_b32 s0, exec_lo
	v_cmpx_ne_u32_e64 v108, v102
	s_xor_b32 s0, exec_lo, s0
	s_cbranch_execz .LBB44_394
; %bb.389:
	s_mov_b32 s1, exec_lo
	v_cmpx_eq_u32_e32 18, v108
	s_cbranch_execz .LBB44_393
; %bb.390:
	v_cmp_ne_u32_e32 vcc_lo, 18, v102
	s_xor_b32 s2, s16, -1
	s_and_b32 s3, s2, vcc_lo
	s_and_saveexec_b32 s2, s3
	s_cbranch_execz .LBB44_392
; %bb.391:
	v_ashrrev_i32_e32 v103, 31, v102
	v_lshlrev_b64 v[108:109], 2, v[102:103]
	v_add_co_u32 v108, vcc_lo, v100, v108
	v_add_co_ci_u32_e64 v109, null, v101, v109, vcc_lo
	s_clause 0x1
	global_load_dword v0, v[108:109], off
	global_load_dword v103, v[100:101], off offset:72
	s_waitcnt vmcnt(1)
	global_store_dword v[100:101], v0, off offset:72
	s_waitcnt vmcnt(0)
	global_store_dword v[108:109], v103, off
.LBB44_392:
	s_or_b32 exec_lo, exec_lo, s2
	v_mov_b32_e32 v108, v102
	v_mov_b32_e32 v0, v102
.LBB44_393:
	s_or_b32 exec_lo, exec_lo, s1
.LBB44_394:
	s_andn2_saveexec_b32 s0, s0
	s_cbranch_execz .LBB44_396
; %bb.395:
	v_mov_b32_e32 v108, 18
	ds_write2_b64 v1, v[14:15], v[16:17] offset0:38 offset1:39
	ds_write2_b64 v1, v[10:11], v[12:13] offset0:40 offset1:41
	ds_write2_b64 v1, v[6:7], v[8:9] offset0:42 offset1:43
	ds_write2_b64 v1, v[2:3], v[4:5] offset0:44 offset1:45
.LBB44_396:
	s_or_b32 exec_lo, exec_lo, s0
	s_mov_b32 s0, exec_lo
	s_waitcnt lgkmcnt(0)
	s_waitcnt_vscnt null, 0x0
	s_barrier
	buffer_gl0_inv
	v_cmpx_lt_i32_e32 18, v108
	s_cbranch_execz .LBB44_398
; %bb.397:
	v_mul_f64 v[102:103], v[94:95], v[20:21]
	v_mul_f64 v[20:21], v[96:97], v[20:21]
	v_fma_f64 v[102:103], v[96:97], v[18:19], v[102:103]
	v_fma_f64 v[18:19], v[94:95], v[18:19], -v[20:21]
	ds_read2_b64 v[94:97], v1 offset0:38 offset1:39
	s_waitcnt lgkmcnt(0)
	v_mul_f64 v[20:21], v[96:97], v[102:103]
	v_fma_f64 v[20:21], v[94:95], v[18:19], -v[20:21]
	v_mul_f64 v[94:95], v[94:95], v[102:103]
	v_add_f64 v[14:15], v[14:15], -v[20:21]
	v_fma_f64 v[94:95], v[96:97], v[18:19], v[94:95]
	v_add_f64 v[16:17], v[16:17], -v[94:95]
	ds_read2_b64 v[94:97], v1 offset0:40 offset1:41
	s_waitcnt lgkmcnt(0)
	v_mul_f64 v[20:21], v[96:97], v[102:103]
	v_fma_f64 v[20:21], v[94:95], v[18:19], -v[20:21]
	v_mul_f64 v[94:95], v[94:95], v[102:103]
	v_add_f64 v[10:11], v[10:11], -v[20:21]
	v_fma_f64 v[94:95], v[96:97], v[18:19], v[94:95]
	v_add_f64 v[12:13], v[12:13], -v[94:95]
	;; [unrolled: 8-line block ×3, first 2 shown]
	ds_read2_b64 v[94:97], v1 offset0:44 offset1:45
	s_waitcnt lgkmcnt(0)
	v_mul_f64 v[20:21], v[96:97], v[102:103]
	v_fma_f64 v[20:21], v[94:95], v[18:19], -v[20:21]
	v_mul_f64 v[94:95], v[94:95], v[102:103]
	v_add_f64 v[2:3], v[2:3], -v[20:21]
	v_fma_f64 v[94:95], v[96:97], v[18:19], v[94:95]
	v_mov_b32_e32 v20, v102
	v_mov_b32_e32 v21, v103
	v_add_f64 v[4:5], v[4:5], -v[94:95]
.LBB44_398:
	s_or_b32 exec_lo, exec_lo, s0
	v_lshl_add_u32 v94, v108, 4, v1
	s_barrier
	buffer_gl0_inv
	v_mov_b32_e32 v102, 19
	ds_write2_b64 v94, v[14:15], v[16:17] offset1:1
	s_waitcnt lgkmcnt(0)
	s_barrier
	buffer_gl0_inv
	ds_read2_b64 v[94:97], v1 offset0:38 offset1:39
	s_cmp_lt_i32 s18, 21
	s_cbranch_scc1 .LBB44_401
; %bb.399:
	v_add3_u32 v103, v104, 0, 0x140
	v_mov_b32_e32 v102, 19
	s_mov_b32 s1, 20
	s_inst_prefetch 0x1
	.p2align	6
.LBB44_400:                             ; =>This Inner Loop Header: Depth=1
	s_waitcnt lgkmcnt(0)
	v_cmp_gt_f64_e32 vcc_lo, 0, v[96:97]
	v_cmp_gt_f64_e64 s0, 0, v[94:95]
	ds_read2_b64 v[109:112], v103 offset1:1
	v_xor_b32_e32 v114, 0x80000000, v95
	v_xor_b32_e32 v116, 0x80000000, v97
	v_mov_b32_e32 v113, v94
	v_mov_b32_e32 v115, v96
	v_add_nc_u32_e32 v103, 16, v103
	s_waitcnt lgkmcnt(0)
	v_xor_b32_e32 v118, 0x80000000, v112
	v_cndmask_b32_e64 v114, v95, v114, s0
	v_cndmask_b32_e32 v116, v97, v116, vcc_lo
	v_cmp_gt_f64_e32 vcc_lo, 0, v[111:112]
	v_cmp_gt_f64_e64 s0, 0, v[109:110]
	v_mov_b32_e32 v117, v111
	v_add_f64 v[113:114], v[113:114], v[115:116]
	v_xor_b32_e32 v116, 0x80000000, v110
	v_mov_b32_e32 v115, v109
	v_cndmask_b32_e32 v118, v112, v118, vcc_lo
	v_cndmask_b32_e64 v116, v110, v116, s0
	v_add_f64 v[115:116], v[115:116], v[117:118]
	v_cmp_lt_f64_e32 vcc_lo, v[113:114], v[115:116]
	v_cndmask_b32_e32 v95, v95, v110, vcc_lo
	v_cndmask_b32_e32 v94, v94, v109, vcc_lo
	v_cndmask_b32_e32 v97, v97, v112, vcc_lo
	v_cndmask_b32_e32 v96, v96, v111, vcc_lo
	v_cndmask_b32_e64 v102, v102, s1, vcc_lo
	s_add_i32 s1, s1, 1
	s_cmp_lg_u32 s18, s1
	s_cbranch_scc1 .LBB44_400
.LBB44_401:
	s_inst_prefetch 0x2
	s_waitcnt lgkmcnt(0)
	v_cmp_eq_f64_e32 vcc_lo, 0, v[94:95]
	v_cmp_eq_f64_e64 s0, 0, v[96:97]
	s_and_b32 s0, vcc_lo, s0
	s_and_saveexec_b32 s1, s0
	s_xor_b32 s0, exec_lo, s1
; %bb.402:
	v_cmp_ne_u32_e32 vcc_lo, 0, v107
	v_cndmask_b32_e32 v107, 20, v107, vcc_lo
; %bb.403:
	s_andn2_saveexec_b32 s0, s0
	s_cbranch_execz .LBB44_409
; %bb.404:
	v_cmp_ngt_f64_e64 s1, |v[94:95]|, |v[96:97]|
	s_and_saveexec_b32 s2, s1
	s_xor_b32 s1, exec_lo, s2
	s_cbranch_execz .LBB44_406
; %bb.405:
	v_div_scale_f64 v[109:110], null, v[96:97], v[96:97], v[94:95]
	v_div_scale_f64 v[115:116], vcc_lo, v[94:95], v[96:97], v[94:95]
	v_rcp_f64_e32 v[111:112], v[109:110]
	v_fma_f64 v[113:114], -v[109:110], v[111:112], 1.0
	v_fma_f64 v[111:112], v[111:112], v[113:114], v[111:112]
	v_fma_f64 v[113:114], -v[109:110], v[111:112], 1.0
	v_fma_f64 v[111:112], v[111:112], v[113:114], v[111:112]
	v_mul_f64 v[113:114], v[115:116], v[111:112]
	v_fma_f64 v[109:110], -v[109:110], v[113:114], v[115:116]
	v_div_fmas_f64 v[109:110], v[109:110], v[111:112], v[113:114]
	v_div_fixup_f64 v[109:110], v[109:110], v[96:97], v[94:95]
	v_fma_f64 v[94:95], v[94:95], v[109:110], v[96:97]
	v_div_scale_f64 v[96:97], null, v[94:95], v[94:95], 1.0
	v_rcp_f64_e32 v[111:112], v[96:97]
	v_fma_f64 v[113:114], -v[96:97], v[111:112], 1.0
	v_fma_f64 v[111:112], v[111:112], v[113:114], v[111:112]
	v_fma_f64 v[113:114], -v[96:97], v[111:112], 1.0
	v_fma_f64 v[111:112], v[111:112], v[113:114], v[111:112]
	v_div_scale_f64 v[113:114], vcc_lo, 1.0, v[94:95], 1.0
	v_mul_f64 v[115:116], v[113:114], v[111:112]
	v_fma_f64 v[96:97], -v[96:97], v[115:116], v[113:114]
	v_div_fmas_f64 v[96:97], v[96:97], v[111:112], v[115:116]
	v_div_fixup_f64 v[96:97], v[96:97], v[94:95], 1.0
	v_mul_f64 v[94:95], v[109:110], v[96:97]
	v_xor_b32_e32 v97, 0x80000000, v97
.LBB44_406:
	s_andn2_saveexec_b32 s1, s1
	s_cbranch_execz .LBB44_408
; %bb.407:
	v_div_scale_f64 v[109:110], null, v[94:95], v[94:95], v[96:97]
	v_div_scale_f64 v[115:116], vcc_lo, v[96:97], v[94:95], v[96:97]
	v_rcp_f64_e32 v[111:112], v[109:110]
	v_fma_f64 v[113:114], -v[109:110], v[111:112], 1.0
	v_fma_f64 v[111:112], v[111:112], v[113:114], v[111:112]
	v_fma_f64 v[113:114], -v[109:110], v[111:112], 1.0
	v_fma_f64 v[111:112], v[111:112], v[113:114], v[111:112]
	v_mul_f64 v[113:114], v[115:116], v[111:112]
	v_fma_f64 v[109:110], -v[109:110], v[113:114], v[115:116]
	v_div_fmas_f64 v[109:110], v[109:110], v[111:112], v[113:114]
	v_div_fixup_f64 v[109:110], v[109:110], v[94:95], v[96:97]
	v_fma_f64 v[94:95], v[96:97], v[109:110], v[94:95]
	v_div_scale_f64 v[96:97], null, v[94:95], v[94:95], 1.0
	v_rcp_f64_e32 v[111:112], v[96:97]
	v_fma_f64 v[113:114], -v[96:97], v[111:112], 1.0
	v_fma_f64 v[111:112], v[111:112], v[113:114], v[111:112]
	v_fma_f64 v[113:114], -v[96:97], v[111:112], 1.0
	v_fma_f64 v[111:112], v[111:112], v[113:114], v[111:112]
	v_div_scale_f64 v[113:114], vcc_lo, 1.0, v[94:95], 1.0
	v_mul_f64 v[115:116], v[113:114], v[111:112]
	v_fma_f64 v[96:97], -v[96:97], v[115:116], v[113:114]
	v_div_fmas_f64 v[96:97], v[96:97], v[111:112], v[115:116]
	v_div_fixup_f64 v[94:95], v[96:97], v[94:95], 1.0
	v_mul_f64 v[96:97], v[109:110], -v[94:95]
.LBB44_408:
	s_or_b32 exec_lo, exec_lo, s1
.LBB44_409:
	s_or_b32 exec_lo, exec_lo, s0
	s_mov_b32 s0, exec_lo
	v_cmpx_ne_u32_e64 v108, v102
	s_xor_b32 s0, exec_lo, s0
	s_cbranch_execz .LBB44_415
; %bb.410:
	s_mov_b32 s1, exec_lo
	v_cmpx_eq_u32_e32 19, v108
	s_cbranch_execz .LBB44_414
; %bb.411:
	v_cmp_ne_u32_e32 vcc_lo, 19, v102
	s_xor_b32 s2, s16, -1
	s_and_b32 s3, s2, vcc_lo
	s_and_saveexec_b32 s2, s3
	s_cbranch_execz .LBB44_413
; %bb.412:
	v_ashrrev_i32_e32 v103, 31, v102
	v_lshlrev_b64 v[108:109], 2, v[102:103]
	v_add_co_u32 v108, vcc_lo, v100, v108
	v_add_co_ci_u32_e64 v109, null, v101, v109, vcc_lo
	s_clause 0x1
	global_load_dword v0, v[108:109], off
	global_load_dword v103, v[100:101], off offset:76
	s_waitcnt vmcnt(1)
	global_store_dword v[100:101], v0, off offset:76
	s_waitcnt vmcnt(0)
	global_store_dword v[108:109], v103, off
.LBB44_413:
	s_or_b32 exec_lo, exec_lo, s2
	v_mov_b32_e32 v108, v102
	v_mov_b32_e32 v0, v102
.LBB44_414:
	s_or_b32 exec_lo, exec_lo, s1
.LBB44_415:
	s_andn2_saveexec_b32 s0, s0
	s_cbranch_execz .LBB44_417
; %bb.416:
	v_mov_b32_e32 v108, 19
	ds_write2_b64 v1, v[10:11], v[12:13] offset0:40 offset1:41
	ds_write2_b64 v1, v[6:7], v[8:9] offset0:42 offset1:43
	ds_write2_b64 v1, v[2:3], v[4:5] offset0:44 offset1:45
.LBB44_417:
	s_or_b32 exec_lo, exec_lo, s0
	s_mov_b32 s0, exec_lo
	s_waitcnt lgkmcnt(0)
	s_waitcnt_vscnt null, 0x0
	s_barrier
	buffer_gl0_inv
	v_cmpx_lt_i32_e32 19, v108
	s_cbranch_execz .LBB44_419
; %bb.418:
	v_mul_f64 v[102:103], v[94:95], v[16:17]
	v_mul_f64 v[16:17], v[96:97], v[16:17]
	v_fma_f64 v[102:103], v[96:97], v[14:15], v[102:103]
	v_fma_f64 v[14:15], v[94:95], v[14:15], -v[16:17]
	ds_read2_b64 v[94:97], v1 offset0:40 offset1:41
	s_waitcnt lgkmcnt(0)
	v_mul_f64 v[16:17], v[96:97], v[102:103]
	v_fma_f64 v[16:17], v[94:95], v[14:15], -v[16:17]
	v_mul_f64 v[94:95], v[94:95], v[102:103]
	v_add_f64 v[10:11], v[10:11], -v[16:17]
	v_fma_f64 v[94:95], v[96:97], v[14:15], v[94:95]
	v_add_f64 v[12:13], v[12:13], -v[94:95]
	ds_read2_b64 v[94:97], v1 offset0:42 offset1:43
	s_waitcnt lgkmcnt(0)
	v_mul_f64 v[16:17], v[96:97], v[102:103]
	v_fma_f64 v[16:17], v[94:95], v[14:15], -v[16:17]
	v_mul_f64 v[94:95], v[94:95], v[102:103]
	v_add_f64 v[6:7], v[6:7], -v[16:17]
	v_fma_f64 v[94:95], v[96:97], v[14:15], v[94:95]
	v_add_f64 v[8:9], v[8:9], -v[94:95]
	ds_read2_b64 v[94:97], v1 offset0:44 offset1:45
	s_waitcnt lgkmcnt(0)
	v_mul_f64 v[16:17], v[96:97], v[102:103]
	v_fma_f64 v[16:17], v[94:95], v[14:15], -v[16:17]
	v_mul_f64 v[94:95], v[94:95], v[102:103]
	v_add_f64 v[2:3], v[2:3], -v[16:17]
	v_fma_f64 v[94:95], v[96:97], v[14:15], v[94:95]
	v_mov_b32_e32 v16, v102
	v_mov_b32_e32 v17, v103
	v_add_f64 v[4:5], v[4:5], -v[94:95]
.LBB44_419:
	s_or_b32 exec_lo, exec_lo, s0
	v_lshl_add_u32 v94, v108, 4, v1
	s_barrier
	buffer_gl0_inv
	v_mov_b32_e32 v102, 20
	ds_write2_b64 v94, v[10:11], v[12:13] offset1:1
	s_waitcnt lgkmcnt(0)
	s_barrier
	buffer_gl0_inv
	ds_read2_b64 v[94:97], v1 offset0:40 offset1:41
	s_cmp_lt_i32 s18, 22
	s_cbranch_scc1 .LBB44_422
; %bb.420:
	v_add3_u32 v103, v104, 0, 0x150
	v_mov_b32_e32 v102, 20
	s_mov_b32 s1, 21
	s_inst_prefetch 0x1
	.p2align	6
.LBB44_421:                             ; =>This Inner Loop Header: Depth=1
	s_waitcnt lgkmcnt(0)
	v_cmp_gt_f64_e32 vcc_lo, 0, v[96:97]
	v_cmp_gt_f64_e64 s0, 0, v[94:95]
	ds_read2_b64 v[109:112], v103 offset1:1
	v_xor_b32_e32 v114, 0x80000000, v95
	v_xor_b32_e32 v116, 0x80000000, v97
	v_mov_b32_e32 v113, v94
	v_mov_b32_e32 v115, v96
	v_add_nc_u32_e32 v103, 16, v103
	s_waitcnt lgkmcnt(0)
	v_xor_b32_e32 v118, 0x80000000, v112
	v_cndmask_b32_e64 v114, v95, v114, s0
	v_cndmask_b32_e32 v116, v97, v116, vcc_lo
	v_cmp_gt_f64_e32 vcc_lo, 0, v[111:112]
	v_cmp_gt_f64_e64 s0, 0, v[109:110]
	v_mov_b32_e32 v117, v111
	v_add_f64 v[113:114], v[113:114], v[115:116]
	v_xor_b32_e32 v116, 0x80000000, v110
	v_mov_b32_e32 v115, v109
	v_cndmask_b32_e32 v118, v112, v118, vcc_lo
	v_cndmask_b32_e64 v116, v110, v116, s0
	v_add_f64 v[115:116], v[115:116], v[117:118]
	v_cmp_lt_f64_e32 vcc_lo, v[113:114], v[115:116]
	v_cndmask_b32_e32 v95, v95, v110, vcc_lo
	v_cndmask_b32_e32 v94, v94, v109, vcc_lo
	;; [unrolled: 1-line block ×4, first 2 shown]
	v_cndmask_b32_e64 v102, v102, s1, vcc_lo
	s_add_i32 s1, s1, 1
	s_cmp_lg_u32 s18, s1
	s_cbranch_scc1 .LBB44_421
.LBB44_422:
	s_inst_prefetch 0x2
	s_waitcnt lgkmcnt(0)
	v_cmp_eq_f64_e32 vcc_lo, 0, v[94:95]
	v_cmp_eq_f64_e64 s0, 0, v[96:97]
	s_and_b32 s0, vcc_lo, s0
	s_and_saveexec_b32 s1, s0
	s_xor_b32 s0, exec_lo, s1
; %bb.423:
	v_cmp_ne_u32_e32 vcc_lo, 0, v107
	v_cndmask_b32_e32 v107, 21, v107, vcc_lo
; %bb.424:
	s_andn2_saveexec_b32 s0, s0
	s_cbranch_execz .LBB44_430
; %bb.425:
	v_cmp_ngt_f64_e64 s1, |v[94:95]|, |v[96:97]|
	s_and_saveexec_b32 s2, s1
	s_xor_b32 s1, exec_lo, s2
	s_cbranch_execz .LBB44_427
; %bb.426:
	v_div_scale_f64 v[109:110], null, v[96:97], v[96:97], v[94:95]
	v_div_scale_f64 v[115:116], vcc_lo, v[94:95], v[96:97], v[94:95]
	v_rcp_f64_e32 v[111:112], v[109:110]
	v_fma_f64 v[113:114], -v[109:110], v[111:112], 1.0
	v_fma_f64 v[111:112], v[111:112], v[113:114], v[111:112]
	v_fma_f64 v[113:114], -v[109:110], v[111:112], 1.0
	v_fma_f64 v[111:112], v[111:112], v[113:114], v[111:112]
	v_mul_f64 v[113:114], v[115:116], v[111:112]
	v_fma_f64 v[109:110], -v[109:110], v[113:114], v[115:116]
	v_div_fmas_f64 v[109:110], v[109:110], v[111:112], v[113:114]
	v_div_fixup_f64 v[109:110], v[109:110], v[96:97], v[94:95]
	v_fma_f64 v[94:95], v[94:95], v[109:110], v[96:97]
	v_div_scale_f64 v[96:97], null, v[94:95], v[94:95], 1.0
	v_rcp_f64_e32 v[111:112], v[96:97]
	v_fma_f64 v[113:114], -v[96:97], v[111:112], 1.0
	v_fma_f64 v[111:112], v[111:112], v[113:114], v[111:112]
	v_fma_f64 v[113:114], -v[96:97], v[111:112], 1.0
	v_fma_f64 v[111:112], v[111:112], v[113:114], v[111:112]
	v_div_scale_f64 v[113:114], vcc_lo, 1.0, v[94:95], 1.0
	v_mul_f64 v[115:116], v[113:114], v[111:112]
	v_fma_f64 v[96:97], -v[96:97], v[115:116], v[113:114]
	v_div_fmas_f64 v[96:97], v[96:97], v[111:112], v[115:116]
	v_div_fixup_f64 v[96:97], v[96:97], v[94:95], 1.0
	v_mul_f64 v[94:95], v[109:110], v[96:97]
	v_xor_b32_e32 v97, 0x80000000, v97
.LBB44_427:
	s_andn2_saveexec_b32 s1, s1
	s_cbranch_execz .LBB44_429
; %bb.428:
	v_div_scale_f64 v[109:110], null, v[94:95], v[94:95], v[96:97]
	v_div_scale_f64 v[115:116], vcc_lo, v[96:97], v[94:95], v[96:97]
	v_rcp_f64_e32 v[111:112], v[109:110]
	v_fma_f64 v[113:114], -v[109:110], v[111:112], 1.0
	v_fma_f64 v[111:112], v[111:112], v[113:114], v[111:112]
	v_fma_f64 v[113:114], -v[109:110], v[111:112], 1.0
	v_fma_f64 v[111:112], v[111:112], v[113:114], v[111:112]
	v_mul_f64 v[113:114], v[115:116], v[111:112]
	v_fma_f64 v[109:110], -v[109:110], v[113:114], v[115:116]
	v_div_fmas_f64 v[109:110], v[109:110], v[111:112], v[113:114]
	v_div_fixup_f64 v[109:110], v[109:110], v[94:95], v[96:97]
	v_fma_f64 v[94:95], v[96:97], v[109:110], v[94:95]
	v_div_scale_f64 v[96:97], null, v[94:95], v[94:95], 1.0
	v_rcp_f64_e32 v[111:112], v[96:97]
	v_fma_f64 v[113:114], -v[96:97], v[111:112], 1.0
	v_fma_f64 v[111:112], v[111:112], v[113:114], v[111:112]
	v_fma_f64 v[113:114], -v[96:97], v[111:112], 1.0
	v_fma_f64 v[111:112], v[111:112], v[113:114], v[111:112]
	v_div_scale_f64 v[113:114], vcc_lo, 1.0, v[94:95], 1.0
	v_mul_f64 v[115:116], v[113:114], v[111:112]
	v_fma_f64 v[96:97], -v[96:97], v[115:116], v[113:114]
	v_div_fmas_f64 v[96:97], v[96:97], v[111:112], v[115:116]
	v_div_fixup_f64 v[94:95], v[96:97], v[94:95], 1.0
	v_mul_f64 v[96:97], v[109:110], -v[94:95]
.LBB44_429:
	s_or_b32 exec_lo, exec_lo, s1
.LBB44_430:
	s_or_b32 exec_lo, exec_lo, s0
	s_mov_b32 s0, exec_lo
	v_cmpx_ne_u32_e64 v108, v102
	s_xor_b32 s0, exec_lo, s0
	s_cbranch_execz .LBB44_436
; %bb.431:
	s_mov_b32 s1, exec_lo
	v_cmpx_eq_u32_e32 20, v108
	s_cbranch_execz .LBB44_435
; %bb.432:
	v_cmp_ne_u32_e32 vcc_lo, 20, v102
	s_xor_b32 s2, s16, -1
	s_and_b32 s3, s2, vcc_lo
	s_and_saveexec_b32 s2, s3
	s_cbranch_execz .LBB44_434
; %bb.433:
	v_ashrrev_i32_e32 v103, 31, v102
	v_lshlrev_b64 v[108:109], 2, v[102:103]
	v_add_co_u32 v108, vcc_lo, v100, v108
	v_add_co_ci_u32_e64 v109, null, v101, v109, vcc_lo
	s_clause 0x1
	global_load_dword v0, v[108:109], off
	global_load_dword v103, v[100:101], off offset:80
	s_waitcnt vmcnt(1)
	global_store_dword v[100:101], v0, off offset:80
	s_waitcnt vmcnt(0)
	global_store_dword v[108:109], v103, off
.LBB44_434:
	s_or_b32 exec_lo, exec_lo, s2
	v_mov_b32_e32 v108, v102
	v_mov_b32_e32 v0, v102
.LBB44_435:
	s_or_b32 exec_lo, exec_lo, s1
.LBB44_436:
	s_andn2_saveexec_b32 s0, s0
	s_cbranch_execz .LBB44_438
; %bb.437:
	v_mov_b32_e32 v108, 20
	ds_write2_b64 v1, v[6:7], v[8:9] offset0:42 offset1:43
	ds_write2_b64 v1, v[2:3], v[4:5] offset0:44 offset1:45
.LBB44_438:
	s_or_b32 exec_lo, exec_lo, s0
	s_mov_b32 s0, exec_lo
	s_waitcnt lgkmcnt(0)
	s_waitcnt_vscnt null, 0x0
	s_barrier
	buffer_gl0_inv
	v_cmpx_lt_i32_e32 20, v108
	s_cbranch_execz .LBB44_440
; %bb.439:
	v_mul_f64 v[102:103], v[94:95], v[12:13]
	v_mul_f64 v[12:13], v[96:97], v[12:13]
	ds_read2_b64 v[109:112], v1 offset0:42 offset1:43
	ds_read2_b64 v[113:116], v1 offset0:44 offset1:45
	v_fma_f64 v[96:97], v[96:97], v[10:11], v[102:103]
	v_fma_f64 v[10:11], v[94:95], v[10:11], -v[12:13]
	s_waitcnt lgkmcnt(1)
	v_mul_f64 v[12:13], v[111:112], v[96:97]
	v_mul_f64 v[94:95], v[109:110], v[96:97]
	s_waitcnt lgkmcnt(0)
	v_mul_f64 v[102:103], v[115:116], v[96:97]
	v_mul_f64 v[117:118], v[113:114], v[96:97]
	v_fma_f64 v[12:13], v[109:110], v[10:11], -v[12:13]
	v_fma_f64 v[94:95], v[111:112], v[10:11], v[94:95]
	v_fma_f64 v[102:103], v[113:114], v[10:11], -v[102:103]
	v_fma_f64 v[109:110], v[115:116], v[10:11], v[117:118]
	v_add_f64 v[6:7], v[6:7], -v[12:13]
	v_add_f64 v[8:9], v[8:9], -v[94:95]
	;; [unrolled: 1-line block ×4, first 2 shown]
	v_mov_b32_e32 v12, v96
	v_mov_b32_e32 v13, v97
.LBB44_440:
	s_or_b32 exec_lo, exec_lo, s0
	v_lshl_add_u32 v94, v108, 4, v1
	s_barrier
	buffer_gl0_inv
	v_mov_b32_e32 v102, 21
	ds_write2_b64 v94, v[6:7], v[8:9] offset1:1
	s_waitcnt lgkmcnt(0)
	s_barrier
	buffer_gl0_inv
	ds_read2_b64 v[94:97], v1 offset0:42 offset1:43
	s_cmp_lt_i32 s18, 23
	s_cbranch_scc1 .LBB44_443
; %bb.441:
	v_add3_u32 v103, v104, 0, 0x160
	v_mov_b32_e32 v102, 21
	s_mov_b32 s1, 22
	s_inst_prefetch 0x1
	.p2align	6
.LBB44_442:                             ; =>This Inner Loop Header: Depth=1
	s_waitcnt lgkmcnt(0)
	v_cmp_gt_f64_e32 vcc_lo, 0, v[96:97]
	v_cmp_gt_f64_e64 s0, 0, v[94:95]
	ds_read2_b64 v[109:112], v103 offset1:1
	v_xor_b32_e32 v114, 0x80000000, v95
	v_xor_b32_e32 v116, 0x80000000, v97
	v_mov_b32_e32 v113, v94
	v_mov_b32_e32 v115, v96
	v_add_nc_u32_e32 v103, 16, v103
	s_waitcnt lgkmcnt(0)
	v_xor_b32_e32 v118, 0x80000000, v112
	v_cndmask_b32_e64 v114, v95, v114, s0
	v_cndmask_b32_e32 v116, v97, v116, vcc_lo
	v_cmp_gt_f64_e32 vcc_lo, 0, v[111:112]
	v_cmp_gt_f64_e64 s0, 0, v[109:110]
	v_mov_b32_e32 v117, v111
	v_add_f64 v[113:114], v[113:114], v[115:116]
	v_xor_b32_e32 v116, 0x80000000, v110
	v_mov_b32_e32 v115, v109
	v_cndmask_b32_e32 v118, v112, v118, vcc_lo
	v_cndmask_b32_e64 v116, v110, v116, s0
	v_add_f64 v[115:116], v[115:116], v[117:118]
	v_cmp_lt_f64_e32 vcc_lo, v[113:114], v[115:116]
	v_cndmask_b32_e32 v95, v95, v110, vcc_lo
	v_cndmask_b32_e32 v94, v94, v109, vcc_lo
	;; [unrolled: 1-line block ×4, first 2 shown]
	v_cndmask_b32_e64 v102, v102, s1, vcc_lo
	s_add_i32 s1, s1, 1
	s_cmp_lg_u32 s18, s1
	s_cbranch_scc1 .LBB44_442
.LBB44_443:
	s_inst_prefetch 0x2
	s_waitcnt lgkmcnt(0)
	v_cmp_eq_f64_e32 vcc_lo, 0, v[94:95]
	v_cmp_eq_f64_e64 s0, 0, v[96:97]
	s_and_b32 s0, vcc_lo, s0
	s_and_saveexec_b32 s1, s0
	s_xor_b32 s0, exec_lo, s1
; %bb.444:
	v_cmp_ne_u32_e32 vcc_lo, 0, v107
	v_cndmask_b32_e32 v107, 22, v107, vcc_lo
; %bb.445:
	s_andn2_saveexec_b32 s0, s0
	s_cbranch_execz .LBB44_451
; %bb.446:
	v_cmp_ngt_f64_e64 s1, |v[94:95]|, |v[96:97]|
	s_and_saveexec_b32 s2, s1
	s_xor_b32 s1, exec_lo, s2
	s_cbranch_execz .LBB44_448
; %bb.447:
	v_div_scale_f64 v[109:110], null, v[96:97], v[96:97], v[94:95]
	v_div_scale_f64 v[115:116], vcc_lo, v[94:95], v[96:97], v[94:95]
	v_rcp_f64_e32 v[111:112], v[109:110]
	v_fma_f64 v[113:114], -v[109:110], v[111:112], 1.0
	v_fma_f64 v[111:112], v[111:112], v[113:114], v[111:112]
	v_fma_f64 v[113:114], -v[109:110], v[111:112], 1.0
	v_fma_f64 v[111:112], v[111:112], v[113:114], v[111:112]
	v_mul_f64 v[113:114], v[115:116], v[111:112]
	v_fma_f64 v[109:110], -v[109:110], v[113:114], v[115:116]
	v_div_fmas_f64 v[109:110], v[109:110], v[111:112], v[113:114]
	v_div_fixup_f64 v[109:110], v[109:110], v[96:97], v[94:95]
	v_fma_f64 v[94:95], v[94:95], v[109:110], v[96:97]
	v_div_scale_f64 v[96:97], null, v[94:95], v[94:95], 1.0
	v_rcp_f64_e32 v[111:112], v[96:97]
	v_fma_f64 v[113:114], -v[96:97], v[111:112], 1.0
	v_fma_f64 v[111:112], v[111:112], v[113:114], v[111:112]
	v_fma_f64 v[113:114], -v[96:97], v[111:112], 1.0
	v_fma_f64 v[111:112], v[111:112], v[113:114], v[111:112]
	v_div_scale_f64 v[113:114], vcc_lo, 1.0, v[94:95], 1.0
	v_mul_f64 v[115:116], v[113:114], v[111:112]
	v_fma_f64 v[96:97], -v[96:97], v[115:116], v[113:114]
	v_div_fmas_f64 v[96:97], v[96:97], v[111:112], v[115:116]
	v_div_fixup_f64 v[96:97], v[96:97], v[94:95], 1.0
	v_mul_f64 v[94:95], v[109:110], v[96:97]
	v_xor_b32_e32 v97, 0x80000000, v97
.LBB44_448:
	s_andn2_saveexec_b32 s1, s1
	s_cbranch_execz .LBB44_450
; %bb.449:
	v_div_scale_f64 v[109:110], null, v[94:95], v[94:95], v[96:97]
	v_div_scale_f64 v[115:116], vcc_lo, v[96:97], v[94:95], v[96:97]
	v_rcp_f64_e32 v[111:112], v[109:110]
	v_fma_f64 v[113:114], -v[109:110], v[111:112], 1.0
	v_fma_f64 v[111:112], v[111:112], v[113:114], v[111:112]
	v_fma_f64 v[113:114], -v[109:110], v[111:112], 1.0
	v_fma_f64 v[111:112], v[111:112], v[113:114], v[111:112]
	v_mul_f64 v[113:114], v[115:116], v[111:112]
	v_fma_f64 v[109:110], -v[109:110], v[113:114], v[115:116]
	v_div_fmas_f64 v[109:110], v[109:110], v[111:112], v[113:114]
	v_div_fixup_f64 v[109:110], v[109:110], v[94:95], v[96:97]
	v_fma_f64 v[94:95], v[96:97], v[109:110], v[94:95]
	v_div_scale_f64 v[96:97], null, v[94:95], v[94:95], 1.0
	v_rcp_f64_e32 v[111:112], v[96:97]
	v_fma_f64 v[113:114], -v[96:97], v[111:112], 1.0
	v_fma_f64 v[111:112], v[111:112], v[113:114], v[111:112]
	v_fma_f64 v[113:114], -v[96:97], v[111:112], 1.0
	v_fma_f64 v[111:112], v[111:112], v[113:114], v[111:112]
	v_div_scale_f64 v[113:114], vcc_lo, 1.0, v[94:95], 1.0
	v_mul_f64 v[115:116], v[113:114], v[111:112]
	v_fma_f64 v[96:97], -v[96:97], v[115:116], v[113:114]
	v_div_fmas_f64 v[96:97], v[96:97], v[111:112], v[115:116]
	v_div_fixup_f64 v[94:95], v[96:97], v[94:95], 1.0
	v_mul_f64 v[96:97], v[109:110], -v[94:95]
.LBB44_450:
	s_or_b32 exec_lo, exec_lo, s1
.LBB44_451:
	s_or_b32 exec_lo, exec_lo, s0
	s_mov_b32 s0, exec_lo
	v_cmpx_ne_u32_e64 v108, v102
	s_xor_b32 s0, exec_lo, s0
	s_cbranch_execz .LBB44_457
; %bb.452:
	s_mov_b32 s1, exec_lo
	v_cmpx_eq_u32_e32 21, v108
	s_cbranch_execz .LBB44_456
; %bb.453:
	v_cmp_ne_u32_e32 vcc_lo, 21, v102
	s_xor_b32 s2, s16, -1
	s_and_b32 s3, s2, vcc_lo
	s_and_saveexec_b32 s2, s3
	s_cbranch_execz .LBB44_455
; %bb.454:
	v_ashrrev_i32_e32 v103, 31, v102
	v_lshlrev_b64 v[108:109], 2, v[102:103]
	v_add_co_u32 v108, vcc_lo, v100, v108
	v_add_co_ci_u32_e64 v109, null, v101, v109, vcc_lo
	s_clause 0x1
	global_load_dword v0, v[108:109], off
	global_load_dword v103, v[100:101], off offset:84
	s_waitcnt vmcnt(1)
	global_store_dword v[100:101], v0, off offset:84
	s_waitcnt vmcnt(0)
	global_store_dword v[108:109], v103, off
.LBB44_455:
	s_or_b32 exec_lo, exec_lo, s2
	v_mov_b32_e32 v108, v102
	v_mov_b32_e32 v0, v102
.LBB44_456:
	s_or_b32 exec_lo, exec_lo, s1
.LBB44_457:
	s_andn2_saveexec_b32 s0, s0
; %bb.458:
	v_mov_b32_e32 v108, 21
	ds_write2_b64 v1, v[2:3], v[4:5] offset0:44 offset1:45
; %bb.459:
	s_or_b32 exec_lo, exec_lo, s0
	s_mov_b32 s0, exec_lo
	s_waitcnt lgkmcnt(0)
	s_waitcnt_vscnt null, 0x0
	s_barrier
	buffer_gl0_inv
	v_cmpx_lt_i32_e32 21, v108
	s_cbranch_execz .LBB44_461
; %bb.460:
	v_mul_f64 v[102:103], v[94:95], v[8:9]
	v_mul_f64 v[8:9], v[96:97], v[8:9]
	ds_read2_b64 v[109:112], v1 offset0:44 offset1:45
	v_fma_f64 v[96:97], v[96:97], v[6:7], v[102:103]
	v_fma_f64 v[6:7], v[94:95], v[6:7], -v[8:9]
	s_waitcnt lgkmcnt(0)
	v_mul_f64 v[8:9], v[111:112], v[96:97]
	v_mul_f64 v[94:95], v[109:110], v[96:97]
	v_fma_f64 v[8:9], v[109:110], v[6:7], -v[8:9]
	v_fma_f64 v[94:95], v[111:112], v[6:7], v[94:95]
	v_add_f64 v[2:3], v[2:3], -v[8:9]
	v_add_f64 v[4:5], v[4:5], -v[94:95]
	v_mov_b32_e32 v8, v96
	v_mov_b32_e32 v9, v97
.LBB44_461:
	s_or_b32 exec_lo, exec_lo, s0
	v_lshl_add_u32 v94, v108, 4, v1
	s_barrier
	buffer_gl0_inv
	v_mov_b32_e32 v102, 22
	ds_write2_b64 v94, v[2:3], v[4:5] offset1:1
	s_waitcnt lgkmcnt(0)
	s_barrier
	buffer_gl0_inv
	ds_read2_b64 v[94:97], v1 offset0:44 offset1:45
	s_cmp_lt_i32 s18, 24
	s_cbranch_scc1 .LBB44_464
; %bb.462:
	v_add3_u32 v1, v104, 0, 0x170
	v_mov_b32_e32 v102, 22
	s_mov_b32 s1, 23
	s_inst_prefetch 0x1
	.p2align	6
.LBB44_463:                             ; =>This Inner Loop Header: Depth=1
	s_waitcnt lgkmcnt(0)
	v_cmp_gt_f64_e32 vcc_lo, 0, v[96:97]
	v_cmp_gt_f64_e64 s0, 0, v[94:95]
	ds_read2_b64 v[109:112], v1 offset1:1
	v_xor_b32_e32 v104, 0x80000000, v95
	v_xor_b32_e32 v114, 0x80000000, v97
	v_mov_b32_e32 v103, v94
	v_mov_b32_e32 v113, v96
	v_add_nc_u32_e32 v1, 16, v1
	s_waitcnt lgkmcnt(0)
	v_xor_b32_e32 v116, 0x80000000, v112
	v_cndmask_b32_e64 v104, v95, v104, s0
	v_cndmask_b32_e32 v114, v97, v114, vcc_lo
	v_cmp_gt_f64_e32 vcc_lo, 0, v[111:112]
	v_cmp_gt_f64_e64 s0, 0, v[109:110]
	v_mov_b32_e32 v115, v111
	v_add_f64 v[103:104], v[103:104], v[113:114]
	v_xor_b32_e32 v114, 0x80000000, v110
	v_mov_b32_e32 v113, v109
	v_cndmask_b32_e32 v116, v112, v116, vcc_lo
	v_cndmask_b32_e64 v114, v110, v114, s0
	v_add_f64 v[113:114], v[113:114], v[115:116]
	v_cmp_lt_f64_e32 vcc_lo, v[103:104], v[113:114]
	v_cndmask_b32_e32 v95, v95, v110, vcc_lo
	v_cndmask_b32_e32 v94, v94, v109, vcc_lo
	v_cndmask_b32_e32 v97, v97, v112, vcc_lo
	v_cndmask_b32_e32 v96, v96, v111, vcc_lo
	v_cndmask_b32_e64 v102, v102, s1, vcc_lo
	s_add_i32 s1, s1, 1
	s_cmp_lg_u32 s18, s1
	s_cbranch_scc1 .LBB44_463
.LBB44_464:
	s_inst_prefetch 0x2
	s_waitcnt lgkmcnt(0)
	v_cmp_eq_f64_e32 vcc_lo, 0, v[94:95]
	v_cmp_eq_f64_e64 s0, 0, v[96:97]
	s_and_b32 s0, vcc_lo, s0
	s_and_saveexec_b32 s1, s0
	s_xor_b32 s0, exec_lo, s1
; %bb.465:
	v_cmp_ne_u32_e32 vcc_lo, 0, v107
	v_cndmask_b32_e32 v107, 23, v107, vcc_lo
; %bb.466:
	s_andn2_saveexec_b32 s0, s0
	s_cbranch_execz .LBB44_472
; %bb.467:
	v_cmp_ngt_f64_e64 s1, |v[94:95]|, |v[96:97]|
	s_and_saveexec_b32 s2, s1
	s_xor_b32 s1, exec_lo, s2
	s_cbranch_execz .LBB44_469
; %bb.468:
	v_div_scale_f64 v[103:104], null, v[96:97], v[96:97], v[94:95]
	v_div_scale_f64 v[113:114], vcc_lo, v[94:95], v[96:97], v[94:95]
	v_rcp_f64_e32 v[109:110], v[103:104]
	v_fma_f64 v[111:112], -v[103:104], v[109:110], 1.0
	v_fma_f64 v[109:110], v[109:110], v[111:112], v[109:110]
	v_fma_f64 v[111:112], -v[103:104], v[109:110], 1.0
	v_fma_f64 v[109:110], v[109:110], v[111:112], v[109:110]
	v_mul_f64 v[111:112], v[113:114], v[109:110]
	v_fma_f64 v[103:104], -v[103:104], v[111:112], v[113:114]
	v_div_fmas_f64 v[103:104], v[103:104], v[109:110], v[111:112]
	v_div_fixup_f64 v[103:104], v[103:104], v[96:97], v[94:95]
	v_fma_f64 v[94:95], v[94:95], v[103:104], v[96:97]
	v_div_scale_f64 v[96:97], null, v[94:95], v[94:95], 1.0
	v_rcp_f64_e32 v[109:110], v[96:97]
	v_fma_f64 v[111:112], -v[96:97], v[109:110], 1.0
	v_fma_f64 v[109:110], v[109:110], v[111:112], v[109:110]
	v_fma_f64 v[111:112], -v[96:97], v[109:110], 1.0
	v_fma_f64 v[109:110], v[109:110], v[111:112], v[109:110]
	v_div_scale_f64 v[111:112], vcc_lo, 1.0, v[94:95], 1.0
	v_mul_f64 v[113:114], v[111:112], v[109:110]
	v_fma_f64 v[96:97], -v[96:97], v[113:114], v[111:112]
	v_div_fmas_f64 v[96:97], v[96:97], v[109:110], v[113:114]
	v_div_fixup_f64 v[96:97], v[96:97], v[94:95], 1.0
	v_mul_f64 v[94:95], v[103:104], v[96:97]
	v_xor_b32_e32 v97, 0x80000000, v97
.LBB44_469:
	s_andn2_saveexec_b32 s1, s1
	s_cbranch_execz .LBB44_471
; %bb.470:
	v_div_scale_f64 v[103:104], null, v[94:95], v[94:95], v[96:97]
	v_div_scale_f64 v[113:114], vcc_lo, v[96:97], v[94:95], v[96:97]
	v_rcp_f64_e32 v[109:110], v[103:104]
	v_fma_f64 v[111:112], -v[103:104], v[109:110], 1.0
	v_fma_f64 v[109:110], v[109:110], v[111:112], v[109:110]
	v_fma_f64 v[111:112], -v[103:104], v[109:110], 1.0
	v_fma_f64 v[109:110], v[109:110], v[111:112], v[109:110]
	v_mul_f64 v[111:112], v[113:114], v[109:110]
	v_fma_f64 v[103:104], -v[103:104], v[111:112], v[113:114]
	v_div_fmas_f64 v[103:104], v[103:104], v[109:110], v[111:112]
	v_div_fixup_f64 v[103:104], v[103:104], v[94:95], v[96:97]
	v_fma_f64 v[94:95], v[96:97], v[103:104], v[94:95]
	v_div_scale_f64 v[96:97], null, v[94:95], v[94:95], 1.0
	v_rcp_f64_e32 v[109:110], v[96:97]
	v_fma_f64 v[111:112], -v[96:97], v[109:110], 1.0
	v_fma_f64 v[109:110], v[109:110], v[111:112], v[109:110]
	v_fma_f64 v[111:112], -v[96:97], v[109:110], 1.0
	v_fma_f64 v[109:110], v[109:110], v[111:112], v[109:110]
	v_div_scale_f64 v[111:112], vcc_lo, 1.0, v[94:95], 1.0
	v_mul_f64 v[113:114], v[111:112], v[109:110]
	v_fma_f64 v[96:97], -v[96:97], v[113:114], v[111:112]
	v_div_fmas_f64 v[96:97], v[96:97], v[109:110], v[113:114]
	v_div_fixup_f64 v[94:95], v[96:97], v[94:95], 1.0
	v_mul_f64 v[96:97], v[103:104], -v[94:95]
.LBB44_471:
	s_or_b32 exec_lo, exec_lo, s1
.LBB44_472:
	s_or_b32 exec_lo, exec_lo, s0
	v_mov_b32_e32 v103, 22
	s_mov_b32 s0, exec_lo
	v_cmpx_ne_u32_e64 v108, v102
	s_cbranch_execz .LBB44_478
; %bb.473:
	s_mov_b32 s1, exec_lo
	v_cmpx_eq_u32_e32 22, v108
	s_cbranch_execz .LBB44_477
; %bb.474:
	v_cmp_ne_u32_e32 vcc_lo, 22, v102
	s_xor_b32 s2, s16, -1
	s_and_b32 s3, s2, vcc_lo
	s_and_saveexec_b32 s2, s3
	s_cbranch_execz .LBB44_476
; %bb.475:
	v_ashrrev_i32_e32 v103, 31, v102
	v_lshlrev_b64 v[0:1], 2, v[102:103]
	v_add_co_u32 v0, vcc_lo, v100, v0
	v_add_co_ci_u32_e64 v1, null, v101, v1, vcc_lo
	s_clause 0x1
	global_load_dword v103, v[0:1], off
	global_load_dword v104, v[100:101], off offset:88
	s_waitcnt vmcnt(1)
	global_store_dword v[100:101], v103, off offset:88
	s_waitcnt vmcnt(0)
	global_store_dword v[0:1], v104, off
.LBB44_476:
	s_or_b32 exec_lo, exec_lo, s2
	v_mov_b32_e32 v108, v102
	v_mov_b32_e32 v0, v102
.LBB44_477:
	s_or_b32 exec_lo, exec_lo, s1
	v_mov_b32_e32 v103, v108
.LBB44_478:
	s_or_b32 exec_lo, exec_lo, s0
	s_mov_b32 s0, exec_lo
	s_waitcnt_vscnt null, 0x0
	s_barrier
	buffer_gl0_inv
	v_cmpx_lt_i32_e32 22, v103
	s_cbranch_execz .LBB44_480
; %bb.479:
	v_mul_f64 v[100:101], v[96:97], v[4:5]
	v_mul_f64 v[4:5], v[94:95], v[4:5]
	v_fma_f64 v[94:95], v[94:95], v[2:3], -v[100:101]
	v_fma_f64 v[4:5], v[96:97], v[2:3], v[4:5]
	v_mov_b32_e32 v2, v94
	v_mov_b32_e32 v3, v95
.LBB44_480:
	s_or_b32 exec_lo, exec_lo, s0
	v_ashrrev_i32_e32 v104, 31, v103
	s_mov_b32 s0, exec_lo
	s_barrier
	buffer_gl0_inv
	v_cmpx_gt_i32_e32 23, v103
	s_cbranch_execz .LBB44_482
; %bb.481:
	v_mul_lo_u32 v1, s15, v98
	v_mul_lo_u32 v96, s14, v99
	v_mad_u64_u32 v[94:95], null, s14, v98, 0
	s_lshl_b64 s[2:3], s[12:13], 2
	v_add3_u32 v0, v0, s17, 1
	v_add3_u32 v95, v95, v96, v1
	v_lshlrev_b64 v[94:95], 2, v[94:95]
	v_add_co_u32 v1, vcc_lo, s10, v94
	v_add_co_ci_u32_e64 v96, null, s11, v95, vcc_lo
	v_lshlrev_b64 v[94:95], 2, v[103:104]
	v_add_co_u32 v1, vcc_lo, v1, s2
	v_add_co_ci_u32_e64 v96, null, s3, v96, vcc_lo
	v_add_co_u32 v94, vcc_lo, v1, v94
	v_add_co_ci_u32_e64 v95, null, v96, v95, vcc_lo
	global_store_dword v[94:95], v0, off
.LBB44_482:
	s_or_b32 exec_lo, exec_lo, s0
	s_mov_b32 s1, exec_lo
	v_cmpx_eq_u32_e32 0, v103
	s_cbranch_execz .LBB44_485
; %bb.483:
	v_lshlrev_b64 v[0:1], 2, v[98:99]
	v_cmp_ne_u32_e64 s0, 0, v107
	v_add_co_u32 v0, vcc_lo, s4, v0
	v_add_co_ci_u32_e64 v1, null, s5, v1, vcc_lo
	global_load_dword v94, v[0:1], off
	s_waitcnt vmcnt(0)
	v_cmp_eq_u32_e32 vcc_lo, 0, v94
	s_and_b32 s0, vcc_lo, s0
	s_and_b32 exec_lo, exec_lo, s0
	s_cbranch_execz .LBB44_485
; %bb.484:
	v_add_nc_u32_e32 v94, s17, v107
	global_store_dword v[0:1], v94, off
.LBB44_485:
	s_or_b32 exec_lo, exec_lo, s1
	v_lshlrev_b64 v[94:95], 4, v[103:104]
	v_add3_u32 v0, s6, s6, v103
	v_add_nc_u32_e32 v96, s6, v0
	v_add_co_u32 v94, vcc_lo, v105, v94
	v_add_co_ci_u32_e64 v95, null, v106, v95, vcc_lo
	v_ashrrev_i32_e32 v1, 31, v0
	v_ashrrev_i32_e32 v97, 31, v96
	global_store_dwordx4 v[94:95], v[74:77], off
	v_add_nc_u32_e32 v76, s6, v96
	v_lshlrev_b64 v[0:1], 4, v[0:1]
	v_add_co_u32 v74, vcc_lo, v94, s8
	v_add_co_ci_u32_e64 v75, null, s9, v95, vcc_lo
	v_add_nc_u32_e32 v94, s6, v76
	v_add_co_u32 v0, vcc_lo, v105, v0
	v_ashrrev_i32_e32 v77, 31, v76
	v_add_co_ci_u32_e64 v1, null, v106, v1, vcc_lo
	v_ashrrev_i32_e32 v95, 31, v94
	v_lshlrev_b64 v[96:97], 4, v[96:97]
	global_store_dwordx4 v[74:75], v[70:73], off
	global_store_dwordx4 v[0:1], v[90:93], off
	v_lshlrev_b64 v[0:1], 4, v[76:77]
	v_add_nc_u32_e32 v74, s6, v94
	v_lshlrev_b64 v[72:73], 4, v[94:95]
	v_add_co_u32 v70, vcc_lo, v105, v96
	v_add_co_ci_u32_e64 v71, null, v106, v97, vcc_lo
	v_add_co_u32 v0, vcc_lo, v105, v0
	v_add_co_ci_u32_e64 v1, null, v106, v1, vcc_lo
	v_add_co_u32 v72, vcc_lo, v105, v72
	v_add_nc_u32_e32 v76, s6, v74
	v_add_co_ci_u32_e64 v73, null, v106, v73, vcc_lo
	v_ashrrev_i32_e32 v75, 31, v74
	global_store_dwordx4 v[70:71], v[86:89], off
	global_store_dwordx4 v[0:1], v[82:85], off
	;; [unrolled: 1-line block ×3, first 2 shown]
	v_add_nc_u32_e32 v72, s6, v76
	v_ashrrev_i32_e32 v77, 31, v76
	v_lshlrev_b64 v[70:71], 4, v[74:75]
	v_add_nc_u32_e32 v74, s6, v72
	v_lshlrev_b64 v[0:1], 4, v[76:77]
	v_ashrrev_i32_e32 v73, 31, v72
	v_add_co_u32 v70, vcc_lo, v105, v70
	v_add_nc_u32_e32 v76, s6, v74
	v_add_co_ci_u32_e64 v71, null, v106, v71, vcc_lo
	v_add_co_u32 v0, vcc_lo, v105, v0
	v_ashrrev_i32_e32 v75, 31, v74
	v_add_co_ci_u32_e64 v1, null, v106, v1, vcc_lo
	v_ashrrev_i32_e32 v77, 31, v76
	v_lshlrev_b64 v[72:73], 4, v[72:73]
	global_store_dwordx4 v[70:71], v[66:69], off
	global_store_dwordx4 v[0:1], v[62:65], off
	v_lshlrev_b64 v[0:1], 4, v[74:75]
	v_add_nc_u32_e32 v66, s6, v76
	v_lshlrev_b64 v[64:65], 4, v[76:77]
	v_add_co_u32 v62, vcc_lo, v105, v72
	v_add_co_ci_u32_e64 v63, null, v106, v73, vcc_lo
	v_add_co_u32 v0, vcc_lo, v105, v0
	v_add_co_ci_u32_e64 v1, null, v106, v1, vcc_lo
	v_add_co_u32 v64, vcc_lo, v105, v64
	v_add_nc_u32_e32 v68, s6, v66
	v_add_co_ci_u32_e64 v65, null, v106, v65, vcc_lo
	v_ashrrev_i32_e32 v67, 31, v66
	global_store_dwordx4 v[62:63], v[58:61], off
	global_store_dwordx4 v[0:1], v[54:57], off
	;; [unrolled: 1-line block ×3, first 2 shown]
	v_add_nc_u32_e32 v50, s6, v68
	v_ashrrev_i32_e32 v69, 31, v68
	v_lshlrev_b64 v[58:59], 4, v[66:67]
	v_add_nc_u32_e32 v54, s6, v50
	v_lshlrev_b64 v[0:1], 4, v[68:69]
	v_ashrrev_i32_e32 v51, 31, v50
	v_add_co_u32 v52, vcc_lo, v105, v58
	v_add_nc_u32_e32 v56, s6, v54
	v_add_co_ci_u32_e64 v53, null, v106, v59, vcc_lo
	v_add_co_u32 v0, vcc_lo, v105, v0
	v_ashrrev_i32_e32 v55, 31, v54
	v_add_co_ci_u32_e64 v1, null, v106, v1, vcc_lo
	v_ashrrev_i32_e32 v57, 31, v56
	v_lshlrev_b64 v[50:51], 4, v[50:51]
	global_store_dwordx4 v[52:53], v[46:49], off
	global_store_dwordx4 v[0:1], v[42:45], off
	v_lshlrev_b64 v[0:1], 4, v[54:55]
	v_add_nc_u32_e32 v46, s6, v56
	v_lshlrev_b64 v[44:45], 4, v[56:57]
	v_add_co_u32 v42, vcc_lo, v105, v50
	v_add_co_ci_u32_e64 v43, null, v106, v51, vcc_lo
	v_add_co_u32 v0, vcc_lo, v105, v0
	v_add_nc_u32_e32 v48, s6, v46
	v_add_co_ci_u32_e64 v1, null, v106, v1, vcc_lo
	v_add_co_u32 v44, vcc_lo, v105, v44
	v_ashrrev_i32_e32 v47, 31, v46
	v_add_co_ci_u32_e64 v45, null, v106, v45, vcc_lo
	v_ashrrev_i32_e32 v49, 31, v48
	global_store_dwordx4 v[42:43], v[38:41], off
	v_lshlrev_b64 v[38:39], 4, v[46:47]
	global_store_dwordx4 v[0:1], v[34:37], off
	global_store_dwordx4 v[44:45], v[30:33], off
	v_add_nc_u32_e32 v30, s6, v48
	v_lshlrev_b64 v[0:1], 4, v[48:49]
	v_add_co_u32 v32, vcc_lo, v105, v38
	v_add_nc_u32_e32 v34, s6, v30
	v_add_co_ci_u32_e64 v33, null, v106, v39, vcc_lo
	v_add_co_u32 v0, vcc_lo, v105, v0
	v_add_co_ci_u32_e64 v1, null, v106, v1, vcc_lo
	v_add_nc_u32_e32 v36, s6, v34
	v_ashrrev_i32_e32 v31, 31, v30
	global_store_dwordx4 v[32:33], v[26:29], off
	global_store_dwordx4 v[0:1], v[22:25], off
	v_ashrrev_i32_e32 v35, 31, v34
	v_add_nc_u32_e32 v22, s6, v36
	v_lshlrev_b64 v[26:27], 4, v[30:31]
	v_ashrrev_i32_e32 v37, 31, v36
	v_lshlrev_b64 v[0:1], 4, v[34:35]
	v_add_nc_u32_e32 v28, s6, v22
	v_ashrrev_i32_e32 v23, 31, v22
	v_add_co_u32 v24, vcc_lo, v105, v26
	v_add_co_ci_u32_e64 v25, null, v106, v27, vcc_lo
	v_ashrrev_i32_e32 v29, 31, v28
	v_lshlrev_b64 v[26:27], 4, v[36:37]
	v_lshlrev_b64 v[22:23], 4, v[22:23]
	v_add_co_u32 v0, vcc_lo, v105, v0
	v_lshlrev_b64 v[28:29], 4, v[28:29]
	v_add_co_ci_u32_e64 v1, null, v106, v1, vcc_lo
	v_add_co_u32 v26, vcc_lo, v105, v26
	v_add_co_ci_u32_e64 v27, null, v106, v27, vcc_lo
	v_add_co_u32 v22, vcc_lo, v105, v22
	;; [unrolled: 2-line block ×3, first 2 shown]
	v_add_co_ci_u32_e64 v29, null, v106, v29, vcc_lo
	global_store_dwordx4 v[24:25], v[18:21], off
	global_store_dwordx4 v[0:1], v[14:17], off
	;; [unrolled: 1-line block ×5, first 2 shown]
.LBB44_486:
	s_endpgm
	.section	.rodata,"a",@progbits
	.p2align	6, 0x0
	.amdhsa_kernel _ZN9rocsolver6v33100L18getf2_small_kernelILi23E19rocblas_complex_numIdEiiPS3_EEvT1_T3_lS5_lPS5_llPT2_S5_S5_S7_l
		.amdhsa_group_segment_fixed_size 0
		.amdhsa_private_segment_fixed_size 0
		.amdhsa_kernarg_size 352
		.amdhsa_user_sgpr_count 6
		.amdhsa_user_sgpr_private_segment_buffer 1
		.amdhsa_user_sgpr_dispatch_ptr 0
		.amdhsa_user_sgpr_queue_ptr 0
		.amdhsa_user_sgpr_kernarg_segment_ptr 1
		.amdhsa_user_sgpr_dispatch_id 0
		.amdhsa_user_sgpr_flat_scratch_init 0
		.amdhsa_user_sgpr_private_segment_size 0
		.amdhsa_wavefront_size32 1
		.amdhsa_uses_dynamic_stack 0
		.amdhsa_system_sgpr_private_segment_wavefront_offset 0
		.amdhsa_system_sgpr_workgroup_id_x 1
		.amdhsa_system_sgpr_workgroup_id_y 1
		.amdhsa_system_sgpr_workgroup_id_z 0
		.amdhsa_system_sgpr_workgroup_info 0
		.amdhsa_system_vgpr_workitem_id 1
		.amdhsa_next_free_vgpr 120
		.amdhsa_next_free_sgpr 19
		.amdhsa_reserve_vcc 1
		.amdhsa_reserve_flat_scratch 0
		.amdhsa_float_round_mode_32 0
		.amdhsa_float_round_mode_16_64 0
		.amdhsa_float_denorm_mode_32 3
		.amdhsa_float_denorm_mode_16_64 3
		.amdhsa_dx10_clamp 1
		.amdhsa_ieee_mode 1
		.amdhsa_fp16_overflow 0
		.amdhsa_workgroup_processor_mode 1
		.amdhsa_memory_ordered 1
		.amdhsa_forward_progress 1
		.amdhsa_shared_vgpr_count 0
		.amdhsa_exception_fp_ieee_invalid_op 0
		.amdhsa_exception_fp_denorm_src 0
		.amdhsa_exception_fp_ieee_div_zero 0
		.amdhsa_exception_fp_ieee_overflow 0
		.amdhsa_exception_fp_ieee_underflow 0
		.amdhsa_exception_fp_ieee_inexact 0
		.amdhsa_exception_int_div_zero 0
	.end_amdhsa_kernel
	.section	.text._ZN9rocsolver6v33100L18getf2_small_kernelILi23E19rocblas_complex_numIdEiiPS3_EEvT1_T3_lS5_lPS5_llPT2_S5_S5_S7_l,"axG",@progbits,_ZN9rocsolver6v33100L18getf2_small_kernelILi23E19rocblas_complex_numIdEiiPS3_EEvT1_T3_lS5_lPS5_llPT2_S5_S5_S7_l,comdat
.Lfunc_end44:
	.size	_ZN9rocsolver6v33100L18getf2_small_kernelILi23E19rocblas_complex_numIdEiiPS3_EEvT1_T3_lS5_lPS5_llPT2_S5_S5_S7_l, .Lfunc_end44-_ZN9rocsolver6v33100L18getf2_small_kernelILi23E19rocblas_complex_numIdEiiPS3_EEvT1_T3_lS5_lPS5_llPT2_S5_S5_S7_l
                                        ; -- End function
	.set _ZN9rocsolver6v33100L18getf2_small_kernelILi23E19rocblas_complex_numIdEiiPS3_EEvT1_T3_lS5_lPS5_llPT2_S5_S5_S7_l.num_vgpr, 120
	.set _ZN9rocsolver6v33100L18getf2_small_kernelILi23E19rocblas_complex_numIdEiiPS3_EEvT1_T3_lS5_lPS5_llPT2_S5_S5_S7_l.num_agpr, 0
	.set _ZN9rocsolver6v33100L18getf2_small_kernelILi23E19rocblas_complex_numIdEiiPS3_EEvT1_T3_lS5_lPS5_llPT2_S5_S5_S7_l.numbered_sgpr, 19
	.set _ZN9rocsolver6v33100L18getf2_small_kernelILi23E19rocblas_complex_numIdEiiPS3_EEvT1_T3_lS5_lPS5_llPT2_S5_S5_S7_l.num_named_barrier, 0
	.set _ZN9rocsolver6v33100L18getf2_small_kernelILi23E19rocblas_complex_numIdEiiPS3_EEvT1_T3_lS5_lPS5_llPT2_S5_S5_S7_l.private_seg_size, 0
	.set _ZN9rocsolver6v33100L18getf2_small_kernelILi23E19rocblas_complex_numIdEiiPS3_EEvT1_T3_lS5_lPS5_llPT2_S5_S5_S7_l.uses_vcc, 1
	.set _ZN9rocsolver6v33100L18getf2_small_kernelILi23E19rocblas_complex_numIdEiiPS3_EEvT1_T3_lS5_lPS5_llPT2_S5_S5_S7_l.uses_flat_scratch, 0
	.set _ZN9rocsolver6v33100L18getf2_small_kernelILi23E19rocblas_complex_numIdEiiPS3_EEvT1_T3_lS5_lPS5_llPT2_S5_S5_S7_l.has_dyn_sized_stack, 0
	.set _ZN9rocsolver6v33100L18getf2_small_kernelILi23E19rocblas_complex_numIdEiiPS3_EEvT1_T3_lS5_lPS5_llPT2_S5_S5_S7_l.has_recursion, 0
	.set _ZN9rocsolver6v33100L18getf2_small_kernelILi23E19rocblas_complex_numIdEiiPS3_EEvT1_T3_lS5_lPS5_llPT2_S5_S5_S7_l.has_indirect_call, 0
	.section	.AMDGPU.csdata,"",@progbits
; Kernel info:
; codeLenInByte = 42120
; TotalNumSgprs: 21
; NumVgprs: 120
; ScratchSize: 0
; MemoryBound: 0
; FloatMode: 240
; IeeeMode: 1
; LDSByteSize: 0 bytes/workgroup (compile time only)
; SGPRBlocks: 0
; VGPRBlocks: 14
; NumSGPRsForWavesPerEU: 21
; NumVGPRsForWavesPerEU: 120
; Occupancy: 8
; WaveLimiterHint : 0
; COMPUTE_PGM_RSRC2:SCRATCH_EN: 0
; COMPUTE_PGM_RSRC2:USER_SGPR: 6
; COMPUTE_PGM_RSRC2:TRAP_HANDLER: 0
; COMPUTE_PGM_RSRC2:TGID_X_EN: 1
; COMPUTE_PGM_RSRC2:TGID_Y_EN: 1
; COMPUTE_PGM_RSRC2:TGID_Z_EN: 0
; COMPUTE_PGM_RSRC2:TIDIG_COMP_CNT: 1
	.section	.text._ZN9rocsolver6v33100L23getf2_npvt_small_kernelILi23E19rocblas_complex_numIdEiiPS3_EEvT1_T3_lS5_lPT2_S5_S5_,"axG",@progbits,_ZN9rocsolver6v33100L23getf2_npvt_small_kernelILi23E19rocblas_complex_numIdEiiPS3_EEvT1_T3_lS5_lPT2_S5_S5_,comdat
	.globl	_ZN9rocsolver6v33100L23getf2_npvt_small_kernelILi23E19rocblas_complex_numIdEiiPS3_EEvT1_T3_lS5_lPT2_S5_S5_ ; -- Begin function _ZN9rocsolver6v33100L23getf2_npvt_small_kernelILi23E19rocblas_complex_numIdEiiPS3_EEvT1_T3_lS5_lPT2_S5_S5_
	.p2align	8
	.type	_ZN9rocsolver6v33100L23getf2_npvt_small_kernelILi23E19rocblas_complex_numIdEiiPS3_EEvT1_T3_lS5_lPT2_S5_S5_,@function
_ZN9rocsolver6v33100L23getf2_npvt_small_kernelILi23E19rocblas_complex_numIdEiiPS3_EEvT1_T3_lS5_lPT2_S5_S5_: ; @_ZN9rocsolver6v33100L23getf2_npvt_small_kernelILi23E19rocblas_complex_numIdEiiPS3_EEvT1_T3_lS5_lPT2_S5_S5_
; %bb.0:
	s_clause 0x1
	s_load_dword s0, s[4:5], 0x44
	s_load_dwordx2 s[12:13], s[4:5], 0x30
	s_waitcnt lgkmcnt(0)
	s_lshr_b32 s14, s0, 16
	s_mov_b32 s0, exec_lo
	v_mad_u64_u32 v[216:217], null, s7, s14, v[1:2]
	v_cmpx_gt_i32_e64 s12, v216
	s_cbranch_execz .LBB45_212
; %bb.1:
	s_clause 0x2
	s_load_dwordx4 s[8:11], s[4:5], 0x20
	s_load_dword s6, s[4:5], 0x18
	s_load_dwordx4 s[0:3], s[4:5], 0x8
	v_ashrrev_i32_e32 v217, 31, v216
	v_lshlrev_b32_e32 v13, 4, v0
	v_lshlrev_b32_e32 v94, 4, v1
	s_mulk_i32 s14, 0x170
	v_mad_u32_u24 v234, 0x170, v1, 0
	v_add3_u32 v1, 0, s14, v94
	s_waitcnt lgkmcnt(0)
	v_mul_lo_u32 v5, s9, v216
	v_mul_lo_u32 v7, s8, v217
	v_mad_u64_u32 v[2:3], null, s8, v216, 0
	v_add3_u32 v4, s6, s6, v0
	s_lshl_b64 s[2:3], s[2:3], 4
	s_ashr_i32 s7, s6, 31
	s_lshl_b64 s[4:5], s[6:7], 4
	v_add_nc_u32_e32 v6, s6, v4
	v_add3_u32 v3, v3, v7, v5
	v_ashrrev_i32_e32 v5, 31, v4
	v_add_nc_u32_e32 v8, s6, v6
	v_lshlrev_b64 v[2:3], 4, v[2:3]
	v_ashrrev_i32_e32 v7, 31, v6
	v_lshlrev_b64 v[4:5], 4, v[4:5]
	v_ashrrev_i32_e32 v9, 31, v8
	v_add_nc_u32_e32 v10, s6, v8
	v_add_co_u32 v12, vcc_lo, s0, v2
	v_add_co_ci_u32_e64 v14, null, s1, v3, vcc_lo
	v_lshlrev_b64 v[6:7], 4, v[6:7]
	v_add_co_u32 v15, vcc_lo, v12, s2
	v_add_co_ci_u32_e64 v14, null, s3, v14, vcc_lo
	v_lshlrev_b64 v[2:3], 4, v[8:9]
	v_add_nc_u32_e32 v8, s6, v10
	v_add_co_u32 v192, vcc_lo, v15, v13
	v_add_co_ci_u32_e64 v193, null, 0, v14, vcc_lo
	v_add_co_u32 v190, vcc_lo, v15, v4
	v_ashrrev_i32_e32 v11, 31, v10
	v_add_nc_u32_e32 v12, s6, v8
	v_add_co_ci_u32_e64 v191, null, v14, v5, vcc_lo
	v_add_co_u32 v188, vcc_lo, v15, v6
	v_ashrrev_i32_e32 v9, 31, v8
	v_add_co_ci_u32_e64 v189, null, v14, v7, vcc_lo
	v_add_co_u32 v194, vcc_lo, v192, s4
	v_lshlrev_b64 v[10:11], 4, v[10:11]
	v_add_co_ci_u32_e64 v195, null, s5, v193, vcc_lo
	v_add_co_u32 v186, vcc_lo, v15, v2
	v_add_nc_u32_e32 v4, s6, v12
	v_add_co_ci_u32_e64 v187, null, v14, v3, vcc_lo
	v_lshlrev_b64 v[2:3], 4, v[8:9]
	v_ashrrev_i32_e32 v13, 31, v12
	v_ashrrev_i32_e32 v5, 31, v4
	v_add_nc_u32_e32 v8, s6, v4
	v_add_co_u32 v196, vcc_lo, v15, v10
	v_lshlrev_b64 v[6:7], 4, v[12:13]
	v_add_co_ci_u32_e64 v197, null, v14, v11, vcc_lo
	v_add_co_u32 v198, vcc_lo, v15, v2
	v_add_co_ci_u32_e64 v199, null, v14, v3, vcc_lo
	v_lshlrev_b64 v[2:3], 4, v[4:5]
	v_ashrrev_i32_e32 v9, 31, v8
	v_add_nc_u32_e32 v4, s6, v8
	v_add_co_u32 v200, vcc_lo, v15, v6
	v_add_co_ci_u32_e64 v201, null, v14, v7, vcc_lo
	v_lshlrev_b64 v[6:7], 4, v[8:9]
	v_ashrrev_i32_e32 v5, 31, v4
	v_add_nc_u32_e32 v8, s6, v4
	;; [unrolled: 5-line block ×12, first 2 shown]
	v_add_co_u32 v224, vcc_lo, v15, v2
	v_add_co_ci_u32_e64 v225, null, v14, v3, vcc_lo
	v_lshlrev_b64 v[2:3], 4, v[4:5]
	v_add_nc_u32_e32 v4, s6, v8
	v_ashrrev_i32_e32 v9, 31, v8
	v_add_co_u32 v230, vcc_lo, v15, v6
	v_add_co_ci_u32_e64 v231, null, v14, v7, vcc_lo
	v_ashrrev_i32_e32 v5, 31, v4
	v_lshlrev_b64 v[6:7], 4, v[8:9]
	v_add_co_u32 v226, vcc_lo, v15, v2
	v_add_co_ci_u32_e64 v227, null, v14, v3, vcc_lo
	v_lshlrev_b64 v[2:3], 4, v[4:5]
	v_add_co_u32 v228, vcc_lo, v15, v6
	v_add_co_ci_u32_e64 v229, null, v14, v7, vcc_lo
	v_cmp_ne_u32_e64 s1, 0, v0
	v_add_co_u32 v232, vcc_lo, v15, v2
	v_add_co_ci_u32_e64 v233, null, v14, v3, vcc_lo
	s_clause 0x16
	global_load_dwordx4 v[90:93], v[192:193], off
	global_load_dwordx4 v[86:89], v[194:195], off
	;; [unrolled: 1-line block ×23, first 2 shown]
	v_cmp_eq_u32_e64 s0, 0, v0
	s_and_saveexec_b32 s3, s0
	s_cbranch_execz .LBB45_8
; %bb.2:
	s_waitcnt vmcnt(22)
	ds_write2_b64 v1, v[90:91], v[92:93] offset1:1
	s_waitcnt vmcnt(21)
	ds_write2_b64 v234, v[86:87], v[88:89] offset0:2 offset1:3
	s_waitcnt vmcnt(20)
	ds_write2_b64 v234, v[82:83], v[84:85] offset0:4 offset1:5
	;; [unrolled: 2-line block ×22, first 2 shown]
	ds_read2_b64 v[94:97], v1 offset1:1
	s_waitcnt lgkmcnt(0)
	v_cmp_neq_f64_e32 vcc_lo, 0, v[94:95]
	v_cmp_neq_f64_e64 s2, 0, v[96:97]
	s_or_b32 s2, vcc_lo, s2
	s_and_b32 exec_lo, exec_lo, s2
	s_cbranch_execz .LBB45_8
; %bb.3:
	v_cmp_ngt_f64_e64 s2, |v[94:95]|, |v[96:97]|
                                        ; implicit-def: $vgpr98_vgpr99
	s_and_saveexec_b32 s4, s2
	s_xor_b32 s2, exec_lo, s4
                                        ; implicit-def: $vgpr100_vgpr101
	s_cbranch_execz .LBB45_5
; %bb.4:
	v_div_scale_f64 v[98:99], null, v[96:97], v[96:97], v[94:95]
	v_div_scale_f64 v[104:105], vcc_lo, v[94:95], v[96:97], v[94:95]
	v_rcp_f64_e32 v[100:101], v[98:99]
	v_fma_f64 v[102:103], -v[98:99], v[100:101], 1.0
	v_fma_f64 v[100:101], v[100:101], v[102:103], v[100:101]
	v_fma_f64 v[102:103], -v[98:99], v[100:101], 1.0
	v_fma_f64 v[100:101], v[100:101], v[102:103], v[100:101]
	v_mul_f64 v[102:103], v[104:105], v[100:101]
	v_fma_f64 v[98:99], -v[98:99], v[102:103], v[104:105]
	v_div_fmas_f64 v[98:99], v[98:99], v[100:101], v[102:103]
	v_div_fixup_f64 v[98:99], v[98:99], v[96:97], v[94:95]
	v_fma_f64 v[94:95], v[94:95], v[98:99], v[96:97]
	v_div_scale_f64 v[96:97], null, v[94:95], v[94:95], 1.0
	v_rcp_f64_e32 v[100:101], v[96:97]
	v_fma_f64 v[102:103], -v[96:97], v[100:101], 1.0
	v_fma_f64 v[100:101], v[100:101], v[102:103], v[100:101]
	v_fma_f64 v[102:103], -v[96:97], v[100:101], 1.0
	v_fma_f64 v[100:101], v[100:101], v[102:103], v[100:101]
	v_div_scale_f64 v[102:103], vcc_lo, 1.0, v[94:95], 1.0
	v_mul_f64 v[104:105], v[102:103], v[100:101]
	v_fma_f64 v[96:97], -v[96:97], v[104:105], v[102:103]
	v_div_fmas_f64 v[96:97], v[96:97], v[100:101], v[104:105]
	v_div_fixup_f64 v[100:101], v[96:97], v[94:95], 1.0
                                        ; implicit-def: $vgpr94_vgpr95
	v_mul_f64 v[98:99], v[98:99], v[100:101]
	v_xor_b32_e32 v101, 0x80000000, v101
.LBB45_5:
	s_andn2_saveexec_b32 s2, s2
	s_cbranch_execz .LBB45_7
; %bb.6:
	v_div_scale_f64 v[98:99], null, v[94:95], v[94:95], v[96:97]
	v_div_scale_f64 v[104:105], vcc_lo, v[96:97], v[94:95], v[96:97]
	v_rcp_f64_e32 v[100:101], v[98:99]
	v_fma_f64 v[102:103], -v[98:99], v[100:101], 1.0
	v_fma_f64 v[100:101], v[100:101], v[102:103], v[100:101]
	v_fma_f64 v[102:103], -v[98:99], v[100:101], 1.0
	v_fma_f64 v[100:101], v[100:101], v[102:103], v[100:101]
	v_mul_f64 v[102:103], v[104:105], v[100:101]
	v_fma_f64 v[98:99], -v[98:99], v[102:103], v[104:105]
	v_div_fmas_f64 v[98:99], v[98:99], v[100:101], v[102:103]
	v_div_fixup_f64 v[100:101], v[98:99], v[94:95], v[96:97]
	v_fma_f64 v[94:95], v[96:97], v[100:101], v[94:95]
	v_div_scale_f64 v[96:97], null, v[94:95], v[94:95], 1.0
	v_rcp_f64_e32 v[98:99], v[96:97]
	v_fma_f64 v[102:103], -v[96:97], v[98:99], 1.0
	v_fma_f64 v[98:99], v[98:99], v[102:103], v[98:99]
	v_fma_f64 v[102:103], -v[96:97], v[98:99], 1.0
	v_fma_f64 v[98:99], v[98:99], v[102:103], v[98:99]
	v_div_scale_f64 v[102:103], vcc_lo, 1.0, v[94:95], 1.0
	v_mul_f64 v[104:105], v[102:103], v[98:99]
	v_fma_f64 v[96:97], -v[96:97], v[104:105], v[102:103]
	v_div_fmas_f64 v[96:97], v[96:97], v[98:99], v[104:105]
	v_div_fixup_f64 v[98:99], v[96:97], v[94:95], 1.0
	v_mul_f64 v[100:101], v[100:101], -v[98:99]
.LBB45_7:
	s_or_b32 exec_lo, exec_lo, s2
	ds_write2_b64 v1, v[98:99], v[100:101] offset1:1
.LBB45_8:
	s_or_b32 exec_lo, exec_lo, s3
	s_waitcnt vmcnt(0) lgkmcnt(0)
	s_barrier
	buffer_gl0_inv
	ds_read2_b64 v[94:97], v1 offset1:1
	s_and_saveexec_b32 s2, s1
	s_cbranch_execz .LBB45_10
; %bb.9:
	s_waitcnt lgkmcnt(0)
	v_mul_f64 v[98:99], v[94:95], v[92:93]
	v_mul_f64 v[130:131], v[96:97], v[92:93]
	v_fma_f64 v[92:93], v[96:97], v[90:91], v[98:99]
	ds_read2_b64 v[98:101], v234 offset0:2 offset1:3
	ds_read2_b64 v[102:105], v234 offset0:4 offset1:5
	;; [unrolled: 1-line block ×8, first 2 shown]
	v_fma_f64 v[90:91], v[94:95], v[90:91], -v[130:131]
	ds_read2_b64 v[130:133], v234 offset0:18 offset1:19
	ds_read2_b64 v[134:137], v234 offset0:20 offset1:21
	;; [unrolled: 1-line block ×5, first 2 shown]
	s_waitcnt lgkmcnt(7)
	v_mul_f64 v[170:171], v[120:121], v[92:93]
	v_mul_f64 v[172:173], v[118:119], v[92:93]
	s_waitcnt lgkmcnt(6)
	v_mul_f64 v[174:175], v[124:125], v[92:93]
	v_mul_f64 v[176:177], v[122:123], v[92:93]
	;; [unrolled: 3-line block ×4, first 2 shown]
	v_mul_f64 v[150:151], v[100:101], v[92:93]
	v_mul_f64 v[152:153], v[98:99], v[92:93]
	;; [unrolled: 1-line block ×10, first 2 shown]
	s_waitcnt lgkmcnt(3)
	v_mul_f64 v[235:236], v[136:137], v[92:93]
	v_mul_f64 v[237:238], v[134:135], v[92:93]
	s_waitcnt lgkmcnt(2)
	v_mul_f64 v[239:240], v[140:141], v[92:93]
	v_mul_f64 v[241:242], v[138:139], v[92:93]
	v_fma_f64 v[118:119], v[118:119], v[90:91], -v[170:171]
	v_fma_f64 v[120:121], v[120:121], v[90:91], v[172:173]
	v_fma_f64 v[122:123], v[122:123], v[90:91], -v[174:175]
	v_fma_f64 v[124:125], v[124:125], v[90:91], v[176:177]
	;; [unrolled: 2-line block ×9, first 2 shown]
	ds_read2_b64 v[98:101], v234 offset0:28 offset1:29
	s_waitcnt lgkmcnt(2)
	v_mul_f64 v[170:171], v[144:145], v[92:93]
	v_fma_f64 v[134:135], v[134:135], v[90:91], -v[235:236]
	v_fma_f64 v[136:137], v[136:137], v[90:91], v[237:238]
	v_mul_f64 v[172:173], v[142:143], v[92:93]
	s_waitcnt lgkmcnt(1)
	v_mul_f64 v[174:175], v[148:149], v[92:93]
	v_fma_f64 v[138:139], v[138:139], v[90:91], -v[239:240]
	v_mul_f64 v[176:177], v[146:147], v[92:93]
	ds_read2_b64 v[102:105], v234 offset0:30 offset1:31
	ds_read2_b64 v[106:109], v234 offset0:32 offset1:33
	;; [unrolled: 1-line block ×4, first 2 shown]
	v_add_f64 v[66:67], v[66:67], -v[118:119]
	v_add_f64 v[68:69], v[68:69], -v[120:121]
	v_add_f64 v[62:63], v[62:63], -v[122:123]
	v_add_f64 v[64:65], v[64:65], -v[124:125]
	v_add_f64 v[58:59], v[58:59], -v[126:127]
	v_add_f64 v[60:61], v[60:61], -v[128:129]
	v_add_f64 v[54:55], v[54:55], -v[130:131]
	ds_read2_b64 v[118:121], v234 offset0:38 offset1:39
	ds_read2_b64 v[122:125], v234 offset0:40 offset1:41
	v_add_f64 v[56:57], v[56:57], -v[132:133]
	ds_read2_b64 v[126:129], v234 offset0:42 offset1:43
	ds_read2_b64 v[130:133], v234 offset0:44 offset1:45
	s_waitcnt lgkmcnt(8)
	v_mul_f64 v[178:179], v[100:101], v[92:93]
	v_add_f64 v[86:87], v[86:87], -v[150:151]
	v_mul_f64 v[150:151], v[98:99], v[92:93]
	v_add_f64 v[88:89], v[88:89], -v[152:153]
	v_add_f64 v[82:83], v[82:83], -v[154:155]
	;; [unrolled: 1-line block ×10, first 2 shown]
	s_waitcnt lgkmcnt(7)
	v_mul_f64 v[134:135], v[104:105], v[92:93]
	v_mul_f64 v[152:153], v[102:103], v[92:93]
	s_waitcnt lgkmcnt(6)
	v_mul_f64 v[154:155], v[108:109], v[92:93]
	v_add_f64 v[52:53], v[52:53], -v[136:137]
	v_mul_f64 v[136:137], v[106:107], v[92:93]
	v_add_f64 v[46:47], v[46:47], -v[138:139]
	v_fma_f64 v[138:139], v[142:143], v[90:91], -v[170:171]
	v_fma_f64 v[142:143], v[144:145], v[90:91], v[172:173]
	v_fma_f64 v[144:145], v[146:147], v[90:91], -v[174:175]
	v_fma_f64 v[146:147], v[148:149], v[90:91], v[176:177]
	s_waitcnt lgkmcnt(5)
	v_mul_f64 v[148:149], v[112:113], v[92:93]
	v_mul_f64 v[156:157], v[110:111], v[92:93]
	s_waitcnt lgkmcnt(4)
	v_mul_f64 v[158:159], v[116:117], v[92:93]
	v_mul_f64 v[160:161], v[114:115], v[92:93]
	;; [unrolled: 3-line block ×6, first 2 shown]
	v_fma_f64 v[140:141], v[140:141], v[90:91], v[241:242]
	v_fma_f64 v[98:99], v[98:99], v[90:91], -v[178:179]
	v_fma_f64 v[100:101], v[100:101], v[90:91], v[150:151]
	v_fma_f64 v[102:103], v[102:103], v[90:91], -v[134:135]
	;; [unrolled: 2-line block ×3, first 2 shown]
	v_fma_f64 v[108:109], v[108:109], v[90:91], v[136:137]
	v_add_f64 v[42:43], v[42:43], -v[138:139]
	v_add_f64 v[44:45], v[44:45], -v[142:143]
	;; [unrolled: 1-line block ×3, first 2 shown]
	v_fma_f64 v[110:111], v[110:111], v[90:91], -v[148:149]
	v_fma_f64 v[112:113], v[112:113], v[90:91], v[156:157]
	v_fma_f64 v[114:115], v[114:115], v[90:91], -v[158:159]
	v_fma_f64 v[116:117], v[116:117], v[90:91], v[160:161]
	;; [unrolled: 2-line block ×6, first 2 shown]
	v_add_f64 v[48:49], v[48:49], -v[140:141]
	v_add_f64 v[40:41], v[40:41], -v[146:147]
	;; [unrolled: 1-line block ×20, first 2 shown]
.LBB45_10:
	s_or_b32 exec_lo, exec_lo, s2
	s_mov_b32 s2, exec_lo
	s_waitcnt lgkmcnt(0)
	s_barrier
	buffer_gl0_inv
	v_cmpx_eq_u32_e32 1, v0
	s_cbranch_execz .LBB45_17
; %bb.11:
	ds_write2_b64 v1, v[86:87], v[88:89] offset1:1
	ds_write2_b64 v234, v[82:83], v[84:85] offset0:4 offset1:5
	ds_write2_b64 v234, v[78:79], v[80:81] offset0:6 offset1:7
	;; [unrolled: 1-line block ×21, first 2 shown]
	ds_read2_b64 v[98:101], v1 offset1:1
	s_waitcnt lgkmcnt(0)
	v_cmp_neq_f64_e32 vcc_lo, 0, v[98:99]
	v_cmp_neq_f64_e64 s1, 0, v[100:101]
	s_or_b32 s1, vcc_lo, s1
	s_and_b32 exec_lo, exec_lo, s1
	s_cbranch_execz .LBB45_17
; %bb.12:
	v_cmp_ngt_f64_e64 s1, |v[98:99]|, |v[100:101]|
                                        ; implicit-def: $vgpr102_vgpr103
	s_and_saveexec_b32 s3, s1
	s_xor_b32 s1, exec_lo, s3
                                        ; implicit-def: $vgpr104_vgpr105
	s_cbranch_execz .LBB45_14
; %bb.13:
	v_div_scale_f64 v[102:103], null, v[100:101], v[100:101], v[98:99]
	v_div_scale_f64 v[108:109], vcc_lo, v[98:99], v[100:101], v[98:99]
	v_rcp_f64_e32 v[104:105], v[102:103]
	v_fma_f64 v[106:107], -v[102:103], v[104:105], 1.0
	v_fma_f64 v[104:105], v[104:105], v[106:107], v[104:105]
	v_fma_f64 v[106:107], -v[102:103], v[104:105], 1.0
	v_fma_f64 v[104:105], v[104:105], v[106:107], v[104:105]
	v_mul_f64 v[106:107], v[108:109], v[104:105]
	v_fma_f64 v[102:103], -v[102:103], v[106:107], v[108:109]
	v_div_fmas_f64 v[102:103], v[102:103], v[104:105], v[106:107]
	v_div_fixup_f64 v[102:103], v[102:103], v[100:101], v[98:99]
	v_fma_f64 v[98:99], v[98:99], v[102:103], v[100:101]
	v_div_scale_f64 v[100:101], null, v[98:99], v[98:99], 1.0
	v_rcp_f64_e32 v[104:105], v[100:101]
	v_fma_f64 v[106:107], -v[100:101], v[104:105], 1.0
	v_fma_f64 v[104:105], v[104:105], v[106:107], v[104:105]
	v_fma_f64 v[106:107], -v[100:101], v[104:105], 1.0
	v_fma_f64 v[104:105], v[104:105], v[106:107], v[104:105]
	v_div_scale_f64 v[106:107], vcc_lo, 1.0, v[98:99], 1.0
	v_mul_f64 v[108:109], v[106:107], v[104:105]
	v_fma_f64 v[100:101], -v[100:101], v[108:109], v[106:107]
	v_div_fmas_f64 v[100:101], v[100:101], v[104:105], v[108:109]
	v_div_fixup_f64 v[104:105], v[100:101], v[98:99], 1.0
                                        ; implicit-def: $vgpr98_vgpr99
	v_mul_f64 v[102:103], v[102:103], v[104:105]
	v_xor_b32_e32 v105, 0x80000000, v105
.LBB45_14:
	s_andn2_saveexec_b32 s1, s1
	s_cbranch_execz .LBB45_16
; %bb.15:
	v_div_scale_f64 v[102:103], null, v[98:99], v[98:99], v[100:101]
	v_div_scale_f64 v[108:109], vcc_lo, v[100:101], v[98:99], v[100:101]
	v_rcp_f64_e32 v[104:105], v[102:103]
	v_fma_f64 v[106:107], -v[102:103], v[104:105], 1.0
	v_fma_f64 v[104:105], v[104:105], v[106:107], v[104:105]
	v_fma_f64 v[106:107], -v[102:103], v[104:105], 1.0
	v_fma_f64 v[104:105], v[104:105], v[106:107], v[104:105]
	v_mul_f64 v[106:107], v[108:109], v[104:105]
	v_fma_f64 v[102:103], -v[102:103], v[106:107], v[108:109]
	v_div_fmas_f64 v[102:103], v[102:103], v[104:105], v[106:107]
	v_div_fixup_f64 v[104:105], v[102:103], v[98:99], v[100:101]
	v_fma_f64 v[98:99], v[100:101], v[104:105], v[98:99]
	v_div_scale_f64 v[100:101], null, v[98:99], v[98:99], 1.0
	v_rcp_f64_e32 v[102:103], v[100:101]
	v_fma_f64 v[106:107], -v[100:101], v[102:103], 1.0
	v_fma_f64 v[102:103], v[102:103], v[106:107], v[102:103]
	v_fma_f64 v[106:107], -v[100:101], v[102:103], 1.0
	v_fma_f64 v[102:103], v[102:103], v[106:107], v[102:103]
	v_div_scale_f64 v[106:107], vcc_lo, 1.0, v[98:99], 1.0
	v_mul_f64 v[108:109], v[106:107], v[102:103]
	v_fma_f64 v[100:101], -v[100:101], v[108:109], v[106:107]
	v_div_fmas_f64 v[100:101], v[100:101], v[102:103], v[108:109]
	v_div_fixup_f64 v[102:103], v[100:101], v[98:99], 1.0
	v_mul_f64 v[104:105], v[104:105], -v[102:103]
.LBB45_16:
	s_or_b32 exec_lo, exec_lo, s1
	ds_write2_b64 v1, v[102:103], v[104:105] offset1:1
.LBB45_17:
	s_or_b32 exec_lo, exec_lo, s2
	s_waitcnt lgkmcnt(0)
	s_barrier
	buffer_gl0_inv
	ds_read2_b64 v[98:101], v1 offset1:1
	s_mov_b32 s1, exec_lo
	v_cmpx_lt_u32_e32 1, v0
	s_cbranch_execz .LBB45_19
; %bb.18:
	s_waitcnt lgkmcnt(0)
	v_mul_f64 v[102:103], v[100:101], v[88:89]
	v_mul_f64 v[88:89], v[98:99], v[88:89]
	ds_read2_b64 v[104:107], v234 offset0:4 offset1:5
	v_fma_f64 v[102:103], v[98:99], v[86:87], -v[102:103]
	v_fma_f64 v[88:89], v[100:101], v[86:87], v[88:89]
	s_waitcnt lgkmcnt(0)
	v_mul_f64 v[86:87], v[106:107], v[88:89]
	v_fma_f64 v[86:87], v[104:105], v[102:103], -v[86:87]
	v_mul_f64 v[104:105], v[104:105], v[88:89]
	v_add_f64 v[82:83], v[82:83], -v[86:87]
	v_fma_f64 v[104:105], v[106:107], v[102:103], v[104:105]
	v_add_f64 v[84:85], v[84:85], -v[104:105]
	ds_read2_b64 v[104:107], v234 offset0:6 offset1:7
	s_waitcnt lgkmcnt(0)
	v_mul_f64 v[86:87], v[106:107], v[88:89]
	v_fma_f64 v[86:87], v[104:105], v[102:103], -v[86:87]
	v_mul_f64 v[104:105], v[104:105], v[88:89]
	v_add_f64 v[78:79], v[78:79], -v[86:87]
	v_fma_f64 v[104:105], v[106:107], v[102:103], v[104:105]
	v_add_f64 v[80:81], v[80:81], -v[104:105]
	ds_read2_b64 v[104:107], v234 offset0:8 offset1:9
	;; [unrolled: 8-line block ×20, first 2 shown]
	s_waitcnt lgkmcnt(0)
	v_mul_f64 v[86:87], v[106:107], v[88:89]
	v_fma_f64 v[86:87], v[104:105], v[102:103], -v[86:87]
	v_mul_f64 v[104:105], v[104:105], v[88:89]
	v_add_f64 v[2:3], v[2:3], -v[86:87]
	v_fma_f64 v[104:105], v[106:107], v[102:103], v[104:105]
	v_mov_b32_e32 v86, v102
	v_mov_b32_e32 v87, v103
	v_add_f64 v[4:5], v[4:5], -v[104:105]
.LBB45_19:
	s_or_b32 exec_lo, exec_lo, s1
	s_mov_b32 s2, exec_lo
	s_waitcnt lgkmcnt(0)
	s_barrier
	buffer_gl0_inv
	v_cmpx_eq_u32_e32 2, v0
	s_cbranch_execz .LBB45_26
; %bb.20:
	ds_write2_b64 v1, v[82:83], v[84:85] offset1:1
	ds_write2_b64 v234, v[78:79], v[80:81] offset0:6 offset1:7
	ds_write2_b64 v234, v[74:75], v[76:77] offset0:8 offset1:9
	;; [unrolled: 1-line block ×20, first 2 shown]
	ds_read2_b64 v[102:105], v1 offset1:1
	s_waitcnt lgkmcnt(0)
	v_cmp_neq_f64_e32 vcc_lo, 0, v[102:103]
	v_cmp_neq_f64_e64 s1, 0, v[104:105]
	s_or_b32 s1, vcc_lo, s1
	s_and_b32 exec_lo, exec_lo, s1
	s_cbranch_execz .LBB45_26
; %bb.21:
	v_cmp_ngt_f64_e64 s1, |v[102:103]|, |v[104:105]|
                                        ; implicit-def: $vgpr106_vgpr107
	s_and_saveexec_b32 s3, s1
	s_xor_b32 s1, exec_lo, s3
                                        ; implicit-def: $vgpr108_vgpr109
	s_cbranch_execz .LBB45_23
; %bb.22:
	v_div_scale_f64 v[106:107], null, v[104:105], v[104:105], v[102:103]
	v_div_scale_f64 v[112:113], vcc_lo, v[102:103], v[104:105], v[102:103]
	v_rcp_f64_e32 v[108:109], v[106:107]
	v_fma_f64 v[110:111], -v[106:107], v[108:109], 1.0
	v_fma_f64 v[108:109], v[108:109], v[110:111], v[108:109]
	v_fma_f64 v[110:111], -v[106:107], v[108:109], 1.0
	v_fma_f64 v[108:109], v[108:109], v[110:111], v[108:109]
	v_mul_f64 v[110:111], v[112:113], v[108:109]
	v_fma_f64 v[106:107], -v[106:107], v[110:111], v[112:113]
	v_div_fmas_f64 v[106:107], v[106:107], v[108:109], v[110:111]
	v_div_fixup_f64 v[106:107], v[106:107], v[104:105], v[102:103]
	v_fma_f64 v[102:103], v[102:103], v[106:107], v[104:105]
	v_div_scale_f64 v[104:105], null, v[102:103], v[102:103], 1.0
	v_rcp_f64_e32 v[108:109], v[104:105]
	v_fma_f64 v[110:111], -v[104:105], v[108:109], 1.0
	v_fma_f64 v[108:109], v[108:109], v[110:111], v[108:109]
	v_fma_f64 v[110:111], -v[104:105], v[108:109], 1.0
	v_fma_f64 v[108:109], v[108:109], v[110:111], v[108:109]
	v_div_scale_f64 v[110:111], vcc_lo, 1.0, v[102:103], 1.0
	v_mul_f64 v[112:113], v[110:111], v[108:109]
	v_fma_f64 v[104:105], -v[104:105], v[112:113], v[110:111]
	v_div_fmas_f64 v[104:105], v[104:105], v[108:109], v[112:113]
	v_div_fixup_f64 v[108:109], v[104:105], v[102:103], 1.0
                                        ; implicit-def: $vgpr102_vgpr103
	v_mul_f64 v[106:107], v[106:107], v[108:109]
	v_xor_b32_e32 v109, 0x80000000, v109
.LBB45_23:
	s_andn2_saveexec_b32 s1, s1
	s_cbranch_execz .LBB45_25
; %bb.24:
	v_div_scale_f64 v[106:107], null, v[102:103], v[102:103], v[104:105]
	v_div_scale_f64 v[112:113], vcc_lo, v[104:105], v[102:103], v[104:105]
	v_rcp_f64_e32 v[108:109], v[106:107]
	v_fma_f64 v[110:111], -v[106:107], v[108:109], 1.0
	v_fma_f64 v[108:109], v[108:109], v[110:111], v[108:109]
	v_fma_f64 v[110:111], -v[106:107], v[108:109], 1.0
	v_fma_f64 v[108:109], v[108:109], v[110:111], v[108:109]
	v_mul_f64 v[110:111], v[112:113], v[108:109]
	v_fma_f64 v[106:107], -v[106:107], v[110:111], v[112:113]
	v_div_fmas_f64 v[106:107], v[106:107], v[108:109], v[110:111]
	v_div_fixup_f64 v[108:109], v[106:107], v[102:103], v[104:105]
	v_fma_f64 v[102:103], v[104:105], v[108:109], v[102:103]
	v_div_scale_f64 v[104:105], null, v[102:103], v[102:103], 1.0
	v_rcp_f64_e32 v[106:107], v[104:105]
	v_fma_f64 v[110:111], -v[104:105], v[106:107], 1.0
	v_fma_f64 v[106:107], v[106:107], v[110:111], v[106:107]
	v_fma_f64 v[110:111], -v[104:105], v[106:107], 1.0
	v_fma_f64 v[106:107], v[106:107], v[110:111], v[106:107]
	v_div_scale_f64 v[110:111], vcc_lo, 1.0, v[102:103], 1.0
	v_mul_f64 v[112:113], v[110:111], v[106:107]
	v_fma_f64 v[104:105], -v[104:105], v[112:113], v[110:111]
	v_div_fmas_f64 v[104:105], v[104:105], v[106:107], v[112:113]
	v_div_fixup_f64 v[106:107], v[104:105], v[102:103], 1.0
	v_mul_f64 v[108:109], v[108:109], -v[106:107]
.LBB45_25:
	s_or_b32 exec_lo, exec_lo, s1
	ds_write2_b64 v1, v[106:107], v[108:109] offset1:1
.LBB45_26:
	s_or_b32 exec_lo, exec_lo, s2
	s_waitcnt lgkmcnt(0)
	s_barrier
	buffer_gl0_inv
	ds_read2_b64 v[102:105], v1 offset1:1
	s_mov_b32 s1, exec_lo
	v_cmpx_lt_u32_e32 2, v0
	s_cbranch_execz .LBB45_28
; %bb.27:
	s_waitcnt lgkmcnt(0)
	v_mul_f64 v[106:107], v[104:105], v[84:85]
	v_mul_f64 v[84:85], v[102:103], v[84:85]
	ds_read2_b64 v[108:111], v234 offset0:6 offset1:7
	v_fma_f64 v[106:107], v[102:103], v[82:83], -v[106:107]
	v_fma_f64 v[84:85], v[104:105], v[82:83], v[84:85]
	s_waitcnt lgkmcnt(0)
	v_mul_f64 v[82:83], v[110:111], v[84:85]
	v_fma_f64 v[82:83], v[108:109], v[106:107], -v[82:83]
	v_mul_f64 v[108:109], v[108:109], v[84:85]
	v_add_f64 v[78:79], v[78:79], -v[82:83]
	v_fma_f64 v[108:109], v[110:111], v[106:107], v[108:109]
	v_add_f64 v[80:81], v[80:81], -v[108:109]
	ds_read2_b64 v[108:111], v234 offset0:8 offset1:9
	s_waitcnt lgkmcnt(0)
	v_mul_f64 v[82:83], v[110:111], v[84:85]
	v_fma_f64 v[82:83], v[108:109], v[106:107], -v[82:83]
	v_mul_f64 v[108:109], v[108:109], v[84:85]
	v_add_f64 v[74:75], v[74:75], -v[82:83]
	v_fma_f64 v[108:109], v[110:111], v[106:107], v[108:109]
	v_add_f64 v[76:77], v[76:77], -v[108:109]
	ds_read2_b64 v[108:111], v234 offset0:10 offset1:11
	;; [unrolled: 8-line block ×19, first 2 shown]
	s_waitcnt lgkmcnt(0)
	v_mul_f64 v[82:83], v[110:111], v[84:85]
	v_fma_f64 v[82:83], v[108:109], v[106:107], -v[82:83]
	v_mul_f64 v[108:109], v[108:109], v[84:85]
	v_add_f64 v[2:3], v[2:3], -v[82:83]
	v_fma_f64 v[108:109], v[110:111], v[106:107], v[108:109]
	v_mov_b32_e32 v82, v106
	v_mov_b32_e32 v83, v107
	v_add_f64 v[4:5], v[4:5], -v[108:109]
.LBB45_28:
	s_or_b32 exec_lo, exec_lo, s1
	s_mov_b32 s2, exec_lo
	s_waitcnt lgkmcnt(0)
	s_barrier
	buffer_gl0_inv
	v_cmpx_eq_u32_e32 3, v0
	s_cbranch_execz .LBB45_35
; %bb.29:
	ds_write2_b64 v1, v[78:79], v[80:81] offset1:1
	ds_write2_b64 v234, v[74:75], v[76:77] offset0:8 offset1:9
	ds_write2_b64 v234, v[70:71], v[72:73] offset0:10 offset1:11
	;; [unrolled: 1-line block ×19, first 2 shown]
	ds_read2_b64 v[106:109], v1 offset1:1
	s_waitcnt lgkmcnt(0)
	v_cmp_neq_f64_e32 vcc_lo, 0, v[106:107]
	v_cmp_neq_f64_e64 s1, 0, v[108:109]
	s_or_b32 s1, vcc_lo, s1
	s_and_b32 exec_lo, exec_lo, s1
	s_cbranch_execz .LBB45_35
; %bb.30:
	v_cmp_ngt_f64_e64 s1, |v[106:107]|, |v[108:109]|
                                        ; implicit-def: $vgpr110_vgpr111
	s_and_saveexec_b32 s3, s1
	s_xor_b32 s1, exec_lo, s3
                                        ; implicit-def: $vgpr112_vgpr113
	s_cbranch_execz .LBB45_32
; %bb.31:
	v_div_scale_f64 v[110:111], null, v[108:109], v[108:109], v[106:107]
	v_div_scale_f64 v[116:117], vcc_lo, v[106:107], v[108:109], v[106:107]
	v_rcp_f64_e32 v[112:113], v[110:111]
	v_fma_f64 v[114:115], -v[110:111], v[112:113], 1.0
	v_fma_f64 v[112:113], v[112:113], v[114:115], v[112:113]
	v_fma_f64 v[114:115], -v[110:111], v[112:113], 1.0
	v_fma_f64 v[112:113], v[112:113], v[114:115], v[112:113]
	v_mul_f64 v[114:115], v[116:117], v[112:113]
	v_fma_f64 v[110:111], -v[110:111], v[114:115], v[116:117]
	v_div_fmas_f64 v[110:111], v[110:111], v[112:113], v[114:115]
	v_div_fixup_f64 v[110:111], v[110:111], v[108:109], v[106:107]
	v_fma_f64 v[106:107], v[106:107], v[110:111], v[108:109]
	v_div_scale_f64 v[108:109], null, v[106:107], v[106:107], 1.0
	v_rcp_f64_e32 v[112:113], v[108:109]
	v_fma_f64 v[114:115], -v[108:109], v[112:113], 1.0
	v_fma_f64 v[112:113], v[112:113], v[114:115], v[112:113]
	v_fma_f64 v[114:115], -v[108:109], v[112:113], 1.0
	v_fma_f64 v[112:113], v[112:113], v[114:115], v[112:113]
	v_div_scale_f64 v[114:115], vcc_lo, 1.0, v[106:107], 1.0
	v_mul_f64 v[116:117], v[114:115], v[112:113]
	v_fma_f64 v[108:109], -v[108:109], v[116:117], v[114:115]
	v_div_fmas_f64 v[108:109], v[108:109], v[112:113], v[116:117]
	v_div_fixup_f64 v[112:113], v[108:109], v[106:107], 1.0
                                        ; implicit-def: $vgpr106_vgpr107
	v_mul_f64 v[110:111], v[110:111], v[112:113]
	v_xor_b32_e32 v113, 0x80000000, v113
.LBB45_32:
	s_andn2_saveexec_b32 s1, s1
	s_cbranch_execz .LBB45_34
; %bb.33:
	v_div_scale_f64 v[110:111], null, v[106:107], v[106:107], v[108:109]
	v_div_scale_f64 v[116:117], vcc_lo, v[108:109], v[106:107], v[108:109]
	v_rcp_f64_e32 v[112:113], v[110:111]
	v_fma_f64 v[114:115], -v[110:111], v[112:113], 1.0
	v_fma_f64 v[112:113], v[112:113], v[114:115], v[112:113]
	v_fma_f64 v[114:115], -v[110:111], v[112:113], 1.0
	v_fma_f64 v[112:113], v[112:113], v[114:115], v[112:113]
	v_mul_f64 v[114:115], v[116:117], v[112:113]
	v_fma_f64 v[110:111], -v[110:111], v[114:115], v[116:117]
	v_div_fmas_f64 v[110:111], v[110:111], v[112:113], v[114:115]
	v_div_fixup_f64 v[112:113], v[110:111], v[106:107], v[108:109]
	v_fma_f64 v[106:107], v[108:109], v[112:113], v[106:107]
	v_div_scale_f64 v[108:109], null, v[106:107], v[106:107], 1.0
	v_rcp_f64_e32 v[110:111], v[108:109]
	v_fma_f64 v[114:115], -v[108:109], v[110:111], 1.0
	v_fma_f64 v[110:111], v[110:111], v[114:115], v[110:111]
	v_fma_f64 v[114:115], -v[108:109], v[110:111], 1.0
	v_fma_f64 v[110:111], v[110:111], v[114:115], v[110:111]
	v_div_scale_f64 v[114:115], vcc_lo, 1.0, v[106:107], 1.0
	v_mul_f64 v[116:117], v[114:115], v[110:111]
	v_fma_f64 v[108:109], -v[108:109], v[116:117], v[114:115]
	v_div_fmas_f64 v[108:109], v[108:109], v[110:111], v[116:117]
	v_div_fixup_f64 v[110:111], v[108:109], v[106:107], 1.0
	v_mul_f64 v[112:113], v[112:113], -v[110:111]
.LBB45_34:
	s_or_b32 exec_lo, exec_lo, s1
	ds_write2_b64 v1, v[110:111], v[112:113] offset1:1
.LBB45_35:
	s_or_b32 exec_lo, exec_lo, s2
	s_waitcnt lgkmcnt(0)
	s_barrier
	buffer_gl0_inv
	ds_read2_b64 v[106:109], v1 offset1:1
	s_mov_b32 s1, exec_lo
	v_cmpx_lt_u32_e32 3, v0
	s_cbranch_execz .LBB45_37
; %bb.36:
	s_waitcnt lgkmcnt(0)
	v_mul_f64 v[110:111], v[108:109], v[80:81]
	v_mul_f64 v[80:81], v[106:107], v[80:81]
	ds_read2_b64 v[112:115], v234 offset0:8 offset1:9
	v_fma_f64 v[110:111], v[106:107], v[78:79], -v[110:111]
	v_fma_f64 v[80:81], v[108:109], v[78:79], v[80:81]
	s_waitcnt lgkmcnt(0)
	v_mul_f64 v[78:79], v[114:115], v[80:81]
	v_fma_f64 v[78:79], v[112:113], v[110:111], -v[78:79]
	v_mul_f64 v[112:113], v[112:113], v[80:81]
	v_add_f64 v[74:75], v[74:75], -v[78:79]
	v_fma_f64 v[112:113], v[114:115], v[110:111], v[112:113]
	v_add_f64 v[76:77], v[76:77], -v[112:113]
	ds_read2_b64 v[112:115], v234 offset0:10 offset1:11
	s_waitcnt lgkmcnt(0)
	v_mul_f64 v[78:79], v[114:115], v[80:81]
	v_fma_f64 v[78:79], v[112:113], v[110:111], -v[78:79]
	v_mul_f64 v[112:113], v[112:113], v[80:81]
	v_add_f64 v[70:71], v[70:71], -v[78:79]
	v_fma_f64 v[112:113], v[114:115], v[110:111], v[112:113]
	v_add_f64 v[72:73], v[72:73], -v[112:113]
	ds_read2_b64 v[112:115], v234 offset0:12 offset1:13
	;; [unrolled: 8-line block ×18, first 2 shown]
	s_waitcnt lgkmcnt(0)
	v_mul_f64 v[78:79], v[114:115], v[80:81]
	v_fma_f64 v[78:79], v[112:113], v[110:111], -v[78:79]
	v_mul_f64 v[112:113], v[112:113], v[80:81]
	v_add_f64 v[2:3], v[2:3], -v[78:79]
	v_fma_f64 v[112:113], v[114:115], v[110:111], v[112:113]
	v_mov_b32_e32 v78, v110
	v_mov_b32_e32 v79, v111
	v_add_f64 v[4:5], v[4:5], -v[112:113]
.LBB45_37:
	s_or_b32 exec_lo, exec_lo, s1
	s_mov_b32 s2, exec_lo
	s_waitcnt lgkmcnt(0)
	s_barrier
	buffer_gl0_inv
	v_cmpx_eq_u32_e32 4, v0
	s_cbranch_execz .LBB45_44
; %bb.38:
	ds_write2_b64 v1, v[74:75], v[76:77] offset1:1
	ds_write2_b64 v234, v[70:71], v[72:73] offset0:10 offset1:11
	ds_write2_b64 v234, v[66:67], v[68:69] offset0:12 offset1:13
	;; [unrolled: 1-line block ×18, first 2 shown]
	ds_read2_b64 v[110:113], v1 offset1:1
	s_waitcnt lgkmcnt(0)
	v_cmp_neq_f64_e32 vcc_lo, 0, v[110:111]
	v_cmp_neq_f64_e64 s1, 0, v[112:113]
	s_or_b32 s1, vcc_lo, s1
	s_and_b32 exec_lo, exec_lo, s1
	s_cbranch_execz .LBB45_44
; %bb.39:
	v_cmp_ngt_f64_e64 s1, |v[110:111]|, |v[112:113]|
                                        ; implicit-def: $vgpr114_vgpr115
	s_and_saveexec_b32 s3, s1
	s_xor_b32 s1, exec_lo, s3
                                        ; implicit-def: $vgpr116_vgpr117
	s_cbranch_execz .LBB45_41
; %bb.40:
	v_div_scale_f64 v[114:115], null, v[112:113], v[112:113], v[110:111]
	v_div_scale_f64 v[120:121], vcc_lo, v[110:111], v[112:113], v[110:111]
	v_rcp_f64_e32 v[116:117], v[114:115]
	v_fma_f64 v[118:119], -v[114:115], v[116:117], 1.0
	v_fma_f64 v[116:117], v[116:117], v[118:119], v[116:117]
	v_fma_f64 v[118:119], -v[114:115], v[116:117], 1.0
	v_fma_f64 v[116:117], v[116:117], v[118:119], v[116:117]
	v_mul_f64 v[118:119], v[120:121], v[116:117]
	v_fma_f64 v[114:115], -v[114:115], v[118:119], v[120:121]
	v_div_fmas_f64 v[114:115], v[114:115], v[116:117], v[118:119]
	v_div_fixup_f64 v[114:115], v[114:115], v[112:113], v[110:111]
	v_fma_f64 v[110:111], v[110:111], v[114:115], v[112:113]
	v_div_scale_f64 v[112:113], null, v[110:111], v[110:111], 1.0
	v_rcp_f64_e32 v[116:117], v[112:113]
	v_fma_f64 v[118:119], -v[112:113], v[116:117], 1.0
	v_fma_f64 v[116:117], v[116:117], v[118:119], v[116:117]
	v_fma_f64 v[118:119], -v[112:113], v[116:117], 1.0
	v_fma_f64 v[116:117], v[116:117], v[118:119], v[116:117]
	v_div_scale_f64 v[118:119], vcc_lo, 1.0, v[110:111], 1.0
	v_mul_f64 v[120:121], v[118:119], v[116:117]
	v_fma_f64 v[112:113], -v[112:113], v[120:121], v[118:119]
	v_div_fmas_f64 v[112:113], v[112:113], v[116:117], v[120:121]
	v_div_fixup_f64 v[116:117], v[112:113], v[110:111], 1.0
                                        ; implicit-def: $vgpr110_vgpr111
	v_mul_f64 v[114:115], v[114:115], v[116:117]
	v_xor_b32_e32 v117, 0x80000000, v117
.LBB45_41:
	s_andn2_saveexec_b32 s1, s1
	s_cbranch_execz .LBB45_43
; %bb.42:
	v_div_scale_f64 v[114:115], null, v[110:111], v[110:111], v[112:113]
	v_div_scale_f64 v[120:121], vcc_lo, v[112:113], v[110:111], v[112:113]
	v_rcp_f64_e32 v[116:117], v[114:115]
	v_fma_f64 v[118:119], -v[114:115], v[116:117], 1.0
	v_fma_f64 v[116:117], v[116:117], v[118:119], v[116:117]
	v_fma_f64 v[118:119], -v[114:115], v[116:117], 1.0
	v_fma_f64 v[116:117], v[116:117], v[118:119], v[116:117]
	v_mul_f64 v[118:119], v[120:121], v[116:117]
	v_fma_f64 v[114:115], -v[114:115], v[118:119], v[120:121]
	v_div_fmas_f64 v[114:115], v[114:115], v[116:117], v[118:119]
	v_div_fixup_f64 v[116:117], v[114:115], v[110:111], v[112:113]
	v_fma_f64 v[110:111], v[112:113], v[116:117], v[110:111]
	v_div_scale_f64 v[112:113], null, v[110:111], v[110:111], 1.0
	v_rcp_f64_e32 v[114:115], v[112:113]
	v_fma_f64 v[118:119], -v[112:113], v[114:115], 1.0
	v_fma_f64 v[114:115], v[114:115], v[118:119], v[114:115]
	v_fma_f64 v[118:119], -v[112:113], v[114:115], 1.0
	v_fma_f64 v[114:115], v[114:115], v[118:119], v[114:115]
	v_div_scale_f64 v[118:119], vcc_lo, 1.0, v[110:111], 1.0
	v_mul_f64 v[120:121], v[118:119], v[114:115]
	v_fma_f64 v[112:113], -v[112:113], v[120:121], v[118:119]
	v_div_fmas_f64 v[112:113], v[112:113], v[114:115], v[120:121]
	v_div_fixup_f64 v[114:115], v[112:113], v[110:111], 1.0
	v_mul_f64 v[116:117], v[116:117], -v[114:115]
.LBB45_43:
	s_or_b32 exec_lo, exec_lo, s1
	ds_write2_b64 v1, v[114:115], v[116:117] offset1:1
.LBB45_44:
	s_or_b32 exec_lo, exec_lo, s2
	s_waitcnt lgkmcnt(0)
	s_barrier
	buffer_gl0_inv
	ds_read2_b64 v[110:113], v1 offset1:1
	s_mov_b32 s1, exec_lo
	v_cmpx_lt_u32_e32 4, v0
	s_cbranch_execz .LBB45_46
; %bb.45:
	s_waitcnt lgkmcnt(0)
	v_mul_f64 v[114:115], v[112:113], v[76:77]
	v_mul_f64 v[76:77], v[110:111], v[76:77]
	ds_read2_b64 v[116:119], v234 offset0:10 offset1:11
	v_fma_f64 v[114:115], v[110:111], v[74:75], -v[114:115]
	v_fma_f64 v[76:77], v[112:113], v[74:75], v[76:77]
	s_waitcnt lgkmcnt(0)
	v_mul_f64 v[74:75], v[118:119], v[76:77]
	v_fma_f64 v[74:75], v[116:117], v[114:115], -v[74:75]
	v_mul_f64 v[116:117], v[116:117], v[76:77]
	v_add_f64 v[70:71], v[70:71], -v[74:75]
	v_fma_f64 v[116:117], v[118:119], v[114:115], v[116:117]
	v_add_f64 v[72:73], v[72:73], -v[116:117]
	ds_read2_b64 v[116:119], v234 offset0:12 offset1:13
	s_waitcnt lgkmcnt(0)
	v_mul_f64 v[74:75], v[118:119], v[76:77]
	v_fma_f64 v[74:75], v[116:117], v[114:115], -v[74:75]
	v_mul_f64 v[116:117], v[116:117], v[76:77]
	v_add_f64 v[66:67], v[66:67], -v[74:75]
	v_fma_f64 v[116:117], v[118:119], v[114:115], v[116:117]
	v_add_f64 v[68:69], v[68:69], -v[116:117]
	ds_read2_b64 v[116:119], v234 offset0:14 offset1:15
	;; [unrolled: 8-line block ×17, first 2 shown]
	s_waitcnt lgkmcnt(0)
	v_mul_f64 v[74:75], v[118:119], v[76:77]
	v_fma_f64 v[74:75], v[116:117], v[114:115], -v[74:75]
	v_mul_f64 v[116:117], v[116:117], v[76:77]
	v_add_f64 v[2:3], v[2:3], -v[74:75]
	v_fma_f64 v[116:117], v[118:119], v[114:115], v[116:117]
	v_mov_b32_e32 v74, v114
	v_mov_b32_e32 v75, v115
	v_add_f64 v[4:5], v[4:5], -v[116:117]
.LBB45_46:
	s_or_b32 exec_lo, exec_lo, s1
	s_mov_b32 s2, exec_lo
	s_waitcnt lgkmcnt(0)
	s_barrier
	buffer_gl0_inv
	v_cmpx_eq_u32_e32 5, v0
	s_cbranch_execz .LBB45_53
; %bb.47:
	ds_write2_b64 v1, v[70:71], v[72:73] offset1:1
	ds_write2_b64 v234, v[66:67], v[68:69] offset0:12 offset1:13
	ds_write2_b64 v234, v[62:63], v[64:65] offset0:14 offset1:15
	;; [unrolled: 1-line block ×17, first 2 shown]
	ds_read2_b64 v[114:117], v1 offset1:1
	s_waitcnt lgkmcnt(0)
	v_cmp_neq_f64_e32 vcc_lo, 0, v[114:115]
	v_cmp_neq_f64_e64 s1, 0, v[116:117]
	s_or_b32 s1, vcc_lo, s1
	s_and_b32 exec_lo, exec_lo, s1
	s_cbranch_execz .LBB45_53
; %bb.48:
	v_cmp_ngt_f64_e64 s1, |v[114:115]|, |v[116:117]|
                                        ; implicit-def: $vgpr118_vgpr119
	s_and_saveexec_b32 s3, s1
	s_xor_b32 s1, exec_lo, s3
                                        ; implicit-def: $vgpr120_vgpr121
	s_cbranch_execz .LBB45_50
; %bb.49:
	v_div_scale_f64 v[118:119], null, v[116:117], v[116:117], v[114:115]
	v_div_scale_f64 v[124:125], vcc_lo, v[114:115], v[116:117], v[114:115]
	v_rcp_f64_e32 v[120:121], v[118:119]
	v_fma_f64 v[122:123], -v[118:119], v[120:121], 1.0
	v_fma_f64 v[120:121], v[120:121], v[122:123], v[120:121]
	v_fma_f64 v[122:123], -v[118:119], v[120:121], 1.0
	v_fma_f64 v[120:121], v[120:121], v[122:123], v[120:121]
	v_mul_f64 v[122:123], v[124:125], v[120:121]
	v_fma_f64 v[118:119], -v[118:119], v[122:123], v[124:125]
	v_div_fmas_f64 v[118:119], v[118:119], v[120:121], v[122:123]
	v_div_fixup_f64 v[118:119], v[118:119], v[116:117], v[114:115]
	v_fma_f64 v[114:115], v[114:115], v[118:119], v[116:117]
	v_div_scale_f64 v[116:117], null, v[114:115], v[114:115], 1.0
	v_rcp_f64_e32 v[120:121], v[116:117]
	v_fma_f64 v[122:123], -v[116:117], v[120:121], 1.0
	v_fma_f64 v[120:121], v[120:121], v[122:123], v[120:121]
	v_fma_f64 v[122:123], -v[116:117], v[120:121], 1.0
	v_fma_f64 v[120:121], v[120:121], v[122:123], v[120:121]
	v_div_scale_f64 v[122:123], vcc_lo, 1.0, v[114:115], 1.0
	v_mul_f64 v[124:125], v[122:123], v[120:121]
	v_fma_f64 v[116:117], -v[116:117], v[124:125], v[122:123]
	v_div_fmas_f64 v[116:117], v[116:117], v[120:121], v[124:125]
	v_div_fixup_f64 v[120:121], v[116:117], v[114:115], 1.0
                                        ; implicit-def: $vgpr114_vgpr115
	v_mul_f64 v[118:119], v[118:119], v[120:121]
	v_xor_b32_e32 v121, 0x80000000, v121
.LBB45_50:
	s_andn2_saveexec_b32 s1, s1
	s_cbranch_execz .LBB45_52
; %bb.51:
	v_div_scale_f64 v[118:119], null, v[114:115], v[114:115], v[116:117]
	v_div_scale_f64 v[124:125], vcc_lo, v[116:117], v[114:115], v[116:117]
	v_rcp_f64_e32 v[120:121], v[118:119]
	v_fma_f64 v[122:123], -v[118:119], v[120:121], 1.0
	v_fma_f64 v[120:121], v[120:121], v[122:123], v[120:121]
	v_fma_f64 v[122:123], -v[118:119], v[120:121], 1.0
	v_fma_f64 v[120:121], v[120:121], v[122:123], v[120:121]
	v_mul_f64 v[122:123], v[124:125], v[120:121]
	v_fma_f64 v[118:119], -v[118:119], v[122:123], v[124:125]
	v_div_fmas_f64 v[118:119], v[118:119], v[120:121], v[122:123]
	v_div_fixup_f64 v[120:121], v[118:119], v[114:115], v[116:117]
	v_fma_f64 v[114:115], v[116:117], v[120:121], v[114:115]
	v_div_scale_f64 v[116:117], null, v[114:115], v[114:115], 1.0
	v_rcp_f64_e32 v[118:119], v[116:117]
	v_fma_f64 v[122:123], -v[116:117], v[118:119], 1.0
	v_fma_f64 v[118:119], v[118:119], v[122:123], v[118:119]
	v_fma_f64 v[122:123], -v[116:117], v[118:119], 1.0
	v_fma_f64 v[118:119], v[118:119], v[122:123], v[118:119]
	v_div_scale_f64 v[122:123], vcc_lo, 1.0, v[114:115], 1.0
	v_mul_f64 v[124:125], v[122:123], v[118:119]
	v_fma_f64 v[116:117], -v[116:117], v[124:125], v[122:123]
	v_div_fmas_f64 v[116:117], v[116:117], v[118:119], v[124:125]
	v_div_fixup_f64 v[118:119], v[116:117], v[114:115], 1.0
	v_mul_f64 v[120:121], v[120:121], -v[118:119]
.LBB45_52:
	s_or_b32 exec_lo, exec_lo, s1
	ds_write2_b64 v1, v[118:119], v[120:121] offset1:1
.LBB45_53:
	s_or_b32 exec_lo, exec_lo, s2
	s_waitcnt lgkmcnt(0)
	s_barrier
	buffer_gl0_inv
	ds_read2_b64 v[114:117], v1 offset1:1
	s_mov_b32 s1, exec_lo
	v_cmpx_lt_u32_e32 5, v0
	s_cbranch_execz .LBB45_55
; %bb.54:
	s_waitcnt lgkmcnt(0)
	v_mul_f64 v[118:119], v[116:117], v[72:73]
	v_mul_f64 v[72:73], v[114:115], v[72:73]
	ds_read2_b64 v[120:123], v234 offset0:12 offset1:13
	v_fma_f64 v[118:119], v[114:115], v[70:71], -v[118:119]
	v_fma_f64 v[72:73], v[116:117], v[70:71], v[72:73]
	s_waitcnt lgkmcnt(0)
	v_mul_f64 v[70:71], v[122:123], v[72:73]
	v_fma_f64 v[70:71], v[120:121], v[118:119], -v[70:71]
	v_mul_f64 v[120:121], v[120:121], v[72:73]
	v_add_f64 v[66:67], v[66:67], -v[70:71]
	v_fma_f64 v[120:121], v[122:123], v[118:119], v[120:121]
	v_add_f64 v[68:69], v[68:69], -v[120:121]
	ds_read2_b64 v[120:123], v234 offset0:14 offset1:15
	s_waitcnt lgkmcnt(0)
	v_mul_f64 v[70:71], v[122:123], v[72:73]
	v_fma_f64 v[70:71], v[120:121], v[118:119], -v[70:71]
	v_mul_f64 v[120:121], v[120:121], v[72:73]
	v_add_f64 v[62:63], v[62:63], -v[70:71]
	v_fma_f64 v[120:121], v[122:123], v[118:119], v[120:121]
	v_add_f64 v[64:65], v[64:65], -v[120:121]
	ds_read2_b64 v[120:123], v234 offset0:16 offset1:17
	;; [unrolled: 8-line block ×16, first 2 shown]
	s_waitcnt lgkmcnt(0)
	v_mul_f64 v[70:71], v[122:123], v[72:73]
	v_fma_f64 v[70:71], v[120:121], v[118:119], -v[70:71]
	v_mul_f64 v[120:121], v[120:121], v[72:73]
	v_add_f64 v[2:3], v[2:3], -v[70:71]
	v_fma_f64 v[120:121], v[122:123], v[118:119], v[120:121]
	v_mov_b32_e32 v70, v118
	v_mov_b32_e32 v71, v119
	v_add_f64 v[4:5], v[4:5], -v[120:121]
.LBB45_55:
	s_or_b32 exec_lo, exec_lo, s1
	s_mov_b32 s2, exec_lo
	s_waitcnt lgkmcnt(0)
	s_barrier
	buffer_gl0_inv
	v_cmpx_eq_u32_e32 6, v0
	s_cbranch_execz .LBB45_62
; %bb.56:
	ds_write2_b64 v1, v[66:67], v[68:69] offset1:1
	ds_write2_b64 v234, v[62:63], v[64:65] offset0:14 offset1:15
	ds_write2_b64 v234, v[58:59], v[60:61] offset0:16 offset1:17
	;; [unrolled: 1-line block ×16, first 2 shown]
	ds_read2_b64 v[118:121], v1 offset1:1
	s_waitcnt lgkmcnt(0)
	v_cmp_neq_f64_e32 vcc_lo, 0, v[118:119]
	v_cmp_neq_f64_e64 s1, 0, v[120:121]
	s_or_b32 s1, vcc_lo, s1
	s_and_b32 exec_lo, exec_lo, s1
	s_cbranch_execz .LBB45_62
; %bb.57:
	v_cmp_ngt_f64_e64 s1, |v[118:119]|, |v[120:121]|
                                        ; implicit-def: $vgpr122_vgpr123
	s_and_saveexec_b32 s3, s1
	s_xor_b32 s1, exec_lo, s3
                                        ; implicit-def: $vgpr124_vgpr125
	s_cbranch_execz .LBB45_59
; %bb.58:
	v_div_scale_f64 v[122:123], null, v[120:121], v[120:121], v[118:119]
	v_div_scale_f64 v[128:129], vcc_lo, v[118:119], v[120:121], v[118:119]
	v_rcp_f64_e32 v[124:125], v[122:123]
	v_fma_f64 v[126:127], -v[122:123], v[124:125], 1.0
	v_fma_f64 v[124:125], v[124:125], v[126:127], v[124:125]
	v_fma_f64 v[126:127], -v[122:123], v[124:125], 1.0
	v_fma_f64 v[124:125], v[124:125], v[126:127], v[124:125]
	v_mul_f64 v[126:127], v[128:129], v[124:125]
	v_fma_f64 v[122:123], -v[122:123], v[126:127], v[128:129]
	v_div_fmas_f64 v[122:123], v[122:123], v[124:125], v[126:127]
	v_div_fixup_f64 v[122:123], v[122:123], v[120:121], v[118:119]
	v_fma_f64 v[118:119], v[118:119], v[122:123], v[120:121]
	v_div_scale_f64 v[120:121], null, v[118:119], v[118:119], 1.0
	v_rcp_f64_e32 v[124:125], v[120:121]
	v_fma_f64 v[126:127], -v[120:121], v[124:125], 1.0
	v_fma_f64 v[124:125], v[124:125], v[126:127], v[124:125]
	v_fma_f64 v[126:127], -v[120:121], v[124:125], 1.0
	v_fma_f64 v[124:125], v[124:125], v[126:127], v[124:125]
	v_div_scale_f64 v[126:127], vcc_lo, 1.0, v[118:119], 1.0
	v_mul_f64 v[128:129], v[126:127], v[124:125]
	v_fma_f64 v[120:121], -v[120:121], v[128:129], v[126:127]
	v_div_fmas_f64 v[120:121], v[120:121], v[124:125], v[128:129]
	v_div_fixup_f64 v[124:125], v[120:121], v[118:119], 1.0
                                        ; implicit-def: $vgpr118_vgpr119
	v_mul_f64 v[122:123], v[122:123], v[124:125]
	v_xor_b32_e32 v125, 0x80000000, v125
.LBB45_59:
	s_andn2_saveexec_b32 s1, s1
	s_cbranch_execz .LBB45_61
; %bb.60:
	v_div_scale_f64 v[122:123], null, v[118:119], v[118:119], v[120:121]
	v_div_scale_f64 v[128:129], vcc_lo, v[120:121], v[118:119], v[120:121]
	v_rcp_f64_e32 v[124:125], v[122:123]
	v_fma_f64 v[126:127], -v[122:123], v[124:125], 1.0
	v_fma_f64 v[124:125], v[124:125], v[126:127], v[124:125]
	v_fma_f64 v[126:127], -v[122:123], v[124:125], 1.0
	v_fma_f64 v[124:125], v[124:125], v[126:127], v[124:125]
	v_mul_f64 v[126:127], v[128:129], v[124:125]
	v_fma_f64 v[122:123], -v[122:123], v[126:127], v[128:129]
	v_div_fmas_f64 v[122:123], v[122:123], v[124:125], v[126:127]
	v_div_fixup_f64 v[124:125], v[122:123], v[118:119], v[120:121]
	v_fma_f64 v[118:119], v[120:121], v[124:125], v[118:119]
	v_div_scale_f64 v[120:121], null, v[118:119], v[118:119], 1.0
	v_rcp_f64_e32 v[122:123], v[120:121]
	v_fma_f64 v[126:127], -v[120:121], v[122:123], 1.0
	v_fma_f64 v[122:123], v[122:123], v[126:127], v[122:123]
	v_fma_f64 v[126:127], -v[120:121], v[122:123], 1.0
	v_fma_f64 v[122:123], v[122:123], v[126:127], v[122:123]
	v_div_scale_f64 v[126:127], vcc_lo, 1.0, v[118:119], 1.0
	v_mul_f64 v[128:129], v[126:127], v[122:123]
	v_fma_f64 v[120:121], -v[120:121], v[128:129], v[126:127]
	v_div_fmas_f64 v[120:121], v[120:121], v[122:123], v[128:129]
	v_div_fixup_f64 v[122:123], v[120:121], v[118:119], 1.0
	v_mul_f64 v[124:125], v[124:125], -v[122:123]
.LBB45_61:
	s_or_b32 exec_lo, exec_lo, s1
	ds_write2_b64 v1, v[122:123], v[124:125] offset1:1
.LBB45_62:
	s_or_b32 exec_lo, exec_lo, s2
	s_waitcnt lgkmcnt(0)
	s_barrier
	buffer_gl0_inv
	ds_read2_b64 v[118:121], v1 offset1:1
	s_mov_b32 s1, exec_lo
	v_cmpx_lt_u32_e32 6, v0
	s_cbranch_execz .LBB45_64
; %bb.63:
	s_waitcnt lgkmcnt(0)
	v_mul_f64 v[122:123], v[118:119], v[68:69]
	v_mul_f64 v[68:69], v[120:121], v[68:69]
	ds_read2_b64 v[124:127], v234 offset0:14 offset1:15
	v_fma_f64 v[122:123], v[120:121], v[66:67], v[122:123]
	v_fma_f64 v[66:67], v[118:119], v[66:67], -v[68:69]
	s_waitcnt lgkmcnt(0)
	v_mul_f64 v[68:69], v[126:127], v[122:123]
	v_fma_f64 v[68:69], v[124:125], v[66:67], -v[68:69]
	v_mul_f64 v[124:125], v[124:125], v[122:123]
	v_add_f64 v[62:63], v[62:63], -v[68:69]
	v_fma_f64 v[124:125], v[126:127], v[66:67], v[124:125]
	v_add_f64 v[64:65], v[64:65], -v[124:125]
	ds_read2_b64 v[124:127], v234 offset0:16 offset1:17
	s_waitcnt lgkmcnt(0)
	v_mul_f64 v[68:69], v[126:127], v[122:123]
	v_fma_f64 v[68:69], v[124:125], v[66:67], -v[68:69]
	v_mul_f64 v[124:125], v[124:125], v[122:123]
	v_add_f64 v[58:59], v[58:59], -v[68:69]
	v_fma_f64 v[124:125], v[126:127], v[66:67], v[124:125]
	v_add_f64 v[60:61], v[60:61], -v[124:125]
	ds_read2_b64 v[124:127], v234 offset0:18 offset1:19
	;; [unrolled: 8-line block ×15, first 2 shown]
	s_waitcnt lgkmcnt(0)
	v_mul_f64 v[68:69], v[126:127], v[122:123]
	v_fma_f64 v[68:69], v[124:125], v[66:67], -v[68:69]
	v_mul_f64 v[124:125], v[124:125], v[122:123]
	v_add_f64 v[2:3], v[2:3], -v[68:69]
	v_fma_f64 v[124:125], v[126:127], v[66:67], v[124:125]
	v_mov_b32_e32 v68, v122
	v_mov_b32_e32 v69, v123
	v_add_f64 v[4:5], v[4:5], -v[124:125]
.LBB45_64:
	s_or_b32 exec_lo, exec_lo, s1
	s_mov_b32 s2, exec_lo
	s_waitcnt lgkmcnt(0)
	s_barrier
	buffer_gl0_inv
	v_cmpx_eq_u32_e32 7, v0
	s_cbranch_execz .LBB45_71
; %bb.65:
	ds_write2_b64 v1, v[62:63], v[64:65] offset1:1
	ds_write2_b64 v234, v[58:59], v[60:61] offset0:16 offset1:17
	ds_write2_b64 v234, v[54:55], v[56:57] offset0:18 offset1:19
	;; [unrolled: 1-line block ×15, first 2 shown]
	ds_read2_b64 v[122:125], v1 offset1:1
	s_waitcnt lgkmcnt(0)
	v_cmp_neq_f64_e32 vcc_lo, 0, v[122:123]
	v_cmp_neq_f64_e64 s1, 0, v[124:125]
	s_or_b32 s1, vcc_lo, s1
	s_and_b32 exec_lo, exec_lo, s1
	s_cbranch_execz .LBB45_71
; %bb.66:
	v_cmp_ngt_f64_e64 s1, |v[122:123]|, |v[124:125]|
                                        ; implicit-def: $vgpr126_vgpr127
	s_and_saveexec_b32 s3, s1
	s_xor_b32 s1, exec_lo, s3
                                        ; implicit-def: $vgpr128_vgpr129
	s_cbranch_execz .LBB45_68
; %bb.67:
	v_div_scale_f64 v[126:127], null, v[124:125], v[124:125], v[122:123]
	v_div_scale_f64 v[132:133], vcc_lo, v[122:123], v[124:125], v[122:123]
	v_rcp_f64_e32 v[128:129], v[126:127]
	v_fma_f64 v[130:131], -v[126:127], v[128:129], 1.0
	v_fma_f64 v[128:129], v[128:129], v[130:131], v[128:129]
	v_fma_f64 v[130:131], -v[126:127], v[128:129], 1.0
	v_fma_f64 v[128:129], v[128:129], v[130:131], v[128:129]
	v_mul_f64 v[130:131], v[132:133], v[128:129]
	v_fma_f64 v[126:127], -v[126:127], v[130:131], v[132:133]
	v_div_fmas_f64 v[126:127], v[126:127], v[128:129], v[130:131]
	v_div_fixup_f64 v[126:127], v[126:127], v[124:125], v[122:123]
	v_fma_f64 v[122:123], v[122:123], v[126:127], v[124:125]
	v_div_scale_f64 v[124:125], null, v[122:123], v[122:123], 1.0
	v_rcp_f64_e32 v[128:129], v[124:125]
	v_fma_f64 v[130:131], -v[124:125], v[128:129], 1.0
	v_fma_f64 v[128:129], v[128:129], v[130:131], v[128:129]
	v_fma_f64 v[130:131], -v[124:125], v[128:129], 1.0
	v_fma_f64 v[128:129], v[128:129], v[130:131], v[128:129]
	v_div_scale_f64 v[130:131], vcc_lo, 1.0, v[122:123], 1.0
	v_mul_f64 v[132:133], v[130:131], v[128:129]
	v_fma_f64 v[124:125], -v[124:125], v[132:133], v[130:131]
	v_div_fmas_f64 v[124:125], v[124:125], v[128:129], v[132:133]
	v_div_fixup_f64 v[128:129], v[124:125], v[122:123], 1.0
                                        ; implicit-def: $vgpr122_vgpr123
	v_mul_f64 v[126:127], v[126:127], v[128:129]
	v_xor_b32_e32 v129, 0x80000000, v129
.LBB45_68:
	s_andn2_saveexec_b32 s1, s1
	s_cbranch_execz .LBB45_70
; %bb.69:
	v_div_scale_f64 v[126:127], null, v[122:123], v[122:123], v[124:125]
	v_div_scale_f64 v[132:133], vcc_lo, v[124:125], v[122:123], v[124:125]
	v_rcp_f64_e32 v[128:129], v[126:127]
	v_fma_f64 v[130:131], -v[126:127], v[128:129], 1.0
	v_fma_f64 v[128:129], v[128:129], v[130:131], v[128:129]
	v_fma_f64 v[130:131], -v[126:127], v[128:129], 1.0
	v_fma_f64 v[128:129], v[128:129], v[130:131], v[128:129]
	v_mul_f64 v[130:131], v[132:133], v[128:129]
	v_fma_f64 v[126:127], -v[126:127], v[130:131], v[132:133]
	v_div_fmas_f64 v[126:127], v[126:127], v[128:129], v[130:131]
	v_div_fixup_f64 v[128:129], v[126:127], v[122:123], v[124:125]
	v_fma_f64 v[122:123], v[124:125], v[128:129], v[122:123]
	v_div_scale_f64 v[124:125], null, v[122:123], v[122:123], 1.0
	v_rcp_f64_e32 v[126:127], v[124:125]
	v_fma_f64 v[130:131], -v[124:125], v[126:127], 1.0
	v_fma_f64 v[126:127], v[126:127], v[130:131], v[126:127]
	v_fma_f64 v[130:131], -v[124:125], v[126:127], 1.0
	v_fma_f64 v[126:127], v[126:127], v[130:131], v[126:127]
	v_div_scale_f64 v[130:131], vcc_lo, 1.0, v[122:123], 1.0
	v_mul_f64 v[132:133], v[130:131], v[126:127]
	v_fma_f64 v[124:125], -v[124:125], v[132:133], v[130:131]
	v_div_fmas_f64 v[124:125], v[124:125], v[126:127], v[132:133]
	v_div_fixup_f64 v[126:127], v[124:125], v[122:123], 1.0
	v_mul_f64 v[128:129], v[128:129], -v[126:127]
.LBB45_70:
	s_or_b32 exec_lo, exec_lo, s1
	ds_write2_b64 v1, v[126:127], v[128:129] offset1:1
.LBB45_71:
	s_or_b32 exec_lo, exec_lo, s2
	s_waitcnt lgkmcnt(0)
	s_barrier
	buffer_gl0_inv
	ds_read2_b64 v[122:125], v1 offset1:1
	s_mov_b32 s1, exec_lo
	v_cmpx_lt_u32_e32 7, v0
	s_cbranch_execz .LBB45_73
; %bb.72:
	s_waitcnt lgkmcnt(0)
	v_mul_f64 v[126:127], v[122:123], v[64:65]
	v_mul_f64 v[64:65], v[124:125], v[64:65]
	ds_read2_b64 v[128:131], v234 offset0:16 offset1:17
	v_fma_f64 v[126:127], v[124:125], v[62:63], v[126:127]
	v_fma_f64 v[62:63], v[122:123], v[62:63], -v[64:65]
	s_waitcnt lgkmcnt(0)
	v_mul_f64 v[64:65], v[130:131], v[126:127]
	v_fma_f64 v[64:65], v[128:129], v[62:63], -v[64:65]
	v_mul_f64 v[128:129], v[128:129], v[126:127]
	v_add_f64 v[58:59], v[58:59], -v[64:65]
	v_fma_f64 v[128:129], v[130:131], v[62:63], v[128:129]
	v_add_f64 v[60:61], v[60:61], -v[128:129]
	ds_read2_b64 v[128:131], v234 offset0:18 offset1:19
	s_waitcnt lgkmcnt(0)
	v_mul_f64 v[64:65], v[130:131], v[126:127]
	v_fma_f64 v[64:65], v[128:129], v[62:63], -v[64:65]
	v_mul_f64 v[128:129], v[128:129], v[126:127]
	v_add_f64 v[54:55], v[54:55], -v[64:65]
	v_fma_f64 v[128:129], v[130:131], v[62:63], v[128:129]
	v_add_f64 v[56:57], v[56:57], -v[128:129]
	ds_read2_b64 v[128:131], v234 offset0:20 offset1:21
	;; [unrolled: 8-line block ×14, first 2 shown]
	s_waitcnt lgkmcnt(0)
	v_mul_f64 v[64:65], v[130:131], v[126:127]
	v_fma_f64 v[64:65], v[128:129], v[62:63], -v[64:65]
	v_mul_f64 v[128:129], v[128:129], v[126:127]
	v_add_f64 v[2:3], v[2:3], -v[64:65]
	v_fma_f64 v[128:129], v[130:131], v[62:63], v[128:129]
	v_mov_b32_e32 v64, v126
	v_mov_b32_e32 v65, v127
	v_add_f64 v[4:5], v[4:5], -v[128:129]
.LBB45_73:
	s_or_b32 exec_lo, exec_lo, s1
	s_mov_b32 s2, exec_lo
	s_waitcnt lgkmcnt(0)
	s_barrier
	buffer_gl0_inv
	v_cmpx_eq_u32_e32 8, v0
	s_cbranch_execz .LBB45_80
; %bb.74:
	ds_write2_b64 v1, v[58:59], v[60:61] offset1:1
	ds_write2_b64 v234, v[54:55], v[56:57] offset0:18 offset1:19
	ds_write2_b64 v234, v[50:51], v[52:53] offset0:20 offset1:21
	;; [unrolled: 1-line block ×14, first 2 shown]
	ds_read2_b64 v[126:129], v1 offset1:1
	s_waitcnt lgkmcnt(0)
	v_cmp_neq_f64_e32 vcc_lo, 0, v[126:127]
	v_cmp_neq_f64_e64 s1, 0, v[128:129]
	s_or_b32 s1, vcc_lo, s1
	s_and_b32 exec_lo, exec_lo, s1
	s_cbranch_execz .LBB45_80
; %bb.75:
	v_cmp_ngt_f64_e64 s1, |v[126:127]|, |v[128:129]|
                                        ; implicit-def: $vgpr130_vgpr131
	s_and_saveexec_b32 s3, s1
	s_xor_b32 s1, exec_lo, s3
                                        ; implicit-def: $vgpr132_vgpr133
	s_cbranch_execz .LBB45_77
; %bb.76:
	v_div_scale_f64 v[130:131], null, v[128:129], v[128:129], v[126:127]
	v_div_scale_f64 v[136:137], vcc_lo, v[126:127], v[128:129], v[126:127]
	v_rcp_f64_e32 v[132:133], v[130:131]
	v_fma_f64 v[134:135], -v[130:131], v[132:133], 1.0
	v_fma_f64 v[132:133], v[132:133], v[134:135], v[132:133]
	v_fma_f64 v[134:135], -v[130:131], v[132:133], 1.0
	v_fma_f64 v[132:133], v[132:133], v[134:135], v[132:133]
	v_mul_f64 v[134:135], v[136:137], v[132:133]
	v_fma_f64 v[130:131], -v[130:131], v[134:135], v[136:137]
	v_div_fmas_f64 v[130:131], v[130:131], v[132:133], v[134:135]
	v_div_fixup_f64 v[130:131], v[130:131], v[128:129], v[126:127]
	v_fma_f64 v[126:127], v[126:127], v[130:131], v[128:129]
	v_div_scale_f64 v[128:129], null, v[126:127], v[126:127], 1.0
	v_rcp_f64_e32 v[132:133], v[128:129]
	v_fma_f64 v[134:135], -v[128:129], v[132:133], 1.0
	v_fma_f64 v[132:133], v[132:133], v[134:135], v[132:133]
	v_fma_f64 v[134:135], -v[128:129], v[132:133], 1.0
	v_fma_f64 v[132:133], v[132:133], v[134:135], v[132:133]
	v_div_scale_f64 v[134:135], vcc_lo, 1.0, v[126:127], 1.0
	v_mul_f64 v[136:137], v[134:135], v[132:133]
	v_fma_f64 v[128:129], -v[128:129], v[136:137], v[134:135]
	v_div_fmas_f64 v[128:129], v[128:129], v[132:133], v[136:137]
	v_div_fixup_f64 v[132:133], v[128:129], v[126:127], 1.0
                                        ; implicit-def: $vgpr126_vgpr127
	v_mul_f64 v[130:131], v[130:131], v[132:133]
	v_xor_b32_e32 v133, 0x80000000, v133
.LBB45_77:
	s_andn2_saveexec_b32 s1, s1
	s_cbranch_execz .LBB45_79
; %bb.78:
	v_div_scale_f64 v[130:131], null, v[126:127], v[126:127], v[128:129]
	v_div_scale_f64 v[136:137], vcc_lo, v[128:129], v[126:127], v[128:129]
	v_rcp_f64_e32 v[132:133], v[130:131]
	v_fma_f64 v[134:135], -v[130:131], v[132:133], 1.0
	v_fma_f64 v[132:133], v[132:133], v[134:135], v[132:133]
	v_fma_f64 v[134:135], -v[130:131], v[132:133], 1.0
	v_fma_f64 v[132:133], v[132:133], v[134:135], v[132:133]
	v_mul_f64 v[134:135], v[136:137], v[132:133]
	v_fma_f64 v[130:131], -v[130:131], v[134:135], v[136:137]
	v_div_fmas_f64 v[130:131], v[130:131], v[132:133], v[134:135]
	v_div_fixup_f64 v[132:133], v[130:131], v[126:127], v[128:129]
	v_fma_f64 v[126:127], v[128:129], v[132:133], v[126:127]
	v_div_scale_f64 v[128:129], null, v[126:127], v[126:127], 1.0
	v_rcp_f64_e32 v[130:131], v[128:129]
	v_fma_f64 v[134:135], -v[128:129], v[130:131], 1.0
	v_fma_f64 v[130:131], v[130:131], v[134:135], v[130:131]
	v_fma_f64 v[134:135], -v[128:129], v[130:131], 1.0
	v_fma_f64 v[130:131], v[130:131], v[134:135], v[130:131]
	v_div_scale_f64 v[134:135], vcc_lo, 1.0, v[126:127], 1.0
	v_mul_f64 v[136:137], v[134:135], v[130:131]
	v_fma_f64 v[128:129], -v[128:129], v[136:137], v[134:135]
	v_div_fmas_f64 v[128:129], v[128:129], v[130:131], v[136:137]
	v_div_fixup_f64 v[130:131], v[128:129], v[126:127], 1.0
	v_mul_f64 v[132:133], v[132:133], -v[130:131]
.LBB45_79:
	s_or_b32 exec_lo, exec_lo, s1
	ds_write2_b64 v1, v[130:131], v[132:133] offset1:1
.LBB45_80:
	s_or_b32 exec_lo, exec_lo, s2
	s_waitcnt lgkmcnt(0)
	s_barrier
	buffer_gl0_inv
	ds_read2_b64 v[126:129], v1 offset1:1
	s_mov_b32 s1, exec_lo
	v_cmpx_lt_u32_e32 8, v0
	s_cbranch_execz .LBB45_82
; %bb.81:
	s_waitcnt lgkmcnt(0)
	v_mul_f64 v[130:131], v[126:127], v[60:61]
	v_mul_f64 v[60:61], v[128:129], v[60:61]
	v_fma_f64 v[134:135], v[128:129], v[58:59], v[130:131]
	ds_read2_b64 v[130:133], v234 offset0:18 offset1:19
	v_fma_f64 v[58:59], v[126:127], v[58:59], -v[60:61]
	s_waitcnt lgkmcnt(0)
	v_mul_f64 v[60:61], v[132:133], v[134:135]
	v_fma_f64 v[60:61], v[130:131], v[58:59], -v[60:61]
	v_mul_f64 v[130:131], v[130:131], v[134:135]
	v_add_f64 v[54:55], v[54:55], -v[60:61]
	v_fma_f64 v[130:131], v[132:133], v[58:59], v[130:131]
	v_add_f64 v[56:57], v[56:57], -v[130:131]
	ds_read2_b64 v[130:133], v234 offset0:20 offset1:21
	s_waitcnt lgkmcnt(0)
	v_mul_f64 v[60:61], v[132:133], v[134:135]
	v_fma_f64 v[60:61], v[130:131], v[58:59], -v[60:61]
	v_mul_f64 v[130:131], v[130:131], v[134:135]
	v_add_f64 v[50:51], v[50:51], -v[60:61]
	v_fma_f64 v[130:131], v[132:133], v[58:59], v[130:131]
	v_add_f64 v[52:53], v[52:53], -v[130:131]
	ds_read2_b64 v[130:133], v234 offset0:22 offset1:23
	;; [unrolled: 8-line block ×13, first 2 shown]
	s_waitcnt lgkmcnt(0)
	v_mul_f64 v[60:61], v[132:133], v[134:135]
	v_fma_f64 v[60:61], v[130:131], v[58:59], -v[60:61]
	v_mul_f64 v[130:131], v[130:131], v[134:135]
	v_add_f64 v[2:3], v[2:3], -v[60:61]
	v_fma_f64 v[130:131], v[132:133], v[58:59], v[130:131]
	v_mov_b32_e32 v60, v134
	v_mov_b32_e32 v61, v135
	v_add_f64 v[4:5], v[4:5], -v[130:131]
.LBB45_82:
	s_or_b32 exec_lo, exec_lo, s1
	s_mov_b32 s2, exec_lo
	s_waitcnt lgkmcnt(0)
	s_barrier
	buffer_gl0_inv
	v_cmpx_eq_u32_e32 9, v0
	s_cbranch_execz .LBB45_89
; %bb.83:
	ds_write2_b64 v1, v[54:55], v[56:57] offset1:1
	ds_write2_b64 v234, v[50:51], v[52:53] offset0:20 offset1:21
	ds_write2_b64 v234, v[46:47], v[48:49] offset0:22 offset1:23
	;; [unrolled: 1-line block ×13, first 2 shown]
	ds_read2_b64 v[130:133], v1 offset1:1
	s_waitcnt lgkmcnt(0)
	v_cmp_neq_f64_e32 vcc_lo, 0, v[130:131]
	v_cmp_neq_f64_e64 s1, 0, v[132:133]
	s_or_b32 s1, vcc_lo, s1
	s_and_b32 exec_lo, exec_lo, s1
	s_cbranch_execz .LBB45_89
; %bb.84:
	v_cmp_ngt_f64_e64 s1, |v[130:131]|, |v[132:133]|
                                        ; implicit-def: $vgpr134_vgpr135
	s_and_saveexec_b32 s3, s1
	s_xor_b32 s1, exec_lo, s3
                                        ; implicit-def: $vgpr136_vgpr137
	s_cbranch_execz .LBB45_86
; %bb.85:
	v_div_scale_f64 v[134:135], null, v[132:133], v[132:133], v[130:131]
	v_div_scale_f64 v[140:141], vcc_lo, v[130:131], v[132:133], v[130:131]
	v_rcp_f64_e32 v[136:137], v[134:135]
	v_fma_f64 v[138:139], -v[134:135], v[136:137], 1.0
	v_fma_f64 v[136:137], v[136:137], v[138:139], v[136:137]
	v_fma_f64 v[138:139], -v[134:135], v[136:137], 1.0
	v_fma_f64 v[136:137], v[136:137], v[138:139], v[136:137]
	v_mul_f64 v[138:139], v[140:141], v[136:137]
	v_fma_f64 v[134:135], -v[134:135], v[138:139], v[140:141]
	v_div_fmas_f64 v[134:135], v[134:135], v[136:137], v[138:139]
	v_div_fixup_f64 v[134:135], v[134:135], v[132:133], v[130:131]
	v_fma_f64 v[130:131], v[130:131], v[134:135], v[132:133]
	v_div_scale_f64 v[132:133], null, v[130:131], v[130:131], 1.0
	v_rcp_f64_e32 v[136:137], v[132:133]
	v_fma_f64 v[138:139], -v[132:133], v[136:137], 1.0
	v_fma_f64 v[136:137], v[136:137], v[138:139], v[136:137]
	v_fma_f64 v[138:139], -v[132:133], v[136:137], 1.0
	v_fma_f64 v[136:137], v[136:137], v[138:139], v[136:137]
	v_div_scale_f64 v[138:139], vcc_lo, 1.0, v[130:131], 1.0
	v_mul_f64 v[140:141], v[138:139], v[136:137]
	v_fma_f64 v[132:133], -v[132:133], v[140:141], v[138:139]
	v_div_fmas_f64 v[132:133], v[132:133], v[136:137], v[140:141]
	v_div_fixup_f64 v[136:137], v[132:133], v[130:131], 1.0
                                        ; implicit-def: $vgpr130_vgpr131
	v_mul_f64 v[134:135], v[134:135], v[136:137]
	v_xor_b32_e32 v137, 0x80000000, v137
.LBB45_86:
	s_andn2_saveexec_b32 s1, s1
	s_cbranch_execz .LBB45_88
; %bb.87:
	v_div_scale_f64 v[134:135], null, v[130:131], v[130:131], v[132:133]
	v_div_scale_f64 v[140:141], vcc_lo, v[132:133], v[130:131], v[132:133]
	v_rcp_f64_e32 v[136:137], v[134:135]
	v_fma_f64 v[138:139], -v[134:135], v[136:137], 1.0
	v_fma_f64 v[136:137], v[136:137], v[138:139], v[136:137]
	v_fma_f64 v[138:139], -v[134:135], v[136:137], 1.0
	v_fma_f64 v[136:137], v[136:137], v[138:139], v[136:137]
	v_mul_f64 v[138:139], v[140:141], v[136:137]
	v_fma_f64 v[134:135], -v[134:135], v[138:139], v[140:141]
	v_div_fmas_f64 v[134:135], v[134:135], v[136:137], v[138:139]
	v_div_fixup_f64 v[136:137], v[134:135], v[130:131], v[132:133]
	v_fma_f64 v[130:131], v[132:133], v[136:137], v[130:131]
	v_div_scale_f64 v[132:133], null, v[130:131], v[130:131], 1.0
	v_rcp_f64_e32 v[134:135], v[132:133]
	v_fma_f64 v[138:139], -v[132:133], v[134:135], 1.0
	v_fma_f64 v[134:135], v[134:135], v[138:139], v[134:135]
	v_fma_f64 v[138:139], -v[132:133], v[134:135], 1.0
	v_fma_f64 v[134:135], v[134:135], v[138:139], v[134:135]
	v_div_scale_f64 v[138:139], vcc_lo, 1.0, v[130:131], 1.0
	v_mul_f64 v[140:141], v[138:139], v[134:135]
	v_fma_f64 v[132:133], -v[132:133], v[140:141], v[138:139]
	v_div_fmas_f64 v[132:133], v[132:133], v[134:135], v[140:141]
	v_div_fixup_f64 v[134:135], v[132:133], v[130:131], 1.0
	v_mul_f64 v[136:137], v[136:137], -v[134:135]
.LBB45_88:
	s_or_b32 exec_lo, exec_lo, s1
	ds_write2_b64 v1, v[134:135], v[136:137] offset1:1
.LBB45_89:
	s_or_b32 exec_lo, exec_lo, s2
	s_waitcnt lgkmcnt(0)
	s_barrier
	buffer_gl0_inv
	ds_read2_b64 v[130:133], v1 offset1:1
	s_mov_b32 s1, exec_lo
	v_cmpx_lt_u32_e32 9, v0
	s_cbranch_execz .LBB45_91
; %bb.90:
	s_waitcnt lgkmcnt(0)
	v_mul_f64 v[134:135], v[130:131], v[56:57]
	v_mul_f64 v[56:57], v[132:133], v[56:57]
	v_fma_f64 v[138:139], v[132:133], v[54:55], v[134:135]
	ds_read2_b64 v[134:137], v234 offset0:20 offset1:21
	v_fma_f64 v[54:55], v[130:131], v[54:55], -v[56:57]
	s_waitcnt lgkmcnt(0)
	v_mul_f64 v[56:57], v[136:137], v[138:139]
	v_fma_f64 v[56:57], v[134:135], v[54:55], -v[56:57]
	v_mul_f64 v[134:135], v[134:135], v[138:139]
	v_add_f64 v[50:51], v[50:51], -v[56:57]
	v_fma_f64 v[134:135], v[136:137], v[54:55], v[134:135]
	v_add_f64 v[52:53], v[52:53], -v[134:135]
	ds_read2_b64 v[134:137], v234 offset0:22 offset1:23
	s_waitcnt lgkmcnt(0)
	v_mul_f64 v[56:57], v[136:137], v[138:139]
	v_fma_f64 v[56:57], v[134:135], v[54:55], -v[56:57]
	v_mul_f64 v[134:135], v[134:135], v[138:139]
	v_add_f64 v[46:47], v[46:47], -v[56:57]
	v_fma_f64 v[134:135], v[136:137], v[54:55], v[134:135]
	v_add_f64 v[48:49], v[48:49], -v[134:135]
	ds_read2_b64 v[134:137], v234 offset0:24 offset1:25
	s_waitcnt lgkmcnt(0)
	v_mul_f64 v[56:57], v[136:137], v[138:139]
	v_fma_f64 v[56:57], v[134:135], v[54:55], -v[56:57]
	v_mul_f64 v[134:135], v[134:135], v[138:139]
	v_add_f64 v[42:43], v[42:43], -v[56:57]
	v_fma_f64 v[134:135], v[136:137], v[54:55], v[134:135]
	v_add_f64 v[44:45], v[44:45], -v[134:135]
	ds_read2_b64 v[134:137], v234 offset0:26 offset1:27
	s_waitcnt lgkmcnt(0)
	v_mul_f64 v[56:57], v[136:137], v[138:139]
	v_fma_f64 v[56:57], v[134:135], v[54:55], -v[56:57]
	v_mul_f64 v[134:135], v[134:135], v[138:139]
	v_add_f64 v[38:39], v[38:39], -v[56:57]
	v_fma_f64 v[134:135], v[136:137], v[54:55], v[134:135]
	v_add_f64 v[40:41], v[40:41], -v[134:135]
	ds_read2_b64 v[134:137], v234 offset0:28 offset1:29
	s_waitcnt lgkmcnt(0)
	v_mul_f64 v[56:57], v[136:137], v[138:139]
	v_fma_f64 v[56:57], v[134:135], v[54:55], -v[56:57]
	v_mul_f64 v[134:135], v[134:135], v[138:139]
	v_add_f64 v[34:35], v[34:35], -v[56:57]
	v_fma_f64 v[134:135], v[136:137], v[54:55], v[134:135]
	v_add_f64 v[36:37], v[36:37], -v[134:135]
	ds_read2_b64 v[134:137], v234 offset0:30 offset1:31
	s_waitcnt lgkmcnt(0)
	v_mul_f64 v[56:57], v[136:137], v[138:139]
	v_fma_f64 v[56:57], v[134:135], v[54:55], -v[56:57]
	v_mul_f64 v[134:135], v[134:135], v[138:139]
	v_add_f64 v[30:31], v[30:31], -v[56:57]
	v_fma_f64 v[134:135], v[136:137], v[54:55], v[134:135]
	v_add_f64 v[32:33], v[32:33], -v[134:135]
	ds_read2_b64 v[134:137], v234 offset0:32 offset1:33
	s_waitcnt lgkmcnt(0)
	v_mul_f64 v[56:57], v[136:137], v[138:139]
	v_fma_f64 v[56:57], v[134:135], v[54:55], -v[56:57]
	v_mul_f64 v[134:135], v[134:135], v[138:139]
	v_add_f64 v[26:27], v[26:27], -v[56:57]
	v_fma_f64 v[134:135], v[136:137], v[54:55], v[134:135]
	v_add_f64 v[28:29], v[28:29], -v[134:135]
	ds_read2_b64 v[134:137], v234 offset0:34 offset1:35
	s_waitcnt lgkmcnt(0)
	v_mul_f64 v[56:57], v[136:137], v[138:139]
	v_fma_f64 v[56:57], v[134:135], v[54:55], -v[56:57]
	v_mul_f64 v[134:135], v[134:135], v[138:139]
	v_add_f64 v[22:23], v[22:23], -v[56:57]
	v_fma_f64 v[134:135], v[136:137], v[54:55], v[134:135]
	v_add_f64 v[24:25], v[24:25], -v[134:135]
	ds_read2_b64 v[134:137], v234 offset0:36 offset1:37
	s_waitcnt lgkmcnt(0)
	v_mul_f64 v[56:57], v[136:137], v[138:139]
	v_fma_f64 v[56:57], v[134:135], v[54:55], -v[56:57]
	v_mul_f64 v[134:135], v[134:135], v[138:139]
	v_add_f64 v[18:19], v[18:19], -v[56:57]
	v_fma_f64 v[134:135], v[136:137], v[54:55], v[134:135]
	v_add_f64 v[20:21], v[20:21], -v[134:135]
	ds_read2_b64 v[134:137], v234 offset0:38 offset1:39
	s_waitcnt lgkmcnt(0)
	v_mul_f64 v[56:57], v[136:137], v[138:139]
	v_fma_f64 v[56:57], v[134:135], v[54:55], -v[56:57]
	v_mul_f64 v[134:135], v[134:135], v[138:139]
	v_add_f64 v[14:15], v[14:15], -v[56:57]
	v_fma_f64 v[134:135], v[136:137], v[54:55], v[134:135]
	v_add_f64 v[16:17], v[16:17], -v[134:135]
	ds_read2_b64 v[134:137], v234 offset0:40 offset1:41
	s_waitcnt lgkmcnt(0)
	v_mul_f64 v[56:57], v[136:137], v[138:139]
	v_fma_f64 v[56:57], v[134:135], v[54:55], -v[56:57]
	v_mul_f64 v[134:135], v[134:135], v[138:139]
	v_add_f64 v[10:11], v[10:11], -v[56:57]
	v_fma_f64 v[134:135], v[136:137], v[54:55], v[134:135]
	v_add_f64 v[12:13], v[12:13], -v[134:135]
	ds_read2_b64 v[134:137], v234 offset0:42 offset1:43
	s_waitcnt lgkmcnt(0)
	v_mul_f64 v[56:57], v[136:137], v[138:139]
	v_fma_f64 v[56:57], v[134:135], v[54:55], -v[56:57]
	v_mul_f64 v[134:135], v[134:135], v[138:139]
	v_add_f64 v[6:7], v[6:7], -v[56:57]
	v_fma_f64 v[134:135], v[136:137], v[54:55], v[134:135]
	v_add_f64 v[8:9], v[8:9], -v[134:135]
	ds_read2_b64 v[134:137], v234 offset0:44 offset1:45
	s_waitcnt lgkmcnt(0)
	v_mul_f64 v[56:57], v[136:137], v[138:139]
	v_fma_f64 v[56:57], v[134:135], v[54:55], -v[56:57]
	v_mul_f64 v[134:135], v[134:135], v[138:139]
	v_add_f64 v[2:3], v[2:3], -v[56:57]
	v_fma_f64 v[134:135], v[136:137], v[54:55], v[134:135]
	v_mov_b32_e32 v56, v138
	v_mov_b32_e32 v57, v139
	v_add_f64 v[4:5], v[4:5], -v[134:135]
.LBB45_91:
	s_or_b32 exec_lo, exec_lo, s1
	s_mov_b32 s2, exec_lo
	s_waitcnt lgkmcnt(0)
	s_barrier
	buffer_gl0_inv
	v_cmpx_eq_u32_e32 10, v0
	s_cbranch_execz .LBB45_98
; %bb.92:
	ds_write2_b64 v1, v[50:51], v[52:53] offset1:1
	ds_write2_b64 v234, v[46:47], v[48:49] offset0:22 offset1:23
	ds_write2_b64 v234, v[42:43], v[44:45] offset0:24 offset1:25
	;; [unrolled: 1-line block ×12, first 2 shown]
	ds_read2_b64 v[134:137], v1 offset1:1
	s_waitcnt lgkmcnt(0)
	v_cmp_neq_f64_e32 vcc_lo, 0, v[134:135]
	v_cmp_neq_f64_e64 s1, 0, v[136:137]
	s_or_b32 s1, vcc_lo, s1
	s_and_b32 exec_lo, exec_lo, s1
	s_cbranch_execz .LBB45_98
; %bb.93:
	v_cmp_ngt_f64_e64 s1, |v[134:135]|, |v[136:137]|
                                        ; implicit-def: $vgpr138_vgpr139
	s_and_saveexec_b32 s3, s1
	s_xor_b32 s1, exec_lo, s3
                                        ; implicit-def: $vgpr140_vgpr141
	s_cbranch_execz .LBB45_95
; %bb.94:
	v_div_scale_f64 v[138:139], null, v[136:137], v[136:137], v[134:135]
	v_div_scale_f64 v[144:145], vcc_lo, v[134:135], v[136:137], v[134:135]
	v_rcp_f64_e32 v[140:141], v[138:139]
	v_fma_f64 v[142:143], -v[138:139], v[140:141], 1.0
	v_fma_f64 v[140:141], v[140:141], v[142:143], v[140:141]
	v_fma_f64 v[142:143], -v[138:139], v[140:141], 1.0
	v_fma_f64 v[140:141], v[140:141], v[142:143], v[140:141]
	v_mul_f64 v[142:143], v[144:145], v[140:141]
	v_fma_f64 v[138:139], -v[138:139], v[142:143], v[144:145]
	v_div_fmas_f64 v[138:139], v[138:139], v[140:141], v[142:143]
	v_div_fixup_f64 v[138:139], v[138:139], v[136:137], v[134:135]
	v_fma_f64 v[134:135], v[134:135], v[138:139], v[136:137]
	v_div_scale_f64 v[136:137], null, v[134:135], v[134:135], 1.0
	v_rcp_f64_e32 v[140:141], v[136:137]
	v_fma_f64 v[142:143], -v[136:137], v[140:141], 1.0
	v_fma_f64 v[140:141], v[140:141], v[142:143], v[140:141]
	v_fma_f64 v[142:143], -v[136:137], v[140:141], 1.0
	v_fma_f64 v[140:141], v[140:141], v[142:143], v[140:141]
	v_div_scale_f64 v[142:143], vcc_lo, 1.0, v[134:135], 1.0
	v_mul_f64 v[144:145], v[142:143], v[140:141]
	v_fma_f64 v[136:137], -v[136:137], v[144:145], v[142:143]
	v_div_fmas_f64 v[136:137], v[136:137], v[140:141], v[144:145]
	v_div_fixup_f64 v[140:141], v[136:137], v[134:135], 1.0
                                        ; implicit-def: $vgpr134_vgpr135
	v_mul_f64 v[138:139], v[138:139], v[140:141]
	v_xor_b32_e32 v141, 0x80000000, v141
.LBB45_95:
	s_andn2_saveexec_b32 s1, s1
	s_cbranch_execz .LBB45_97
; %bb.96:
	v_div_scale_f64 v[138:139], null, v[134:135], v[134:135], v[136:137]
	v_div_scale_f64 v[144:145], vcc_lo, v[136:137], v[134:135], v[136:137]
	v_rcp_f64_e32 v[140:141], v[138:139]
	v_fma_f64 v[142:143], -v[138:139], v[140:141], 1.0
	v_fma_f64 v[140:141], v[140:141], v[142:143], v[140:141]
	v_fma_f64 v[142:143], -v[138:139], v[140:141], 1.0
	v_fma_f64 v[140:141], v[140:141], v[142:143], v[140:141]
	v_mul_f64 v[142:143], v[144:145], v[140:141]
	v_fma_f64 v[138:139], -v[138:139], v[142:143], v[144:145]
	v_div_fmas_f64 v[138:139], v[138:139], v[140:141], v[142:143]
	v_div_fixup_f64 v[140:141], v[138:139], v[134:135], v[136:137]
	v_fma_f64 v[134:135], v[136:137], v[140:141], v[134:135]
	v_div_scale_f64 v[136:137], null, v[134:135], v[134:135], 1.0
	v_rcp_f64_e32 v[138:139], v[136:137]
	v_fma_f64 v[142:143], -v[136:137], v[138:139], 1.0
	v_fma_f64 v[138:139], v[138:139], v[142:143], v[138:139]
	v_fma_f64 v[142:143], -v[136:137], v[138:139], 1.0
	v_fma_f64 v[138:139], v[138:139], v[142:143], v[138:139]
	v_div_scale_f64 v[142:143], vcc_lo, 1.0, v[134:135], 1.0
	v_mul_f64 v[144:145], v[142:143], v[138:139]
	v_fma_f64 v[136:137], -v[136:137], v[144:145], v[142:143]
	v_div_fmas_f64 v[136:137], v[136:137], v[138:139], v[144:145]
	v_div_fixup_f64 v[138:139], v[136:137], v[134:135], 1.0
	v_mul_f64 v[140:141], v[140:141], -v[138:139]
.LBB45_97:
	s_or_b32 exec_lo, exec_lo, s1
	ds_write2_b64 v1, v[138:139], v[140:141] offset1:1
.LBB45_98:
	s_or_b32 exec_lo, exec_lo, s2
	s_waitcnt lgkmcnt(0)
	s_barrier
	buffer_gl0_inv
	ds_read2_b64 v[134:137], v1 offset1:1
	s_mov_b32 s1, exec_lo
	v_cmpx_lt_u32_e32 10, v0
	s_cbranch_execz .LBB45_100
; %bb.99:
	s_waitcnt lgkmcnt(0)
	v_mul_f64 v[138:139], v[134:135], v[52:53]
	v_mul_f64 v[52:53], v[136:137], v[52:53]
	v_fma_f64 v[142:143], v[136:137], v[50:51], v[138:139]
	ds_read2_b64 v[138:141], v234 offset0:22 offset1:23
	v_fma_f64 v[50:51], v[134:135], v[50:51], -v[52:53]
	s_waitcnt lgkmcnt(0)
	v_mul_f64 v[52:53], v[140:141], v[142:143]
	v_fma_f64 v[52:53], v[138:139], v[50:51], -v[52:53]
	v_mul_f64 v[138:139], v[138:139], v[142:143]
	v_add_f64 v[46:47], v[46:47], -v[52:53]
	v_fma_f64 v[138:139], v[140:141], v[50:51], v[138:139]
	v_add_f64 v[48:49], v[48:49], -v[138:139]
	ds_read2_b64 v[138:141], v234 offset0:24 offset1:25
	s_waitcnt lgkmcnt(0)
	v_mul_f64 v[52:53], v[140:141], v[142:143]
	v_fma_f64 v[52:53], v[138:139], v[50:51], -v[52:53]
	v_mul_f64 v[138:139], v[138:139], v[142:143]
	v_add_f64 v[42:43], v[42:43], -v[52:53]
	v_fma_f64 v[138:139], v[140:141], v[50:51], v[138:139]
	v_add_f64 v[44:45], v[44:45], -v[138:139]
	ds_read2_b64 v[138:141], v234 offset0:26 offset1:27
	;; [unrolled: 8-line block ×11, first 2 shown]
	s_waitcnt lgkmcnt(0)
	v_mul_f64 v[52:53], v[140:141], v[142:143]
	v_fma_f64 v[52:53], v[138:139], v[50:51], -v[52:53]
	v_mul_f64 v[138:139], v[138:139], v[142:143]
	v_add_f64 v[2:3], v[2:3], -v[52:53]
	v_fma_f64 v[138:139], v[140:141], v[50:51], v[138:139]
	v_mov_b32_e32 v52, v142
	v_mov_b32_e32 v53, v143
	v_add_f64 v[4:5], v[4:5], -v[138:139]
.LBB45_100:
	s_or_b32 exec_lo, exec_lo, s1
	s_mov_b32 s2, exec_lo
	s_waitcnt lgkmcnt(0)
	s_barrier
	buffer_gl0_inv
	v_cmpx_eq_u32_e32 11, v0
	s_cbranch_execz .LBB45_107
; %bb.101:
	ds_write2_b64 v1, v[46:47], v[48:49] offset1:1
	ds_write2_b64 v234, v[42:43], v[44:45] offset0:24 offset1:25
	ds_write2_b64 v234, v[38:39], v[40:41] offset0:26 offset1:27
	;; [unrolled: 1-line block ×11, first 2 shown]
	ds_read2_b64 v[138:141], v1 offset1:1
	s_waitcnt lgkmcnt(0)
	v_cmp_neq_f64_e32 vcc_lo, 0, v[138:139]
	v_cmp_neq_f64_e64 s1, 0, v[140:141]
	s_or_b32 s1, vcc_lo, s1
	s_and_b32 exec_lo, exec_lo, s1
	s_cbranch_execz .LBB45_107
; %bb.102:
	v_cmp_ngt_f64_e64 s1, |v[138:139]|, |v[140:141]|
                                        ; implicit-def: $vgpr142_vgpr143
	s_and_saveexec_b32 s3, s1
	s_xor_b32 s1, exec_lo, s3
                                        ; implicit-def: $vgpr144_vgpr145
	s_cbranch_execz .LBB45_104
; %bb.103:
	v_div_scale_f64 v[142:143], null, v[140:141], v[140:141], v[138:139]
	v_div_scale_f64 v[148:149], vcc_lo, v[138:139], v[140:141], v[138:139]
	v_rcp_f64_e32 v[144:145], v[142:143]
	v_fma_f64 v[146:147], -v[142:143], v[144:145], 1.0
	v_fma_f64 v[144:145], v[144:145], v[146:147], v[144:145]
	v_fma_f64 v[146:147], -v[142:143], v[144:145], 1.0
	v_fma_f64 v[144:145], v[144:145], v[146:147], v[144:145]
	v_mul_f64 v[146:147], v[148:149], v[144:145]
	v_fma_f64 v[142:143], -v[142:143], v[146:147], v[148:149]
	v_div_fmas_f64 v[142:143], v[142:143], v[144:145], v[146:147]
	v_div_fixup_f64 v[142:143], v[142:143], v[140:141], v[138:139]
	v_fma_f64 v[138:139], v[138:139], v[142:143], v[140:141]
	v_div_scale_f64 v[140:141], null, v[138:139], v[138:139], 1.0
	v_rcp_f64_e32 v[144:145], v[140:141]
	v_fma_f64 v[146:147], -v[140:141], v[144:145], 1.0
	v_fma_f64 v[144:145], v[144:145], v[146:147], v[144:145]
	v_fma_f64 v[146:147], -v[140:141], v[144:145], 1.0
	v_fma_f64 v[144:145], v[144:145], v[146:147], v[144:145]
	v_div_scale_f64 v[146:147], vcc_lo, 1.0, v[138:139], 1.0
	v_mul_f64 v[148:149], v[146:147], v[144:145]
	v_fma_f64 v[140:141], -v[140:141], v[148:149], v[146:147]
	v_div_fmas_f64 v[140:141], v[140:141], v[144:145], v[148:149]
	v_div_fixup_f64 v[144:145], v[140:141], v[138:139], 1.0
                                        ; implicit-def: $vgpr138_vgpr139
	v_mul_f64 v[142:143], v[142:143], v[144:145]
	v_xor_b32_e32 v145, 0x80000000, v145
.LBB45_104:
	s_andn2_saveexec_b32 s1, s1
	s_cbranch_execz .LBB45_106
; %bb.105:
	v_div_scale_f64 v[142:143], null, v[138:139], v[138:139], v[140:141]
	v_div_scale_f64 v[148:149], vcc_lo, v[140:141], v[138:139], v[140:141]
	v_rcp_f64_e32 v[144:145], v[142:143]
	v_fma_f64 v[146:147], -v[142:143], v[144:145], 1.0
	v_fma_f64 v[144:145], v[144:145], v[146:147], v[144:145]
	v_fma_f64 v[146:147], -v[142:143], v[144:145], 1.0
	v_fma_f64 v[144:145], v[144:145], v[146:147], v[144:145]
	v_mul_f64 v[146:147], v[148:149], v[144:145]
	v_fma_f64 v[142:143], -v[142:143], v[146:147], v[148:149]
	v_div_fmas_f64 v[142:143], v[142:143], v[144:145], v[146:147]
	v_div_fixup_f64 v[144:145], v[142:143], v[138:139], v[140:141]
	v_fma_f64 v[138:139], v[140:141], v[144:145], v[138:139]
	v_div_scale_f64 v[140:141], null, v[138:139], v[138:139], 1.0
	v_rcp_f64_e32 v[142:143], v[140:141]
	v_fma_f64 v[146:147], -v[140:141], v[142:143], 1.0
	v_fma_f64 v[142:143], v[142:143], v[146:147], v[142:143]
	v_fma_f64 v[146:147], -v[140:141], v[142:143], 1.0
	v_fma_f64 v[142:143], v[142:143], v[146:147], v[142:143]
	v_div_scale_f64 v[146:147], vcc_lo, 1.0, v[138:139], 1.0
	v_mul_f64 v[148:149], v[146:147], v[142:143]
	v_fma_f64 v[140:141], -v[140:141], v[148:149], v[146:147]
	v_div_fmas_f64 v[140:141], v[140:141], v[142:143], v[148:149]
	v_div_fixup_f64 v[142:143], v[140:141], v[138:139], 1.0
	v_mul_f64 v[144:145], v[144:145], -v[142:143]
.LBB45_106:
	s_or_b32 exec_lo, exec_lo, s1
	ds_write2_b64 v1, v[142:143], v[144:145] offset1:1
.LBB45_107:
	s_or_b32 exec_lo, exec_lo, s2
	s_waitcnt lgkmcnt(0)
	s_barrier
	buffer_gl0_inv
	ds_read2_b64 v[138:141], v1 offset1:1
	s_mov_b32 s1, exec_lo
	v_cmpx_lt_u32_e32 11, v0
	s_cbranch_execz .LBB45_109
; %bb.108:
	s_waitcnt lgkmcnt(0)
	v_mul_f64 v[142:143], v[138:139], v[48:49]
	v_mul_f64 v[48:49], v[140:141], v[48:49]
	v_fma_f64 v[146:147], v[140:141], v[46:47], v[142:143]
	ds_read2_b64 v[142:145], v234 offset0:24 offset1:25
	v_fma_f64 v[46:47], v[138:139], v[46:47], -v[48:49]
	s_waitcnt lgkmcnt(0)
	v_mul_f64 v[48:49], v[144:145], v[146:147]
	v_fma_f64 v[48:49], v[142:143], v[46:47], -v[48:49]
	v_mul_f64 v[142:143], v[142:143], v[146:147]
	v_add_f64 v[42:43], v[42:43], -v[48:49]
	v_fma_f64 v[142:143], v[144:145], v[46:47], v[142:143]
	v_add_f64 v[44:45], v[44:45], -v[142:143]
	ds_read2_b64 v[142:145], v234 offset0:26 offset1:27
	s_waitcnt lgkmcnt(0)
	v_mul_f64 v[48:49], v[144:145], v[146:147]
	v_fma_f64 v[48:49], v[142:143], v[46:47], -v[48:49]
	v_mul_f64 v[142:143], v[142:143], v[146:147]
	v_add_f64 v[38:39], v[38:39], -v[48:49]
	v_fma_f64 v[142:143], v[144:145], v[46:47], v[142:143]
	v_add_f64 v[40:41], v[40:41], -v[142:143]
	ds_read2_b64 v[142:145], v234 offset0:28 offset1:29
	;; [unrolled: 8-line block ×10, first 2 shown]
	s_waitcnt lgkmcnt(0)
	v_mul_f64 v[48:49], v[144:145], v[146:147]
	v_fma_f64 v[48:49], v[142:143], v[46:47], -v[48:49]
	v_mul_f64 v[142:143], v[142:143], v[146:147]
	v_add_f64 v[2:3], v[2:3], -v[48:49]
	v_fma_f64 v[142:143], v[144:145], v[46:47], v[142:143]
	v_mov_b32_e32 v48, v146
	v_mov_b32_e32 v49, v147
	v_add_f64 v[4:5], v[4:5], -v[142:143]
.LBB45_109:
	s_or_b32 exec_lo, exec_lo, s1
	s_mov_b32 s2, exec_lo
	s_waitcnt lgkmcnt(0)
	s_barrier
	buffer_gl0_inv
	v_cmpx_eq_u32_e32 12, v0
	s_cbranch_execz .LBB45_116
; %bb.110:
	ds_write2_b64 v1, v[42:43], v[44:45] offset1:1
	ds_write2_b64 v234, v[38:39], v[40:41] offset0:26 offset1:27
	ds_write2_b64 v234, v[34:35], v[36:37] offset0:28 offset1:29
	;; [unrolled: 1-line block ×10, first 2 shown]
	ds_read2_b64 v[142:145], v1 offset1:1
	s_waitcnt lgkmcnt(0)
	v_cmp_neq_f64_e32 vcc_lo, 0, v[142:143]
	v_cmp_neq_f64_e64 s1, 0, v[144:145]
	s_or_b32 s1, vcc_lo, s1
	s_and_b32 exec_lo, exec_lo, s1
	s_cbranch_execz .LBB45_116
; %bb.111:
	v_cmp_ngt_f64_e64 s1, |v[142:143]|, |v[144:145]|
                                        ; implicit-def: $vgpr146_vgpr147
	s_and_saveexec_b32 s3, s1
	s_xor_b32 s1, exec_lo, s3
                                        ; implicit-def: $vgpr148_vgpr149
	s_cbranch_execz .LBB45_113
; %bb.112:
	v_div_scale_f64 v[146:147], null, v[144:145], v[144:145], v[142:143]
	v_div_scale_f64 v[152:153], vcc_lo, v[142:143], v[144:145], v[142:143]
	v_rcp_f64_e32 v[148:149], v[146:147]
	v_fma_f64 v[150:151], -v[146:147], v[148:149], 1.0
	v_fma_f64 v[148:149], v[148:149], v[150:151], v[148:149]
	v_fma_f64 v[150:151], -v[146:147], v[148:149], 1.0
	v_fma_f64 v[148:149], v[148:149], v[150:151], v[148:149]
	v_mul_f64 v[150:151], v[152:153], v[148:149]
	v_fma_f64 v[146:147], -v[146:147], v[150:151], v[152:153]
	v_div_fmas_f64 v[146:147], v[146:147], v[148:149], v[150:151]
	v_div_fixup_f64 v[146:147], v[146:147], v[144:145], v[142:143]
	v_fma_f64 v[142:143], v[142:143], v[146:147], v[144:145]
	v_div_scale_f64 v[144:145], null, v[142:143], v[142:143], 1.0
	v_rcp_f64_e32 v[148:149], v[144:145]
	v_fma_f64 v[150:151], -v[144:145], v[148:149], 1.0
	v_fma_f64 v[148:149], v[148:149], v[150:151], v[148:149]
	v_fma_f64 v[150:151], -v[144:145], v[148:149], 1.0
	v_fma_f64 v[148:149], v[148:149], v[150:151], v[148:149]
	v_div_scale_f64 v[150:151], vcc_lo, 1.0, v[142:143], 1.0
	v_mul_f64 v[152:153], v[150:151], v[148:149]
	v_fma_f64 v[144:145], -v[144:145], v[152:153], v[150:151]
	v_div_fmas_f64 v[144:145], v[144:145], v[148:149], v[152:153]
	v_div_fixup_f64 v[148:149], v[144:145], v[142:143], 1.0
                                        ; implicit-def: $vgpr142_vgpr143
	v_mul_f64 v[146:147], v[146:147], v[148:149]
	v_xor_b32_e32 v149, 0x80000000, v149
.LBB45_113:
	s_andn2_saveexec_b32 s1, s1
	s_cbranch_execz .LBB45_115
; %bb.114:
	v_div_scale_f64 v[146:147], null, v[142:143], v[142:143], v[144:145]
	v_div_scale_f64 v[152:153], vcc_lo, v[144:145], v[142:143], v[144:145]
	v_rcp_f64_e32 v[148:149], v[146:147]
	v_fma_f64 v[150:151], -v[146:147], v[148:149], 1.0
	v_fma_f64 v[148:149], v[148:149], v[150:151], v[148:149]
	v_fma_f64 v[150:151], -v[146:147], v[148:149], 1.0
	v_fma_f64 v[148:149], v[148:149], v[150:151], v[148:149]
	v_mul_f64 v[150:151], v[152:153], v[148:149]
	v_fma_f64 v[146:147], -v[146:147], v[150:151], v[152:153]
	v_div_fmas_f64 v[146:147], v[146:147], v[148:149], v[150:151]
	v_div_fixup_f64 v[148:149], v[146:147], v[142:143], v[144:145]
	v_fma_f64 v[142:143], v[144:145], v[148:149], v[142:143]
	v_div_scale_f64 v[144:145], null, v[142:143], v[142:143], 1.0
	v_rcp_f64_e32 v[146:147], v[144:145]
	v_fma_f64 v[150:151], -v[144:145], v[146:147], 1.0
	v_fma_f64 v[146:147], v[146:147], v[150:151], v[146:147]
	v_fma_f64 v[150:151], -v[144:145], v[146:147], 1.0
	v_fma_f64 v[146:147], v[146:147], v[150:151], v[146:147]
	v_div_scale_f64 v[150:151], vcc_lo, 1.0, v[142:143], 1.0
	v_mul_f64 v[152:153], v[150:151], v[146:147]
	v_fma_f64 v[144:145], -v[144:145], v[152:153], v[150:151]
	v_div_fmas_f64 v[144:145], v[144:145], v[146:147], v[152:153]
	v_div_fixup_f64 v[146:147], v[144:145], v[142:143], 1.0
	v_mul_f64 v[148:149], v[148:149], -v[146:147]
.LBB45_115:
	s_or_b32 exec_lo, exec_lo, s1
	ds_write2_b64 v1, v[146:147], v[148:149] offset1:1
.LBB45_116:
	s_or_b32 exec_lo, exec_lo, s2
	s_waitcnt lgkmcnt(0)
	s_barrier
	buffer_gl0_inv
	ds_read2_b64 v[142:145], v1 offset1:1
	s_mov_b32 s1, exec_lo
	v_cmpx_lt_u32_e32 12, v0
	s_cbranch_execz .LBB45_118
; %bb.117:
	s_waitcnt lgkmcnt(0)
	v_mul_f64 v[146:147], v[142:143], v[44:45]
	v_mul_f64 v[44:45], v[144:145], v[44:45]
	v_fma_f64 v[150:151], v[144:145], v[42:43], v[146:147]
	ds_read2_b64 v[146:149], v234 offset0:26 offset1:27
	v_fma_f64 v[42:43], v[142:143], v[42:43], -v[44:45]
	s_waitcnt lgkmcnt(0)
	v_mul_f64 v[44:45], v[148:149], v[150:151]
	v_fma_f64 v[44:45], v[146:147], v[42:43], -v[44:45]
	v_mul_f64 v[146:147], v[146:147], v[150:151]
	v_add_f64 v[38:39], v[38:39], -v[44:45]
	v_fma_f64 v[146:147], v[148:149], v[42:43], v[146:147]
	v_add_f64 v[40:41], v[40:41], -v[146:147]
	ds_read2_b64 v[146:149], v234 offset0:28 offset1:29
	s_waitcnt lgkmcnt(0)
	v_mul_f64 v[44:45], v[148:149], v[150:151]
	v_fma_f64 v[44:45], v[146:147], v[42:43], -v[44:45]
	v_mul_f64 v[146:147], v[146:147], v[150:151]
	v_add_f64 v[34:35], v[34:35], -v[44:45]
	v_fma_f64 v[146:147], v[148:149], v[42:43], v[146:147]
	v_add_f64 v[36:37], v[36:37], -v[146:147]
	ds_read2_b64 v[146:149], v234 offset0:30 offset1:31
	;; [unrolled: 8-line block ×9, first 2 shown]
	s_waitcnt lgkmcnt(0)
	v_mul_f64 v[44:45], v[148:149], v[150:151]
	v_fma_f64 v[44:45], v[146:147], v[42:43], -v[44:45]
	v_mul_f64 v[146:147], v[146:147], v[150:151]
	v_add_f64 v[2:3], v[2:3], -v[44:45]
	v_fma_f64 v[146:147], v[148:149], v[42:43], v[146:147]
	v_mov_b32_e32 v44, v150
	v_mov_b32_e32 v45, v151
	v_add_f64 v[4:5], v[4:5], -v[146:147]
.LBB45_118:
	s_or_b32 exec_lo, exec_lo, s1
	s_mov_b32 s2, exec_lo
	s_waitcnt lgkmcnt(0)
	s_barrier
	buffer_gl0_inv
	v_cmpx_eq_u32_e32 13, v0
	s_cbranch_execz .LBB45_125
; %bb.119:
	ds_write2_b64 v1, v[38:39], v[40:41] offset1:1
	ds_write2_b64 v234, v[34:35], v[36:37] offset0:28 offset1:29
	ds_write2_b64 v234, v[30:31], v[32:33] offset0:30 offset1:31
	;; [unrolled: 1-line block ×9, first 2 shown]
	ds_read2_b64 v[146:149], v1 offset1:1
	s_waitcnt lgkmcnt(0)
	v_cmp_neq_f64_e32 vcc_lo, 0, v[146:147]
	v_cmp_neq_f64_e64 s1, 0, v[148:149]
	s_or_b32 s1, vcc_lo, s1
	s_and_b32 exec_lo, exec_lo, s1
	s_cbranch_execz .LBB45_125
; %bb.120:
	v_cmp_ngt_f64_e64 s1, |v[146:147]|, |v[148:149]|
                                        ; implicit-def: $vgpr150_vgpr151
	s_and_saveexec_b32 s3, s1
	s_xor_b32 s1, exec_lo, s3
                                        ; implicit-def: $vgpr152_vgpr153
	s_cbranch_execz .LBB45_122
; %bb.121:
	v_div_scale_f64 v[150:151], null, v[148:149], v[148:149], v[146:147]
	v_div_scale_f64 v[156:157], vcc_lo, v[146:147], v[148:149], v[146:147]
	v_rcp_f64_e32 v[152:153], v[150:151]
	v_fma_f64 v[154:155], -v[150:151], v[152:153], 1.0
	v_fma_f64 v[152:153], v[152:153], v[154:155], v[152:153]
	v_fma_f64 v[154:155], -v[150:151], v[152:153], 1.0
	v_fma_f64 v[152:153], v[152:153], v[154:155], v[152:153]
	v_mul_f64 v[154:155], v[156:157], v[152:153]
	v_fma_f64 v[150:151], -v[150:151], v[154:155], v[156:157]
	v_div_fmas_f64 v[150:151], v[150:151], v[152:153], v[154:155]
	v_div_fixup_f64 v[150:151], v[150:151], v[148:149], v[146:147]
	v_fma_f64 v[146:147], v[146:147], v[150:151], v[148:149]
	v_div_scale_f64 v[148:149], null, v[146:147], v[146:147], 1.0
	v_rcp_f64_e32 v[152:153], v[148:149]
	v_fma_f64 v[154:155], -v[148:149], v[152:153], 1.0
	v_fma_f64 v[152:153], v[152:153], v[154:155], v[152:153]
	v_fma_f64 v[154:155], -v[148:149], v[152:153], 1.0
	v_fma_f64 v[152:153], v[152:153], v[154:155], v[152:153]
	v_div_scale_f64 v[154:155], vcc_lo, 1.0, v[146:147], 1.0
	v_mul_f64 v[156:157], v[154:155], v[152:153]
	v_fma_f64 v[148:149], -v[148:149], v[156:157], v[154:155]
	v_div_fmas_f64 v[148:149], v[148:149], v[152:153], v[156:157]
	v_div_fixup_f64 v[152:153], v[148:149], v[146:147], 1.0
                                        ; implicit-def: $vgpr146_vgpr147
	v_mul_f64 v[150:151], v[150:151], v[152:153]
	v_xor_b32_e32 v153, 0x80000000, v153
.LBB45_122:
	s_andn2_saveexec_b32 s1, s1
	s_cbranch_execz .LBB45_124
; %bb.123:
	v_div_scale_f64 v[150:151], null, v[146:147], v[146:147], v[148:149]
	v_div_scale_f64 v[156:157], vcc_lo, v[148:149], v[146:147], v[148:149]
	v_rcp_f64_e32 v[152:153], v[150:151]
	v_fma_f64 v[154:155], -v[150:151], v[152:153], 1.0
	v_fma_f64 v[152:153], v[152:153], v[154:155], v[152:153]
	v_fma_f64 v[154:155], -v[150:151], v[152:153], 1.0
	v_fma_f64 v[152:153], v[152:153], v[154:155], v[152:153]
	v_mul_f64 v[154:155], v[156:157], v[152:153]
	v_fma_f64 v[150:151], -v[150:151], v[154:155], v[156:157]
	v_div_fmas_f64 v[150:151], v[150:151], v[152:153], v[154:155]
	v_div_fixup_f64 v[152:153], v[150:151], v[146:147], v[148:149]
	v_fma_f64 v[146:147], v[148:149], v[152:153], v[146:147]
	v_div_scale_f64 v[148:149], null, v[146:147], v[146:147], 1.0
	v_rcp_f64_e32 v[150:151], v[148:149]
	v_fma_f64 v[154:155], -v[148:149], v[150:151], 1.0
	v_fma_f64 v[150:151], v[150:151], v[154:155], v[150:151]
	v_fma_f64 v[154:155], -v[148:149], v[150:151], 1.0
	v_fma_f64 v[150:151], v[150:151], v[154:155], v[150:151]
	v_div_scale_f64 v[154:155], vcc_lo, 1.0, v[146:147], 1.0
	v_mul_f64 v[156:157], v[154:155], v[150:151]
	v_fma_f64 v[148:149], -v[148:149], v[156:157], v[154:155]
	v_div_fmas_f64 v[148:149], v[148:149], v[150:151], v[156:157]
	v_div_fixup_f64 v[150:151], v[148:149], v[146:147], 1.0
	v_mul_f64 v[152:153], v[152:153], -v[150:151]
.LBB45_124:
	s_or_b32 exec_lo, exec_lo, s1
	ds_write2_b64 v1, v[150:151], v[152:153] offset1:1
.LBB45_125:
	s_or_b32 exec_lo, exec_lo, s2
	s_waitcnt lgkmcnt(0)
	s_barrier
	buffer_gl0_inv
	ds_read2_b64 v[146:149], v1 offset1:1
	s_mov_b32 s1, exec_lo
	v_cmpx_lt_u32_e32 13, v0
	s_cbranch_execz .LBB45_127
; %bb.126:
	s_waitcnt lgkmcnt(0)
	v_mul_f64 v[150:151], v[146:147], v[40:41]
	v_mul_f64 v[40:41], v[148:149], v[40:41]
	v_fma_f64 v[154:155], v[148:149], v[38:39], v[150:151]
	ds_read2_b64 v[150:153], v234 offset0:28 offset1:29
	v_fma_f64 v[38:39], v[146:147], v[38:39], -v[40:41]
	s_waitcnt lgkmcnt(0)
	v_mul_f64 v[40:41], v[152:153], v[154:155]
	v_fma_f64 v[40:41], v[150:151], v[38:39], -v[40:41]
	v_mul_f64 v[150:151], v[150:151], v[154:155]
	v_add_f64 v[34:35], v[34:35], -v[40:41]
	v_fma_f64 v[150:151], v[152:153], v[38:39], v[150:151]
	v_add_f64 v[36:37], v[36:37], -v[150:151]
	ds_read2_b64 v[150:153], v234 offset0:30 offset1:31
	s_waitcnt lgkmcnt(0)
	v_mul_f64 v[40:41], v[152:153], v[154:155]
	v_fma_f64 v[40:41], v[150:151], v[38:39], -v[40:41]
	v_mul_f64 v[150:151], v[150:151], v[154:155]
	v_add_f64 v[30:31], v[30:31], -v[40:41]
	v_fma_f64 v[150:151], v[152:153], v[38:39], v[150:151]
	v_add_f64 v[32:33], v[32:33], -v[150:151]
	ds_read2_b64 v[150:153], v234 offset0:32 offset1:33
	;; [unrolled: 8-line block ×8, first 2 shown]
	s_waitcnt lgkmcnt(0)
	v_mul_f64 v[40:41], v[152:153], v[154:155]
	v_fma_f64 v[40:41], v[150:151], v[38:39], -v[40:41]
	v_mul_f64 v[150:151], v[150:151], v[154:155]
	v_add_f64 v[2:3], v[2:3], -v[40:41]
	v_fma_f64 v[150:151], v[152:153], v[38:39], v[150:151]
	v_mov_b32_e32 v40, v154
	v_mov_b32_e32 v41, v155
	v_add_f64 v[4:5], v[4:5], -v[150:151]
.LBB45_127:
	s_or_b32 exec_lo, exec_lo, s1
	s_mov_b32 s2, exec_lo
	s_waitcnt lgkmcnt(0)
	s_barrier
	buffer_gl0_inv
	v_cmpx_eq_u32_e32 14, v0
	s_cbranch_execz .LBB45_134
; %bb.128:
	ds_write2_b64 v1, v[34:35], v[36:37] offset1:1
	ds_write2_b64 v234, v[30:31], v[32:33] offset0:30 offset1:31
	ds_write2_b64 v234, v[26:27], v[28:29] offset0:32 offset1:33
	;; [unrolled: 1-line block ×8, first 2 shown]
	ds_read2_b64 v[150:153], v1 offset1:1
	s_waitcnt lgkmcnt(0)
	v_cmp_neq_f64_e32 vcc_lo, 0, v[150:151]
	v_cmp_neq_f64_e64 s1, 0, v[152:153]
	s_or_b32 s1, vcc_lo, s1
	s_and_b32 exec_lo, exec_lo, s1
	s_cbranch_execz .LBB45_134
; %bb.129:
	v_cmp_ngt_f64_e64 s1, |v[150:151]|, |v[152:153]|
                                        ; implicit-def: $vgpr154_vgpr155
	s_and_saveexec_b32 s3, s1
	s_xor_b32 s1, exec_lo, s3
                                        ; implicit-def: $vgpr156_vgpr157
	s_cbranch_execz .LBB45_131
; %bb.130:
	v_div_scale_f64 v[154:155], null, v[152:153], v[152:153], v[150:151]
	v_div_scale_f64 v[160:161], vcc_lo, v[150:151], v[152:153], v[150:151]
	v_rcp_f64_e32 v[156:157], v[154:155]
	v_fma_f64 v[158:159], -v[154:155], v[156:157], 1.0
	v_fma_f64 v[156:157], v[156:157], v[158:159], v[156:157]
	v_fma_f64 v[158:159], -v[154:155], v[156:157], 1.0
	v_fma_f64 v[156:157], v[156:157], v[158:159], v[156:157]
	v_mul_f64 v[158:159], v[160:161], v[156:157]
	v_fma_f64 v[154:155], -v[154:155], v[158:159], v[160:161]
	v_div_fmas_f64 v[154:155], v[154:155], v[156:157], v[158:159]
	v_div_fixup_f64 v[154:155], v[154:155], v[152:153], v[150:151]
	v_fma_f64 v[150:151], v[150:151], v[154:155], v[152:153]
	v_div_scale_f64 v[152:153], null, v[150:151], v[150:151], 1.0
	v_rcp_f64_e32 v[156:157], v[152:153]
	v_fma_f64 v[158:159], -v[152:153], v[156:157], 1.0
	v_fma_f64 v[156:157], v[156:157], v[158:159], v[156:157]
	v_fma_f64 v[158:159], -v[152:153], v[156:157], 1.0
	v_fma_f64 v[156:157], v[156:157], v[158:159], v[156:157]
	v_div_scale_f64 v[158:159], vcc_lo, 1.0, v[150:151], 1.0
	v_mul_f64 v[160:161], v[158:159], v[156:157]
	v_fma_f64 v[152:153], -v[152:153], v[160:161], v[158:159]
	v_div_fmas_f64 v[152:153], v[152:153], v[156:157], v[160:161]
	v_div_fixup_f64 v[156:157], v[152:153], v[150:151], 1.0
                                        ; implicit-def: $vgpr150_vgpr151
	v_mul_f64 v[154:155], v[154:155], v[156:157]
	v_xor_b32_e32 v157, 0x80000000, v157
.LBB45_131:
	s_andn2_saveexec_b32 s1, s1
	s_cbranch_execz .LBB45_133
; %bb.132:
	v_div_scale_f64 v[154:155], null, v[150:151], v[150:151], v[152:153]
	v_div_scale_f64 v[160:161], vcc_lo, v[152:153], v[150:151], v[152:153]
	v_rcp_f64_e32 v[156:157], v[154:155]
	v_fma_f64 v[158:159], -v[154:155], v[156:157], 1.0
	v_fma_f64 v[156:157], v[156:157], v[158:159], v[156:157]
	v_fma_f64 v[158:159], -v[154:155], v[156:157], 1.0
	v_fma_f64 v[156:157], v[156:157], v[158:159], v[156:157]
	v_mul_f64 v[158:159], v[160:161], v[156:157]
	v_fma_f64 v[154:155], -v[154:155], v[158:159], v[160:161]
	v_div_fmas_f64 v[154:155], v[154:155], v[156:157], v[158:159]
	v_div_fixup_f64 v[156:157], v[154:155], v[150:151], v[152:153]
	v_fma_f64 v[150:151], v[152:153], v[156:157], v[150:151]
	v_div_scale_f64 v[152:153], null, v[150:151], v[150:151], 1.0
	v_rcp_f64_e32 v[154:155], v[152:153]
	v_fma_f64 v[158:159], -v[152:153], v[154:155], 1.0
	v_fma_f64 v[154:155], v[154:155], v[158:159], v[154:155]
	v_fma_f64 v[158:159], -v[152:153], v[154:155], 1.0
	v_fma_f64 v[154:155], v[154:155], v[158:159], v[154:155]
	v_div_scale_f64 v[158:159], vcc_lo, 1.0, v[150:151], 1.0
	v_mul_f64 v[160:161], v[158:159], v[154:155]
	v_fma_f64 v[152:153], -v[152:153], v[160:161], v[158:159]
	v_div_fmas_f64 v[152:153], v[152:153], v[154:155], v[160:161]
	v_div_fixup_f64 v[154:155], v[152:153], v[150:151], 1.0
	v_mul_f64 v[156:157], v[156:157], -v[154:155]
.LBB45_133:
	s_or_b32 exec_lo, exec_lo, s1
	ds_write2_b64 v1, v[154:155], v[156:157] offset1:1
.LBB45_134:
	s_or_b32 exec_lo, exec_lo, s2
	s_waitcnt lgkmcnt(0)
	s_barrier
	buffer_gl0_inv
	ds_read2_b64 v[150:153], v1 offset1:1
	s_mov_b32 s1, exec_lo
	v_cmpx_lt_u32_e32 14, v0
	s_cbranch_execz .LBB45_136
; %bb.135:
	s_waitcnt lgkmcnt(0)
	v_mul_f64 v[154:155], v[150:151], v[36:37]
	v_mul_f64 v[36:37], v[152:153], v[36:37]
	v_fma_f64 v[158:159], v[152:153], v[34:35], v[154:155]
	ds_read2_b64 v[154:157], v234 offset0:30 offset1:31
	v_fma_f64 v[34:35], v[150:151], v[34:35], -v[36:37]
	s_waitcnt lgkmcnt(0)
	v_mul_f64 v[36:37], v[156:157], v[158:159]
	v_fma_f64 v[36:37], v[154:155], v[34:35], -v[36:37]
	v_mul_f64 v[154:155], v[154:155], v[158:159]
	v_add_f64 v[30:31], v[30:31], -v[36:37]
	v_fma_f64 v[154:155], v[156:157], v[34:35], v[154:155]
	v_add_f64 v[32:33], v[32:33], -v[154:155]
	ds_read2_b64 v[154:157], v234 offset0:32 offset1:33
	s_waitcnt lgkmcnt(0)
	v_mul_f64 v[36:37], v[156:157], v[158:159]
	v_fma_f64 v[36:37], v[154:155], v[34:35], -v[36:37]
	v_mul_f64 v[154:155], v[154:155], v[158:159]
	v_add_f64 v[26:27], v[26:27], -v[36:37]
	v_fma_f64 v[154:155], v[156:157], v[34:35], v[154:155]
	v_add_f64 v[28:29], v[28:29], -v[154:155]
	ds_read2_b64 v[154:157], v234 offset0:34 offset1:35
	;; [unrolled: 8-line block ×7, first 2 shown]
	s_waitcnt lgkmcnt(0)
	v_mul_f64 v[36:37], v[156:157], v[158:159]
	v_fma_f64 v[36:37], v[154:155], v[34:35], -v[36:37]
	v_mul_f64 v[154:155], v[154:155], v[158:159]
	v_add_f64 v[2:3], v[2:3], -v[36:37]
	v_fma_f64 v[154:155], v[156:157], v[34:35], v[154:155]
	v_mov_b32_e32 v36, v158
	v_mov_b32_e32 v37, v159
	v_add_f64 v[4:5], v[4:5], -v[154:155]
.LBB45_136:
	s_or_b32 exec_lo, exec_lo, s1
	s_mov_b32 s2, exec_lo
	s_waitcnt lgkmcnt(0)
	s_barrier
	buffer_gl0_inv
	v_cmpx_eq_u32_e32 15, v0
	s_cbranch_execz .LBB45_143
; %bb.137:
	ds_write2_b64 v1, v[30:31], v[32:33] offset1:1
	ds_write2_b64 v234, v[26:27], v[28:29] offset0:32 offset1:33
	ds_write2_b64 v234, v[22:23], v[24:25] offset0:34 offset1:35
	ds_write2_b64 v234, v[18:19], v[20:21] offset0:36 offset1:37
	ds_write2_b64 v234, v[14:15], v[16:17] offset0:38 offset1:39
	ds_write2_b64 v234, v[10:11], v[12:13] offset0:40 offset1:41
	ds_write2_b64 v234, v[6:7], v[8:9] offset0:42 offset1:43
	ds_write2_b64 v234, v[2:3], v[4:5] offset0:44 offset1:45
	ds_read2_b64 v[154:157], v1 offset1:1
	s_waitcnt lgkmcnt(0)
	v_cmp_neq_f64_e32 vcc_lo, 0, v[154:155]
	v_cmp_neq_f64_e64 s1, 0, v[156:157]
	s_or_b32 s1, vcc_lo, s1
	s_and_b32 exec_lo, exec_lo, s1
	s_cbranch_execz .LBB45_143
; %bb.138:
	v_cmp_ngt_f64_e64 s1, |v[154:155]|, |v[156:157]|
                                        ; implicit-def: $vgpr158_vgpr159
	s_and_saveexec_b32 s3, s1
	s_xor_b32 s1, exec_lo, s3
                                        ; implicit-def: $vgpr160_vgpr161
	s_cbranch_execz .LBB45_140
; %bb.139:
	v_div_scale_f64 v[158:159], null, v[156:157], v[156:157], v[154:155]
	v_div_scale_f64 v[164:165], vcc_lo, v[154:155], v[156:157], v[154:155]
	v_rcp_f64_e32 v[160:161], v[158:159]
	v_fma_f64 v[162:163], -v[158:159], v[160:161], 1.0
	v_fma_f64 v[160:161], v[160:161], v[162:163], v[160:161]
	v_fma_f64 v[162:163], -v[158:159], v[160:161], 1.0
	v_fma_f64 v[160:161], v[160:161], v[162:163], v[160:161]
	v_mul_f64 v[162:163], v[164:165], v[160:161]
	v_fma_f64 v[158:159], -v[158:159], v[162:163], v[164:165]
	v_div_fmas_f64 v[158:159], v[158:159], v[160:161], v[162:163]
	v_div_fixup_f64 v[158:159], v[158:159], v[156:157], v[154:155]
	v_fma_f64 v[154:155], v[154:155], v[158:159], v[156:157]
	v_div_scale_f64 v[156:157], null, v[154:155], v[154:155], 1.0
	v_rcp_f64_e32 v[160:161], v[156:157]
	v_fma_f64 v[162:163], -v[156:157], v[160:161], 1.0
	v_fma_f64 v[160:161], v[160:161], v[162:163], v[160:161]
	v_fma_f64 v[162:163], -v[156:157], v[160:161], 1.0
	v_fma_f64 v[160:161], v[160:161], v[162:163], v[160:161]
	v_div_scale_f64 v[162:163], vcc_lo, 1.0, v[154:155], 1.0
	v_mul_f64 v[164:165], v[162:163], v[160:161]
	v_fma_f64 v[156:157], -v[156:157], v[164:165], v[162:163]
	v_div_fmas_f64 v[156:157], v[156:157], v[160:161], v[164:165]
	v_div_fixup_f64 v[160:161], v[156:157], v[154:155], 1.0
                                        ; implicit-def: $vgpr154_vgpr155
	v_mul_f64 v[158:159], v[158:159], v[160:161]
	v_xor_b32_e32 v161, 0x80000000, v161
.LBB45_140:
	s_andn2_saveexec_b32 s1, s1
	s_cbranch_execz .LBB45_142
; %bb.141:
	v_div_scale_f64 v[158:159], null, v[154:155], v[154:155], v[156:157]
	v_div_scale_f64 v[164:165], vcc_lo, v[156:157], v[154:155], v[156:157]
	v_rcp_f64_e32 v[160:161], v[158:159]
	v_fma_f64 v[162:163], -v[158:159], v[160:161], 1.0
	v_fma_f64 v[160:161], v[160:161], v[162:163], v[160:161]
	v_fma_f64 v[162:163], -v[158:159], v[160:161], 1.0
	v_fma_f64 v[160:161], v[160:161], v[162:163], v[160:161]
	v_mul_f64 v[162:163], v[164:165], v[160:161]
	v_fma_f64 v[158:159], -v[158:159], v[162:163], v[164:165]
	v_div_fmas_f64 v[158:159], v[158:159], v[160:161], v[162:163]
	v_div_fixup_f64 v[160:161], v[158:159], v[154:155], v[156:157]
	v_fma_f64 v[154:155], v[156:157], v[160:161], v[154:155]
	v_div_scale_f64 v[156:157], null, v[154:155], v[154:155], 1.0
	v_rcp_f64_e32 v[158:159], v[156:157]
	v_fma_f64 v[162:163], -v[156:157], v[158:159], 1.0
	v_fma_f64 v[158:159], v[158:159], v[162:163], v[158:159]
	v_fma_f64 v[162:163], -v[156:157], v[158:159], 1.0
	v_fma_f64 v[158:159], v[158:159], v[162:163], v[158:159]
	v_div_scale_f64 v[162:163], vcc_lo, 1.0, v[154:155], 1.0
	v_mul_f64 v[164:165], v[162:163], v[158:159]
	v_fma_f64 v[156:157], -v[156:157], v[164:165], v[162:163]
	v_div_fmas_f64 v[156:157], v[156:157], v[158:159], v[164:165]
	v_div_fixup_f64 v[158:159], v[156:157], v[154:155], 1.0
	v_mul_f64 v[160:161], v[160:161], -v[158:159]
.LBB45_142:
	s_or_b32 exec_lo, exec_lo, s1
	ds_write2_b64 v1, v[158:159], v[160:161] offset1:1
.LBB45_143:
	s_or_b32 exec_lo, exec_lo, s2
	s_waitcnt lgkmcnt(0)
	s_barrier
	buffer_gl0_inv
	ds_read2_b64 v[154:157], v1 offset1:1
	s_mov_b32 s1, exec_lo
	v_cmpx_lt_u32_e32 15, v0
	s_cbranch_execz .LBB45_145
; %bb.144:
	s_waitcnt lgkmcnt(0)
	v_mul_f64 v[158:159], v[154:155], v[32:33]
	v_mul_f64 v[32:33], v[156:157], v[32:33]
	v_fma_f64 v[162:163], v[156:157], v[30:31], v[158:159]
	ds_read2_b64 v[158:161], v234 offset0:32 offset1:33
	v_fma_f64 v[30:31], v[154:155], v[30:31], -v[32:33]
	s_waitcnt lgkmcnt(0)
	v_mul_f64 v[32:33], v[160:161], v[162:163]
	v_fma_f64 v[32:33], v[158:159], v[30:31], -v[32:33]
	v_mul_f64 v[158:159], v[158:159], v[162:163]
	v_add_f64 v[26:27], v[26:27], -v[32:33]
	v_fma_f64 v[158:159], v[160:161], v[30:31], v[158:159]
	v_add_f64 v[28:29], v[28:29], -v[158:159]
	ds_read2_b64 v[158:161], v234 offset0:34 offset1:35
	s_waitcnt lgkmcnt(0)
	v_mul_f64 v[32:33], v[160:161], v[162:163]
	v_fma_f64 v[32:33], v[158:159], v[30:31], -v[32:33]
	v_mul_f64 v[158:159], v[158:159], v[162:163]
	v_add_f64 v[22:23], v[22:23], -v[32:33]
	v_fma_f64 v[158:159], v[160:161], v[30:31], v[158:159]
	v_add_f64 v[24:25], v[24:25], -v[158:159]
	ds_read2_b64 v[158:161], v234 offset0:36 offset1:37
	;; [unrolled: 8-line block ×6, first 2 shown]
	s_waitcnt lgkmcnt(0)
	v_mul_f64 v[32:33], v[160:161], v[162:163]
	v_fma_f64 v[32:33], v[158:159], v[30:31], -v[32:33]
	v_mul_f64 v[158:159], v[158:159], v[162:163]
	v_add_f64 v[2:3], v[2:3], -v[32:33]
	v_fma_f64 v[158:159], v[160:161], v[30:31], v[158:159]
	v_mov_b32_e32 v32, v162
	v_mov_b32_e32 v33, v163
	v_add_f64 v[4:5], v[4:5], -v[158:159]
.LBB45_145:
	s_or_b32 exec_lo, exec_lo, s1
	s_mov_b32 s2, exec_lo
	s_waitcnt lgkmcnt(0)
	s_barrier
	buffer_gl0_inv
	v_cmpx_eq_u32_e32 16, v0
	s_cbranch_execz .LBB45_152
; %bb.146:
	ds_write2_b64 v1, v[26:27], v[28:29] offset1:1
	ds_write2_b64 v234, v[22:23], v[24:25] offset0:34 offset1:35
	ds_write2_b64 v234, v[18:19], v[20:21] offset0:36 offset1:37
	;; [unrolled: 1-line block ×6, first 2 shown]
	ds_read2_b64 v[158:161], v1 offset1:1
	s_waitcnt lgkmcnt(0)
	v_cmp_neq_f64_e32 vcc_lo, 0, v[158:159]
	v_cmp_neq_f64_e64 s1, 0, v[160:161]
	s_or_b32 s1, vcc_lo, s1
	s_and_b32 exec_lo, exec_lo, s1
	s_cbranch_execz .LBB45_152
; %bb.147:
	v_cmp_ngt_f64_e64 s1, |v[158:159]|, |v[160:161]|
                                        ; implicit-def: $vgpr162_vgpr163
	s_and_saveexec_b32 s3, s1
	s_xor_b32 s1, exec_lo, s3
                                        ; implicit-def: $vgpr164_vgpr165
	s_cbranch_execz .LBB45_149
; %bb.148:
	v_div_scale_f64 v[162:163], null, v[160:161], v[160:161], v[158:159]
	v_div_scale_f64 v[168:169], vcc_lo, v[158:159], v[160:161], v[158:159]
	v_rcp_f64_e32 v[164:165], v[162:163]
	v_fma_f64 v[166:167], -v[162:163], v[164:165], 1.0
	v_fma_f64 v[164:165], v[164:165], v[166:167], v[164:165]
	v_fma_f64 v[166:167], -v[162:163], v[164:165], 1.0
	v_fma_f64 v[164:165], v[164:165], v[166:167], v[164:165]
	v_mul_f64 v[166:167], v[168:169], v[164:165]
	v_fma_f64 v[162:163], -v[162:163], v[166:167], v[168:169]
	v_div_fmas_f64 v[162:163], v[162:163], v[164:165], v[166:167]
	v_div_fixup_f64 v[162:163], v[162:163], v[160:161], v[158:159]
	v_fma_f64 v[158:159], v[158:159], v[162:163], v[160:161]
	v_div_scale_f64 v[160:161], null, v[158:159], v[158:159], 1.0
	v_rcp_f64_e32 v[164:165], v[160:161]
	v_fma_f64 v[166:167], -v[160:161], v[164:165], 1.0
	v_fma_f64 v[164:165], v[164:165], v[166:167], v[164:165]
	v_fma_f64 v[166:167], -v[160:161], v[164:165], 1.0
	v_fma_f64 v[164:165], v[164:165], v[166:167], v[164:165]
	v_div_scale_f64 v[166:167], vcc_lo, 1.0, v[158:159], 1.0
	v_mul_f64 v[168:169], v[166:167], v[164:165]
	v_fma_f64 v[160:161], -v[160:161], v[168:169], v[166:167]
	v_div_fmas_f64 v[160:161], v[160:161], v[164:165], v[168:169]
	v_div_fixup_f64 v[164:165], v[160:161], v[158:159], 1.0
                                        ; implicit-def: $vgpr158_vgpr159
	v_mul_f64 v[162:163], v[162:163], v[164:165]
	v_xor_b32_e32 v165, 0x80000000, v165
.LBB45_149:
	s_andn2_saveexec_b32 s1, s1
	s_cbranch_execz .LBB45_151
; %bb.150:
	v_div_scale_f64 v[162:163], null, v[158:159], v[158:159], v[160:161]
	v_div_scale_f64 v[168:169], vcc_lo, v[160:161], v[158:159], v[160:161]
	v_rcp_f64_e32 v[164:165], v[162:163]
	v_fma_f64 v[166:167], -v[162:163], v[164:165], 1.0
	v_fma_f64 v[164:165], v[164:165], v[166:167], v[164:165]
	v_fma_f64 v[166:167], -v[162:163], v[164:165], 1.0
	v_fma_f64 v[164:165], v[164:165], v[166:167], v[164:165]
	v_mul_f64 v[166:167], v[168:169], v[164:165]
	v_fma_f64 v[162:163], -v[162:163], v[166:167], v[168:169]
	v_div_fmas_f64 v[162:163], v[162:163], v[164:165], v[166:167]
	v_div_fixup_f64 v[164:165], v[162:163], v[158:159], v[160:161]
	v_fma_f64 v[158:159], v[160:161], v[164:165], v[158:159]
	v_div_scale_f64 v[160:161], null, v[158:159], v[158:159], 1.0
	v_rcp_f64_e32 v[162:163], v[160:161]
	v_fma_f64 v[166:167], -v[160:161], v[162:163], 1.0
	v_fma_f64 v[162:163], v[162:163], v[166:167], v[162:163]
	v_fma_f64 v[166:167], -v[160:161], v[162:163], 1.0
	v_fma_f64 v[162:163], v[162:163], v[166:167], v[162:163]
	v_div_scale_f64 v[166:167], vcc_lo, 1.0, v[158:159], 1.0
	v_mul_f64 v[168:169], v[166:167], v[162:163]
	v_fma_f64 v[160:161], -v[160:161], v[168:169], v[166:167]
	v_div_fmas_f64 v[160:161], v[160:161], v[162:163], v[168:169]
	v_div_fixup_f64 v[162:163], v[160:161], v[158:159], 1.0
	v_mul_f64 v[164:165], v[164:165], -v[162:163]
.LBB45_151:
	s_or_b32 exec_lo, exec_lo, s1
	ds_write2_b64 v1, v[162:163], v[164:165] offset1:1
.LBB45_152:
	s_or_b32 exec_lo, exec_lo, s2
	s_waitcnt lgkmcnt(0)
	s_barrier
	buffer_gl0_inv
	ds_read2_b64 v[158:161], v1 offset1:1
	s_mov_b32 s1, exec_lo
	v_cmpx_lt_u32_e32 16, v0
	s_cbranch_execz .LBB45_154
; %bb.153:
	s_waitcnt lgkmcnt(0)
	v_mul_f64 v[162:163], v[158:159], v[28:29]
	v_mul_f64 v[28:29], v[160:161], v[28:29]
	v_fma_f64 v[166:167], v[160:161], v[26:27], v[162:163]
	ds_read2_b64 v[162:165], v234 offset0:34 offset1:35
	v_fma_f64 v[26:27], v[158:159], v[26:27], -v[28:29]
	s_waitcnt lgkmcnt(0)
	v_mul_f64 v[28:29], v[164:165], v[166:167]
	v_fma_f64 v[28:29], v[162:163], v[26:27], -v[28:29]
	v_mul_f64 v[162:163], v[162:163], v[166:167]
	v_add_f64 v[22:23], v[22:23], -v[28:29]
	v_fma_f64 v[162:163], v[164:165], v[26:27], v[162:163]
	v_add_f64 v[24:25], v[24:25], -v[162:163]
	ds_read2_b64 v[162:165], v234 offset0:36 offset1:37
	s_waitcnt lgkmcnt(0)
	v_mul_f64 v[28:29], v[164:165], v[166:167]
	v_fma_f64 v[28:29], v[162:163], v[26:27], -v[28:29]
	v_mul_f64 v[162:163], v[162:163], v[166:167]
	v_add_f64 v[18:19], v[18:19], -v[28:29]
	v_fma_f64 v[162:163], v[164:165], v[26:27], v[162:163]
	v_add_f64 v[20:21], v[20:21], -v[162:163]
	ds_read2_b64 v[162:165], v234 offset0:38 offset1:39
	;; [unrolled: 8-line block ×5, first 2 shown]
	s_waitcnt lgkmcnt(0)
	v_mul_f64 v[28:29], v[164:165], v[166:167]
	v_fma_f64 v[28:29], v[162:163], v[26:27], -v[28:29]
	v_mul_f64 v[162:163], v[162:163], v[166:167]
	v_add_f64 v[2:3], v[2:3], -v[28:29]
	v_fma_f64 v[162:163], v[164:165], v[26:27], v[162:163]
	v_mov_b32_e32 v28, v166
	v_mov_b32_e32 v29, v167
	v_add_f64 v[4:5], v[4:5], -v[162:163]
.LBB45_154:
	s_or_b32 exec_lo, exec_lo, s1
	s_mov_b32 s2, exec_lo
	s_waitcnt lgkmcnt(0)
	s_barrier
	buffer_gl0_inv
	v_cmpx_eq_u32_e32 17, v0
	s_cbranch_execz .LBB45_161
; %bb.155:
	ds_write2_b64 v1, v[22:23], v[24:25] offset1:1
	ds_write2_b64 v234, v[18:19], v[20:21] offset0:36 offset1:37
	ds_write2_b64 v234, v[14:15], v[16:17] offset0:38 offset1:39
	;; [unrolled: 1-line block ×5, first 2 shown]
	ds_read2_b64 v[162:165], v1 offset1:1
	s_waitcnt lgkmcnt(0)
	v_cmp_neq_f64_e32 vcc_lo, 0, v[162:163]
	v_cmp_neq_f64_e64 s1, 0, v[164:165]
	s_or_b32 s1, vcc_lo, s1
	s_and_b32 exec_lo, exec_lo, s1
	s_cbranch_execz .LBB45_161
; %bb.156:
	v_cmp_ngt_f64_e64 s1, |v[162:163]|, |v[164:165]|
                                        ; implicit-def: $vgpr166_vgpr167
	s_and_saveexec_b32 s3, s1
	s_xor_b32 s1, exec_lo, s3
                                        ; implicit-def: $vgpr168_vgpr169
	s_cbranch_execz .LBB45_158
; %bb.157:
	v_div_scale_f64 v[166:167], null, v[164:165], v[164:165], v[162:163]
	v_div_scale_f64 v[172:173], vcc_lo, v[162:163], v[164:165], v[162:163]
	v_rcp_f64_e32 v[168:169], v[166:167]
	v_fma_f64 v[170:171], -v[166:167], v[168:169], 1.0
	v_fma_f64 v[168:169], v[168:169], v[170:171], v[168:169]
	v_fma_f64 v[170:171], -v[166:167], v[168:169], 1.0
	v_fma_f64 v[168:169], v[168:169], v[170:171], v[168:169]
	v_mul_f64 v[170:171], v[172:173], v[168:169]
	v_fma_f64 v[166:167], -v[166:167], v[170:171], v[172:173]
	v_div_fmas_f64 v[166:167], v[166:167], v[168:169], v[170:171]
	v_div_fixup_f64 v[166:167], v[166:167], v[164:165], v[162:163]
	v_fma_f64 v[162:163], v[162:163], v[166:167], v[164:165]
	v_div_scale_f64 v[164:165], null, v[162:163], v[162:163], 1.0
	v_rcp_f64_e32 v[168:169], v[164:165]
	v_fma_f64 v[170:171], -v[164:165], v[168:169], 1.0
	v_fma_f64 v[168:169], v[168:169], v[170:171], v[168:169]
	v_fma_f64 v[170:171], -v[164:165], v[168:169], 1.0
	v_fma_f64 v[168:169], v[168:169], v[170:171], v[168:169]
	v_div_scale_f64 v[170:171], vcc_lo, 1.0, v[162:163], 1.0
	v_mul_f64 v[172:173], v[170:171], v[168:169]
	v_fma_f64 v[164:165], -v[164:165], v[172:173], v[170:171]
	v_div_fmas_f64 v[164:165], v[164:165], v[168:169], v[172:173]
	v_div_fixup_f64 v[168:169], v[164:165], v[162:163], 1.0
                                        ; implicit-def: $vgpr162_vgpr163
	v_mul_f64 v[166:167], v[166:167], v[168:169]
	v_xor_b32_e32 v169, 0x80000000, v169
.LBB45_158:
	s_andn2_saveexec_b32 s1, s1
	s_cbranch_execz .LBB45_160
; %bb.159:
	v_div_scale_f64 v[166:167], null, v[162:163], v[162:163], v[164:165]
	v_div_scale_f64 v[172:173], vcc_lo, v[164:165], v[162:163], v[164:165]
	v_rcp_f64_e32 v[168:169], v[166:167]
	v_fma_f64 v[170:171], -v[166:167], v[168:169], 1.0
	v_fma_f64 v[168:169], v[168:169], v[170:171], v[168:169]
	v_fma_f64 v[170:171], -v[166:167], v[168:169], 1.0
	v_fma_f64 v[168:169], v[168:169], v[170:171], v[168:169]
	v_mul_f64 v[170:171], v[172:173], v[168:169]
	v_fma_f64 v[166:167], -v[166:167], v[170:171], v[172:173]
	v_div_fmas_f64 v[166:167], v[166:167], v[168:169], v[170:171]
	v_div_fixup_f64 v[168:169], v[166:167], v[162:163], v[164:165]
	v_fma_f64 v[162:163], v[164:165], v[168:169], v[162:163]
	v_div_scale_f64 v[164:165], null, v[162:163], v[162:163], 1.0
	v_rcp_f64_e32 v[166:167], v[164:165]
	v_fma_f64 v[170:171], -v[164:165], v[166:167], 1.0
	v_fma_f64 v[166:167], v[166:167], v[170:171], v[166:167]
	v_fma_f64 v[170:171], -v[164:165], v[166:167], 1.0
	v_fma_f64 v[166:167], v[166:167], v[170:171], v[166:167]
	v_div_scale_f64 v[170:171], vcc_lo, 1.0, v[162:163], 1.0
	v_mul_f64 v[172:173], v[170:171], v[166:167]
	v_fma_f64 v[164:165], -v[164:165], v[172:173], v[170:171]
	v_div_fmas_f64 v[164:165], v[164:165], v[166:167], v[172:173]
	v_div_fixup_f64 v[166:167], v[164:165], v[162:163], 1.0
	v_mul_f64 v[168:169], v[168:169], -v[166:167]
.LBB45_160:
	s_or_b32 exec_lo, exec_lo, s1
	ds_write2_b64 v1, v[166:167], v[168:169] offset1:1
.LBB45_161:
	s_or_b32 exec_lo, exec_lo, s2
	s_waitcnt lgkmcnt(0)
	s_barrier
	buffer_gl0_inv
	ds_read2_b64 v[162:165], v1 offset1:1
	s_mov_b32 s1, exec_lo
	v_cmpx_lt_u32_e32 17, v0
	s_cbranch_execz .LBB45_163
; %bb.162:
	s_waitcnt lgkmcnt(0)
	v_mul_f64 v[166:167], v[162:163], v[24:25]
	v_mul_f64 v[24:25], v[164:165], v[24:25]
	v_fma_f64 v[170:171], v[164:165], v[22:23], v[166:167]
	ds_read2_b64 v[166:169], v234 offset0:36 offset1:37
	v_fma_f64 v[22:23], v[162:163], v[22:23], -v[24:25]
	s_waitcnt lgkmcnt(0)
	v_mul_f64 v[24:25], v[168:169], v[170:171]
	v_fma_f64 v[24:25], v[166:167], v[22:23], -v[24:25]
	v_mul_f64 v[166:167], v[166:167], v[170:171]
	v_add_f64 v[18:19], v[18:19], -v[24:25]
	v_fma_f64 v[166:167], v[168:169], v[22:23], v[166:167]
	v_add_f64 v[20:21], v[20:21], -v[166:167]
	ds_read2_b64 v[166:169], v234 offset0:38 offset1:39
	s_waitcnt lgkmcnt(0)
	v_mul_f64 v[24:25], v[168:169], v[170:171]
	v_fma_f64 v[24:25], v[166:167], v[22:23], -v[24:25]
	v_mul_f64 v[166:167], v[166:167], v[170:171]
	v_add_f64 v[14:15], v[14:15], -v[24:25]
	v_fma_f64 v[166:167], v[168:169], v[22:23], v[166:167]
	v_add_f64 v[16:17], v[16:17], -v[166:167]
	ds_read2_b64 v[166:169], v234 offset0:40 offset1:41
	;; [unrolled: 8-line block ×4, first 2 shown]
	s_waitcnt lgkmcnt(0)
	v_mul_f64 v[24:25], v[168:169], v[170:171]
	v_fma_f64 v[24:25], v[166:167], v[22:23], -v[24:25]
	v_mul_f64 v[166:167], v[166:167], v[170:171]
	v_add_f64 v[2:3], v[2:3], -v[24:25]
	v_fma_f64 v[166:167], v[168:169], v[22:23], v[166:167]
	v_mov_b32_e32 v24, v170
	v_mov_b32_e32 v25, v171
	v_add_f64 v[4:5], v[4:5], -v[166:167]
.LBB45_163:
	s_or_b32 exec_lo, exec_lo, s1
	s_mov_b32 s2, exec_lo
	s_waitcnt lgkmcnt(0)
	s_barrier
	buffer_gl0_inv
	v_cmpx_eq_u32_e32 18, v0
	s_cbranch_execz .LBB45_170
; %bb.164:
	ds_write2_b64 v1, v[18:19], v[20:21] offset1:1
	ds_write2_b64 v234, v[14:15], v[16:17] offset0:38 offset1:39
	ds_write2_b64 v234, v[10:11], v[12:13] offset0:40 offset1:41
	;; [unrolled: 1-line block ×4, first 2 shown]
	ds_read2_b64 v[166:169], v1 offset1:1
	s_waitcnt lgkmcnt(0)
	v_cmp_neq_f64_e32 vcc_lo, 0, v[166:167]
	v_cmp_neq_f64_e64 s1, 0, v[168:169]
	s_or_b32 s1, vcc_lo, s1
	s_and_b32 exec_lo, exec_lo, s1
	s_cbranch_execz .LBB45_170
; %bb.165:
	v_cmp_ngt_f64_e64 s1, |v[166:167]|, |v[168:169]|
                                        ; implicit-def: $vgpr170_vgpr171
	s_and_saveexec_b32 s3, s1
	s_xor_b32 s1, exec_lo, s3
                                        ; implicit-def: $vgpr172_vgpr173
	s_cbranch_execz .LBB45_167
; %bb.166:
	v_div_scale_f64 v[170:171], null, v[168:169], v[168:169], v[166:167]
	v_div_scale_f64 v[176:177], vcc_lo, v[166:167], v[168:169], v[166:167]
	v_rcp_f64_e32 v[172:173], v[170:171]
	v_fma_f64 v[174:175], -v[170:171], v[172:173], 1.0
	v_fma_f64 v[172:173], v[172:173], v[174:175], v[172:173]
	v_fma_f64 v[174:175], -v[170:171], v[172:173], 1.0
	v_fma_f64 v[172:173], v[172:173], v[174:175], v[172:173]
	v_mul_f64 v[174:175], v[176:177], v[172:173]
	v_fma_f64 v[170:171], -v[170:171], v[174:175], v[176:177]
	v_div_fmas_f64 v[170:171], v[170:171], v[172:173], v[174:175]
	v_div_fixup_f64 v[170:171], v[170:171], v[168:169], v[166:167]
	v_fma_f64 v[166:167], v[166:167], v[170:171], v[168:169]
	v_div_scale_f64 v[168:169], null, v[166:167], v[166:167], 1.0
	v_rcp_f64_e32 v[172:173], v[168:169]
	v_fma_f64 v[174:175], -v[168:169], v[172:173], 1.0
	v_fma_f64 v[172:173], v[172:173], v[174:175], v[172:173]
	v_fma_f64 v[174:175], -v[168:169], v[172:173], 1.0
	v_fma_f64 v[172:173], v[172:173], v[174:175], v[172:173]
	v_div_scale_f64 v[174:175], vcc_lo, 1.0, v[166:167], 1.0
	v_mul_f64 v[176:177], v[174:175], v[172:173]
	v_fma_f64 v[168:169], -v[168:169], v[176:177], v[174:175]
	v_div_fmas_f64 v[168:169], v[168:169], v[172:173], v[176:177]
	v_div_fixup_f64 v[172:173], v[168:169], v[166:167], 1.0
                                        ; implicit-def: $vgpr166_vgpr167
	v_mul_f64 v[170:171], v[170:171], v[172:173]
	v_xor_b32_e32 v173, 0x80000000, v173
.LBB45_167:
	s_andn2_saveexec_b32 s1, s1
	s_cbranch_execz .LBB45_169
; %bb.168:
	v_div_scale_f64 v[170:171], null, v[166:167], v[166:167], v[168:169]
	v_div_scale_f64 v[176:177], vcc_lo, v[168:169], v[166:167], v[168:169]
	v_rcp_f64_e32 v[172:173], v[170:171]
	v_fma_f64 v[174:175], -v[170:171], v[172:173], 1.0
	v_fma_f64 v[172:173], v[172:173], v[174:175], v[172:173]
	v_fma_f64 v[174:175], -v[170:171], v[172:173], 1.0
	v_fma_f64 v[172:173], v[172:173], v[174:175], v[172:173]
	v_mul_f64 v[174:175], v[176:177], v[172:173]
	v_fma_f64 v[170:171], -v[170:171], v[174:175], v[176:177]
	v_div_fmas_f64 v[170:171], v[170:171], v[172:173], v[174:175]
	v_div_fixup_f64 v[172:173], v[170:171], v[166:167], v[168:169]
	v_fma_f64 v[166:167], v[168:169], v[172:173], v[166:167]
	v_div_scale_f64 v[168:169], null, v[166:167], v[166:167], 1.0
	v_rcp_f64_e32 v[170:171], v[168:169]
	v_fma_f64 v[174:175], -v[168:169], v[170:171], 1.0
	v_fma_f64 v[170:171], v[170:171], v[174:175], v[170:171]
	v_fma_f64 v[174:175], -v[168:169], v[170:171], 1.0
	v_fma_f64 v[170:171], v[170:171], v[174:175], v[170:171]
	v_div_scale_f64 v[174:175], vcc_lo, 1.0, v[166:167], 1.0
	v_mul_f64 v[176:177], v[174:175], v[170:171]
	v_fma_f64 v[168:169], -v[168:169], v[176:177], v[174:175]
	v_div_fmas_f64 v[168:169], v[168:169], v[170:171], v[176:177]
	v_div_fixup_f64 v[170:171], v[168:169], v[166:167], 1.0
	v_mul_f64 v[172:173], v[172:173], -v[170:171]
.LBB45_169:
	s_or_b32 exec_lo, exec_lo, s1
	ds_write2_b64 v1, v[170:171], v[172:173] offset1:1
.LBB45_170:
	s_or_b32 exec_lo, exec_lo, s2
	s_waitcnt lgkmcnt(0)
	s_barrier
	buffer_gl0_inv
	ds_read2_b64 v[166:169], v1 offset1:1
	s_mov_b32 s1, exec_lo
	v_cmpx_lt_u32_e32 18, v0
	s_cbranch_execz .LBB45_172
; %bb.171:
	s_waitcnt lgkmcnt(0)
	v_mul_f64 v[170:171], v[166:167], v[20:21]
	v_mul_f64 v[20:21], v[168:169], v[20:21]
	v_fma_f64 v[235:236], v[168:169], v[18:19], v[170:171]
	ds_read2_b64 v[170:173], v234 offset0:38 offset1:39
	ds_read2_b64 v[174:177], v234 offset0:40 offset1:41
	;; [unrolled: 1-line block ×4, first 2 shown]
	v_fma_f64 v[18:19], v[166:167], v[18:19], -v[20:21]
	s_waitcnt lgkmcnt(3)
	v_mul_f64 v[20:21], v[172:173], v[235:236]
	v_mul_f64 v[237:238], v[170:171], v[235:236]
	s_waitcnt lgkmcnt(2)
	v_mul_f64 v[239:240], v[176:177], v[235:236]
	v_mul_f64 v[241:242], v[174:175], v[235:236]
	;; [unrolled: 3-line block ×4, first 2 shown]
	v_fma_f64 v[20:21], v[170:171], v[18:19], -v[20:21]
	v_fma_f64 v[170:171], v[172:173], v[18:19], v[237:238]
	v_fma_f64 v[172:173], v[174:175], v[18:19], -v[239:240]
	v_fma_f64 v[174:175], v[176:177], v[18:19], v[241:242]
	v_fma_f64 v[176:177], v[178:179], v[18:19], -v[243:244]
	v_fma_f64 v[178:179], v[180:181], v[18:19], v[245:246]
	v_fma_f64 v[180:181], v[182:183], v[18:19], -v[247:248]
	v_fma_f64 v[182:183], v[184:185], v[18:19], v[249:250]
	v_add_f64 v[14:15], v[14:15], -v[20:21]
	v_add_f64 v[16:17], v[16:17], -v[170:171]
	;; [unrolled: 1-line block ×8, first 2 shown]
	v_mov_b32_e32 v20, v235
	v_mov_b32_e32 v21, v236
.LBB45_172:
	s_or_b32 exec_lo, exec_lo, s1
	s_mov_b32 s2, exec_lo
	s_waitcnt lgkmcnt(0)
	s_barrier
	buffer_gl0_inv
	v_cmpx_eq_u32_e32 19, v0
	s_cbranch_execz .LBB45_179
; %bb.173:
	ds_write2_b64 v1, v[14:15], v[16:17] offset1:1
	ds_write2_b64 v234, v[10:11], v[12:13] offset0:40 offset1:41
	ds_write2_b64 v234, v[6:7], v[8:9] offset0:42 offset1:43
	;; [unrolled: 1-line block ×3, first 2 shown]
	ds_read2_b64 v[170:173], v1 offset1:1
	s_waitcnt lgkmcnt(0)
	v_cmp_neq_f64_e32 vcc_lo, 0, v[170:171]
	v_cmp_neq_f64_e64 s1, 0, v[172:173]
	s_or_b32 s1, vcc_lo, s1
	s_and_b32 exec_lo, exec_lo, s1
	s_cbranch_execz .LBB45_179
; %bb.174:
	v_cmp_ngt_f64_e64 s1, |v[170:171]|, |v[172:173]|
                                        ; implicit-def: $vgpr174_vgpr175
	s_and_saveexec_b32 s3, s1
	s_xor_b32 s1, exec_lo, s3
                                        ; implicit-def: $vgpr176_vgpr177
	s_cbranch_execz .LBB45_176
; %bb.175:
	v_div_scale_f64 v[174:175], null, v[172:173], v[172:173], v[170:171]
	v_div_scale_f64 v[180:181], vcc_lo, v[170:171], v[172:173], v[170:171]
	v_rcp_f64_e32 v[176:177], v[174:175]
	v_fma_f64 v[178:179], -v[174:175], v[176:177], 1.0
	v_fma_f64 v[176:177], v[176:177], v[178:179], v[176:177]
	v_fma_f64 v[178:179], -v[174:175], v[176:177], 1.0
	v_fma_f64 v[176:177], v[176:177], v[178:179], v[176:177]
	v_mul_f64 v[178:179], v[180:181], v[176:177]
	v_fma_f64 v[174:175], -v[174:175], v[178:179], v[180:181]
	v_div_fmas_f64 v[174:175], v[174:175], v[176:177], v[178:179]
	v_div_fixup_f64 v[174:175], v[174:175], v[172:173], v[170:171]
	v_fma_f64 v[170:171], v[170:171], v[174:175], v[172:173]
	v_div_scale_f64 v[172:173], null, v[170:171], v[170:171], 1.0
	v_rcp_f64_e32 v[176:177], v[172:173]
	v_fma_f64 v[178:179], -v[172:173], v[176:177], 1.0
	v_fma_f64 v[176:177], v[176:177], v[178:179], v[176:177]
	v_fma_f64 v[178:179], -v[172:173], v[176:177], 1.0
	v_fma_f64 v[176:177], v[176:177], v[178:179], v[176:177]
	v_div_scale_f64 v[178:179], vcc_lo, 1.0, v[170:171], 1.0
	v_mul_f64 v[180:181], v[178:179], v[176:177]
	v_fma_f64 v[172:173], -v[172:173], v[180:181], v[178:179]
	v_div_fmas_f64 v[172:173], v[172:173], v[176:177], v[180:181]
	v_div_fixup_f64 v[176:177], v[172:173], v[170:171], 1.0
                                        ; implicit-def: $vgpr170_vgpr171
	v_mul_f64 v[174:175], v[174:175], v[176:177]
	v_xor_b32_e32 v177, 0x80000000, v177
.LBB45_176:
	s_andn2_saveexec_b32 s1, s1
	s_cbranch_execz .LBB45_178
; %bb.177:
	v_div_scale_f64 v[174:175], null, v[170:171], v[170:171], v[172:173]
	v_div_scale_f64 v[180:181], vcc_lo, v[172:173], v[170:171], v[172:173]
	v_rcp_f64_e32 v[176:177], v[174:175]
	v_fma_f64 v[178:179], -v[174:175], v[176:177], 1.0
	v_fma_f64 v[176:177], v[176:177], v[178:179], v[176:177]
	v_fma_f64 v[178:179], -v[174:175], v[176:177], 1.0
	v_fma_f64 v[176:177], v[176:177], v[178:179], v[176:177]
	v_mul_f64 v[178:179], v[180:181], v[176:177]
	v_fma_f64 v[174:175], -v[174:175], v[178:179], v[180:181]
	v_div_fmas_f64 v[174:175], v[174:175], v[176:177], v[178:179]
	v_div_fixup_f64 v[176:177], v[174:175], v[170:171], v[172:173]
	v_fma_f64 v[170:171], v[172:173], v[176:177], v[170:171]
	v_div_scale_f64 v[172:173], null, v[170:171], v[170:171], 1.0
	v_rcp_f64_e32 v[174:175], v[172:173]
	v_fma_f64 v[178:179], -v[172:173], v[174:175], 1.0
	v_fma_f64 v[174:175], v[174:175], v[178:179], v[174:175]
	v_fma_f64 v[178:179], -v[172:173], v[174:175], 1.0
	v_fma_f64 v[174:175], v[174:175], v[178:179], v[174:175]
	v_div_scale_f64 v[178:179], vcc_lo, 1.0, v[170:171], 1.0
	v_mul_f64 v[180:181], v[178:179], v[174:175]
	v_fma_f64 v[172:173], -v[172:173], v[180:181], v[178:179]
	v_div_fmas_f64 v[172:173], v[172:173], v[174:175], v[180:181]
	v_div_fixup_f64 v[174:175], v[172:173], v[170:171], 1.0
	v_mul_f64 v[176:177], v[176:177], -v[174:175]
.LBB45_178:
	s_or_b32 exec_lo, exec_lo, s1
	ds_write2_b64 v1, v[174:175], v[176:177] offset1:1
.LBB45_179:
	s_or_b32 exec_lo, exec_lo, s2
	s_waitcnt lgkmcnt(0)
	s_barrier
	buffer_gl0_inv
	ds_read2_b64 v[170:173], v1 offset1:1
	s_mov_b32 s1, exec_lo
	v_cmpx_lt_u32_e32 19, v0
	s_cbranch_execz .LBB45_181
; %bb.180:
	s_waitcnt lgkmcnt(0)
	v_mul_f64 v[174:175], v[170:171], v[16:17]
	v_mul_f64 v[16:17], v[172:173], v[16:17]
	v_fma_f64 v[235:236], v[172:173], v[14:15], v[174:175]
	ds_read2_b64 v[174:177], v234 offset0:40 offset1:41
	ds_read2_b64 v[178:181], v234 offset0:42 offset1:43
	ds_read2_b64 v[182:185], v234 offset0:44 offset1:45
	v_fma_f64 v[14:15], v[170:171], v[14:15], -v[16:17]
	s_waitcnt lgkmcnt(2)
	v_mul_f64 v[16:17], v[176:177], v[235:236]
	v_mul_f64 v[237:238], v[174:175], v[235:236]
	s_waitcnt lgkmcnt(1)
	v_mul_f64 v[239:240], v[180:181], v[235:236]
	v_mul_f64 v[241:242], v[178:179], v[235:236]
	;; [unrolled: 3-line block ×3, first 2 shown]
	v_fma_f64 v[16:17], v[174:175], v[14:15], -v[16:17]
	v_fma_f64 v[174:175], v[176:177], v[14:15], v[237:238]
	v_fma_f64 v[176:177], v[178:179], v[14:15], -v[239:240]
	v_fma_f64 v[178:179], v[180:181], v[14:15], v[241:242]
	;; [unrolled: 2-line block ×3, first 2 shown]
	v_add_f64 v[10:11], v[10:11], -v[16:17]
	v_add_f64 v[12:13], v[12:13], -v[174:175]
	;; [unrolled: 1-line block ×6, first 2 shown]
	v_mov_b32_e32 v16, v235
	v_mov_b32_e32 v17, v236
.LBB45_181:
	s_or_b32 exec_lo, exec_lo, s1
	s_mov_b32 s2, exec_lo
	s_waitcnt lgkmcnt(0)
	s_barrier
	buffer_gl0_inv
	v_cmpx_eq_u32_e32 20, v0
	s_cbranch_execz .LBB45_188
; %bb.182:
	ds_write2_b64 v1, v[10:11], v[12:13] offset1:1
	ds_write2_b64 v234, v[6:7], v[8:9] offset0:42 offset1:43
	ds_write2_b64 v234, v[2:3], v[4:5] offset0:44 offset1:45
	ds_read2_b64 v[174:177], v1 offset1:1
	s_waitcnt lgkmcnt(0)
	v_cmp_neq_f64_e32 vcc_lo, 0, v[174:175]
	v_cmp_neq_f64_e64 s1, 0, v[176:177]
	s_or_b32 s1, vcc_lo, s1
	s_and_b32 exec_lo, exec_lo, s1
	s_cbranch_execz .LBB45_188
; %bb.183:
	v_cmp_ngt_f64_e64 s1, |v[174:175]|, |v[176:177]|
                                        ; implicit-def: $vgpr178_vgpr179
	s_and_saveexec_b32 s3, s1
	s_xor_b32 s1, exec_lo, s3
                                        ; implicit-def: $vgpr180_vgpr181
	s_cbranch_execz .LBB45_185
; %bb.184:
	v_div_scale_f64 v[178:179], null, v[176:177], v[176:177], v[174:175]
	v_div_scale_f64 v[184:185], vcc_lo, v[174:175], v[176:177], v[174:175]
	v_rcp_f64_e32 v[180:181], v[178:179]
	v_fma_f64 v[182:183], -v[178:179], v[180:181], 1.0
	v_fma_f64 v[180:181], v[180:181], v[182:183], v[180:181]
	v_fma_f64 v[182:183], -v[178:179], v[180:181], 1.0
	v_fma_f64 v[180:181], v[180:181], v[182:183], v[180:181]
	v_mul_f64 v[182:183], v[184:185], v[180:181]
	v_fma_f64 v[178:179], -v[178:179], v[182:183], v[184:185]
	v_div_fmas_f64 v[178:179], v[178:179], v[180:181], v[182:183]
	v_div_fixup_f64 v[178:179], v[178:179], v[176:177], v[174:175]
	v_fma_f64 v[174:175], v[174:175], v[178:179], v[176:177]
	v_div_scale_f64 v[176:177], null, v[174:175], v[174:175], 1.0
	v_rcp_f64_e32 v[180:181], v[176:177]
	v_fma_f64 v[182:183], -v[176:177], v[180:181], 1.0
	v_fma_f64 v[180:181], v[180:181], v[182:183], v[180:181]
	v_fma_f64 v[182:183], -v[176:177], v[180:181], 1.0
	v_fma_f64 v[180:181], v[180:181], v[182:183], v[180:181]
	v_div_scale_f64 v[182:183], vcc_lo, 1.0, v[174:175], 1.0
	v_mul_f64 v[184:185], v[182:183], v[180:181]
	v_fma_f64 v[176:177], -v[176:177], v[184:185], v[182:183]
	v_div_fmas_f64 v[176:177], v[176:177], v[180:181], v[184:185]
	v_div_fixup_f64 v[180:181], v[176:177], v[174:175], 1.0
                                        ; implicit-def: $vgpr174_vgpr175
	v_mul_f64 v[178:179], v[178:179], v[180:181]
	v_xor_b32_e32 v181, 0x80000000, v181
.LBB45_185:
	s_andn2_saveexec_b32 s1, s1
	s_cbranch_execz .LBB45_187
; %bb.186:
	v_div_scale_f64 v[178:179], null, v[174:175], v[174:175], v[176:177]
	v_div_scale_f64 v[184:185], vcc_lo, v[176:177], v[174:175], v[176:177]
	v_rcp_f64_e32 v[180:181], v[178:179]
	v_fma_f64 v[182:183], -v[178:179], v[180:181], 1.0
	v_fma_f64 v[180:181], v[180:181], v[182:183], v[180:181]
	v_fma_f64 v[182:183], -v[178:179], v[180:181], 1.0
	v_fma_f64 v[180:181], v[180:181], v[182:183], v[180:181]
	v_mul_f64 v[182:183], v[184:185], v[180:181]
	v_fma_f64 v[178:179], -v[178:179], v[182:183], v[184:185]
	v_div_fmas_f64 v[178:179], v[178:179], v[180:181], v[182:183]
	v_div_fixup_f64 v[180:181], v[178:179], v[174:175], v[176:177]
	v_fma_f64 v[174:175], v[176:177], v[180:181], v[174:175]
	v_div_scale_f64 v[176:177], null, v[174:175], v[174:175], 1.0
	v_rcp_f64_e32 v[178:179], v[176:177]
	v_fma_f64 v[182:183], -v[176:177], v[178:179], 1.0
	v_fma_f64 v[178:179], v[178:179], v[182:183], v[178:179]
	v_fma_f64 v[182:183], -v[176:177], v[178:179], 1.0
	v_fma_f64 v[178:179], v[178:179], v[182:183], v[178:179]
	v_div_scale_f64 v[182:183], vcc_lo, 1.0, v[174:175], 1.0
	v_mul_f64 v[184:185], v[182:183], v[178:179]
	v_fma_f64 v[176:177], -v[176:177], v[184:185], v[182:183]
	v_div_fmas_f64 v[176:177], v[176:177], v[178:179], v[184:185]
	v_div_fixup_f64 v[178:179], v[176:177], v[174:175], 1.0
	v_mul_f64 v[180:181], v[180:181], -v[178:179]
.LBB45_187:
	s_or_b32 exec_lo, exec_lo, s1
	ds_write2_b64 v1, v[178:179], v[180:181] offset1:1
.LBB45_188:
	s_or_b32 exec_lo, exec_lo, s2
	s_waitcnt lgkmcnt(0)
	s_barrier
	buffer_gl0_inv
	ds_read2_b64 v[174:177], v1 offset1:1
	s_mov_b32 s1, exec_lo
	v_cmpx_lt_u32_e32 20, v0
	s_cbranch_execz .LBB45_190
; %bb.189:
	s_waitcnt lgkmcnt(0)
	v_mul_f64 v[178:179], v[174:175], v[12:13]
	v_mul_f64 v[12:13], v[176:177], v[12:13]
	v_fma_f64 v[235:236], v[176:177], v[10:11], v[178:179]
	ds_read2_b64 v[178:181], v234 offset0:42 offset1:43
	ds_read2_b64 v[182:185], v234 offset0:44 offset1:45
	v_fma_f64 v[10:11], v[174:175], v[10:11], -v[12:13]
	s_waitcnt lgkmcnt(1)
	v_mul_f64 v[12:13], v[180:181], v[235:236]
	v_mul_f64 v[237:238], v[178:179], v[235:236]
	s_waitcnt lgkmcnt(0)
	v_mul_f64 v[239:240], v[184:185], v[235:236]
	v_mul_f64 v[241:242], v[182:183], v[235:236]
	v_fma_f64 v[12:13], v[178:179], v[10:11], -v[12:13]
	v_fma_f64 v[178:179], v[180:181], v[10:11], v[237:238]
	v_fma_f64 v[180:181], v[182:183], v[10:11], -v[239:240]
	v_fma_f64 v[182:183], v[184:185], v[10:11], v[241:242]
	v_add_f64 v[6:7], v[6:7], -v[12:13]
	v_add_f64 v[8:9], v[8:9], -v[178:179]
	;; [unrolled: 1-line block ×4, first 2 shown]
	v_mov_b32_e32 v12, v235
	v_mov_b32_e32 v13, v236
.LBB45_190:
	s_or_b32 exec_lo, exec_lo, s1
	s_mov_b32 s2, exec_lo
	s_waitcnt lgkmcnt(0)
	s_barrier
	buffer_gl0_inv
	v_cmpx_eq_u32_e32 21, v0
	s_cbranch_execz .LBB45_197
; %bb.191:
	ds_write2_b64 v1, v[6:7], v[8:9] offset1:1
	ds_write2_b64 v234, v[2:3], v[4:5] offset0:44 offset1:45
	ds_read2_b64 v[178:181], v1 offset1:1
	s_waitcnt lgkmcnt(0)
	v_cmp_neq_f64_e32 vcc_lo, 0, v[178:179]
	v_cmp_neq_f64_e64 s1, 0, v[180:181]
	s_or_b32 s1, vcc_lo, s1
	s_and_b32 exec_lo, exec_lo, s1
	s_cbranch_execz .LBB45_197
; %bb.192:
	v_cmp_ngt_f64_e64 s1, |v[178:179]|, |v[180:181]|
                                        ; implicit-def: $vgpr182_vgpr183
	s_and_saveexec_b32 s3, s1
	s_xor_b32 s1, exec_lo, s3
                                        ; implicit-def: $vgpr184_vgpr185
	s_cbranch_execz .LBB45_194
; %bb.193:
	v_div_scale_f64 v[182:183], null, v[180:181], v[180:181], v[178:179]
	v_div_scale_f64 v[237:238], vcc_lo, v[178:179], v[180:181], v[178:179]
	v_rcp_f64_e32 v[184:185], v[182:183]
	v_fma_f64 v[235:236], -v[182:183], v[184:185], 1.0
	v_fma_f64 v[184:185], v[184:185], v[235:236], v[184:185]
	v_fma_f64 v[235:236], -v[182:183], v[184:185], 1.0
	v_fma_f64 v[184:185], v[184:185], v[235:236], v[184:185]
	v_mul_f64 v[235:236], v[237:238], v[184:185]
	v_fma_f64 v[182:183], -v[182:183], v[235:236], v[237:238]
	v_div_fmas_f64 v[182:183], v[182:183], v[184:185], v[235:236]
	v_div_fixup_f64 v[182:183], v[182:183], v[180:181], v[178:179]
	v_fma_f64 v[178:179], v[178:179], v[182:183], v[180:181]
	v_div_scale_f64 v[180:181], null, v[178:179], v[178:179], 1.0
	v_rcp_f64_e32 v[184:185], v[180:181]
	v_fma_f64 v[235:236], -v[180:181], v[184:185], 1.0
	v_fma_f64 v[184:185], v[184:185], v[235:236], v[184:185]
	v_fma_f64 v[235:236], -v[180:181], v[184:185], 1.0
	v_fma_f64 v[184:185], v[184:185], v[235:236], v[184:185]
	v_div_scale_f64 v[235:236], vcc_lo, 1.0, v[178:179], 1.0
	v_mul_f64 v[237:238], v[235:236], v[184:185]
	v_fma_f64 v[180:181], -v[180:181], v[237:238], v[235:236]
	v_div_fmas_f64 v[180:181], v[180:181], v[184:185], v[237:238]
	v_div_fixup_f64 v[184:185], v[180:181], v[178:179], 1.0
                                        ; implicit-def: $vgpr178_vgpr179
	v_mul_f64 v[182:183], v[182:183], v[184:185]
	v_xor_b32_e32 v185, 0x80000000, v185
.LBB45_194:
	s_andn2_saveexec_b32 s1, s1
	s_cbranch_execz .LBB45_196
; %bb.195:
	v_div_scale_f64 v[182:183], null, v[178:179], v[178:179], v[180:181]
	v_div_scale_f64 v[237:238], vcc_lo, v[180:181], v[178:179], v[180:181]
	v_rcp_f64_e32 v[184:185], v[182:183]
	v_fma_f64 v[235:236], -v[182:183], v[184:185], 1.0
	v_fma_f64 v[184:185], v[184:185], v[235:236], v[184:185]
	v_fma_f64 v[235:236], -v[182:183], v[184:185], 1.0
	v_fma_f64 v[184:185], v[184:185], v[235:236], v[184:185]
	v_mul_f64 v[235:236], v[237:238], v[184:185]
	v_fma_f64 v[182:183], -v[182:183], v[235:236], v[237:238]
	v_div_fmas_f64 v[182:183], v[182:183], v[184:185], v[235:236]
	v_div_fixup_f64 v[184:185], v[182:183], v[178:179], v[180:181]
	v_fma_f64 v[178:179], v[180:181], v[184:185], v[178:179]
	v_div_scale_f64 v[180:181], null, v[178:179], v[178:179], 1.0
	v_rcp_f64_e32 v[182:183], v[180:181]
	v_fma_f64 v[235:236], -v[180:181], v[182:183], 1.0
	v_fma_f64 v[182:183], v[182:183], v[235:236], v[182:183]
	v_fma_f64 v[235:236], -v[180:181], v[182:183], 1.0
	v_fma_f64 v[182:183], v[182:183], v[235:236], v[182:183]
	v_div_scale_f64 v[235:236], vcc_lo, 1.0, v[178:179], 1.0
	v_mul_f64 v[237:238], v[235:236], v[182:183]
	v_fma_f64 v[180:181], -v[180:181], v[237:238], v[235:236]
	v_div_fmas_f64 v[180:181], v[180:181], v[182:183], v[237:238]
	v_div_fixup_f64 v[182:183], v[180:181], v[178:179], 1.0
	v_mul_f64 v[184:185], v[184:185], -v[182:183]
.LBB45_196:
	s_or_b32 exec_lo, exec_lo, s1
	ds_write2_b64 v1, v[182:183], v[184:185] offset1:1
.LBB45_197:
	s_or_b32 exec_lo, exec_lo, s2
	s_waitcnt lgkmcnt(0)
	s_barrier
	buffer_gl0_inv
	ds_read2_b64 v[178:181], v1 offset1:1
	s_mov_b32 s1, exec_lo
	v_cmpx_lt_u32_e32 21, v0
	s_cbranch_execz .LBB45_199
; %bb.198:
	s_waitcnt lgkmcnt(0)
	v_mul_f64 v[182:183], v[178:179], v[8:9]
	v_mul_f64 v[8:9], v[180:181], v[8:9]
	v_fma_f64 v[235:236], v[180:181], v[6:7], v[182:183]
	ds_read2_b64 v[182:185], v234 offset0:44 offset1:45
	v_fma_f64 v[6:7], v[178:179], v[6:7], -v[8:9]
	s_waitcnt lgkmcnt(0)
	v_mul_f64 v[8:9], v[184:185], v[235:236]
	v_mul_f64 v[237:238], v[182:183], v[235:236]
	v_fma_f64 v[8:9], v[182:183], v[6:7], -v[8:9]
	v_fma_f64 v[182:183], v[184:185], v[6:7], v[237:238]
	v_add_f64 v[2:3], v[2:3], -v[8:9]
	v_add_f64 v[4:5], v[4:5], -v[182:183]
	v_mov_b32_e32 v8, v235
	v_mov_b32_e32 v9, v236
.LBB45_199:
	s_or_b32 exec_lo, exec_lo, s1
	s_mov_b32 s2, exec_lo
	s_waitcnt lgkmcnt(0)
	s_barrier
	buffer_gl0_inv
	v_cmpx_eq_u32_e32 22, v0
	s_cbranch_execz .LBB45_206
; %bb.200:
	v_cmp_neq_f64_e32 vcc_lo, 0, v[2:3]
	v_cmp_neq_f64_e64 s1, 0, v[4:5]
	ds_write2_b64 v1, v[2:3], v[4:5] offset1:1
	s_or_b32 s1, vcc_lo, s1
	s_and_b32 exec_lo, exec_lo, s1
	s_cbranch_execz .LBB45_206
; %bb.201:
	v_cmp_ngt_f64_e64 s1, |v[2:3]|, |v[4:5]|
                                        ; implicit-def: $vgpr182_vgpr183
	s_and_saveexec_b32 s3, s1
	s_xor_b32 s1, exec_lo, s3
                                        ; implicit-def: $vgpr184_vgpr185
	s_cbranch_execz .LBB45_203
; %bb.202:
	v_div_scale_f64 v[182:183], null, v[4:5], v[4:5], v[2:3]
	v_div_scale_f64 v[236:237], vcc_lo, v[2:3], v[4:5], v[2:3]
	v_rcp_f64_e32 v[184:185], v[182:183]
	v_fma_f64 v[234:235], -v[182:183], v[184:185], 1.0
	v_fma_f64 v[184:185], v[184:185], v[234:235], v[184:185]
	v_fma_f64 v[234:235], -v[182:183], v[184:185], 1.0
	v_fma_f64 v[184:185], v[184:185], v[234:235], v[184:185]
	v_mul_f64 v[234:235], v[236:237], v[184:185]
	v_fma_f64 v[182:183], -v[182:183], v[234:235], v[236:237]
	v_div_fmas_f64 v[182:183], v[182:183], v[184:185], v[234:235]
	v_div_fixup_f64 v[182:183], v[182:183], v[4:5], v[2:3]
	v_fma_f64 v[184:185], v[2:3], v[182:183], v[4:5]
	v_div_scale_f64 v[234:235], null, v[184:185], v[184:185], 1.0
	v_rcp_f64_e32 v[236:237], v[234:235]
	v_fma_f64 v[238:239], -v[234:235], v[236:237], 1.0
	v_fma_f64 v[236:237], v[236:237], v[238:239], v[236:237]
	v_fma_f64 v[238:239], -v[234:235], v[236:237], 1.0
	v_fma_f64 v[236:237], v[236:237], v[238:239], v[236:237]
	v_div_scale_f64 v[238:239], vcc_lo, 1.0, v[184:185], 1.0
	v_mul_f64 v[240:241], v[238:239], v[236:237]
	v_fma_f64 v[234:235], -v[234:235], v[240:241], v[238:239]
	v_div_fmas_f64 v[234:235], v[234:235], v[236:237], v[240:241]
	v_div_fixup_f64 v[184:185], v[234:235], v[184:185], 1.0
	v_mul_f64 v[182:183], v[182:183], v[184:185]
	v_xor_b32_e32 v185, 0x80000000, v185
.LBB45_203:
	s_andn2_saveexec_b32 s1, s1
	s_cbranch_execz .LBB45_205
; %bb.204:
	v_div_scale_f64 v[182:183], null, v[2:3], v[2:3], v[4:5]
	v_div_scale_f64 v[236:237], vcc_lo, v[4:5], v[2:3], v[4:5]
	v_rcp_f64_e32 v[184:185], v[182:183]
	v_fma_f64 v[234:235], -v[182:183], v[184:185], 1.0
	v_fma_f64 v[184:185], v[184:185], v[234:235], v[184:185]
	v_fma_f64 v[234:235], -v[182:183], v[184:185], 1.0
	v_fma_f64 v[184:185], v[184:185], v[234:235], v[184:185]
	v_mul_f64 v[234:235], v[236:237], v[184:185]
	v_fma_f64 v[182:183], -v[182:183], v[234:235], v[236:237]
	v_div_fmas_f64 v[182:183], v[182:183], v[184:185], v[234:235]
	v_div_fixup_f64 v[184:185], v[182:183], v[2:3], v[4:5]
	v_fma_f64 v[182:183], v[4:5], v[184:185], v[2:3]
	v_div_scale_f64 v[234:235], null, v[182:183], v[182:183], 1.0
	v_rcp_f64_e32 v[236:237], v[234:235]
	v_fma_f64 v[238:239], -v[234:235], v[236:237], 1.0
	v_fma_f64 v[236:237], v[236:237], v[238:239], v[236:237]
	v_fma_f64 v[238:239], -v[234:235], v[236:237], 1.0
	v_fma_f64 v[236:237], v[236:237], v[238:239], v[236:237]
	v_div_scale_f64 v[238:239], vcc_lo, 1.0, v[182:183], 1.0
	v_mul_f64 v[240:241], v[238:239], v[236:237]
	v_fma_f64 v[234:235], -v[234:235], v[240:241], v[238:239]
	v_div_fmas_f64 v[234:235], v[234:235], v[236:237], v[240:241]
	v_div_fixup_f64 v[182:183], v[234:235], v[182:183], 1.0
	v_mul_f64 v[184:185], v[184:185], -v[182:183]
.LBB45_205:
	s_or_b32 exec_lo, exec_lo, s1
	ds_write2_b64 v1, v[182:183], v[184:185] offset1:1
.LBB45_206:
	s_or_b32 exec_lo, exec_lo, s2
	s_waitcnt lgkmcnt(0)
	s_barrier
	buffer_gl0_inv
	ds_read2_b64 v[182:185], v1 offset1:1
	s_mov_b32 s1, exec_lo
	v_cmpx_lt_u32_e32 22, v0
	s_cbranch_execz .LBB45_208
; %bb.207:
	s_waitcnt lgkmcnt(0)
	v_mul_f64 v[0:1], v[184:185], v[4:5]
	v_mul_f64 v[4:5], v[182:183], v[4:5]
	v_fma_f64 v[0:1], v[182:183], v[2:3], -v[0:1]
	v_fma_f64 v[4:5], v[184:185], v[2:3], v[4:5]
	v_mov_b32_e32 v3, v1
	v_mov_b32_e32 v2, v0
.LBB45_208:
	s_or_b32 exec_lo, exec_lo, s1
	s_waitcnt lgkmcnt(0)
	s_barrier
	buffer_gl0_inv
	s_and_saveexec_b32 s6, s0
	s_cbranch_execz .LBB45_211
; %bb.209:
	v_lshlrev_b64 v[0:1], 2, v[216:217]
	v_cmp_eq_f64_e64 s0, 0, v[96:97]
	v_cmp_neq_f64_e64 s1, 0, v[98:99]
	v_cmp_neq_f64_e64 s2, 0, v[100:101]
	v_cmp_eq_f64_e64 s3, 0, v[102:103]
	v_cmp_eq_f64_e64 s4, 0, v[104:105]
	v_add_co_u32 v0, vcc_lo, s10, v0
	v_add_co_ci_u32_e64 v1, null, s11, v1, vcc_lo
	v_cmp_eq_f64_e32 vcc_lo, 0, v[94:95]
	v_cmp_eq_f64_e64 s5, 0, v[106:107]
	global_load_dword v216, v[0:1], off
	s_or_b32 s1, s1, s2
	v_cmp_eq_f64_e64 s2, 0, v[112:113]
	s_and_b32 s3, s3, s4
	v_cmp_eq_f64_e64 s4, 0, v[116:117]
	s_and_b32 s0, vcc_lo, s0
	v_cmp_eq_f64_e32 vcc_lo, 0, v[108:109]
	v_cndmask_b32_e64 v94, 0, 1, s0
	s_or_b32 s0, s1, s0
	v_cmp_eq_f64_e64 s1, 0, v[110:111]
	v_cndmask_b32_e64 v94, 2, v94, s0
	v_cmp_eq_u32_e64 s0, 0, v94
	s_and_b32 s0, s3, s0
	v_cmp_eq_f64_e64 s3, 0, v[114:115]
	v_cndmask_b32_e64 v94, v94, 3, s0
	s_and_b32 s5, s5, vcc_lo
	v_cmp_eq_u32_e64 s0, 0, v94
	s_and_b32 s1, s1, s2
	v_cmp_eq_f64_e64 s2, 0, v[124:125]
	s_and_b32 s0, s5, s0
	v_cmp_eq_f64_e64 s5, 0, v[120:121]
	v_cndmask_b32_e64 v94, v94, 4, s0
	v_cmp_eq_f64_e64 s0, 0, v[118:119]
	v_cmp_eq_u32_e32 vcc_lo, 0, v94
	s_and_b32 s3, s3, s4
	s_and_b32 s1, s1, vcc_lo
	v_cmp_eq_f64_e64 s4, 0, v[128:129]
	v_cndmask_b32_e64 v94, v94, 5, s1
	v_cmp_eq_f64_e64 s1, 0, v[122:123]
	v_cmp_eq_u32_e32 vcc_lo, 0, v94
	s_and_b32 s3, s3, vcc_lo
	s_and_b32 s0, s0, s5
	v_cndmask_b32_e64 v94, v94, 6, s3
	v_cmp_eq_f64_e64 s3, 0, v[126:127]
	v_cmp_eq_f64_e64 s5, 0, v[132:133]
	v_cmp_eq_u32_e32 vcc_lo, 0, v94
	s_and_b32 s0, s0, vcc_lo
	s_and_b32 s1, s1, s2
	v_cndmask_b32_e64 v94, v94, 7, s0
	v_cmp_eq_f64_e64 s0, 0, v[130:131]
	;; [unrolled: 6-line block ×15, first 2 shown]
	v_cmp_eq_u32_e32 vcc_lo, 0, v94
	s_and_b32 s3, s3, vcc_lo
	s_and_b32 s0, s0, s5
	v_cndmask_b32_e64 v94, v94, 21, s3
	v_cmp_eq_u32_e32 vcc_lo, 0, v94
	s_and_b32 s0, s0, vcc_lo
	v_cndmask_b32_e64 v94, v94, 22, s0
	s_and_b32 s0, s1, s2
	v_cmp_eq_u32_e32 vcc_lo, 0, v94
	s_and_b32 s0, s0, vcc_lo
	v_cndmask_b32_e64 v94, v94, 23, s0
	v_cmp_ne_u32_e64 s0, 0, v94
	s_waitcnt vmcnt(0)
	v_cmp_eq_u32_e32 vcc_lo, 0, v216
	s_and_b32 s0, vcc_lo, s0
	s_and_b32 exec_lo, exec_lo, s0
	s_cbranch_execz .LBB45_211
; %bb.210:
	v_add_nc_u32_e32 v94, s13, v94
	global_store_dword v[0:1], v94, off
.LBB45_211:
	s_or_b32 exec_lo, exec_lo, s6
	global_store_dwordx4 v[192:193], v[90:93], off
	global_store_dwordx4 v[194:195], v[86:89], off
	;; [unrolled: 1-line block ×23, first 2 shown]
.LBB45_212:
	s_endpgm
	.section	.rodata,"a",@progbits
	.p2align	6, 0x0
	.amdhsa_kernel _ZN9rocsolver6v33100L23getf2_npvt_small_kernelILi23E19rocblas_complex_numIdEiiPS3_EEvT1_T3_lS5_lPT2_S5_S5_
		.amdhsa_group_segment_fixed_size 0
		.amdhsa_private_segment_fixed_size 0
		.amdhsa_kernarg_size 312
		.amdhsa_user_sgpr_count 6
		.amdhsa_user_sgpr_private_segment_buffer 1
		.amdhsa_user_sgpr_dispatch_ptr 0
		.amdhsa_user_sgpr_queue_ptr 0
		.amdhsa_user_sgpr_kernarg_segment_ptr 1
		.amdhsa_user_sgpr_dispatch_id 0
		.amdhsa_user_sgpr_flat_scratch_init 0
		.amdhsa_user_sgpr_private_segment_size 0
		.amdhsa_wavefront_size32 1
		.amdhsa_uses_dynamic_stack 0
		.amdhsa_system_sgpr_private_segment_wavefront_offset 0
		.amdhsa_system_sgpr_workgroup_id_x 1
		.amdhsa_system_sgpr_workgroup_id_y 1
		.amdhsa_system_sgpr_workgroup_id_z 0
		.amdhsa_system_sgpr_workgroup_info 0
		.amdhsa_system_vgpr_workitem_id 1
		.amdhsa_next_free_vgpr 251
		.amdhsa_next_free_sgpr 15
		.amdhsa_reserve_vcc 1
		.amdhsa_reserve_flat_scratch 0
		.amdhsa_float_round_mode_32 0
		.amdhsa_float_round_mode_16_64 0
		.amdhsa_float_denorm_mode_32 3
		.amdhsa_float_denorm_mode_16_64 3
		.amdhsa_dx10_clamp 1
		.amdhsa_ieee_mode 1
		.amdhsa_fp16_overflow 0
		.amdhsa_workgroup_processor_mode 1
		.amdhsa_memory_ordered 1
		.amdhsa_forward_progress 1
		.amdhsa_shared_vgpr_count 0
		.amdhsa_exception_fp_ieee_invalid_op 0
		.amdhsa_exception_fp_denorm_src 0
		.amdhsa_exception_fp_ieee_div_zero 0
		.amdhsa_exception_fp_ieee_overflow 0
		.amdhsa_exception_fp_ieee_underflow 0
		.amdhsa_exception_fp_ieee_inexact 0
		.amdhsa_exception_int_div_zero 0
	.end_amdhsa_kernel
	.section	.text._ZN9rocsolver6v33100L23getf2_npvt_small_kernelILi23E19rocblas_complex_numIdEiiPS3_EEvT1_T3_lS5_lPT2_S5_S5_,"axG",@progbits,_ZN9rocsolver6v33100L23getf2_npvt_small_kernelILi23E19rocblas_complex_numIdEiiPS3_EEvT1_T3_lS5_lPT2_S5_S5_,comdat
.Lfunc_end45:
	.size	_ZN9rocsolver6v33100L23getf2_npvt_small_kernelILi23E19rocblas_complex_numIdEiiPS3_EEvT1_T3_lS5_lPT2_S5_S5_, .Lfunc_end45-_ZN9rocsolver6v33100L23getf2_npvt_small_kernelILi23E19rocblas_complex_numIdEiiPS3_EEvT1_T3_lS5_lPT2_S5_S5_
                                        ; -- End function
	.set _ZN9rocsolver6v33100L23getf2_npvt_small_kernelILi23E19rocblas_complex_numIdEiiPS3_EEvT1_T3_lS5_lPT2_S5_S5_.num_vgpr, 251
	.set _ZN9rocsolver6v33100L23getf2_npvt_small_kernelILi23E19rocblas_complex_numIdEiiPS3_EEvT1_T3_lS5_lPT2_S5_S5_.num_agpr, 0
	.set _ZN9rocsolver6v33100L23getf2_npvt_small_kernelILi23E19rocblas_complex_numIdEiiPS3_EEvT1_T3_lS5_lPT2_S5_S5_.numbered_sgpr, 15
	.set _ZN9rocsolver6v33100L23getf2_npvt_small_kernelILi23E19rocblas_complex_numIdEiiPS3_EEvT1_T3_lS5_lPT2_S5_S5_.num_named_barrier, 0
	.set _ZN9rocsolver6v33100L23getf2_npvt_small_kernelILi23E19rocblas_complex_numIdEiiPS3_EEvT1_T3_lS5_lPT2_S5_S5_.private_seg_size, 0
	.set _ZN9rocsolver6v33100L23getf2_npvt_small_kernelILi23E19rocblas_complex_numIdEiiPS3_EEvT1_T3_lS5_lPT2_S5_S5_.uses_vcc, 1
	.set _ZN9rocsolver6v33100L23getf2_npvt_small_kernelILi23E19rocblas_complex_numIdEiiPS3_EEvT1_T3_lS5_lPT2_S5_S5_.uses_flat_scratch, 0
	.set _ZN9rocsolver6v33100L23getf2_npvt_small_kernelILi23E19rocblas_complex_numIdEiiPS3_EEvT1_T3_lS5_lPT2_S5_S5_.has_dyn_sized_stack, 0
	.set _ZN9rocsolver6v33100L23getf2_npvt_small_kernelILi23E19rocblas_complex_numIdEiiPS3_EEvT1_T3_lS5_lPT2_S5_S5_.has_recursion, 0
	.set _ZN9rocsolver6v33100L23getf2_npvt_small_kernelILi23E19rocblas_complex_numIdEiiPS3_EEvT1_T3_lS5_lPT2_S5_S5_.has_indirect_call, 0
	.section	.AMDGPU.csdata,"",@progbits
; Kernel info:
; codeLenInByte = 32700
; TotalNumSgprs: 17
; NumVgprs: 251
; ScratchSize: 0
; MemoryBound: 1
; FloatMode: 240
; IeeeMode: 1
; LDSByteSize: 0 bytes/workgroup (compile time only)
; SGPRBlocks: 0
; VGPRBlocks: 31
; NumSGPRsForWavesPerEU: 17
; NumVGPRsForWavesPerEU: 251
; Occupancy: 4
; WaveLimiterHint : 0
; COMPUTE_PGM_RSRC2:SCRATCH_EN: 0
; COMPUTE_PGM_RSRC2:USER_SGPR: 6
; COMPUTE_PGM_RSRC2:TRAP_HANDLER: 0
; COMPUTE_PGM_RSRC2:TGID_X_EN: 1
; COMPUTE_PGM_RSRC2:TGID_Y_EN: 1
; COMPUTE_PGM_RSRC2:TGID_Z_EN: 0
; COMPUTE_PGM_RSRC2:TIDIG_COMP_CNT: 1
	.section	.text._ZN9rocsolver6v33100L18getf2_small_kernelILi24E19rocblas_complex_numIdEiiPS3_EEvT1_T3_lS5_lPS5_llPT2_S5_S5_S7_l,"axG",@progbits,_ZN9rocsolver6v33100L18getf2_small_kernelILi24E19rocblas_complex_numIdEiiPS3_EEvT1_T3_lS5_lPS5_llPT2_S5_S5_S7_l,comdat
	.globl	_ZN9rocsolver6v33100L18getf2_small_kernelILi24E19rocblas_complex_numIdEiiPS3_EEvT1_T3_lS5_lPS5_llPT2_S5_S5_S7_l ; -- Begin function _ZN9rocsolver6v33100L18getf2_small_kernelILi24E19rocblas_complex_numIdEiiPS3_EEvT1_T3_lS5_lPS5_llPT2_S5_S5_S7_l
	.p2align	8
	.type	_ZN9rocsolver6v33100L18getf2_small_kernelILi24E19rocblas_complex_numIdEiiPS3_EEvT1_T3_lS5_lPS5_llPT2_S5_S5_S7_l,@function
_ZN9rocsolver6v33100L18getf2_small_kernelILi24E19rocblas_complex_numIdEiiPS3_EEvT1_T3_lS5_lPS5_llPT2_S5_S5_S7_l: ; @_ZN9rocsolver6v33100L18getf2_small_kernelILi24E19rocblas_complex_numIdEiiPS3_EEvT1_T3_lS5_lPS5_llPT2_S5_S5_S7_l
; %bb.0:
	s_clause 0x1
	s_load_dword s0, s[4:5], 0x6c
	s_load_dwordx2 s[16:17], s[4:5], 0x48
	s_waitcnt lgkmcnt(0)
	s_lshr_b32 s0, s0, 16
	v_mad_u64_u32 v[102:103], null, s7, s0, v[1:2]
	s_mov_b32 s0, exec_lo
	v_cmpx_gt_i32_e64 s16, v102
	s_cbranch_execz .LBB46_507
; %bb.1:
	s_load_dwordx4 s[0:3], s[4:5], 0x50
	v_mov_b32_e32 v104, 0
	v_ashrrev_i32_e32 v103, 31, v102
	v_mov_b32_e32 v105, 0
	s_waitcnt lgkmcnt(0)
	s_cmp_eq_u64 s[0:1], 0
	s_cselect_b32 s16, -1, 0
	s_and_b32 vcc_lo, exec_lo, s16
	s_cbranch_vccnz .LBB46_3
; %bb.2:
	v_mul_lo_u32 v4, s3, v102
	v_mul_lo_u32 v5, s2, v103
	v_mad_u64_u32 v[2:3], null, s2, v102, 0
	v_add3_u32 v3, v3, v5, v4
	v_lshlrev_b64 v[2:3], 2, v[2:3]
	v_add_co_u32 v104, vcc_lo, s0, v2
	v_add_co_ci_u32_e64 v105, null, s1, v3, vcc_lo
.LBB46_3:
	s_clause 0x2
	s_load_dwordx8 s[8:15], s[4:5], 0x20
	s_load_dword s6, s[4:5], 0x18
	s_load_dwordx4 s[0:3], s[4:5], 0x8
	v_lshlrev_b32_e32 v108, 4, v0
	s_clause 0x1
	s_load_dword s18, s[4:5], 0x0
	s_load_dwordx2 s[4:5], s[4:5], 0x40
	s_waitcnt lgkmcnt(0)
	v_mul_lo_u32 v5, s9, v102
	v_add3_u32 v4, s6, s6, v0
	v_mul_lo_u32 v7, s8, v103
	v_mad_u64_u32 v[2:3], null, s8, v102, 0
	s_lshl_b64 s[2:3], s[2:3], 4
	v_add_nc_u32_e32 v6, s6, v4
	s_ashr_i32 s7, s6, 31
	s_lshl_b64 s[8:9], s[6:7], 4
	v_add3_u32 v3, v3, v7, v5
	v_add_nc_u32_e32 v8, s6, v6
	v_ashrrev_i32_e32 v5, 31, v4
	v_ashrrev_i32_e32 v7, 31, v6
	v_lshlrev_b64 v[2:3], 4, v[2:3]
	v_add_nc_u32_e32 v10, s6, v8
	v_ashrrev_i32_e32 v9, 31, v8
	v_lshlrev_b64 v[4:5], 4, v[4:5]
	v_lshlrev_b64 v[6:7], 4, v[6:7]
	v_add_co_u32 v12, vcc_lo, s0, v2
	v_add_nc_u32_e32 v2, s6, v10
	v_add_co_ci_u32_e64 v3, null, s1, v3, vcc_lo
	v_add_co_u32 v109, vcc_lo, v12, s2
	v_add_nc_u32_e32 v12, s6, v2
	v_ashrrev_i32_e32 v11, 31, v10
	v_add_co_ci_u32_e64 v110, null, s3, v3, vcc_lo
	v_lshlrev_b64 v[8:9], 4, v[8:9]
	v_add_nc_u32_e32 v16, s6, v12
	v_add_co_u32 v14, vcc_lo, v109, v108
	v_ashrrev_i32_e32 v3, 31, v2
	v_lshlrev_b64 v[10:11], 4, v[10:11]
	v_add_nc_u32_e32 v18, s6, v16
	v_add_co_ci_u32_e64 v15, null, 0, v110, vcc_lo
	v_add_co_u32 v4, vcc_lo, v109, v4
	v_add_nc_u32_e32 v20, s6, v18
	v_ashrrev_i32_e32 v13, 31, v12
	v_add_co_ci_u32_e64 v5, null, v110, v5, vcc_lo
	v_add_co_u32 v6, vcc_lo, v109, v6
	v_add_nc_u32_e32 v22, s6, v20
	v_ashrrev_i32_e32 v17, 31, v16
	v_add_co_ci_u32_e64 v7, null, v110, v7, vcc_lo
	v_add_co_u32 v8, vcc_lo, v109, v8
	v_add_nc_u32_e32 v24, s6, v22
	v_lshlrev_b64 v[2:3], 4, v[2:3]
	v_ashrrev_i32_e32 v19, 31, v18
	v_add_co_ci_u32_e64 v9, null, v110, v9, vcc_lo
	v_add_nc_u32_e32 v26, s6, v24
	v_add_co_u32 v10, vcc_lo, v109, v10
	v_lshlrev_b64 v[12:13], 4, v[12:13]
	v_ashrrev_i32_e32 v21, 31, v20
	v_add_nc_u32_e32 v28, s6, v26
	global_load_dwordx4 v[70:73], v[14:15], off
	v_add_co_ci_u32_e64 v11, null, v110, v11, vcc_lo
	v_add_co_u32 v14, vcc_lo, v14, s8
	v_add_nc_u32_e32 v30, s6, v28
	v_lshlrev_b64 v[16:17], 4, v[16:17]
	v_ashrrev_i32_e32 v23, 31, v22
	v_add_co_ci_u32_e64 v15, null, s9, v15, vcc_lo
	v_add_nc_u32_e32 v32, s6, v30
	v_add_co_u32 v2, vcc_lo, v109, v2
	v_lshlrev_b64 v[18:19], 4, v[18:19]
	v_ashrrev_i32_e32 v25, 31, v24
	v_add_co_ci_u32_e64 v3, null, v110, v3, vcc_lo
	v_add_co_u32 v12, vcc_lo, v109, v12
	v_lshlrev_b64 v[20:21], 4, v[20:21]
	v_ashrrev_i32_e32 v27, 31, v26
	v_add_co_ci_u32_e64 v13, null, v110, v13, vcc_lo
	v_add_co_u32 v16, vcc_lo, v109, v16
	v_lshlrev_b64 v[22:23], 4, v[22:23]
	v_add_nc_u32_e32 v34, s6, v32
	v_ashrrev_i32_e32 v29, 31, v28
	v_add_co_ci_u32_e64 v17, null, v110, v17, vcc_lo
	v_add_co_u32 v18, vcc_lo, v109, v18
	v_lshlrev_b64 v[24:25], 4, v[24:25]
	v_ashrrev_i32_e32 v31, 31, v30
	v_add_co_ci_u32_e64 v19, null, v110, v19, vcc_lo
	v_add_co_u32 v20, vcc_lo, v109, v20
	v_lshlrev_b64 v[26:27], 4, v[26:27]
	v_ashrrev_i32_e32 v33, 31, v32
	v_add_nc_u32_e32 v36, s6, v34
	v_add_co_ci_u32_e64 v21, null, v110, v21, vcc_lo
	v_add_co_u32 v22, vcc_lo, v109, v22
	v_lshlrev_b64 v[28:29], 4, v[28:29]
	v_ashrrev_i32_e32 v35, 31, v34
	v_add_co_ci_u32_e64 v23, null, v110, v23, vcc_lo
	v_add_co_u32 v24, vcc_lo, v109, v24
	v_lshlrev_b64 v[30:31], 4, v[30:31]
	v_add_co_ci_u32_e64 v25, null, v110, v25, vcc_lo
	v_add_co_u32 v26, vcc_lo, v109, v26
	v_lshlrev_b64 v[32:33], 4, v[32:33]
	v_add_nc_u32_e32 v38, s6, v36
	v_add_co_ci_u32_e64 v27, null, v110, v27, vcc_lo
	v_add_co_u32 v28, vcc_lo, v109, v28
	v_lshlrev_b64 v[34:35], 4, v[34:35]
	v_ashrrev_i32_e32 v37, 31, v36
	v_add_co_ci_u32_e64 v29, null, v110, v29, vcc_lo
	v_add_co_u32 v30, vcc_lo, v109, v30
	v_ashrrev_i32_e32 v39, 31, v38
	v_add_nc_u32_e32 v40, s6, v38
	v_add_co_ci_u32_e64 v31, null, v110, v31, vcc_lo
	v_add_co_u32 v32, vcc_lo, v109, v32
	v_lshlrev_b64 v[36:37], 4, v[36:37]
	v_add_co_ci_u32_e64 v33, null, v110, v33, vcc_lo
	v_add_co_u32 v98, vcc_lo, v109, v34
	v_add_co_ci_u32_e64 v99, null, v110, v35, vcc_lo
	v_lshlrev_b64 v[34:35], 4, v[38:39]
	v_ashrrev_i32_e32 v41, 31, v40
	v_add_nc_u32_e32 v38, s6, v40
	v_add_co_u32 v100, vcc_lo, v109, v36
	v_add_co_ci_u32_e64 v101, null, v110, v37, vcc_lo
	v_lshlrev_b64 v[36:37], 4, v[40:41]
	v_ashrrev_i32_e32 v39, 31, v38
	v_add_nc_u32_e32 v40, s6, v38
	v_add_co_u32 v106, vcc_lo, v109, v34
	v_add_co_ci_u32_e64 v107, null, v110, v35, vcc_lo
	v_lshlrev_b64 v[34:35], 4, v[38:39]
	v_add_nc_u32_e32 v38, s6, v40
	v_ashrrev_i32_e32 v41, 31, v40
	v_add_co_u32 v111, vcc_lo, v109, v36
	v_add_co_ci_u32_e64 v112, null, v110, v37, vcc_lo
	v_ashrrev_i32_e32 v39, 31, v38
	v_lshlrev_b64 v[36:37], 4, v[40:41]
	v_add_co_u32 v113, vcc_lo, v109, v34
	v_add_co_ci_u32_e64 v114, null, v110, v35, vcc_lo
	v_lshlrev_b64 v[34:35], 4, v[38:39]
	v_add_co_u32 v115, vcc_lo, v109, v36
	v_add_co_ci_u32_e64 v116, null, v110, v37, vcc_lo
	s_max_i32 s0, s18, 24
	v_add_co_u32 v117, vcc_lo, v109, v34
	v_add_co_ci_u32_e64 v118, null, v110, v35, vcc_lo
	s_clause 0x16
	global_load_dwordx4 v[94:97], v[14:15], off
	global_load_dwordx4 v[90:93], v[4:5], off
	;; [unrolled: 1-line block ×23, first 2 shown]
	v_mul_lo_u32 v106, s0, v1
	s_cmp_lt_i32 s18, 2
	v_lshl_add_u32 v1, v106, 4, 0
	v_add_nc_u32_e32 v98, v1, v108
	v_lshlrev_b32_e32 v108, 4, v106
	v_mov_b32_e32 v106, 0
	s_waitcnt vmcnt(23)
	ds_write2_b64 v98, v[70:71], v[72:73] offset1:1
	s_waitcnt vmcnt(0) lgkmcnt(0)
	s_barrier
	buffer_gl0_inv
	ds_read2_b64 v[98:101], v1 offset1:1
	s_cbranch_scc1 .LBB46_6
; %bb.4:
	v_add3_u32 v107, v108, 0, 16
	v_mov_b32_e32 v106, 0
	s_mov_b32 s3, 1
	s_inst_prefetch 0x1
	.p2align	6
.LBB46_5:                               ; =>This Inner Loop Header: Depth=1
	ds_read2_b64 v[111:114], v107 offset1:1
	s_waitcnt lgkmcnt(1)
	v_cmp_gt_f64_e32 vcc_lo, 0, v[98:99]
	v_cmp_gt_f64_e64 s0, 0, v[100:101]
	v_xor_b32_e32 v116, 0x80000000, v99
	v_xor_b32_e32 v118, 0x80000000, v101
	v_mov_b32_e32 v115, v98
	v_mov_b32_e32 v117, v100
	v_add_nc_u32_e32 v107, 16, v107
	s_waitcnt lgkmcnt(0)
	v_cmp_gt_f64_e64 s1, 0, v[111:112]
	v_cmp_gt_f64_e64 s2, 0, v[113:114]
	v_xor_b32_e32 v120, 0x80000000, v112
	v_xor_b32_e32 v122, 0x80000000, v114
	v_mov_b32_e32 v119, v111
	v_mov_b32_e32 v121, v113
	v_cndmask_b32_e32 v116, v99, v116, vcc_lo
	v_cndmask_b32_e64 v118, v101, v118, s0
	v_add_f64 v[115:116], v[115:116], v[117:118]
	v_cndmask_b32_e64 v120, v112, v120, s1
	v_cndmask_b32_e64 v122, v114, v122, s2
	v_add_f64 v[117:118], v[119:120], v[121:122]
	v_cmp_lt_f64_e32 vcc_lo, v[115:116], v[117:118]
	v_cndmask_b32_e32 v99, v99, v112, vcc_lo
	v_cndmask_b32_e32 v98, v98, v111, vcc_lo
	;; [unrolled: 1-line block ×4, first 2 shown]
	v_cndmask_b32_e64 v106, v106, s3, vcc_lo
	s_add_i32 s3, s3, 1
	s_cmp_eq_u32 s18, s3
	s_cbranch_scc0 .LBB46_5
.LBB46_6:
	s_inst_prefetch 0x2
	s_waitcnt lgkmcnt(0)
	v_cmp_neq_f64_e32 vcc_lo, 0, v[98:99]
	v_cmp_neq_f64_e64 s0, 0, v[100:101]
	v_mov_b32_e32 v111, 1
	v_mov_b32_e32 v113, 1
	s_or_b32 s1, vcc_lo, s0
	s_and_saveexec_b32 s0, s1
	s_cbranch_execz .LBB46_12
; %bb.7:
	v_cmp_ngt_f64_e64 s1, |v[98:99]|, |v[100:101]|
	s_and_saveexec_b32 s2, s1
	s_xor_b32 s1, exec_lo, s2
	s_cbranch_execz .LBB46_9
; %bb.8:
	v_div_scale_f64 v[111:112], null, v[100:101], v[100:101], v[98:99]
	v_div_scale_f64 v[117:118], vcc_lo, v[98:99], v[100:101], v[98:99]
	v_rcp_f64_e32 v[113:114], v[111:112]
	v_fma_f64 v[115:116], -v[111:112], v[113:114], 1.0
	v_fma_f64 v[113:114], v[113:114], v[115:116], v[113:114]
	v_fma_f64 v[115:116], -v[111:112], v[113:114], 1.0
	v_fma_f64 v[113:114], v[113:114], v[115:116], v[113:114]
	v_mul_f64 v[115:116], v[117:118], v[113:114]
	v_fma_f64 v[111:112], -v[111:112], v[115:116], v[117:118]
	v_div_fmas_f64 v[111:112], v[111:112], v[113:114], v[115:116]
	v_div_fixup_f64 v[111:112], v[111:112], v[100:101], v[98:99]
	v_fma_f64 v[98:99], v[98:99], v[111:112], v[100:101]
	v_div_scale_f64 v[100:101], null, v[98:99], v[98:99], 1.0
	v_rcp_f64_e32 v[113:114], v[100:101]
	v_fma_f64 v[115:116], -v[100:101], v[113:114], 1.0
	v_fma_f64 v[113:114], v[113:114], v[115:116], v[113:114]
	v_fma_f64 v[115:116], -v[100:101], v[113:114], 1.0
	v_fma_f64 v[113:114], v[113:114], v[115:116], v[113:114]
	v_div_scale_f64 v[115:116], vcc_lo, 1.0, v[98:99], 1.0
	v_mul_f64 v[117:118], v[115:116], v[113:114]
	v_fma_f64 v[100:101], -v[100:101], v[117:118], v[115:116]
	v_div_fmas_f64 v[100:101], v[100:101], v[113:114], v[117:118]
	v_div_fixup_f64 v[100:101], v[100:101], v[98:99], 1.0
	v_mul_f64 v[98:99], v[111:112], v[100:101]
	v_xor_b32_e32 v101, 0x80000000, v101
.LBB46_9:
	s_andn2_saveexec_b32 s1, s1
	s_cbranch_execz .LBB46_11
; %bb.10:
	v_div_scale_f64 v[111:112], null, v[98:99], v[98:99], v[100:101]
	v_div_scale_f64 v[117:118], vcc_lo, v[100:101], v[98:99], v[100:101]
	v_rcp_f64_e32 v[113:114], v[111:112]
	v_fma_f64 v[115:116], -v[111:112], v[113:114], 1.0
	v_fma_f64 v[113:114], v[113:114], v[115:116], v[113:114]
	v_fma_f64 v[115:116], -v[111:112], v[113:114], 1.0
	v_fma_f64 v[113:114], v[113:114], v[115:116], v[113:114]
	v_mul_f64 v[115:116], v[117:118], v[113:114]
	v_fma_f64 v[111:112], -v[111:112], v[115:116], v[117:118]
	v_div_fmas_f64 v[111:112], v[111:112], v[113:114], v[115:116]
	v_div_fixup_f64 v[111:112], v[111:112], v[98:99], v[100:101]
	v_fma_f64 v[98:99], v[100:101], v[111:112], v[98:99]
	v_div_scale_f64 v[100:101], null, v[98:99], v[98:99], 1.0
	v_rcp_f64_e32 v[113:114], v[100:101]
	v_fma_f64 v[115:116], -v[100:101], v[113:114], 1.0
	v_fma_f64 v[113:114], v[113:114], v[115:116], v[113:114]
	v_fma_f64 v[115:116], -v[100:101], v[113:114], 1.0
	v_fma_f64 v[113:114], v[113:114], v[115:116], v[113:114]
	v_div_scale_f64 v[115:116], vcc_lo, 1.0, v[98:99], 1.0
	v_mul_f64 v[117:118], v[115:116], v[113:114]
	v_fma_f64 v[100:101], -v[100:101], v[117:118], v[115:116]
	v_div_fmas_f64 v[100:101], v[100:101], v[113:114], v[117:118]
	v_div_fixup_f64 v[98:99], v[100:101], v[98:99], 1.0
	v_mul_f64 v[100:101], v[111:112], -v[98:99]
.LBB46_11:
	s_or_b32 exec_lo, exec_lo, s1
	v_mov_b32_e32 v113, 0
	v_mov_b32_e32 v111, 2
.LBB46_12:
	s_or_b32 exec_lo, exec_lo, s0
	s_mov_b32 s0, exec_lo
	v_cmpx_ne_u32_e64 v0, v106
	s_xor_b32 s0, exec_lo, s0
	s_cbranch_execz .LBB46_18
; %bb.13:
	s_mov_b32 s1, exec_lo
	v_cmpx_eq_u32_e32 0, v0
	s_cbranch_execz .LBB46_17
; %bb.14:
	v_cmp_ne_u32_e32 vcc_lo, 0, v106
	s_xor_b32 s2, s16, -1
	s_and_b32 s3, s2, vcc_lo
	s_and_saveexec_b32 s2, s3
	s_cbranch_execz .LBB46_16
; %bb.15:
	v_ashrrev_i32_e32 v107, 31, v106
	v_lshlrev_b64 v[114:115], 2, v[106:107]
	v_add_co_u32 v114, vcc_lo, v104, v114
	v_add_co_ci_u32_e64 v115, null, v105, v115, vcc_lo
	s_clause 0x1
	global_load_dword v0, v[114:115], off
	global_load_dword v107, v[104:105], off
	s_waitcnt vmcnt(1)
	global_store_dword v[104:105], v0, off
	s_waitcnt vmcnt(0)
	global_store_dword v[114:115], v107, off
.LBB46_16:
	s_or_b32 exec_lo, exec_lo, s2
	v_mov_b32_e32 v0, v106
.LBB46_17:
	s_or_b32 exec_lo, exec_lo, s1
.LBB46_18:
	s_or_saveexec_b32 s0, s0
	v_mov_b32_e32 v112, v0
	s_xor_b32 exec_lo, exec_lo, s0
	s_cbranch_execz .LBB46_20
; %bb.19:
	v_mov_b32_e32 v112, 0
	ds_write2_b64 v1, v[94:95], v[96:97] offset0:2 offset1:3
	ds_write2_b64 v1, v[90:91], v[92:93] offset0:4 offset1:5
	;; [unrolled: 1-line block ×23, first 2 shown]
.LBB46_20:
	s_or_b32 exec_lo, exec_lo, s0
	s_mov_b32 s0, exec_lo
	s_waitcnt lgkmcnt(0)
	s_waitcnt_vscnt null, 0x0
	s_barrier
	buffer_gl0_inv
	v_cmpx_lt_i32_e32 0, v112
	s_cbranch_execz .LBB46_22
; %bb.21:
	v_mul_f64 v[106:107], v[100:101], v[72:73]
	v_mul_f64 v[72:73], v[98:99], v[72:73]
	v_fma_f64 v[106:107], v[98:99], v[70:71], -v[106:107]
	v_fma_f64 v[72:73], v[100:101], v[70:71], v[72:73]
	ds_read2_b64 v[98:101], v1 offset0:2 offset1:3
	s_waitcnt lgkmcnt(0)
	v_mul_f64 v[70:71], v[100:101], v[72:73]
	v_fma_f64 v[70:71], v[98:99], v[106:107], -v[70:71]
	v_mul_f64 v[98:99], v[98:99], v[72:73]
	v_add_f64 v[94:95], v[94:95], -v[70:71]
	v_fma_f64 v[98:99], v[100:101], v[106:107], v[98:99]
	v_add_f64 v[96:97], v[96:97], -v[98:99]
	ds_read2_b64 v[98:101], v1 offset0:4 offset1:5
	s_waitcnt lgkmcnt(0)
	v_mul_f64 v[70:71], v[100:101], v[72:73]
	v_fma_f64 v[70:71], v[98:99], v[106:107], -v[70:71]
	v_mul_f64 v[98:99], v[98:99], v[72:73]
	v_add_f64 v[90:91], v[90:91], -v[70:71]
	v_fma_f64 v[98:99], v[100:101], v[106:107], v[98:99]
	v_add_f64 v[92:93], v[92:93], -v[98:99]
	;; [unrolled: 8-line block ×22, first 2 shown]
	ds_read2_b64 v[98:101], v1 offset0:46 offset1:47
	s_waitcnt lgkmcnt(0)
	v_mul_f64 v[70:71], v[100:101], v[72:73]
	v_fma_f64 v[70:71], v[98:99], v[106:107], -v[70:71]
	v_mul_f64 v[98:99], v[98:99], v[72:73]
	v_add_f64 v[2:3], v[2:3], -v[70:71]
	v_fma_f64 v[98:99], v[100:101], v[106:107], v[98:99]
	v_mov_b32_e32 v70, v106
	v_mov_b32_e32 v71, v107
	v_add_f64 v[4:5], v[4:5], -v[98:99]
.LBB46_22:
	s_or_b32 exec_lo, exec_lo, s0
	v_lshl_add_u32 v98, v112, 4, v1
	s_barrier
	buffer_gl0_inv
	v_mov_b32_e32 v106, 1
	ds_write2_b64 v98, v[94:95], v[96:97] offset1:1
	s_waitcnt lgkmcnt(0)
	s_barrier
	buffer_gl0_inv
	ds_read2_b64 v[98:101], v1 offset0:2 offset1:3
	s_cmp_lt_i32 s18, 3
	s_cbranch_scc1 .LBB46_25
; %bb.23:
	v_add3_u32 v107, v108, 0, 32
	v_mov_b32_e32 v106, 1
	s_mov_b32 s1, 2
	s_inst_prefetch 0x1
	.p2align	6
.LBB46_24:                              ; =>This Inner Loop Header: Depth=1
	s_waitcnt lgkmcnt(0)
	v_cmp_gt_f64_e32 vcc_lo, 0, v[100:101]
	v_cmp_gt_f64_e64 s0, 0, v[98:99]
	ds_read2_b64 v[114:117], v107 offset1:1
	v_xor_b32_e32 v119, 0x80000000, v99
	v_xor_b32_e32 v121, 0x80000000, v101
	v_mov_b32_e32 v118, v98
	v_mov_b32_e32 v120, v100
	v_add_nc_u32_e32 v107, 16, v107
	s_waitcnt lgkmcnt(0)
	v_xor_b32_e32 v123, 0x80000000, v117
	v_cndmask_b32_e64 v119, v99, v119, s0
	v_cndmask_b32_e32 v121, v101, v121, vcc_lo
	v_cmp_gt_f64_e32 vcc_lo, 0, v[116:117]
	v_cmp_gt_f64_e64 s0, 0, v[114:115]
	v_mov_b32_e32 v122, v116
	v_add_f64 v[118:119], v[118:119], v[120:121]
	v_xor_b32_e32 v121, 0x80000000, v115
	v_mov_b32_e32 v120, v114
	v_cndmask_b32_e32 v123, v117, v123, vcc_lo
	v_cndmask_b32_e64 v121, v115, v121, s0
	v_add_f64 v[120:121], v[120:121], v[122:123]
	v_cmp_lt_f64_e32 vcc_lo, v[118:119], v[120:121]
	v_cndmask_b32_e32 v99, v99, v115, vcc_lo
	v_cndmask_b32_e32 v98, v98, v114, vcc_lo
	;; [unrolled: 1-line block ×4, first 2 shown]
	v_cndmask_b32_e64 v106, v106, s1, vcc_lo
	s_add_i32 s1, s1, 1
	s_cmp_lg_u32 s18, s1
	s_cbranch_scc1 .LBB46_24
.LBB46_25:
	s_inst_prefetch 0x2
	s_waitcnt lgkmcnt(0)
	v_cmp_neq_f64_e32 vcc_lo, 0, v[98:99]
	v_cmp_neq_f64_e64 s0, 0, v[100:101]
	s_or_b32 s1, vcc_lo, s0
	s_and_saveexec_b32 s0, s1
	s_cbranch_execz .LBB46_31
; %bb.26:
	v_cmp_ngt_f64_e64 s1, |v[98:99]|, |v[100:101]|
	s_and_saveexec_b32 s2, s1
	s_xor_b32 s1, exec_lo, s2
	s_cbranch_execz .LBB46_28
; %bb.27:
	v_div_scale_f64 v[114:115], null, v[100:101], v[100:101], v[98:99]
	v_div_scale_f64 v[120:121], vcc_lo, v[98:99], v[100:101], v[98:99]
	v_rcp_f64_e32 v[116:117], v[114:115]
	v_fma_f64 v[118:119], -v[114:115], v[116:117], 1.0
	v_fma_f64 v[116:117], v[116:117], v[118:119], v[116:117]
	v_fma_f64 v[118:119], -v[114:115], v[116:117], 1.0
	v_fma_f64 v[116:117], v[116:117], v[118:119], v[116:117]
	v_mul_f64 v[118:119], v[120:121], v[116:117]
	v_fma_f64 v[114:115], -v[114:115], v[118:119], v[120:121]
	v_div_fmas_f64 v[114:115], v[114:115], v[116:117], v[118:119]
	v_div_fixup_f64 v[114:115], v[114:115], v[100:101], v[98:99]
	v_fma_f64 v[98:99], v[98:99], v[114:115], v[100:101]
	v_div_scale_f64 v[100:101], null, v[98:99], v[98:99], 1.0
	v_rcp_f64_e32 v[116:117], v[100:101]
	v_fma_f64 v[118:119], -v[100:101], v[116:117], 1.0
	v_fma_f64 v[116:117], v[116:117], v[118:119], v[116:117]
	v_fma_f64 v[118:119], -v[100:101], v[116:117], 1.0
	v_fma_f64 v[116:117], v[116:117], v[118:119], v[116:117]
	v_div_scale_f64 v[118:119], vcc_lo, 1.0, v[98:99], 1.0
	v_mul_f64 v[120:121], v[118:119], v[116:117]
	v_fma_f64 v[100:101], -v[100:101], v[120:121], v[118:119]
	v_div_fmas_f64 v[100:101], v[100:101], v[116:117], v[120:121]
	v_div_fixup_f64 v[100:101], v[100:101], v[98:99], 1.0
	v_mul_f64 v[98:99], v[114:115], v[100:101]
	v_xor_b32_e32 v101, 0x80000000, v101
.LBB46_28:
	s_andn2_saveexec_b32 s1, s1
	s_cbranch_execz .LBB46_30
; %bb.29:
	v_div_scale_f64 v[114:115], null, v[98:99], v[98:99], v[100:101]
	v_div_scale_f64 v[120:121], vcc_lo, v[100:101], v[98:99], v[100:101]
	v_rcp_f64_e32 v[116:117], v[114:115]
	v_fma_f64 v[118:119], -v[114:115], v[116:117], 1.0
	v_fma_f64 v[116:117], v[116:117], v[118:119], v[116:117]
	v_fma_f64 v[118:119], -v[114:115], v[116:117], 1.0
	v_fma_f64 v[116:117], v[116:117], v[118:119], v[116:117]
	v_mul_f64 v[118:119], v[120:121], v[116:117]
	v_fma_f64 v[114:115], -v[114:115], v[118:119], v[120:121]
	v_div_fmas_f64 v[114:115], v[114:115], v[116:117], v[118:119]
	v_div_fixup_f64 v[114:115], v[114:115], v[98:99], v[100:101]
	v_fma_f64 v[98:99], v[100:101], v[114:115], v[98:99]
	v_div_scale_f64 v[100:101], null, v[98:99], v[98:99], 1.0
	v_rcp_f64_e32 v[116:117], v[100:101]
	v_fma_f64 v[118:119], -v[100:101], v[116:117], 1.0
	v_fma_f64 v[116:117], v[116:117], v[118:119], v[116:117]
	v_fma_f64 v[118:119], -v[100:101], v[116:117], 1.0
	v_fma_f64 v[116:117], v[116:117], v[118:119], v[116:117]
	v_div_scale_f64 v[118:119], vcc_lo, 1.0, v[98:99], 1.0
	v_mul_f64 v[120:121], v[118:119], v[116:117]
	v_fma_f64 v[100:101], -v[100:101], v[120:121], v[118:119]
	v_div_fmas_f64 v[100:101], v[100:101], v[116:117], v[120:121]
	v_div_fixup_f64 v[98:99], v[100:101], v[98:99], 1.0
	v_mul_f64 v[100:101], v[114:115], -v[98:99]
.LBB46_30:
	s_or_b32 exec_lo, exec_lo, s1
	v_mov_b32_e32 v111, v113
.LBB46_31:
	s_or_b32 exec_lo, exec_lo, s0
	s_mov_b32 s0, exec_lo
	v_cmpx_ne_u32_e64 v112, v106
	s_xor_b32 s0, exec_lo, s0
	s_cbranch_execz .LBB46_37
; %bb.32:
	s_mov_b32 s1, exec_lo
	v_cmpx_eq_u32_e32 1, v112
	s_cbranch_execz .LBB46_36
; %bb.33:
	v_cmp_ne_u32_e32 vcc_lo, 1, v106
	s_xor_b32 s2, s16, -1
	s_and_b32 s3, s2, vcc_lo
	s_and_saveexec_b32 s2, s3
	s_cbranch_execz .LBB46_35
; %bb.34:
	v_ashrrev_i32_e32 v107, 31, v106
	v_lshlrev_b64 v[112:113], 2, v[106:107]
	v_add_co_u32 v112, vcc_lo, v104, v112
	v_add_co_ci_u32_e64 v113, null, v105, v113, vcc_lo
	s_clause 0x1
	global_load_dword v0, v[112:113], off
	global_load_dword v107, v[104:105], off offset:4
	s_waitcnt vmcnt(1)
	global_store_dword v[104:105], v0, off offset:4
	s_waitcnt vmcnt(0)
	global_store_dword v[112:113], v107, off
.LBB46_35:
	s_or_b32 exec_lo, exec_lo, s2
	v_mov_b32_e32 v112, v106
	v_mov_b32_e32 v0, v106
.LBB46_36:
	s_or_b32 exec_lo, exec_lo, s1
.LBB46_37:
	s_andn2_saveexec_b32 s0, s0
	s_cbranch_execz .LBB46_39
; %bb.38:
	v_mov_b32_e32 v112, 1
	ds_write2_b64 v1, v[90:91], v[92:93] offset0:4 offset1:5
	ds_write2_b64 v1, v[86:87], v[88:89] offset0:6 offset1:7
	;; [unrolled: 1-line block ×22, first 2 shown]
.LBB46_39:
	s_or_b32 exec_lo, exec_lo, s0
	s_mov_b32 s0, exec_lo
	s_waitcnt lgkmcnt(0)
	s_waitcnt_vscnt null, 0x0
	s_barrier
	buffer_gl0_inv
	v_cmpx_lt_i32_e32 1, v112
	s_cbranch_execz .LBB46_41
; %bb.40:
	v_mul_f64 v[106:107], v[100:101], v[96:97]
	v_mul_f64 v[96:97], v[98:99], v[96:97]
	v_fma_f64 v[106:107], v[98:99], v[94:95], -v[106:107]
	v_fma_f64 v[96:97], v[100:101], v[94:95], v[96:97]
	ds_read2_b64 v[98:101], v1 offset0:4 offset1:5
	s_waitcnt lgkmcnt(0)
	v_mul_f64 v[94:95], v[100:101], v[96:97]
	v_fma_f64 v[94:95], v[98:99], v[106:107], -v[94:95]
	v_mul_f64 v[98:99], v[98:99], v[96:97]
	v_add_f64 v[90:91], v[90:91], -v[94:95]
	v_fma_f64 v[98:99], v[100:101], v[106:107], v[98:99]
	v_add_f64 v[92:93], v[92:93], -v[98:99]
	ds_read2_b64 v[98:101], v1 offset0:6 offset1:7
	s_waitcnt lgkmcnt(0)
	v_mul_f64 v[94:95], v[100:101], v[96:97]
	v_fma_f64 v[94:95], v[98:99], v[106:107], -v[94:95]
	v_mul_f64 v[98:99], v[98:99], v[96:97]
	v_add_f64 v[86:87], v[86:87], -v[94:95]
	v_fma_f64 v[98:99], v[100:101], v[106:107], v[98:99]
	v_add_f64 v[88:89], v[88:89], -v[98:99]
	;; [unrolled: 8-line block ×21, first 2 shown]
	ds_read2_b64 v[98:101], v1 offset0:46 offset1:47
	s_waitcnt lgkmcnt(0)
	v_mul_f64 v[94:95], v[100:101], v[96:97]
	v_fma_f64 v[94:95], v[98:99], v[106:107], -v[94:95]
	v_mul_f64 v[98:99], v[98:99], v[96:97]
	v_add_f64 v[2:3], v[2:3], -v[94:95]
	v_fma_f64 v[98:99], v[100:101], v[106:107], v[98:99]
	v_mov_b32_e32 v94, v106
	v_mov_b32_e32 v95, v107
	v_add_f64 v[4:5], v[4:5], -v[98:99]
.LBB46_41:
	s_or_b32 exec_lo, exec_lo, s0
	v_lshl_add_u32 v98, v112, 4, v1
	s_barrier
	buffer_gl0_inv
	v_mov_b32_e32 v106, 2
	ds_write2_b64 v98, v[90:91], v[92:93] offset1:1
	s_waitcnt lgkmcnt(0)
	s_barrier
	buffer_gl0_inv
	ds_read2_b64 v[98:101], v1 offset0:4 offset1:5
	s_cmp_lt_i32 s18, 4
	s_cbranch_scc1 .LBB46_44
; %bb.42:
	v_add3_u32 v107, v108, 0, 48
	v_mov_b32_e32 v106, 2
	s_mov_b32 s1, 3
	s_inst_prefetch 0x1
	.p2align	6
.LBB46_43:                              ; =>This Inner Loop Header: Depth=1
	s_waitcnt lgkmcnt(0)
	v_cmp_gt_f64_e32 vcc_lo, 0, v[100:101]
	v_cmp_gt_f64_e64 s0, 0, v[98:99]
	ds_read2_b64 v[113:116], v107 offset1:1
	v_xor_b32_e32 v118, 0x80000000, v99
	v_xor_b32_e32 v120, 0x80000000, v101
	v_mov_b32_e32 v117, v98
	v_mov_b32_e32 v119, v100
	v_add_nc_u32_e32 v107, 16, v107
	s_waitcnt lgkmcnt(0)
	v_xor_b32_e32 v122, 0x80000000, v116
	v_cndmask_b32_e64 v118, v99, v118, s0
	v_cndmask_b32_e32 v120, v101, v120, vcc_lo
	v_cmp_gt_f64_e32 vcc_lo, 0, v[115:116]
	v_cmp_gt_f64_e64 s0, 0, v[113:114]
	v_mov_b32_e32 v121, v115
	v_add_f64 v[117:118], v[117:118], v[119:120]
	v_xor_b32_e32 v120, 0x80000000, v114
	v_mov_b32_e32 v119, v113
	v_cndmask_b32_e32 v122, v116, v122, vcc_lo
	v_cndmask_b32_e64 v120, v114, v120, s0
	v_add_f64 v[119:120], v[119:120], v[121:122]
	v_cmp_lt_f64_e32 vcc_lo, v[117:118], v[119:120]
	v_cndmask_b32_e32 v99, v99, v114, vcc_lo
	v_cndmask_b32_e32 v98, v98, v113, vcc_lo
	v_cndmask_b32_e32 v101, v101, v116, vcc_lo
	v_cndmask_b32_e32 v100, v100, v115, vcc_lo
	v_cndmask_b32_e64 v106, v106, s1, vcc_lo
	s_add_i32 s1, s1, 1
	s_cmp_lg_u32 s18, s1
	s_cbranch_scc1 .LBB46_43
.LBB46_44:
	s_inst_prefetch 0x2
	s_waitcnt lgkmcnt(0)
	v_cmp_eq_f64_e32 vcc_lo, 0, v[98:99]
	v_cmp_eq_f64_e64 s0, 0, v[100:101]
	s_and_b32 s0, vcc_lo, s0
	s_and_saveexec_b32 s1, s0
	s_xor_b32 s0, exec_lo, s1
; %bb.45:
	v_cmp_ne_u32_e32 vcc_lo, 0, v111
	v_cndmask_b32_e32 v111, 3, v111, vcc_lo
; %bb.46:
	s_andn2_saveexec_b32 s0, s0
	s_cbranch_execz .LBB46_52
; %bb.47:
	v_cmp_ngt_f64_e64 s1, |v[98:99]|, |v[100:101]|
	s_and_saveexec_b32 s2, s1
	s_xor_b32 s1, exec_lo, s2
	s_cbranch_execz .LBB46_49
; %bb.48:
	v_div_scale_f64 v[113:114], null, v[100:101], v[100:101], v[98:99]
	v_div_scale_f64 v[119:120], vcc_lo, v[98:99], v[100:101], v[98:99]
	v_rcp_f64_e32 v[115:116], v[113:114]
	v_fma_f64 v[117:118], -v[113:114], v[115:116], 1.0
	v_fma_f64 v[115:116], v[115:116], v[117:118], v[115:116]
	v_fma_f64 v[117:118], -v[113:114], v[115:116], 1.0
	v_fma_f64 v[115:116], v[115:116], v[117:118], v[115:116]
	v_mul_f64 v[117:118], v[119:120], v[115:116]
	v_fma_f64 v[113:114], -v[113:114], v[117:118], v[119:120]
	v_div_fmas_f64 v[113:114], v[113:114], v[115:116], v[117:118]
	v_div_fixup_f64 v[113:114], v[113:114], v[100:101], v[98:99]
	v_fma_f64 v[98:99], v[98:99], v[113:114], v[100:101]
	v_div_scale_f64 v[100:101], null, v[98:99], v[98:99], 1.0
	v_rcp_f64_e32 v[115:116], v[100:101]
	v_fma_f64 v[117:118], -v[100:101], v[115:116], 1.0
	v_fma_f64 v[115:116], v[115:116], v[117:118], v[115:116]
	v_fma_f64 v[117:118], -v[100:101], v[115:116], 1.0
	v_fma_f64 v[115:116], v[115:116], v[117:118], v[115:116]
	v_div_scale_f64 v[117:118], vcc_lo, 1.0, v[98:99], 1.0
	v_mul_f64 v[119:120], v[117:118], v[115:116]
	v_fma_f64 v[100:101], -v[100:101], v[119:120], v[117:118]
	v_div_fmas_f64 v[100:101], v[100:101], v[115:116], v[119:120]
	v_div_fixup_f64 v[100:101], v[100:101], v[98:99], 1.0
	v_mul_f64 v[98:99], v[113:114], v[100:101]
	v_xor_b32_e32 v101, 0x80000000, v101
.LBB46_49:
	s_andn2_saveexec_b32 s1, s1
	s_cbranch_execz .LBB46_51
; %bb.50:
	v_div_scale_f64 v[113:114], null, v[98:99], v[98:99], v[100:101]
	v_div_scale_f64 v[119:120], vcc_lo, v[100:101], v[98:99], v[100:101]
	v_rcp_f64_e32 v[115:116], v[113:114]
	v_fma_f64 v[117:118], -v[113:114], v[115:116], 1.0
	v_fma_f64 v[115:116], v[115:116], v[117:118], v[115:116]
	v_fma_f64 v[117:118], -v[113:114], v[115:116], 1.0
	v_fma_f64 v[115:116], v[115:116], v[117:118], v[115:116]
	v_mul_f64 v[117:118], v[119:120], v[115:116]
	v_fma_f64 v[113:114], -v[113:114], v[117:118], v[119:120]
	v_div_fmas_f64 v[113:114], v[113:114], v[115:116], v[117:118]
	v_div_fixup_f64 v[113:114], v[113:114], v[98:99], v[100:101]
	v_fma_f64 v[98:99], v[100:101], v[113:114], v[98:99]
	v_div_scale_f64 v[100:101], null, v[98:99], v[98:99], 1.0
	v_rcp_f64_e32 v[115:116], v[100:101]
	v_fma_f64 v[117:118], -v[100:101], v[115:116], 1.0
	v_fma_f64 v[115:116], v[115:116], v[117:118], v[115:116]
	v_fma_f64 v[117:118], -v[100:101], v[115:116], 1.0
	v_fma_f64 v[115:116], v[115:116], v[117:118], v[115:116]
	v_div_scale_f64 v[117:118], vcc_lo, 1.0, v[98:99], 1.0
	v_mul_f64 v[119:120], v[117:118], v[115:116]
	v_fma_f64 v[100:101], -v[100:101], v[119:120], v[117:118]
	v_div_fmas_f64 v[100:101], v[100:101], v[115:116], v[119:120]
	v_div_fixup_f64 v[98:99], v[100:101], v[98:99], 1.0
	v_mul_f64 v[100:101], v[113:114], -v[98:99]
.LBB46_51:
	s_or_b32 exec_lo, exec_lo, s1
.LBB46_52:
	s_or_b32 exec_lo, exec_lo, s0
	s_mov_b32 s0, exec_lo
	v_cmpx_ne_u32_e64 v112, v106
	s_xor_b32 s0, exec_lo, s0
	s_cbranch_execz .LBB46_58
; %bb.53:
	s_mov_b32 s1, exec_lo
	v_cmpx_eq_u32_e32 2, v112
	s_cbranch_execz .LBB46_57
; %bb.54:
	v_cmp_ne_u32_e32 vcc_lo, 2, v106
	s_xor_b32 s2, s16, -1
	s_and_b32 s3, s2, vcc_lo
	s_and_saveexec_b32 s2, s3
	s_cbranch_execz .LBB46_56
; %bb.55:
	v_ashrrev_i32_e32 v107, 31, v106
	v_lshlrev_b64 v[112:113], 2, v[106:107]
	v_add_co_u32 v112, vcc_lo, v104, v112
	v_add_co_ci_u32_e64 v113, null, v105, v113, vcc_lo
	s_clause 0x1
	global_load_dword v0, v[112:113], off
	global_load_dword v107, v[104:105], off offset:8
	s_waitcnt vmcnt(1)
	global_store_dword v[104:105], v0, off offset:8
	s_waitcnt vmcnt(0)
	global_store_dword v[112:113], v107, off
.LBB46_56:
	s_or_b32 exec_lo, exec_lo, s2
	v_mov_b32_e32 v112, v106
	v_mov_b32_e32 v0, v106
.LBB46_57:
	s_or_b32 exec_lo, exec_lo, s1
.LBB46_58:
	s_andn2_saveexec_b32 s0, s0
	s_cbranch_execz .LBB46_60
; %bb.59:
	v_mov_b32_e32 v112, 2
	ds_write2_b64 v1, v[86:87], v[88:89] offset0:6 offset1:7
	ds_write2_b64 v1, v[82:83], v[84:85] offset0:8 offset1:9
	;; [unrolled: 1-line block ×21, first 2 shown]
.LBB46_60:
	s_or_b32 exec_lo, exec_lo, s0
	s_mov_b32 s0, exec_lo
	s_waitcnt lgkmcnt(0)
	s_waitcnt_vscnt null, 0x0
	s_barrier
	buffer_gl0_inv
	v_cmpx_lt_i32_e32 2, v112
	s_cbranch_execz .LBB46_62
; %bb.61:
	v_mul_f64 v[106:107], v[100:101], v[92:93]
	v_mul_f64 v[92:93], v[98:99], v[92:93]
	v_fma_f64 v[106:107], v[98:99], v[90:91], -v[106:107]
	v_fma_f64 v[92:93], v[100:101], v[90:91], v[92:93]
	ds_read2_b64 v[98:101], v1 offset0:6 offset1:7
	s_waitcnt lgkmcnt(0)
	v_mul_f64 v[90:91], v[100:101], v[92:93]
	v_fma_f64 v[90:91], v[98:99], v[106:107], -v[90:91]
	v_mul_f64 v[98:99], v[98:99], v[92:93]
	v_add_f64 v[86:87], v[86:87], -v[90:91]
	v_fma_f64 v[98:99], v[100:101], v[106:107], v[98:99]
	v_add_f64 v[88:89], v[88:89], -v[98:99]
	ds_read2_b64 v[98:101], v1 offset0:8 offset1:9
	s_waitcnt lgkmcnt(0)
	v_mul_f64 v[90:91], v[100:101], v[92:93]
	v_fma_f64 v[90:91], v[98:99], v[106:107], -v[90:91]
	v_mul_f64 v[98:99], v[98:99], v[92:93]
	v_add_f64 v[82:83], v[82:83], -v[90:91]
	v_fma_f64 v[98:99], v[100:101], v[106:107], v[98:99]
	v_add_f64 v[84:85], v[84:85], -v[98:99]
	;; [unrolled: 8-line block ×20, first 2 shown]
	ds_read2_b64 v[98:101], v1 offset0:46 offset1:47
	s_waitcnt lgkmcnt(0)
	v_mul_f64 v[90:91], v[100:101], v[92:93]
	v_fma_f64 v[90:91], v[98:99], v[106:107], -v[90:91]
	v_mul_f64 v[98:99], v[98:99], v[92:93]
	v_add_f64 v[2:3], v[2:3], -v[90:91]
	v_fma_f64 v[98:99], v[100:101], v[106:107], v[98:99]
	v_mov_b32_e32 v90, v106
	v_mov_b32_e32 v91, v107
	v_add_f64 v[4:5], v[4:5], -v[98:99]
.LBB46_62:
	s_or_b32 exec_lo, exec_lo, s0
	v_lshl_add_u32 v98, v112, 4, v1
	s_barrier
	buffer_gl0_inv
	v_mov_b32_e32 v106, 3
	ds_write2_b64 v98, v[86:87], v[88:89] offset1:1
	s_waitcnt lgkmcnt(0)
	s_barrier
	buffer_gl0_inv
	ds_read2_b64 v[98:101], v1 offset0:6 offset1:7
	s_cmp_lt_i32 s18, 5
	s_mov_b32 s1, 4
	s_cbranch_scc1 .LBB46_65
; %bb.63:
	v_add3_u32 v107, v108, 0, 64
	v_mov_b32_e32 v106, 3
	s_inst_prefetch 0x1
	.p2align	6
.LBB46_64:                              ; =>This Inner Loop Header: Depth=1
	s_waitcnt lgkmcnt(0)
	v_cmp_gt_f64_e32 vcc_lo, 0, v[100:101]
	v_cmp_gt_f64_e64 s0, 0, v[98:99]
	ds_read2_b64 v[113:116], v107 offset1:1
	v_xor_b32_e32 v118, 0x80000000, v99
	v_xor_b32_e32 v120, 0x80000000, v101
	v_mov_b32_e32 v117, v98
	v_mov_b32_e32 v119, v100
	v_add_nc_u32_e32 v107, 16, v107
	s_waitcnt lgkmcnt(0)
	v_xor_b32_e32 v122, 0x80000000, v116
	v_cndmask_b32_e64 v118, v99, v118, s0
	v_cndmask_b32_e32 v120, v101, v120, vcc_lo
	v_cmp_gt_f64_e32 vcc_lo, 0, v[115:116]
	v_cmp_gt_f64_e64 s0, 0, v[113:114]
	v_mov_b32_e32 v121, v115
	v_add_f64 v[117:118], v[117:118], v[119:120]
	v_xor_b32_e32 v120, 0x80000000, v114
	v_mov_b32_e32 v119, v113
	v_cndmask_b32_e32 v122, v116, v122, vcc_lo
	v_cndmask_b32_e64 v120, v114, v120, s0
	v_add_f64 v[119:120], v[119:120], v[121:122]
	v_cmp_lt_f64_e32 vcc_lo, v[117:118], v[119:120]
	v_cndmask_b32_e32 v99, v99, v114, vcc_lo
	v_cndmask_b32_e32 v98, v98, v113, vcc_lo
	;; [unrolled: 1-line block ×4, first 2 shown]
	v_cndmask_b32_e64 v106, v106, s1, vcc_lo
	s_add_i32 s1, s1, 1
	s_cmp_lg_u32 s18, s1
	s_cbranch_scc1 .LBB46_64
.LBB46_65:
	s_inst_prefetch 0x2
	s_waitcnt lgkmcnt(0)
	v_cmp_eq_f64_e32 vcc_lo, 0, v[98:99]
	v_cmp_eq_f64_e64 s0, 0, v[100:101]
	s_and_b32 s0, vcc_lo, s0
	s_and_saveexec_b32 s1, s0
	s_xor_b32 s0, exec_lo, s1
; %bb.66:
	v_cmp_ne_u32_e32 vcc_lo, 0, v111
	v_cndmask_b32_e32 v111, 4, v111, vcc_lo
; %bb.67:
	s_andn2_saveexec_b32 s0, s0
	s_cbranch_execz .LBB46_73
; %bb.68:
	v_cmp_ngt_f64_e64 s1, |v[98:99]|, |v[100:101]|
	s_and_saveexec_b32 s2, s1
	s_xor_b32 s1, exec_lo, s2
	s_cbranch_execz .LBB46_70
; %bb.69:
	v_div_scale_f64 v[113:114], null, v[100:101], v[100:101], v[98:99]
	v_div_scale_f64 v[119:120], vcc_lo, v[98:99], v[100:101], v[98:99]
	v_rcp_f64_e32 v[115:116], v[113:114]
	v_fma_f64 v[117:118], -v[113:114], v[115:116], 1.0
	v_fma_f64 v[115:116], v[115:116], v[117:118], v[115:116]
	v_fma_f64 v[117:118], -v[113:114], v[115:116], 1.0
	v_fma_f64 v[115:116], v[115:116], v[117:118], v[115:116]
	v_mul_f64 v[117:118], v[119:120], v[115:116]
	v_fma_f64 v[113:114], -v[113:114], v[117:118], v[119:120]
	v_div_fmas_f64 v[113:114], v[113:114], v[115:116], v[117:118]
	v_div_fixup_f64 v[113:114], v[113:114], v[100:101], v[98:99]
	v_fma_f64 v[98:99], v[98:99], v[113:114], v[100:101]
	v_div_scale_f64 v[100:101], null, v[98:99], v[98:99], 1.0
	v_rcp_f64_e32 v[115:116], v[100:101]
	v_fma_f64 v[117:118], -v[100:101], v[115:116], 1.0
	v_fma_f64 v[115:116], v[115:116], v[117:118], v[115:116]
	v_fma_f64 v[117:118], -v[100:101], v[115:116], 1.0
	v_fma_f64 v[115:116], v[115:116], v[117:118], v[115:116]
	v_div_scale_f64 v[117:118], vcc_lo, 1.0, v[98:99], 1.0
	v_mul_f64 v[119:120], v[117:118], v[115:116]
	v_fma_f64 v[100:101], -v[100:101], v[119:120], v[117:118]
	v_div_fmas_f64 v[100:101], v[100:101], v[115:116], v[119:120]
	v_div_fixup_f64 v[100:101], v[100:101], v[98:99], 1.0
	v_mul_f64 v[98:99], v[113:114], v[100:101]
	v_xor_b32_e32 v101, 0x80000000, v101
.LBB46_70:
	s_andn2_saveexec_b32 s1, s1
	s_cbranch_execz .LBB46_72
; %bb.71:
	v_div_scale_f64 v[113:114], null, v[98:99], v[98:99], v[100:101]
	v_div_scale_f64 v[119:120], vcc_lo, v[100:101], v[98:99], v[100:101]
	v_rcp_f64_e32 v[115:116], v[113:114]
	v_fma_f64 v[117:118], -v[113:114], v[115:116], 1.0
	v_fma_f64 v[115:116], v[115:116], v[117:118], v[115:116]
	v_fma_f64 v[117:118], -v[113:114], v[115:116], 1.0
	v_fma_f64 v[115:116], v[115:116], v[117:118], v[115:116]
	v_mul_f64 v[117:118], v[119:120], v[115:116]
	v_fma_f64 v[113:114], -v[113:114], v[117:118], v[119:120]
	v_div_fmas_f64 v[113:114], v[113:114], v[115:116], v[117:118]
	v_div_fixup_f64 v[113:114], v[113:114], v[98:99], v[100:101]
	v_fma_f64 v[98:99], v[100:101], v[113:114], v[98:99]
	v_div_scale_f64 v[100:101], null, v[98:99], v[98:99], 1.0
	v_rcp_f64_e32 v[115:116], v[100:101]
	v_fma_f64 v[117:118], -v[100:101], v[115:116], 1.0
	v_fma_f64 v[115:116], v[115:116], v[117:118], v[115:116]
	v_fma_f64 v[117:118], -v[100:101], v[115:116], 1.0
	v_fma_f64 v[115:116], v[115:116], v[117:118], v[115:116]
	v_div_scale_f64 v[117:118], vcc_lo, 1.0, v[98:99], 1.0
	v_mul_f64 v[119:120], v[117:118], v[115:116]
	v_fma_f64 v[100:101], -v[100:101], v[119:120], v[117:118]
	v_div_fmas_f64 v[100:101], v[100:101], v[115:116], v[119:120]
	v_div_fixup_f64 v[98:99], v[100:101], v[98:99], 1.0
	v_mul_f64 v[100:101], v[113:114], -v[98:99]
.LBB46_72:
	s_or_b32 exec_lo, exec_lo, s1
.LBB46_73:
	s_or_b32 exec_lo, exec_lo, s0
	s_mov_b32 s0, exec_lo
	v_cmpx_ne_u32_e64 v112, v106
	s_xor_b32 s0, exec_lo, s0
	s_cbranch_execz .LBB46_79
; %bb.74:
	s_mov_b32 s1, exec_lo
	v_cmpx_eq_u32_e32 3, v112
	s_cbranch_execz .LBB46_78
; %bb.75:
	v_cmp_ne_u32_e32 vcc_lo, 3, v106
	s_xor_b32 s2, s16, -1
	s_and_b32 s3, s2, vcc_lo
	s_and_saveexec_b32 s2, s3
	s_cbranch_execz .LBB46_77
; %bb.76:
	v_ashrrev_i32_e32 v107, 31, v106
	v_lshlrev_b64 v[112:113], 2, v[106:107]
	v_add_co_u32 v112, vcc_lo, v104, v112
	v_add_co_ci_u32_e64 v113, null, v105, v113, vcc_lo
	s_clause 0x1
	global_load_dword v0, v[112:113], off
	global_load_dword v107, v[104:105], off offset:12
	s_waitcnt vmcnt(1)
	global_store_dword v[104:105], v0, off offset:12
	s_waitcnt vmcnt(0)
	global_store_dword v[112:113], v107, off
.LBB46_77:
	s_or_b32 exec_lo, exec_lo, s2
	v_mov_b32_e32 v112, v106
	v_mov_b32_e32 v0, v106
.LBB46_78:
	s_or_b32 exec_lo, exec_lo, s1
.LBB46_79:
	s_andn2_saveexec_b32 s0, s0
	s_cbranch_execz .LBB46_81
; %bb.80:
	v_mov_b32_e32 v112, 3
	ds_write2_b64 v1, v[82:83], v[84:85] offset0:8 offset1:9
	ds_write2_b64 v1, v[78:79], v[80:81] offset0:10 offset1:11
	;; [unrolled: 1-line block ×20, first 2 shown]
.LBB46_81:
	s_or_b32 exec_lo, exec_lo, s0
	s_mov_b32 s0, exec_lo
	s_waitcnt lgkmcnt(0)
	s_waitcnt_vscnt null, 0x0
	s_barrier
	buffer_gl0_inv
	v_cmpx_lt_i32_e32 3, v112
	s_cbranch_execz .LBB46_83
; %bb.82:
	v_mul_f64 v[106:107], v[100:101], v[88:89]
	v_mul_f64 v[88:89], v[98:99], v[88:89]
	v_fma_f64 v[106:107], v[98:99], v[86:87], -v[106:107]
	v_fma_f64 v[88:89], v[100:101], v[86:87], v[88:89]
	ds_read2_b64 v[98:101], v1 offset0:8 offset1:9
	s_waitcnt lgkmcnt(0)
	v_mul_f64 v[86:87], v[100:101], v[88:89]
	v_fma_f64 v[86:87], v[98:99], v[106:107], -v[86:87]
	v_mul_f64 v[98:99], v[98:99], v[88:89]
	v_add_f64 v[82:83], v[82:83], -v[86:87]
	v_fma_f64 v[98:99], v[100:101], v[106:107], v[98:99]
	v_add_f64 v[84:85], v[84:85], -v[98:99]
	ds_read2_b64 v[98:101], v1 offset0:10 offset1:11
	s_waitcnt lgkmcnt(0)
	v_mul_f64 v[86:87], v[100:101], v[88:89]
	v_fma_f64 v[86:87], v[98:99], v[106:107], -v[86:87]
	v_mul_f64 v[98:99], v[98:99], v[88:89]
	v_add_f64 v[78:79], v[78:79], -v[86:87]
	v_fma_f64 v[98:99], v[100:101], v[106:107], v[98:99]
	v_add_f64 v[80:81], v[80:81], -v[98:99]
	;; [unrolled: 8-line block ×19, first 2 shown]
	ds_read2_b64 v[98:101], v1 offset0:46 offset1:47
	s_waitcnt lgkmcnt(0)
	v_mul_f64 v[86:87], v[100:101], v[88:89]
	v_fma_f64 v[86:87], v[98:99], v[106:107], -v[86:87]
	v_mul_f64 v[98:99], v[98:99], v[88:89]
	v_add_f64 v[2:3], v[2:3], -v[86:87]
	v_fma_f64 v[98:99], v[100:101], v[106:107], v[98:99]
	v_mov_b32_e32 v86, v106
	v_mov_b32_e32 v87, v107
	v_add_f64 v[4:5], v[4:5], -v[98:99]
.LBB46_83:
	s_or_b32 exec_lo, exec_lo, s0
	v_lshl_add_u32 v98, v112, 4, v1
	s_barrier
	buffer_gl0_inv
	v_mov_b32_e32 v106, 4
	ds_write2_b64 v98, v[82:83], v[84:85] offset1:1
	s_waitcnt lgkmcnt(0)
	s_barrier
	buffer_gl0_inv
	ds_read2_b64 v[98:101], v1 offset0:8 offset1:9
	s_cmp_lt_i32 s18, 6
	s_cbranch_scc1 .LBB46_86
; %bb.84:
	v_mov_b32_e32 v106, 4
	v_add3_u32 v107, v108, 0, 0x50
	s_mov_b32 s1, 5
	s_inst_prefetch 0x1
	.p2align	6
.LBB46_85:                              ; =>This Inner Loop Header: Depth=1
	s_waitcnt lgkmcnt(0)
	v_cmp_gt_f64_e32 vcc_lo, 0, v[100:101]
	v_cmp_gt_f64_e64 s0, 0, v[98:99]
	ds_read2_b64 v[113:116], v107 offset1:1
	v_xor_b32_e32 v118, 0x80000000, v99
	v_xor_b32_e32 v120, 0x80000000, v101
	v_mov_b32_e32 v117, v98
	v_mov_b32_e32 v119, v100
	v_add_nc_u32_e32 v107, 16, v107
	s_waitcnt lgkmcnt(0)
	v_xor_b32_e32 v122, 0x80000000, v116
	v_cndmask_b32_e64 v118, v99, v118, s0
	v_cndmask_b32_e32 v120, v101, v120, vcc_lo
	v_cmp_gt_f64_e32 vcc_lo, 0, v[115:116]
	v_cmp_gt_f64_e64 s0, 0, v[113:114]
	v_mov_b32_e32 v121, v115
	v_add_f64 v[117:118], v[117:118], v[119:120]
	v_xor_b32_e32 v120, 0x80000000, v114
	v_mov_b32_e32 v119, v113
	v_cndmask_b32_e32 v122, v116, v122, vcc_lo
	v_cndmask_b32_e64 v120, v114, v120, s0
	v_add_f64 v[119:120], v[119:120], v[121:122]
	v_cmp_lt_f64_e32 vcc_lo, v[117:118], v[119:120]
	v_cndmask_b32_e32 v99, v99, v114, vcc_lo
	v_cndmask_b32_e32 v98, v98, v113, vcc_lo
	;; [unrolled: 1-line block ×4, first 2 shown]
	v_cndmask_b32_e64 v106, v106, s1, vcc_lo
	s_add_i32 s1, s1, 1
	s_cmp_lg_u32 s18, s1
	s_cbranch_scc1 .LBB46_85
.LBB46_86:
	s_inst_prefetch 0x2
	s_waitcnt lgkmcnt(0)
	v_cmp_eq_f64_e32 vcc_lo, 0, v[98:99]
	v_cmp_eq_f64_e64 s0, 0, v[100:101]
	s_and_b32 s0, vcc_lo, s0
	s_and_saveexec_b32 s1, s0
	s_xor_b32 s0, exec_lo, s1
; %bb.87:
	v_cmp_ne_u32_e32 vcc_lo, 0, v111
	v_cndmask_b32_e32 v111, 5, v111, vcc_lo
; %bb.88:
	s_andn2_saveexec_b32 s0, s0
	s_cbranch_execz .LBB46_94
; %bb.89:
	v_cmp_ngt_f64_e64 s1, |v[98:99]|, |v[100:101]|
	s_and_saveexec_b32 s2, s1
	s_xor_b32 s1, exec_lo, s2
	s_cbranch_execz .LBB46_91
; %bb.90:
	v_div_scale_f64 v[113:114], null, v[100:101], v[100:101], v[98:99]
	v_div_scale_f64 v[119:120], vcc_lo, v[98:99], v[100:101], v[98:99]
	v_rcp_f64_e32 v[115:116], v[113:114]
	v_fma_f64 v[117:118], -v[113:114], v[115:116], 1.0
	v_fma_f64 v[115:116], v[115:116], v[117:118], v[115:116]
	v_fma_f64 v[117:118], -v[113:114], v[115:116], 1.0
	v_fma_f64 v[115:116], v[115:116], v[117:118], v[115:116]
	v_mul_f64 v[117:118], v[119:120], v[115:116]
	v_fma_f64 v[113:114], -v[113:114], v[117:118], v[119:120]
	v_div_fmas_f64 v[113:114], v[113:114], v[115:116], v[117:118]
	v_div_fixup_f64 v[113:114], v[113:114], v[100:101], v[98:99]
	v_fma_f64 v[98:99], v[98:99], v[113:114], v[100:101]
	v_div_scale_f64 v[100:101], null, v[98:99], v[98:99], 1.0
	v_rcp_f64_e32 v[115:116], v[100:101]
	v_fma_f64 v[117:118], -v[100:101], v[115:116], 1.0
	v_fma_f64 v[115:116], v[115:116], v[117:118], v[115:116]
	v_fma_f64 v[117:118], -v[100:101], v[115:116], 1.0
	v_fma_f64 v[115:116], v[115:116], v[117:118], v[115:116]
	v_div_scale_f64 v[117:118], vcc_lo, 1.0, v[98:99], 1.0
	v_mul_f64 v[119:120], v[117:118], v[115:116]
	v_fma_f64 v[100:101], -v[100:101], v[119:120], v[117:118]
	v_div_fmas_f64 v[100:101], v[100:101], v[115:116], v[119:120]
	v_div_fixup_f64 v[100:101], v[100:101], v[98:99], 1.0
	v_mul_f64 v[98:99], v[113:114], v[100:101]
	v_xor_b32_e32 v101, 0x80000000, v101
.LBB46_91:
	s_andn2_saveexec_b32 s1, s1
	s_cbranch_execz .LBB46_93
; %bb.92:
	v_div_scale_f64 v[113:114], null, v[98:99], v[98:99], v[100:101]
	v_div_scale_f64 v[119:120], vcc_lo, v[100:101], v[98:99], v[100:101]
	v_rcp_f64_e32 v[115:116], v[113:114]
	v_fma_f64 v[117:118], -v[113:114], v[115:116], 1.0
	v_fma_f64 v[115:116], v[115:116], v[117:118], v[115:116]
	v_fma_f64 v[117:118], -v[113:114], v[115:116], 1.0
	v_fma_f64 v[115:116], v[115:116], v[117:118], v[115:116]
	v_mul_f64 v[117:118], v[119:120], v[115:116]
	v_fma_f64 v[113:114], -v[113:114], v[117:118], v[119:120]
	v_div_fmas_f64 v[113:114], v[113:114], v[115:116], v[117:118]
	v_div_fixup_f64 v[113:114], v[113:114], v[98:99], v[100:101]
	v_fma_f64 v[98:99], v[100:101], v[113:114], v[98:99]
	v_div_scale_f64 v[100:101], null, v[98:99], v[98:99], 1.0
	v_rcp_f64_e32 v[115:116], v[100:101]
	v_fma_f64 v[117:118], -v[100:101], v[115:116], 1.0
	v_fma_f64 v[115:116], v[115:116], v[117:118], v[115:116]
	v_fma_f64 v[117:118], -v[100:101], v[115:116], 1.0
	v_fma_f64 v[115:116], v[115:116], v[117:118], v[115:116]
	v_div_scale_f64 v[117:118], vcc_lo, 1.0, v[98:99], 1.0
	v_mul_f64 v[119:120], v[117:118], v[115:116]
	v_fma_f64 v[100:101], -v[100:101], v[119:120], v[117:118]
	v_div_fmas_f64 v[100:101], v[100:101], v[115:116], v[119:120]
	v_div_fixup_f64 v[98:99], v[100:101], v[98:99], 1.0
	v_mul_f64 v[100:101], v[113:114], -v[98:99]
.LBB46_93:
	s_or_b32 exec_lo, exec_lo, s1
.LBB46_94:
	s_or_b32 exec_lo, exec_lo, s0
	s_mov_b32 s0, exec_lo
	v_cmpx_ne_u32_e64 v112, v106
	s_xor_b32 s0, exec_lo, s0
	s_cbranch_execz .LBB46_100
; %bb.95:
	s_mov_b32 s1, exec_lo
	v_cmpx_eq_u32_e32 4, v112
	s_cbranch_execz .LBB46_99
; %bb.96:
	v_cmp_ne_u32_e32 vcc_lo, 4, v106
	s_xor_b32 s2, s16, -1
	s_and_b32 s3, s2, vcc_lo
	s_and_saveexec_b32 s2, s3
	s_cbranch_execz .LBB46_98
; %bb.97:
	v_ashrrev_i32_e32 v107, 31, v106
	v_lshlrev_b64 v[112:113], 2, v[106:107]
	v_add_co_u32 v112, vcc_lo, v104, v112
	v_add_co_ci_u32_e64 v113, null, v105, v113, vcc_lo
	s_clause 0x1
	global_load_dword v0, v[112:113], off
	global_load_dword v107, v[104:105], off offset:16
	s_waitcnt vmcnt(1)
	global_store_dword v[104:105], v0, off offset:16
	s_waitcnt vmcnt(0)
	global_store_dword v[112:113], v107, off
.LBB46_98:
	s_or_b32 exec_lo, exec_lo, s2
	v_mov_b32_e32 v112, v106
	v_mov_b32_e32 v0, v106
.LBB46_99:
	s_or_b32 exec_lo, exec_lo, s1
.LBB46_100:
	s_andn2_saveexec_b32 s0, s0
	s_cbranch_execz .LBB46_102
; %bb.101:
	v_mov_b32_e32 v112, 4
	ds_write2_b64 v1, v[78:79], v[80:81] offset0:10 offset1:11
	ds_write2_b64 v1, v[74:75], v[76:77] offset0:12 offset1:13
	;; [unrolled: 1-line block ×19, first 2 shown]
.LBB46_102:
	s_or_b32 exec_lo, exec_lo, s0
	s_mov_b32 s0, exec_lo
	s_waitcnt lgkmcnt(0)
	s_waitcnt_vscnt null, 0x0
	s_barrier
	buffer_gl0_inv
	v_cmpx_lt_i32_e32 4, v112
	s_cbranch_execz .LBB46_104
; %bb.103:
	v_mul_f64 v[106:107], v[100:101], v[84:85]
	v_mul_f64 v[84:85], v[98:99], v[84:85]
	v_fma_f64 v[106:107], v[98:99], v[82:83], -v[106:107]
	v_fma_f64 v[84:85], v[100:101], v[82:83], v[84:85]
	ds_read2_b64 v[98:101], v1 offset0:10 offset1:11
	s_waitcnt lgkmcnt(0)
	v_mul_f64 v[82:83], v[100:101], v[84:85]
	v_fma_f64 v[82:83], v[98:99], v[106:107], -v[82:83]
	v_mul_f64 v[98:99], v[98:99], v[84:85]
	v_add_f64 v[78:79], v[78:79], -v[82:83]
	v_fma_f64 v[98:99], v[100:101], v[106:107], v[98:99]
	v_add_f64 v[80:81], v[80:81], -v[98:99]
	ds_read2_b64 v[98:101], v1 offset0:12 offset1:13
	s_waitcnt lgkmcnt(0)
	v_mul_f64 v[82:83], v[100:101], v[84:85]
	v_fma_f64 v[82:83], v[98:99], v[106:107], -v[82:83]
	v_mul_f64 v[98:99], v[98:99], v[84:85]
	v_add_f64 v[74:75], v[74:75], -v[82:83]
	v_fma_f64 v[98:99], v[100:101], v[106:107], v[98:99]
	v_add_f64 v[76:77], v[76:77], -v[98:99]
	;; [unrolled: 8-line block ×18, first 2 shown]
	ds_read2_b64 v[98:101], v1 offset0:46 offset1:47
	s_waitcnt lgkmcnt(0)
	v_mul_f64 v[82:83], v[100:101], v[84:85]
	v_fma_f64 v[82:83], v[98:99], v[106:107], -v[82:83]
	v_mul_f64 v[98:99], v[98:99], v[84:85]
	v_add_f64 v[2:3], v[2:3], -v[82:83]
	v_fma_f64 v[98:99], v[100:101], v[106:107], v[98:99]
	v_mov_b32_e32 v82, v106
	v_mov_b32_e32 v83, v107
	v_add_f64 v[4:5], v[4:5], -v[98:99]
.LBB46_104:
	s_or_b32 exec_lo, exec_lo, s0
	v_lshl_add_u32 v98, v112, 4, v1
	s_barrier
	buffer_gl0_inv
	v_mov_b32_e32 v106, 5
	ds_write2_b64 v98, v[78:79], v[80:81] offset1:1
	s_waitcnt lgkmcnt(0)
	s_barrier
	buffer_gl0_inv
	ds_read2_b64 v[98:101], v1 offset0:10 offset1:11
	s_cmp_lt_i32 s18, 7
	s_cbranch_scc1 .LBB46_107
; %bb.105:
	v_add3_u32 v107, v108, 0, 0x60
	v_mov_b32_e32 v106, 5
	s_mov_b32 s1, 6
	s_inst_prefetch 0x1
	.p2align	6
.LBB46_106:                             ; =>This Inner Loop Header: Depth=1
	s_waitcnt lgkmcnt(0)
	v_cmp_gt_f64_e32 vcc_lo, 0, v[100:101]
	v_cmp_gt_f64_e64 s0, 0, v[98:99]
	ds_read2_b64 v[113:116], v107 offset1:1
	v_xor_b32_e32 v118, 0x80000000, v99
	v_xor_b32_e32 v120, 0x80000000, v101
	v_mov_b32_e32 v117, v98
	v_mov_b32_e32 v119, v100
	v_add_nc_u32_e32 v107, 16, v107
	s_waitcnt lgkmcnt(0)
	v_xor_b32_e32 v122, 0x80000000, v116
	v_cndmask_b32_e64 v118, v99, v118, s0
	v_cndmask_b32_e32 v120, v101, v120, vcc_lo
	v_cmp_gt_f64_e32 vcc_lo, 0, v[115:116]
	v_cmp_gt_f64_e64 s0, 0, v[113:114]
	v_mov_b32_e32 v121, v115
	v_add_f64 v[117:118], v[117:118], v[119:120]
	v_xor_b32_e32 v120, 0x80000000, v114
	v_mov_b32_e32 v119, v113
	v_cndmask_b32_e32 v122, v116, v122, vcc_lo
	v_cndmask_b32_e64 v120, v114, v120, s0
	v_add_f64 v[119:120], v[119:120], v[121:122]
	v_cmp_lt_f64_e32 vcc_lo, v[117:118], v[119:120]
	v_cndmask_b32_e32 v99, v99, v114, vcc_lo
	v_cndmask_b32_e32 v98, v98, v113, vcc_lo
	;; [unrolled: 1-line block ×4, first 2 shown]
	v_cndmask_b32_e64 v106, v106, s1, vcc_lo
	s_add_i32 s1, s1, 1
	s_cmp_lg_u32 s18, s1
	s_cbranch_scc1 .LBB46_106
.LBB46_107:
	s_inst_prefetch 0x2
	s_waitcnt lgkmcnt(0)
	v_cmp_eq_f64_e32 vcc_lo, 0, v[98:99]
	v_cmp_eq_f64_e64 s0, 0, v[100:101]
	s_and_b32 s0, vcc_lo, s0
	s_and_saveexec_b32 s1, s0
	s_xor_b32 s0, exec_lo, s1
; %bb.108:
	v_cmp_ne_u32_e32 vcc_lo, 0, v111
	v_cndmask_b32_e32 v111, 6, v111, vcc_lo
; %bb.109:
	s_andn2_saveexec_b32 s0, s0
	s_cbranch_execz .LBB46_115
; %bb.110:
	v_cmp_ngt_f64_e64 s1, |v[98:99]|, |v[100:101]|
	s_and_saveexec_b32 s2, s1
	s_xor_b32 s1, exec_lo, s2
	s_cbranch_execz .LBB46_112
; %bb.111:
	v_div_scale_f64 v[113:114], null, v[100:101], v[100:101], v[98:99]
	v_div_scale_f64 v[119:120], vcc_lo, v[98:99], v[100:101], v[98:99]
	v_rcp_f64_e32 v[115:116], v[113:114]
	v_fma_f64 v[117:118], -v[113:114], v[115:116], 1.0
	v_fma_f64 v[115:116], v[115:116], v[117:118], v[115:116]
	v_fma_f64 v[117:118], -v[113:114], v[115:116], 1.0
	v_fma_f64 v[115:116], v[115:116], v[117:118], v[115:116]
	v_mul_f64 v[117:118], v[119:120], v[115:116]
	v_fma_f64 v[113:114], -v[113:114], v[117:118], v[119:120]
	v_div_fmas_f64 v[113:114], v[113:114], v[115:116], v[117:118]
	v_div_fixup_f64 v[113:114], v[113:114], v[100:101], v[98:99]
	v_fma_f64 v[98:99], v[98:99], v[113:114], v[100:101]
	v_div_scale_f64 v[100:101], null, v[98:99], v[98:99], 1.0
	v_rcp_f64_e32 v[115:116], v[100:101]
	v_fma_f64 v[117:118], -v[100:101], v[115:116], 1.0
	v_fma_f64 v[115:116], v[115:116], v[117:118], v[115:116]
	v_fma_f64 v[117:118], -v[100:101], v[115:116], 1.0
	v_fma_f64 v[115:116], v[115:116], v[117:118], v[115:116]
	v_div_scale_f64 v[117:118], vcc_lo, 1.0, v[98:99], 1.0
	v_mul_f64 v[119:120], v[117:118], v[115:116]
	v_fma_f64 v[100:101], -v[100:101], v[119:120], v[117:118]
	v_div_fmas_f64 v[100:101], v[100:101], v[115:116], v[119:120]
	v_div_fixup_f64 v[100:101], v[100:101], v[98:99], 1.0
	v_mul_f64 v[98:99], v[113:114], v[100:101]
	v_xor_b32_e32 v101, 0x80000000, v101
.LBB46_112:
	s_andn2_saveexec_b32 s1, s1
	s_cbranch_execz .LBB46_114
; %bb.113:
	v_div_scale_f64 v[113:114], null, v[98:99], v[98:99], v[100:101]
	v_div_scale_f64 v[119:120], vcc_lo, v[100:101], v[98:99], v[100:101]
	v_rcp_f64_e32 v[115:116], v[113:114]
	v_fma_f64 v[117:118], -v[113:114], v[115:116], 1.0
	v_fma_f64 v[115:116], v[115:116], v[117:118], v[115:116]
	v_fma_f64 v[117:118], -v[113:114], v[115:116], 1.0
	v_fma_f64 v[115:116], v[115:116], v[117:118], v[115:116]
	v_mul_f64 v[117:118], v[119:120], v[115:116]
	v_fma_f64 v[113:114], -v[113:114], v[117:118], v[119:120]
	v_div_fmas_f64 v[113:114], v[113:114], v[115:116], v[117:118]
	v_div_fixup_f64 v[113:114], v[113:114], v[98:99], v[100:101]
	v_fma_f64 v[98:99], v[100:101], v[113:114], v[98:99]
	v_div_scale_f64 v[100:101], null, v[98:99], v[98:99], 1.0
	v_rcp_f64_e32 v[115:116], v[100:101]
	v_fma_f64 v[117:118], -v[100:101], v[115:116], 1.0
	v_fma_f64 v[115:116], v[115:116], v[117:118], v[115:116]
	v_fma_f64 v[117:118], -v[100:101], v[115:116], 1.0
	v_fma_f64 v[115:116], v[115:116], v[117:118], v[115:116]
	v_div_scale_f64 v[117:118], vcc_lo, 1.0, v[98:99], 1.0
	v_mul_f64 v[119:120], v[117:118], v[115:116]
	v_fma_f64 v[100:101], -v[100:101], v[119:120], v[117:118]
	v_div_fmas_f64 v[100:101], v[100:101], v[115:116], v[119:120]
	v_div_fixup_f64 v[98:99], v[100:101], v[98:99], 1.0
	v_mul_f64 v[100:101], v[113:114], -v[98:99]
.LBB46_114:
	s_or_b32 exec_lo, exec_lo, s1
.LBB46_115:
	s_or_b32 exec_lo, exec_lo, s0
	s_mov_b32 s0, exec_lo
	v_cmpx_ne_u32_e64 v112, v106
	s_xor_b32 s0, exec_lo, s0
	s_cbranch_execz .LBB46_121
; %bb.116:
	s_mov_b32 s1, exec_lo
	v_cmpx_eq_u32_e32 5, v112
	s_cbranch_execz .LBB46_120
; %bb.117:
	v_cmp_ne_u32_e32 vcc_lo, 5, v106
	s_xor_b32 s2, s16, -1
	s_and_b32 s3, s2, vcc_lo
	s_and_saveexec_b32 s2, s3
	s_cbranch_execz .LBB46_119
; %bb.118:
	v_ashrrev_i32_e32 v107, 31, v106
	v_lshlrev_b64 v[112:113], 2, v[106:107]
	v_add_co_u32 v112, vcc_lo, v104, v112
	v_add_co_ci_u32_e64 v113, null, v105, v113, vcc_lo
	s_clause 0x1
	global_load_dword v0, v[112:113], off
	global_load_dword v107, v[104:105], off offset:20
	s_waitcnt vmcnt(1)
	global_store_dword v[104:105], v0, off offset:20
	s_waitcnt vmcnt(0)
	global_store_dword v[112:113], v107, off
.LBB46_119:
	s_or_b32 exec_lo, exec_lo, s2
	v_mov_b32_e32 v112, v106
	v_mov_b32_e32 v0, v106
.LBB46_120:
	s_or_b32 exec_lo, exec_lo, s1
.LBB46_121:
	s_andn2_saveexec_b32 s0, s0
	s_cbranch_execz .LBB46_123
; %bb.122:
	v_mov_b32_e32 v112, 5
	ds_write2_b64 v1, v[74:75], v[76:77] offset0:12 offset1:13
	ds_write2_b64 v1, v[66:67], v[68:69] offset0:14 offset1:15
	;; [unrolled: 1-line block ×18, first 2 shown]
.LBB46_123:
	s_or_b32 exec_lo, exec_lo, s0
	s_mov_b32 s0, exec_lo
	s_waitcnt lgkmcnt(0)
	s_waitcnt_vscnt null, 0x0
	s_barrier
	buffer_gl0_inv
	v_cmpx_lt_i32_e32 5, v112
	s_cbranch_execz .LBB46_125
; %bb.124:
	v_mul_f64 v[106:107], v[100:101], v[80:81]
	v_mul_f64 v[80:81], v[98:99], v[80:81]
	v_fma_f64 v[106:107], v[98:99], v[78:79], -v[106:107]
	v_fma_f64 v[80:81], v[100:101], v[78:79], v[80:81]
	ds_read2_b64 v[98:101], v1 offset0:12 offset1:13
	s_waitcnt lgkmcnt(0)
	v_mul_f64 v[78:79], v[100:101], v[80:81]
	v_fma_f64 v[78:79], v[98:99], v[106:107], -v[78:79]
	v_mul_f64 v[98:99], v[98:99], v[80:81]
	v_add_f64 v[74:75], v[74:75], -v[78:79]
	v_fma_f64 v[98:99], v[100:101], v[106:107], v[98:99]
	v_add_f64 v[76:77], v[76:77], -v[98:99]
	ds_read2_b64 v[98:101], v1 offset0:14 offset1:15
	s_waitcnt lgkmcnt(0)
	v_mul_f64 v[78:79], v[100:101], v[80:81]
	v_fma_f64 v[78:79], v[98:99], v[106:107], -v[78:79]
	v_mul_f64 v[98:99], v[98:99], v[80:81]
	v_add_f64 v[66:67], v[66:67], -v[78:79]
	v_fma_f64 v[98:99], v[100:101], v[106:107], v[98:99]
	v_add_f64 v[68:69], v[68:69], -v[98:99]
	;; [unrolled: 8-line block ×17, first 2 shown]
	ds_read2_b64 v[98:101], v1 offset0:46 offset1:47
	s_waitcnt lgkmcnt(0)
	v_mul_f64 v[78:79], v[100:101], v[80:81]
	v_fma_f64 v[78:79], v[98:99], v[106:107], -v[78:79]
	v_mul_f64 v[98:99], v[98:99], v[80:81]
	v_add_f64 v[2:3], v[2:3], -v[78:79]
	v_fma_f64 v[98:99], v[100:101], v[106:107], v[98:99]
	v_mov_b32_e32 v78, v106
	v_mov_b32_e32 v79, v107
	v_add_f64 v[4:5], v[4:5], -v[98:99]
.LBB46_125:
	s_or_b32 exec_lo, exec_lo, s0
	v_lshl_add_u32 v98, v112, 4, v1
	s_barrier
	buffer_gl0_inv
	v_mov_b32_e32 v106, 6
	ds_write2_b64 v98, v[74:75], v[76:77] offset1:1
	s_waitcnt lgkmcnt(0)
	s_barrier
	buffer_gl0_inv
	ds_read2_b64 v[98:101], v1 offset0:12 offset1:13
	s_cmp_lt_i32 s18, 8
	s_cbranch_scc1 .LBB46_128
; %bb.126:
	v_add3_u32 v107, v108, 0, 0x70
	v_mov_b32_e32 v106, 6
	s_mov_b32 s1, 7
	s_inst_prefetch 0x1
	.p2align	6
.LBB46_127:                             ; =>This Inner Loop Header: Depth=1
	s_waitcnt lgkmcnt(0)
	v_cmp_gt_f64_e32 vcc_lo, 0, v[100:101]
	v_cmp_gt_f64_e64 s0, 0, v[98:99]
	ds_read2_b64 v[113:116], v107 offset1:1
	v_xor_b32_e32 v118, 0x80000000, v99
	v_xor_b32_e32 v120, 0x80000000, v101
	v_mov_b32_e32 v117, v98
	v_mov_b32_e32 v119, v100
	v_add_nc_u32_e32 v107, 16, v107
	s_waitcnt lgkmcnt(0)
	v_xor_b32_e32 v122, 0x80000000, v116
	v_cndmask_b32_e64 v118, v99, v118, s0
	v_cndmask_b32_e32 v120, v101, v120, vcc_lo
	v_cmp_gt_f64_e32 vcc_lo, 0, v[115:116]
	v_cmp_gt_f64_e64 s0, 0, v[113:114]
	v_mov_b32_e32 v121, v115
	v_add_f64 v[117:118], v[117:118], v[119:120]
	v_xor_b32_e32 v120, 0x80000000, v114
	v_mov_b32_e32 v119, v113
	v_cndmask_b32_e32 v122, v116, v122, vcc_lo
	v_cndmask_b32_e64 v120, v114, v120, s0
	v_add_f64 v[119:120], v[119:120], v[121:122]
	v_cmp_lt_f64_e32 vcc_lo, v[117:118], v[119:120]
	v_cndmask_b32_e32 v99, v99, v114, vcc_lo
	v_cndmask_b32_e32 v98, v98, v113, vcc_lo
	;; [unrolled: 1-line block ×4, first 2 shown]
	v_cndmask_b32_e64 v106, v106, s1, vcc_lo
	s_add_i32 s1, s1, 1
	s_cmp_lg_u32 s18, s1
	s_cbranch_scc1 .LBB46_127
.LBB46_128:
	s_inst_prefetch 0x2
	s_waitcnt lgkmcnt(0)
	v_cmp_eq_f64_e32 vcc_lo, 0, v[98:99]
	v_cmp_eq_f64_e64 s0, 0, v[100:101]
	s_and_b32 s0, vcc_lo, s0
	s_and_saveexec_b32 s1, s0
	s_xor_b32 s0, exec_lo, s1
; %bb.129:
	v_cmp_ne_u32_e32 vcc_lo, 0, v111
	v_cndmask_b32_e32 v111, 7, v111, vcc_lo
; %bb.130:
	s_andn2_saveexec_b32 s0, s0
	s_cbranch_execz .LBB46_136
; %bb.131:
	v_cmp_ngt_f64_e64 s1, |v[98:99]|, |v[100:101]|
	s_and_saveexec_b32 s2, s1
	s_xor_b32 s1, exec_lo, s2
	s_cbranch_execz .LBB46_133
; %bb.132:
	v_div_scale_f64 v[113:114], null, v[100:101], v[100:101], v[98:99]
	v_div_scale_f64 v[119:120], vcc_lo, v[98:99], v[100:101], v[98:99]
	v_rcp_f64_e32 v[115:116], v[113:114]
	v_fma_f64 v[117:118], -v[113:114], v[115:116], 1.0
	v_fma_f64 v[115:116], v[115:116], v[117:118], v[115:116]
	v_fma_f64 v[117:118], -v[113:114], v[115:116], 1.0
	v_fma_f64 v[115:116], v[115:116], v[117:118], v[115:116]
	v_mul_f64 v[117:118], v[119:120], v[115:116]
	v_fma_f64 v[113:114], -v[113:114], v[117:118], v[119:120]
	v_div_fmas_f64 v[113:114], v[113:114], v[115:116], v[117:118]
	v_div_fixup_f64 v[113:114], v[113:114], v[100:101], v[98:99]
	v_fma_f64 v[98:99], v[98:99], v[113:114], v[100:101]
	v_div_scale_f64 v[100:101], null, v[98:99], v[98:99], 1.0
	v_rcp_f64_e32 v[115:116], v[100:101]
	v_fma_f64 v[117:118], -v[100:101], v[115:116], 1.0
	v_fma_f64 v[115:116], v[115:116], v[117:118], v[115:116]
	v_fma_f64 v[117:118], -v[100:101], v[115:116], 1.0
	v_fma_f64 v[115:116], v[115:116], v[117:118], v[115:116]
	v_div_scale_f64 v[117:118], vcc_lo, 1.0, v[98:99], 1.0
	v_mul_f64 v[119:120], v[117:118], v[115:116]
	v_fma_f64 v[100:101], -v[100:101], v[119:120], v[117:118]
	v_div_fmas_f64 v[100:101], v[100:101], v[115:116], v[119:120]
	v_div_fixup_f64 v[100:101], v[100:101], v[98:99], 1.0
	v_mul_f64 v[98:99], v[113:114], v[100:101]
	v_xor_b32_e32 v101, 0x80000000, v101
.LBB46_133:
	s_andn2_saveexec_b32 s1, s1
	s_cbranch_execz .LBB46_135
; %bb.134:
	v_div_scale_f64 v[113:114], null, v[98:99], v[98:99], v[100:101]
	v_div_scale_f64 v[119:120], vcc_lo, v[100:101], v[98:99], v[100:101]
	v_rcp_f64_e32 v[115:116], v[113:114]
	v_fma_f64 v[117:118], -v[113:114], v[115:116], 1.0
	v_fma_f64 v[115:116], v[115:116], v[117:118], v[115:116]
	v_fma_f64 v[117:118], -v[113:114], v[115:116], 1.0
	v_fma_f64 v[115:116], v[115:116], v[117:118], v[115:116]
	v_mul_f64 v[117:118], v[119:120], v[115:116]
	v_fma_f64 v[113:114], -v[113:114], v[117:118], v[119:120]
	v_div_fmas_f64 v[113:114], v[113:114], v[115:116], v[117:118]
	v_div_fixup_f64 v[113:114], v[113:114], v[98:99], v[100:101]
	v_fma_f64 v[98:99], v[100:101], v[113:114], v[98:99]
	v_div_scale_f64 v[100:101], null, v[98:99], v[98:99], 1.0
	v_rcp_f64_e32 v[115:116], v[100:101]
	v_fma_f64 v[117:118], -v[100:101], v[115:116], 1.0
	v_fma_f64 v[115:116], v[115:116], v[117:118], v[115:116]
	v_fma_f64 v[117:118], -v[100:101], v[115:116], 1.0
	v_fma_f64 v[115:116], v[115:116], v[117:118], v[115:116]
	v_div_scale_f64 v[117:118], vcc_lo, 1.0, v[98:99], 1.0
	v_mul_f64 v[119:120], v[117:118], v[115:116]
	v_fma_f64 v[100:101], -v[100:101], v[119:120], v[117:118]
	v_div_fmas_f64 v[100:101], v[100:101], v[115:116], v[119:120]
	v_div_fixup_f64 v[98:99], v[100:101], v[98:99], 1.0
	v_mul_f64 v[100:101], v[113:114], -v[98:99]
.LBB46_135:
	s_or_b32 exec_lo, exec_lo, s1
.LBB46_136:
	s_or_b32 exec_lo, exec_lo, s0
	s_mov_b32 s0, exec_lo
	v_cmpx_ne_u32_e64 v112, v106
	s_xor_b32 s0, exec_lo, s0
	s_cbranch_execz .LBB46_142
; %bb.137:
	s_mov_b32 s1, exec_lo
	v_cmpx_eq_u32_e32 6, v112
	s_cbranch_execz .LBB46_141
; %bb.138:
	v_cmp_ne_u32_e32 vcc_lo, 6, v106
	s_xor_b32 s2, s16, -1
	s_and_b32 s3, s2, vcc_lo
	s_and_saveexec_b32 s2, s3
	s_cbranch_execz .LBB46_140
; %bb.139:
	v_ashrrev_i32_e32 v107, 31, v106
	v_lshlrev_b64 v[112:113], 2, v[106:107]
	v_add_co_u32 v112, vcc_lo, v104, v112
	v_add_co_ci_u32_e64 v113, null, v105, v113, vcc_lo
	s_clause 0x1
	global_load_dword v0, v[112:113], off
	global_load_dword v107, v[104:105], off offset:24
	s_waitcnt vmcnt(1)
	global_store_dword v[104:105], v0, off offset:24
	s_waitcnt vmcnt(0)
	global_store_dword v[112:113], v107, off
.LBB46_140:
	s_or_b32 exec_lo, exec_lo, s2
	v_mov_b32_e32 v112, v106
	v_mov_b32_e32 v0, v106
.LBB46_141:
	s_or_b32 exec_lo, exec_lo, s1
.LBB46_142:
	s_andn2_saveexec_b32 s0, s0
	s_cbranch_execz .LBB46_144
; %bb.143:
	v_mov_b32_e32 v112, 6
	ds_write2_b64 v1, v[66:67], v[68:69] offset0:14 offset1:15
	ds_write2_b64 v1, v[62:63], v[64:65] offset0:16 offset1:17
	;; [unrolled: 1-line block ×17, first 2 shown]
.LBB46_144:
	s_or_b32 exec_lo, exec_lo, s0
	s_mov_b32 s0, exec_lo
	s_waitcnt lgkmcnt(0)
	s_waitcnt_vscnt null, 0x0
	s_barrier
	buffer_gl0_inv
	v_cmpx_lt_i32_e32 6, v112
	s_cbranch_execz .LBB46_146
; %bb.145:
	v_mul_f64 v[106:107], v[100:101], v[76:77]
	v_mul_f64 v[76:77], v[98:99], v[76:77]
	v_fma_f64 v[106:107], v[98:99], v[74:75], -v[106:107]
	v_fma_f64 v[76:77], v[100:101], v[74:75], v[76:77]
	ds_read2_b64 v[98:101], v1 offset0:14 offset1:15
	s_waitcnt lgkmcnt(0)
	v_mul_f64 v[74:75], v[100:101], v[76:77]
	v_fma_f64 v[74:75], v[98:99], v[106:107], -v[74:75]
	v_mul_f64 v[98:99], v[98:99], v[76:77]
	v_add_f64 v[66:67], v[66:67], -v[74:75]
	v_fma_f64 v[98:99], v[100:101], v[106:107], v[98:99]
	v_add_f64 v[68:69], v[68:69], -v[98:99]
	ds_read2_b64 v[98:101], v1 offset0:16 offset1:17
	s_waitcnt lgkmcnt(0)
	v_mul_f64 v[74:75], v[100:101], v[76:77]
	v_fma_f64 v[74:75], v[98:99], v[106:107], -v[74:75]
	v_mul_f64 v[98:99], v[98:99], v[76:77]
	v_add_f64 v[62:63], v[62:63], -v[74:75]
	v_fma_f64 v[98:99], v[100:101], v[106:107], v[98:99]
	v_add_f64 v[64:65], v[64:65], -v[98:99]
	;; [unrolled: 8-line block ×16, first 2 shown]
	ds_read2_b64 v[98:101], v1 offset0:46 offset1:47
	s_waitcnt lgkmcnt(0)
	v_mul_f64 v[74:75], v[100:101], v[76:77]
	v_fma_f64 v[74:75], v[98:99], v[106:107], -v[74:75]
	v_mul_f64 v[98:99], v[98:99], v[76:77]
	v_add_f64 v[2:3], v[2:3], -v[74:75]
	v_fma_f64 v[98:99], v[100:101], v[106:107], v[98:99]
	v_mov_b32_e32 v74, v106
	v_mov_b32_e32 v75, v107
	v_add_f64 v[4:5], v[4:5], -v[98:99]
.LBB46_146:
	s_or_b32 exec_lo, exec_lo, s0
	v_lshl_add_u32 v98, v112, 4, v1
	s_barrier
	buffer_gl0_inv
	v_mov_b32_e32 v106, 7
	ds_write2_b64 v98, v[66:67], v[68:69] offset1:1
	s_waitcnt lgkmcnt(0)
	s_barrier
	buffer_gl0_inv
	ds_read2_b64 v[98:101], v1 offset0:14 offset1:15
	s_cmp_lt_i32 s18, 9
	s_cbranch_scc1 .LBB46_149
; %bb.147:
	v_add3_u32 v107, v108, 0, 0x80
	v_mov_b32_e32 v106, 7
	s_mov_b32 s1, 8
	s_inst_prefetch 0x1
	.p2align	6
.LBB46_148:                             ; =>This Inner Loop Header: Depth=1
	s_waitcnt lgkmcnt(0)
	v_cmp_gt_f64_e32 vcc_lo, 0, v[100:101]
	v_cmp_gt_f64_e64 s0, 0, v[98:99]
	ds_read2_b64 v[113:116], v107 offset1:1
	v_xor_b32_e32 v118, 0x80000000, v99
	v_xor_b32_e32 v120, 0x80000000, v101
	v_mov_b32_e32 v117, v98
	v_mov_b32_e32 v119, v100
	v_add_nc_u32_e32 v107, 16, v107
	s_waitcnt lgkmcnt(0)
	v_xor_b32_e32 v122, 0x80000000, v116
	v_cndmask_b32_e64 v118, v99, v118, s0
	v_cndmask_b32_e32 v120, v101, v120, vcc_lo
	v_cmp_gt_f64_e32 vcc_lo, 0, v[115:116]
	v_cmp_gt_f64_e64 s0, 0, v[113:114]
	v_mov_b32_e32 v121, v115
	v_add_f64 v[117:118], v[117:118], v[119:120]
	v_xor_b32_e32 v120, 0x80000000, v114
	v_mov_b32_e32 v119, v113
	v_cndmask_b32_e32 v122, v116, v122, vcc_lo
	v_cndmask_b32_e64 v120, v114, v120, s0
	v_add_f64 v[119:120], v[119:120], v[121:122]
	v_cmp_lt_f64_e32 vcc_lo, v[117:118], v[119:120]
	v_cndmask_b32_e32 v99, v99, v114, vcc_lo
	v_cndmask_b32_e32 v98, v98, v113, vcc_lo
	;; [unrolled: 1-line block ×4, first 2 shown]
	v_cndmask_b32_e64 v106, v106, s1, vcc_lo
	s_add_i32 s1, s1, 1
	s_cmp_lg_u32 s18, s1
	s_cbranch_scc1 .LBB46_148
.LBB46_149:
	s_inst_prefetch 0x2
	s_waitcnt lgkmcnt(0)
	v_cmp_eq_f64_e32 vcc_lo, 0, v[98:99]
	v_cmp_eq_f64_e64 s0, 0, v[100:101]
	s_and_b32 s0, vcc_lo, s0
	s_and_saveexec_b32 s1, s0
	s_xor_b32 s0, exec_lo, s1
; %bb.150:
	v_cmp_ne_u32_e32 vcc_lo, 0, v111
	v_cndmask_b32_e32 v111, 8, v111, vcc_lo
; %bb.151:
	s_andn2_saveexec_b32 s0, s0
	s_cbranch_execz .LBB46_157
; %bb.152:
	v_cmp_ngt_f64_e64 s1, |v[98:99]|, |v[100:101]|
	s_and_saveexec_b32 s2, s1
	s_xor_b32 s1, exec_lo, s2
	s_cbranch_execz .LBB46_154
; %bb.153:
	v_div_scale_f64 v[113:114], null, v[100:101], v[100:101], v[98:99]
	v_div_scale_f64 v[119:120], vcc_lo, v[98:99], v[100:101], v[98:99]
	v_rcp_f64_e32 v[115:116], v[113:114]
	v_fma_f64 v[117:118], -v[113:114], v[115:116], 1.0
	v_fma_f64 v[115:116], v[115:116], v[117:118], v[115:116]
	v_fma_f64 v[117:118], -v[113:114], v[115:116], 1.0
	v_fma_f64 v[115:116], v[115:116], v[117:118], v[115:116]
	v_mul_f64 v[117:118], v[119:120], v[115:116]
	v_fma_f64 v[113:114], -v[113:114], v[117:118], v[119:120]
	v_div_fmas_f64 v[113:114], v[113:114], v[115:116], v[117:118]
	v_div_fixup_f64 v[113:114], v[113:114], v[100:101], v[98:99]
	v_fma_f64 v[98:99], v[98:99], v[113:114], v[100:101]
	v_div_scale_f64 v[100:101], null, v[98:99], v[98:99], 1.0
	v_rcp_f64_e32 v[115:116], v[100:101]
	v_fma_f64 v[117:118], -v[100:101], v[115:116], 1.0
	v_fma_f64 v[115:116], v[115:116], v[117:118], v[115:116]
	v_fma_f64 v[117:118], -v[100:101], v[115:116], 1.0
	v_fma_f64 v[115:116], v[115:116], v[117:118], v[115:116]
	v_div_scale_f64 v[117:118], vcc_lo, 1.0, v[98:99], 1.0
	v_mul_f64 v[119:120], v[117:118], v[115:116]
	v_fma_f64 v[100:101], -v[100:101], v[119:120], v[117:118]
	v_div_fmas_f64 v[100:101], v[100:101], v[115:116], v[119:120]
	v_div_fixup_f64 v[100:101], v[100:101], v[98:99], 1.0
	v_mul_f64 v[98:99], v[113:114], v[100:101]
	v_xor_b32_e32 v101, 0x80000000, v101
.LBB46_154:
	s_andn2_saveexec_b32 s1, s1
	s_cbranch_execz .LBB46_156
; %bb.155:
	v_div_scale_f64 v[113:114], null, v[98:99], v[98:99], v[100:101]
	v_div_scale_f64 v[119:120], vcc_lo, v[100:101], v[98:99], v[100:101]
	v_rcp_f64_e32 v[115:116], v[113:114]
	v_fma_f64 v[117:118], -v[113:114], v[115:116], 1.0
	v_fma_f64 v[115:116], v[115:116], v[117:118], v[115:116]
	v_fma_f64 v[117:118], -v[113:114], v[115:116], 1.0
	v_fma_f64 v[115:116], v[115:116], v[117:118], v[115:116]
	v_mul_f64 v[117:118], v[119:120], v[115:116]
	v_fma_f64 v[113:114], -v[113:114], v[117:118], v[119:120]
	v_div_fmas_f64 v[113:114], v[113:114], v[115:116], v[117:118]
	v_div_fixup_f64 v[113:114], v[113:114], v[98:99], v[100:101]
	v_fma_f64 v[98:99], v[100:101], v[113:114], v[98:99]
	v_div_scale_f64 v[100:101], null, v[98:99], v[98:99], 1.0
	v_rcp_f64_e32 v[115:116], v[100:101]
	v_fma_f64 v[117:118], -v[100:101], v[115:116], 1.0
	v_fma_f64 v[115:116], v[115:116], v[117:118], v[115:116]
	v_fma_f64 v[117:118], -v[100:101], v[115:116], 1.0
	v_fma_f64 v[115:116], v[115:116], v[117:118], v[115:116]
	v_div_scale_f64 v[117:118], vcc_lo, 1.0, v[98:99], 1.0
	v_mul_f64 v[119:120], v[117:118], v[115:116]
	v_fma_f64 v[100:101], -v[100:101], v[119:120], v[117:118]
	v_div_fmas_f64 v[100:101], v[100:101], v[115:116], v[119:120]
	v_div_fixup_f64 v[98:99], v[100:101], v[98:99], 1.0
	v_mul_f64 v[100:101], v[113:114], -v[98:99]
.LBB46_156:
	s_or_b32 exec_lo, exec_lo, s1
.LBB46_157:
	s_or_b32 exec_lo, exec_lo, s0
	s_mov_b32 s0, exec_lo
	v_cmpx_ne_u32_e64 v112, v106
	s_xor_b32 s0, exec_lo, s0
	s_cbranch_execz .LBB46_163
; %bb.158:
	s_mov_b32 s1, exec_lo
	v_cmpx_eq_u32_e32 7, v112
	s_cbranch_execz .LBB46_162
; %bb.159:
	v_cmp_ne_u32_e32 vcc_lo, 7, v106
	s_xor_b32 s2, s16, -1
	s_and_b32 s3, s2, vcc_lo
	s_and_saveexec_b32 s2, s3
	s_cbranch_execz .LBB46_161
; %bb.160:
	v_ashrrev_i32_e32 v107, 31, v106
	v_lshlrev_b64 v[112:113], 2, v[106:107]
	v_add_co_u32 v112, vcc_lo, v104, v112
	v_add_co_ci_u32_e64 v113, null, v105, v113, vcc_lo
	s_clause 0x1
	global_load_dword v0, v[112:113], off
	global_load_dword v107, v[104:105], off offset:28
	s_waitcnt vmcnt(1)
	global_store_dword v[104:105], v0, off offset:28
	s_waitcnt vmcnt(0)
	global_store_dword v[112:113], v107, off
.LBB46_161:
	s_or_b32 exec_lo, exec_lo, s2
	v_mov_b32_e32 v112, v106
	v_mov_b32_e32 v0, v106
.LBB46_162:
	s_or_b32 exec_lo, exec_lo, s1
.LBB46_163:
	s_andn2_saveexec_b32 s0, s0
	s_cbranch_execz .LBB46_165
; %bb.164:
	v_mov_b32_e32 v112, 7
	ds_write2_b64 v1, v[62:63], v[64:65] offset0:16 offset1:17
	ds_write2_b64 v1, v[58:59], v[60:61] offset0:18 offset1:19
	;; [unrolled: 1-line block ×16, first 2 shown]
.LBB46_165:
	s_or_b32 exec_lo, exec_lo, s0
	s_mov_b32 s0, exec_lo
	s_waitcnt lgkmcnt(0)
	s_waitcnt_vscnt null, 0x0
	s_barrier
	buffer_gl0_inv
	v_cmpx_lt_i32_e32 7, v112
	s_cbranch_execz .LBB46_167
; %bb.166:
	v_mul_f64 v[106:107], v[98:99], v[68:69]
	v_mul_f64 v[68:69], v[100:101], v[68:69]
	v_fma_f64 v[106:107], v[100:101], v[66:67], v[106:107]
	v_fma_f64 v[66:67], v[98:99], v[66:67], -v[68:69]
	ds_read2_b64 v[98:101], v1 offset0:16 offset1:17
	s_waitcnt lgkmcnt(0)
	v_mul_f64 v[68:69], v[100:101], v[106:107]
	v_fma_f64 v[68:69], v[98:99], v[66:67], -v[68:69]
	v_mul_f64 v[98:99], v[98:99], v[106:107]
	v_add_f64 v[62:63], v[62:63], -v[68:69]
	v_fma_f64 v[98:99], v[100:101], v[66:67], v[98:99]
	v_add_f64 v[64:65], v[64:65], -v[98:99]
	ds_read2_b64 v[98:101], v1 offset0:18 offset1:19
	s_waitcnt lgkmcnt(0)
	v_mul_f64 v[68:69], v[100:101], v[106:107]
	v_fma_f64 v[68:69], v[98:99], v[66:67], -v[68:69]
	v_mul_f64 v[98:99], v[98:99], v[106:107]
	v_add_f64 v[58:59], v[58:59], -v[68:69]
	v_fma_f64 v[98:99], v[100:101], v[66:67], v[98:99]
	v_add_f64 v[60:61], v[60:61], -v[98:99]
	;; [unrolled: 8-line block ×15, first 2 shown]
	ds_read2_b64 v[98:101], v1 offset0:46 offset1:47
	s_waitcnt lgkmcnt(0)
	v_mul_f64 v[68:69], v[100:101], v[106:107]
	v_fma_f64 v[68:69], v[98:99], v[66:67], -v[68:69]
	v_mul_f64 v[98:99], v[98:99], v[106:107]
	v_add_f64 v[2:3], v[2:3], -v[68:69]
	v_fma_f64 v[98:99], v[100:101], v[66:67], v[98:99]
	v_mov_b32_e32 v68, v106
	v_mov_b32_e32 v69, v107
	v_add_f64 v[4:5], v[4:5], -v[98:99]
.LBB46_167:
	s_or_b32 exec_lo, exec_lo, s0
	v_lshl_add_u32 v98, v112, 4, v1
	s_barrier
	buffer_gl0_inv
	v_mov_b32_e32 v106, 8
	ds_write2_b64 v98, v[62:63], v[64:65] offset1:1
	s_waitcnt lgkmcnt(0)
	s_barrier
	buffer_gl0_inv
	ds_read2_b64 v[98:101], v1 offset0:16 offset1:17
	s_cmp_lt_i32 s18, 10
	s_cbranch_scc1 .LBB46_170
; %bb.168:
	v_add3_u32 v107, v108, 0, 0x90
	v_mov_b32_e32 v106, 8
	s_mov_b32 s1, 9
	s_inst_prefetch 0x1
	.p2align	6
.LBB46_169:                             ; =>This Inner Loop Header: Depth=1
	s_waitcnt lgkmcnt(0)
	v_cmp_gt_f64_e32 vcc_lo, 0, v[100:101]
	v_cmp_gt_f64_e64 s0, 0, v[98:99]
	ds_read2_b64 v[113:116], v107 offset1:1
	v_xor_b32_e32 v118, 0x80000000, v99
	v_xor_b32_e32 v120, 0x80000000, v101
	v_mov_b32_e32 v117, v98
	v_mov_b32_e32 v119, v100
	v_add_nc_u32_e32 v107, 16, v107
	s_waitcnt lgkmcnt(0)
	v_xor_b32_e32 v122, 0x80000000, v116
	v_cndmask_b32_e64 v118, v99, v118, s0
	v_cndmask_b32_e32 v120, v101, v120, vcc_lo
	v_cmp_gt_f64_e32 vcc_lo, 0, v[115:116]
	v_cmp_gt_f64_e64 s0, 0, v[113:114]
	v_mov_b32_e32 v121, v115
	v_add_f64 v[117:118], v[117:118], v[119:120]
	v_xor_b32_e32 v120, 0x80000000, v114
	v_mov_b32_e32 v119, v113
	v_cndmask_b32_e32 v122, v116, v122, vcc_lo
	v_cndmask_b32_e64 v120, v114, v120, s0
	v_add_f64 v[119:120], v[119:120], v[121:122]
	v_cmp_lt_f64_e32 vcc_lo, v[117:118], v[119:120]
	v_cndmask_b32_e32 v99, v99, v114, vcc_lo
	v_cndmask_b32_e32 v98, v98, v113, vcc_lo
	;; [unrolled: 1-line block ×4, first 2 shown]
	v_cndmask_b32_e64 v106, v106, s1, vcc_lo
	s_add_i32 s1, s1, 1
	s_cmp_lg_u32 s18, s1
	s_cbranch_scc1 .LBB46_169
.LBB46_170:
	s_inst_prefetch 0x2
	s_waitcnt lgkmcnt(0)
	v_cmp_eq_f64_e32 vcc_lo, 0, v[98:99]
	v_cmp_eq_f64_e64 s0, 0, v[100:101]
	s_and_b32 s0, vcc_lo, s0
	s_and_saveexec_b32 s1, s0
	s_xor_b32 s0, exec_lo, s1
; %bb.171:
	v_cmp_ne_u32_e32 vcc_lo, 0, v111
	v_cndmask_b32_e32 v111, 9, v111, vcc_lo
; %bb.172:
	s_andn2_saveexec_b32 s0, s0
	s_cbranch_execz .LBB46_178
; %bb.173:
	v_cmp_ngt_f64_e64 s1, |v[98:99]|, |v[100:101]|
	s_and_saveexec_b32 s2, s1
	s_xor_b32 s1, exec_lo, s2
	s_cbranch_execz .LBB46_175
; %bb.174:
	v_div_scale_f64 v[113:114], null, v[100:101], v[100:101], v[98:99]
	v_div_scale_f64 v[119:120], vcc_lo, v[98:99], v[100:101], v[98:99]
	v_rcp_f64_e32 v[115:116], v[113:114]
	v_fma_f64 v[117:118], -v[113:114], v[115:116], 1.0
	v_fma_f64 v[115:116], v[115:116], v[117:118], v[115:116]
	v_fma_f64 v[117:118], -v[113:114], v[115:116], 1.0
	v_fma_f64 v[115:116], v[115:116], v[117:118], v[115:116]
	v_mul_f64 v[117:118], v[119:120], v[115:116]
	v_fma_f64 v[113:114], -v[113:114], v[117:118], v[119:120]
	v_div_fmas_f64 v[113:114], v[113:114], v[115:116], v[117:118]
	v_div_fixup_f64 v[113:114], v[113:114], v[100:101], v[98:99]
	v_fma_f64 v[98:99], v[98:99], v[113:114], v[100:101]
	v_div_scale_f64 v[100:101], null, v[98:99], v[98:99], 1.0
	v_rcp_f64_e32 v[115:116], v[100:101]
	v_fma_f64 v[117:118], -v[100:101], v[115:116], 1.0
	v_fma_f64 v[115:116], v[115:116], v[117:118], v[115:116]
	v_fma_f64 v[117:118], -v[100:101], v[115:116], 1.0
	v_fma_f64 v[115:116], v[115:116], v[117:118], v[115:116]
	v_div_scale_f64 v[117:118], vcc_lo, 1.0, v[98:99], 1.0
	v_mul_f64 v[119:120], v[117:118], v[115:116]
	v_fma_f64 v[100:101], -v[100:101], v[119:120], v[117:118]
	v_div_fmas_f64 v[100:101], v[100:101], v[115:116], v[119:120]
	v_div_fixup_f64 v[100:101], v[100:101], v[98:99], 1.0
	v_mul_f64 v[98:99], v[113:114], v[100:101]
	v_xor_b32_e32 v101, 0x80000000, v101
.LBB46_175:
	s_andn2_saveexec_b32 s1, s1
	s_cbranch_execz .LBB46_177
; %bb.176:
	v_div_scale_f64 v[113:114], null, v[98:99], v[98:99], v[100:101]
	v_div_scale_f64 v[119:120], vcc_lo, v[100:101], v[98:99], v[100:101]
	v_rcp_f64_e32 v[115:116], v[113:114]
	v_fma_f64 v[117:118], -v[113:114], v[115:116], 1.0
	v_fma_f64 v[115:116], v[115:116], v[117:118], v[115:116]
	v_fma_f64 v[117:118], -v[113:114], v[115:116], 1.0
	v_fma_f64 v[115:116], v[115:116], v[117:118], v[115:116]
	v_mul_f64 v[117:118], v[119:120], v[115:116]
	v_fma_f64 v[113:114], -v[113:114], v[117:118], v[119:120]
	v_div_fmas_f64 v[113:114], v[113:114], v[115:116], v[117:118]
	v_div_fixup_f64 v[113:114], v[113:114], v[98:99], v[100:101]
	v_fma_f64 v[98:99], v[100:101], v[113:114], v[98:99]
	v_div_scale_f64 v[100:101], null, v[98:99], v[98:99], 1.0
	v_rcp_f64_e32 v[115:116], v[100:101]
	v_fma_f64 v[117:118], -v[100:101], v[115:116], 1.0
	v_fma_f64 v[115:116], v[115:116], v[117:118], v[115:116]
	v_fma_f64 v[117:118], -v[100:101], v[115:116], 1.0
	v_fma_f64 v[115:116], v[115:116], v[117:118], v[115:116]
	v_div_scale_f64 v[117:118], vcc_lo, 1.0, v[98:99], 1.0
	v_mul_f64 v[119:120], v[117:118], v[115:116]
	v_fma_f64 v[100:101], -v[100:101], v[119:120], v[117:118]
	v_div_fmas_f64 v[100:101], v[100:101], v[115:116], v[119:120]
	v_div_fixup_f64 v[98:99], v[100:101], v[98:99], 1.0
	v_mul_f64 v[100:101], v[113:114], -v[98:99]
.LBB46_177:
	s_or_b32 exec_lo, exec_lo, s1
.LBB46_178:
	s_or_b32 exec_lo, exec_lo, s0
	s_mov_b32 s0, exec_lo
	v_cmpx_ne_u32_e64 v112, v106
	s_xor_b32 s0, exec_lo, s0
	s_cbranch_execz .LBB46_184
; %bb.179:
	s_mov_b32 s1, exec_lo
	v_cmpx_eq_u32_e32 8, v112
	s_cbranch_execz .LBB46_183
; %bb.180:
	v_cmp_ne_u32_e32 vcc_lo, 8, v106
	s_xor_b32 s2, s16, -1
	s_and_b32 s3, s2, vcc_lo
	s_and_saveexec_b32 s2, s3
	s_cbranch_execz .LBB46_182
; %bb.181:
	v_ashrrev_i32_e32 v107, 31, v106
	v_lshlrev_b64 v[112:113], 2, v[106:107]
	v_add_co_u32 v112, vcc_lo, v104, v112
	v_add_co_ci_u32_e64 v113, null, v105, v113, vcc_lo
	s_clause 0x1
	global_load_dword v0, v[112:113], off
	global_load_dword v107, v[104:105], off offset:32
	s_waitcnt vmcnt(1)
	global_store_dword v[104:105], v0, off offset:32
	s_waitcnt vmcnt(0)
	global_store_dword v[112:113], v107, off
.LBB46_182:
	s_or_b32 exec_lo, exec_lo, s2
	v_mov_b32_e32 v112, v106
	v_mov_b32_e32 v0, v106
.LBB46_183:
	s_or_b32 exec_lo, exec_lo, s1
.LBB46_184:
	s_andn2_saveexec_b32 s0, s0
	s_cbranch_execz .LBB46_186
; %bb.185:
	v_mov_b32_e32 v112, 8
	ds_write2_b64 v1, v[58:59], v[60:61] offset0:18 offset1:19
	ds_write2_b64 v1, v[54:55], v[56:57] offset0:20 offset1:21
	;; [unrolled: 1-line block ×15, first 2 shown]
.LBB46_186:
	s_or_b32 exec_lo, exec_lo, s0
	s_mov_b32 s0, exec_lo
	s_waitcnt lgkmcnt(0)
	s_waitcnt_vscnt null, 0x0
	s_barrier
	buffer_gl0_inv
	v_cmpx_lt_i32_e32 8, v112
	s_cbranch_execz .LBB46_188
; %bb.187:
	v_mul_f64 v[106:107], v[98:99], v[64:65]
	v_mul_f64 v[64:65], v[100:101], v[64:65]
	v_fma_f64 v[106:107], v[100:101], v[62:63], v[106:107]
	v_fma_f64 v[62:63], v[98:99], v[62:63], -v[64:65]
	ds_read2_b64 v[98:101], v1 offset0:18 offset1:19
	s_waitcnt lgkmcnt(0)
	v_mul_f64 v[64:65], v[100:101], v[106:107]
	v_fma_f64 v[64:65], v[98:99], v[62:63], -v[64:65]
	v_mul_f64 v[98:99], v[98:99], v[106:107]
	v_add_f64 v[58:59], v[58:59], -v[64:65]
	v_fma_f64 v[98:99], v[100:101], v[62:63], v[98:99]
	v_add_f64 v[60:61], v[60:61], -v[98:99]
	ds_read2_b64 v[98:101], v1 offset0:20 offset1:21
	s_waitcnt lgkmcnt(0)
	v_mul_f64 v[64:65], v[100:101], v[106:107]
	v_fma_f64 v[64:65], v[98:99], v[62:63], -v[64:65]
	v_mul_f64 v[98:99], v[98:99], v[106:107]
	v_add_f64 v[54:55], v[54:55], -v[64:65]
	v_fma_f64 v[98:99], v[100:101], v[62:63], v[98:99]
	v_add_f64 v[56:57], v[56:57], -v[98:99]
	;; [unrolled: 8-line block ×14, first 2 shown]
	ds_read2_b64 v[98:101], v1 offset0:46 offset1:47
	s_waitcnt lgkmcnt(0)
	v_mul_f64 v[64:65], v[100:101], v[106:107]
	v_fma_f64 v[64:65], v[98:99], v[62:63], -v[64:65]
	v_mul_f64 v[98:99], v[98:99], v[106:107]
	v_add_f64 v[2:3], v[2:3], -v[64:65]
	v_fma_f64 v[98:99], v[100:101], v[62:63], v[98:99]
	v_mov_b32_e32 v64, v106
	v_mov_b32_e32 v65, v107
	v_add_f64 v[4:5], v[4:5], -v[98:99]
.LBB46_188:
	s_or_b32 exec_lo, exec_lo, s0
	v_lshl_add_u32 v98, v112, 4, v1
	s_barrier
	buffer_gl0_inv
	v_mov_b32_e32 v106, 9
	ds_write2_b64 v98, v[58:59], v[60:61] offset1:1
	s_waitcnt lgkmcnt(0)
	s_barrier
	buffer_gl0_inv
	ds_read2_b64 v[98:101], v1 offset0:18 offset1:19
	s_cmp_lt_i32 s18, 11
	s_cbranch_scc1 .LBB46_191
; %bb.189:
	v_add3_u32 v107, v108, 0, 0xa0
	v_mov_b32_e32 v106, 9
	s_mov_b32 s1, 10
	s_inst_prefetch 0x1
	.p2align	6
.LBB46_190:                             ; =>This Inner Loop Header: Depth=1
	s_waitcnt lgkmcnt(0)
	v_cmp_gt_f64_e32 vcc_lo, 0, v[100:101]
	v_cmp_gt_f64_e64 s0, 0, v[98:99]
	ds_read2_b64 v[113:116], v107 offset1:1
	v_xor_b32_e32 v118, 0x80000000, v99
	v_xor_b32_e32 v120, 0x80000000, v101
	v_mov_b32_e32 v117, v98
	v_mov_b32_e32 v119, v100
	v_add_nc_u32_e32 v107, 16, v107
	s_waitcnt lgkmcnt(0)
	v_xor_b32_e32 v122, 0x80000000, v116
	v_cndmask_b32_e64 v118, v99, v118, s0
	v_cndmask_b32_e32 v120, v101, v120, vcc_lo
	v_cmp_gt_f64_e32 vcc_lo, 0, v[115:116]
	v_cmp_gt_f64_e64 s0, 0, v[113:114]
	v_mov_b32_e32 v121, v115
	v_add_f64 v[117:118], v[117:118], v[119:120]
	v_xor_b32_e32 v120, 0x80000000, v114
	v_mov_b32_e32 v119, v113
	v_cndmask_b32_e32 v122, v116, v122, vcc_lo
	v_cndmask_b32_e64 v120, v114, v120, s0
	v_add_f64 v[119:120], v[119:120], v[121:122]
	v_cmp_lt_f64_e32 vcc_lo, v[117:118], v[119:120]
	v_cndmask_b32_e32 v99, v99, v114, vcc_lo
	v_cndmask_b32_e32 v98, v98, v113, vcc_lo
	;; [unrolled: 1-line block ×4, first 2 shown]
	v_cndmask_b32_e64 v106, v106, s1, vcc_lo
	s_add_i32 s1, s1, 1
	s_cmp_lg_u32 s18, s1
	s_cbranch_scc1 .LBB46_190
.LBB46_191:
	s_inst_prefetch 0x2
	s_waitcnt lgkmcnt(0)
	v_cmp_eq_f64_e32 vcc_lo, 0, v[98:99]
	v_cmp_eq_f64_e64 s0, 0, v[100:101]
	s_and_b32 s0, vcc_lo, s0
	s_and_saveexec_b32 s1, s0
	s_xor_b32 s0, exec_lo, s1
; %bb.192:
	v_cmp_ne_u32_e32 vcc_lo, 0, v111
	v_cndmask_b32_e32 v111, 10, v111, vcc_lo
; %bb.193:
	s_andn2_saveexec_b32 s0, s0
	s_cbranch_execz .LBB46_199
; %bb.194:
	v_cmp_ngt_f64_e64 s1, |v[98:99]|, |v[100:101]|
	s_and_saveexec_b32 s2, s1
	s_xor_b32 s1, exec_lo, s2
	s_cbranch_execz .LBB46_196
; %bb.195:
	v_div_scale_f64 v[113:114], null, v[100:101], v[100:101], v[98:99]
	v_div_scale_f64 v[119:120], vcc_lo, v[98:99], v[100:101], v[98:99]
	v_rcp_f64_e32 v[115:116], v[113:114]
	v_fma_f64 v[117:118], -v[113:114], v[115:116], 1.0
	v_fma_f64 v[115:116], v[115:116], v[117:118], v[115:116]
	v_fma_f64 v[117:118], -v[113:114], v[115:116], 1.0
	v_fma_f64 v[115:116], v[115:116], v[117:118], v[115:116]
	v_mul_f64 v[117:118], v[119:120], v[115:116]
	v_fma_f64 v[113:114], -v[113:114], v[117:118], v[119:120]
	v_div_fmas_f64 v[113:114], v[113:114], v[115:116], v[117:118]
	v_div_fixup_f64 v[113:114], v[113:114], v[100:101], v[98:99]
	v_fma_f64 v[98:99], v[98:99], v[113:114], v[100:101]
	v_div_scale_f64 v[100:101], null, v[98:99], v[98:99], 1.0
	v_rcp_f64_e32 v[115:116], v[100:101]
	v_fma_f64 v[117:118], -v[100:101], v[115:116], 1.0
	v_fma_f64 v[115:116], v[115:116], v[117:118], v[115:116]
	v_fma_f64 v[117:118], -v[100:101], v[115:116], 1.0
	v_fma_f64 v[115:116], v[115:116], v[117:118], v[115:116]
	v_div_scale_f64 v[117:118], vcc_lo, 1.0, v[98:99], 1.0
	v_mul_f64 v[119:120], v[117:118], v[115:116]
	v_fma_f64 v[100:101], -v[100:101], v[119:120], v[117:118]
	v_div_fmas_f64 v[100:101], v[100:101], v[115:116], v[119:120]
	v_div_fixup_f64 v[100:101], v[100:101], v[98:99], 1.0
	v_mul_f64 v[98:99], v[113:114], v[100:101]
	v_xor_b32_e32 v101, 0x80000000, v101
.LBB46_196:
	s_andn2_saveexec_b32 s1, s1
	s_cbranch_execz .LBB46_198
; %bb.197:
	v_div_scale_f64 v[113:114], null, v[98:99], v[98:99], v[100:101]
	v_div_scale_f64 v[119:120], vcc_lo, v[100:101], v[98:99], v[100:101]
	v_rcp_f64_e32 v[115:116], v[113:114]
	v_fma_f64 v[117:118], -v[113:114], v[115:116], 1.0
	v_fma_f64 v[115:116], v[115:116], v[117:118], v[115:116]
	v_fma_f64 v[117:118], -v[113:114], v[115:116], 1.0
	v_fma_f64 v[115:116], v[115:116], v[117:118], v[115:116]
	v_mul_f64 v[117:118], v[119:120], v[115:116]
	v_fma_f64 v[113:114], -v[113:114], v[117:118], v[119:120]
	v_div_fmas_f64 v[113:114], v[113:114], v[115:116], v[117:118]
	v_div_fixup_f64 v[113:114], v[113:114], v[98:99], v[100:101]
	v_fma_f64 v[98:99], v[100:101], v[113:114], v[98:99]
	v_div_scale_f64 v[100:101], null, v[98:99], v[98:99], 1.0
	v_rcp_f64_e32 v[115:116], v[100:101]
	v_fma_f64 v[117:118], -v[100:101], v[115:116], 1.0
	v_fma_f64 v[115:116], v[115:116], v[117:118], v[115:116]
	v_fma_f64 v[117:118], -v[100:101], v[115:116], 1.0
	v_fma_f64 v[115:116], v[115:116], v[117:118], v[115:116]
	v_div_scale_f64 v[117:118], vcc_lo, 1.0, v[98:99], 1.0
	v_mul_f64 v[119:120], v[117:118], v[115:116]
	v_fma_f64 v[100:101], -v[100:101], v[119:120], v[117:118]
	v_div_fmas_f64 v[100:101], v[100:101], v[115:116], v[119:120]
	v_div_fixup_f64 v[98:99], v[100:101], v[98:99], 1.0
	v_mul_f64 v[100:101], v[113:114], -v[98:99]
.LBB46_198:
	s_or_b32 exec_lo, exec_lo, s1
.LBB46_199:
	s_or_b32 exec_lo, exec_lo, s0
	s_mov_b32 s0, exec_lo
	v_cmpx_ne_u32_e64 v112, v106
	s_xor_b32 s0, exec_lo, s0
	s_cbranch_execz .LBB46_205
; %bb.200:
	s_mov_b32 s1, exec_lo
	v_cmpx_eq_u32_e32 9, v112
	s_cbranch_execz .LBB46_204
; %bb.201:
	v_cmp_ne_u32_e32 vcc_lo, 9, v106
	s_xor_b32 s2, s16, -1
	s_and_b32 s3, s2, vcc_lo
	s_and_saveexec_b32 s2, s3
	s_cbranch_execz .LBB46_203
; %bb.202:
	v_ashrrev_i32_e32 v107, 31, v106
	v_lshlrev_b64 v[112:113], 2, v[106:107]
	v_add_co_u32 v112, vcc_lo, v104, v112
	v_add_co_ci_u32_e64 v113, null, v105, v113, vcc_lo
	s_clause 0x1
	global_load_dword v0, v[112:113], off
	global_load_dword v107, v[104:105], off offset:36
	s_waitcnt vmcnt(1)
	global_store_dword v[104:105], v0, off offset:36
	s_waitcnt vmcnt(0)
	global_store_dword v[112:113], v107, off
.LBB46_203:
	s_or_b32 exec_lo, exec_lo, s2
	v_mov_b32_e32 v112, v106
	v_mov_b32_e32 v0, v106
.LBB46_204:
	s_or_b32 exec_lo, exec_lo, s1
.LBB46_205:
	s_andn2_saveexec_b32 s0, s0
	s_cbranch_execz .LBB46_207
; %bb.206:
	v_mov_b32_e32 v112, 9
	ds_write2_b64 v1, v[54:55], v[56:57] offset0:20 offset1:21
	ds_write2_b64 v1, v[50:51], v[52:53] offset0:22 offset1:23
	;; [unrolled: 1-line block ×14, first 2 shown]
.LBB46_207:
	s_or_b32 exec_lo, exec_lo, s0
	s_mov_b32 s0, exec_lo
	s_waitcnt lgkmcnt(0)
	s_waitcnt_vscnt null, 0x0
	s_barrier
	buffer_gl0_inv
	v_cmpx_lt_i32_e32 9, v112
	s_cbranch_execz .LBB46_209
; %bb.208:
	v_mul_f64 v[106:107], v[98:99], v[60:61]
	v_mul_f64 v[60:61], v[100:101], v[60:61]
	v_fma_f64 v[106:107], v[100:101], v[58:59], v[106:107]
	v_fma_f64 v[58:59], v[98:99], v[58:59], -v[60:61]
	ds_read2_b64 v[98:101], v1 offset0:20 offset1:21
	s_waitcnt lgkmcnt(0)
	v_mul_f64 v[60:61], v[100:101], v[106:107]
	v_fma_f64 v[60:61], v[98:99], v[58:59], -v[60:61]
	v_mul_f64 v[98:99], v[98:99], v[106:107]
	v_add_f64 v[54:55], v[54:55], -v[60:61]
	v_fma_f64 v[98:99], v[100:101], v[58:59], v[98:99]
	v_add_f64 v[56:57], v[56:57], -v[98:99]
	ds_read2_b64 v[98:101], v1 offset0:22 offset1:23
	s_waitcnt lgkmcnt(0)
	v_mul_f64 v[60:61], v[100:101], v[106:107]
	v_fma_f64 v[60:61], v[98:99], v[58:59], -v[60:61]
	v_mul_f64 v[98:99], v[98:99], v[106:107]
	v_add_f64 v[50:51], v[50:51], -v[60:61]
	v_fma_f64 v[98:99], v[100:101], v[58:59], v[98:99]
	v_add_f64 v[52:53], v[52:53], -v[98:99]
	;; [unrolled: 8-line block ×13, first 2 shown]
	ds_read2_b64 v[98:101], v1 offset0:46 offset1:47
	s_waitcnt lgkmcnt(0)
	v_mul_f64 v[60:61], v[100:101], v[106:107]
	v_fma_f64 v[60:61], v[98:99], v[58:59], -v[60:61]
	v_mul_f64 v[98:99], v[98:99], v[106:107]
	v_add_f64 v[2:3], v[2:3], -v[60:61]
	v_fma_f64 v[98:99], v[100:101], v[58:59], v[98:99]
	v_mov_b32_e32 v60, v106
	v_mov_b32_e32 v61, v107
	v_add_f64 v[4:5], v[4:5], -v[98:99]
.LBB46_209:
	s_or_b32 exec_lo, exec_lo, s0
	v_lshl_add_u32 v98, v112, 4, v1
	s_barrier
	buffer_gl0_inv
	v_mov_b32_e32 v106, 10
	ds_write2_b64 v98, v[54:55], v[56:57] offset1:1
	s_waitcnt lgkmcnt(0)
	s_barrier
	buffer_gl0_inv
	ds_read2_b64 v[98:101], v1 offset0:20 offset1:21
	s_cmp_lt_i32 s18, 12
	s_cbranch_scc1 .LBB46_212
; %bb.210:
	v_add3_u32 v107, v108, 0, 0xb0
	v_mov_b32_e32 v106, 10
	s_mov_b32 s1, 11
	s_inst_prefetch 0x1
	.p2align	6
.LBB46_211:                             ; =>This Inner Loop Header: Depth=1
	s_waitcnt lgkmcnt(0)
	v_cmp_gt_f64_e32 vcc_lo, 0, v[100:101]
	v_cmp_gt_f64_e64 s0, 0, v[98:99]
	ds_read2_b64 v[113:116], v107 offset1:1
	v_xor_b32_e32 v118, 0x80000000, v99
	v_xor_b32_e32 v120, 0x80000000, v101
	v_mov_b32_e32 v117, v98
	v_mov_b32_e32 v119, v100
	v_add_nc_u32_e32 v107, 16, v107
	s_waitcnt lgkmcnt(0)
	v_xor_b32_e32 v122, 0x80000000, v116
	v_cndmask_b32_e64 v118, v99, v118, s0
	v_cndmask_b32_e32 v120, v101, v120, vcc_lo
	v_cmp_gt_f64_e32 vcc_lo, 0, v[115:116]
	v_cmp_gt_f64_e64 s0, 0, v[113:114]
	v_mov_b32_e32 v121, v115
	v_add_f64 v[117:118], v[117:118], v[119:120]
	v_xor_b32_e32 v120, 0x80000000, v114
	v_mov_b32_e32 v119, v113
	v_cndmask_b32_e32 v122, v116, v122, vcc_lo
	v_cndmask_b32_e64 v120, v114, v120, s0
	v_add_f64 v[119:120], v[119:120], v[121:122]
	v_cmp_lt_f64_e32 vcc_lo, v[117:118], v[119:120]
	v_cndmask_b32_e32 v99, v99, v114, vcc_lo
	v_cndmask_b32_e32 v98, v98, v113, vcc_lo
	;; [unrolled: 1-line block ×4, first 2 shown]
	v_cndmask_b32_e64 v106, v106, s1, vcc_lo
	s_add_i32 s1, s1, 1
	s_cmp_lg_u32 s18, s1
	s_cbranch_scc1 .LBB46_211
.LBB46_212:
	s_inst_prefetch 0x2
	s_waitcnt lgkmcnt(0)
	v_cmp_eq_f64_e32 vcc_lo, 0, v[98:99]
	v_cmp_eq_f64_e64 s0, 0, v[100:101]
	s_and_b32 s0, vcc_lo, s0
	s_and_saveexec_b32 s1, s0
	s_xor_b32 s0, exec_lo, s1
; %bb.213:
	v_cmp_ne_u32_e32 vcc_lo, 0, v111
	v_cndmask_b32_e32 v111, 11, v111, vcc_lo
; %bb.214:
	s_andn2_saveexec_b32 s0, s0
	s_cbranch_execz .LBB46_220
; %bb.215:
	v_cmp_ngt_f64_e64 s1, |v[98:99]|, |v[100:101]|
	s_and_saveexec_b32 s2, s1
	s_xor_b32 s1, exec_lo, s2
	s_cbranch_execz .LBB46_217
; %bb.216:
	v_div_scale_f64 v[113:114], null, v[100:101], v[100:101], v[98:99]
	v_div_scale_f64 v[119:120], vcc_lo, v[98:99], v[100:101], v[98:99]
	v_rcp_f64_e32 v[115:116], v[113:114]
	v_fma_f64 v[117:118], -v[113:114], v[115:116], 1.0
	v_fma_f64 v[115:116], v[115:116], v[117:118], v[115:116]
	v_fma_f64 v[117:118], -v[113:114], v[115:116], 1.0
	v_fma_f64 v[115:116], v[115:116], v[117:118], v[115:116]
	v_mul_f64 v[117:118], v[119:120], v[115:116]
	v_fma_f64 v[113:114], -v[113:114], v[117:118], v[119:120]
	v_div_fmas_f64 v[113:114], v[113:114], v[115:116], v[117:118]
	v_div_fixup_f64 v[113:114], v[113:114], v[100:101], v[98:99]
	v_fma_f64 v[98:99], v[98:99], v[113:114], v[100:101]
	v_div_scale_f64 v[100:101], null, v[98:99], v[98:99], 1.0
	v_rcp_f64_e32 v[115:116], v[100:101]
	v_fma_f64 v[117:118], -v[100:101], v[115:116], 1.0
	v_fma_f64 v[115:116], v[115:116], v[117:118], v[115:116]
	v_fma_f64 v[117:118], -v[100:101], v[115:116], 1.0
	v_fma_f64 v[115:116], v[115:116], v[117:118], v[115:116]
	v_div_scale_f64 v[117:118], vcc_lo, 1.0, v[98:99], 1.0
	v_mul_f64 v[119:120], v[117:118], v[115:116]
	v_fma_f64 v[100:101], -v[100:101], v[119:120], v[117:118]
	v_div_fmas_f64 v[100:101], v[100:101], v[115:116], v[119:120]
	v_div_fixup_f64 v[100:101], v[100:101], v[98:99], 1.0
	v_mul_f64 v[98:99], v[113:114], v[100:101]
	v_xor_b32_e32 v101, 0x80000000, v101
.LBB46_217:
	s_andn2_saveexec_b32 s1, s1
	s_cbranch_execz .LBB46_219
; %bb.218:
	v_div_scale_f64 v[113:114], null, v[98:99], v[98:99], v[100:101]
	v_div_scale_f64 v[119:120], vcc_lo, v[100:101], v[98:99], v[100:101]
	v_rcp_f64_e32 v[115:116], v[113:114]
	v_fma_f64 v[117:118], -v[113:114], v[115:116], 1.0
	v_fma_f64 v[115:116], v[115:116], v[117:118], v[115:116]
	v_fma_f64 v[117:118], -v[113:114], v[115:116], 1.0
	v_fma_f64 v[115:116], v[115:116], v[117:118], v[115:116]
	v_mul_f64 v[117:118], v[119:120], v[115:116]
	v_fma_f64 v[113:114], -v[113:114], v[117:118], v[119:120]
	v_div_fmas_f64 v[113:114], v[113:114], v[115:116], v[117:118]
	v_div_fixup_f64 v[113:114], v[113:114], v[98:99], v[100:101]
	v_fma_f64 v[98:99], v[100:101], v[113:114], v[98:99]
	v_div_scale_f64 v[100:101], null, v[98:99], v[98:99], 1.0
	v_rcp_f64_e32 v[115:116], v[100:101]
	v_fma_f64 v[117:118], -v[100:101], v[115:116], 1.0
	v_fma_f64 v[115:116], v[115:116], v[117:118], v[115:116]
	v_fma_f64 v[117:118], -v[100:101], v[115:116], 1.0
	v_fma_f64 v[115:116], v[115:116], v[117:118], v[115:116]
	v_div_scale_f64 v[117:118], vcc_lo, 1.0, v[98:99], 1.0
	v_mul_f64 v[119:120], v[117:118], v[115:116]
	v_fma_f64 v[100:101], -v[100:101], v[119:120], v[117:118]
	v_div_fmas_f64 v[100:101], v[100:101], v[115:116], v[119:120]
	v_div_fixup_f64 v[98:99], v[100:101], v[98:99], 1.0
	v_mul_f64 v[100:101], v[113:114], -v[98:99]
.LBB46_219:
	s_or_b32 exec_lo, exec_lo, s1
.LBB46_220:
	s_or_b32 exec_lo, exec_lo, s0
	s_mov_b32 s0, exec_lo
	v_cmpx_ne_u32_e64 v112, v106
	s_xor_b32 s0, exec_lo, s0
	s_cbranch_execz .LBB46_226
; %bb.221:
	s_mov_b32 s1, exec_lo
	v_cmpx_eq_u32_e32 10, v112
	s_cbranch_execz .LBB46_225
; %bb.222:
	v_cmp_ne_u32_e32 vcc_lo, 10, v106
	s_xor_b32 s2, s16, -1
	s_and_b32 s3, s2, vcc_lo
	s_and_saveexec_b32 s2, s3
	s_cbranch_execz .LBB46_224
; %bb.223:
	v_ashrrev_i32_e32 v107, 31, v106
	v_lshlrev_b64 v[112:113], 2, v[106:107]
	v_add_co_u32 v112, vcc_lo, v104, v112
	v_add_co_ci_u32_e64 v113, null, v105, v113, vcc_lo
	s_clause 0x1
	global_load_dword v0, v[112:113], off
	global_load_dword v107, v[104:105], off offset:40
	s_waitcnt vmcnt(1)
	global_store_dword v[104:105], v0, off offset:40
	s_waitcnt vmcnt(0)
	global_store_dword v[112:113], v107, off
.LBB46_224:
	s_or_b32 exec_lo, exec_lo, s2
	v_mov_b32_e32 v112, v106
	v_mov_b32_e32 v0, v106
.LBB46_225:
	s_or_b32 exec_lo, exec_lo, s1
.LBB46_226:
	s_andn2_saveexec_b32 s0, s0
	s_cbranch_execz .LBB46_228
; %bb.227:
	v_mov_b32_e32 v112, 10
	ds_write2_b64 v1, v[50:51], v[52:53] offset0:22 offset1:23
	ds_write2_b64 v1, v[46:47], v[48:49] offset0:24 offset1:25
	;; [unrolled: 1-line block ×13, first 2 shown]
.LBB46_228:
	s_or_b32 exec_lo, exec_lo, s0
	s_mov_b32 s0, exec_lo
	s_waitcnt lgkmcnt(0)
	s_waitcnt_vscnt null, 0x0
	s_barrier
	buffer_gl0_inv
	v_cmpx_lt_i32_e32 10, v112
	s_cbranch_execz .LBB46_230
; %bb.229:
	v_mul_f64 v[106:107], v[98:99], v[56:57]
	v_mul_f64 v[56:57], v[100:101], v[56:57]
	v_fma_f64 v[106:107], v[100:101], v[54:55], v[106:107]
	v_fma_f64 v[54:55], v[98:99], v[54:55], -v[56:57]
	ds_read2_b64 v[98:101], v1 offset0:22 offset1:23
	s_waitcnt lgkmcnt(0)
	v_mul_f64 v[56:57], v[100:101], v[106:107]
	v_fma_f64 v[56:57], v[98:99], v[54:55], -v[56:57]
	v_mul_f64 v[98:99], v[98:99], v[106:107]
	v_add_f64 v[50:51], v[50:51], -v[56:57]
	v_fma_f64 v[98:99], v[100:101], v[54:55], v[98:99]
	v_add_f64 v[52:53], v[52:53], -v[98:99]
	ds_read2_b64 v[98:101], v1 offset0:24 offset1:25
	s_waitcnt lgkmcnt(0)
	v_mul_f64 v[56:57], v[100:101], v[106:107]
	v_fma_f64 v[56:57], v[98:99], v[54:55], -v[56:57]
	v_mul_f64 v[98:99], v[98:99], v[106:107]
	v_add_f64 v[46:47], v[46:47], -v[56:57]
	v_fma_f64 v[98:99], v[100:101], v[54:55], v[98:99]
	v_add_f64 v[48:49], v[48:49], -v[98:99]
	;; [unrolled: 8-line block ×12, first 2 shown]
	ds_read2_b64 v[98:101], v1 offset0:46 offset1:47
	s_waitcnt lgkmcnt(0)
	v_mul_f64 v[56:57], v[100:101], v[106:107]
	v_fma_f64 v[56:57], v[98:99], v[54:55], -v[56:57]
	v_mul_f64 v[98:99], v[98:99], v[106:107]
	v_add_f64 v[2:3], v[2:3], -v[56:57]
	v_fma_f64 v[98:99], v[100:101], v[54:55], v[98:99]
	v_mov_b32_e32 v56, v106
	v_mov_b32_e32 v57, v107
	v_add_f64 v[4:5], v[4:5], -v[98:99]
.LBB46_230:
	s_or_b32 exec_lo, exec_lo, s0
	v_lshl_add_u32 v98, v112, 4, v1
	s_barrier
	buffer_gl0_inv
	v_mov_b32_e32 v106, 11
	ds_write2_b64 v98, v[50:51], v[52:53] offset1:1
	s_waitcnt lgkmcnt(0)
	s_barrier
	buffer_gl0_inv
	ds_read2_b64 v[98:101], v1 offset0:22 offset1:23
	s_cmp_lt_i32 s18, 13
	s_cbranch_scc1 .LBB46_233
; %bb.231:
	v_add3_u32 v107, v108, 0, 0xc0
	v_mov_b32_e32 v106, 11
	s_mov_b32 s1, 12
	s_inst_prefetch 0x1
	.p2align	6
.LBB46_232:                             ; =>This Inner Loop Header: Depth=1
	s_waitcnt lgkmcnt(0)
	v_cmp_gt_f64_e32 vcc_lo, 0, v[100:101]
	v_cmp_gt_f64_e64 s0, 0, v[98:99]
	ds_read2_b64 v[113:116], v107 offset1:1
	v_xor_b32_e32 v118, 0x80000000, v99
	v_xor_b32_e32 v120, 0x80000000, v101
	v_mov_b32_e32 v117, v98
	v_mov_b32_e32 v119, v100
	v_add_nc_u32_e32 v107, 16, v107
	s_waitcnt lgkmcnt(0)
	v_xor_b32_e32 v122, 0x80000000, v116
	v_cndmask_b32_e64 v118, v99, v118, s0
	v_cndmask_b32_e32 v120, v101, v120, vcc_lo
	v_cmp_gt_f64_e32 vcc_lo, 0, v[115:116]
	v_cmp_gt_f64_e64 s0, 0, v[113:114]
	v_mov_b32_e32 v121, v115
	v_add_f64 v[117:118], v[117:118], v[119:120]
	v_xor_b32_e32 v120, 0x80000000, v114
	v_mov_b32_e32 v119, v113
	v_cndmask_b32_e32 v122, v116, v122, vcc_lo
	v_cndmask_b32_e64 v120, v114, v120, s0
	v_add_f64 v[119:120], v[119:120], v[121:122]
	v_cmp_lt_f64_e32 vcc_lo, v[117:118], v[119:120]
	v_cndmask_b32_e32 v99, v99, v114, vcc_lo
	v_cndmask_b32_e32 v98, v98, v113, vcc_lo
	;; [unrolled: 1-line block ×4, first 2 shown]
	v_cndmask_b32_e64 v106, v106, s1, vcc_lo
	s_add_i32 s1, s1, 1
	s_cmp_lg_u32 s18, s1
	s_cbranch_scc1 .LBB46_232
.LBB46_233:
	s_inst_prefetch 0x2
	s_waitcnt lgkmcnt(0)
	v_cmp_eq_f64_e32 vcc_lo, 0, v[98:99]
	v_cmp_eq_f64_e64 s0, 0, v[100:101]
	s_and_b32 s0, vcc_lo, s0
	s_and_saveexec_b32 s1, s0
	s_xor_b32 s0, exec_lo, s1
; %bb.234:
	v_cmp_ne_u32_e32 vcc_lo, 0, v111
	v_cndmask_b32_e32 v111, 12, v111, vcc_lo
; %bb.235:
	s_andn2_saveexec_b32 s0, s0
	s_cbranch_execz .LBB46_241
; %bb.236:
	v_cmp_ngt_f64_e64 s1, |v[98:99]|, |v[100:101]|
	s_and_saveexec_b32 s2, s1
	s_xor_b32 s1, exec_lo, s2
	s_cbranch_execz .LBB46_238
; %bb.237:
	v_div_scale_f64 v[113:114], null, v[100:101], v[100:101], v[98:99]
	v_div_scale_f64 v[119:120], vcc_lo, v[98:99], v[100:101], v[98:99]
	v_rcp_f64_e32 v[115:116], v[113:114]
	v_fma_f64 v[117:118], -v[113:114], v[115:116], 1.0
	v_fma_f64 v[115:116], v[115:116], v[117:118], v[115:116]
	v_fma_f64 v[117:118], -v[113:114], v[115:116], 1.0
	v_fma_f64 v[115:116], v[115:116], v[117:118], v[115:116]
	v_mul_f64 v[117:118], v[119:120], v[115:116]
	v_fma_f64 v[113:114], -v[113:114], v[117:118], v[119:120]
	v_div_fmas_f64 v[113:114], v[113:114], v[115:116], v[117:118]
	v_div_fixup_f64 v[113:114], v[113:114], v[100:101], v[98:99]
	v_fma_f64 v[98:99], v[98:99], v[113:114], v[100:101]
	v_div_scale_f64 v[100:101], null, v[98:99], v[98:99], 1.0
	v_rcp_f64_e32 v[115:116], v[100:101]
	v_fma_f64 v[117:118], -v[100:101], v[115:116], 1.0
	v_fma_f64 v[115:116], v[115:116], v[117:118], v[115:116]
	v_fma_f64 v[117:118], -v[100:101], v[115:116], 1.0
	v_fma_f64 v[115:116], v[115:116], v[117:118], v[115:116]
	v_div_scale_f64 v[117:118], vcc_lo, 1.0, v[98:99], 1.0
	v_mul_f64 v[119:120], v[117:118], v[115:116]
	v_fma_f64 v[100:101], -v[100:101], v[119:120], v[117:118]
	v_div_fmas_f64 v[100:101], v[100:101], v[115:116], v[119:120]
	v_div_fixup_f64 v[100:101], v[100:101], v[98:99], 1.0
	v_mul_f64 v[98:99], v[113:114], v[100:101]
	v_xor_b32_e32 v101, 0x80000000, v101
.LBB46_238:
	s_andn2_saveexec_b32 s1, s1
	s_cbranch_execz .LBB46_240
; %bb.239:
	v_div_scale_f64 v[113:114], null, v[98:99], v[98:99], v[100:101]
	v_div_scale_f64 v[119:120], vcc_lo, v[100:101], v[98:99], v[100:101]
	v_rcp_f64_e32 v[115:116], v[113:114]
	v_fma_f64 v[117:118], -v[113:114], v[115:116], 1.0
	v_fma_f64 v[115:116], v[115:116], v[117:118], v[115:116]
	v_fma_f64 v[117:118], -v[113:114], v[115:116], 1.0
	v_fma_f64 v[115:116], v[115:116], v[117:118], v[115:116]
	v_mul_f64 v[117:118], v[119:120], v[115:116]
	v_fma_f64 v[113:114], -v[113:114], v[117:118], v[119:120]
	v_div_fmas_f64 v[113:114], v[113:114], v[115:116], v[117:118]
	v_div_fixup_f64 v[113:114], v[113:114], v[98:99], v[100:101]
	v_fma_f64 v[98:99], v[100:101], v[113:114], v[98:99]
	v_div_scale_f64 v[100:101], null, v[98:99], v[98:99], 1.0
	v_rcp_f64_e32 v[115:116], v[100:101]
	v_fma_f64 v[117:118], -v[100:101], v[115:116], 1.0
	v_fma_f64 v[115:116], v[115:116], v[117:118], v[115:116]
	v_fma_f64 v[117:118], -v[100:101], v[115:116], 1.0
	v_fma_f64 v[115:116], v[115:116], v[117:118], v[115:116]
	v_div_scale_f64 v[117:118], vcc_lo, 1.0, v[98:99], 1.0
	v_mul_f64 v[119:120], v[117:118], v[115:116]
	v_fma_f64 v[100:101], -v[100:101], v[119:120], v[117:118]
	v_div_fmas_f64 v[100:101], v[100:101], v[115:116], v[119:120]
	v_div_fixup_f64 v[98:99], v[100:101], v[98:99], 1.0
	v_mul_f64 v[100:101], v[113:114], -v[98:99]
.LBB46_240:
	s_or_b32 exec_lo, exec_lo, s1
.LBB46_241:
	s_or_b32 exec_lo, exec_lo, s0
	s_mov_b32 s0, exec_lo
	v_cmpx_ne_u32_e64 v112, v106
	s_xor_b32 s0, exec_lo, s0
	s_cbranch_execz .LBB46_247
; %bb.242:
	s_mov_b32 s1, exec_lo
	v_cmpx_eq_u32_e32 11, v112
	s_cbranch_execz .LBB46_246
; %bb.243:
	v_cmp_ne_u32_e32 vcc_lo, 11, v106
	s_xor_b32 s2, s16, -1
	s_and_b32 s3, s2, vcc_lo
	s_and_saveexec_b32 s2, s3
	s_cbranch_execz .LBB46_245
; %bb.244:
	v_ashrrev_i32_e32 v107, 31, v106
	v_lshlrev_b64 v[112:113], 2, v[106:107]
	v_add_co_u32 v112, vcc_lo, v104, v112
	v_add_co_ci_u32_e64 v113, null, v105, v113, vcc_lo
	s_clause 0x1
	global_load_dword v0, v[112:113], off
	global_load_dword v107, v[104:105], off offset:44
	s_waitcnt vmcnt(1)
	global_store_dword v[104:105], v0, off offset:44
	s_waitcnt vmcnt(0)
	global_store_dword v[112:113], v107, off
.LBB46_245:
	s_or_b32 exec_lo, exec_lo, s2
	v_mov_b32_e32 v112, v106
	v_mov_b32_e32 v0, v106
.LBB46_246:
	s_or_b32 exec_lo, exec_lo, s1
.LBB46_247:
	s_andn2_saveexec_b32 s0, s0
	s_cbranch_execz .LBB46_249
; %bb.248:
	v_mov_b32_e32 v112, 11
	ds_write2_b64 v1, v[46:47], v[48:49] offset0:24 offset1:25
	ds_write2_b64 v1, v[42:43], v[44:45] offset0:26 offset1:27
	;; [unrolled: 1-line block ×12, first 2 shown]
.LBB46_249:
	s_or_b32 exec_lo, exec_lo, s0
	s_mov_b32 s0, exec_lo
	s_waitcnt lgkmcnt(0)
	s_waitcnt_vscnt null, 0x0
	s_barrier
	buffer_gl0_inv
	v_cmpx_lt_i32_e32 11, v112
	s_cbranch_execz .LBB46_251
; %bb.250:
	v_mul_f64 v[106:107], v[98:99], v[52:53]
	v_mul_f64 v[52:53], v[100:101], v[52:53]
	v_fma_f64 v[106:107], v[100:101], v[50:51], v[106:107]
	v_fma_f64 v[50:51], v[98:99], v[50:51], -v[52:53]
	ds_read2_b64 v[98:101], v1 offset0:24 offset1:25
	s_waitcnt lgkmcnt(0)
	v_mul_f64 v[52:53], v[100:101], v[106:107]
	v_fma_f64 v[52:53], v[98:99], v[50:51], -v[52:53]
	v_mul_f64 v[98:99], v[98:99], v[106:107]
	v_add_f64 v[46:47], v[46:47], -v[52:53]
	v_fma_f64 v[98:99], v[100:101], v[50:51], v[98:99]
	v_add_f64 v[48:49], v[48:49], -v[98:99]
	ds_read2_b64 v[98:101], v1 offset0:26 offset1:27
	s_waitcnt lgkmcnt(0)
	v_mul_f64 v[52:53], v[100:101], v[106:107]
	v_fma_f64 v[52:53], v[98:99], v[50:51], -v[52:53]
	v_mul_f64 v[98:99], v[98:99], v[106:107]
	v_add_f64 v[42:43], v[42:43], -v[52:53]
	v_fma_f64 v[98:99], v[100:101], v[50:51], v[98:99]
	v_add_f64 v[44:45], v[44:45], -v[98:99]
	;; [unrolled: 8-line block ×11, first 2 shown]
	ds_read2_b64 v[98:101], v1 offset0:46 offset1:47
	s_waitcnt lgkmcnt(0)
	v_mul_f64 v[52:53], v[100:101], v[106:107]
	v_fma_f64 v[52:53], v[98:99], v[50:51], -v[52:53]
	v_mul_f64 v[98:99], v[98:99], v[106:107]
	v_add_f64 v[2:3], v[2:3], -v[52:53]
	v_fma_f64 v[98:99], v[100:101], v[50:51], v[98:99]
	v_mov_b32_e32 v52, v106
	v_mov_b32_e32 v53, v107
	v_add_f64 v[4:5], v[4:5], -v[98:99]
.LBB46_251:
	s_or_b32 exec_lo, exec_lo, s0
	v_lshl_add_u32 v98, v112, 4, v1
	s_barrier
	buffer_gl0_inv
	v_mov_b32_e32 v106, 12
	ds_write2_b64 v98, v[46:47], v[48:49] offset1:1
	s_waitcnt lgkmcnt(0)
	s_barrier
	buffer_gl0_inv
	ds_read2_b64 v[98:101], v1 offset0:24 offset1:25
	s_cmp_lt_i32 s18, 14
	s_cbranch_scc1 .LBB46_254
; %bb.252:
	v_add3_u32 v107, v108, 0, 0xd0
	v_mov_b32_e32 v106, 12
	s_mov_b32 s1, 13
	s_inst_prefetch 0x1
	.p2align	6
.LBB46_253:                             ; =>This Inner Loop Header: Depth=1
	s_waitcnt lgkmcnt(0)
	v_cmp_gt_f64_e32 vcc_lo, 0, v[100:101]
	v_cmp_gt_f64_e64 s0, 0, v[98:99]
	ds_read2_b64 v[113:116], v107 offset1:1
	v_xor_b32_e32 v118, 0x80000000, v99
	v_xor_b32_e32 v120, 0x80000000, v101
	v_mov_b32_e32 v117, v98
	v_mov_b32_e32 v119, v100
	v_add_nc_u32_e32 v107, 16, v107
	s_waitcnt lgkmcnt(0)
	v_xor_b32_e32 v122, 0x80000000, v116
	v_cndmask_b32_e64 v118, v99, v118, s0
	v_cndmask_b32_e32 v120, v101, v120, vcc_lo
	v_cmp_gt_f64_e32 vcc_lo, 0, v[115:116]
	v_cmp_gt_f64_e64 s0, 0, v[113:114]
	v_mov_b32_e32 v121, v115
	v_add_f64 v[117:118], v[117:118], v[119:120]
	v_xor_b32_e32 v120, 0x80000000, v114
	v_mov_b32_e32 v119, v113
	v_cndmask_b32_e32 v122, v116, v122, vcc_lo
	v_cndmask_b32_e64 v120, v114, v120, s0
	v_add_f64 v[119:120], v[119:120], v[121:122]
	v_cmp_lt_f64_e32 vcc_lo, v[117:118], v[119:120]
	v_cndmask_b32_e32 v99, v99, v114, vcc_lo
	v_cndmask_b32_e32 v98, v98, v113, vcc_lo
	;; [unrolled: 1-line block ×4, first 2 shown]
	v_cndmask_b32_e64 v106, v106, s1, vcc_lo
	s_add_i32 s1, s1, 1
	s_cmp_lg_u32 s18, s1
	s_cbranch_scc1 .LBB46_253
.LBB46_254:
	s_inst_prefetch 0x2
	s_waitcnt lgkmcnt(0)
	v_cmp_eq_f64_e32 vcc_lo, 0, v[98:99]
	v_cmp_eq_f64_e64 s0, 0, v[100:101]
	s_and_b32 s0, vcc_lo, s0
	s_and_saveexec_b32 s1, s0
	s_xor_b32 s0, exec_lo, s1
; %bb.255:
	v_cmp_ne_u32_e32 vcc_lo, 0, v111
	v_cndmask_b32_e32 v111, 13, v111, vcc_lo
; %bb.256:
	s_andn2_saveexec_b32 s0, s0
	s_cbranch_execz .LBB46_262
; %bb.257:
	v_cmp_ngt_f64_e64 s1, |v[98:99]|, |v[100:101]|
	s_and_saveexec_b32 s2, s1
	s_xor_b32 s1, exec_lo, s2
	s_cbranch_execz .LBB46_259
; %bb.258:
	v_div_scale_f64 v[113:114], null, v[100:101], v[100:101], v[98:99]
	v_div_scale_f64 v[119:120], vcc_lo, v[98:99], v[100:101], v[98:99]
	v_rcp_f64_e32 v[115:116], v[113:114]
	v_fma_f64 v[117:118], -v[113:114], v[115:116], 1.0
	v_fma_f64 v[115:116], v[115:116], v[117:118], v[115:116]
	v_fma_f64 v[117:118], -v[113:114], v[115:116], 1.0
	v_fma_f64 v[115:116], v[115:116], v[117:118], v[115:116]
	v_mul_f64 v[117:118], v[119:120], v[115:116]
	v_fma_f64 v[113:114], -v[113:114], v[117:118], v[119:120]
	v_div_fmas_f64 v[113:114], v[113:114], v[115:116], v[117:118]
	v_div_fixup_f64 v[113:114], v[113:114], v[100:101], v[98:99]
	v_fma_f64 v[98:99], v[98:99], v[113:114], v[100:101]
	v_div_scale_f64 v[100:101], null, v[98:99], v[98:99], 1.0
	v_rcp_f64_e32 v[115:116], v[100:101]
	v_fma_f64 v[117:118], -v[100:101], v[115:116], 1.0
	v_fma_f64 v[115:116], v[115:116], v[117:118], v[115:116]
	v_fma_f64 v[117:118], -v[100:101], v[115:116], 1.0
	v_fma_f64 v[115:116], v[115:116], v[117:118], v[115:116]
	v_div_scale_f64 v[117:118], vcc_lo, 1.0, v[98:99], 1.0
	v_mul_f64 v[119:120], v[117:118], v[115:116]
	v_fma_f64 v[100:101], -v[100:101], v[119:120], v[117:118]
	v_div_fmas_f64 v[100:101], v[100:101], v[115:116], v[119:120]
	v_div_fixup_f64 v[100:101], v[100:101], v[98:99], 1.0
	v_mul_f64 v[98:99], v[113:114], v[100:101]
	v_xor_b32_e32 v101, 0x80000000, v101
.LBB46_259:
	s_andn2_saveexec_b32 s1, s1
	s_cbranch_execz .LBB46_261
; %bb.260:
	v_div_scale_f64 v[113:114], null, v[98:99], v[98:99], v[100:101]
	v_div_scale_f64 v[119:120], vcc_lo, v[100:101], v[98:99], v[100:101]
	v_rcp_f64_e32 v[115:116], v[113:114]
	v_fma_f64 v[117:118], -v[113:114], v[115:116], 1.0
	v_fma_f64 v[115:116], v[115:116], v[117:118], v[115:116]
	v_fma_f64 v[117:118], -v[113:114], v[115:116], 1.0
	v_fma_f64 v[115:116], v[115:116], v[117:118], v[115:116]
	v_mul_f64 v[117:118], v[119:120], v[115:116]
	v_fma_f64 v[113:114], -v[113:114], v[117:118], v[119:120]
	v_div_fmas_f64 v[113:114], v[113:114], v[115:116], v[117:118]
	v_div_fixup_f64 v[113:114], v[113:114], v[98:99], v[100:101]
	v_fma_f64 v[98:99], v[100:101], v[113:114], v[98:99]
	v_div_scale_f64 v[100:101], null, v[98:99], v[98:99], 1.0
	v_rcp_f64_e32 v[115:116], v[100:101]
	v_fma_f64 v[117:118], -v[100:101], v[115:116], 1.0
	v_fma_f64 v[115:116], v[115:116], v[117:118], v[115:116]
	v_fma_f64 v[117:118], -v[100:101], v[115:116], 1.0
	v_fma_f64 v[115:116], v[115:116], v[117:118], v[115:116]
	v_div_scale_f64 v[117:118], vcc_lo, 1.0, v[98:99], 1.0
	v_mul_f64 v[119:120], v[117:118], v[115:116]
	v_fma_f64 v[100:101], -v[100:101], v[119:120], v[117:118]
	v_div_fmas_f64 v[100:101], v[100:101], v[115:116], v[119:120]
	v_div_fixup_f64 v[98:99], v[100:101], v[98:99], 1.0
	v_mul_f64 v[100:101], v[113:114], -v[98:99]
.LBB46_261:
	s_or_b32 exec_lo, exec_lo, s1
.LBB46_262:
	s_or_b32 exec_lo, exec_lo, s0
	s_mov_b32 s0, exec_lo
	v_cmpx_ne_u32_e64 v112, v106
	s_xor_b32 s0, exec_lo, s0
	s_cbranch_execz .LBB46_268
; %bb.263:
	s_mov_b32 s1, exec_lo
	v_cmpx_eq_u32_e32 12, v112
	s_cbranch_execz .LBB46_267
; %bb.264:
	v_cmp_ne_u32_e32 vcc_lo, 12, v106
	s_xor_b32 s2, s16, -1
	s_and_b32 s3, s2, vcc_lo
	s_and_saveexec_b32 s2, s3
	s_cbranch_execz .LBB46_266
; %bb.265:
	v_ashrrev_i32_e32 v107, 31, v106
	v_lshlrev_b64 v[112:113], 2, v[106:107]
	v_add_co_u32 v112, vcc_lo, v104, v112
	v_add_co_ci_u32_e64 v113, null, v105, v113, vcc_lo
	s_clause 0x1
	global_load_dword v0, v[112:113], off
	global_load_dword v107, v[104:105], off offset:48
	s_waitcnt vmcnt(1)
	global_store_dword v[104:105], v0, off offset:48
	s_waitcnt vmcnt(0)
	global_store_dword v[112:113], v107, off
.LBB46_266:
	s_or_b32 exec_lo, exec_lo, s2
	v_mov_b32_e32 v112, v106
	v_mov_b32_e32 v0, v106
.LBB46_267:
	s_or_b32 exec_lo, exec_lo, s1
.LBB46_268:
	s_andn2_saveexec_b32 s0, s0
	s_cbranch_execz .LBB46_270
; %bb.269:
	v_mov_b32_e32 v112, 12
	ds_write2_b64 v1, v[42:43], v[44:45] offset0:26 offset1:27
	ds_write2_b64 v1, v[38:39], v[40:41] offset0:28 offset1:29
	;; [unrolled: 1-line block ×11, first 2 shown]
.LBB46_270:
	s_or_b32 exec_lo, exec_lo, s0
	s_mov_b32 s0, exec_lo
	s_waitcnt lgkmcnt(0)
	s_waitcnt_vscnt null, 0x0
	s_barrier
	buffer_gl0_inv
	v_cmpx_lt_i32_e32 12, v112
	s_cbranch_execz .LBB46_272
; %bb.271:
	v_mul_f64 v[106:107], v[98:99], v[48:49]
	v_mul_f64 v[48:49], v[100:101], v[48:49]
	v_fma_f64 v[106:107], v[100:101], v[46:47], v[106:107]
	v_fma_f64 v[46:47], v[98:99], v[46:47], -v[48:49]
	ds_read2_b64 v[98:101], v1 offset0:26 offset1:27
	s_waitcnt lgkmcnt(0)
	v_mul_f64 v[48:49], v[100:101], v[106:107]
	v_fma_f64 v[48:49], v[98:99], v[46:47], -v[48:49]
	v_mul_f64 v[98:99], v[98:99], v[106:107]
	v_add_f64 v[42:43], v[42:43], -v[48:49]
	v_fma_f64 v[98:99], v[100:101], v[46:47], v[98:99]
	v_add_f64 v[44:45], v[44:45], -v[98:99]
	ds_read2_b64 v[98:101], v1 offset0:28 offset1:29
	s_waitcnt lgkmcnt(0)
	v_mul_f64 v[48:49], v[100:101], v[106:107]
	v_fma_f64 v[48:49], v[98:99], v[46:47], -v[48:49]
	v_mul_f64 v[98:99], v[98:99], v[106:107]
	v_add_f64 v[38:39], v[38:39], -v[48:49]
	v_fma_f64 v[98:99], v[100:101], v[46:47], v[98:99]
	v_add_f64 v[40:41], v[40:41], -v[98:99]
	ds_read2_b64 v[98:101], v1 offset0:30 offset1:31
	s_waitcnt lgkmcnt(0)
	v_mul_f64 v[48:49], v[100:101], v[106:107]
	v_fma_f64 v[48:49], v[98:99], v[46:47], -v[48:49]
	v_mul_f64 v[98:99], v[98:99], v[106:107]
	v_add_f64 v[34:35], v[34:35], -v[48:49]
	v_fma_f64 v[98:99], v[100:101], v[46:47], v[98:99]
	v_add_f64 v[36:37], v[36:37], -v[98:99]
	ds_read2_b64 v[98:101], v1 offset0:32 offset1:33
	s_waitcnt lgkmcnt(0)
	v_mul_f64 v[48:49], v[100:101], v[106:107]
	v_fma_f64 v[48:49], v[98:99], v[46:47], -v[48:49]
	v_mul_f64 v[98:99], v[98:99], v[106:107]
	v_add_f64 v[30:31], v[30:31], -v[48:49]
	v_fma_f64 v[98:99], v[100:101], v[46:47], v[98:99]
	v_add_f64 v[32:33], v[32:33], -v[98:99]
	ds_read2_b64 v[98:101], v1 offset0:34 offset1:35
	s_waitcnt lgkmcnt(0)
	v_mul_f64 v[48:49], v[100:101], v[106:107]
	v_fma_f64 v[48:49], v[98:99], v[46:47], -v[48:49]
	v_mul_f64 v[98:99], v[98:99], v[106:107]
	v_add_f64 v[26:27], v[26:27], -v[48:49]
	v_fma_f64 v[98:99], v[100:101], v[46:47], v[98:99]
	v_add_f64 v[28:29], v[28:29], -v[98:99]
	ds_read2_b64 v[98:101], v1 offset0:36 offset1:37
	s_waitcnt lgkmcnt(0)
	v_mul_f64 v[48:49], v[100:101], v[106:107]
	v_fma_f64 v[48:49], v[98:99], v[46:47], -v[48:49]
	v_mul_f64 v[98:99], v[98:99], v[106:107]
	v_add_f64 v[22:23], v[22:23], -v[48:49]
	v_fma_f64 v[98:99], v[100:101], v[46:47], v[98:99]
	v_add_f64 v[24:25], v[24:25], -v[98:99]
	ds_read2_b64 v[98:101], v1 offset0:38 offset1:39
	s_waitcnt lgkmcnt(0)
	v_mul_f64 v[48:49], v[100:101], v[106:107]
	v_fma_f64 v[48:49], v[98:99], v[46:47], -v[48:49]
	v_mul_f64 v[98:99], v[98:99], v[106:107]
	v_add_f64 v[18:19], v[18:19], -v[48:49]
	v_fma_f64 v[98:99], v[100:101], v[46:47], v[98:99]
	v_add_f64 v[20:21], v[20:21], -v[98:99]
	ds_read2_b64 v[98:101], v1 offset0:40 offset1:41
	s_waitcnt lgkmcnt(0)
	v_mul_f64 v[48:49], v[100:101], v[106:107]
	v_fma_f64 v[48:49], v[98:99], v[46:47], -v[48:49]
	v_mul_f64 v[98:99], v[98:99], v[106:107]
	v_add_f64 v[14:15], v[14:15], -v[48:49]
	v_fma_f64 v[98:99], v[100:101], v[46:47], v[98:99]
	v_add_f64 v[16:17], v[16:17], -v[98:99]
	ds_read2_b64 v[98:101], v1 offset0:42 offset1:43
	s_waitcnt lgkmcnt(0)
	v_mul_f64 v[48:49], v[100:101], v[106:107]
	v_fma_f64 v[48:49], v[98:99], v[46:47], -v[48:49]
	v_mul_f64 v[98:99], v[98:99], v[106:107]
	v_add_f64 v[10:11], v[10:11], -v[48:49]
	v_fma_f64 v[98:99], v[100:101], v[46:47], v[98:99]
	v_add_f64 v[12:13], v[12:13], -v[98:99]
	ds_read2_b64 v[98:101], v1 offset0:44 offset1:45
	s_waitcnt lgkmcnt(0)
	v_mul_f64 v[48:49], v[100:101], v[106:107]
	v_fma_f64 v[48:49], v[98:99], v[46:47], -v[48:49]
	v_mul_f64 v[98:99], v[98:99], v[106:107]
	v_add_f64 v[6:7], v[6:7], -v[48:49]
	v_fma_f64 v[98:99], v[100:101], v[46:47], v[98:99]
	v_add_f64 v[8:9], v[8:9], -v[98:99]
	ds_read2_b64 v[98:101], v1 offset0:46 offset1:47
	s_waitcnt lgkmcnt(0)
	v_mul_f64 v[48:49], v[100:101], v[106:107]
	v_fma_f64 v[48:49], v[98:99], v[46:47], -v[48:49]
	v_mul_f64 v[98:99], v[98:99], v[106:107]
	v_add_f64 v[2:3], v[2:3], -v[48:49]
	v_fma_f64 v[98:99], v[100:101], v[46:47], v[98:99]
	v_mov_b32_e32 v48, v106
	v_mov_b32_e32 v49, v107
	v_add_f64 v[4:5], v[4:5], -v[98:99]
.LBB46_272:
	s_or_b32 exec_lo, exec_lo, s0
	v_lshl_add_u32 v98, v112, 4, v1
	s_barrier
	buffer_gl0_inv
	v_mov_b32_e32 v106, 13
	ds_write2_b64 v98, v[42:43], v[44:45] offset1:1
	s_waitcnt lgkmcnt(0)
	s_barrier
	buffer_gl0_inv
	ds_read2_b64 v[98:101], v1 offset0:26 offset1:27
	s_cmp_lt_i32 s18, 15
	s_cbranch_scc1 .LBB46_275
; %bb.273:
	v_add3_u32 v107, v108, 0, 0xe0
	v_mov_b32_e32 v106, 13
	s_mov_b32 s1, 14
	s_inst_prefetch 0x1
	.p2align	6
.LBB46_274:                             ; =>This Inner Loop Header: Depth=1
	s_waitcnt lgkmcnt(0)
	v_cmp_gt_f64_e32 vcc_lo, 0, v[100:101]
	v_cmp_gt_f64_e64 s0, 0, v[98:99]
	ds_read2_b64 v[113:116], v107 offset1:1
	v_xor_b32_e32 v118, 0x80000000, v99
	v_xor_b32_e32 v120, 0x80000000, v101
	v_mov_b32_e32 v117, v98
	v_mov_b32_e32 v119, v100
	v_add_nc_u32_e32 v107, 16, v107
	s_waitcnt lgkmcnt(0)
	v_xor_b32_e32 v122, 0x80000000, v116
	v_cndmask_b32_e64 v118, v99, v118, s0
	v_cndmask_b32_e32 v120, v101, v120, vcc_lo
	v_cmp_gt_f64_e32 vcc_lo, 0, v[115:116]
	v_cmp_gt_f64_e64 s0, 0, v[113:114]
	v_mov_b32_e32 v121, v115
	v_add_f64 v[117:118], v[117:118], v[119:120]
	v_xor_b32_e32 v120, 0x80000000, v114
	v_mov_b32_e32 v119, v113
	v_cndmask_b32_e32 v122, v116, v122, vcc_lo
	v_cndmask_b32_e64 v120, v114, v120, s0
	v_add_f64 v[119:120], v[119:120], v[121:122]
	v_cmp_lt_f64_e32 vcc_lo, v[117:118], v[119:120]
	v_cndmask_b32_e32 v99, v99, v114, vcc_lo
	v_cndmask_b32_e32 v98, v98, v113, vcc_lo
	v_cndmask_b32_e32 v101, v101, v116, vcc_lo
	v_cndmask_b32_e32 v100, v100, v115, vcc_lo
	v_cndmask_b32_e64 v106, v106, s1, vcc_lo
	s_add_i32 s1, s1, 1
	s_cmp_lg_u32 s18, s1
	s_cbranch_scc1 .LBB46_274
.LBB46_275:
	s_inst_prefetch 0x2
	s_waitcnt lgkmcnt(0)
	v_cmp_eq_f64_e32 vcc_lo, 0, v[98:99]
	v_cmp_eq_f64_e64 s0, 0, v[100:101]
	s_and_b32 s0, vcc_lo, s0
	s_and_saveexec_b32 s1, s0
	s_xor_b32 s0, exec_lo, s1
; %bb.276:
	v_cmp_ne_u32_e32 vcc_lo, 0, v111
	v_cndmask_b32_e32 v111, 14, v111, vcc_lo
; %bb.277:
	s_andn2_saveexec_b32 s0, s0
	s_cbranch_execz .LBB46_283
; %bb.278:
	v_cmp_ngt_f64_e64 s1, |v[98:99]|, |v[100:101]|
	s_and_saveexec_b32 s2, s1
	s_xor_b32 s1, exec_lo, s2
	s_cbranch_execz .LBB46_280
; %bb.279:
	v_div_scale_f64 v[113:114], null, v[100:101], v[100:101], v[98:99]
	v_div_scale_f64 v[119:120], vcc_lo, v[98:99], v[100:101], v[98:99]
	v_rcp_f64_e32 v[115:116], v[113:114]
	v_fma_f64 v[117:118], -v[113:114], v[115:116], 1.0
	v_fma_f64 v[115:116], v[115:116], v[117:118], v[115:116]
	v_fma_f64 v[117:118], -v[113:114], v[115:116], 1.0
	v_fma_f64 v[115:116], v[115:116], v[117:118], v[115:116]
	v_mul_f64 v[117:118], v[119:120], v[115:116]
	v_fma_f64 v[113:114], -v[113:114], v[117:118], v[119:120]
	v_div_fmas_f64 v[113:114], v[113:114], v[115:116], v[117:118]
	v_div_fixup_f64 v[113:114], v[113:114], v[100:101], v[98:99]
	v_fma_f64 v[98:99], v[98:99], v[113:114], v[100:101]
	v_div_scale_f64 v[100:101], null, v[98:99], v[98:99], 1.0
	v_rcp_f64_e32 v[115:116], v[100:101]
	v_fma_f64 v[117:118], -v[100:101], v[115:116], 1.0
	v_fma_f64 v[115:116], v[115:116], v[117:118], v[115:116]
	v_fma_f64 v[117:118], -v[100:101], v[115:116], 1.0
	v_fma_f64 v[115:116], v[115:116], v[117:118], v[115:116]
	v_div_scale_f64 v[117:118], vcc_lo, 1.0, v[98:99], 1.0
	v_mul_f64 v[119:120], v[117:118], v[115:116]
	v_fma_f64 v[100:101], -v[100:101], v[119:120], v[117:118]
	v_div_fmas_f64 v[100:101], v[100:101], v[115:116], v[119:120]
	v_div_fixup_f64 v[100:101], v[100:101], v[98:99], 1.0
	v_mul_f64 v[98:99], v[113:114], v[100:101]
	v_xor_b32_e32 v101, 0x80000000, v101
.LBB46_280:
	s_andn2_saveexec_b32 s1, s1
	s_cbranch_execz .LBB46_282
; %bb.281:
	v_div_scale_f64 v[113:114], null, v[98:99], v[98:99], v[100:101]
	v_div_scale_f64 v[119:120], vcc_lo, v[100:101], v[98:99], v[100:101]
	v_rcp_f64_e32 v[115:116], v[113:114]
	v_fma_f64 v[117:118], -v[113:114], v[115:116], 1.0
	v_fma_f64 v[115:116], v[115:116], v[117:118], v[115:116]
	v_fma_f64 v[117:118], -v[113:114], v[115:116], 1.0
	v_fma_f64 v[115:116], v[115:116], v[117:118], v[115:116]
	v_mul_f64 v[117:118], v[119:120], v[115:116]
	v_fma_f64 v[113:114], -v[113:114], v[117:118], v[119:120]
	v_div_fmas_f64 v[113:114], v[113:114], v[115:116], v[117:118]
	v_div_fixup_f64 v[113:114], v[113:114], v[98:99], v[100:101]
	v_fma_f64 v[98:99], v[100:101], v[113:114], v[98:99]
	v_div_scale_f64 v[100:101], null, v[98:99], v[98:99], 1.0
	v_rcp_f64_e32 v[115:116], v[100:101]
	v_fma_f64 v[117:118], -v[100:101], v[115:116], 1.0
	v_fma_f64 v[115:116], v[115:116], v[117:118], v[115:116]
	v_fma_f64 v[117:118], -v[100:101], v[115:116], 1.0
	v_fma_f64 v[115:116], v[115:116], v[117:118], v[115:116]
	v_div_scale_f64 v[117:118], vcc_lo, 1.0, v[98:99], 1.0
	v_mul_f64 v[119:120], v[117:118], v[115:116]
	v_fma_f64 v[100:101], -v[100:101], v[119:120], v[117:118]
	v_div_fmas_f64 v[100:101], v[100:101], v[115:116], v[119:120]
	v_div_fixup_f64 v[98:99], v[100:101], v[98:99], 1.0
	v_mul_f64 v[100:101], v[113:114], -v[98:99]
.LBB46_282:
	s_or_b32 exec_lo, exec_lo, s1
.LBB46_283:
	s_or_b32 exec_lo, exec_lo, s0
	s_mov_b32 s0, exec_lo
	v_cmpx_ne_u32_e64 v112, v106
	s_xor_b32 s0, exec_lo, s0
	s_cbranch_execz .LBB46_289
; %bb.284:
	s_mov_b32 s1, exec_lo
	v_cmpx_eq_u32_e32 13, v112
	s_cbranch_execz .LBB46_288
; %bb.285:
	v_cmp_ne_u32_e32 vcc_lo, 13, v106
	s_xor_b32 s2, s16, -1
	s_and_b32 s3, s2, vcc_lo
	s_and_saveexec_b32 s2, s3
	s_cbranch_execz .LBB46_287
; %bb.286:
	v_ashrrev_i32_e32 v107, 31, v106
	v_lshlrev_b64 v[112:113], 2, v[106:107]
	v_add_co_u32 v112, vcc_lo, v104, v112
	v_add_co_ci_u32_e64 v113, null, v105, v113, vcc_lo
	s_clause 0x1
	global_load_dword v0, v[112:113], off
	global_load_dword v107, v[104:105], off offset:52
	s_waitcnt vmcnt(1)
	global_store_dword v[104:105], v0, off offset:52
	s_waitcnt vmcnt(0)
	global_store_dword v[112:113], v107, off
.LBB46_287:
	s_or_b32 exec_lo, exec_lo, s2
	v_mov_b32_e32 v112, v106
	v_mov_b32_e32 v0, v106
.LBB46_288:
	s_or_b32 exec_lo, exec_lo, s1
.LBB46_289:
	s_andn2_saveexec_b32 s0, s0
	s_cbranch_execz .LBB46_291
; %bb.290:
	v_mov_b32_e32 v112, 13
	ds_write2_b64 v1, v[38:39], v[40:41] offset0:28 offset1:29
	ds_write2_b64 v1, v[34:35], v[36:37] offset0:30 offset1:31
	;; [unrolled: 1-line block ×10, first 2 shown]
.LBB46_291:
	s_or_b32 exec_lo, exec_lo, s0
	s_mov_b32 s0, exec_lo
	s_waitcnt lgkmcnt(0)
	s_waitcnt_vscnt null, 0x0
	s_barrier
	buffer_gl0_inv
	v_cmpx_lt_i32_e32 13, v112
	s_cbranch_execz .LBB46_293
; %bb.292:
	v_mul_f64 v[106:107], v[98:99], v[44:45]
	v_mul_f64 v[44:45], v[100:101], v[44:45]
	v_fma_f64 v[106:107], v[100:101], v[42:43], v[106:107]
	v_fma_f64 v[42:43], v[98:99], v[42:43], -v[44:45]
	ds_read2_b64 v[98:101], v1 offset0:28 offset1:29
	s_waitcnt lgkmcnt(0)
	v_mul_f64 v[44:45], v[100:101], v[106:107]
	v_fma_f64 v[44:45], v[98:99], v[42:43], -v[44:45]
	v_mul_f64 v[98:99], v[98:99], v[106:107]
	v_add_f64 v[38:39], v[38:39], -v[44:45]
	v_fma_f64 v[98:99], v[100:101], v[42:43], v[98:99]
	v_add_f64 v[40:41], v[40:41], -v[98:99]
	ds_read2_b64 v[98:101], v1 offset0:30 offset1:31
	s_waitcnt lgkmcnt(0)
	v_mul_f64 v[44:45], v[100:101], v[106:107]
	v_fma_f64 v[44:45], v[98:99], v[42:43], -v[44:45]
	v_mul_f64 v[98:99], v[98:99], v[106:107]
	v_add_f64 v[34:35], v[34:35], -v[44:45]
	v_fma_f64 v[98:99], v[100:101], v[42:43], v[98:99]
	v_add_f64 v[36:37], v[36:37], -v[98:99]
	;; [unrolled: 8-line block ×9, first 2 shown]
	ds_read2_b64 v[98:101], v1 offset0:46 offset1:47
	s_waitcnt lgkmcnt(0)
	v_mul_f64 v[44:45], v[100:101], v[106:107]
	v_fma_f64 v[44:45], v[98:99], v[42:43], -v[44:45]
	v_mul_f64 v[98:99], v[98:99], v[106:107]
	v_add_f64 v[2:3], v[2:3], -v[44:45]
	v_fma_f64 v[98:99], v[100:101], v[42:43], v[98:99]
	v_mov_b32_e32 v44, v106
	v_mov_b32_e32 v45, v107
	v_add_f64 v[4:5], v[4:5], -v[98:99]
.LBB46_293:
	s_or_b32 exec_lo, exec_lo, s0
	v_lshl_add_u32 v98, v112, 4, v1
	s_barrier
	buffer_gl0_inv
	v_mov_b32_e32 v106, 14
	ds_write2_b64 v98, v[38:39], v[40:41] offset1:1
	s_waitcnt lgkmcnt(0)
	s_barrier
	buffer_gl0_inv
	ds_read2_b64 v[98:101], v1 offset0:28 offset1:29
	s_cmp_lt_i32 s18, 16
	s_cbranch_scc1 .LBB46_296
; %bb.294:
	v_add3_u32 v107, v108, 0, 0xf0
	v_mov_b32_e32 v106, 14
	s_mov_b32 s1, 15
	s_inst_prefetch 0x1
	.p2align	6
.LBB46_295:                             ; =>This Inner Loop Header: Depth=1
	s_waitcnt lgkmcnt(0)
	v_cmp_gt_f64_e32 vcc_lo, 0, v[100:101]
	v_cmp_gt_f64_e64 s0, 0, v[98:99]
	ds_read2_b64 v[113:116], v107 offset1:1
	v_xor_b32_e32 v118, 0x80000000, v99
	v_xor_b32_e32 v120, 0x80000000, v101
	v_mov_b32_e32 v117, v98
	v_mov_b32_e32 v119, v100
	v_add_nc_u32_e32 v107, 16, v107
	s_waitcnt lgkmcnt(0)
	v_xor_b32_e32 v122, 0x80000000, v116
	v_cndmask_b32_e64 v118, v99, v118, s0
	v_cndmask_b32_e32 v120, v101, v120, vcc_lo
	v_cmp_gt_f64_e32 vcc_lo, 0, v[115:116]
	v_cmp_gt_f64_e64 s0, 0, v[113:114]
	v_mov_b32_e32 v121, v115
	v_add_f64 v[117:118], v[117:118], v[119:120]
	v_xor_b32_e32 v120, 0x80000000, v114
	v_mov_b32_e32 v119, v113
	v_cndmask_b32_e32 v122, v116, v122, vcc_lo
	v_cndmask_b32_e64 v120, v114, v120, s0
	v_add_f64 v[119:120], v[119:120], v[121:122]
	v_cmp_lt_f64_e32 vcc_lo, v[117:118], v[119:120]
	v_cndmask_b32_e32 v99, v99, v114, vcc_lo
	v_cndmask_b32_e32 v98, v98, v113, vcc_lo
	;; [unrolled: 1-line block ×4, first 2 shown]
	v_cndmask_b32_e64 v106, v106, s1, vcc_lo
	s_add_i32 s1, s1, 1
	s_cmp_lg_u32 s18, s1
	s_cbranch_scc1 .LBB46_295
.LBB46_296:
	s_inst_prefetch 0x2
	s_waitcnt lgkmcnt(0)
	v_cmp_eq_f64_e32 vcc_lo, 0, v[98:99]
	v_cmp_eq_f64_e64 s0, 0, v[100:101]
	s_and_b32 s0, vcc_lo, s0
	s_and_saveexec_b32 s1, s0
	s_xor_b32 s0, exec_lo, s1
; %bb.297:
	v_cmp_ne_u32_e32 vcc_lo, 0, v111
	v_cndmask_b32_e32 v111, 15, v111, vcc_lo
; %bb.298:
	s_andn2_saveexec_b32 s0, s0
	s_cbranch_execz .LBB46_304
; %bb.299:
	v_cmp_ngt_f64_e64 s1, |v[98:99]|, |v[100:101]|
	s_and_saveexec_b32 s2, s1
	s_xor_b32 s1, exec_lo, s2
	s_cbranch_execz .LBB46_301
; %bb.300:
	v_div_scale_f64 v[113:114], null, v[100:101], v[100:101], v[98:99]
	v_div_scale_f64 v[119:120], vcc_lo, v[98:99], v[100:101], v[98:99]
	v_rcp_f64_e32 v[115:116], v[113:114]
	v_fma_f64 v[117:118], -v[113:114], v[115:116], 1.0
	v_fma_f64 v[115:116], v[115:116], v[117:118], v[115:116]
	v_fma_f64 v[117:118], -v[113:114], v[115:116], 1.0
	v_fma_f64 v[115:116], v[115:116], v[117:118], v[115:116]
	v_mul_f64 v[117:118], v[119:120], v[115:116]
	v_fma_f64 v[113:114], -v[113:114], v[117:118], v[119:120]
	v_div_fmas_f64 v[113:114], v[113:114], v[115:116], v[117:118]
	v_div_fixup_f64 v[113:114], v[113:114], v[100:101], v[98:99]
	v_fma_f64 v[98:99], v[98:99], v[113:114], v[100:101]
	v_div_scale_f64 v[100:101], null, v[98:99], v[98:99], 1.0
	v_rcp_f64_e32 v[115:116], v[100:101]
	v_fma_f64 v[117:118], -v[100:101], v[115:116], 1.0
	v_fma_f64 v[115:116], v[115:116], v[117:118], v[115:116]
	v_fma_f64 v[117:118], -v[100:101], v[115:116], 1.0
	v_fma_f64 v[115:116], v[115:116], v[117:118], v[115:116]
	v_div_scale_f64 v[117:118], vcc_lo, 1.0, v[98:99], 1.0
	v_mul_f64 v[119:120], v[117:118], v[115:116]
	v_fma_f64 v[100:101], -v[100:101], v[119:120], v[117:118]
	v_div_fmas_f64 v[100:101], v[100:101], v[115:116], v[119:120]
	v_div_fixup_f64 v[100:101], v[100:101], v[98:99], 1.0
	v_mul_f64 v[98:99], v[113:114], v[100:101]
	v_xor_b32_e32 v101, 0x80000000, v101
.LBB46_301:
	s_andn2_saveexec_b32 s1, s1
	s_cbranch_execz .LBB46_303
; %bb.302:
	v_div_scale_f64 v[113:114], null, v[98:99], v[98:99], v[100:101]
	v_div_scale_f64 v[119:120], vcc_lo, v[100:101], v[98:99], v[100:101]
	v_rcp_f64_e32 v[115:116], v[113:114]
	v_fma_f64 v[117:118], -v[113:114], v[115:116], 1.0
	v_fma_f64 v[115:116], v[115:116], v[117:118], v[115:116]
	v_fma_f64 v[117:118], -v[113:114], v[115:116], 1.0
	v_fma_f64 v[115:116], v[115:116], v[117:118], v[115:116]
	v_mul_f64 v[117:118], v[119:120], v[115:116]
	v_fma_f64 v[113:114], -v[113:114], v[117:118], v[119:120]
	v_div_fmas_f64 v[113:114], v[113:114], v[115:116], v[117:118]
	v_div_fixup_f64 v[113:114], v[113:114], v[98:99], v[100:101]
	v_fma_f64 v[98:99], v[100:101], v[113:114], v[98:99]
	v_div_scale_f64 v[100:101], null, v[98:99], v[98:99], 1.0
	v_rcp_f64_e32 v[115:116], v[100:101]
	v_fma_f64 v[117:118], -v[100:101], v[115:116], 1.0
	v_fma_f64 v[115:116], v[115:116], v[117:118], v[115:116]
	v_fma_f64 v[117:118], -v[100:101], v[115:116], 1.0
	v_fma_f64 v[115:116], v[115:116], v[117:118], v[115:116]
	v_div_scale_f64 v[117:118], vcc_lo, 1.0, v[98:99], 1.0
	v_mul_f64 v[119:120], v[117:118], v[115:116]
	v_fma_f64 v[100:101], -v[100:101], v[119:120], v[117:118]
	v_div_fmas_f64 v[100:101], v[100:101], v[115:116], v[119:120]
	v_div_fixup_f64 v[98:99], v[100:101], v[98:99], 1.0
	v_mul_f64 v[100:101], v[113:114], -v[98:99]
.LBB46_303:
	s_or_b32 exec_lo, exec_lo, s1
.LBB46_304:
	s_or_b32 exec_lo, exec_lo, s0
	s_mov_b32 s0, exec_lo
	v_cmpx_ne_u32_e64 v112, v106
	s_xor_b32 s0, exec_lo, s0
	s_cbranch_execz .LBB46_310
; %bb.305:
	s_mov_b32 s1, exec_lo
	v_cmpx_eq_u32_e32 14, v112
	s_cbranch_execz .LBB46_309
; %bb.306:
	v_cmp_ne_u32_e32 vcc_lo, 14, v106
	s_xor_b32 s2, s16, -1
	s_and_b32 s3, s2, vcc_lo
	s_and_saveexec_b32 s2, s3
	s_cbranch_execz .LBB46_308
; %bb.307:
	v_ashrrev_i32_e32 v107, 31, v106
	v_lshlrev_b64 v[112:113], 2, v[106:107]
	v_add_co_u32 v112, vcc_lo, v104, v112
	v_add_co_ci_u32_e64 v113, null, v105, v113, vcc_lo
	s_clause 0x1
	global_load_dword v0, v[112:113], off
	global_load_dword v107, v[104:105], off offset:56
	s_waitcnt vmcnt(1)
	global_store_dword v[104:105], v0, off offset:56
	s_waitcnt vmcnt(0)
	global_store_dword v[112:113], v107, off
.LBB46_308:
	s_or_b32 exec_lo, exec_lo, s2
	v_mov_b32_e32 v112, v106
	v_mov_b32_e32 v0, v106
.LBB46_309:
	s_or_b32 exec_lo, exec_lo, s1
.LBB46_310:
	s_andn2_saveexec_b32 s0, s0
	s_cbranch_execz .LBB46_312
; %bb.311:
	v_mov_b32_e32 v112, 14
	ds_write2_b64 v1, v[34:35], v[36:37] offset0:30 offset1:31
	ds_write2_b64 v1, v[30:31], v[32:33] offset0:32 offset1:33
	;; [unrolled: 1-line block ×9, first 2 shown]
.LBB46_312:
	s_or_b32 exec_lo, exec_lo, s0
	s_mov_b32 s0, exec_lo
	s_waitcnt lgkmcnt(0)
	s_waitcnt_vscnt null, 0x0
	s_barrier
	buffer_gl0_inv
	v_cmpx_lt_i32_e32 14, v112
	s_cbranch_execz .LBB46_314
; %bb.313:
	v_mul_f64 v[106:107], v[98:99], v[40:41]
	v_mul_f64 v[40:41], v[100:101], v[40:41]
	v_fma_f64 v[106:107], v[100:101], v[38:39], v[106:107]
	v_fma_f64 v[38:39], v[98:99], v[38:39], -v[40:41]
	ds_read2_b64 v[98:101], v1 offset0:30 offset1:31
	s_waitcnt lgkmcnt(0)
	v_mul_f64 v[40:41], v[100:101], v[106:107]
	v_fma_f64 v[40:41], v[98:99], v[38:39], -v[40:41]
	v_mul_f64 v[98:99], v[98:99], v[106:107]
	v_add_f64 v[34:35], v[34:35], -v[40:41]
	v_fma_f64 v[98:99], v[100:101], v[38:39], v[98:99]
	v_add_f64 v[36:37], v[36:37], -v[98:99]
	ds_read2_b64 v[98:101], v1 offset0:32 offset1:33
	s_waitcnt lgkmcnt(0)
	v_mul_f64 v[40:41], v[100:101], v[106:107]
	v_fma_f64 v[40:41], v[98:99], v[38:39], -v[40:41]
	v_mul_f64 v[98:99], v[98:99], v[106:107]
	v_add_f64 v[30:31], v[30:31], -v[40:41]
	v_fma_f64 v[98:99], v[100:101], v[38:39], v[98:99]
	v_add_f64 v[32:33], v[32:33], -v[98:99]
	;; [unrolled: 8-line block ×8, first 2 shown]
	ds_read2_b64 v[98:101], v1 offset0:46 offset1:47
	s_waitcnt lgkmcnt(0)
	v_mul_f64 v[40:41], v[100:101], v[106:107]
	v_fma_f64 v[40:41], v[98:99], v[38:39], -v[40:41]
	v_mul_f64 v[98:99], v[98:99], v[106:107]
	v_add_f64 v[2:3], v[2:3], -v[40:41]
	v_fma_f64 v[98:99], v[100:101], v[38:39], v[98:99]
	v_mov_b32_e32 v40, v106
	v_mov_b32_e32 v41, v107
	v_add_f64 v[4:5], v[4:5], -v[98:99]
.LBB46_314:
	s_or_b32 exec_lo, exec_lo, s0
	v_lshl_add_u32 v98, v112, 4, v1
	s_barrier
	buffer_gl0_inv
	v_mov_b32_e32 v106, 15
	ds_write2_b64 v98, v[34:35], v[36:37] offset1:1
	s_waitcnt lgkmcnt(0)
	s_barrier
	buffer_gl0_inv
	ds_read2_b64 v[98:101], v1 offset0:30 offset1:31
	s_cmp_lt_i32 s18, 17
	s_cbranch_scc1 .LBB46_317
; %bb.315:
	v_add3_u32 v107, v108, 0, 0x100
	v_mov_b32_e32 v106, 15
	s_mov_b32 s1, 16
	s_inst_prefetch 0x1
	.p2align	6
.LBB46_316:                             ; =>This Inner Loop Header: Depth=1
	s_waitcnt lgkmcnt(0)
	v_cmp_gt_f64_e32 vcc_lo, 0, v[100:101]
	v_cmp_gt_f64_e64 s0, 0, v[98:99]
	ds_read2_b64 v[113:116], v107 offset1:1
	v_xor_b32_e32 v118, 0x80000000, v99
	v_xor_b32_e32 v120, 0x80000000, v101
	v_mov_b32_e32 v117, v98
	v_mov_b32_e32 v119, v100
	v_add_nc_u32_e32 v107, 16, v107
	s_waitcnt lgkmcnt(0)
	v_xor_b32_e32 v122, 0x80000000, v116
	v_cndmask_b32_e64 v118, v99, v118, s0
	v_cndmask_b32_e32 v120, v101, v120, vcc_lo
	v_cmp_gt_f64_e32 vcc_lo, 0, v[115:116]
	v_cmp_gt_f64_e64 s0, 0, v[113:114]
	v_mov_b32_e32 v121, v115
	v_add_f64 v[117:118], v[117:118], v[119:120]
	v_xor_b32_e32 v120, 0x80000000, v114
	v_mov_b32_e32 v119, v113
	v_cndmask_b32_e32 v122, v116, v122, vcc_lo
	v_cndmask_b32_e64 v120, v114, v120, s0
	v_add_f64 v[119:120], v[119:120], v[121:122]
	v_cmp_lt_f64_e32 vcc_lo, v[117:118], v[119:120]
	v_cndmask_b32_e32 v99, v99, v114, vcc_lo
	v_cndmask_b32_e32 v98, v98, v113, vcc_lo
	;; [unrolled: 1-line block ×4, first 2 shown]
	v_cndmask_b32_e64 v106, v106, s1, vcc_lo
	s_add_i32 s1, s1, 1
	s_cmp_lg_u32 s18, s1
	s_cbranch_scc1 .LBB46_316
.LBB46_317:
	s_inst_prefetch 0x2
	s_waitcnt lgkmcnt(0)
	v_cmp_eq_f64_e32 vcc_lo, 0, v[98:99]
	v_cmp_eq_f64_e64 s0, 0, v[100:101]
	s_and_b32 s0, vcc_lo, s0
	s_and_saveexec_b32 s1, s0
	s_xor_b32 s0, exec_lo, s1
; %bb.318:
	v_cmp_ne_u32_e32 vcc_lo, 0, v111
	v_cndmask_b32_e32 v111, 16, v111, vcc_lo
; %bb.319:
	s_andn2_saveexec_b32 s0, s0
	s_cbranch_execz .LBB46_325
; %bb.320:
	v_cmp_ngt_f64_e64 s1, |v[98:99]|, |v[100:101]|
	s_and_saveexec_b32 s2, s1
	s_xor_b32 s1, exec_lo, s2
	s_cbranch_execz .LBB46_322
; %bb.321:
	v_div_scale_f64 v[113:114], null, v[100:101], v[100:101], v[98:99]
	v_div_scale_f64 v[119:120], vcc_lo, v[98:99], v[100:101], v[98:99]
	v_rcp_f64_e32 v[115:116], v[113:114]
	v_fma_f64 v[117:118], -v[113:114], v[115:116], 1.0
	v_fma_f64 v[115:116], v[115:116], v[117:118], v[115:116]
	v_fma_f64 v[117:118], -v[113:114], v[115:116], 1.0
	v_fma_f64 v[115:116], v[115:116], v[117:118], v[115:116]
	v_mul_f64 v[117:118], v[119:120], v[115:116]
	v_fma_f64 v[113:114], -v[113:114], v[117:118], v[119:120]
	v_div_fmas_f64 v[113:114], v[113:114], v[115:116], v[117:118]
	v_div_fixup_f64 v[113:114], v[113:114], v[100:101], v[98:99]
	v_fma_f64 v[98:99], v[98:99], v[113:114], v[100:101]
	v_div_scale_f64 v[100:101], null, v[98:99], v[98:99], 1.0
	v_rcp_f64_e32 v[115:116], v[100:101]
	v_fma_f64 v[117:118], -v[100:101], v[115:116], 1.0
	v_fma_f64 v[115:116], v[115:116], v[117:118], v[115:116]
	v_fma_f64 v[117:118], -v[100:101], v[115:116], 1.0
	v_fma_f64 v[115:116], v[115:116], v[117:118], v[115:116]
	v_div_scale_f64 v[117:118], vcc_lo, 1.0, v[98:99], 1.0
	v_mul_f64 v[119:120], v[117:118], v[115:116]
	v_fma_f64 v[100:101], -v[100:101], v[119:120], v[117:118]
	v_div_fmas_f64 v[100:101], v[100:101], v[115:116], v[119:120]
	v_div_fixup_f64 v[100:101], v[100:101], v[98:99], 1.0
	v_mul_f64 v[98:99], v[113:114], v[100:101]
	v_xor_b32_e32 v101, 0x80000000, v101
.LBB46_322:
	s_andn2_saveexec_b32 s1, s1
	s_cbranch_execz .LBB46_324
; %bb.323:
	v_div_scale_f64 v[113:114], null, v[98:99], v[98:99], v[100:101]
	v_div_scale_f64 v[119:120], vcc_lo, v[100:101], v[98:99], v[100:101]
	v_rcp_f64_e32 v[115:116], v[113:114]
	v_fma_f64 v[117:118], -v[113:114], v[115:116], 1.0
	v_fma_f64 v[115:116], v[115:116], v[117:118], v[115:116]
	v_fma_f64 v[117:118], -v[113:114], v[115:116], 1.0
	v_fma_f64 v[115:116], v[115:116], v[117:118], v[115:116]
	v_mul_f64 v[117:118], v[119:120], v[115:116]
	v_fma_f64 v[113:114], -v[113:114], v[117:118], v[119:120]
	v_div_fmas_f64 v[113:114], v[113:114], v[115:116], v[117:118]
	v_div_fixup_f64 v[113:114], v[113:114], v[98:99], v[100:101]
	v_fma_f64 v[98:99], v[100:101], v[113:114], v[98:99]
	v_div_scale_f64 v[100:101], null, v[98:99], v[98:99], 1.0
	v_rcp_f64_e32 v[115:116], v[100:101]
	v_fma_f64 v[117:118], -v[100:101], v[115:116], 1.0
	v_fma_f64 v[115:116], v[115:116], v[117:118], v[115:116]
	v_fma_f64 v[117:118], -v[100:101], v[115:116], 1.0
	v_fma_f64 v[115:116], v[115:116], v[117:118], v[115:116]
	v_div_scale_f64 v[117:118], vcc_lo, 1.0, v[98:99], 1.0
	v_mul_f64 v[119:120], v[117:118], v[115:116]
	v_fma_f64 v[100:101], -v[100:101], v[119:120], v[117:118]
	v_div_fmas_f64 v[100:101], v[100:101], v[115:116], v[119:120]
	v_div_fixup_f64 v[98:99], v[100:101], v[98:99], 1.0
	v_mul_f64 v[100:101], v[113:114], -v[98:99]
.LBB46_324:
	s_or_b32 exec_lo, exec_lo, s1
.LBB46_325:
	s_or_b32 exec_lo, exec_lo, s0
	s_mov_b32 s0, exec_lo
	v_cmpx_ne_u32_e64 v112, v106
	s_xor_b32 s0, exec_lo, s0
	s_cbranch_execz .LBB46_331
; %bb.326:
	s_mov_b32 s1, exec_lo
	v_cmpx_eq_u32_e32 15, v112
	s_cbranch_execz .LBB46_330
; %bb.327:
	v_cmp_ne_u32_e32 vcc_lo, 15, v106
	s_xor_b32 s2, s16, -1
	s_and_b32 s3, s2, vcc_lo
	s_and_saveexec_b32 s2, s3
	s_cbranch_execz .LBB46_329
; %bb.328:
	v_ashrrev_i32_e32 v107, 31, v106
	v_lshlrev_b64 v[112:113], 2, v[106:107]
	v_add_co_u32 v112, vcc_lo, v104, v112
	v_add_co_ci_u32_e64 v113, null, v105, v113, vcc_lo
	s_clause 0x1
	global_load_dword v0, v[112:113], off
	global_load_dword v107, v[104:105], off offset:60
	s_waitcnt vmcnt(1)
	global_store_dword v[104:105], v0, off offset:60
	s_waitcnt vmcnt(0)
	global_store_dword v[112:113], v107, off
.LBB46_329:
	s_or_b32 exec_lo, exec_lo, s2
	v_mov_b32_e32 v112, v106
	v_mov_b32_e32 v0, v106
.LBB46_330:
	s_or_b32 exec_lo, exec_lo, s1
.LBB46_331:
	s_andn2_saveexec_b32 s0, s0
	s_cbranch_execz .LBB46_333
; %bb.332:
	v_mov_b32_e32 v112, 15
	ds_write2_b64 v1, v[30:31], v[32:33] offset0:32 offset1:33
	ds_write2_b64 v1, v[26:27], v[28:29] offset0:34 offset1:35
	;; [unrolled: 1-line block ×8, first 2 shown]
.LBB46_333:
	s_or_b32 exec_lo, exec_lo, s0
	s_mov_b32 s0, exec_lo
	s_waitcnt lgkmcnt(0)
	s_waitcnt_vscnt null, 0x0
	s_barrier
	buffer_gl0_inv
	v_cmpx_lt_i32_e32 15, v112
	s_cbranch_execz .LBB46_335
; %bb.334:
	v_mul_f64 v[106:107], v[98:99], v[36:37]
	v_mul_f64 v[36:37], v[100:101], v[36:37]
	v_fma_f64 v[106:107], v[100:101], v[34:35], v[106:107]
	v_fma_f64 v[34:35], v[98:99], v[34:35], -v[36:37]
	ds_read2_b64 v[98:101], v1 offset0:32 offset1:33
	s_waitcnt lgkmcnt(0)
	v_mul_f64 v[36:37], v[100:101], v[106:107]
	v_fma_f64 v[36:37], v[98:99], v[34:35], -v[36:37]
	v_mul_f64 v[98:99], v[98:99], v[106:107]
	v_add_f64 v[30:31], v[30:31], -v[36:37]
	v_fma_f64 v[98:99], v[100:101], v[34:35], v[98:99]
	v_add_f64 v[32:33], v[32:33], -v[98:99]
	ds_read2_b64 v[98:101], v1 offset0:34 offset1:35
	s_waitcnt lgkmcnt(0)
	v_mul_f64 v[36:37], v[100:101], v[106:107]
	v_fma_f64 v[36:37], v[98:99], v[34:35], -v[36:37]
	v_mul_f64 v[98:99], v[98:99], v[106:107]
	v_add_f64 v[26:27], v[26:27], -v[36:37]
	v_fma_f64 v[98:99], v[100:101], v[34:35], v[98:99]
	v_add_f64 v[28:29], v[28:29], -v[98:99]
	;; [unrolled: 8-line block ×7, first 2 shown]
	ds_read2_b64 v[98:101], v1 offset0:46 offset1:47
	s_waitcnt lgkmcnt(0)
	v_mul_f64 v[36:37], v[100:101], v[106:107]
	v_fma_f64 v[36:37], v[98:99], v[34:35], -v[36:37]
	v_mul_f64 v[98:99], v[98:99], v[106:107]
	v_add_f64 v[2:3], v[2:3], -v[36:37]
	v_fma_f64 v[98:99], v[100:101], v[34:35], v[98:99]
	v_mov_b32_e32 v36, v106
	v_mov_b32_e32 v37, v107
	v_add_f64 v[4:5], v[4:5], -v[98:99]
.LBB46_335:
	s_or_b32 exec_lo, exec_lo, s0
	v_lshl_add_u32 v98, v112, 4, v1
	s_barrier
	buffer_gl0_inv
	v_mov_b32_e32 v106, 16
	ds_write2_b64 v98, v[30:31], v[32:33] offset1:1
	s_waitcnt lgkmcnt(0)
	s_barrier
	buffer_gl0_inv
	ds_read2_b64 v[98:101], v1 offset0:32 offset1:33
	s_cmp_lt_i32 s18, 18
	s_cbranch_scc1 .LBB46_338
; %bb.336:
	v_add3_u32 v107, v108, 0, 0x110
	v_mov_b32_e32 v106, 16
	s_mov_b32 s1, 17
	s_inst_prefetch 0x1
	.p2align	6
.LBB46_337:                             ; =>This Inner Loop Header: Depth=1
	s_waitcnt lgkmcnt(0)
	v_cmp_gt_f64_e32 vcc_lo, 0, v[100:101]
	v_cmp_gt_f64_e64 s0, 0, v[98:99]
	ds_read2_b64 v[113:116], v107 offset1:1
	v_xor_b32_e32 v118, 0x80000000, v99
	v_xor_b32_e32 v120, 0x80000000, v101
	v_mov_b32_e32 v117, v98
	v_mov_b32_e32 v119, v100
	v_add_nc_u32_e32 v107, 16, v107
	s_waitcnt lgkmcnt(0)
	v_xor_b32_e32 v122, 0x80000000, v116
	v_cndmask_b32_e64 v118, v99, v118, s0
	v_cndmask_b32_e32 v120, v101, v120, vcc_lo
	v_cmp_gt_f64_e32 vcc_lo, 0, v[115:116]
	v_cmp_gt_f64_e64 s0, 0, v[113:114]
	v_mov_b32_e32 v121, v115
	v_add_f64 v[117:118], v[117:118], v[119:120]
	v_xor_b32_e32 v120, 0x80000000, v114
	v_mov_b32_e32 v119, v113
	v_cndmask_b32_e32 v122, v116, v122, vcc_lo
	v_cndmask_b32_e64 v120, v114, v120, s0
	v_add_f64 v[119:120], v[119:120], v[121:122]
	v_cmp_lt_f64_e32 vcc_lo, v[117:118], v[119:120]
	v_cndmask_b32_e32 v99, v99, v114, vcc_lo
	v_cndmask_b32_e32 v98, v98, v113, vcc_lo
	v_cndmask_b32_e32 v101, v101, v116, vcc_lo
	v_cndmask_b32_e32 v100, v100, v115, vcc_lo
	v_cndmask_b32_e64 v106, v106, s1, vcc_lo
	s_add_i32 s1, s1, 1
	s_cmp_lg_u32 s18, s1
	s_cbranch_scc1 .LBB46_337
.LBB46_338:
	s_inst_prefetch 0x2
	s_waitcnt lgkmcnt(0)
	v_cmp_eq_f64_e32 vcc_lo, 0, v[98:99]
	v_cmp_eq_f64_e64 s0, 0, v[100:101]
	s_and_b32 s0, vcc_lo, s0
	s_and_saveexec_b32 s1, s0
	s_xor_b32 s0, exec_lo, s1
; %bb.339:
	v_cmp_ne_u32_e32 vcc_lo, 0, v111
	v_cndmask_b32_e32 v111, 17, v111, vcc_lo
; %bb.340:
	s_andn2_saveexec_b32 s0, s0
	s_cbranch_execz .LBB46_346
; %bb.341:
	v_cmp_ngt_f64_e64 s1, |v[98:99]|, |v[100:101]|
	s_and_saveexec_b32 s2, s1
	s_xor_b32 s1, exec_lo, s2
	s_cbranch_execz .LBB46_343
; %bb.342:
	v_div_scale_f64 v[113:114], null, v[100:101], v[100:101], v[98:99]
	v_div_scale_f64 v[119:120], vcc_lo, v[98:99], v[100:101], v[98:99]
	v_rcp_f64_e32 v[115:116], v[113:114]
	v_fma_f64 v[117:118], -v[113:114], v[115:116], 1.0
	v_fma_f64 v[115:116], v[115:116], v[117:118], v[115:116]
	v_fma_f64 v[117:118], -v[113:114], v[115:116], 1.0
	v_fma_f64 v[115:116], v[115:116], v[117:118], v[115:116]
	v_mul_f64 v[117:118], v[119:120], v[115:116]
	v_fma_f64 v[113:114], -v[113:114], v[117:118], v[119:120]
	v_div_fmas_f64 v[113:114], v[113:114], v[115:116], v[117:118]
	v_div_fixup_f64 v[113:114], v[113:114], v[100:101], v[98:99]
	v_fma_f64 v[98:99], v[98:99], v[113:114], v[100:101]
	v_div_scale_f64 v[100:101], null, v[98:99], v[98:99], 1.0
	v_rcp_f64_e32 v[115:116], v[100:101]
	v_fma_f64 v[117:118], -v[100:101], v[115:116], 1.0
	v_fma_f64 v[115:116], v[115:116], v[117:118], v[115:116]
	v_fma_f64 v[117:118], -v[100:101], v[115:116], 1.0
	v_fma_f64 v[115:116], v[115:116], v[117:118], v[115:116]
	v_div_scale_f64 v[117:118], vcc_lo, 1.0, v[98:99], 1.0
	v_mul_f64 v[119:120], v[117:118], v[115:116]
	v_fma_f64 v[100:101], -v[100:101], v[119:120], v[117:118]
	v_div_fmas_f64 v[100:101], v[100:101], v[115:116], v[119:120]
	v_div_fixup_f64 v[100:101], v[100:101], v[98:99], 1.0
	v_mul_f64 v[98:99], v[113:114], v[100:101]
	v_xor_b32_e32 v101, 0x80000000, v101
.LBB46_343:
	s_andn2_saveexec_b32 s1, s1
	s_cbranch_execz .LBB46_345
; %bb.344:
	v_div_scale_f64 v[113:114], null, v[98:99], v[98:99], v[100:101]
	v_div_scale_f64 v[119:120], vcc_lo, v[100:101], v[98:99], v[100:101]
	v_rcp_f64_e32 v[115:116], v[113:114]
	v_fma_f64 v[117:118], -v[113:114], v[115:116], 1.0
	v_fma_f64 v[115:116], v[115:116], v[117:118], v[115:116]
	v_fma_f64 v[117:118], -v[113:114], v[115:116], 1.0
	v_fma_f64 v[115:116], v[115:116], v[117:118], v[115:116]
	v_mul_f64 v[117:118], v[119:120], v[115:116]
	v_fma_f64 v[113:114], -v[113:114], v[117:118], v[119:120]
	v_div_fmas_f64 v[113:114], v[113:114], v[115:116], v[117:118]
	v_div_fixup_f64 v[113:114], v[113:114], v[98:99], v[100:101]
	v_fma_f64 v[98:99], v[100:101], v[113:114], v[98:99]
	v_div_scale_f64 v[100:101], null, v[98:99], v[98:99], 1.0
	v_rcp_f64_e32 v[115:116], v[100:101]
	v_fma_f64 v[117:118], -v[100:101], v[115:116], 1.0
	v_fma_f64 v[115:116], v[115:116], v[117:118], v[115:116]
	v_fma_f64 v[117:118], -v[100:101], v[115:116], 1.0
	v_fma_f64 v[115:116], v[115:116], v[117:118], v[115:116]
	v_div_scale_f64 v[117:118], vcc_lo, 1.0, v[98:99], 1.0
	v_mul_f64 v[119:120], v[117:118], v[115:116]
	v_fma_f64 v[100:101], -v[100:101], v[119:120], v[117:118]
	v_div_fmas_f64 v[100:101], v[100:101], v[115:116], v[119:120]
	v_div_fixup_f64 v[98:99], v[100:101], v[98:99], 1.0
	v_mul_f64 v[100:101], v[113:114], -v[98:99]
.LBB46_345:
	s_or_b32 exec_lo, exec_lo, s1
.LBB46_346:
	s_or_b32 exec_lo, exec_lo, s0
	s_mov_b32 s0, exec_lo
	v_cmpx_ne_u32_e64 v112, v106
	s_xor_b32 s0, exec_lo, s0
	s_cbranch_execz .LBB46_352
; %bb.347:
	s_mov_b32 s1, exec_lo
	v_cmpx_eq_u32_e32 16, v112
	s_cbranch_execz .LBB46_351
; %bb.348:
	v_cmp_ne_u32_e32 vcc_lo, 16, v106
	s_xor_b32 s2, s16, -1
	s_and_b32 s3, s2, vcc_lo
	s_and_saveexec_b32 s2, s3
	s_cbranch_execz .LBB46_350
; %bb.349:
	v_ashrrev_i32_e32 v107, 31, v106
	v_lshlrev_b64 v[112:113], 2, v[106:107]
	v_add_co_u32 v112, vcc_lo, v104, v112
	v_add_co_ci_u32_e64 v113, null, v105, v113, vcc_lo
	s_clause 0x1
	global_load_dword v0, v[112:113], off
	global_load_dword v107, v[104:105], off offset:64
	s_waitcnt vmcnt(1)
	global_store_dword v[104:105], v0, off offset:64
	s_waitcnt vmcnt(0)
	global_store_dword v[112:113], v107, off
.LBB46_350:
	s_or_b32 exec_lo, exec_lo, s2
	v_mov_b32_e32 v112, v106
	v_mov_b32_e32 v0, v106
.LBB46_351:
	s_or_b32 exec_lo, exec_lo, s1
.LBB46_352:
	s_andn2_saveexec_b32 s0, s0
	s_cbranch_execz .LBB46_354
; %bb.353:
	v_mov_b32_e32 v112, 16
	ds_write2_b64 v1, v[26:27], v[28:29] offset0:34 offset1:35
	ds_write2_b64 v1, v[22:23], v[24:25] offset0:36 offset1:37
	;; [unrolled: 1-line block ×7, first 2 shown]
.LBB46_354:
	s_or_b32 exec_lo, exec_lo, s0
	s_mov_b32 s0, exec_lo
	s_waitcnt lgkmcnt(0)
	s_waitcnt_vscnt null, 0x0
	s_barrier
	buffer_gl0_inv
	v_cmpx_lt_i32_e32 16, v112
	s_cbranch_execz .LBB46_356
; %bb.355:
	v_mul_f64 v[106:107], v[98:99], v[32:33]
	v_mul_f64 v[32:33], v[100:101], v[32:33]
	v_fma_f64 v[106:107], v[100:101], v[30:31], v[106:107]
	v_fma_f64 v[30:31], v[98:99], v[30:31], -v[32:33]
	ds_read2_b64 v[98:101], v1 offset0:34 offset1:35
	s_waitcnt lgkmcnt(0)
	v_mul_f64 v[32:33], v[100:101], v[106:107]
	v_fma_f64 v[32:33], v[98:99], v[30:31], -v[32:33]
	v_mul_f64 v[98:99], v[98:99], v[106:107]
	v_add_f64 v[26:27], v[26:27], -v[32:33]
	v_fma_f64 v[98:99], v[100:101], v[30:31], v[98:99]
	v_add_f64 v[28:29], v[28:29], -v[98:99]
	ds_read2_b64 v[98:101], v1 offset0:36 offset1:37
	s_waitcnt lgkmcnt(0)
	v_mul_f64 v[32:33], v[100:101], v[106:107]
	v_fma_f64 v[32:33], v[98:99], v[30:31], -v[32:33]
	v_mul_f64 v[98:99], v[98:99], v[106:107]
	v_add_f64 v[22:23], v[22:23], -v[32:33]
	v_fma_f64 v[98:99], v[100:101], v[30:31], v[98:99]
	v_add_f64 v[24:25], v[24:25], -v[98:99]
	;; [unrolled: 8-line block ×6, first 2 shown]
	ds_read2_b64 v[98:101], v1 offset0:46 offset1:47
	s_waitcnt lgkmcnt(0)
	v_mul_f64 v[32:33], v[100:101], v[106:107]
	v_fma_f64 v[32:33], v[98:99], v[30:31], -v[32:33]
	v_mul_f64 v[98:99], v[98:99], v[106:107]
	v_add_f64 v[2:3], v[2:3], -v[32:33]
	v_fma_f64 v[98:99], v[100:101], v[30:31], v[98:99]
	v_mov_b32_e32 v32, v106
	v_mov_b32_e32 v33, v107
	v_add_f64 v[4:5], v[4:5], -v[98:99]
.LBB46_356:
	s_or_b32 exec_lo, exec_lo, s0
	v_lshl_add_u32 v98, v112, 4, v1
	s_barrier
	buffer_gl0_inv
	v_mov_b32_e32 v106, 17
	ds_write2_b64 v98, v[26:27], v[28:29] offset1:1
	s_waitcnt lgkmcnt(0)
	s_barrier
	buffer_gl0_inv
	ds_read2_b64 v[98:101], v1 offset0:34 offset1:35
	s_cmp_lt_i32 s18, 19
	s_cbranch_scc1 .LBB46_359
; %bb.357:
	v_add3_u32 v107, v108, 0, 0x120
	v_mov_b32_e32 v106, 17
	s_mov_b32 s1, 18
	s_inst_prefetch 0x1
	.p2align	6
.LBB46_358:                             ; =>This Inner Loop Header: Depth=1
	s_waitcnt lgkmcnt(0)
	v_cmp_gt_f64_e32 vcc_lo, 0, v[100:101]
	v_cmp_gt_f64_e64 s0, 0, v[98:99]
	ds_read2_b64 v[113:116], v107 offset1:1
	v_xor_b32_e32 v118, 0x80000000, v99
	v_xor_b32_e32 v120, 0x80000000, v101
	v_mov_b32_e32 v117, v98
	v_mov_b32_e32 v119, v100
	v_add_nc_u32_e32 v107, 16, v107
	s_waitcnt lgkmcnt(0)
	v_xor_b32_e32 v122, 0x80000000, v116
	v_cndmask_b32_e64 v118, v99, v118, s0
	v_cndmask_b32_e32 v120, v101, v120, vcc_lo
	v_cmp_gt_f64_e32 vcc_lo, 0, v[115:116]
	v_cmp_gt_f64_e64 s0, 0, v[113:114]
	v_mov_b32_e32 v121, v115
	v_add_f64 v[117:118], v[117:118], v[119:120]
	v_xor_b32_e32 v120, 0x80000000, v114
	v_mov_b32_e32 v119, v113
	v_cndmask_b32_e32 v122, v116, v122, vcc_lo
	v_cndmask_b32_e64 v120, v114, v120, s0
	v_add_f64 v[119:120], v[119:120], v[121:122]
	v_cmp_lt_f64_e32 vcc_lo, v[117:118], v[119:120]
	v_cndmask_b32_e32 v99, v99, v114, vcc_lo
	v_cndmask_b32_e32 v98, v98, v113, vcc_lo
	;; [unrolled: 1-line block ×4, first 2 shown]
	v_cndmask_b32_e64 v106, v106, s1, vcc_lo
	s_add_i32 s1, s1, 1
	s_cmp_lg_u32 s18, s1
	s_cbranch_scc1 .LBB46_358
.LBB46_359:
	s_inst_prefetch 0x2
	s_waitcnt lgkmcnt(0)
	v_cmp_eq_f64_e32 vcc_lo, 0, v[98:99]
	v_cmp_eq_f64_e64 s0, 0, v[100:101]
	s_and_b32 s0, vcc_lo, s0
	s_and_saveexec_b32 s1, s0
	s_xor_b32 s0, exec_lo, s1
; %bb.360:
	v_cmp_ne_u32_e32 vcc_lo, 0, v111
	v_cndmask_b32_e32 v111, 18, v111, vcc_lo
; %bb.361:
	s_andn2_saveexec_b32 s0, s0
	s_cbranch_execz .LBB46_367
; %bb.362:
	v_cmp_ngt_f64_e64 s1, |v[98:99]|, |v[100:101]|
	s_and_saveexec_b32 s2, s1
	s_xor_b32 s1, exec_lo, s2
	s_cbranch_execz .LBB46_364
; %bb.363:
	v_div_scale_f64 v[113:114], null, v[100:101], v[100:101], v[98:99]
	v_div_scale_f64 v[119:120], vcc_lo, v[98:99], v[100:101], v[98:99]
	v_rcp_f64_e32 v[115:116], v[113:114]
	v_fma_f64 v[117:118], -v[113:114], v[115:116], 1.0
	v_fma_f64 v[115:116], v[115:116], v[117:118], v[115:116]
	v_fma_f64 v[117:118], -v[113:114], v[115:116], 1.0
	v_fma_f64 v[115:116], v[115:116], v[117:118], v[115:116]
	v_mul_f64 v[117:118], v[119:120], v[115:116]
	v_fma_f64 v[113:114], -v[113:114], v[117:118], v[119:120]
	v_div_fmas_f64 v[113:114], v[113:114], v[115:116], v[117:118]
	v_div_fixup_f64 v[113:114], v[113:114], v[100:101], v[98:99]
	v_fma_f64 v[98:99], v[98:99], v[113:114], v[100:101]
	v_div_scale_f64 v[100:101], null, v[98:99], v[98:99], 1.0
	v_rcp_f64_e32 v[115:116], v[100:101]
	v_fma_f64 v[117:118], -v[100:101], v[115:116], 1.0
	v_fma_f64 v[115:116], v[115:116], v[117:118], v[115:116]
	v_fma_f64 v[117:118], -v[100:101], v[115:116], 1.0
	v_fma_f64 v[115:116], v[115:116], v[117:118], v[115:116]
	v_div_scale_f64 v[117:118], vcc_lo, 1.0, v[98:99], 1.0
	v_mul_f64 v[119:120], v[117:118], v[115:116]
	v_fma_f64 v[100:101], -v[100:101], v[119:120], v[117:118]
	v_div_fmas_f64 v[100:101], v[100:101], v[115:116], v[119:120]
	v_div_fixup_f64 v[100:101], v[100:101], v[98:99], 1.0
	v_mul_f64 v[98:99], v[113:114], v[100:101]
	v_xor_b32_e32 v101, 0x80000000, v101
.LBB46_364:
	s_andn2_saveexec_b32 s1, s1
	s_cbranch_execz .LBB46_366
; %bb.365:
	v_div_scale_f64 v[113:114], null, v[98:99], v[98:99], v[100:101]
	v_div_scale_f64 v[119:120], vcc_lo, v[100:101], v[98:99], v[100:101]
	v_rcp_f64_e32 v[115:116], v[113:114]
	v_fma_f64 v[117:118], -v[113:114], v[115:116], 1.0
	v_fma_f64 v[115:116], v[115:116], v[117:118], v[115:116]
	v_fma_f64 v[117:118], -v[113:114], v[115:116], 1.0
	v_fma_f64 v[115:116], v[115:116], v[117:118], v[115:116]
	v_mul_f64 v[117:118], v[119:120], v[115:116]
	v_fma_f64 v[113:114], -v[113:114], v[117:118], v[119:120]
	v_div_fmas_f64 v[113:114], v[113:114], v[115:116], v[117:118]
	v_div_fixup_f64 v[113:114], v[113:114], v[98:99], v[100:101]
	v_fma_f64 v[98:99], v[100:101], v[113:114], v[98:99]
	v_div_scale_f64 v[100:101], null, v[98:99], v[98:99], 1.0
	v_rcp_f64_e32 v[115:116], v[100:101]
	v_fma_f64 v[117:118], -v[100:101], v[115:116], 1.0
	v_fma_f64 v[115:116], v[115:116], v[117:118], v[115:116]
	v_fma_f64 v[117:118], -v[100:101], v[115:116], 1.0
	v_fma_f64 v[115:116], v[115:116], v[117:118], v[115:116]
	v_div_scale_f64 v[117:118], vcc_lo, 1.0, v[98:99], 1.0
	v_mul_f64 v[119:120], v[117:118], v[115:116]
	v_fma_f64 v[100:101], -v[100:101], v[119:120], v[117:118]
	v_div_fmas_f64 v[100:101], v[100:101], v[115:116], v[119:120]
	v_div_fixup_f64 v[98:99], v[100:101], v[98:99], 1.0
	v_mul_f64 v[100:101], v[113:114], -v[98:99]
.LBB46_366:
	s_or_b32 exec_lo, exec_lo, s1
.LBB46_367:
	s_or_b32 exec_lo, exec_lo, s0
	s_mov_b32 s0, exec_lo
	v_cmpx_ne_u32_e64 v112, v106
	s_xor_b32 s0, exec_lo, s0
	s_cbranch_execz .LBB46_373
; %bb.368:
	s_mov_b32 s1, exec_lo
	v_cmpx_eq_u32_e32 17, v112
	s_cbranch_execz .LBB46_372
; %bb.369:
	v_cmp_ne_u32_e32 vcc_lo, 17, v106
	s_xor_b32 s2, s16, -1
	s_and_b32 s3, s2, vcc_lo
	s_and_saveexec_b32 s2, s3
	s_cbranch_execz .LBB46_371
; %bb.370:
	v_ashrrev_i32_e32 v107, 31, v106
	v_lshlrev_b64 v[112:113], 2, v[106:107]
	v_add_co_u32 v112, vcc_lo, v104, v112
	v_add_co_ci_u32_e64 v113, null, v105, v113, vcc_lo
	s_clause 0x1
	global_load_dword v0, v[112:113], off
	global_load_dword v107, v[104:105], off offset:68
	s_waitcnt vmcnt(1)
	global_store_dword v[104:105], v0, off offset:68
	s_waitcnt vmcnt(0)
	global_store_dword v[112:113], v107, off
.LBB46_371:
	s_or_b32 exec_lo, exec_lo, s2
	v_mov_b32_e32 v112, v106
	v_mov_b32_e32 v0, v106
.LBB46_372:
	s_or_b32 exec_lo, exec_lo, s1
.LBB46_373:
	s_andn2_saveexec_b32 s0, s0
	s_cbranch_execz .LBB46_375
; %bb.374:
	v_mov_b32_e32 v112, 17
	ds_write2_b64 v1, v[22:23], v[24:25] offset0:36 offset1:37
	ds_write2_b64 v1, v[18:19], v[20:21] offset0:38 offset1:39
	;; [unrolled: 1-line block ×6, first 2 shown]
.LBB46_375:
	s_or_b32 exec_lo, exec_lo, s0
	s_mov_b32 s0, exec_lo
	s_waitcnt lgkmcnt(0)
	s_waitcnt_vscnt null, 0x0
	s_barrier
	buffer_gl0_inv
	v_cmpx_lt_i32_e32 17, v112
	s_cbranch_execz .LBB46_377
; %bb.376:
	v_mul_f64 v[106:107], v[98:99], v[28:29]
	v_mul_f64 v[28:29], v[100:101], v[28:29]
	v_fma_f64 v[106:107], v[100:101], v[26:27], v[106:107]
	v_fma_f64 v[26:27], v[98:99], v[26:27], -v[28:29]
	ds_read2_b64 v[98:101], v1 offset0:36 offset1:37
	s_waitcnt lgkmcnt(0)
	v_mul_f64 v[28:29], v[100:101], v[106:107]
	v_fma_f64 v[28:29], v[98:99], v[26:27], -v[28:29]
	v_mul_f64 v[98:99], v[98:99], v[106:107]
	v_add_f64 v[22:23], v[22:23], -v[28:29]
	v_fma_f64 v[98:99], v[100:101], v[26:27], v[98:99]
	v_add_f64 v[24:25], v[24:25], -v[98:99]
	ds_read2_b64 v[98:101], v1 offset0:38 offset1:39
	s_waitcnt lgkmcnt(0)
	v_mul_f64 v[28:29], v[100:101], v[106:107]
	v_fma_f64 v[28:29], v[98:99], v[26:27], -v[28:29]
	v_mul_f64 v[98:99], v[98:99], v[106:107]
	v_add_f64 v[18:19], v[18:19], -v[28:29]
	v_fma_f64 v[98:99], v[100:101], v[26:27], v[98:99]
	v_add_f64 v[20:21], v[20:21], -v[98:99]
	;; [unrolled: 8-line block ×5, first 2 shown]
	ds_read2_b64 v[98:101], v1 offset0:46 offset1:47
	s_waitcnt lgkmcnt(0)
	v_mul_f64 v[28:29], v[100:101], v[106:107]
	v_fma_f64 v[28:29], v[98:99], v[26:27], -v[28:29]
	v_mul_f64 v[98:99], v[98:99], v[106:107]
	v_add_f64 v[2:3], v[2:3], -v[28:29]
	v_fma_f64 v[98:99], v[100:101], v[26:27], v[98:99]
	v_mov_b32_e32 v28, v106
	v_mov_b32_e32 v29, v107
	v_add_f64 v[4:5], v[4:5], -v[98:99]
.LBB46_377:
	s_or_b32 exec_lo, exec_lo, s0
	v_lshl_add_u32 v98, v112, 4, v1
	s_barrier
	buffer_gl0_inv
	v_mov_b32_e32 v106, 18
	ds_write2_b64 v98, v[22:23], v[24:25] offset1:1
	s_waitcnt lgkmcnt(0)
	s_barrier
	buffer_gl0_inv
	ds_read2_b64 v[98:101], v1 offset0:36 offset1:37
	s_cmp_lt_i32 s18, 20
	s_cbranch_scc1 .LBB46_380
; %bb.378:
	v_add3_u32 v107, v108, 0, 0x130
	v_mov_b32_e32 v106, 18
	s_mov_b32 s1, 19
	s_inst_prefetch 0x1
	.p2align	6
.LBB46_379:                             ; =>This Inner Loop Header: Depth=1
	s_waitcnt lgkmcnt(0)
	v_cmp_gt_f64_e32 vcc_lo, 0, v[100:101]
	v_cmp_gt_f64_e64 s0, 0, v[98:99]
	ds_read2_b64 v[113:116], v107 offset1:1
	v_xor_b32_e32 v118, 0x80000000, v99
	v_xor_b32_e32 v120, 0x80000000, v101
	v_mov_b32_e32 v117, v98
	v_mov_b32_e32 v119, v100
	v_add_nc_u32_e32 v107, 16, v107
	s_waitcnt lgkmcnt(0)
	v_xor_b32_e32 v122, 0x80000000, v116
	v_cndmask_b32_e64 v118, v99, v118, s0
	v_cndmask_b32_e32 v120, v101, v120, vcc_lo
	v_cmp_gt_f64_e32 vcc_lo, 0, v[115:116]
	v_cmp_gt_f64_e64 s0, 0, v[113:114]
	v_mov_b32_e32 v121, v115
	v_add_f64 v[117:118], v[117:118], v[119:120]
	v_xor_b32_e32 v120, 0x80000000, v114
	v_mov_b32_e32 v119, v113
	v_cndmask_b32_e32 v122, v116, v122, vcc_lo
	v_cndmask_b32_e64 v120, v114, v120, s0
	v_add_f64 v[119:120], v[119:120], v[121:122]
	v_cmp_lt_f64_e32 vcc_lo, v[117:118], v[119:120]
	v_cndmask_b32_e32 v99, v99, v114, vcc_lo
	v_cndmask_b32_e32 v98, v98, v113, vcc_lo
	;; [unrolled: 1-line block ×4, first 2 shown]
	v_cndmask_b32_e64 v106, v106, s1, vcc_lo
	s_add_i32 s1, s1, 1
	s_cmp_lg_u32 s18, s1
	s_cbranch_scc1 .LBB46_379
.LBB46_380:
	s_inst_prefetch 0x2
	s_waitcnt lgkmcnt(0)
	v_cmp_eq_f64_e32 vcc_lo, 0, v[98:99]
	v_cmp_eq_f64_e64 s0, 0, v[100:101]
	s_and_b32 s0, vcc_lo, s0
	s_and_saveexec_b32 s1, s0
	s_xor_b32 s0, exec_lo, s1
; %bb.381:
	v_cmp_ne_u32_e32 vcc_lo, 0, v111
	v_cndmask_b32_e32 v111, 19, v111, vcc_lo
; %bb.382:
	s_andn2_saveexec_b32 s0, s0
	s_cbranch_execz .LBB46_388
; %bb.383:
	v_cmp_ngt_f64_e64 s1, |v[98:99]|, |v[100:101]|
	s_and_saveexec_b32 s2, s1
	s_xor_b32 s1, exec_lo, s2
	s_cbranch_execz .LBB46_385
; %bb.384:
	v_div_scale_f64 v[113:114], null, v[100:101], v[100:101], v[98:99]
	v_div_scale_f64 v[119:120], vcc_lo, v[98:99], v[100:101], v[98:99]
	v_rcp_f64_e32 v[115:116], v[113:114]
	v_fma_f64 v[117:118], -v[113:114], v[115:116], 1.0
	v_fma_f64 v[115:116], v[115:116], v[117:118], v[115:116]
	v_fma_f64 v[117:118], -v[113:114], v[115:116], 1.0
	v_fma_f64 v[115:116], v[115:116], v[117:118], v[115:116]
	v_mul_f64 v[117:118], v[119:120], v[115:116]
	v_fma_f64 v[113:114], -v[113:114], v[117:118], v[119:120]
	v_div_fmas_f64 v[113:114], v[113:114], v[115:116], v[117:118]
	v_div_fixup_f64 v[113:114], v[113:114], v[100:101], v[98:99]
	v_fma_f64 v[98:99], v[98:99], v[113:114], v[100:101]
	v_div_scale_f64 v[100:101], null, v[98:99], v[98:99], 1.0
	v_rcp_f64_e32 v[115:116], v[100:101]
	v_fma_f64 v[117:118], -v[100:101], v[115:116], 1.0
	v_fma_f64 v[115:116], v[115:116], v[117:118], v[115:116]
	v_fma_f64 v[117:118], -v[100:101], v[115:116], 1.0
	v_fma_f64 v[115:116], v[115:116], v[117:118], v[115:116]
	v_div_scale_f64 v[117:118], vcc_lo, 1.0, v[98:99], 1.0
	v_mul_f64 v[119:120], v[117:118], v[115:116]
	v_fma_f64 v[100:101], -v[100:101], v[119:120], v[117:118]
	v_div_fmas_f64 v[100:101], v[100:101], v[115:116], v[119:120]
	v_div_fixup_f64 v[100:101], v[100:101], v[98:99], 1.0
	v_mul_f64 v[98:99], v[113:114], v[100:101]
	v_xor_b32_e32 v101, 0x80000000, v101
.LBB46_385:
	s_andn2_saveexec_b32 s1, s1
	s_cbranch_execz .LBB46_387
; %bb.386:
	v_div_scale_f64 v[113:114], null, v[98:99], v[98:99], v[100:101]
	v_div_scale_f64 v[119:120], vcc_lo, v[100:101], v[98:99], v[100:101]
	v_rcp_f64_e32 v[115:116], v[113:114]
	v_fma_f64 v[117:118], -v[113:114], v[115:116], 1.0
	v_fma_f64 v[115:116], v[115:116], v[117:118], v[115:116]
	v_fma_f64 v[117:118], -v[113:114], v[115:116], 1.0
	v_fma_f64 v[115:116], v[115:116], v[117:118], v[115:116]
	v_mul_f64 v[117:118], v[119:120], v[115:116]
	v_fma_f64 v[113:114], -v[113:114], v[117:118], v[119:120]
	v_div_fmas_f64 v[113:114], v[113:114], v[115:116], v[117:118]
	v_div_fixup_f64 v[113:114], v[113:114], v[98:99], v[100:101]
	v_fma_f64 v[98:99], v[100:101], v[113:114], v[98:99]
	v_div_scale_f64 v[100:101], null, v[98:99], v[98:99], 1.0
	v_rcp_f64_e32 v[115:116], v[100:101]
	v_fma_f64 v[117:118], -v[100:101], v[115:116], 1.0
	v_fma_f64 v[115:116], v[115:116], v[117:118], v[115:116]
	v_fma_f64 v[117:118], -v[100:101], v[115:116], 1.0
	v_fma_f64 v[115:116], v[115:116], v[117:118], v[115:116]
	v_div_scale_f64 v[117:118], vcc_lo, 1.0, v[98:99], 1.0
	v_mul_f64 v[119:120], v[117:118], v[115:116]
	v_fma_f64 v[100:101], -v[100:101], v[119:120], v[117:118]
	v_div_fmas_f64 v[100:101], v[100:101], v[115:116], v[119:120]
	v_div_fixup_f64 v[98:99], v[100:101], v[98:99], 1.0
	v_mul_f64 v[100:101], v[113:114], -v[98:99]
.LBB46_387:
	s_or_b32 exec_lo, exec_lo, s1
.LBB46_388:
	s_or_b32 exec_lo, exec_lo, s0
	s_mov_b32 s0, exec_lo
	v_cmpx_ne_u32_e64 v112, v106
	s_xor_b32 s0, exec_lo, s0
	s_cbranch_execz .LBB46_394
; %bb.389:
	s_mov_b32 s1, exec_lo
	v_cmpx_eq_u32_e32 18, v112
	s_cbranch_execz .LBB46_393
; %bb.390:
	v_cmp_ne_u32_e32 vcc_lo, 18, v106
	s_xor_b32 s2, s16, -1
	s_and_b32 s3, s2, vcc_lo
	s_and_saveexec_b32 s2, s3
	s_cbranch_execz .LBB46_392
; %bb.391:
	v_ashrrev_i32_e32 v107, 31, v106
	v_lshlrev_b64 v[112:113], 2, v[106:107]
	v_add_co_u32 v112, vcc_lo, v104, v112
	v_add_co_ci_u32_e64 v113, null, v105, v113, vcc_lo
	s_clause 0x1
	global_load_dword v0, v[112:113], off
	global_load_dword v107, v[104:105], off offset:72
	s_waitcnt vmcnt(1)
	global_store_dword v[104:105], v0, off offset:72
	s_waitcnt vmcnt(0)
	global_store_dword v[112:113], v107, off
.LBB46_392:
	s_or_b32 exec_lo, exec_lo, s2
	v_mov_b32_e32 v112, v106
	v_mov_b32_e32 v0, v106
.LBB46_393:
	s_or_b32 exec_lo, exec_lo, s1
.LBB46_394:
	s_andn2_saveexec_b32 s0, s0
	s_cbranch_execz .LBB46_396
; %bb.395:
	v_mov_b32_e32 v112, 18
	ds_write2_b64 v1, v[18:19], v[20:21] offset0:38 offset1:39
	ds_write2_b64 v1, v[14:15], v[16:17] offset0:40 offset1:41
	;; [unrolled: 1-line block ×5, first 2 shown]
.LBB46_396:
	s_or_b32 exec_lo, exec_lo, s0
	s_mov_b32 s0, exec_lo
	s_waitcnt lgkmcnt(0)
	s_waitcnt_vscnt null, 0x0
	s_barrier
	buffer_gl0_inv
	v_cmpx_lt_i32_e32 18, v112
	s_cbranch_execz .LBB46_398
; %bb.397:
	v_mul_f64 v[106:107], v[98:99], v[24:25]
	v_mul_f64 v[24:25], v[100:101], v[24:25]
	v_fma_f64 v[106:107], v[100:101], v[22:23], v[106:107]
	v_fma_f64 v[22:23], v[98:99], v[22:23], -v[24:25]
	ds_read2_b64 v[98:101], v1 offset0:38 offset1:39
	s_waitcnt lgkmcnt(0)
	v_mul_f64 v[24:25], v[100:101], v[106:107]
	v_fma_f64 v[24:25], v[98:99], v[22:23], -v[24:25]
	v_mul_f64 v[98:99], v[98:99], v[106:107]
	v_add_f64 v[18:19], v[18:19], -v[24:25]
	v_fma_f64 v[98:99], v[100:101], v[22:23], v[98:99]
	v_add_f64 v[20:21], v[20:21], -v[98:99]
	ds_read2_b64 v[98:101], v1 offset0:40 offset1:41
	s_waitcnt lgkmcnt(0)
	v_mul_f64 v[24:25], v[100:101], v[106:107]
	v_fma_f64 v[24:25], v[98:99], v[22:23], -v[24:25]
	v_mul_f64 v[98:99], v[98:99], v[106:107]
	v_add_f64 v[14:15], v[14:15], -v[24:25]
	v_fma_f64 v[98:99], v[100:101], v[22:23], v[98:99]
	v_add_f64 v[16:17], v[16:17], -v[98:99]
	;; [unrolled: 8-line block ×4, first 2 shown]
	ds_read2_b64 v[98:101], v1 offset0:46 offset1:47
	s_waitcnt lgkmcnt(0)
	v_mul_f64 v[24:25], v[100:101], v[106:107]
	v_fma_f64 v[24:25], v[98:99], v[22:23], -v[24:25]
	v_mul_f64 v[98:99], v[98:99], v[106:107]
	v_add_f64 v[2:3], v[2:3], -v[24:25]
	v_fma_f64 v[98:99], v[100:101], v[22:23], v[98:99]
	v_mov_b32_e32 v24, v106
	v_mov_b32_e32 v25, v107
	v_add_f64 v[4:5], v[4:5], -v[98:99]
.LBB46_398:
	s_or_b32 exec_lo, exec_lo, s0
	v_lshl_add_u32 v98, v112, 4, v1
	s_barrier
	buffer_gl0_inv
	v_mov_b32_e32 v106, 19
	ds_write2_b64 v98, v[18:19], v[20:21] offset1:1
	s_waitcnt lgkmcnt(0)
	s_barrier
	buffer_gl0_inv
	ds_read2_b64 v[98:101], v1 offset0:38 offset1:39
	s_cmp_lt_i32 s18, 21
	s_cbranch_scc1 .LBB46_401
; %bb.399:
	v_add3_u32 v107, v108, 0, 0x140
	v_mov_b32_e32 v106, 19
	s_mov_b32 s1, 20
	s_inst_prefetch 0x1
	.p2align	6
.LBB46_400:                             ; =>This Inner Loop Header: Depth=1
	s_waitcnt lgkmcnt(0)
	v_cmp_gt_f64_e32 vcc_lo, 0, v[100:101]
	v_cmp_gt_f64_e64 s0, 0, v[98:99]
	ds_read2_b64 v[113:116], v107 offset1:1
	v_xor_b32_e32 v118, 0x80000000, v99
	v_xor_b32_e32 v120, 0x80000000, v101
	v_mov_b32_e32 v117, v98
	v_mov_b32_e32 v119, v100
	v_add_nc_u32_e32 v107, 16, v107
	s_waitcnt lgkmcnt(0)
	v_xor_b32_e32 v122, 0x80000000, v116
	v_cndmask_b32_e64 v118, v99, v118, s0
	v_cndmask_b32_e32 v120, v101, v120, vcc_lo
	v_cmp_gt_f64_e32 vcc_lo, 0, v[115:116]
	v_cmp_gt_f64_e64 s0, 0, v[113:114]
	v_mov_b32_e32 v121, v115
	v_add_f64 v[117:118], v[117:118], v[119:120]
	v_xor_b32_e32 v120, 0x80000000, v114
	v_mov_b32_e32 v119, v113
	v_cndmask_b32_e32 v122, v116, v122, vcc_lo
	v_cndmask_b32_e64 v120, v114, v120, s0
	v_add_f64 v[119:120], v[119:120], v[121:122]
	v_cmp_lt_f64_e32 vcc_lo, v[117:118], v[119:120]
	v_cndmask_b32_e32 v99, v99, v114, vcc_lo
	v_cndmask_b32_e32 v98, v98, v113, vcc_lo
	;; [unrolled: 1-line block ×4, first 2 shown]
	v_cndmask_b32_e64 v106, v106, s1, vcc_lo
	s_add_i32 s1, s1, 1
	s_cmp_lg_u32 s18, s1
	s_cbranch_scc1 .LBB46_400
.LBB46_401:
	s_inst_prefetch 0x2
	s_waitcnt lgkmcnt(0)
	v_cmp_eq_f64_e32 vcc_lo, 0, v[98:99]
	v_cmp_eq_f64_e64 s0, 0, v[100:101]
	s_and_b32 s0, vcc_lo, s0
	s_and_saveexec_b32 s1, s0
	s_xor_b32 s0, exec_lo, s1
; %bb.402:
	v_cmp_ne_u32_e32 vcc_lo, 0, v111
	v_cndmask_b32_e32 v111, 20, v111, vcc_lo
; %bb.403:
	s_andn2_saveexec_b32 s0, s0
	s_cbranch_execz .LBB46_409
; %bb.404:
	v_cmp_ngt_f64_e64 s1, |v[98:99]|, |v[100:101]|
	s_and_saveexec_b32 s2, s1
	s_xor_b32 s1, exec_lo, s2
	s_cbranch_execz .LBB46_406
; %bb.405:
	v_div_scale_f64 v[113:114], null, v[100:101], v[100:101], v[98:99]
	v_div_scale_f64 v[119:120], vcc_lo, v[98:99], v[100:101], v[98:99]
	v_rcp_f64_e32 v[115:116], v[113:114]
	v_fma_f64 v[117:118], -v[113:114], v[115:116], 1.0
	v_fma_f64 v[115:116], v[115:116], v[117:118], v[115:116]
	v_fma_f64 v[117:118], -v[113:114], v[115:116], 1.0
	v_fma_f64 v[115:116], v[115:116], v[117:118], v[115:116]
	v_mul_f64 v[117:118], v[119:120], v[115:116]
	v_fma_f64 v[113:114], -v[113:114], v[117:118], v[119:120]
	v_div_fmas_f64 v[113:114], v[113:114], v[115:116], v[117:118]
	v_div_fixup_f64 v[113:114], v[113:114], v[100:101], v[98:99]
	v_fma_f64 v[98:99], v[98:99], v[113:114], v[100:101]
	v_div_scale_f64 v[100:101], null, v[98:99], v[98:99], 1.0
	v_rcp_f64_e32 v[115:116], v[100:101]
	v_fma_f64 v[117:118], -v[100:101], v[115:116], 1.0
	v_fma_f64 v[115:116], v[115:116], v[117:118], v[115:116]
	v_fma_f64 v[117:118], -v[100:101], v[115:116], 1.0
	v_fma_f64 v[115:116], v[115:116], v[117:118], v[115:116]
	v_div_scale_f64 v[117:118], vcc_lo, 1.0, v[98:99], 1.0
	v_mul_f64 v[119:120], v[117:118], v[115:116]
	v_fma_f64 v[100:101], -v[100:101], v[119:120], v[117:118]
	v_div_fmas_f64 v[100:101], v[100:101], v[115:116], v[119:120]
	v_div_fixup_f64 v[100:101], v[100:101], v[98:99], 1.0
	v_mul_f64 v[98:99], v[113:114], v[100:101]
	v_xor_b32_e32 v101, 0x80000000, v101
.LBB46_406:
	s_andn2_saveexec_b32 s1, s1
	s_cbranch_execz .LBB46_408
; %bb.407:
	v_div_scale_f64 v[113:114], null, v[98:99], v[98:99], v[100:101]
	v_div_scale_f64 v[119:120], vcc_lo, v[100:101], v[98:99], v[100:101]
	v_rcp_f64_e32 v[115:116], v[113:114]
	v_fma_f64 v[117:118], -v[113:114], v[115:116], 1.0
	v_fma_f64 v[115:116], v[115:116], v[117:118], v[115:116]
	v_fma_f64 v[117:118], -v[113:114], v[115:116], 1.0
	v_fma_f64 v[115:116], v[115:116], v[117:118], v[115:116]
	v_mul_f64 v[117:118], v[119:120], v[115:116]
	v_fma_f64 v[113:114], -v[113:114], v[117:118], v[119:120]
	v_div_fmas_f64 v[113:114], v[113:114], v[115:116], v[117:118]
	v_div_fixup_f64 v[113:114], v[113:114], v[98:99], v[100:101]
	v_fma_f64 v[98:99], v[100:101], v[113:114], v[98:99]
	v_div_scale_f64 v[100:101], null, v[98:99], v[98:99], 1.0
	v_rcp_f64_e32 v[115:116], v[100:101]
	v_fma_f64 v[117:118], -v[100:101], v[115:116], 1.0
	v_fma_f64 v[115:116], v[115:116], v[117:118], v[115:116]
	v_fma_f64 v[117:118], -v[100:101], v[115:116], 1.0
	v_fma_f64 v[115:116], v[115:116], v[117:118], v[115:116]
	v_div_scale_f64 v[117:118], vcc_lo, 1.0, v[98:99], 1.0
	v_mul_f64 v[119:120], v[117:118], v[115:116]
	v_fma_f64 v[100:101], -v[100:101], v[119:120], v[117:118]
	v_div_fmas_f64 v[100:101], v[100:101], v[115:116], v[119:120]
	v_div_fixup_f64 v[98:99], v[100:101], v[98:99], 1.0
	v_mul_f64 v[100:101], v[113:114], -v[98:99]
.LBB46_408:
	s_or_b32 exec_lo, exec_lo, s1
.LBB46_409:
	s_or_b32 exec_lo, exec_lo, s0
	s_mov_b32 s0, exec_lo
	v_cmpx_ne_u32_e64 v112, v106
	s_xor_b32 s0, exec_lo, s0
	s_cbranch_execz .LBB46_415
; %bb.410:
	s_mov_b32 s1, exec_lo
	v_cmpx_eq_u32_e32 19, v112
	s_cbranch_execz .LBB46_414
; %bb.411:
	v_cmp_ne_u32_e32 vcc_lo, 19, v106
	s_xor_b32 s2, s16, -1
	s_and_b32 s3, s2, vcc_lo
	s_and_saveexec_b32 s2, s3
	s_cbranch_execz .LBB46_413
; %bb.412:
	v_ashrrev_i32_e32 v107, 31, v106
	v_lshlrev_b64 v[112:113], 2, v[106:107]
	v_add_co_u32 v112, vcc_lo, v104, v112
	v_add_co_ci_u32_e64 v113, null, v105, v113, vcc_lo
	s_clause 0x1
	global_load_dword v0, v[112:113], off
	global_load_dword v107, v[104:105], off offset:76
	s_waitcnt vmcnt(1)
	global_store_dword v[104:105], v0, off offset:76
	s_waitcnt vmcnt(0)
	global_store_dword v[112:113], v107, off
.LBB46_413:
	s_or_b32 exec_lo, exec_lo, s2
	v_mov_b32_e32 v112, v106
	v_mov_b32_e32 v0, v106
.LBB46_414:
	s_or_b32 exec_lo, exec_lo, s1
.LBB46_415:
	s_andn2_saveexec_b32 s0, s0
	s_cbranch_execz .LBB46_417
; %bb.416:
	v_mov_b32_e32 v112, 19
	ds_write2_b64 v1, v[14:15], v[16:17] offset0:40 offset1:41
	ds_write2_b64 v1, v[10:11], v[12:13] offset0:42 offset1:43
	;; [unrolled: 1-line block ×4, first 2 shown]
.LBB46_417:
	s_or_b32 exec_lo, exec_lo, s0
	s_mov_b32 s0, exec_lo
	s_waitcnt lgkmcnt(0)
	s_waitcnt_vscnt null, 0x0
	s_barrier
	buffer_gl0_inv
	v_cmpx_lt_i32_e32 19, v112
	s_cbranch_execz .LBB46_419
; %bb.418:
	v_mul_f64 v[106:107], v[98:99], v[20:21]
	v_mul_f64 v[20:21], v[100:101], v[20:21]
	v_fma_f64 v[106:107], v[100:101], v[18:19], v[106:107]
	v_fma_f64 v[18:19], v[98:99], v[18:19], -v[20:21]
	ds_read2_b64 v[98:101], v1 offset0:40 offset1:41
	s_waitcnt lgkmcnt(0)
	v_mul_f64 v[20:21], v[100:101], v[106:107]
	v_fma_f64 v[20:21], v[98:99], v[18:19], -v[20:21]
	v_mul_f64 v[98:99], v[98:99], v[106:107]
	v_add_f64 v[14:15], v[14:15], -v[20:21]
	v_fma_f64 v[98:99], v[100:101], v[18:19], v[98:99]
	v_add_f64 v[16:17], v[16:17], -v[98:99]
	ds_read2_b64 v[98:101], v1 offset0:42 offset1:43
	s_waitcnt lgkmcnt(0)
	v_mul_f64 v[20:21], v[100:101], v[106:107]
	v_fma_f64 v[20:21], v[98:99], v[18:19], -v[20:21]
	v_mul_f64 v[98:99], v[98:99], v[106:107]
	v_add_f64 v[10:11], v[10:11], -v[20:21]
	v_fma_f64 v[98:99], v[100:101], v[18:19], v[98:99]
	v_add_f64 v[12:13], v[12:13], -v[98:99]
	;; [unrolled: 8-line block ×3, first 2 shown]
	ds_read2_b64 v[98:101], v1 offset0:46 offset1:47
	s_waitcnt lgkmcnt(0)
	v_mul_f64 v[20:21], v[100:101], v[106:107]
	v_fma_f64 v[20:21], v[98:99], v[18:19], -v[20:21]
	v_mul_f64 v[98:99], v[98:99], v[106:107]
	v_add_f64 v[2:3], v[2:3], -v[20:21]
	v_fma_f64 v[98:99], v[100:101], v[18:19], v[98:99]
	v_mov_b32_e32 v20, v106
	v_mov_b32_e32 v21, v107
	v_add_f64 v[4:5], v[4:5], -v[98:99]
.LBB46_419:
	s_or_b32 exec_lo, exec_lo, s0
	v_lshl_add_u32 v98, v112, 4, v1
	s_barrier
	buffer_gl0_inv
	v_mov_b32_e32 v106, 20
	ds_write2_b64 v98, v[14:15], v[16:17] offset1:1
	s_waitcnt lgkmcnt(0)
	s_barrier
	buffer_gl0_inv
	ds_read2_b64 v[98:101], v1 offset0:40 offset1:41
	s_cmp_lt_i32 s18, 22
	s_cbranch_scc1 .LBB46_422
; %bb.420:
	v_add3_u32 v107, v108, 0, 0x150
	v_mov_b32_e32 v106, 20
	s_mov_b32 s1, 21
	s_inst_prefetch 0x1
	.p2align	6
.LBB46_421:                             ; =>This Inner Loop Header: Depth=1
	s_waitcnt lgkmcnt(0)
	v_cmp_gt_f64_e32 vcc_lo, 0, v[100:101]
	v_cmp_gt_f64_e64 s0, 0, v[98:99]
	ds_read2_b64 v[113:116], v107 offset1:1
	v_xor_b32_e32 v118, 0x80000000, v99
	v_xor_b32_e32 v120, 0x80000000, v101
	v_mov_b32_e32 v117, v98
	v_mov_b32_e32 v119, v100
	v_add_nc_u32_e32 v107, 16, v107
	s_waitcnt lgkmcnt(0)
	v_xor_b32_e32 v122, 0x80000000, v116
	v_cndmask_b32_e64 v118, v99, v118, s0
	v_cndmask_b32_e32 v120, v101, v120, vcc_lo
	v_cmp_gt_f64_e32 vcc_lo, 0, v[115:116]
	v_cmp_gt_f64_e64 s0, 0, v[113:114]
	v_mov_b32_e32 v121, v115
	v_add_f64 v[117:118], v[117:118], v[119:120]
	v_xor_b32_e32 v120, 0x80000000, v114
	v_mov_b32_e32 v119, v113
	v_cndmask_b32_e32 v122, v116, v122, vcc_lo
	v_cndmask_b32_e64 v120, v114, v120, s0
	v_add_f64 v[119:120], v[119:120], v[121:122]
	v_cmp_lt_f64_e32 vcc_lo, v[117:118], v[119:120]
	v_cndmask_b32_e32 v99, v99, v114, vcc_lo
	v_cndmask_b32_e32 v98, v98, v113, vcc_lo
	;; [unrolled: 1-line block ×4, first 2 shown]
	v_cndmask_b32_e64 v106, v106, s1, vcc_lo
	s_add_i32 s1, s1, 1
	s_cmp_lg_u32 s18, s1
	s_cbranch_scc1 .LBB46_421
.LBB46_422:
	s_inst_prefetch 0x2
	s_waitcnt lgkmcnt(0)
	v_cmp_eq_f64_e32 vcc_lo, 0, v[98:99]
	v_cmp_eq_f64_e64 s0, 0, v[100:101]
	s_and_b32 s0, vcc_lo, s0
	s_and_saveexec_b32 s1, s0
	s_xor_b32 s0, exec_lo, s1
; %bb.423:
	v_cmp_ne_u32_e32 vcc_lo, 0, v111
	v_cndmask_b32_e32 v111, 21, v111, vcc_lo
; %bb.424:
	s_andn2_saveexec_b32 s0, s0
	s_cbranch_execz .LBB46_430
; %bb.425:
	v_cmp_ngt_f64_e64 s1, |v[98:99]|, |v[100:101]|
	s_and_saveexec_b32 s2, s1
	s_xor_b32 s1, exec_lo, s2
	s_cbranch_execz .LBB46_427
; %bb.426:
	v_div_scale_f64 v[113:114], null, v[100:101], v[100:101], v[98:99]
	v_div_scale_f64 v[119:120], vcc_lo, v[98:99], v[100:101], v[98:99]
	v_rcp_f64_e32 v[115:116], v[113:114]
	v_fma_f64 v[117:118], -v[113:114], v[115:116], 1.0
	v_fma_f64 v[115:116], v[115:116], v[117:118], v[115:116]
	v_fma_f64 v[117:118], -v[113:114], v[115:116], 1.0
	v_fma_f64 v[115:116], v[115:116], v[117:118], v[115:116]
	v_mul_f64 v[117:118], v[119:120], v[115:116]
	v_fma_f64 v[113:114], -v[113:114], v[117:118], v[119:120]
	v_div_fmas_f64 v[113:114], v[113:114], v[115:116], v[117:118]
	v_div_fixup_f64 v[113:114], v[113:114], v[100:101], v[98:99]
	v_fma_f64 v[98:99], v[98:99], v[113:114], v[100:101]
	v_div_scale_f64 v[100:101], null, v[98:99], v[98:99], 1.0
	v_rcp_f64_e32 v[115:116], v[100:101]
	v_fma_f64 v[117:118], -v[100:101], v[115:116], 1.0
	v_fma_f64 v[115:116], v[115:116], v[117:118], v[115:116]
	v_fma_f64 v[117:118], -v[100:101], v[115:116], 1.0
	v_fma_f64 v[115:116], v[115:116], v[117:118], v[115:116]
	v_div_scale_f64 v[117:118], vcc_lo, 1.0, v[98:99], 1.0
	v_mul_f64 v[119:120], v[117:118], v[115:116]
	v_fma_f64 v[100:101], -v[100:101], v[119:120], v[117:118]
	v_div_fmas_f64 v[100:101], v[100:101], v[115:116], v[119:120]
	v_div_fixup_f64 v[100:101], v[100:101], v[98:99], 1.0
	v_mul_f64 v[98:99], v[113:114], v[100:101]
	v_xor_b32_e32 v101, 0x80000000, v101
.LBB46_427:
	s_andn2_saveexec_b32 s1, s1
	s_cbranch_execz .LBB46_429
; %bb.428:
	v_div_scale_f64 v[113:114], null, v[98:99], v[98:99], v[100:101]
	v_div_scale_f64 v[119:120], vcc_lo, v[100:101], v[98:99], v[100:101]
	v_rcp_f64_e32 v[115:116], v[113:114]
	v_fma_f64 v[117:118], -v[113:114], v[115:116], 1.0
	v_fma_f64 v[115:116], v[115:116], v[117:118], v[115:116]
	v_fma_f64 v[117:118], -v[113:114], v[115:116], 1.0
	v_fma_f64 v[115:116], v[115:116], v[117:118], v[115:116]
	v_mul_f64 v[117:118], v[119:120], v[115:116]
	v_fma_f64 v[113:114], -v[113:114], v[117:118], v[119:120]
	v_div_fmas_f64 v[113:114], v[113:114], v[115:116], v[117:118]
	v_div_fixup_f64 v[113:114], v[113:114], v[98:99], v[100:101]
	v_fma_f64 v[98:99], v[100:101], v[113:114], v[98:99]
	v_div_scale_f64 v[100:101], null, v[98:99], v[98:99], 1.0
	v_rcp_f64_e32 v[115:116], v[100:101]
	v_fma_f64 v[117:118], -v[100:101], v[115:116], 1.0
	v_fma_f64 v[115:116], v[115:116], v[117:118], v[115:116]
	v_fma_f64 v[117:118], -v[100:101], v[115:116], 1.0
	v_fma_f64 v[115:116], v[115:116], v[117:118], v[115:116]
	v_div_scale_f64 v[117:118], vcc_lo, 1.0, v[98:99], 1.0
	v_mul_f64 v[119:120], v[117:118], v[115:116]
	v_fma_f64 v[100:101], -v[100:101], v[119:120], v[117:118]
	v_div_fmas_f64 v[100:101], v[100:101], v[115:116], v[119:120]
	v_div_fixup_f64 v[98:99], v[100:101], v[98:99], 1.0
	v_mul_f64 v[100:101], v[113:114], -v[98:99]
.LBB46_429:
	s_or_b32 exec_lo, exec_lo, s1
.LBB46_430:
	s_or_b32 exec_lo, exec_lo, s0
	s_mov_b32 s0, exec_lo
	v_cmpx_ne_u32_e64 v112, v106
	s_xor_b32 s0, exec_lo, s0
	s_cbranch_execz .LBB46_436
; %bb.431:
	s_mov_b32 s1, exec_lo
	v_cmpx_eq_u32_e32 20, v112
	s_cbranch_execz .LBB46_435
; %bb.432:
	v_cmp_ne_u32_e32 vcc_lo, 20, v106
	s_xor_b32 s2, s16, -1
	s_and_b32 s3, s2, vcc_lo
	s_and_saveexec_b32 s2, s3
	s_cbranch_execz .LBB46_434
; %bb.433:
	v_ashrrev_i32_e32 v107, 31, v106
	v_lshlrev_b64 v[112:113], 2, v[106:107]
	v_add_co_u32 v112, vcc_lo, v104, v112
	v_add_co_ci_u32_e64 v113, null, v105, v113, vcc_lo
	s_clause 0x1
	global_load_dword v0, v[112:113], off
	global_load_dword v107, v[104:105], off offset:80
	s_waitcnt vmcnt(1)
	global_store_dword v[104:105], v0, off offset:80
	s_waitcnt vmcnt(0)
	global_store_dword v[112:113], v107, off
.LBB46_434:
	s_or_b32 exec_lo, exec_lo, s2
	v_mov_b32_e32 v112, v106
	v_mov_b32_e32 v0, v106
.LBB46_435:
	s_or_b32 exec_lo, exec_lo, s1
.LBB46_436:
	s_andn2_saveexec_b32 s0, s0
	s_cbranch_execz .LBB46_438
; %bb.437:
	v_mov_b32_e32 v112, 20
	ds_write2_b64 v1, v[10:11], v[12:13] offset0:42 offset1:43
	ds_write2_b64 v1, v[6:7], v[8:9] offset0:44 offset1:45
	;; [unrolled: 1-line block ×3, first 2 shown]
.LBB46_438:
	s_or_b32 exec_lo, exec_lo, s0
	s_mov_b32 s0, exec_lo
	s_waitcnt lgkmcnt(0)
	s_waitcnt_vscnt null, 0x0
	s_barrier
	buffer_gl0_inv
	v_cmpx_lt_i32_e32 20, v112
	s_cbranch_execz .LBB46_440
; %bb.439:
	v_mul_f64 v[106:107], v[98:99], v[16:17]
	v_mul_f64 v[16:17], v[100:101], v[16:17]
	v_fma_f64 v[106:107], v[100:101], v[14:15], v[106:107]
	v_fma_f64 v[14:15], v[98:99], v[14:15], -v[16:17]
	ds_read2_b64 v[98:101], v1 offset0:42 offset1:43
	s_waitcnt lgkmcnt(0)
	v_mul_f64 v[16:17], v[100:101], v[106:107]
	v_fma_f64 v[16:17], v[98:99], v[14:15], -v[16:17]
	v_mul_f64 v[98:99], v[98:99], v[106:107]
	v_add_f64 v[10:11], v[10:11], -v[16:17]
	v_fma_f64 v[98:99], v[100:101], v[14:15], v[98:99]
	v_add_f64 v[12:13], v[12:13], -v[98:99]
	ds_read2_b64 v[98:101], v1 offset0:44 offset1:45
	s_waitcnt lgkmcnt(0)
	v_mul_f64 v[16:17], v[100:101], v[106:107]
	v_fma_f64 v[16:17], v[98:99], v[14:15], -v[16:17]
	v_mul_f64 v[98:99], v[98:99], v[106:107]
	v_add_f64 v[6:7], v[6:7], -v[16:17]
	v_fma_f64 v[98:99], v[100:101], v[14:15], v[98:99]
	v_add_f64 v[8:9], v[8:9], -v[98:99]
	ds_read2_b64 v[98:101], v1 offset0:46 offset1:47
	s_waitcnt lgkmcnt(0)
	v_mul_f64 v[16:17], v[100:101], v[106:107]
	v_fma_f64 v[16:17], v[98:99], v[14:15], -v[16:17]
	v_mul_f64 v[98:99], v[98:99], v[106:107]
	v_add_f64 v[2:3], v[2:3], -v[16:17]
	v_fma_f64 v[98:99], v[100:101], v[14:15], v[98:99]
	v_mov_b32_e32 v16, v106
	v_mov_b32_e32 v17, v107
	v_add_f64 v[4:5], v[4:5], -v[98:99]
.LBB46_440:
	s_or_b32 exec_lo, exec_lo, s0
	v_lshl_add_u32 v98, v112, 4, v1
	s_barrier
	buffer_gl0_inv
	v_mov_b32_e32 v106, 21
	ds_write2_b64 v98, v[10:11], v[12:13] offset1:1
	s_waitcnt lgkmcnt(0)
	s_barrier
	buffer_gl0_inv
	ds_read2_b64 v[98:101], v1 offset0:42 offset1:43
	s_cmp_lt_i32 s18, 23
	s_cbranch_scc1 .LBB46_443
; %bb.441:
	v_add3_u32 v107, v108, 0, 0x160
	v_mov_b32_e32 v106, 21
	s_mov_b32 s1, 22
	s_inst_prefetch 0x1
	.p2align	6
.LBB46_442:                             ; =>This Inner Loop Header: Depth=1
	s_waitcnt lgkmcnt(0)
	v_cmp_gt_f64_e32 vcc_lo, 0, v[100:101]
	v_cmp_gt_f64_e64 s0, 0, v[98:99]
	ds_read2_b64 v[113:116], v107 offset1:1
	v_xor_b32_e32 v118, 0x80000000, v99
	v_xor_b32_e32 v120, 0x80000000, v101
	v_mov_b32_e32 v117, v98
	v_mov_b32_e32 v119, v100
	v_add_nc_u32_e32 v107, 16, v107
	s_waitcnt lgkmcnt(0)
	v_xor_b32_e32 v122, 0x80000000, v116
	v_cndmask_b32_e64 v118, v99, v118, s0
	v_cndmask_b32_e32 v120, v101, v120, vcc_lo
	v_cmp_gt_f64_e32 vcc_lo, 0, v[115:116]
	v_cmp_gt_f64_e64 s0, 0, v[113:114]
	v_mov_b32_e32 v121, v115
	v_add_f64 v[117:118], v[117:118], v[119:120]
	v_xor_b32_e32 v120, 0x80000000, v114
	v_mov_b32_e32 v119, v113
	v_cndmask_b32_e32 v122, v116, v122, vcc_lo
	v_cndmask_b32_e64 v120, v114, v120, s0
	v_add_f64 v[119:120], v[119:120], v[121:122]
	v_cmp_lt_f64_e32 vcc_lo, v[117:118], v[119:120]
	v_cndmask_b32_e32 v99, v99, v114, vcc_lo
	v_cndmask_b32_e32 v98, v98, v113, vcc_lo
	;; [unrolled: 1-line block ×4, first 2 shown]
	v_cndmask_b32_e64 v106, v106, s1, vcc_lo
	s_add_i32 s1, s1, 1
	s_cmp_lg_u32 s18, s1
	s_cbranch_scc1 .LBB46_442
.LBB46_443:
	s_inst_prefetch 0x2
	s_waitcnt lgkmcnt(0)
	v_cmp_eq_f64_e32 vcc_lo, 0, v[98:99]
	v_cmp_eq_f64_e64 s0, 0, v[100:101]
	s_and_b32 s0, vcc_lo, s0
	s_and_saveexec_b32 s1, s0
	s_xor_b32 s0, exec_lo, s1
; %bb.444:
	v_cmp_ne_u32_e32 vcc_lo, 0, v111
	v_cndmask_b32_e32 v111, 22, v111, vcc_lo
; %bb.445:
	s_andn2_saveexec_b32 s0, s0
	s_cbranch_execz .LBB46_451
; %bb.446:
	v_cmp_ngt_f64_e64 s1, |v[98:99]|, |v[100:101]|
	s_and_saveexec_b32 s2, s1
	s_xor_b32 s1, exec_lo, s2
	s_cbranch_execz .LBB46_448
; %bb.447:
	v_div_scale_f64 v[113:114], null, v[100:101], v[100:101], v[98:99]
	v_div_scale_f64 v[119:120], vcc_lo, v[98:99], v[100:101], v[98:99]
	v_rcp_f64_e32 v[115:116], v[113:114]
	v_fma_f64 v[117:118], -v[113:114], v[115:116], 1.0
	v_fma_f64 v[115:116], v[115:116], v[117:118], v[115:116]
	v_fma_f64 v[117:118], -v[113:114], v[115:116], 1.0
	v_fma_f64 v[115:116], v[115:116], v[117:118], v[115:116]
	v_mul_f64 v[117:118], v[119:120], v[115:116]
	v_fma_f64 v[113:114], -v[113:114], v[117:118], v[119:120]
	v_div_fmas_f64 v[113:114], v[113:114], v[115:116], v[117:118]
	v_div_fixup_f64 v[113:114], v[113:114], v[100:101], v[98:99]
	v_fma_f64 v[98:99], v[98:99], v[113:114], v[100:101]
	v_div_scale_f64 v[100:101], null, v[98:99], v[98:99], 1.0
	v_rcp_f64_e32 v[115:116], v[100:101]
	v_fma_f64 v[117:118], -v[100:101], v[115:116], 1.0
	v_fma_f64 v[115:116], v[115:116], v[117:118], v[115:116]
	v_fma_f64 v[117:118], -v[100:101], v[115:116], 1.0
	v_fma_f64 v[115:116], v[115:116], v[117:118], v[115:116]
	v_div_scale_f64 v[117:118], vcc_lo, 1.0, v[98:99], 1.0
	v_mul_f64 v[119:120], v[117:118], v[115:116]
	v_fma_f64 v[100:101], -v[100:101], v[119:120], v[117:118]
	v_div_fmas_f64 v[100:101], v[100:101], v[115:116], v[119:120]
	v_div_fixup_f64 v[100:101], v[100:101], v[98:99], 1.0
	v_mul_f64 v[98:99], v[113:114], v[100:101]
	v_xor_b32_e32 v101, 0x80000000, v101
.LBB46_448:
	s_andn2_saveexec_b32 s1, s1
	s_cbranch_execz .LBB46_450
; %bb.449:
	v_div_scale_f64 v[113:114], null, v[98:99], v[98:99], v[100:101]
	v_div_scale_f64 v[119:120], vcc_lo, v[100:101], v[98:99], v[100:101]
	v_rcp_f64_e32 v[115:116], v[113:114]
	v_fma_f64 v[117:118], -v[113:114], v[115:116], 1.0
	v_fma_f64 v[115:116], v[115:116], v[117:118], v[115:116]
	v_fma_f64 v[117:118], -v[113:114], v[115:116], 1.0
	v_fma_f64 v[115:116], v[115:116], v[117:118], v[115:116]
	v_mul_f64 v[117:118], v[119:120], v[115:116]
	v_fma_f64 v[113:114], -v[113:114], v[117:118], v[119:120]
	v_div_fmas_f64 v[113:114], v[113:114], v[115:116], v[117:118]
	v_div_fixup_f64 v[113:114], v[113:114], v[98:99], v[100:101]
	v_fma_f64 v[98:99], v[100:101], v[113:114], v[98:99]
	v_div_scale_f64 v[100:101], null, v[98:99], v[98:99], 1.0
	v_rcp_f64_e32 v[115:116], v[100:101]
	v_fma_f64 v[117:118], -v[100:101], v[115:116], 1.0
	v_fma_f64 v[115:116], v[115:116], v[117:118], v[115:116]
	v_fma_f64 v[117:118], -v[100:101], v[115:116], 1.0
	v_fma_f64 v[115:116], v[115:116], v[117:118], v[115:116]
	v_div_scale_f64 v[117:118], vcc_lo, 1.0, v[98:99], 1.0
	v_mul_f64 v[119:120], v[117:118], v[115:116]
	v_fma_f64 v[100:101], -v[100:101], v[119:120], v[117:118]
	v_div_fmas_f64 v[100:101], v[100:101], v[115:116], v[119:120]
	v_div_fixup_f64 v[98:99], v[100:101], v[98:99], 1.0
	v_mul_f64 v[100:101], v[113:114], -v[98:99]
.LBB46_450:
	s_or_b32 exec_lo, exec_lo, s1
.LBB46_451:
	s_or_b32 exec_lo, exec_lo, s0
	s_mov_b32 s0, exec_lo
	v_cmpx_ne_u32_e64 v112, v106
	s_xor_b32 s0, exec_lo, s0
	s_cbranch_execz .LBB46_457
; %bb.452:
	s_mov_b32 s1, exec_lo
	v_cmpx_eq_u32_e32 21, v112
	s_cbranch_execz .LBB46_456
; %bb.453:
	v_cmp_ne_u32_e32 vcc_lo, 21, v106
	s_xor_b32 s2, s16, -1
	s_and_b32 s3, s2, vcc_lo
	s_and_saveexec_b32 s2, s3
	s_cbranch_execz .LBB46_455
; %bb.454:
	v_ashrrev_i32_e32 v107, 31, v106
	v_lshlrev_b64 v[112:113], 2, v[106:107]
	v_add_co_u32 v112, vcc_lo, v104, v112
	v_add_co_ci_u32_e64 v113, null, v105, v113, vcc_lo
	s_clause 0x1
	global_load_dword v0, v[112:113], off
	global_load_dword v107, v[104:105], off offset:84
	s_waitcnt vmcnt(1)
	global_store_dword v[104:105], v0, off offset:84
	s_waitcnt vmcnt(0)
	global_store_dword v[112:113], v107, off
.LBB46_455:
	s_or_b32 exec_lo, exec_lo, s2
	v_mov_b32_e32 v112, v106
	v_mov_b32_e32 v0, v106
.LBB46_456:
	s_or_b32 exec_lo, exec_lo, s1
.LBB46_457:
	s_andn2_saveexec_b32 s0, s0
	s_cbranch_execz .LBB46_459
; %bb.458:
	v_mov_b32_e32 v112, 21
	ds_write2_b64 v1, v[6:7], v[8:9] offset0:44 offset1:45
	ds_write2_b64 v1, v[2:3], v[4:5] offset0:46 offset1:47
.LBB46_459:
	s_or_b32 exec_lo, exec_lo, s0
	s_mov_b32 s0, exec_lo
	s_waitcnt lgkmcnt(0)
	s_waitcnt_vscnt null, 0x0
	s_barrier
	buffer_gl0_inv
	v_cmpx_lt_i32_e32 21, v112
	s_cbranch_execz .LBB46_461
; %bb.460:
	v_mul_f64 v[106:107], v[98:99], v[12:13]
	v_mul_f64 v[12:13], v[100:101], v[12:13]
	ds_read2_b64 v[113:116], v1 offset0:44 offset1:45
	ds_read2_b64 v[117:120], v1 offset0:46 offset1:47
	v_fma_f64 v[100:101], v[100:101], v[10:11], v[106:107]
	v_fma_f64 v[10:11], v[98:99], v[10:11], -v[12:13]
	s_waitcnt lgkmcnt(1)
	v_mul_f64 v[12:13], v[115:116], v[100:101]
	v_mul_f64 v[98:99], v[113:114], v[100:101]
	s_waitcnt lgkmcnt(0)
	v_mul_f64 v[106:107], v[119:120], v[100:101]
	v_mul_f64 v[121:122], v[117:118], v[100:101]
	v_fma_f64 v[12:13], v[113:114], v[10:11], -v[12:13]
	v_fma_f64 v[98:99], v[115:116], v[10:11], v[98:99]
	v_fma_f64 v[106:107], v[117:118], v[10:11], -v[106:107]
	v_fma_f64 v[113:114], v[119:120], v[10:11], v[121:122]
	v_add_f64 v[6:7], v[6:7], -v[12:13]
	v_add_f64 v[8:9], v[8:9], -v[98:99]
	v_add_f64 v[2:3], v[2:3], -v[106:107]
	v_add_f64 v[4:5], v[4:5], -v[113:114]
	v_mov_b32_e32 v12, v100
	v_mov_b32_e32 v13, v101
.LBB46_461:
	s_or_b32 exec_lo, exec_lo, s0
	v_lshl_add_u32 v98, v112, 4, v1
	s_barrier
	buffer_gl0_inv
	v_mov_b32_e32 v106, 22
	ds_write2_b64 v98, v[6:7], v[8:9] offset1:1
	s_waitcnt lgkmcnt(0)
	s_barrier
	buffer_gl0_inv
	ds_read2_b64 v[98:101], v1 offset0:44 offset1:45
	s_cmp_lt_i32 s18, 24
	s_cbranch_scc1 .LBB46_464
; %bb.462:
	v_add3_u32 v107, v108, 0, 0x170
	v_mov_b32_e32 v106, 22
	s_mov_b32 s1, 23
	s_inst_prefetch 0x1
	.p2align	6
.LBB46_463:                             ; =>This Inner Loop Header: Depth=1
	s_waitcnt lgkmcnt(0)
	v_cmp_gt_f64_e32 vcc_lo, 0, v[100:101]
	v_cmp_gt_f64_e64 s0, 0, v[98:99]
	ds_read2_b64 v[113:116], v107 offset1:1
	v_xor_b32_e32 v118, 0x80000000, v99
	v_xor_b32_e32 v120, 0x80000000, v101
	v_mov_b32_e32 v117, v98
	v_mov_b32_e32 v119, v100
	v_add_nc_u32_e32 v107, 16, v107
	s_waitcnt lgkmcnt(0)
	v_xor_b32_e32 v122, 0x80000000, v116
	v_cndmask_b32_e64 v118, v99, v118, s0
	v_cndmask_b32_e32 v120, v101, v120, vcc_lo
	v_cmp_gt_f64_e32 vcc_lo, 0, v[115:116]
	v_cmp_gt_f64_e64 s0, 0, v[113:114]
	v_mov_b32_e32 v121, v115
	v_add_f64 v[117:118], v[117:118], v[119:120]
	v_xor_b32_e32 v120, 0x80000000, v114
	v_mov_b32_e32 v119, v113
	v_cndmask_b32_e32 v122, v116, v122, vcc_lo
	v_cndmask_b32_e64 v120, v114, v120, s0
	v_add_f64 v[119:120], v[119:120], v[121:122]
	v_cmp_lt_f64_e32 vcc_lo, v[117:118], v[119:120]
	v_cndmask_b32_e32 v99, v99, v114, vcc_lo
	v_cndmask_b32_e32 v98, v98, v113, vcc_lo
	;; [unrolled: 1-line block ×4, first 2 shown]
	v_cndmask_b32_e64 v106, v106, s1, vcc_lo
	s_add_i32 s1, s1, 1
	s_cmp_lg_u32 s18, s1
	s_cbranch_scc1 .LBB46_463
.LBB46_464:
	s_inst_prefetch 0x2
	s_waitcnt lgkmcnt(0)
	v_cmp_eq_f64_e32 vcc_lo, 0, v[98:99]
	v_cmp_eq_f64_e64 s0, 0, v[100:101]
	s_and_b32 s0, vcc_lo, s0
	s_and_saveexec_b32 s1, s0
	s_xor_b32 s0, exec_lo, s1
; %bb.465:
	v_cmp_ne_u32_e32 vcc_lo, 0, v111
	v_cndmask_b32_e32 v111, 23, v111, vcc_lo
; %bb.466:
	s_andn2_saveexec_b32 s0, s0
	s_cbranch_execz .LBB46_472
; %bb.467:
	v_cmp_ngt_f64_e64 s1, |v[98:99]|, |v[100:101]|
	s_and_saveexec_b32 s2, s1
	s_xor_b32 s1, exec_lo, s2
	s_cbranch_execz .LBB46_469
; %bb.468:
	v_div_scale_f64 v[113:114], null, v[100:101], v[100:101], v[98:99]
	v_div_scale_f64 v[119:120], vcc_lo, v[98:99], v[100:101], v[98:99]
	v_rcp_f64_e32 v[115:116], v[113:114]
	v_fma_f64 v[117:118], -v[113:114], v[115:116], 1.0
	v_fma_f64 v[115:116], v[115:116], v[117:118], v[115:116]
	v_fma_f64 v[117:118], -v[113:114], v[115:116], 1.0
	v_fma_f64 v[115:116], v[115:116], v[117:118], v[115:116]
	v_mul_f64 v[117:118], v[119:120], v[115:116]
	v_fma_f64 v[113:114], -v[113:114], v[117:118], v[119:120]
	v_div_fmas_f64 v[113:114], v[113:114], v[115:116], v[117:118]
	v_div_fixup_f64 v[113:114], v[113:114], v[100:101], v[98:99]
	v_fma_f64 v[98:99], v[98:99], v[113:114], v[100:101]
	v_div_scale_f64 v[100:101], null, v[98:99], v[98:99], 1.0
	v_rcp_f64_e32 v[115:116], v[100:101]
	v_fma_f64 v[117:118], -v[100:101], v[115:116], 1.0
	v_fma_f64 v[115:116], v[115:116], v[117:118], v[115:116]
	v_fma_f64 v[117:118], -v[100:101], v[115:116], 1.0
	v_fma_f64 v[115:116], v[115:116], v[117:118], v[115:116]
	v_div_scale_f64 v[117:118], vcc_lo, 1.0, v[98:99], 1.0
	v_mul_f64 v[119:120], v[117:118], v[115:116]
	v_fma_f64 v[100:101], -v[100:101], v[119:120], v[117:118]
	v_div_fmas_f64 v[100:101], v[100:101], v[115:116], v[119:120]
	v_div_fixup_f64 v[100:101], v[100:101], v[98:99], 1.0
	v_mul_f64 v[98:99], v[113:114], v[100:101]
	v_xor_b32_e32 v101, 0x80000000, v101
.LBB46_469:
	s_andn2_saveexec_b32 s1, s1
	s_cbranch_execz .LBB46_471
; %bb.470:
	v_div_scale_f64 v[113:114], null, v[98:99], v[98:99], v[100:101]
	v_div_scale_f64 v[119:120], vcc_lo, v[100:101], v[98:99], v[100:101]
	v_rcp_f64_e32 v[115:116], v[113:114]
	v_fma_f64 v[117:118], -v[113:114], v[115:116], 1.0
	v_fma_f64 v[115:116], v[115:116], v[117:118], v[115:116]
	v_fma_f64 v[117:118], -v[113:114], v[115:116], 1.0
	v_fma_f64 v[115:116], v[115:116], v[117:118], v[115:116]
	v_mul_f64 v[117:118], v[119:120], v[115:116]
	v_fma_f64 v[113:114], -v[113:114], v[117:118], v[119:120]
	v_div_fmas_f64 v[113:114], v[113:114], v[115:116], v[117:118]
	v_div_fixup_f64 v[113:114], v[113:114], v[98:99], v[100:101]
	v_fma_f64 v[98:99], v[100:101], v[113:114], v[98:99]
	v_div_scale_f64 v[100:101], null, v[98:99], v[98:99], 1.0
	v_rcp_f64_e32 v[115:116], v[100:101]
	v_fma_f64 v[117:118], -v[100:101], v[115:116], 1.0
	v_fma_f64 v[115:116], v[115:116], v[117:118], v[115:116]
	v_fma_f64 v[117:118], -v[100:101], v[115:116], 1.0
	v_fma_f64 v[115:116], v[115:116], v[117:118], v[115:116]
	v_div_scale_f64 v[117:118], vcc_lo, 1.0, v[98:99], 1.0
	v_mul_f64 v[119:120], v[117:118], v[115:116]
	v_fma_f64 v[100:101], -v[100:101], v[119:120], v[117:118]
	v_div_fmas_f64 v[100:101], v[100:101], v[115:116], v[119:120]
	v_div_fixup_f64 v[98:99], v[100:101], v[98:99], 1.0
	v_mul_f64 v[100:101], v[113:114], -v[98:99]
.LBB46_471:
	s_or_b32 exec_lo, exec_lo, s1
.LBB46_472:
	s_or_b32 exec_lo, exec_lo, s0
	s_mov_b32 s0, exec_lo
	v_cmpx_ne_u32_e64 v112, v106
	s_xor_b32 s0, exec_lo, s0
	s_cbranch_execz .LBB46_478
; %bb.473:
	s_mov_b32 s1, exec_lo
	v_cmpx_eq_u32_e32 22, v112
	s_cbranch_execz .LBB46_477
; %bb.474:
	v_cmp_ne_u32_e32 vcc_lo, 22, v106
	s_xor_b32 s2, s16, -1
	s_and_b32 s3, s2, vcc_lo
	s_and_saveexec_b32 s2, s3
	s_cbranch_execz .LBB46_476
; %bb.475:
	v_ashrrev_i32_e32 v107, 31, v106
	v_lshlrev_b64 v[112:113], 2, v[106:107]
	v_add_co_u32 v112, vcc_lo, v104, v112
	v_add_co_ci_u32_e64 v113, null, v105, v113, vcc_lo
	s_clause 0x1
	global_load_dword v0, v[112:113], off
	global_load_dword v107, v[104:105], off offset:88
	s_waitcnt vmcnt(1)
	global_store_dword v[104:105], v0, off offset:88
	s_waitcnt vmcnt(0)
	global_store_dword v[112:113], v107, off
.LBB46_476:
	s_or_b32 exec_lo, exec_lo, s2
	v_mov_b32_e32 v112, v106
	v_mov_b32_e32 v0, v106
.LBB46_477:
	s_or_b32 exec_lo, exec_lo, s1
.LBB46_478:
	s_andn2_saveexec_b32 s0, s0
; %bb.479:
	v_mov_b32_e32 v112, 22
	ds_write2_b64 v1, v[2:3], v[4:5] offset0:46 offset1:47
; %bb.480:
	s_or_b32 exec_lo, exec_lo, s0
	s_mov_b32 s0, exec_lo
	s_waitcnt lgkmcnt(0)
	s_waitcnt_vscnt null, 0x0
	s_barrier
	buffer_gl0_inv
	v_cmpx_lt_i32_e32 22, v112
	s_cbranch_execz .LBB46_482
; %bb.481:
	v_mul_f64 v[106:107], v[98:99], v[8:9]
	v_mul_f64 v[8:9], v[100:101], v[8:9]
	ds_read2_b64 v[113:116], v1 offset0:46 offset1:47
	v_fma_f64 v[100:101], v[100:101], v[6:7], v[106:107]
	v_fma_f64 v[6:7], v[98:99], v[6:7], -v[8:9]
	s_waitcnt lgkmcnt(0)
	v_mul_f64 v[8:9], v[115:116], v[100:101]
	v_mul_f64 v[98:99], v[113:114], v[100:101]
	v_fma_f64 v[8:9], v[113:114], v[6:7], -v[8:9]
	v_fma_f64 v[98:99], v[115:116], v[6:7], v[98:99]
	v_add_f64 v[2:3], v[2:3], -v[8:9]
	v_add_f64 v[4:5], v[4:5], -v[98:99]
	v_mov_b32_e32 v8, v100
	v_mov_b32_e32 v9, v101
.LBB46_482:
	s_or_b32 exec_lo, exec_lo, s0
	v_lshl_add_u32 v98, v112, 4, v1
	s_barrier
	buffer_gl0_inv
	v_mov_b32_e32 v106, 23
	ds_write2_b64 v98, v[2:3], v[4:5] offset1:1
	s_waitcnt lgkmcnt(0)
	s_barrier
	buffer_gl0_inv
	ds_read2_b64 v[98:101], v1 offset0:46 offset1:47
	s_cmp_lt_i32 s18, 25
	s_cbranch_scc1 .LBB46_485
; %bb.483:
	v_add3_u32 v1, v108, 0, 0x180
	v_mov_b32_e32 v106, 23
	s_mov_b32 s1, 24
	s_inst_prefetch 0x1
	.p2align	6
.LBB46_484:                             ; =>This Inner Loop Header: Depth=1
	s_waitcnt lgkmcnt(0)
	v_cmp_gt_f64_e32 vcc_lo, 0, v[100:101]
	v_cmp_gt_f64_e64 s0, 0, v[98:99]
	ds_read2_b64 v[113:116], v1 offset1:1
	v_xor_b32_e32 v108, 0x80000000, v99
	v_xor_b32_e32 v118, 0x80000000, v101
	v_mov_b32_e32 v107, v98
	v_mov_b32_e32 v117, v100
	v_add_nc_u32_e32 v1, 16, v1
	s_waitcnt lgkmcnt(0)
	v_xor_b32_e32 v120, 0x80000000, v116
	v_cndmask_b32_e64 v108, v99, v108, s0
	v_cndmask_b32_e32 v118, v101, v118, vcc_lo
	v_cmp_gt_f64_e32 vcc_lo, 0, v[115:116]
	v_cmp_gt_f64_e64 s0, 0, v[113:114]
	v_mov_b32_e32 v119, v115
	v_add_f64 v[107:108], v[107:108], v[117:118]
	v_xor_b32_e32 v118, 0x80000000, v114
	v_mov_b32_e32 v117, v113
	v_cndmask_b32_e32 v120, v116, v120, vcc_lo
	v_cndmask_b32_e64 v118, v114, v118, s0
	v_add_f64 v[117:118], v[117:118], v[119:120]
	v_cmp_lt_f64_e32 vcc_lo, v[107:108], v[117:118]
	v_cndmask_b32_e32 v99, v99, v114, vcc_lo
	v_cndmask_b32_e32 v98, v98, v113, vcc_lo
	;; [unrolled: 1-line block ×4, first 2 shown]
	v_cndmask_b32_e64 v106, v106, s1, vcc_lo
	s_add_i32 s1, s1, 1
	s_cmp_lg_u32 s18, s1
	s_cbranch_scc1 .LBB46_484
.LBB46_485:
	s_inst_prefetch 0x2
	s_waitcnt lgkmcnt(0)
	v_cmp_eq_f64_e32 vcc_lo, 0, v[98:99]
	v_cmp_eq_f64_e64 s0, 0, v[100:101]
	s_and_b32 s0, vcc_lo, s0
	s_and_saveexec_b32 s1, s0
	s_xor_b32 s0, exec_lo, s1
; %bb.486:
	v_cmp_ne_u32_e32 vcc_lo, 0, v111
	v_cndmask_b32_e32 v111, 24, v111, vcc_lo
; %bb.487:
	s_andn2_saveexec_b32 s0, s0
	s_cbranch_execz .LBB46_493
; %bb.488:
	v_cmp_ngt_f64_e64 s1, |v[98:99]|, |v[100:101]|
	s_and_saveexec_b32 s2, s1
	s_xor_b32 s1, exec_lo, s2
	s_cbranch_execz .LBB46_490
; %bb.489:
	v_div_scale_f64 v[107:108], null, v[100:101], v[100:101], v[98:99]
	v_div_scale_f64 v[117:118], vcc_lo, v[98:99], v[100:101], v[98:99]
	v_rcp_f64_e32 v[113:114], v[107:108]
	v_fma_f64 v[115:116], -v[107:108], v[113:114], 1.0
	v_fma_f64 v[113:114], v[113:114], v[115:116], v[113:114]
	v_fma_f64 v[115:116], -v[107:108], v[113:114], 1.0
	v_fma_f64 v[113:114], v[113:114], v[115:116], v[113:114]
	v_mul_f64 v[115:116], v[117:118], v[113:114]
	v_fma_f64 v[107:108], -v[107:108], v[115:116], v[117:118]
	v_div_fmas_f64 v[107:108], v[107:108], v[113:114], v[115:116]
	v_div_fixup_f64 v[107:108], v[107:108], v[100:101], v[98:99]
	v_fma_f64 v[98:99], v[98:99], v[107:108], v[100:101]
	v_div_scale_f64 v[100:101], null, v[98:99], v[98:99], 1.0
	v_rcp_f64_e32 v[113:114], v[100:101]
	v_fma_f64 v[115:116], -v[100:101], v[113:114], 1.0
	v_fma_f64 v[113:114], v[113:114], v[115:116], v[113:114]
	v_fma_f64 v[115:116], -v[100:101], v[113:114], 1.0
	v_fma_f64 v[113:114], v[113:114], v[115:116], v[113:114]
	v_div_scale_f64 v[115:116], vcc_lo, 1.0, v[98:99], 1.0
	v_mul_f64 v[117:118], v[115:116], v[113:114]
	v_fma_f64 v[100:101], -v[100:101], v[117:118], v[115:116]
	v_div_fmas_f64 v[100:101], v[100:101], v[113:114], v[117:118]
	v_div_fixup_f64 v[100:101], v[100:101], v[98:99], 1.0
	v_mul_f64 v[98:99], v[107:108], v[100:101]
	v_xor_b32_e32 v101, 0x80000000, v101
.LBB46_490:
	s_andn2_saveexec_b32 s1, s1
	s_cbranch_execz .LBB46_492
; %bb.491:
	v_div_scale_f64 v[107:108], null, v[98:99], v[98:99], v[100:101]
	v_div_scale_f64 v[117:118], vcc_lo, v[100:101], v[98:99], v[100:101]
	v_rcp_f64_e32 v[113:114], v[107:108]
	v_fma_f64 v[115:116], -v[107:108], v[113:114], 1.0
	v_fma_f64 v[113:114], v[113:114], v[115:116], v[113:114]
	v_fma_f64 v[115:116], -v[107:108], v[113:114], 1.0
	v_fma_f64 v[113:114], v[113:114], v[115:116], v[113:114]
	v_mul_f64 v[115:116], v[117:118], v[113:114]
	v_fma_f64 v[107:108], -v[107:108], v[115:116], v[117:118]
	v_div_fmas_f64 v[107:108], v[107:108], v[113:114], v[115:116]
	v_div_fixup_f64 v[107:108], v[107:108], v[98:99], v[100:101]
	v_fma_f64 v[98:99], v[100:101], v[107:108], v[98:99]
	v_div_scale_f64 v[100:101], null, v[98:99], v[98:99], 1.0
	v_rcp_f64_e32 v[113:114], v[100:101]
	v_fma_f64 v[115:116], -v[100:101], v[113:114], 1.0
	v_fma_f64 v[113:114], v[113:114], v[115:116], v[113:114]
	v_fma_f64 v[115:116], -v[100:101], v[113:114], 1.0
	v_fma_f64 v[113:114], v[113:114], v[115:116], v[113:114]
	v_div_scale_f64 v[115:116], vcc_lo, 1.0, v[98:99], 1.0
	v_mul_f64 v[117:118], v[115:116], v[113:114]
	v_fma_f64 v[100:101], -v[100:101], v[117:118], v[115:116]
	v_div_fmas_f64 v[100:101], v[100:101], v[113:114], v[117:118]
	v_div_fixup_f64 v[98:99], v[100:101], v[98:99], 1.0
	v_mul_f64 v[100:101], v[107:108], -v[98:99]
.LBB46_492:
	s_or_b32 exec_lo, exec_lo, s1
.LBB46_493:
	s_or_b32 exec_lo, exec_lo, s0
	v_mov_b32_e32 v107, 23
	s_mov_b32 s0, exec_lo
	v_cmpx_ne_u32_e64 v112, v106
	s_cbranch_execz .LBB46_499
; %bb.494:
	s_mov_b32 s1, exec_lo
	v_cmpx_eq_u32_e32 23, v112
	s_cbranch_execz .LBB46_498
; %bb.495:
	v_cmp_ne_u32_e32 vcc_lo, 23, v106
	s_xor_b32 s2, s16, -1
	s_and_b32 s3, s2, vcc_lo
	s_and_saveexec_b32 s2, s3
	s_cbranch_execz .LBB46_497
; %bb.496:
	v_ashrrev_i32_e32 v107, 31, v106
	v_lshlrev_b64 v[0:1], 2, v[106:107]
	v_add_co_u32 v0, vcc_lo, v104, v0
	v_add_co_ci_u32_e64 v1, null, v105, v1, vcc_lo
	s_clause 0x1
	global_load_dword v107, v[0:1], off
	global_load_dword v108, v[104:105], off offset:92
	s_waitcnt vmcnt(1)
	global_store_dword v[104:105], v107, off offset:92
	s_waitcnt vmcnt(0)
	global_store_dword v[0:1], v108, off
.LBB46_497:
	s_or_b32 exec_lo, exec_lo, s2
	v_mov_b32_e32 v112, v106
	v_mov_b32_e32 v0, v106
.LBB46_498:
	s_or_b32 exec_lo, exec_lo, s1
	v_mov_b32_e32 v107, v112
.LBB46_499:
	s_or_b32 exec_lo, exec_lo, s0
	s_mov_b32 s0, exec_lo
	s_waitcnt_vscnt null, 0x0
	s_barrier
	buffer_gl0_inv
	v_cmpx_lt_i32_e32 23, v107
	s_cbranch_execz .LBB46_501
; %bb.500:
	v_mul_f64 v[104:105], v[100:101], v[4:5]
	v_mul_f64 v[4:5], v[98:99], v[4:5]
	v_fma_f64 v[98:99], v[98:99], v[2:3], -v[104:105]
	v_fma_f64 v[4:5], v[100:101], v[2:3], v[4:5]
	v_mov_b32_e32 v2, v98
	v_mov_b32_e32 v3, v99
.LBB46_501:
	s_or_b32 exec_lo, exec_lo, s0
	v_ashrrev_i32_e32 v108, 31, v107
	s_mov_b32 s0, exec_lo
	s_barrier
	buffer_gl0_inv
	v_cmpx_gt_i32_e32 24, v107
	s_cbranch_execz .LBB46_503
; %bb.502:
	v_mul_lo_u32 v1, s15, v102
	v_mul_lo_u32 v100, s14, v103
	v_mad_u64_u32 v[98:99], null, s14, v102, 0
	s_lshl_b64 s[2:3], s[12:13], 2
	v_add3_u32 v0, v0, s17, 1
	v_add3_u32 v99, v99, v100, v1
	v_lshlrev_b64 v[98:99], 2, v[98:99]
	v_add_co_u32 v1, vcc_lo, s10, v98
	v_add_co_ci_u32_e64 v100, null, s11, v99, vcc_lo
	v_lshlrev_b64 v[98:99], 2, v[107:108]
	v_add_co_u32 v1, vcc_lo, v1, s2
	v_add_co_ci_u32_e64 v100, null, s3, v100, vcc_lo
	v_add_co_u32 v98, vcc_lo, v1, v98
	v_add_co_ci_u32_e64 v99, null, v100, v99, vcc_lo
	global_store_dword v[98:99], v0, off
.LBB46_503:
	s_or_b32 exec_lo, exec_lo, s0
	s_mov_b32 s1, exec_lo
	v_cmpx_eq_u32_e32 0, v107
	s_cbranch_execz .LBB46_506
; %bb.504:
	v_lshlrev_b64 v[0:1], 2, v[102:103]
	v_cmp_ne_u32_e64 s0, 0, v111
	v_add_co_u32 v0, vcc_lo, s4, v0
	v_add_co_ci_u32_e64 v1, null, s5, v1, vcc_lo
	global_load_dword v98, v[0:1], off
	s_waitcnt vmcnt(0)
	v_cmp_eq_u32_e32 vcc_lo, 0, v98
	s_and_b32 s0, vcc_lo, s0
	s_and_b32 exec_lo, exec_lo, s0
	s_cbranch_execz .LBB46_506
; %bb.505:
	v_add_nc_u32_e32 v98, s17, v111
	global_store_dword v[0:1], v98, off
.LBB46_506:
	s_or_b32 exec_lo, exec_lo, s1
	v_lshlrev_b64 v[98:99], 4, v[107:108]
	v_add3_u32 v0, s6, s6, v107
	v_add_nc_u32_e32 v100, s6, v0
	v_add_co_u32 v98, vcc_lo, v109, v98
	v_add_co_ci_u32_e64 v99, null, v110, v99, vcc_lo
	v_ashrrev_i32_e32 v1, 31, v0
	v_add_co_u32 v102, vcc_lo, v98, s8
	v_add_co_ci_u32_e64 v103, null, s9, v99, vcc_lo
	global_store_dwordx4 v[98:99], v[70:73], off
	v_add_nc_u32_e32 v72, s6, v100
	v_ashrrev_i32_e32 v101, 31, v100
	v_lshlrev_b64 v[0:1], 4, v[0:1]
	global_store_dwordx4 v[102:103], v[94:97], off
	v_add_nc_u32_e32 v94, s6, v72
	v_lshlrev_b64 v[70:71], 4, v[100:101]
	v_ashrrev_i32_e32 v73, 31, v72
	v_add_co_u32 v0, vcc_lo, v109, v0
	v_add_nc_u32_e32 v96, s6, v94
	v_add_co_ci_u32_e64 v1, null, v110, v1, vcc_lo
	v_add_co_u32 v70, vcc_lo, v109, v70
	v_lshlrev_b64 v[72:73], 4, v[72:73]
	v_ashrrev_i32_e32 v95, 31, v94
	v_add_co_ci_u32_e64 v71, null, v110, v71, vcc_lo
	v_ashrrev_i32_e32 v97, 31, v96
	global_store_dwordx4 v[0:1], v[90:93], off
	global_store_dwordx4 v[70:71], v[86:89], off
	v_lshlrev_b64 v[0:1], 4, v[94:95]
	v_add_co_u32 v70, vcc_lo, v109, v72
	v_add_co_ci_u32_e64 v71, null, v110, v73, vcc_lo
	v_lshlrev_b64 v[72:73], 4, v[96:97]
	v_add_nc_u32_e32 v86, s6, v96
	v_add_co_u32 v0, vcc_lo, v109, v0
	v_add_co_ci_u32_e64 v1, null, v110, v1, vcc_lo
	v_add_co_u32 v72, vcc_lo, v109, v72
	v_add_nc_u32_e32 v88, s6, v86
	v_add_co_ci_u32_e64 v73, null, v110, v73, vcc_lo
	v_ashrrev_i32_e32 v87, 31, v86
	global_store_dwordx4 v[70:71], v[82:85], off
	global_store_dwordx4 v[0:1], v[78:81], off
	;; [unrolled: 1-line block ×3, first 2 shown]
	v_add_nc_u32_e32 v72, s6, v88
	v_ashrrev_i32_e32 v89, 31, v88
	v_lshlrev_b64 v[70:71], 4, v[86:87]
	v_add_nc_u32_e32 v74, s6, v72
	v_lshlrev_b64 v[0:1], 4, v[88:89]
	v_ashrrev_i32_e32 v73, 31, v72
	v_add_co_u32 v70, vcc_lo, v109, v70
	v_add_nc_u32_e32 v76, s6, v74
	v_add_co_ci_u32_e64 v71, null, v110, v71, vcc_lo
	v_add_co_u32 v0, vcc_lo, v109, v0
	v_ashrrev_i32_e32 v75, 31, v74
	v_add_co_ci_u32_e64 v1, null, v110, v1, vcc_lo
	v_ashrrev_i32_e32 v77, 31, v76
	v_lshlrev_b64 v[72:73], 4, v[72:73]
	global_store_dwordx4 v[70:71], v[66:69], off
	global_store_dwordx4 v[0:1], v[62:65], off
	v_lshlrev_b64 v[0:1], 4, v[74:75]
	v_add_nc_u32_e32 v66, s6, v76
	v_lshlrev_b64 v[64:65], 4, v[76:77]
	v_add_co_u32 v62, vcc_lo, v109, v72
	v_add_co_ci_u32_e64 v63, null, v110, v73, vcc_lo
	v_add_co_u32 v0, vcc_lo, v109, v0
	v_add_co_ci_u32_e64 v1, null, v110, v1, vcc_lo
	v_add_co_u32 v64, vcc_lo, v109, v64
	v_add_nc_u32_e32 v68, s6, v66
	v_add_co_ci_u32_e64 v65, null, v110, v65, vcc_lo
	v_ashrrev_i32_e32 v67, 31, v66
	global_store_dwordx4 v[62:63], v[58:61], off
	global_store_dwordx4 v[0:1], v[54:57], off
	;; [unrolled: 1-line block ×3, first 2 shown]
	v_add_nc_u32_e32 v50, s6, v68
	v_ashrrev_i32_e32 v69, 31, v68
	v_lshlrev_b64 v[58:59], 4, v[66:67]
	v_add_nc_u32_e32 v54, s6, v50
	v_lshlrev_b64 v[0:1], 4, v[68:69]
	v_ashrrev_i32_e32 v51, 31, v50
	v_add_co_u32 v52, vcc_lo, v109, v58
	v_add_nc_u32_e32 v56, s6, v54
	v_add_co_ci_u32_e64 v53, null, v110, v59, vcc_lo
	v_add_co_u32 v0, vcc_lo, v109, v0
	v_ashrrev_i32_e32 v55, 31, v54
	v_add_co_ci_u32_e64 v1, null, v110, v1, vcc_lo
	v_ashrrev_i32_e32 v57, 31, v56
	v_lshlrev_b64 v[50:51], 4, v[50:51]
	global_store_dwordx4 v[52:53], v[46:49], off
	global_store_dwordx4 v[0:1], v[42:45], off
	v_lshlrev_b64 v[0:1], 4, v[54:55]
	v_add_nc_u32_e32 v46, s6, v56
	v_lshlrev_b64 v[44:45], 4, v[56:57]
	v_add_co_u32 v42, vcc_lo, v109, v50
	v_add_co_ci_u32_e64 v43, null, v110, v51, vcc_lo
	v_add_co_u32 v0, vcc_lo, v109, v0
	v_add_nc_u32_e32 v48, s6, v46
	v_add_co_ci_u32_e64 v1, null, v110, v1, vcc_lo
	v_add_co_u32 v44, vcc_lo, v109, v44
	v_ashrrev_i32_e32 v47, 31, v46
	v_add_co_ci_u32_e64 v45, null, v110, v45, vcc_lo
	v_ashrrev_i32_e32 v49, 31, v48
	global_store_dwordx4 v[42:43], v[38:41], off
	v_lshlrev_b64 v[38:39], 4, v[46:47]
	global_store_dwordx4 v[0:1], v[34:37], off
	global_store_dwordx4 v[44:45], v[30:33], off
	v_add_nc_u32_e32 v30, s6, v48
	v_lshlrev_b64 v[0:1], 4, v[48:49]
	v_add_co_u32 v32, vcc_lo, v109, v38
	v_add_nc_u32_e32 v34, s6, v30
	v_add_co_ci_u32_e64 v33, null, v110, v39, vcc_lo
	v_add_co_u32 v0, vcc_lo, v109, v0
	v_add_co_ci_u32_e64 v1, null, v110, v1, vcc_lo
	v_add_nc_u32_e32 v36, s6, v34
	v_ashrrev_i32_e32 v31, 31, v30
	global_store_dwordx4 v[32:33], v[26:29], off
	global_store_dwordx4 v[0:1], v[22:25], off
	v_ashrrev_i32_e32 v35, 31, v34
	v_add_nc_u32_e32 v22, s6, v36
	v_lshlrev_b64 v[26:27], 4, v[30:31]
	v_ashrrev_i32_e32 v37, 31, v36
	v_lshlrev_b64 v[0:1], 4, v[34:35]
	v_add_nc_u32_e32 v28, s6, v22
	v_ashrrev_i32_e32 v23, 31, v22
	v_add_co_u32 v24, vcc_lo, v109, v26
	v_add_co_ci_u32_e64 v25, null, v110, v27, vcc_lo
	v_ashrrev_i32_e32 v29, 31, v28
	v_lshlrev_b64 v[26:27], 4, v[36:37]
	v_lshlrev_b64 v[22:23], 4, v[22:23]
	v_add_co_u32 v0, vcc_lo, v109, v0
	v_lshlrev_b64 v[28:29], 4, v[28:29]
	v_add_co_ci_u32_e64 v1, null, v110, v1, vcc_lo
	v_add_co_u32 v26, vcc_lo, v109, v26
	v_add_co_ci_u32_e64 v27, null, v110, v27, vcc_lo
	v_add_co_u32 v22, vcc_lo, v109, v22
	v_add_co_ci_u32_e64 v23, null, v110, v23, vcc_lo
	v_add_co_u32 v28, vcc_lo, v109, v28
	v_add_co_ci_u32_e64 v29, null, v110, v29, vcc_lo
	global_store_dwordx4 v[24:25], v[18:21], off
	global_store_dwordx4 v[0:1], v[14:17], off
	;; [unrolled: 1-line block ×5, first 2 shown]
.LBB46_507:
	s_endpgm
	.section	.rodata,"a",@progbits
	.p2align	6, 0x0
	.amdhsa_kernel _ZN9rocsolver6v33100L18getf2_small_kernelILi24E19rocblas_complex_numIdEiiPS3_EEvT1_T3_lS5_lPS5_llPT2_S5_S5_S7_l
		.amdhsa_group_segment_fixed_size 0
		.amdhsa_private_segment_fixed_size 0
		.amdhsa_kernarg_size 352
		.amdhsa_user_sgpr_count 6
		.amdhsa_user_sgpr_private_segment_buffer 1
		.amdhsa_user_sgpr_dispatch_ptr 0
		.amdhsa_user_sgpr_queue_ptr 0
		.amdhsa_user_sgpr_kernarg_segment_ptr 1
		.amdhsa_user_sgpr_dispatch_id 0
		.amdhsa_user_sgpr_flat_scratch_init 0
		.amdhsa_user_sgpr_private_segment_size 0
		.amdhsa_wavefront_size32 1
		.amdhsa_uses_dynamic_stack 0
		.amdhsa_system_sgpr_private_segment_wavefront_offset 0
		.amdhsa_system_sgpr_workgroup_id_x 1
		.amdhsa_system_sgpr_workgroup_id_y 1
		.amdhsa_system_sgpr_workgroup_id_z 0
		.amdhsa_system_sgpr_workgroup_info 0
		.amdhsa_system_vgpr_workitem_id 1
		.amdhsa_next_free_vgpr 124
		.amdhsa_next_free_sgpr 19
		.amdhsa_reserve_vcc 1
		.amdhsa_reserve_flat_scratch 0
		.amdhsa_float_round_mode_32 0
		.amdhsa_float_round_mode_16_64 0
		.amdhsa_float_denorm_mode_32 3
		.amdhsa_float_denorm_mode_16_64 3
		.amdhsa_dx10_clamp 1
		.amdhsa_ieee_mode 1
		.amdhsa_fp16_overflow 0
		.amdhsa_workgroup_processor_mode 1
		.amdhsa_memory_ordered 1
		.amdhsa_forward_progress 1
		.amdhsa_shared_vgpr_count 0
		.amdhsa_exception_fp_ieee_invalid_op 0
		.amdhsa_exception_fp_denorm_src 0
		.amdhsa_exception_fp_ieee_div_zero 0
		.amdhsa_exception_fp_ieee_overflow 0
		.amdhsa_exception_fp_ieee_underflow 0
		.amdhsa_exception_fp_ieee_inexact 0
		.amdhsa_exception_int_div_zero 0
	.end_amdhsa_kernel
	.section	.text._ZN9rocsolver6v33100L18getf2_small_kernelILi24E19rocblas_complex_numIdEiiPS3_EEvT1_T3_lS5_lPS5_llPT2_S5_S5_S7_l,"axG",@progbits,_ZN9rocsolver6v33100L18getf2_small_kernelILi24E19rocblas_complex_numIdEiiPS3_EEvT1_T3_lS5_lPS5_llPT2_S5_S5_S7_l,comdat
.Lfunc_end46:
	.size	_ZN9rocsolver6v33100L18getf2_small_kernelILi24E19rocblas_complex_numIdEiiPS3_EEvT1_T3_lS5_lPS5_llPT2_S5_S5_S7_l, .Lfunc_end46-_ZN9rocsolver6v33100L18getf2_small_kernelILi24E19rocblas_complex_numIdEiiPS3_EEvT1_T3_lS5_lPS5_llPT2_S5_S5_S7_l
                                        ; -- End function
	.set _ZN9rocsolver6v33100L18getf2_small_kernelILi24E19rocblas_complex_numIdEiiPS3_EEvT1_T3_lS5_lPS5_llPT2_S5_S5_S7_l.num_vgpr, 124
	.set _ZN9rocsolver6v33100L18getf2_small_kernelILi24E19rocblas_complex_numIdEiiPS3_EEvT1_T3_lS5_lPS5_llPT2_S5_S5_S7_l.num_agpr, 0
	.set _ZN9rocsolver6v33100L18getf2_small_kernelILi24E19rocblas_complex_numIdEiiPS3_EEvT1_T3_lS5_lPS5_llPT2_S5_S5_S7_l.numbered_sgpr, 19
	.set _ZN9rocsolver6v33100L18getf2_small_kernelILi24E19rocblas_complex_numIdEiiPS3_EEvT1_T3_lS5_lPS5_llPT2_S5_S5_S7_l.num_named_barrier, 0
	.set _ZN9rocsolver6v33100L18getf2_small_kernelILi24E19rocblas_complex_numIdEiiPS3_EEvT1_T3_lS5_lPS5_llPT2_S5_S5_S7_l.private_seg_size, 0
	.set _ZN9rocsolver6v33100L18getf2_small_kernelILi24E19rocblas_complex_numIdEiiPS3_EEvT1_T3_lS5_lPS5_llPT2_S5_S5_S7_l.uses_vcc, 1
	.set _ZN9rocsolver6v33100L18getf2_small_kernelILi24E19rocblas_complex_numIdEiiPS3_EEvT1_T3_lS5_lPS5_llPT2_S5_S5_S7_l.uses_flat_scratch, 0
	.set _ZN9rocsolver6v33100L18getf2_small_kernelILi24E19rocblas_complex_numIdEiiPS3_EEvT1_T3_lS5_lPS5_llPT2_S5_S5_S7_l.has_dyn_sized_stack, 0
	.set _ZN9rocsolver6v33100L18getf2_small_kernelILi24E19rocblas_complex_numIdEiiPS3_EEvT1_T3_lS5_lPS5_llPT2_S5_S5_S7_l.has_recursion, 0
	.set _ZN9rocsolver6v33100L18getf2_small_kernelILi24E19rocblas_complex_numIdEiiPS3_EEvT1_T3_lS5_lPS5_llPT2_S5_S5_S7_l.has_indirect_call, 0
	.section	.AMDGPU.csdata,"",@progbits
; Kernel info:
; codeLenInByte = 44720
; TotalNumSgprs: 21
; NumVgprs: 124
; ScratchSize: 0
; MemoryBound: 0
; FloatMode: 240
; IeeeMode: 1
; LDSByteSize: 0 bytes/workgroup (compile time only)
; SGPRBlocks: 0
; VGPRBlocks: 15
; NumSGPRsForWavesPerEU: 21
; NumVGPRsForWavesPerEU: 124
; Occupancy: 8
; WaveLimiterHint : 0
; COMPUTE_PGM_RSRC2:SCRATCH_EN: 0
; COMPUTE_PGM_RSRC2:USER_SGPR: 6
; COMPUTE_PGM_RSRC2:TRAP_HANDLER: 0
; COMPUTE_PGM_RSRC2:TGID_X_EN: 1
; COMPUTE_PGM_RSRC2:TGID_Y_EN: 1
; COMPUTE_PGM_RSRC2:TGID_Z_EN: 0
; COMPUTE_PGM_RSRC2:TIDIG_COMP_CNT: 1
	.section	.text._ZN9rocsolver6v33100L23getf2_npvt_small_kernelILi24E19rocblas_complex_numIdEiiPS3_EEvT1_T3_lS5_lPT2_S5_S5_,"axG",@progbits,_ZN9rocsolver6v33100L23getf2_npvt_small_kernelILi24E19rocblas_complex_numIdEiiPS3_EEvT1_T3_lS5_lPT2_S5_S5_,comdat
	.globl	_ZN9rocsolver6v33100L23getf2_npvt_small_kernelILi24E19rocblas_complex_numIdEiiPS3_EEvT1_T3_lS5_lPT2_S5_S5_ ; -- Begin function _ZN9rocsolver6v33100L23getf2_npvt_small_kernelILi24E19rocblas_complex_numIdEiiPS3_EEvT1_T3_lS5_lPT2_S5_S5_
	.p2align	8
	.type	_ZN9rocsolver6v33100L23getf2_npvt_small_kernelILi24E19rocblas_complex_numIdEiiPS3_EEvT1_T3_lS5_lPT2_S5_S5_,@function
_ZN9rocsolver6v33100L23getf2_npvt_small_kernelILi24E19rocblas_complex_numIdEiiPS3_EEvT1_T3_lS5_lPT2_S5_S5_: ; @_ZN9rocsolver6v33100L23getf2_npvt_small_kernelILi24E19rocblas_complex_numIdEiiPS3_EEvT1_T3_lS5_lPT2_S5_S5_
; %bb.0:
	s_clause 0x1
	s_load_dword s0, s[4:5], 0x44
	s_load_dwordx2 s[12:13], s[4:5], 0x30
	s_waitcnt lgkmcnt(0)
	s_lshr_b32 s14, s0, 16
	s_mov_b32 s0, exec_lo
	v_mad_u64_u32 v[226:227], null, s7, s14, v[1:2]
	v_cmpx_gt_i32_e64 s12, v226
	s_cbranch_execz .LBB47_221
; %bb.1:
	s_clause 0x2
	s_load_dwordx4 s[8:11], s[4:5], 0x20
	s_load_dword s6, s[4:5], 0x18
	s_load_dwordx4 s[0:3], s[4:5], 0x8
	v_ashrrev_i32_e32 v227, 31, v226
	v_lshlrev_b32_e32 v13, 4, v0
	v_lshlrev_b32_e32 v98, 4, v1
	s_mulk_i32 s14, 0x180
	v_mad_u32_u24 v244, 0x180, v1, 0
	v_add3_u32 v1, 0, s14, v98
	s_waitcnt lgkmcnt(0)
	v_mul_lo_u32 v5, s9, v226
	v_mul_lo_u32 v7, s8, v227
	v_mad_u64_u32 v[2:3], null, s8, v226, 0
	v_add3_u32 v4, s6, s6, v0
	s_lshl_b64 s[2:3], s[2:3], 4
	s_ashr_i32 s7, s6, 31
	s_lshl_b64 s[4:5], s[6:7], 4
	v_add_nc_u32_e32 v6, s6, v4
	v_add3_u32 v3, v3, v7, v5
	v_ashrrev_i32_e32 v5, 31, v4
	v_add_nc_u32_e32 v8, s6, v6
	v_lshlrev_b64 v[2:3], 4, v[2:3]
	v_ashrrev_i32_e32 v7, 31, v6
	v_lshlrev_b64 v[4:5], 4, v[4:5]
	v_ashrrev_i32_e32 v9, 31, v8
	v_add_nc_u32_e32 v10, s6, v8
	v_add_co_u32 v12, vcc_lo, s0, v2
	v_add_co_ci_u32_e64 v14, null, s1, v3, vcc_lo
	v_lshlrev_b64 v[6:7], 4, v[6:7]
	v_add_co_u32 v15, vcc_lo, v12, s2
	v_add_co_ci_u32_e64 v14, null, s3, v14, vcc_lo
	v_lshlrev_b64 v[2:3], 4, v[8:9]
	v_add_nc_u32_e32 v8, s6, v10
	v_add_co_u32 v200, vcc_lo, v15, v13
	v_add_co_ci_u32_e64 v201, null, 0, v14, vcc_lo
	v_add_co_u32 v198, vcc_lo, v15, v4
	v_ashrrev_i32_e32 v11, 31, v10
	v_add_nc_u32_e32 v12, s6, v8
	v_add_co_ci_u32_e64 v199, null, v14, v5, vcc_lo
	v_add_co_u32 v196, vcc_lo, v15, v6
	v_ashrrev_i32_e32 v9, 31, v8
	v_add_co_ci_u32_e64 v197, null, v14, v7, vcc_lo
	v_add_co_u32 v202, vcc_lo, v200, s4
	v_lshlrev_b64 v[10:11], 4, v[10:11]
	v_add_co_ci_u32_e64 v203, null, s5, v201, vcc_lo
	v_add_co_u32 v194, vcc_lo, v15, v2
	v_add_nc_u32_e32 v4, s6, v12
	v_add_co_ci_u32_e64 v195, null, v14, v3, vcc_lo
	v_lshlrev_b64 v[2:3], 4, v[8:9]
	v_ashrrev_i32_e32 v13, 31, v12
	v_ashrrev_i32_e32 v5, 31, v4
	v_add_nc_u32_e32 v8, s6, v4
	v_add_co_u32 v204, vcc_lo, v15, v10
	v_lshlrev_b64 v[6:7], 4, v[12:13]
	v_add_co_ci_u32_e64 v205, null, v14, v11, vcc_lo
	v_add_co_u32 v206, vcc_lo, v15, v2
	v_add_co_ci_u32_e64 v207, null, v14, v3, vcc_lo
	v_lshlrev_b64 v[2:3], 4, v[4:5]
	v_ashrrev_i32_e32 v9, 31, v8
	v_add_nc_u32_e32 v4, s6, v8
	v_add_co_u32 v208, vcc_lo, v15, v6
	v_add_co_ci_u32_e64 v209, null, v14, v7, vcc_lo
	v_lshlrev_b64 v[6:7], 4, v[8:9]
	v_ashrrev_i32_e32 v5, 31, v4
	v_add_nc_u32_e32 v8, s6, v4
	;; [unrolled: 5-line block ×13, first 2 shown]
	v_add_co_u32 v234, vcc_lo, v15, v6
	v_add_co_ci_u32_e64 v235, null, v14, v7, vcc_lo
	v_lshlrev_b64 v[6:7], 4, v[8:9]
	v_add_nc_u32_e32 v8, s6, v4
	v_ashrrev_i32_e32 v5, 31, v4
	v_add_co_u32 v240, vcc_lo, v15, v2
	v_add_co_ci_u32_e64 v241, null, v14, v3, vcc_lo
	v_ashrrev_i32_e32 v9, 31, v8
	v_lshlrev_b64 v[2:3], 4, v[4:5]
	v_add_co_u32 v236, vcc_lo, v15, v6
	v_add_co_ci_u32_e64 v237, null, v14, v7, vcc_lo
	v_lshlrev_b64 v[4:5], 4, v[8:9]
	v_add_co_u32 v238, vcc_lo, v15, v2
	v_add_co_ci_u32_e64 v239, null, v14, v3, vcc_lo
	v_cmp_ne_u32_e64 s1, 0, v0
	v_add_co_u32 v242, vcc_lo, v15, v4
	v_add_co_ci_u32_e64 v243, null, v14, v5, vcc_lo
	s_clause 0x17
	global_load_dwordx4 v[94:97], v[200:201], off
	global_load_dwordx4 v[90:93], v[202:203], off
	;; [unrolled: 1-line block ×24, first 2 shown]
	v_cmp_eq_u32_e64 s0, 0, v0
	s_and_saveexec_b32 s3, s0
	s_cbranch_execz .LBB47_8
; %bb.2:
	s_waitcnt vmcnt(23)
	ds_write2_b64 v1, v[94:95], v[96:97] offset1:1
	s_waitcnt vmcnt(22)
	ds_write2_b64 v244, v[90:91], v[92:93] offset0:2 offset1:3
	s_waitcnt vmcnt(21)
	ds_write2_b64 v244, v[86:87], v[88:89] offset0:4 offset1:5
	s_waitcnt vmcnt(20)
	ds_write2_b64 v244, v[82:83], v[84:85] offset0:6 offset1:7
	s_waitcnt vmcnt(19)
	ds_write2_b64 v244, v[78:79], v[80:81] offset0:8 offset1:9
	s_waitcnt vmcnt(18)
	ds_write2_b64 v244, v[74:75], v[76:77] offset0:10 offset1:11
	s_waitcnt vmcnt(17)
	ds_write2_b64 v244, v[70:71], v[72:73] offset0:12 offset1:13
	s_waitcnt vmcnt(16)
	ds_write2_b64 v244, v[66:67], v[68:69] offset0:14 offset1:15
	s_waitcnt vmcnt(15)
	ds_write2_b64 v244, v[62:63], v[64:65] offset0:16 offset1:17
	s_waitcnt vmcnt(14)
	ds_write2_b64 v244, v[58:59], v[60:61] offset0:18 offset1:19
	s_waitcnt vmcnt(13)
	ds_write2_b64 v244, v[54:55], v[56:57] offset0:20 offset1:21
	s_waitcnt vmcnt(12)
	ds_write2_b64 v244, v[50:51], v[52:53] offset0:22 offset1:23
	s_waitcnt vmcnt(11)
	ds_write2_b64 v244, v[46:47], v[48:49] offset0:24 offset1:25
	s_waitcnt vmcnt(10)
	ds_write2_b64 v244, v[42:43], v[44:45] offset0:26 offset1:27
	s_waitcnt vmcnt(9)
	ds_write2_b64 v244, v[38:39], v[40:41] offset0:28 offset1:29
	s_waitcnt vmcnt(8)
	ds_write2_b64 v244, v[34:35], v[36:37] offset0:30 offset1:31
	s_waitcnt vmcnt(7)
	ds_write2_b64 v244, v[30:31], v[32:33] offset0:32 offset1:33
	s_waitcnt vmcnt(6)
	ds_write2_b64 v244, v[26:27], v[28:29] offset0:34 offset1:35
	s_waitcnt vmcnt(5)
	ds_write2_b64 v244, v[22:23], v[24:25] offset0:36 offset1:37
	s_waitcnt vmcnt(4)
	ds_write2_b64 v244, v[18:19], v[20:21] offset0:38 offset1:39
	s_waitcnt vmcnt(3)
	ds_write2_b64 v244, v[14:15], v[16:17] offset0:40 offset1:41
	s_waitcnt vmcnt(2)
	ds_write2_b64 v244, v[10:11], v[12:13] offset0:42 offset1:43
	s_waitcnt vmcnt(1)
	ds_write2_b64 v244, v[6:7], v[8:9] offset0:44 offset1:45
	s_waitcnt vmcnt(0)
	ds_write2_b64 v244, v[2:3], v[4:5] offset0:46 offset1:47
	ds_read2_b64 v[98:101], v1 offset1:1
	s_waitcnt lgkmcnt(0)
	v_cmp_neq_f64_e32 vcc_lo, 0, v[98:99]
	v_cmp_neq_f64_e64 s2, 0, v[100:101]
	s_or_b32 s2, vcc_lo, s2
	s_and_b32 exec_lo, exec_lo, s2
	s_cbranch_execz .LBB47_8
; %bb.3:
	v_cmp_ngt_f64_e64 s2, |v[98:99]|, |v[100:101]|
                                        ; implicit-def: $vgpr102_vgpr103
	s_and_saveexec_b32 s4, s2
	s_xor_b32 s2, exec_lo, s4
                                        ; implicit-def: $vgpr104_vgpr105
	s_cbranch_execz .LBB47_5
; %bb.4:
	v_div_scale_f64 v[102:103], null, v[100:101], v[100:101], v[98:99]
	v_div_scale_f64 v[108:109], vcc_lo, v[98:99], v[100:101], v[98:99]
	v_rcp_f64_e32 v[104:105], v[102:103]
	v_fma_f64 v[106:107], -v[102:103], v[104:105], 1.0
	v_fma_f64 v[104:105], v[104:105], v[106:107], v[104:105]
	v_fma_f64 v[106:107], -v[102:103], v[104:105], 1.0
	v_fma_f64 v[104:105], v[104:105], v[106:107], v[104:105]
	v_mul_f64 v[106:107], v[108:109], v[104:105]
	v_fma_f64 v[102:103], -v[102:103], v[106:107], v[108:109]
	v_div_fmas_f64 v[102:103], v[102:103], v[104:105], v[106:107]
	v_div_fixup_f64 v[102:103], v[102:103], v[100:101], v[98:99]
	v_fma_f64 v[98:99], v[98:99], v[102:103], v[100:101]
	v_div_scale_f64 v[100:101], null, v[98:99], v[98:99], 1.0
	v_rcp_f64_e32 v[104:105], v[100:101]
	v_fma_f64 v[106:107], -v[100:101], v[104:105], 1.0
	v_fma_f64 v[104:105], v[104:105], v[106:107], v[104:105]
	v_fma_f64 v[106:107], -v[100:101], v[104:105], 1.0
	v_fma_f64 v[104:105], v[104:105], v[106:107], v[104:105]
	v_div_scale_f64 v[106:107], vcc_lo, 1.0, v[98:99], 1.0
	v_mul_f64 v[108:109], v[106:107], v[104:105]
	v_fma_f64 v[100:101], -v[100:101], v[108:109], v[106:107]
	v_div_fmas_f64 v[100:101], v[100:101], v[104:105], v[108:109]
	v_div_fixup_f64 v[104:105], v[100:101], v[98:99], 1.0
                                        ; implicit-def: $vgpr98_vgpr99
	v_mul_f64 v[102:103], v[102:103], v[104:105]
	v_xor_b32_e32 v105, 0x80000000, v105
.LBB47_5:
	s_andn2_saveexec_b32 s2, s2
	s_cbranch_execz .LBB47_7
; %bb.6:
	v_div_scale_f64 v[102:103], null, v[98:99], v[98:99], v[100:101]
	v_div_scale_f64 v[108:109], vcc_lo, v[100:101], v[98:99], v[100:101]
	v_rcp_f64_e32 v[104:105], v[102:103]
	v_fma_f64 v[106:107], -v[102:103], v[104:105], 1.0
	v_fma_f64 v[104:105], v[104:105], v[106:107], v[104:105]
	v_fma_f64 v[106:107], -v[102:103], v[104:105], 1.0
	v_fma_f64 v[104:105], v[104:105], v[106:107], v[104:105]
	v_mul_f64 v[106:107], v[108:109], v[104:105]
	v_fma_f64 v[102:103], -v[102:103], v[106:107], v[108:109]
	v_div_fmas_f64 v[102:103], v[102:103], v[104:105], v[106:107]
	v_div_fixup_f64 v[104:105], v[102:103], v[98:99], v[100:101]
	v_fma_f64 v[98:99], v[100:101], v[104:105], v[98:99]
	v_div_scale_f64 v[100:101], null, v[98:99], v[98:99], 1.0
	v_rcp_f64_e32 v[102:103], v[100:101]
	v_fma_f64 v[106:107], -v[100:101], v[102:103], 1.0
	v_fma_f64 v[102:103], v[102:103], v[106:107], v[102:103]
	v_fma_f64 v[106:107], -v[100:101], v[102:103], 1.0
	v_fma_f64 v[102:103], v[102:103], v[106:107], v[102:103]
	v_div_scale_f64 v[106:107], vcc_lo, 1.0, v[98:99], 1.0
	v_mul_f64 v[108:109], v[106:107], v[102:103]
	v_fma_f64 v[100:101], -v[100:101], v[108:109], v[106:107]
	v_div_fmas_f64 v[100:101], v[100:101], v[102:103], v[108:109]
	v_div_fixup_f64 v[102:103], v[100:101], v[98:99], 1.0
	v_mul_f64 v[104:105], v[104:105], -v[102:103]
.LBB47_7:
	s_or_b32 exec_lo, exec_lo, s2
	ds_write2_b64 v1, v[102:103], v[104:105] offset1:1
.LBB47_8:
	s_or_b32 exec_lo, exec_lo, s3
	s_waitcnt vmcnt(0) lgkmcnt(0)
	s_barrier
	buffer_gl0_inv
	ds_read2_b64 v[98:101], v1 offset1:1
	s_and_saveexec_b32 s2, s1
	s_cbranch_execz .LBB47_10
; %bb.9:
	s_waitcnt lgkmcnt(0)
	v_mul_f64 v[102:103], v[98:99], v[96:97]
	v_mul_f64 v[130:131], v[100:101], v[96:97]
	v_fma_f64 v[96:97], v[100:101], v[94:95], v[102:103]
	ds_read2_b64 v[102:105], v244 offset0:2 offset1:3
	ds_read2_b64 v[106:109], v244 offset0:4 offset1:5
	;; [unrolled: 1-line block ×7, first 2 shown]
	v_fma_f64 v[94:95], v[98:99], v[94:95], -v[130:131]
	ds_read2_b64 v[130:133], v244 offset0:16 offset1:17
	ds_read2_b64 v[134:137], v244 offset0:18 offset1:19
	;; [unrolled: 1-line block ×6, first 2 shown]
	s_waitcnt lgkmcnt(8)
	v_mul_f64 v[170:171], v[120:121], v[96:97]
	v_mul_f64 v[154:155], v[104:105], v[96:97]
	;; [unrolled: 1-line block ×7, first 2 shown]
	s_waitcnt lgkmcnt(2)
	v_mul_f64 v[186:187], v[144:145], v[96:97]
	v_mul_f64 v[160:161], v[106:107], v[96:97]
	;; [unrolled: 1-line block ×10, first 2 shown]
	v_fma_f64 v[118:119], v[118:119], v[94:95], -v[170:171]
	v_mul_f64 v[170:171], v[142:143], v[96:97]
	v_fma_f64 v[154:155], v[102:103], v[94:95], -v[154:155]
	v_mul_f64 v[102:103], v[126:127], v[96:97]
	;; [unrolled: 2-line block ×5, first 2 shown]
	v_fma_f64 v[156:157], v[104:105], v[94:95], v[156:157]
	v_fma_f64 v[120:121], v[120:121], v[94:95], v[172:173]
	s_waitcnt lgkmcnt(1)
	v_mul_f64 v[172:173], v[148:149], v[96:97]
	v_fma_f64 v[142:143], v[142:143], v[94:95], -v[186:187]
	v_fma_f64 v[160:161], v[108:109], v[94:95], v[160:161]
	v_fma_f64 v[122:123], v[122:123], v[94:95], -v[174:175]
	v_fma_f64 v[124:125], v[124:125], v[94:95], v[176:177]
	v_fma_f64 v[126:127], v[126:127], v[94:95], -v[178:179]
	v_fma_f64 v[130:131], v[130:131], v[94:95], -v[180:181]
	;; [unrolled: 1-line block ×4, first 2 shown]
	v_fma_f64 v[164:165], v[112:113], v[94:95], v[164:165]
	v_fma_f64 v[168:169], v[116:117], v[94:95], v[168:169]
	;; [unrolled: 1-line block ×3, first 2 shown]
	v_mul_f64 v[174:175], v[146:147], v[96:97]
	v_fma_f64 v[128:129], v[128:129], v[94:95], v[102:103]
	ds_read2_b64 v[102:105], v244 offset0:28 offset1:29
	v_fma_f64 v[132:133], v[132:133], v[94:95], v[106:107]
	ds_read2_b64 v[106:109], v244 offset0:30 offset1:31
	;; [unrolled: 2-line block ×3, first 2 shown]
	v_fma_f64 v[140:141], v[140:141], v[94:95], v[114:115]
	s_waitcnt lgkmcnt(3)
	v_mul_f64 v[176:177], v[152:153], v[96:97]
	v_mul_f64 v[170:171], v[150:151], v[96:97]
	v_fma_f64 v[146:147], v[146:147], v[94:95], -v[172:173]
	v_add_f64 v[90:91], v[90:91], -v[154:155]
	v_add_f64 v[92:93], v[92:93], -v[156:157]
	;; [unrolled: 1-line block ×3, first 2 shown]
	ds_read2_b64 v[114:117], v244 offset0:34 offset1:35
	v_add_f64 v[74:75], v[74:75], -v[118:119]
	v_add_f64 v[76:77], v[76:77], -v[120:121]
	;; [unrolled: 1-line block ×7, first 2 shown]
	s_waitcnt lgkmcnt(3)
	v_mul_f64 v[142:143], v[104:105], v[96:97]
	v_mul_f64 v[154:155], v[102:103], v[96:97]
	s_waitcnt lgkmcnt(2)
	v_mul_f64 v[144:145], v[108:109], v[96:97]
	v_mul_f64 v[156:157], v[106:107], v[96:97]
	v_add_f64 v[68:69], v[68:69], -v[128:129]
	v_add_f64 v[64:65], v[64:65], -v[132:133]
	;; [unrolled: 1-line block ×5, first 2 shown]
	ds_read2_b64 v[118:121], v244 offset0:36 offset1:37
	v_add_f64 v[56:57], v[56:57], -v[140:141]
	ds_read2_b64 v[122:125], v244 offset0:38 offset1:39
	ds_read2_b64 v[126:129], v244 offset0:40 offset1:41
	;; [unrolled: 1-line block ×5, first 2 shown]
	v_fma_f64 v[148:149], v[148:149], v[94:95], v[174:175]
	v_add_f64 v[86:87], v[86:87], -v[158:159]
	v_add_f64 v[88:89], v[88:89], -v[160:161]
	;; [unrolled: 1-line block ×7, first 2 shown]
	v_fma_f64 v[146:147], v[150:151], v[94:95], -v[176:177]
	v_fma_f64 v[150:151], v[152:153], v[94:95], v[170:171]
	s_waitcnt lgkmcnt(7)
	v_mul_f64 v[152:153], v[112:113], v[96:97]
	v_mul_f64 v[158:159], v[110:111], v[96:97]
	s_waitcnt lgkmcnt(6)
	v_mul_f64 v[160:161], v[116:117], v[96:97]
	v_mul_f64 v[162:163], v[114:115], v[96:97]
	;; [unrolled: 3-line block ×6, first 2 shown]
	v_fma_f64 v[102:103], v[102:103], v[94:95], -v[142:143]
	v_fma_f64 v[104:105], v[104:105], v[94:95], v[154:155]
	s_waitcnt lgkmcnt(1)
	v_mul_f64 v[142:143], v[136:137], v[96:97]
	v_mul_f64 v[154:155], v[134:135], v[96:97]
	v_fma_f64 v[106:107], v[106:107], v[94:95], -v[144:145]
	v_fma_f64 v[108:109], v[108:109], v[94:95], v[156:157]
	s_waitcnt lgkmcnt(0)
	v_mul_f64 v[144:145], v[140:141], v[96:97]
	v_mul_f64 v[156:157], v[138:139], v[96:97]
	v_add_f64 v[48:49], v[48:49], -v[148:149]
	v_add_f64 v[42:43], v[42:43], -v[146:147]
	v_fma_f64 v[110:111], v[110:111], v[94:95], -v[152:153]
	v_fma_f64 v[112:113], v[112:113], v[94:95], v[158:159]
	v_fma_f64 v[114:115], v[114:115], v[94:95], -v[160:161]
	v_fma_f64 v[116:117], v[116:117], v[94:95], v[162:163]
	;; [unrolled: 2-line block ×6, first 2 shown]
	v_add_f64 v[44:45], v[44:45], -v[150:151]
	v_add_f64 v[38:39], v[38:39], -v[102:103]
	v_fma_f64 v[134:135], v[134:135], v[94:95], -v[142:143]
	v_fma_f64 v[136:137], v[136:137], v[94:95], v[154:155]
	v_add_f64 v[40:41], v[40:41], -v[104:105]
	v_add_f64 v[34:35], v[34:35], -v[106:107]
	v_fma_f64 v[138:139], v[138:139], v[94:95], -v[144:145]
	v_fma_f64 v[140:141], v[140:141], v[94:95], v[156:157]
	v_add_f64 v[36:37], v[36:37], -v[108:109]
	v_add_f64 v[30:31], v[30:31], -v[110:111]
	;; [unrolled: 1-line block ×17, first 2 shown]
.LBB47_10:
	s_or_b32 exec_lo, exec_lo, s2
	s_mov_b32 s2, exec_lo
	s_waitcnt lgkmcnt(0)
	s_barrier
	buffer_gl0_inv
	v_cmpx_eq_u32_e32 1, v0
	s_cbranch_execz .LBB47_17
; %bb.11:
	ds_write2_b64 v1, v[90:91], v[92:93] offset1:1
	ds_write2_b64 v244, v[86:87], v[88:89] offset0:4 offset1:5
	ds_write2_b64 v244, v[82:83], v[84:85] offset0:6 offset1:7
	;; [unrolled: 1-line block ×22, first 2 shown]
	ds_read2_b64 v[102:105], v1 offset1:1
	s_waitcnt lgkmcnt(0)
	v_cmp_neq_f64_e32 vcc_lo, 0, v[102:103]
	v_cmp_neq_f64_e64 s1, 0, v[104:105]
	s_or_b32 s1, vcc_lo, s1
	s_and_b32 exec_lo, exec_lo, s1
	s_cbranch_execz .LBB47_17
; %bb.12:
	v_cmp_ngt_f64_e64 s1, |v[102:103]|, |v[104:105]|
                                        ; implicit-def: $vgpr106_vgpr107
	s_and_saveexec_b32 s3, s1
	s_xor_b32 s1, exec_lo, s3
                                        ; implicit-def: $vgpr108_vgpr109
	s_cbranch_execz .LBB47_14
; %bb.13:
	v_div_scale_f64 v[106:107], null, v[104:105], v[104:105], v[102:103]
	v_div_scale_f64 v[112:113], vcc_lo, v[102:103], v[104:105], v[102:103]
	v_rcp_f64_e32 v[108:109], v[106:107]
	v_fma_f64 v[110:111], -v[106:107], v[108:109], 1.0
	v_fma_f64 v[108:109], v[108:109], v[110:111], v[108:109]
	v_fma_f64 v[110:111], -v[106:107], v[108:109], 1.0
	v_fma_f64 v[108:109], v[108:109], v[110:111], v[108:109]
	v_mul_f64 v[110:111], v[112:113], v[108:109]
	v_fma_f64 v[106:107], -v[106:107], v[110:111], v[112:113]
	v_div_fmas_f64 v[106:107], v[106:107], v[108:109], v[110:111]
	v_div_fixup_f64 v[106:107], v[106:107], v[104:105], v[102:103]
	v_fma_f64 v[102:103], v[102:103], v[106:107], v[104:105]
	v_div_scale_f64 v[104:105], null, v[102:103], v[102:103], 1.0
	v_rcp_f64_e32 v[108:109], v[104:105]
	v_fma_f64 v[110:111], -v[104:105], v[108:109], 1.0
	v_fma_f64 v[108:109], v[108:109], v[110:111], v[108:109]
	v_fma_f64 v[110:111], -v[104:105], v[108:109], 1.0
	v_fma_f64 v[108:109], v[108:109], v[110:111], v[108:109]
	v_div_scale_f64 v[110:111], vcc_lo, 1.0, v[102:103], 1.0
	v_mul_f64 v[112:113], v[110:111], v[108:109]
	v_fma_f64 v[104:105], -v[104:105], v[112:113], v[110:111]
	v_div_fmas_f64 v[104:105], v[104:105], v[108:109], v[112:113]
	v_div_fixup_f64 v[108:109], v[104:105], v[102:103], 1.0
                                        ; implicit-def: $vgpr102_vgpr103
	v_mul_f64 v[106:107], v[106:107], v[108:109]
	v_xor_b32_e32 v109, 0x80000000, v109
.LBB47_14:
	s_andn2_saveexec_b32 s1, s1
	s_cbranch_execz .LBB47_16
; %bb.15:
	v_div_scale_f64 v[106:107], null, v[102:103], v[102:103], v[104:105]
	v_div_scale_f64 v[112:113], vcc_lo, v[104:105], v[102:103], v[104:105]
	v_rcp_f64_e32 v[108:109], v[106:107]
	v_fma_f64 v[110:111], -v[106:107], v[108:109], 1.0
	v_fma_f64 v[108:109], v[108:109], v[110:111], v[108:109]
	v_fma_f64 v[110:111], -v[106:107], v[108:109], 1.0
	v_fma_f64 v[108:109], v[108:109], v[110:111], v[108:109]
	v_mul_f64 v[110:111], v[112:113], v[108:109]
	v_fma_f64 v[106:107], -v[106:107], v[110:111], v[112:113]
	v_div_fmas_f64 v[106:107], v[106:107], v[108:109], v[110:111]
	v_div_fixup_f64 v[108:109], v[106:107], v[102:103], v[104:105]
	v_fma_f64 v[102:103], v[104:105], v[108:109], v[102:103]
	v_div_scale_f64 v[104:105], null, v[102:103], v[102:103], 1.0
	v_rcp_f64_e32 v[106:107], v[104:105]
	v_fma_f64 v[110:111], -v[104:105], v[106:107], 1.0
	v_fma_f64 v[106:107], v[106:107], v[110:111], v[106:107]
	v_fma_f64 v[110:111], -v[104:105], v[106:107], 1.0
	v_fma_f64 v[106:107], v[106:107], v[110:111], v[106:107]
	v_div_scale_f64 v[110:111], vcc_lo, 1.0, v[102:103], 1.0
	v_mul_f64 v[112:113], v[110:111], v[106:107]
	v_fma_f64 v[104:105], -v[104:105], v[112:113], v[110:111]
	v_div_fmas_f64 v[104:105], v[104:105], v[106:107], v[112:113]
	v_div_fixup_f64 v[106:107], v[104:105], v[102:103], 1.0
	v_mul_f64 v[108:109], v[108:109], -v[106:107]
.LBB47_16:
	s_or_b32 exec_lo, exec_lo, s1
	ds_write2_b64 v1, v[106:107], v[108:109] offset1:1
.LBB47_17:
	s_or_b32 exec_lo, exec_lo, s2
	s_waitcnt lgkmcnt(0)
	s_barrier
	buffer_gl0_inv
	ds_read2_b64 v[102:105], v1 offset1:1
	s_mov_b32 s1, exec_lo
	v_cmpx_lt_u32_e32 1, v0
	s_cbranch_execz .LBB47_19
; %bb.18:
	s_waitcnt lgkmcnt(0)
	v_mul_f64 v[106:107], v[104:105], v[92:93]
	v_mul_f64 v[92:93], v[102:103], v[92:93]
	ds_read2_b64 v[108:111], v244 offset0:4 offset1:5
	v_fma_f64 v[106:107], v[102:103], v[90:91], -v[106:107]
	v_fma_f64 v[92:93], v[104:105], v[90:91], v[92:93]
	s_waitcnt lgkmcnt(0)
	v_mul_f64 v[90:91], v[110:111], v[92:93]
	v_fma_f64 v[90:91], v[108:109], v[106:107], -v[90:91]
	v_mul_f64 v[108:109], v[108:109], v[92:93]
	v_add_f64 v[86:87], v[86:87], -v[90:91]
	v_fma_f64 v[108:109], v[110:111], v[106:107], v[108:109]
	v_add_f64 v[88:89], v[88:89], -v[108:109]
	ds_read2_b64 v[108:111], v244 offset0:6 offset1:7
	s_waitcnt lgkmcnt(0)
	v_mul_f64 v[90:91], v[110:111], v[92:93]
	v_fma_f64 v[90:91], v[108:109], v[106:107], -v[90:91]
	v_mul_f64 v[108:109], v[108:109], v[92:93]
	v_add_f64 v[82:83], v[82:83], -v[90:91]
	v_fma_f64 v[108:109], v[110:111], v[106:107], v[108:109]
	v_add_f64 v[84:85], v[84:85], -v[108:109]
	ds_read2_b64 v[108:111], v244 offset0:8 offset1:9
	s_waitcnt lgkmcnt(0)
	v_mul_f64 v[90:91], v[110:111], v[92:93]
	v_fma_f64 v[90:91], v[108:109], v[106:107], -v[90:91]
	v_mul_f64 v[108:109], v[108:109], v[92:93]
	v_add_f64 v[78:79], v[78:79], -v[90:91]
	v_fma_f64 v[108:109], v[110:111], v[106:107], v[108:109]
	v_add_f64 v[80:81], v[80:81], -v[108:109]
	ds_read2_b64 v[108:111], v244 offset0:10 offset1:11
	s_waitcnt lgkmcnt(0)
	v_mul_f64 v[90:91], v[110:111], v[92:93]
	v_fma_f64 v[90:91], v[108:109], v[106:107], -v[90:91]
	v_mul_f64 v[108:109], v[108:109], v[92:93]
	v_add_f64 v[74:75], v[74:75], -v[90:91]
	v_fma_f64 v[108:109], v[110:111], v[106:107], v[108:109]
	v_add_f64 v[76:77], v[76:77], -v[108:109]
	ds_read2_b64 v[108:111], v244 offset0:12 offset1:13
	s_waitcnt lgkmcnt(0)
	v_mul_f64 v[90:91], v[110:111], v[92:93]
	v_fma_f64 v[90:91], v[108:109], v[106:107], -v[90:91]
	v_mul_f64 v[108:109], v[108:109], v[92:93]
	v_add_f64 v[70:71], v[70:71], -v[90:91]
	v_fma_f64 v[108:109], v[110:111], v[106:107], v[108:109]
	v_add_f64 v[72:73], v[72:73], -v[108:109]
	ds_read2_b64 v[108:111], v244 offset0:14 offset1:15
	s_waitcnt lgkmcnt(0)
	v_mul_f64 v[90:91], v[110:111], v[92:93]
	v_fma_f64 v[90:91], v[108:109], v[106:107], -v[90:91]
	v_mul_f64 v[108:109], v[108:109], v[92:93]
	v_add_f64 v[66:67], v[66:67], -v[90:91]
	v_fma_f64 v[108:109], v[110:111], v[106:107], v[108:109]
	v_add_f64 v[68:69], v[68:69], -v[108:109]
	ds_read2_b64 v[108:111], v244 offset0:16 offset1:17
	s_waitcnt lgkmcnt(0)
	v_mul_f64 v[90:91], v[110:111], v[92:93]
	v_fma_f64 v[90:91], v[108:109], v[106:107], -v[90:91]
	v_mul_f64 v[108:109], v[108:109], v[92:93]
	v_add_f64 v[62:63], v[62:63], -v[90:91]
	v_fma_f64 v[108:109], v[110:111], v[106:107], v[108:109]
	v_add_f64 v[64:65], v[64:65], -v[108:109]
	ds_read2_b64 v[108:111], v244 offset0:18 offset1:19
	s_waitcnt lgkmcnt(0)
	v_mul_f64 v[90:91], v[110:111], v[92:93]
	v_fma_f64 v[90:91], v[108:109], v[106:107], -v[90:91]
	v_mul_f64 v[108:109], v[108:109], v[92:93]
	v_add_f64 v[58:59], v[58:59], -v[90:91]
	v_fma_f64 v[108:109], v[110:111], v[106:107], v[108:109]
	v_add_f64 v[60:61], v[60:61], -v[108:109]
	ds_read2_b64 v[108:111], v244 offset0:20 offset1:21
	s_waitcnt lgkmcnt(0)
	v_mul_f64 v[90:91], v[110:111], v[92:93]
	v_fma_f64 v[90:91], v[108:109], v[106:107], -v[90:91]
	v_mul_f64 v[108:109], v[108:109], v[92:93]
	v_add_f64 v[54:55], v[54:55], -v[90:91]
	v_fma_f64 v[108:109], v[110:111], v[106:107], v[108:109]
	v_add_f64 v[56:57], v[56:57], -v[108:109]
	ds_read2_b64 v[108:111], v244 offset0:22 offset1:23
	s_waitcnt lgkmcnt(0)
	v_mul_f64 v[90:91], v[110:111], v[92:93]
	v_fma_f64 v[90:91], v[108:109], v[106:107], -v[90:91]
	v_mul_f64 v[108:109], v[108:109], v[92:93]
	v_add_f64 v[50:51], v[50:51], -v[90:91]
	v_fma_f64 v[108:109], v[110:111], v[106:107], v[108:109]
	v_add_f64 v[52:53], v[52:53], -v[108:109]
	ds_read2_b64 v[108:111], v244 offset0:24 offset1:25
	s_waitcnt lgkmcnt(0)
	v_mul_f64 v[90:91], v[110:111], v[92:93]
	v_fma_f64 v[90:91], v[108:109], v[106:107], -v[90:91]
	v_mul_f64 v[108:109], v[108:109], v[92:93]
	v_add_f64 v[46:47], v[46:47], -v[90:91]
	v_fma_f64 v[108:109], v[110:111], v[106:107], v[108:109]
	v_add_f64 v[48:49], v[48:49], -v[108:109]
	ds_read2_b64 v[108:111], v244 offset0:26 offset1:27
	s_waitcnt lgkmcnt(0)
	v_mul_f64 v[90:91], v[110:111], v[92:93]
	v_fma_f64 v[90:91], v[108:109], v[106:107], -v[90:91]
	v_mul_f64 v[108:109], v[108:109], v[92:93]
	v_add_f64 v[42:43], v[42:43], -v[90:91]
	v_fma_f64 v[108:109], v[110:111], v[106:107], v[108:109]
	v_add_f64 v[44:45], v[44:45], -v[108:109]
	ds_read2_b64 v[108:111], v244 offset0:28 offset1:29
	s_waitcnt lgkmcnt(0)
	v_mul_f64 v[90:91], v[110:111], v[92:93]
	v_fma_f64 v[90:91], v[108:109], v[106:107], -v[90:91]
	v_mul_f64 v[108:109], v[108:109], v[92:93]
	v_add_f64 v[38:39], v[38:39], -v[90:91]
	v_fma_f64 v[108:109], v[110:111], v[106:107], v[108:109]
	v_add_f64 v[40:41], v[40:41], -v[108:109]
	ds_read2_b64 v[108:111], v244 offset0:30 offset1:31
	s_waitcnt lgkmcnt(0)
	v_mul_f64 v[90:91], v[110:111], v[92:93]
	v_fma_f64 v[90:91], v[108:109], v[106:107], -v[90:91]
	v_mul_f64 v[108:109], v[108:109], v[92:93]
	v_add_f64 v[34:35], v[34:35], -v[90:91]
	v_fma_f64 v[108:109], v[110:111], v[106:107], v[108:109]
	v_add_f64 v[36:37], v[36:37], -v[108:109]
	ds_read2_b64 v[108:111], v244 offset0:32 offset1:33
	s_waitcnt lgkmcnt(0)
	v_mul_f64 v[90:91], v[110:111], v[92:93]
	v_fma_f64 v[90:91], v[108:109], v[106:107], -v[90:91]
	v_mul_f64 v[108:109], v[108:109], v[92:93]
	v_add_f64 v[30:31], v[30:31], -v[90:91]
	v_fma_f64 v[108:109], v[110:111], v[106:107], v[108:109]
	v_add_f64 v[32:33], v[32:33], -v[108:109]
	ds_read2_b64 v[108:111], v244 offset0:34 offset1:35
	s_waitcnt lgkmcnt(0)
	v_mul_f64 v[90:91], v[110:111], v[92:93]
	v_fma_f64 v[90:91], v[108:109], v[106:107], -v[90:91]
	v_mul_f64 v[108:109], v[108:109], v[92:93]
	v_add_f64 v[26:27], v[26:27], -v[90:91]
	v_fma_f64 v[108:109], v[110:111], v[106:107], v[108:109]
	v_add_f64 v[28:29], v[28:29], -v[108:109]
	ds_read2_b64 v[108:111], v244 offset0:36 offset1:37
	s_waitcnt lgkmcnt(0)
	v_mul_f64 v[90:91], v[110:111], v[92:93]
	v_fma_f64 v[90:91], v[108:109], v[106:107], -v[90:91]
	v_mul_f64 v[108:109], v[108:109], v[92:93]
	v_add_f64 v[22:23], v[22:23], -v[90:91]
	v_fma_f64 v[108:109], v[110:111], v[106:107], v[108:109]
	v_add_f64 v[24:25], v[24:25], -v[108:109]
	ds_read2_b64 v[108:111], v244 offset0:38 offset1:39
	s_waitcnt lgkmcnt(0)
	v_mul_f64 v[90:91], v[110:111], v[92:93]
	v_fma_f64 v[90:91], v[108:109], v[106:107], -v[90:91]
	v_mul_f64 v[108:109], v[108:109], v[92:93]
	v_add_f64 v[18:19], v[18:19], -v[90:91]
	v_fma_f64 v[108:109], v[110:111], v[106:107], v[108:109]
	v_add_f64 v[20:21], v[20:21], -v[108:109]
	ds_read2_b64 v[108:111], v244 offset0:40 offset1:41
	s_waitcnt lgkmcnt(0)
	v_mul_f64 v[90:91], v[110:111], v[92:93]
	v_fma_f64 v[90:91], v[108:109], v[106:107], -v[90:91]
	v_mul_f64 v[108:109], v[108:109], v[92:93]
	v_add_f64 v[14:15], v[14:15], -v[90:91]
	v_fma_f64 v[108:109], v[110:111], v[106:107], v[108:109]
	v_add_f64 v[16:17], v[16:17], -v[108:109]
	ds_read2_b64 v[108:111], v244 offset0:42 offset1:43
	s_waitcnt lgkmcnt(0)
	v_mul_f64 v[90:91], v[110:111], v[92:93]
	v_fma_f64 v[90:91], v[108:109], v[106:107], -v[90:91]
	v_mul_f64 v[108:109], v[108:109], v[92:93]
	v_add_f64 v[10:11], v[10:11], -v[90:91]
	v_fma_f64 v[108:109], v[110:111], v[106:107], v[108:109]
	v_add_f64 v[12:13], v[12:13], -v[108:109]
	ds_read2_b64 v[108:111], v244 offset0:44 offset1:45
	s_waitcnt lgkmcnt(0)
	v_mul_f64 v[90:91], v[110:111], v[92:93]
	v_fma_f64 v[90:91], v[108:109], v[106:107], -v[90:91]
	v_mul_f64 v[108:109], v[108:109], v[92:93]
	v_add_f64 v[6:7], v[6:7], -v[90:91]
	v_fma_f64 v[108:109], v[110:111], v[106:107], v[108:109]
	v_add_f64 v[8:9], v[8:9], -v[108:109]
	ds_read2_b64 v[108:111], v244 offset0:46 offset1:47
	s_waitcnt lgkmcnt(0)
	v_mul_f64 v[90:91], v[110:111], v[92:93]
	v_fma_f64 v[90:91], v[108:109], v[106:107], -v[90:91]
	v_mul_f64 v[108:109], v[108:109], v[92:93]
	v_add_f64 v[2:3], v[2:3], -v[90:91]
	v_fma_f64 v[108:109], v[110:111], v[106:107], v[108:109]
	v_mov_b32_e32 v90, v106
	v_mov_b32_e32 v91, v107
	v_add_f64 v[4:5], v[4:5], -v[108:109]
.LBB47_19:
	s_or_b32 exec_lo, exec_lo, s1
	s_mov_b32 s2, exec_lo
	s_waitcnt lgkmcnt(0)
	s_barrier
	buffer_gl0_inv
	v_cmpx_eq_u32_e32 2, v0
	s_cbranch_execz .LBB47_26
; %bb.20:
	ds_write2_b64 v1, v[86:87], v[88:89] offset1:1
	ds_write2_b64 v244, v[82:83], v[84:85] offset0:6 offset1:7
	ds_write2_b64 v244, v[78:79], v[80:81] offset0:8 offset1:9
	;; [unrolled: 1-line block ×21, first 2 shown]
	ds_read2_b64 v[106:109], v1 offset1:1
	s_waitcnt lgkmcnt(0)
	v_cmp_neq_f64_e32 vcc_lo, 0, v[106:107]
	v_cmp_neq_f64_e64 s1, 0, v[108:109]
	s_or_b32 s1, vcc_lo, s1
	s_and_b32 exec_lo, exec_lo, s1
	s_cbranch_execz .LBB47_26
; %bb.21:
	v_cmp_ngt_f64_e64 s1, |v[106:107]|, |v[108:109]|
                                        ; implicit-def: $vgpr110_vgpr111
	s_and_saveexec_b32 s3, s1
	s_xor_b32 s1, exec_lo, s3
                                        ; implicit-def: $vgpr112_vgpr113
	s_cbranch_execz .LBB47_23
; %bb.22:
	v_div_scale_f64 v[110:111], null, v[108:109], v[108:109], v[106:107]
	v_div_scale_f64 v[116:117], vcc_lo, v[106:107], v[108:109], v[106:107]
	v_rcp_f64_e32 v[112:113], v[110:111]
	v_fma_f64 v[114:115], -v[110:111], v[112:113], 1.0
	v_fma_f64 v[112:113], v[112:113], v[114:115], v[112:113]
	v_fma_f64 v[114:115], -v[110:111], v[112:113], 1.0
	v_fma_f64 v[112:113], v[112:113], v[114:115], v[112:113]
	v_mul_f64 v[114:115], v[116:117], v[112:113]
	v_fma_f64 v[110:111], -v[110:111], v[114:115], v[116:117]
	v_div_fmas_f64 v[110:111], v[110:111], v[112:113], v[114:115]
	v_div_fixup_f64 v[110:111], v[110:111], v[108:109], v[106:107]
	v_fma_f64 v[106:107], v[106:107], v[110:111], v[108:109]
	v_div_scale_f64 v[108:109], null, v[106:107], v[106:107], 1.0
	v_rcp_f64_e32 v[112:113], v[108:109]
	v_fma_f64 v[114:115], -v[108:109], v[112:113], 1.0
	v_fma_f64 v[112:113], v[112:113], v[114:115], v[112:113]
	v_fma_f64 v[114:115], -v[108:109], v[112:113], 1.0
	v_fma_f64 v[112:113], v[112:113], v[114:115], v[112:113]
	v_div_scale_f64 v[114:115], vcc_lo, 1.0, v[106:107], 1.0
	v_mul_f64 v[116:117], v[114:115], v[112:113]
	v_fma_f64 v[108:109], -v[108:109], v[116:117], v[114:115]
	v_div_fmas_f64 v[108:109], v[108:109], v[112:113], v[116:117]
	v_div_fixup_f64 v[112:113], v[108:109], v[106:107], 1.0
                                        ; implicit-def: $vgpr106_vgpr107
	v_mul_f64 v[110:111], v[110:111], v[112:113]
	v_xor_b32_e32 v113, 0x80000000, v113
.LBB47_23:
	s_andn2_saveexec_b32 s1, s1
	s_cbranch_execz .LBB47_25
; %bb.24:
	v_div_scale_f64 v[110:111], null, v[106:107], v[106:107], v[108:109]
	v_div_scale_f64 v[116:117], vcc_lo, v[108:109], v[106:107], v[108:109]
	v_rcp_f64_e32 v[112:113], v[110:111]
	v_fma_f64 v[114:115], -v[110:111], v[112:113], 1.0
	v_fma_f64 v[112:113], v[112:113], v[114:115], v[112:113]
	v_fma_f64 v[114:115], -v[110:111], v[112:113], 1.0
	v_fma_f64 v[112:113], v[112:113], v[114:115], v[112:113]
	v_mul_f64 v[114:115], v[116:117], v[112:113]
	v_fma_f64 v[110:111], -v[110:111], v[114:115], v[116:117]
	v_div_fmas_f64 v[110:111], v[110:111], v[112:113], v[114:115]
	v_div_fixup_f64 v[112:113], v[110:111], v[106:107], v[108:109]
	v_fma_f64 v[106:107], v[108:109], v[112:113], v[106:107]
	v_div_scale_f64 v[108:109], null, v[106:107], v[106:107], 1.0
	v_rcp_f64_e32 v[110:111], v[108:109]
	v_fma_f64 v[114:115], -v[108:109], v[110:111], 1.0
	v_fma_f64 v[110:111], v[110:111], v[114:115], v[110:111]
	v_fma_f64 v[114:115], -v[108:109], v[110:111], 1.0
	v_fma_f64 v[110:111], v[110:111], v[114:115], v[110:111]
	v_div_scale_f64 v[114:115], vcc_lo, 1.0, v[106:107], 1.0
	v_mul_f64 v[116:117], v[114:115], v[110:111]
	v_fma_f64 v[108:109], -v[108:109], v[116:117], v[114:115]
	v_div_fmas_f64 v[108:109], v[108:109], v[110:111], v[116:117]
	v_div_fixup_f64 v[110:111], v[108:109], v[106:107], 1.0
	v_mul_f64 v[112:113], v[112:113], -v[110:111]
.LBB47_25:
	s_or_b32 exec_lo, exec_lo, s1
	ds_write2_b64 v1, v[110:111], v[112:113] offset1:1
.LBB47_26:
	s_or_b32 exec_lo, exec_lo, s2
	s_waitcnt lgkmcnt(0)
	s_barrier
	buffer_gl0_inv
	ds_read2_b64 v[106:109], v1 offset1:1
	s_mov_b32 s1, exec_lo
	v_cmpx_lt_u32_e32 2, v0
	s_cbranch_execz .LBB47_28
; %bb.27:
	s_waitcnt lgkmcnt(0)
	v_mul_f64 v[110:111], v[108:109], v[88:89]
	v_mul_f64 v[88:89], v[106:107], v[88:89]
	ds_read2_b64 v[112:115], v244 offset0:6 offset1:7
	v_fma_f64 v[110:111], v[106:107], v[86:87], -v[110:111]
	v_fma_f64 v[88:89], v[108:109], v[86:87], v[88:89]
	s_waitcnt lgkmcnt(0)
	v_mul_f64 v[86:87], v[114:115], v[88:89]
	v_fma_f64 v[86:87], v[112:113], v[110:111], -v[86:87]
	v_mul_f64 v[112:113], v[112:113], v[88:89]
	v_add_f64 v[82:83], v[82:83], -v[86:87]
	v_fma_f64 v[112:113], v[114:115], v[110:111], v[112:113]
	v_add_f64 v[84:85], v[84:85], -v[112:113]
	ds_read2_b64 v[112:115], v244 offset0:8 offset1:9
	s_waitcnt lgkmcnt(0)
	v_mul_f64 v[86:87], v[114:115], v[88:89]
	v_fma_f64 v[86:87], v[112:113], v[110:111], -v[86:87]
	v_mul_f64 v[112:113], v[112:113], v[88:89]
	v_add_f64 v[78:79], v[78:79], -v[86:87]
	v_fma_f64 v[112:113], v[114:115], v[110:111], v[112:113]
	v_add_f64 v[80:81], v[80:81], -v[112:113]
	ds_read2_b64 v[112:115], v244 offset0:10 offset1:11
	;; [unrolled: 8-line block ×20, first 2 shown]
	s_waitcnt lgkmcnt(0)
	v_mul_f64 v[86:87], v[114:115], v[88:89]
	v_fma_f64 v[86:87], v[112:113], v[110:111], -v[86:87]
	v_mul_f64 v[112:113], v[112:113], v[88:89]
	v_add_f64 v[2:3], v[2:3], -v[86:87]
	v_fma_f64 v[112:113], v[114:115], v[110:111], v[112:113]
	v_mov_b32_e32 v86, v110
	v_mov_b32_e32 v87, v111
	v_add_f64 v[4:5], v[4:5], -v[112:113]
.LBB47_28:
	s_or_b32 exec_lo, exec_lo, s1
	s_mov_b32 s2, exec_lo
	s_waitcnt lgkmcnt(0)
	s_barrier
	buffer_gl0_inv
	v_cmpx_eq_u32_e32 3, v0
	s_cbranch_execz .LBB47_35
; %bb.29:
	ds_write2_b64 v1, v[82:83], v[84:85] offset1:1
	ds_write2_b64 v244, v[78:79], v[80:81] offset0:8 offset1:9
	ds_write2_b64 v244, v[74:75], v[76:77] offset0:10 offset1:11
	;; [unrolled: 1-line block ×20, first 2 shown]
	ds_read2_b64 v[110:113], v1 offset1:1
	s_waitcnt lgkmcnt(0)
	v_cmp_neq_f64_e32 vcc_lo, 0, v[110:111]
	v_cmp_neq_f64_e64 s1, 0, v[112:113]
	s_or_b32 s1, vcc_lo, s1
	s_and_b32 exec_lo, exec_lo, s1
	s_cbranch_execz .LBB47_35
; %bb.30:
	v_cmp_ngt_f64_e64 s1, |v[110:111]|, |v[112:113]|
                                        ; implicit-def: $vgpr114_vgpr115
	s_and_saveexec_b32 s3, s1
	s_xor_b32 s1, exec_lo, s3
                                        ; implicit-def: $vgpr116_vgpr117
	s_cbranch_execz .LBB47_32
; %bb.31:
	v_div_scale_f64 v[114:115], null, v[112:113], v[112:113], v[110:111]
	v_div_scale_f64 v[120:121], vcc_lo, v[110:111], v[112:113], v[110:111]
	v_rcp_f64_e32 v[116:117], v[114:115]
	v_fma_f64 v[118:119], -v[114:115], v[116:117], 1.0
	v_fma_f64 v[116:117], v[116:117], v[118:119], v[116:117]
	v_fma_f64 v[118:119], -v[114:115], v[116:117], 1.0
	v_fma_f64 v[116:117], v[116:117], v[118:119], v[116:117]
	v_mul_f64 v[118:119], v[120:121], v[116:117]
	v_fma_f64 v[114:115], -v[114:115], v[118:119], v[120:121]
	v_div_fmas_f64 v[114:115], v[114:115], v[116:117], v[118:119]
	v_div_fixup_f64 v[114:115], v[114:115], v[112:113], v[110:111]
	v_fma_f64 v[110:111], v[110:111], v[114:115], v[112:113]
	v_div_scale_f64 v[112:113], null, v[110:111], v[110:111], 1.0
	v_rcp_f64_e32 v[116:117], v[112:113]
	v_fma_f64 v[118:119], -v[112:113], v[116:117], 1.0
	v_fma_f64 v[116:117], v[116:117], v[118:119], v[116:117]
	v_fma_f64 v[118:119], -v[112:113], v[116:117], 1.0
	v_fma_f64 v[116:117], v[116:117], v[118:119], v[116:117]
	v_div_scale_f64 v[118:119], vcc_lo, 1.0, v[110:111], 1.0
	v_mul_f64 v[120:121], v[118:119], v[116:117]
	v_fma_f64 v[112:113], -v[112:113], v[120:121], v[118:119]
	v_div_fmas_f64 v[112:113], v[112:113], v[116:117], v[120:121]
	v_div_fixup_f64 v[116:117], v[112:113], v[110:111], 1.0
                                        ; implicit-def: $vgpr110_vgpr111
	v_mul_f64 v[114:115], v[114:115], v[116:117]
	v_xor_b32_e32 v117, 0x80000000, v117
.LBB47_32:
	s_andn2_saveexec_b32 s1, s1
	s_cbranch_execz .LBB47_34
; %bb.33:
	v_div_scale_f64 v[114:115], null, v[110:111], v[110:111], v[112:113]
	v_div_scale_f64 v[120:121], vcc_lo, v[112:113], v[110:111], v[112:113]
	v_rcp_f64_e32 v[116:117], v[114:115]
	v_fma_f64 v[118:119], -v[114:115], v[116:117], 1.0
	v_fma_f64 v[116:117], v[116:117], v[118:119], v[116:117]
	v_fma_f64 v[118:119], -v[114:115], v[116:117], 1.0
	v_fma_f64 v[116:117], v[116:117], v[118:119], v[116:117]
	v_mul_f64 v[118:119], v[120:121], v[116:117]
	v_fma_f64 v[114:115], -v[114:115], v[118:119], v[120:121]
	v_div_fmas_f64 v[114:115], v[114:115], v[116:117], v[118:119]
	v_div_fixup_f64 v[116:117], v[114:115], v[110:111], v[112:113]
	v_fma_f64 v[110:111], v[112:113], v[116:117], v[110:111]
	v_div_scale_f64 v[112:113], null, v[110:111], v[110:111], 1.0
	v_rcp_f64_e32 v[114:115], v[112:113]
	v_fma_f64 v[118:119], -v[112:113], v[114:115], 1.0
	v_fma_f64 v[114:115], v[114:115], v[118:119], v[114:115]
	v_fma_f64 v[118:119], -v[112:113], v[114:115], 1.0
	v_fma_f64 v[114:115], v[114:115], v[118:119], v[114:115]
	v_div_scale_f64 v[118:119], vcc_lo, 1.0, v[110:111], 1.0
	v_mul_f64 v[120:121], v[118:119], v[114:115]
	v_fma_f64 v[112:113], -v[112:113], v[120:121], v[118:119]
	v_div_fmas_f64 v[112:113], v[112:113], v[114:115], v[120:121]
	v_div_fixup_f64 v[114:115], v[112:113], v[110:111], 1.0
	v_mul_f64 v[116:117], v[116:117], -v[114:115]
.LBB47_34:
	s_or_b32 exec_lo, exec_lo, s1
	ds_write2_b64 v1, v[114:115], v[116:117] offset1:1
.LBB47_35:
	s_or_b32 exec_lo, exec_lo, s2
	s_waitcnt lgkmcnt(0)
	s_barrier
	buffer_gl0_inv
	ds_read2_b64 v[110:113], v1 offset1:1
	s_mov_b32 s1, exec_lo
	v_cmpx_lt_u32_e32 3, v0
	s_cbranch_execz .LBB47_37
; %bb.36:
	s_waitcnt lgkmcnt(0)
	v_mul_f64 v[114:115], v[112:113], v[84:85]
	v_mul_f64 v[84:85], v[110:111], v[84:85]
	ds_read2_b64 v[116:119], v244 offset0:8 offset1:9
	v_fma_f64 v[114:115], v[110:111], v[82:83], -v[114:115]
	v_fma_f64 v[84:85], v[112:113], v[82:83], v[84:85]
	s_waitcnt lgkmcnt(0)
	v_mul_f64 v[82:83], v[118:119], v[84:85]
	v_fma_f64 v[82:83], v[116:117], v[114:115], -v[82:83]
	v_mul_f64 v[116:117], v[116:117], v[84:85]
	v_add_f64 v[78:79], v[78:79], -v[82:83]
	v_fma_f64 v[116:117], v[118:119], v[114:115], v[116:117]
	v_add_f64 v[80:81], v[80:81], -v[116:117]
	ds_read2_b64 v[116:119], v244 offset0:10 offset1:11
	s_waitcnt lgkmcnt(0)
	v_mul_f64 v[82:83], v[118:119], v[84:85]
	v_fma_f64 v[82:83], v[116:117], v[114:115], -v[82:83]
	v_mul_f64 v[116:117], v[116:117], v[84:85]
	v_add_f64 v[74:75], v[74:75], -v[82:83]
	v_fma_f64 v[116:117], v[118:119], v[114:115], v[116:117]
	v_add_f64 v[76:77], v[76:77], -v[116:117]
	ds_read2_b64 v[116:119], v244 offset0:12 offset1:13
	;; [unrolled: 8-line block ×19, first 2 shown]
	s_waitcnt lgkmcnt(0)
	v_mul_f64 v[82:83], v[118:119], v[84:85]
	v_fma_f64 v[82:83], v[116:117], v[114:115], -v[82:83]
	v_mul_f64 v[116:117], v[116:117], v[84:85]
	v_add_f64 v[2:3], v[2:3], -v[82:83]
	v_fma_f64 v[116:117], v[118:119], v[114:115], v[116:117]
	v_mov_b32_e32 v82, v114
	v_mov_b32_e32 v83, v115
	v_add_f64 v[4:5], v[4:5], -v[116:117]
.LBB47_37:
	s_or_b32 exec_lo, exec_lo, s1
	s_mov_b32 s2, exec_lo
	s_waitcnt lgkmcnt(0)
	s_barrier
	buffer_gl0_inv
	v_cmpx_eq_u32_e32 4, v0
	s_cbranch_execz .LBB47_44
; %bb.38:
	ds_write2_b64 v1, v[78:79], v[80:81] offset1:1
	ds_write2_b64 v244, v[74:75], v[76:77] offset0:10 offset1:11
	ds_write2_b64 v244, v[70:71], v[72:73] offset0:12 offset1:13
	;; [unrolled: 1-line block ×19, first 2 shown]
	ds_read2_b64 v[114:117], v1 offset1:1
	s_waitcnt lgkmcnt(0)
	v_cmp_neq_f64_e32 vcc_lo, 0, v[114:115]
	v_cmp_neq_f64_e64 s1, 0, v[116:117]
	s_or_b32 s1, vcc_lo, s1
	s_and_b32 exec_lo, exec_lo, s1
	s_cbranch_execz .LBB47_44
; %bb.39:
	v_cmp_ngt_f64_e64 s1, |v[114:115]|, |v[116:117]|
                                        ; implicit-def: $vgpr118_vgpr119
	s_and_saveexec_b32 s3, s1
	s_xor_b32 s1, exec_lo, s3
                                        ; implicit-def: $vgpr120_vgpr121
	s_cbranch_execz .LBB47_41
; %bb.40:
	v_div_scale_f64 v[118:119], null, v[116:117], v[116:117], v[114:115]
	v_div_scale_f64 v[124:125], vcc_lo, v[114:115], v[116:117], v[114:115]
	v_rcp_f64_e32 v[120:121], v[118:119]
	v_fma_f64 v[122:123], -v[118:119], v[120:121], 1.0
	v_fma_f64 v[120:121], v[120:121], v[122:123], v[120:121]
	v_fma_f64 v[122:123], -v[118:119], v[120:121], 1.0
	v_fma_f64 v[120:121], v[120:121], v[122:123], v[120:121]
	v_mul_f64 v[122:123], v[124:125], v[120:121]
	v_fma_f64 v[118:119], -v[118:119], v[122:123], v[124:125]
	v_div_fmas_f64 v[118:119], v[118:119], v[120:121], v[122:123]
	v_div_fixup_f64 v[118:119], v[118:119], v[116:117], v[114:115]
	v_fma_f64 v[114:115], v[114:115], v[118:119], v[116:117]
	v_div_scale_f64 v[116:117], null, v[114:115], v[114:115], 1.0
	v_rcp_f64_e32 v[120:121], v[116:117]
	v_fma_f64 v[122:123], -v[116:117], v[120:121], 1.0
	v_fma_f64 v[120:121], v[120:121], v[122:123], v[120:121]
	v_fma_f64 v[122:123], -v[116:117], v[120:121], 1.0
	v_fma_f64 v[120:121], v[120:121], v[122:123], v[120:121]
	v_div_scale_f64 v[122:123], vcc_lo, 1.0, v[114:115], 1.0
	v_mul_f64 v[124:125], v[122:123], v[120:121]
	v_fma_f64 v[116:117], -v[116:117], v[124:125], v[122:123]
	v_div_fmas_f64 v[116:117], v[116:117], v[120:121], v[124:125]
	v_div_fixup_f64 v[120:121], v[116:117], v[114:115], 1.0
                                        ; implicit-def: $vgpr114_vgpr115
	v_mul_f64 v[118:119], v[118:119], v[120:121]
	v_xor_b32_e32 v121, 0x80000000, v121
.LBB47_41:
	s_andn2_saveexec_b32 s1, s1
	s_cbranch_execz .LBB47_43
; %bb.42:
	v_div_scale_f64 v[118:119], null, v[114:115], v[114:115], v[116:117]
	v_div_scale_f64 v[124:125], vcc_lo, v[116:117], v[114:115], v[116:117]
	v_rcp_f64_e32 v[120:121], v[118:119]
	v_fma_f64 v[122:123], -v[118:119], v[120:121], 1.0
	v_fma_f64 v[120:121], v[120:121], v[122:123], v[120:121]
	v_fma_f64 v[122:123], -v[118:119], v[120:121], 1.0
	v_fma_f64 v[120:121], v[120:121], v[122:123], v[120:121]
	v_mul_f64 v[122:123], v[124:125], v[120:121]
	v_fma_f64 v[118:119], -v[118:119], v[122:123], v[124:125]
	v_div_fmas_f64 v[118:119], v[118:119], v[120:121], v[122:123]
	v_div_fixup_f64 v[120:121], v[118:119], v[114:115], v[116:117]
	v_fma_f64 v[114:115], v[116:117], v[120:121], v[114:115]
	v_div_scale_f64 v[116:117], null, v[114:115], v[114:115], 1.0
	v_rcp_f64_e32 v[118:119], v[116:117]
	v_fma_f64 v[122:123], -v[116:117], v[118:119], 1.0
	v_fma_f64 v[118:119], v[118:119], v[122:123], v[118:119]
	v_fma_f64 v[122:123], -v[116:117], v[118:119], 1.0
	v_fma_f64 v[118:119], v[118:119], v[122:123], v[118:119]
	v_div_scale_f64 v[122:123], vcc_lo, 1.0, v[114:115], 1.0
	v_mul_f64 v[124:125], v[122:123], v[118:119]
	v_fma_f64 v[116:117], -v[116:117], v[124:125], v[122:123]
	v_div_fmas_f64 v[116:117], v[116:117], v[118:119], v[124:125]
	v_div_fixup_f64 v[118:119], v[116:117], v[114:115], 1.0
	v_mul_f64 v[120:121], v[120:121], -v[118:119]
.LBB47_43:
	s_or_b32 exec_lo, exec_lo, s1
	ds_write2_b64 v1, v[118:119], v[120:121] offset1:1
.LBB47_44:
	s_or_b32 exec_lo, exec_lo, s2
	s_waitcnt lgkmcnt(0)
	s_barrier
	buffer_gl0_inv
	ds_read2_b64 v[114:117], v1 offset1:1
	s_mov_b32 s1, exec_lo
	v_cmpx_lt_u32_e32 4, v0
	s_cbranch_execz .LBB47_46
; %bb.45:
	s_waitcnt lgkmcnt(0)
	v_mul_f64 v[118:119], v[116:117], v[80:81]
	v_mul_f64 v[80:81], v[114:115], v[80:81]
	ds_read2_b64 v[120:123], v244 offset0:10 offset1:11
	v_fma_f64 v[118:119], v[114:115], v[78:79], -v[118:119]
	v_fma_f64 v[80:81], v[116:117], v[78:79], v[80:81]
	s_waitcnt lgkmcnt(0)
	v_mul_f64 v[78:79], v[122:123], v[80:81]
	v_fma_f64 v[78:79], v[120:121], v[118:119], -v[78:79]
	v_mul_f64 v[120:121], v[120:121], v[80:81]
	v_add_f64 v[74:75], v[74:75], -v[78:79]
	v_fma_f64 v[120:121], v[122:123], v[118:119], v[120:121]
	v_add_f64 v[76:77], v[76:77], -v[120:121]
	ds_read2_b64 v[120:123], v244 offset0:12 offset1:13
	s_waitcnt lgkmcnt(0)
	v_mul_f64 v[78:79], v[122:123], v[80:81]
	v_fma_f64 v[78:79], v[120:121], v[118:119], -v[78:79]
	v_mul_f64 v[120:121], v[120:121], v[80:81]
	v_add_f64 v[70:71], v[70:71], -v[78:79]
	v_fma_f64 v[120:121], v[122:123], v[118:119], v[120:121]
	v_add_f64 v[72:73], v[72:73], -v[120:121]
	ds_read2_b64 v[120:123], v244 offset0:14 offset1:15
	;; [unrolled: 8-line block ×18, first 2 shown]
	s_waitcnt lgkmcnt(0)
	v_mul_f64 v[78:79], v[122:123], v[80:81]
	v_fma_f64 v[78:79], v[120:121], v[118:119], -v[78:79]
	v_mul_f64 v[120:121], v[120:121], v[80:81]
	v_add_f64 v[2:3], v[2:3], -v[78:79]
	v_fma_f64 v[120:121], v[122:123], v[118:119], v[120:121]
	v_mov_b32_e32 v78, v118
	v_mov_b32_e32 v79, v119
	v_add_f64 v[4:5], v[4:5], -v[120:121]
.LBB47_46:
	s_or_b32 exec_lo, exec_lo, s1
	s_mov_b32 s2, exec_lo
	s_waitcnt lgkmcnt(0)
	s_barrier
	buffer_gl0_inv
	v_cmpx_eq_u32_e32 5, v0
	s_cbranch_execz .LBB47_53
; %bb.47:
	ds_write2_b64 v1, v[74:75], v[76:77] offset1:1
	ds_write2_b64 v244, v[70:71], v[72:73] offset0:12 offset1:13
	ds_write2_b64 v244, v[66:67], v[68:69] offset0:14 offset1:15
	;; [unrolled: 1-line block ×18, first 2 shown]
	ds_read2_b64 v[118:121], v1 offset1:1
	s_waitcnt lgkmcnt(0)
	v_cmp_neq_f64_e32 vcc_lo, 0, v[118:119]
	v_cmp_neq_f64_e64 s1, 0, v[120:121]
	s_or_b32 s1, vcc_lo, s1
	s_and_b32 exec_lo, exec_lo, s1
	s_cbranch_execz .LBB47_53
; %bb.48:
	v_cmp_ngt_f64_e64 s1, |v[118:119]|, |v[120:121]|
                                        ; implicit-def: $vgpr122_vgpr123
	s_and_saveexec_b32 s3, s1
	s_xor_b32 s1, exec_lo, s3
                                        ; implicit-def: $vgpr124_vgpr125
	s_cbranch_execz .LBB47_50
; %bb.49:
	v_div_scale_f64 v[122:123], null, v[120:121], v[120:121], v[118:119]
	v_div_scale_f64 v[128:129], vcc_lo, v[118:119], v[120:121], v[118:119]
	v_rcp_f64_e32 v[124:125], v[122:123]
	v_fma_f64 v[126:127], -v[122:123], v[124:125], 1.0
	v_fma_f64 v[124:125], v[124:125], v[126:127], v[124:125]
	v_fma_f64 v[126:127], -v[122:123], v[124:125], 1.0
	v_fma_f64 v[124:125], v[124:125], v[126:127], v[124:125]
	v_mul_f64 v[126:127], v[128:129], v[124:125]
	v_fma_f64 v[122:123], -v[122:123], v[126:127], v[128:129]
	v_div_fmas_f64 v[122:123], v[122:123], v[124:125], v[126:127]
	v_div_fixup_f64 v[122:123], v[122:123], v[120:121], v[118:119]
	v_fma_f64 v[118:119], v[118:119], v[122:123], v[120:121]
	v_div_scale_f64 v[120:121], null, v[118:119], v[118:119], 1.0
	v_rcp_f64_e32 v[124:125], v[120:121]
	v_fma_f64 v[126:127], -v[120:121], v[124:125], 1.0
	v_fma_f64 v[124:125], v[124:125], v[126:127], v[124:125]
	v_fma_f64 v[126:127], -v[120:121], v[124:125], 1.0
	v_fma_f64 v[124:125], v[124:125], v[126:127], v[124:125]
	v_div_scale_f64 v[126:127], vcc_lo, 1.0, v[118:119], 1.0
	v_mul_f64 v[128:129], v[126:127], v[124:125]
	v_fma_f64 v[120:121], -v[120:121], v[128:129], v[126:127]
	v_div_fmas_f64 v[120:121], v[120:121], v[124:125], v[128:129]
	v_div_fixup_f64 v[124:125], v[120:121], v[118:119], 1.0
                                        ; implicit-def: $vgpr118_vgpr119
	v_mul_f64 v[122:123], v[122:123], v[124:125]
	v_xor_b32_e32 v125, 0x80000000, v125
.LBB47_50:
	s_andn2_saveexec_b32 s1, s1
	s_cbranch_execz .LBB47_52
; %bb.51:
	v_div_scale_f64 v[122:123], null, v[118:119], v[118:119], v[120:121]
	v_div_scale_f64 v[128:129], vcc_lo, v[120:121], v[118:119], v[120:121]
	v_rcp_f64_e32 v[124:125], v[122:123]
	v_fma_f64 v[126:127], -v[122:123], v[124:125], 1.0
	v_fma_f64 v[124:125], v[124:125], v[126:127], v[124:125]
	v_fma_f64 v[126:127], -v[122:123], v[124:125], 1.0
	v_fma_f64 v[124:125], v[124:125], v[126:127], v[124:125]
	v_mul_f64 v[126:127], v[128:129], v[124:125]
	v_fma_f64 v[122:123], -v[122:123], v[126:127], v[128:129]
	v_div_fmas_f64 v[122:123], v[122:123], v[124:125], v[126:127]
	v_div_fixup_f64 v[124:125], v[122:123], v[118:119], v[120:121]
	v_fma_f64 v[118:119], v[120:121], v[124:125], v[118:119]
	v_div_scale_f64 v[120:121], null, v[118:119], v[118:119], 1.0
	v_rcp_f64_e32 v[122:123], v[120:121]
	v_fma_f64 v[126:127], -v[120:121], v[122:123], 1.0
	v_fma_f64 v[122:123], v[122:123], v[126:127], v[122:123]
	v_fma_f64 v[126:127], -v[120:121], v[122:123], 1.0
	v_fma_f64 v[122:123], v[122:123], v[126:127], v[122:123]
	v_div_scale_f64 v[126:127], vcc_lo, 1.0, v[118:119], 1.0
	v_mul_f64 v[128:129], v[126:127], v[122:123]
	v_fma_f64 v[120:121], -v[120:121], v[128:129], v[126:127]
	v_div_fmas_f64 v[120:121], v[120:121], v[122:123], v[128:129]
	v_div_fixup_f64 v[122:123], v[120:121], v[118:119], 1.0
	v_mul_f64 v[124:125], v[124:125], -v[122:123]
.LBB47_52:
	s_or_b32 exec_lo, exec_lo, s1
	ds_write2_b64 v1, v[122:123], v[124:125] offset1:1
.LBB47_53:
	s_or_b32 exec_lo, exec_lo, s2
	s_waitcnt lgkmcnt(0)
	s_barrier
	buffer_gl0_inv
	ds_read2_b64 v[118:121], v1 offset1:1
	s_mov_b32 s1, exec_lo
	v_cmpx_lt_u32_e32 5, v0
	s_cbranch_execz .LBB47_55
; %bb.54:
	s_waitcnt lgkmcnt(0)
	v_mul_f64 v[122:123], v[120:121], v[76:77]
	v_mul_f64 v[76:77], v[118:119], v[76:77]
	ds_read2_b64 v[124:127], v244 offset0:12 offset1:13
	v_fma_f64 v[122:123], v[118:119], v[74:75], -v[122:123]
	v_fma_f64 v[76:77], v[120:121], v[74:75], v[76:77]
	s_waitcnt lgkmcnt(0)
	v_mul_f64 v[74:75], v[126:127], v[76:77]
	v_fma_f64 v[74:75], v[124:125], v[122:123], -v[74:75]
	v_mul_f64 v[124:125], v[124:125], v[76:77]
	v_add_f64 v[70:71], v[70:71], -v[74:75]
	v_fma_f64 v[124:125], v[126:127], v[122:123], v[124:125]
	v_add_f64 v[72:73], v[72:73], -v[124:125]
	ds_read2_b64 v[124:127], v244 offset0:14 offset1:15
	s_waitcnt lgkmcnt(0)
	v_mul_f64 v[74:75], v[126:127], v[76:77]
	v_fma_f64 v[74:75], v[124:125], v[122:123], -v[74:75]
	v_mul_f64 v[124:125], v[124:125], v[76:77]
	v_add_f64 v[66:67], v[66:67], -v[74:75]
	v_fma_f64 v[124:125], v[126:127], v[122:123], v[124:125]
	v_add_f64 v[68:69], v[68:69], -v[124:125]
	ds_read2_b64 v[124:127], v244 offset0:16 offset1:17
	;; [unrolled: 8-line block ×17, first 2 shown]
	s_waitcnt lgkmcnt(0)
	v_mul_f64 v[74:75], v[126:127], v[76:77]
	v_fma_f64 v[74:75], v[124:125], v[122:123], -v[74:75]
	v_mul_f64 v[124:125], v[124:125], v[76:77]
	v_add_f64 v[2:3], v[2:3], -v[74:75]
	v_fma_f64 v[124:125], v[126:127], v[122:123], v[124:125]
	v_mov_b32_e32 v74, v122
	v_mov_b32_e32 v75, v123
	v_add_f64 v[4:5], v[4:5], -v[124:125]
.LBB47_55:
	s_or_b32 exec_lo, exec_lo, s1
	s_mov_b32 s2, exec_lo
	s_waitcnt lgkmcnt(0)
	s_barrier
	buffer_gl0_inv
	v_cmpx_eq_u32_e32 6, v0
	s_cbranch_execz .LBB47_62
; %bb.56:
	ds_write2_b64 v1, v[70:71], v[72:73] offset1:1
	ds_write2_b64 v244, v[66:67], v[68:69] offset0:14 offset1:15
	ds_write2_b64 v244, v[62:63], v[64:65] offset0:16 offset1:17
	;; [unrolled: 1-line block ×17, first 2 shown]
	ds_read2_b64 v[122:125], v1 offset1:1
	s_waitcnt lgkmcnt(0)
	v_cmp_neq_f64_e32 vcc_lo, 0, v[122:123]
	v_cmp_neq_f64_e64 s1, 0, v[124:125]
	s_or_b32 s1, vcc_lo, s1
	s_and_b32 exec_lo, exec_lo, s1
	s_cbranch_execz .LBB47_62
; %bb.57:
	v_cmp_ngt_f64_e64 s1, |v[122:123]|, |v[124:125]|
                                        ; implicit-def: $vgpr126_vgpr127
	s_and_saveexec_b32 s3, s1
	s_xor_b32 s1, exec_lo, s3
                                        ; implicit-def: $vgpr128_vgpr129
	s_cbranch_execz .LBB47_59
; %bb.58:
	v_div_scale_f64 v[126:127], null, v[124:125], v[124:125], v[122:123]
	v_div_scale_f64 v[132:133], vcc_lo, v[122:123], v[124:125], v[122:123]
	v_rcp_f64_e32 v[128:129], v[126:127]
	v_fma_f64 v[130:131], -v[126:127], v[128:129], 1.0
	v_fma_f64 v[128:129], v[128:129], v[130:131], v[128:129]
	v_fma_f64 v[130:131], -v[126:127], v[128:129], 1.0
	v_fma_f64 v[128:129], v[128:129], v[130:131], v[128:129]
	v_mul_f64 v[130:131], v[132:133], v[128:129]
	v_fma_f64 v[126:127], -v[126:127], v[130:131], v[132:133]
	v_div_fmas_f64 v[126:127], v[126:127], v[128:129], v[130:131]
	v_div_fixup_f64 v[126:127], v[126:127], v[124:125], v[122:123]
	v_fma_f64 v[122:123], v[122:123], v[126:127], v[124:125]
	v_div_scale_f64 v[124:125], null, v[122:123], v[122:123], 1.0
	v_rcp_f64_e32 v[128:129], v[124:125]
	v_fma_f64 v[130:131], -v[124:125], v[128:129], 1.0
	v_fma_f64 v[128:129], v[128:129], v[130:131], v[128:129]
	v_fma_f64 v[130:131], -v[124:125], v[128:129], 1.0
	v_fma_f64 v[128:129], v[128:129], v[130:131], v[128:129]
	v_div_scale_f64 v[130:131], vcc_lo, 1.0, v[122:123], 1.0
	v_mul_f64 v[132:133], v[130:131], v[128:129]
	v_fma_f64 v[124:125], -v[124:125], v[132:133], v[130:131]
	v_div_fmas_f64 v[124:125], v[124:125], v[128:129], v[132:133]
	v_div_fixup_f64 v[128:129], v[124:125], v[122:123], 1.0
                                        ; implicit-def: $vgpr122_vgpr123
	v_mul_f64 v[126:127], v[126:127], v[128:129]
	v_xor_b32_e32 v129, 0x80000000, v129
.LBB47_59:
	s_andn2_saveexec_b32 s1, s1
	s_cbranch_execz .LBB47_61
; %bb.60:
	v_div_scale_f64 v[126:127], null, v[122:123], v[122:123], v[124:125]
	v_div_scale_f64 v[132:133], vcc_lo, v[124:125], v[122:123], v[124:125]
	v_rcp_f64_e32 v[128:129], v[126:127]
	v_fma_f64 v[130:131], -v[126:127], v[128:129], 1.0
	v_fma_f64 v[128:129], v[128:129], v[130:131], v[128:129]
	v_fma_f64 v[130:131], -v[126:127], v[128:129], 1.0
	v_fma_f64 v[128:129], v[128:129], v[130:131], v[128:129]
	v_mul_f64 v[130:131], v[132:133], v[128:129]
	v_fma_f64 v[126:127], -v[126:127], v[130:131], v[132:133]
	v_div_fmas_f64 v[126:127], v[126:127], v[128:129], v[130:131]
	v_div_fixup_f64 v[128:129], v[126:127], v[122:123], v[124:125]
	v_fma_f64 v[122:123], v[124:125], v[128:129], v[122:123]
	v_div_scale_f64 v[124:125], null, v[122:123], v[122:123], 1.0
	v_rcp_f64_e32 v[126:127], v[124:125]
	v_fma_f64 v[130:131], -v[124:125], v[126:127], 1.0
	v_fma_f64 v[126:127], v[126:127], v[130:131], v[126:127]
	v_fma_f64 v[130:131], -v[124:125], v[126:127], 1.0
	v_fma_f64 v[126:127], v[126:127], v[130:131], v[126:127]
	v_div_scale_f64 v[130:131], vcc_lo, 1.0, v[122:123], 1.0
	v_mul_f64 v[132:133], v[130:131], v[126:127]
	v_fma_f64 v[124:125], -v[124:125], v[132:133], v[130:131]
	v_div_fmas_f64 v[124:125], v[124:125], v[126:127], v[132:133]
	v_div_fixup_f64 v[126:127], v[124:125], v[122:123], 1.0
	v_mul_f64 v[128:129], v[128:129], -v[126:127]
.LBB47_61:
	s_or_b32 exec_lo, exec_lo, s1
	ds_write2_b64 v1, v[126:127], v[128:129] offset1:1
.LBB47_62:
	s_or_b32 exec_lo, exec_lo, s2
	s_waitcnt lgkmcnt(0)
	s_barrier
	buffer_gl0_inv
	ds_read2_b64 v[122:125], v1 offset1:1
	s_mov_b32 s1, exec_lo
	v_cmpx_lt_u32_e32 6, v0
	s_cbranch_execz .LBB47_64
; %bb.63:
	s_waitcnt lgkmcnt(0)
	v_mul_f64 v[126:127], v[124:125], v[72:73]
	v_mul_f64 v[72:73], v[122:123], v[72:73]
	ds_read2_b64 v[128:131], v244 offset0:14 offset1:15
	v_fma_f64 v[126:127], v[122:123], v[70:71], -v[126:127]
	v_fma_f64 v[72:73], v[124:125], v[70:71], v[72:73]
	s_waitcnt lgkmcnt(0)
	v_mul_f64 v[70:71], v[130:131], v[72:73]
	v_fma_f64 v[70:71], v[128:129], v[126:127], -v[70:71]
	v_mul_f64 v[128:129], v[128:129], v[72:73]
	v_add_f64 v[66:67], v[66:67], -v[70:71]
	v_fma_f64 v[128:129], v[130:131], v[126:127], v[128:129]
	v_add_f64 v[68:69], v[68:69], -v[128:129]
	ds_read2_b64 v[128:131], v244 offset0:16 offset1:17
	s_waitcnt lgkmcnt(0)
	v_mul_f64 v[70:71], v[130:131], v[72:73]
	v_fma_f64 v[70:71], v[128:129], v[126:127], -v[70:71]
	v_mul_f64 v[128:129], v[128:129], v[72:73]
	v_add_f64 v[62:63], v[62:63], -v[70:71]
	v_fma_f64 v[128:129], v[130:131], v[126:127], v[128:129]
	v_add_f64 v[64:65], v[64:65], -v[128:129]
	ds_read2_b64 v[128:131], v244 offset0:18 offset1:19
	;; [unrolled: 8-line block ×16, first 2 shown]
	s_waitcnt lgkmcnt(0)
	v_mul_f64 v[70:71], v[130:131], v[72:73]
	v_fma_f64 v[70:71], v[128:129], v[126:127], -v[70:71]
	v_mul_f64 v[128:129], v[128:129], v[72:73]
	v_add_f64 v[2:3], v[2:3], -v[70:71]
	v_fma_f64 v[128:129], v[130:131], v[126:127], v[128:129]
	v_mov_b32_e32 v70, v126
	v_mov_b32_e32 v71, v127
	v_add_f64 v[4:5], v[4:5], -v[128:129]
.LBB47_64:
	s_or_b32 exec_lo, exec_lo, s1
	s_mov_b32 s2, exec_lo
	s_waitcnt lgkmcnt(0)
	s_barrier
	buffer_gl0_inv
	v_cmpx_eq_u32_e32 7, v0
	s_cbranch_execz .LBB47_71
; %bb.65:
	ds_write2_b64 v1, v[66:67], v[68:69] offset1:1
	ds_write2_b64 v244, v[62:63], v[64:65] offset0:16 offset1:17
	ds_write2_b64 v244, v[58:59], v[60:61] offset0:18 offset1:19
	ds_write2_b64 v244, v[54:55], v[56:57] offset0:20 offset1:21
	ds_write2_b64 v244, v[50:51], v[52:53] offset0:22 offset1:23
	ds_write2_b64 v244, v[46:47], v[48:49] offset0:24 offset1:25
	ds_write2_b64 v244, v[42:43], v[44:45] offset0:26 offset1:27
	ds_write2_b64 v244, v[38:39], v[40:41] offset0:28 offset1:29
	ds_write2_b64 v244, v[34:35], v[36:37] offset0:30 offset1:31
	ds_write2_b64 v244, v[30:31], v[32:33] offset0:32 offset1:33
	ds_write2_b64 v244, v[26:27], v[28:29] offset0:34 offset1:35
	ds_write2_b64 v244, v[22:23], v[24:25] offset0:36 offset1:37
	ds_write2_b64 v244, v[18:19], v[20:21] offset0:38 offset1:39
	ds_write2_b64 v244, v[14:15], v[16:17] offset0:40 offset1:41
	ds_write2_b64 v244, v[10:11], v[12:13] offset0:42 offset1:43
	ds_write2_b64 v244, v[6:7], v[8:9] offset0:44 offset1:45
	ds_write2_b64 v244, v[2:3], v[4:5] offset0:46 offset1:47
	ds_read2_b64 v[126:129], v1 offset1:1
	s_waitcnt lgkmcnt(0)
	v_cmp_neq_f64_e32 vcc_lo, 0, v[126:127]
	v_cmp_neq_f64_e64 s1, 0, v[128:129]
	s_or_b32 s1, vcc_lo, s1
	s_and_b32 exec_lo, exec_lo, s1
	s_cbranch_execz .LBB47_71
; %bb.66:
	v_cmp_ngt_f64_e64 s1, |v[126:127]|, |v[128:129]|
                                        ; implicit-def: $vgpr130_vgpr131
	s_and_saveexec_b32 s3, s1
	s_xor_b32 s1, exec_lo, s3
                                        ; implicit-def: $vgpr132_vgpr133
	s_cbranch_execz .LBB47_68
; %bb.67:
	v_div_scale_f64 v[130:131], null, v[128:129], v[128:129], v[126:127]
	v_div_scale_f64 v[136:137], vcc_lo, v[126:127], v[128:129], v[126:127]
	v_rcp_f64_e32 v[132:133], v[130:131]
	v_fma_f64 v[134:135], -v[130:131], v[132:133], 1.0
	v_fma_f64 v[132:133], v[132:133], v[134:135], v[132:133]
	v_fma_f64 v[134:135], -v[130:131], v[132:133], 1.0
	v_fma_f64 v[132:133], v[132:133], v[134:135], v[132:133]
	v_mul_f64 v[134:135], v[136:137], v[132:133]
	v_fma_f64 v[130:131], -v[130:131], v[134:135], v[136:137]
	v_div_fmas_f64 v[130:131], v[130:131], v[132:133], v[134:135]
	v_div_fixup_f64 v[130:131], v[130:131], v[128:129], v[126:127]
	v_fma_f64 v[126:127], v[126:127], v[130:131], v[128:129]
	v_div_scale_f64 v[128:129], null, v[126:127], v[126:127], 1.0
	v_rcp_f64_e32 v[132:133], v[128:129]
	v_fma_f64 v[134:135], -v[128:129], v[132:133], 1.0
	v_fma_f64 v[132:133], v[132:133], v[134:135], v[132:133]
	v_fma_f64 v[134:135], -v[128:129], v[132:133], 1.0
	v_fma_f64 v[132:133], v[132:133], v[134:135], v[132:133]
	v_div_scale_f64 v[134:135], vcc_lo, 1.0, v[126:127], 1.0
	v_mul_f64 v[136:137], v[134:135], v[132:133]
	v_fma_f64 v[128:129], -v[128:129], v[136:137], v[134:135]
	v_div_fmas_f64 v[128:129], v[128:129], v[132:133], v[136:137]
	v_div_fixup_f64 v[132:133], v[128:129], v[126:127], 1.0
                                        ; implicit-def: $vgpr126_vgpr127
	v_mul_f64 v[130:131], v[130:131], v[132:133]
	v_xor_b32_e32 v133, 0x80000000, v133
.LBB47_68:
	s_andn2_saveexec_b32 s1, s1
	s_cbranch_execz .LBB47_70
; %bb.69:
	v_div_scale_f64 v[130:131], null, v[126:127], v[126:127], v[128:129]
	v_div_scale_f64 v[136:137], vcc_lo, v[128:129], v[126:127], v[128:129]
	v_rcp_f64_e32 v[132:133], v[130:131]
	v_fma_f64 v[134:135], -v[130:131], v[132:133], 1.0
	v_fma_f64 v[132:133], v[132:133], v[134:135], v[132:133]
	v_fma_f64 v[134:135], -v[130:131], v[132:133], 1.0
	v_fma_f64 v[132:133], v[132:133], v[134:135], v[132:133]
	v_mul_f64 v[134:135], v[136:137], v[132:133]
	v_fma_f64 v[130:131], -v[130:131], v[134:135], v[136:137]
	v_div_fmas_f64 v[130:131], v[130:131], v[132:133], v[134:135]
	v_div_fixup_f64 v[132:133], v[130:131], v[126:127], v[128:129]
	v_fma_f64 v[126:127], v[128:129], v[132:133], v[126:127]
	v_div_scale_f64 v[128:129], null, v[126:127], v[126:127], 1.0
	v_rcp_f64_e32 v[130:131], v[128:129]
	v_fma_f64 v[134:135], -v[128:129], v[130:131], 1.0
	v_fma_f64 v[130:131], v[130:131], v[134:135], v[130:131]
	v_fma_f64 v[134:135], -v[128:129], v[130:131], 1.0
	v_fma_f64 v[130:131], v[130:131], v[134:135], v[130:131]
	v_div_scale_f64 v[134:135], vcc_lo, 1.0, v[126:127], 1.0
	v_mul_f64 v[136:137], v[134:135], v[130:131]
	v_fma_f64 v[128:129], -v[128:129], v[136:137], v[134:135]
	v_div_fmas_f64 v[128:129], v[128:129], v[130:131], v[136:137]
	v_div_fixup_f64 v[130:131], v[128:129], v[126:127], 1.0
	v_mul_f64 v[132:133], v[132:133], -v[130:131]
.LBB47_70:
	s_or_b32 exec_lo, exec_lo, s1
	ds_write2_b64 v1, v[130:131], v[132:133] offset1:1
.LBB47_71:
	s_or_b32 exec_lo, exec_lo, s2
	s_waitcnt lgkmcnt(0)
	s_barrier
	buffer_gl0_inv
	ds_read2_b64 v[126:129], v1 offset1:1
	s_mov_b32 s1, exec_lo
	v_cmpx_lt_u32_e32 7, v0
	s_cbranch_execz .LBB47_73
; %bb.72:
	s_waitcnt lgkmcnt(0)
	v_mul_f64 v[130:131], v[126:127], v[68:69]
	v_mul_f64 v[68:69], v[128:129], v[68:69]
	ds_read2_b64 v[132:135], v244 offset0:16 offset1:17
	v_fma_f64 v[130:131], v[128:129], v[66:67], v[130:131]
	v_fma_f64 v[66:67], v[126:127], v[66:67], -v[68:69]
	s_waitcnt lgkmcnt(0)
	v_mul_f64 v[68:69], v[134:135], v[130:131]
	v_fma_f64 v[68:69], v[132:133], v[66:67], -v[68:69]
	v_mul_f64 v[132:133], v[132:133], v[130:131]
	v_add_f64 v[62:63], v[62:63], -v[68:69]
	v_fma_f64 v[132:133], v[134:135], v[66:67], v[132:133]
	v_add_f64 v[64:65], v[64:65], -v[132:133]
	ds_read2_b64 v[132:135], v244 offset0:18 offset1:19
	s_waitcnt lgkmcnt(0)
	v_mul_f64 v[68:69], v[134:135], v[130:131]
	v_fma_f64 v[68:69], v[132:133], v[66:67], -v[68:69]
	v_mul_f64 v[132:133], v[132:133], v[130:131]
	v_add_f64 v[58:59], v[58:59], -v[68:69]
	v_fma_f64 v[132:133], v[134:135], v[66:67], v[132:133]
	v_add_f64 v[60:61], v[60:61], -v[132:133]
	ds_read2_b64 v[132:135], v244 offset0:20 offset1:21
	;; [unrolled: 8-line block ×15, first 2 shown]
	s_waitcnt lgkmcnt(0)
	v_mul_f64 v[68:69], v[134:135], v[130:131]
	v_fma_f64 v[68:69], v[132:133], v[66:67], -v[68:69]
	v_mul_f64 v[132:133], v[132:133], v[130:131]
	v_add_f64 v[2:3], v[2:3], -v[68:69]
	v_fma_f64 v[132:133], v[134:135], v[66:67], v[132:133]
	v_mov_b32_e32 v68, v130
	v_mov_b32_e32 v69, v131
	v_add_f64 v[4:5], v[4:5], -v[132:133]
.LBB47_73:
	s_or_b32 exec_lo, exec_lo, s1
	s_mov_b32 s2, exec_lo
	s_waitcnt lgkmcnt(0)
	s_barrier
	buffer_gl0_inv
	v_cmpx_eq_u32_e32 8, v0
	s_cbranch_execz .LBB47_80
; %bb.74:
	ds_write2_b64 v1, v[62:63], v[64:65] offset1:1
	ds_write2_b64 v244, v[58:59], v[60:61] offset0:18 offset1:19
	ds_write2_b64 v244, v[54:55], v[56:57] offset0:20 offset1:21
	;; [unrolled: 1-line block ×15, first 2 shown]
	ds_read2_b64 v[130:133], v1 offset1:1
	s_waitcnt lgkmcnt(0)
	v_cmp_neq_f64_e32 vcc_lo, 0, v[130:131]
	v_cmp_neq_f64_e64 s1, 0, v[132:133]
	s_or_b32 s1, vcc_lo, s1
	s_and_b32 exec_lo, exec_lo, s1
	s_cbranch_execz .LBB47_80
; %bb.75:
	v_cmp_ngt_f64_e64 s1, |v[130:131]|, |v[132:133]|
                                        ; implicit-def: $vgpr134_vgpr135
	s_and_saveexec_b32 s3, s1
	s_xor_b32 s1, exec_lo, s3
                                        ; implicit-def: $vgpr136_vgpr137
	s_cbranch_execz .LBB47_77
; %bb.76:
	v_div_scale_f64 v[134:135], null, v[132:133], v[132:133], v[130:131]
	v_div_scale_f64 v[140:141], vcc_lo, v[130:131], v[132:133], v[130:131]
	v_rcp_f64_e32 v[136:137], v[134:135]
	v_fma_f64 v[138:139], -v[134:135], v[136:137], 1.0
	v_fma_f64 v[136:137], v[136:137], v[138:139], v[136:137]
	v_fma_f64 v[138:139], -v[134:135], v[136:137], 1.0
	v_fma_f64 v[136:137], v[136:137], v[138:139], v[136:137]
	v_mul_f64 v[138:139], v[140:141], v[136:137]
	v_fma_f64 v[134:135], -v[134:135], v[138:139], v[140:141]
	v_div_fmas_f64 v[134:135], v[134:135], v[136:137], v[138:139]
	v_div_fixup_f64 v[134:135], v[134:135], v[132:133], v[130:131]
	v_fma_f64 v[130:131], v[130:131], v[134:135], v[132:133]
	v_div_scale_f64 v[132:133], null, v[130:131], v[130:131], 1.0
	v_rcp_f64_e32 v[136:137], v[132:133]
	v_fma_f64 v[138:139], -v[132:133], v[136:137], 1.0
	v_fma_f64 v[136:137], v[136:137], v[138:139], v[136:137]
	v_fma_f64 v[138:139], -v[132:133], v[136:137], 1.0
	v_fma_f64 v[136:137], v[136:137], v[138:139], v[136:137]
	v_div_scale_f64 v[138:139], vcc_lo, 1.0, v[130:131], 1.0
	v_mul_f64 v[140:141], v[138:139], v[136:137]
	v_fma_f64 v[132:133], -v[132:133], v[140:141], v[138:139]
	v_div_fmas_f64 v[132:133], v[132:133], v[136:137], v[140:141]
	v_div_fixup_f64 v[136:137], v[132:133], v[130:131], 1.0
                                        ; implicit-def: $vgpr130_vgpr131
	v_mul_f64 v[134:135], v[134:135], v[136:137]
	v_xor_b32_e32 v137, 0x80000000, v137
.LBB47_77:
	s_andn2_saveexec_b32 s1, s1
	s_cbranch_execz .LBB47_79
; %bb.78:
	v_div_scale_f64 v[134:135], null, v[130:131], v[130:131], v[132:133]
	v_div_scale_f64 v[140:141], vcc_lo, v[132:133], v[130:131], v[132:133]
	v_rcp_f64_e32 v[136:137], v[134:135]
	v_fma_f64 v[138:139], -v[134:135], v[136:137], 1.0
	v_fma_f64 v[136:137], v[136:137], v[138:139], v[136:137]
	v_fma_f64 v[138:139], -v[134:135], v[136:137], 1.0
	v_fma_f64 v[136:137], v[136:137], v[138:139], v[136:137]
	v_mul_f64 v[138:139], v[140:141], v[136:137]
	v_fma_f64 v[134:135], -v[134:135], v[138:139], v[140:141]
	v_div_fmas_f64 v[134:135], v[134:135], v[136:137], v[138:139]
	v_div_fixup_f64 v[136:137], v[134:135], v[130:131], v[132:133]
	v_fma_f64 v[130:131], v[132:133], v[136:137], v[130:131]
	v_div_scale_f64 v[132:133], null, v[130:131], v[130:131], 1.0
	v_rcp_f64_e32 v[134:135], v[132:133]
	v_fma_f64 v[138:139], -v[132:133], v[134:135], 1.0
	v_fma_f64 v[134:135], v[134:135], v[138:139], v[134:135]
	v_fma_f64 v[138:139], -v[132:133], v[134:135], 1.0
	v_fma_f64 v[134:135], v[134:135], v[138:139], v[134:135]
	v_div_scale_f64 v[138:139], vcc_lo, 1.0, v[130:131], 1.0
	v_mul_f64 v[140:141], v[138:139], v[134:135]
	v_fma_f64 v[132:133], -v[132:133], v[140:141], v[138:139]
	v_div_fmas_f64 v[132:133], v[132:133], v[134:135], v[140:141]
	v_div_fixup_f64 v[134:135], v[132:133], v[130:131], 1.0
	v_mul_f64 v[136:137], v[136:137], -v[134:135]
.LBB47_79:
	s_or_b32 exec_lo, exec_lo, s1
	ds_write2_b64 v1, v[134:135], v[136:137] offset1:1
.LBB47_80:
	s_or_b32 exec_lo, exec_lo, s2
	s_waitcnt lgkmcnt(0)
	s_barrier
	buffer_gl0_inv
	ds_read2_b64 v[130:133], v1 offset1:1
	s_mov_b32 s1, exec_lo
	v_cmpx_lt_u32_e32 8, v0
	s_cbranch_execz .LBB47_82
; %bb.81:
	s_waitcnt lgkmcnt(0)
	v_mul_f64 v[134:135], v[130:131], v[64:65]
	v_mul_f64 v[64:65], v[132:133], v[64:65]
	ds_read2_b64 v[136:139], v244 offset0:18 offset1:19
	v_fma_f64 v[134:135], v[132:133], v[62:63], v[134:135]
	v_fma_f64 v[62:63], v[130:131], v[62:63], -v[64:65]
	s_waitcnt lgkmcnt(0)
	v_mul_f64 v[64:65], v[138:139], v[134:135]
	v_fma_f64 v[64:65], v[136:137], v[62:63], -v[64:65]
	v_mul_f64 v[136:137], v[136:137], v[134:135]
	v_add_f64 v[58:59], v[58:59], -v[64:65]
	v_fma_f64 v[136:137], v[138:139], v[62:63], v[136:137]
	v_add_f64 v[60:61], v[60:61], -v[136:137]
	ds_read2_b64 v[136:139], v244 offset0:20 offset1:21
	s_waitcnt lgkmcnt(0)
	v_mul_f64 v[64:65], v[138:139], v[134:135]
	v_fma_f64 v[64:65], v[136:137], v[62:63], -v[64:65]
	v_mul_f64 v[136:137], v[136:137], v[134:135]
	v_add_f64 v[54:55], v[54:55], -v[64:65]
	v_fma_f64 v[136:137], v[138:139], v[62:63], v[136:137]
	v_add_f64 v[56:57], v[56:57], -v[136:137]
	ds_read2_b64 v[136:139], v244 offset0:22 offset1:23
	;; [unrolled: 8-line block ×14, first 2 shown]
	s_waitcnt lgkmcnt(0)
	v_mul_f64 v[64:65], v[138:139], v[134:135]
	v_fma_f64 v[64:65], v[136:137], v[62:63], -v[64:65]
	v_mul_f64 v[136:137], v[136:137], v[134:135]
	v_add_f64 v[2:3], v[2:3], -v[64:65]
	v_fma_f64 v[136:137], v[138:139], v[62:63], v[136:137]
	v_mov_b32_e32 v64, v134
	v_mov_b32_e32 v65, v135
	v_add_f64 v[4:5], v[4:5], -v[136:137]
.LBB47_82:
	s_or_b32 exec_lo, exec_lo, s1
	s_mov_b32 s2, exec_lo
	s_waitcnt lgkmcnt(0)
	s_barrier
	buffer_gl0_inv
	v_cmpx_eq_u32_e32 9, v0
	s_cbranch_execz .LBB47_89
; %bb.83:
	ds_write2_b64 v1, v[58:59], v[60:61] offset1:1
	ds_write2_b64 v244, v[54:55], v[56:57] offset0:20 offset1:21
	ds_write2_b64 v244, v[50:51], v[52:53] offset0:22 offset1:23
	;; [unrolled: 1-line block ×14, first 2 shown]
	ds_read2_b64 v[134:137], v1 offset1:1
	s_waitcnt lgkmcnt(0)
	v_cmp_neq_f64_e32 vcc_lo, 0, v[134:135]
	v_cmp_neq_f64_e64 s1, 0, v[136:137]
	s_or_b32 s1, vcc_lo, s1
	s_and_b32 exec_lo, exec_lo, s1
	s_cbranch_execz .LBB47_89
; %bb.84:
	v_cmp_ngt_f64_e64 s1, |v[134:135]|, |v[136:137]|
                                        ; implicit-def: $vgpr138_vgpr139
	s_and_saveexec_b32 s3, s1
	s_xor_b32 s1, exec_lo, s3
                                        ; implicit-def: $vgpr140_vgpr141
	s_cbranch_execz .LBB47_86
; %bb.85:
	v_div_scale_f64 v[138:139], null, v[136:137], v[136:137], v[134:135]
	v_div_scale_f64 v[144:145], vcc_lo, v[134:135], v[136:137], v[134:135]
	v_rcp_f64_e32 v[140:141], v[138:139]
	v_fma_f64 v[142:143], -v[138:139], v[140:141], 1.0
	v_fma_f64 v[140:141], v[140:141], v[142:143], v[140:141]
	v_fma_f64 v[142:143], -v[138:139], v[140:141], 1.0
	v_fma_f64 v[140:141], v[140:141], v[142:143], v[140:141]
	v_mul_f64 v[142:143], v[144:145], v[140:141]
	v_fma_f64 v[138:139], -v[138:139], v[142:143], v[144:145]
	v_div_fmas_f64 v[138:139], v[138:139], v[140:141], v[142:143]
	v_div_fixup_f64 v[138:139], v[138:139], v[136:137], v[134:135]
	v_fma_f64 v[134:135], v[134:135], v[138:139], v[136:137]
	v_div_scale_f64 v[136:137], null, v[134:135], v[134:135], 1.0
	v_rcp_f64_e32 v[140:141], v[136:137]
	v_fma_f64 v[142:143], -v[136:137], v[140:141], 1.0
	v_fma_f64 v[140:141], v[140:141], v[142:143], v[140:141]
	v_fma_f64 v[142:143], -v[136:137], v[140:141], 1.0
	v_fma_f64 v[140:141], v[140:141], v[142:143], v[140:141]
	v_div_scale_f64 v[142:143], vcc_lo, 1.0, v[134:135], 1.0
	v_mul_f64 v[144:145], v[142:143], v[140:141]
	v_fma_f64 v[136:137], -v[136:137], v[144:145], v[142:143]
	v_div_fmas_f64 v[136:137], v[136:137], v[140:141], v[144:145]
	v_div_fixup_f64 v[140:141], v[136:137], v[134:135], 1.0
                                        ; implicit-def: $vgpr134_vgpr135
	v_mul_f64 v[138:139], v[138:139], v[140:141]
	v_xor_b32_e32 v141, 0x80000000, v141
.LBB47_86:
	s_andn2_saveexec_b32 s1, s1
	s_cbranch_execz .LBB47_88
; %bb.87:
	v_div_scale_f64 v[138:139], null, v[134:135], v[134:135], v[136:137]
	v_div_scale_f64 v[144:145], vcc_lo, v[136:137], v[134:135], v[136:137]
	v_rcp_f64_e32 v[140:141], v[138:139]
	v_fma_f64 v[142:143], -v[138:139], v[140:141], 1.0
	v_fma_f64 v[140:141], v[140:141], v[142:143], v[140:141]
	v_fma_f64 v[142:143], -v[138:139], v[140:141], 1.0
	v_fma_f64 v[140:141], v[140:141], v[142:143], v[140:141]
	v_mul_f64 v[142:143], v[144:145], v[140:141]
	v_fma_f64 v[138:139], -v[138:139], v[142:143], v[144:145]
	v_div_fmas_f64 v[138:139], v[138:139], v[140:141], v[142:143]
	v_div_fixup_f64 v[140:141], v[138:139], v[134:135], v[136:137]
	v_fma_f64 v[134:135], v[136:137], v[140:141], v[134:135]
	v_div_scale_f64 v[136:137], null, v[134:135], v[134:135], 1.0
	v_rcp_f64_e32 v[138:139], v[136:137]
	v_fma_f64 v[142:143], -v[136:137], v[138:139], 1.0
	v_fma_f64 v[138:139], v[138:139], v[142:143], v[138:139]
	v_fma_f64 v[142:143], -v[136:137], v[138:139], 1.0
	v_fma_f64 v[138:139], v[138:139], v[142:143], v[138:139]
	v_div_scale_f64 v[142:143], vcc_lo, 1.0, v[134:135], 1.0
	v_mul_f64 v[144:145], v[142:143], v[138:139]
	v_fma_f64 v[136:137], -v[136:137], v[144:145], v[142:143]
	v_div_fmas_f64 v[136:137], v[136:137], v[138:139], v[144:145]
	v_div_fixup_f64 v[138:139], v[136:137], v[134:135], 1.0
	v_mul_f64 v[140:141], v[140:141], -v[138:139]
.LBB47_88:
	s_or_b32 exec_lo, exec_lo, s1
	ds_write2_b64 v1, v[138:139], v[140:141] offset1:1
.LBB47_89:
	s_or_b32 exec_lo, exec_lo, s2
	s_waitcnt lgkmcnt(0)
	s_barrier
	buffer_gl0_inv
	ds_read2_b64 v[134:137], v1 offset1:1
	s_mov_b32 s1, exec_lo
	v_cmpx_lt_u32_e32 9, v0
	s_cbranch_execz .LBB47_91
; %bb.90:
	s_waitcnt lgkmcnt(0)
	v_mul_f64 v[138:139], v[134:135], v[60:61]
	v_mul_f64 v[60:61], v[136:137], v[60:61]
	v_fma_f64 v[142:143], v[136:137], v[58:59], v[138:139]
	ds_read2_b64 v[138:141], v244 offset0:20 offset1:21
	v_fma_f64 v[58:59], v[134:135], v[58:59], -v[60:61]
	s_waitcnt lgkmcnt(0)
	v_mul_f64 v[60:61], v[140:141], v[142:143]
	v_fma_f64 v[60:61], v[138:139], v[58:59], -v[60:61]
	v_mul_f64 v[138:139], v[138:139], v[142:143]
	v_add_f64 v[54:55], v[54:55], -v[60:61]
	v_fma_f64 v[138:139], v[140:141], v[58:59], v[138:139]
	v_add_f64 v[56:57], v[56:57], -v[138:139]
	ds_read2_b64 v[138:141], v244 offset0:22 offset1:23
	s_waitcnt lgkmcnt(0)
	v_mul_f64 v[60:61], v[140:141], v[142:143]
	v_fma_f64 v[60:61], v[138:139], v[58:59], -v[60:61]
	v_mul_f64 v[138:139], v[138:139], v[142:143]
	v_add_f64 v[50:51], v[50:51], -v[60:61]
	v_fma_f64 v[138:139], v[140:141], v[58:59], v[138:139]
	v_add_f64 v[52:53], v[52:53], -v[138:139]
	ds_read2_b64 v[138:141], v244 offset0:24 offset1:25
	;; [unrolled: 8-line block ×13, first 2 shown]
	s_waitcnt lgkmcnt(0)
	v_mul_f64 v[60:61], v[140:141], v[142:143]
	v_fma_f64 v[60:61], v[138:139], v[58:59], -v[60:61]
	v_mul_f64 v[138:139], v[138:139], v[142:143]
	v_add_f64 v[2:3], v[2:3], -v[60:61]
	v_fma_f64 v[138:139], v[140:141], v[58:59], v[138:139]
	v_mov_b32_e32 v60, v142
	v_mov_b32_e32 v61, v143
	v_add_f64 v[4:5], v[4:5], -v[138:139]
.LBB47_91:
	s_or_b32 exec_lo, exec_lo, s1
	s_mov_b32 s2, exec_lo
	s_waitcnt lgkmcnt(0)
	s_barrier
	buffer_gl0_inv
	v_cmpx_eq_u32_e32 10, v0
	s_cbranch_execz .LBB47_98
; %bb.92:
	ds_write2_b64 v1, v[54:55], v[56:57] offset1:1
	ds_write2_b64 v244, v[50:51], v[52:53] offset0:22 offset1:23
	ds_write2_b64 v244, v[46:47], v[48:49] offset0:24 offset1:25
	;; [unrolled: 1-line block ×13, first 2 shown]
	ds_read2_b64 v[138:141], v1 offset1:1
	s_waitcnt lgkmcnt(0)
	v_cmp_neq_f64_e32 vcc_lo, 0, v[138:139]
	v_cmp_neq_f64_e64 s1, 0, v[140:141]
	s_or_b32 s1, vcc_lo, s1
	s_and_b32 exec_lo, exec_lo, s1
	s_cbranch_execz .LBB47_98
; %bb.93:
	v_cmp_ngt_f64_e64 s1, |v[138:139]|, |v[140:141]|
                                        ; implicit-def: $vgpr142_vgpr143
	s_and_saveexec_b32 s3, s1
	s_xor_b32 s1, exec_lo, s3
                                        ; implicit-def: $vgpr144_vgpr145
	s_cbranch_execz .LBB47_95
; %bb.94:
	v_div_scale_f64 v[142:143], null, v[140:141], v[140:141], v[138:139]
	v_div_scale_f64 v[148:149], vcc_lo, v[138:139], v[140:141], v[138:139]
	v_rcp_f64_e32 v[144:145], v[142:143]
	v_fma_f64 v[146:147], -v[142:143], v[144:145], 1.0
	v_fma_f64 v[144:145], v[144:145], v[146:147], v[144:145]
	v_fma_f64 v[146:147], -v[142:143], v[144:145], 1.0
	v_fma_f64 v[144:145], v[144:145], v[146:147], v[144:145]
	v_mul_f64 v[146:147], v[148:149], v[144:145]
	v_fma_f64 v[142:143], -v[142:143], v[146:147], v[148:149]
	v_div_fmas_f64 v[142:143], v[142:143], v[144:145], v[146:147]
	v_div_fixup_f64 v[142:143], v[142:143], v[140:141], v[138:139]
	v_fma_f64 v[138:139], v[138:139], v[142:143], v[140:141]
	v_div_scale_f64 v[140:141], null, v[138:139], v[138:139], 1.0
	v_rcp_f64_e32 v[144:145], v[140:141]
	v_fma_f64 v[146:147], -v[140:141], v[144:145], 1.0
	v_fma_f64 v[144:145], v[144:145], v[146:147], v[144:145]
	v_fma_f64 v[146:147], -v[140:141], v[144:145], 1.0
	v_fma_f64 v[144:145], v[144:145], v[146:147], v[144:145]
	v_div_scale_f64 v[146:147], vcc_lo, 1.0, v[138:139], 1.0
	v_mul_f64 v[148:149], v[146:147], v[144:145]
	v_fma_f64 v[140:141], -v[140:141], v[148:149], v[146:147]
	v_div_fmas_f64 v[140:141], v[140:141], v[144:145], v[148:149]
	v_div_fixup_f64 v[144:145], v[140:141], v[138:139], 1.0
                                        ; implicit-def: $vgpr138_vgpr139
	v_mul_f64 v[142:143], v[142:143], v[144:145]
	v_xor_b32_e32 v145, 0x80000000, v145
.LBB47_95:
	s_andn2_saveexec_b32 s1, s1
	s_cbranch_execz .LBB47_97
; %bb.96:
	v_div_scale_f64 v[142:143], null, v[138:139], v[138:139], v[140:141]
	v_div_scale_f64 v[148:149], vcc_lo, v[140:141], v[138:139], v[140:141]
	v_rcp_f64_e32 v[144:145], v[142:143]
	v_fma_f64 v[146:147], -v[142:143], v[144:145], 1.0
	v_fma_f64 v[144:145], v[144:145], v[146:147], v[144:145]
	v_fma_f64 v[146:147], -v[142:143], v[144:145], 1.0
	v_fma_f64 v[144:145], v[144:145], v[146:147], v[144:145]
	v_mul_f64 v[146:147], v[148:149], v[144:145]
	v_fma_f64 v[142:143], -v[142:143], v[146:147], v[148:149]
	v_div_fmas_f64 v[142:143], v[142:143], v[144:145], v[146:147]
	v_div_fixup_f64 v[144:145], v[142:143], v[138:139], v[140:141]
	v_fma_f64 v[138:139], v[140:141], v[144:145], v[138:139]
	v_div_scale_f64 v[140:141], null, v[138:139], v[138:139], 1.0
	v_rcp_f64_e32 v[142:143], v[140:141]
	v_fma_f64 v[146:147], -v[140:141], v[142:143], 1.0
	v_fma_f64 v[142:143], v[142:143], v[146:147], v[142:143]
	v_fma_f64 v[146:147], -v[140:141], v[142:143], 1.0
	v_fma_f64 v[142:143], v[142:143], v[146:147], v[142:143]
	v_div_scale_f64 v[146:147], vcc_lo, 1.0, v[138:139], 1.0
	v_mul_f64 v[148:149], v[146:147], v[142:143]
	v_fma_f64 v[140:141], -v[140:141], v[148:149], v[146:147]
	v_div_fmas_f64 v[140:141], v[140:141], v[142:143], v[148:149]
	v_div_fixup_f64 v[142:143], v[140:141], v[138:139], 1.0
	v_mul_f64 v[144:145], v[144:145], -v[142:143]
.LBB47_97:
	s_or_b32 exec_lo, exec_lo, s1
	ds_write2_b64 v1, v[142:143], v[144:145] offset1:1
.LBB47_98:
	s_or_b32 exec_lo, exec_lo, s2
	s_waitcnt lgkmcnt(0)
	s_barrier
	buffer_gl0_inv
	ds_read2_b64 v[138:141], v1 offset1:1
	s_mov_b32 s1, exec_lo
	v_cmpx_lt_u32_e32 10, v0
	s_cbranch_execz .LBB47_100
; %bb.99:
	s_waitcnt lgkmcnt(0)
	v_mul_f64 v[142:143], v[138:139], v[56:57]
	v_mul_f64 v[56:57], v[140:141], v[56:57]
	v_fma_f64 v[146:147], v[140:141], v[54:55], v[142:143]
	ds_read2_b64 v[142:145], v244 offset0:22 offset1:23
	v_fma_f64 v[54:55], v[138:139], v[54:55], -v[56:57]
	s_waitcnt lgkmcnt(0)
	v_mul_f64 v[56:57], v[144:145], v[146:147]
	v_fma_f64 v[56:57], v[142:143], v[54:55], -v[56:57]
	v_mul_f64 v[142:143], v[142:143], v[146:147]
	v_add_f64 v[50:51], v[50:51], -v[56:57]
	v_fma_f64 v[142:143], v[144:145], v[54:55], v[142:143]
	v_add_f64 v[52:53], v[52:53], -v[142:143]
	ds_read2_b64 v[142:145], v244 offset0:24 offset1:25
	s_waitcnt lgkmcnt(0)
	v_mul_f64 v[56:57], v[144:145], v[146:147]
	v_fma_f64 v[56:57], v[142:143], v[54:55], -v[56:57]
	v_mul_f64 v[142:143], v[142:143], v[146:147]
	v_add_f64 v[46:47], v[46:47], -v[56:57]
	v_fma_f64 v[142:143], v[144:145], v[54:55], v[142:143]
	v_add_f64 v[48:49], v[48:49], -v[142:143]
	ds_read2_b64 v[142:145], v244 offset0:26 offset1:27
	;; [unrolled: 8-line block ×12, first 2 shown]
	s_waitcnt lgkmcnt(0)
	v_mul_f64 v[56:57], v[144:145], v[146:147]
	v_fma_f64 v[56:57], v[142:143], v[54:55], -v[56:57]
	v_mul_f64 v[142:143], v[142:143], v[146:147]
	v_add_f64 v[2:3], v[2:3], -v[56:57]
	v_fma_f64 v[142:143], v[144:145], v[54:55], v[142:143]
	v_mov_b32_e32 v56, v146
	v_mov_b32_e32 v57, v147
	v_add_f64 v[4:5], v[4:5], -v[142:143]
.LBB47_100:
	s_or_b32 exec_lo, exec_lo, s1
	s_mov_b32 s2, exec_lo
	s_waitcnt lgkmcnt(0)
	s_barrier
	buffer_gl0_inv
	v_cmpx_eq_u32_e32 11, v0
	s_cbranch_execz .LBB47_107
; %bb.101:
	ds_write2_b64 v1, v[50:51], v[52:53] offset1:1
	ds_write2_b64 v244, v[46:47], v[48:49] offset0:24 offset1:25
	ds_write2_b64 v244, v[42:43], v[44:45] offset0:26 offset1:27
	;; [unrolled: 1-line block ×12, first 2 shown]
	ds_read2_b64 v[142:145], v1 offset1:1
	s_waitcnt lgkmcnt(0)
	v_cmp_neq_f64_e32 vcc_lo, 0, v[142:143]
	v_cmp_neq_f64_e64 s1, 0, v[144:145]
	s_or_b32 s1, vcc_lo, s1
	s_and_b32 exec_lo, exec_lo, s1
	s_cbranch_execz .LBB47_107
; %bb.102:
	v_cmp_ngt_f64_e64 s1, |v[142:143]|, |v[144:145]|
                                        ; implicit-def: $vgpr146_vgpr147
	s_and_saveexec_b32 s3, s1
	s_xor_b32 s1, exec_lo, s3
                                        ; implicit-def: $vgpr148_vgpr149
	s_cbranch_execz .LBB47_104
; %bb.103:
	v_div_scale_f64 v[146:147], null, v[144:145], v[144:145], v[142:143]
	v_div_scale_f64 v[152:153], vcc_lo, v[142:143], v[144:145], v[142:143]
	v_rcp_f64_e32 v[148:149], v[146:147]
	v_fma_f64 v[150:151], -v[146:147], v[148:149], 1.0
	v_fma_f64 v[148:149], v[148:149], v[150:151], v[148:149]
	v_fma_f64 v[150:151], -v[146:147], v[148:149], 1.0
	v_fma_f64 v[148:149], v[148:149], v[150:151], v[148:149]
	v_mul_f64 v[150:151], v[152:153], v[148:149]
	v_fma_f64 v[146:147], -v[146:147], v[150:151], v[152:153]
	v_div_fmas_f64 v[146:147], v[146:147], v[148:149], v[150:151]
	v_div_fixup_f64 v[146:147], v[146:147], v[144:145], v[142:143]
	v_fma_f64 v[142:143], v[142:143], v[146:147], v[144:145]
	v_div_scale_f64 v[144:145], null, v[142:143], v[142:143], 1.0
	v_rcp_f64_e32 v[148:149], v[144:145]
	v_fma_f64 v[150:151], -v[144:145], v[148:149], 1.0
	v_fma_f64 v[148:149], v[148:149], v[150:151], v[148:149]
	v_fma_f64 v[150:151], -v[144:145], v[148:149], 1.0
	v_fma_f64 v[148:149], v[148:149], v[150:151], v[148:149]
	v_div_scale_f64 v[150:151], vcc_lo, 1.0, v[142:143], 1.0
	v_mul_f64 v[152:153], v[150:151], v[148:149]
	v_fma_f64 v[144:145], -v[144:145], v[152:153], v[150:151]
	v_div_fmas_f64 v[144:145], v[144:145], v[148:149], v[152:153]
	v_div_fixup_f64 v[148:149], v[144:145], v[142:143], 1.0
                                        ; implicit-def: $vgpr142_vgpr143
	v_mul_f64 v[146:147], v[146:147], v[148:149]
	v_xor_b32_e32 v149, 0x80000000, v149
.LBB47_104:
	s_andn2_saveexec_b32 s1, s1
	s_cbranch_execz .LBB47_106
; %bb.105:
	v_div_scale_f64 v[146:147], null, v[142:143], v[142:143], v[144:145]
	v_div_scale_f64 v[152:153], vcc_lo, v[144:145], v[142:143], v[144:145]
	v_rcp_f64_e32 v[148:149], v[146:147]
	v_fma_f64 v[150:151], -v[146:147], v[148:149], 1.0
	v_fma_f64 v[148:149], v[148:149], v[150:151], v[148:149]
	v_fma_f64 v[150:151], -v[146:147], v[148:149], 1.0
	v_fma_f64 v[148:149], v[148:149], v[150:151], v[148:149]
	v_mul_f64 v[150:151], v[152:153], v[148:149]
	v_fma_f64 v[146:147], -v[146:147], v[150:151], v[152:153]
	v_div_fmas_f64 v[146:147], v[146:147], v[148:149], v[150:151]
	v_div_fixup_f64 v[148:149], v[146:147], v[142:143], v[144:145]
	v_fma_f64 v[142:143], v[144:145], v[148:149], v[142:143]
	v_div_scale_f64 v[144:145], null, v[142:143], v[142:143], 1.0
	v_rcp_f64_e32 v[146:147], v[144:145]
	v_fma_f64 v[150:151], -v[144:145], v[146:147], 1.0
	v_fma_f64 v[146:147], v[146:147], v[150:151], v[146:147]
	v_fma_f64 v[150:151], -v[144:145], v[146:147], 1.0
	v_fma_f64 v[146:147], v[146:147], v[150:151], v[146:147]
	v_div_scale_f64 v[150:151], vcc_lo, 1.0, v[142:143], 1.0
	v_mul_f64 v[152:153], v[150:151], v[146:147]
	v_fma_f64 v[144:145], -v[144:145], v[152:153], v[150:151]
	v_div_fmas_f64 v[144:145], v[144:145], v[146:147], v[152:153]
	v_div_fixup_f64 v[146:147], v[144:145], v[142:143], 1.0
	v_mul_f64 v[148:149], v[148:149], -v[146:147]
.LBB47_106:
	s_or_b32 exec_lo, exec_lo, s1
	ds_write2_b64 v1, v[146:147], v[148:149] offset1:1
.LBB47_107:
	s_or_b32 exec_lo, exec_lo, s2
	s_waitcnt lgkmcnt(0)
	s_barrier
	buffer_gl0_inv
	ds_read2_b64 v[142:145], v1 offset1:1
	s_mov_b32 s1, exec_lo
	v_cmpx_lt_u32_e32 11, v0
	s_cbranch_execz .LBB47_109
; %bb.108:
	s_waitcnt lgkmcnt(0)
	v_mul_f64 v[146:147], v[142:143], v[52:53]
	v_mul_f64 v[52:53], v[144:145], v[52:53]
	v_fma_f64 v[150:151], v[144:145], v[50:51], v[146:147]
	ds_read2_b64 v[146:149], v244 offset0:24 offset1:25
	v_fma_f64 v[50:51], v[142:143], v[50:51], -v[52:53]
	s_waitcnt lgkmcnt(0)
	v_mul_f64 v[52:53], v[148:149], v[150:151]
	v_fma_f64 v[52:53], v[146:147], v[50:51], -v[52:53]
	v_mul_f64 v[146:147], v[146:147], v[150:151]
	v_add_f64 v[46:47], v[46:47], -v[52:53]
	v_fma_f64 v[146:147], v[148:149], v[50:51], v[146:147]
	v_add_f64 v[48:49], v[48:49], -v[146:147]
	ds_read2_b64 v[146:149], v244 offset0:26 offset1:27
	s_waitcnt lgkmcnt(0)
	v_mul_f64 v[52:53], v[148:149], v[150:151]
	v_fma_f64 v[52:53], v[146:147], v[50:51], -v[52:53]
	v_mul_f64 v[146:147], v[146:147], v[150:151]
	v_add_f64 v[42:43], v[42:43], -v[52:53]
	v_fma_f64 v[146:147], v[148:149], v[50:51], v[146:147]
	v_add_f64 v[44:45], v[44:45], -v[146:147]
	ds_read2_b64 v[146:149], v244 offset0:28 offset1:29
	;; [unrolled: 8-line block ×11, first 2 shown]
	s_waitcnt lgkmcnt(0)
	v_mul_f64 v[52:53], v[148:149], v[150:151]
	v_fma_f64 v[52:53], v[146:147], v[50:51], -v[52:53]
	v_mul_f64 v[146:147], v[146:147], v[150:151]
	v_add_f64 v[2:3], v[2:3], -v[52:53]
	v_fma_f64 v[146:147], v[148:149], v[50:51], v[146:147]
	v_mov_b32_e32 v52, v150
	v_mov_b32_e32 v53, v151
	v_add_f64 v[4:5], v[4:5], -v[146:147]
.LBB47_109:
	s_or_b32 exec_lo, exec_lo, s1
	s_mov_b32 s2, exec_lo
	s_waitcnt lgkmcnt(0)
	s_barrier
	buffer_gl0_inv
	v_cmpx_eq_u32_e32 12, v0
	s_cbranch_execz .LBB47_116
; %bb.110:
	ds_write2_b64 v1, v[46:47], v[48:49] offset1:1
	ds_write2_b64 v244, v[42:43], v[44:45] offset0:26 offset1:27
	ds_write2_b64 v244, v[38:39], v[40:41] offset0:28 offset1:29
	;; [unrolled: 1-line block ×11, first 2 shown]
	ds_read2_b64 v[146:149], v1 offset1:1
	s_waitcnt lgkmcnt(0)
	v_cmp_neq_f64_e32 vcc_lo, 0, v[146:147]
	v_cmp_neq_f64_e64 s1, 0, v[148:149]
	s_or_b32 s1, vcc_lo, s1
	s_and_b32 exec_lo, exec_lo, s1
	s_cbranch_execz .LBB47_116
; %bb.111:
	v_cmp_ngt_f64_e64 s1, |v[146:147]|, |v[148:149]|
                                        ; implicit-def: $vgpr150_vgpr151
	s_and_saveexec_b32 s3, s1
	s_xor_b32 s1, exec_lo, s3
                                        ; implicit-def: $vgpr152_vgpr153
	s_cbranch_execz .LBB47_113
; %bb.112:
	v_div_scale_f64 v[150:151], null, v[148:149], v[148:149], v[146:147]
	v_div_scale_f64 v[156:157], vcc_lo, v[146:147], v[148:149], v[146:147]
	v_rcp_f64_e32 v[152:153], v[150:151]
	v_fma_f64 v[154:155], -v[150:151], v[152:153], 1.0
	v_fma_f64 v[152:153], v[152:153], v[154:155], v[152:153]
	v_fma_f64 v[154:155], -v[150:151], v[152:153], 1.0
	v_fma_f64 v[152:153], v[152:153], v[154:155], v[152:153]
	v_mul_f64 v[154:155], v[156:157], v[152:153]
	v_fma_f64 v[150:151], -v[150:151], v[154:155], v[156:157]
	v_div_fmas_f64 v[150:151], v[150:151], v[152:153], v[154:155]
	v_div_fixup_f64 v[150:151], v[150:151], v[148:149], v[146:147]
	v_fma_f64 v[146:147], v[146:147], v[150:151], v[148:149]
	v_div_scale_f64 v[148:149], null, v[146:147], v[146:147], 1.0
	v_rcp_f64_e32 v[152:153], v[148:149]
	v_fma_f64 v[154:155], -v[148:149], v[152:153], 1.0
	v_fma_f64 v[152:153], v[152:153], v[154:155], v[152:153]
	v_fma_f64 v[154:155], -v[148:149], v[152:153], 1.0
	v_fma_f64 v[152:153], v[152:153], v[154:155], v[152:153]
	v_div_scale_f64 v[154:155], vcc_lo, 1.0, v[146:147], 1.0
	v_mul_f64 v[156:157], v[154:155], v[152:153]
	v_fma_f64 v[148:149], -v[148:149], v[156:157], v[154:155]
	v_div_fmas_f64 v[148:149], v[148:149], v[152:153], v[156:157]
	v_div_fixup_f64 v[152:153], v[148:149], v[146:147], 1.0
                                        ; implicit-def: $vgpr146_vgpr147
	v_mul_f64 v[150:151], v[150:151], v[152:153]
	v_xor_b32_e32 v153, 0x80000000, v153
.LBB47_113:
	s_andn2_saveexec_b32 s1, s1
	s_cbranch_execz .LBB47_115
; %bb.114:
	v_div_scale_f64 v[150:151], null, v[146:147], v[146:147], v[148:149]
	v_div_scale_f64 v[156:157], vcc_lo, v[148:149], v[146:147], v[148:149]
	v_rcp_f64_e32 v[152:153], v[150:151]
	v_fma_f64 v[154:155], -v[150:151], v[152:153], 1.0
	v_fma_f64 v[152:153], v[152:153], v[154:155], v[152:153]
	v_fma_f64 v[154:155], -v[150:151], v[152:153], 1.0
	v_fma_f64 v[152:153], v[152:153], v[154:155], v[152:153]
	v_mul_f64 v[154:155], v[156:157], v[152:153]
	v_fma_f64 v[150:151], -v[150:151], v[154:155], v[156:157]
	v_div_fmas_f64 v[150:151], v[150:151], v[152:153], v[154:155]
	v_div_fixup_f64 v[152:153], v[150:151], v[146:147], v[148:149]
	v_fma_f64 v[146:147], v[148:149], v[152:153], v[146:147]
	v_div_scale_f64 v[148:149], null, v[146:147], v[146:147], 1.0
	v_rcp_f64_e32 v[150:151], v[148:149]
	v_fma_f64 v[154:155], -v[148:149], v[150:151], 1.0
	v_fma_f64 v[150:151], v[150:151], v[154:155], v[150:151]
	v_fma_f64 v[154:155], -v[148:149], v[150:151], 1.0
	v_fma_f64 v[150:151], v[150:151], v[154:155], v[150:151]
	v_div_scale_f64 v[154:155], vcc_lo, 1.0, v[146:147], 1.0
	v_mul_f64 v[156:157], v[154:155], v[150:151]
	v_fma_f64 v[148:149], -v[148:149], v[156:157], v[154:155]
	v_div_fmas_f64 v[148:149], v[148:149], v[150:151], v[156:157]
	v_div_fixup_f64 v[150:151], v[148:149], v[146:147], 1.0
	v_mul_f64 v[152:153], v[152:153], -v[150:151]
.LBB47_115:
	s_or_b32 exec_lo, exec_lo, s1
	ds_write2_b64 v1, v[150:151], v[152:153] offset1:1
.LBB47_116:
	s_or_b32 exec_lo, exec_lo, s2
	s_waitcnt lgkmcnt(0)
	s_barrier
	buffer_gl0_inv
	ds_read2_b64 v[146:149], v1 offset1:1
	s_mov_b32 s1, exec_lo
	v_cmpx_lt_u32_e32 12, v0
	s_cbranch_execz .LBB47_118
; %bb.117:
	s_waitcnt lgkmcnt(0)
	v_mul_f64 v[150:151], v[146:147], v[48:49]
	v_mul_f64 v[48:49], v[148:149], v[48:49]
	v_fma_f64 v[154:155], v[148:149], v[46:47], v[150:151]
	ds_read2_b64 v[150:153], v244 offset0:26 offset1:27
	v_fma_f64 v[46:47], v[146:147], v[46:47], -v[48:49]
	s_waitcnt lgkmcnt(0)
	v_mul_f64 v[48:49], v[152:153], v[154:155]
	v_fma_f64 v[48:49], v[150:151], v[46:47], -v[48:49]
	v_mul_f64 v[150:151], v[150:151], v[154:155]
	v_add_f64 v[42:43], v[42:43], -v[48:49]
	v_fma_f64 v[150:151], v[152:153], v[46:47], v[150:151]
	v_add_f64 v[44:45], v[44:45], -v[150:151]
	ds_read2_b64 v[150:153], v244 offset0:28 offset1:29
	s_waitcnt lgkmcnt(0)
	v_mul_f64 v[48:49], v[152:153], v[154:155]
	v_fma_f64 v[48:49], v[150:151], v[46:47], -v[48:49]
	v_mul_f64 v[150:151], v[150:151], v[154:155]
	v_add_f64 v[38:39], v[38:39], -v[48:49]
	v_fma_f64 v[150:151], v[152:153], v[46:47], v[150:151]
	v_add_f64 v[40:41], v[40:41], -v[150:151]
	ds_read2_b64 v[150:153], v244 offset0:30 offset1:31
	;; [unrolled: 8-line block ×10, first 2 shown]
	s_waitcnt lgkmcnt(0)
	v_mul_f64 v[48:49], v[152:153], v[154:155]
	v_fma_f64 v[48:49], v[150:151], v[46:47], -v[48:49]
	v_mul_f64 v[150:151], v[150:151], v[154:155]
	v_add_f64 v[2:3], v[2:3], -v[48:49]
	v_fma_f64 v[150:151], v[152:153], v[46:47], v[150:151]
	v_mov_b32_e32 v48, v154
	v_mov_b32_e32 v49, v155
	v_add_f64 v[4:5], v[4:5], -v[150:151]
.LBB47_118:
	s_or_b32 exec_lo, exec_lo, s1
	s_mov_b32 s2, exec_lo
	s_waitcnt lgkmcnt(0)
	s_barrier
	buffer_gl0_inv
	v_cmpx_eq_u32_e32 13, v0
	s_cbranch_execz .LBB47_125
; %bb.119:
	ds_write2_b64 v1, v[42:43], v[44:45] offset1:1
	ds_write2_b64 v244, v[38:39], v[40:41] offset0:28 offset1:29
	ds_write2_b64 v244, v[34:35], v[36:37] offset0:30 offset1:31
	;; [unrolled: 1-line block ×10, first 2 shown]
	ds_read2_b64 v[150:153], v1 offset1:1
	s_waitcnt lgkmcnt(0)
	v_cmp_neq_f64_e32 vcc_lo, 0, v[150:151]
	v_cmp_neq_f64_e64 s1, 0, v[152:153]
	s_or_b32 s1, vcc_lo, s1
	s_and_b32 exec_lo, exec_lo, s1
	s_cbranch_execz .LBB47_125
; %bb.120:
	v_cmp_ngt_f64_e64 s1, |v[150:151]|, |v[152:153]|
                                        ; implicit-def: $vgpr154_vgpr155
	s_and_saveexec_b32 s3, s1
	s_xor_b32 s1, exec_lo, s3
                                        ; implicit-def: $vgpr156_vgpr157
	s_cbranch_execz .LBB47_122
; %bb.121:
	v_div_scale_f64 v[154:155], null, v[152:153], v[152:153], v[150:151]
	v_div_scale_f64 v[160:161], vcc_lo, v[150:151], v[152:153], v[150:151]
	v_rcp_f64_e32 v[156:157], v[154:155]
	v_fma_f64 v[158:159], -v[154:155], v[156:157], 1.0
	v_fma_f64 v[156:157], v[156:157], v[158:159], v[156:157]
	v_fma_f64 v[158:159], -v[154:155], v[156:157], 1.0
	v_fma_f64 v[156:157], v[156:157], v[158:159], v[156:157]
	v_mul_f64 v[158:159], v[160:161], v[156:157]
	v_fma_f64 v[154:155], -v[154:155], v[158:159], v[160:161]
	v_div_fmas_f64 v[154:155], v[154:155], v[156:157], v[158:159]
	v_div_fixup_f64 v[154:155], v[154:155], v[152:153], v[150:151]
	v_fma_f64 v[150:151], v[150:151], v[154:155], v[152:153]
	v_div_scale_f64 v[152:153], null, v[150:151], v[150:151], 1.0
	v_rcp_f64_e32 v[156:157], v[152:153]
	v_fma_f64 v[158:159], -v[152:153], v[156:157], 1.0
	v_fma_f64 v[156:157], v[156:157], v[158:159], v[156:157]
	v_fma_f64 v[158:159], -v[152:153], v[156:157], 1.0
	v_fma_f64 v[156:157], v[156:157], v[158:159], v[156:157]
	v_div_scale_f64 v[158:159], vcc_lo, 1.0, v[150:151], 1.0
	v_mul_f64 v[160:161], v[158:159], v[156:157]
	v_fma_f64 v[152:153], -v[152:153], v[160:161], v[158:159]
	v_div_fmas_f64 v[152:153], v[152:153], v[156:157], v[160:161]
	v_div_fixup_f64 v[156:157], v[152:153], v[150:151], 1.0
                                        ; implicit-def: $vgpr150_vgpr151
	v_mul_f64 v[154:155], v[154:155], v[156:157]
	v_xor_b32_e32 v157, 0x80000000, v157
.LBB47_122:
	s_andn2_saveexec_b32 s1, s1
	s_cbranch_execz .LBB47_124
; %bb.123:
	v_div_scale_f64 v[154:155], null, v[150:151], v[150:151], v[152:153]
	v_div_scale_f64 v[160:161], vcc_lo, v[152:153], v[150:151], v[152:153]
	v_rcp_f64_e32 v[156:157], v[154:155]
	v_fma_f64 v[158:159], -v[154:155], v[156:157], 1.0
	v_fma_f64 v[156:157], v[156:157], v[158:159], v[156:157]
	v_fma_f64 v[158:159], -v[154:155], v[156:157], 1.0
	v_fma_f64 v[156:157], v[156:157], v[158:159], v[156:157]
	v_mul_f64 v[158:159], v[160:161], v[156:157]
	v_fma_f64 v[154:155], -v[154:155], v[158:159], v[160:161]
	v_div_fmas_f64 v[154:155], v[154:155], v[156:157], v[158:159]
	v_div_fixup_f64 v[156:157], v[154:155], v[150:151], v[152:153]
	v_fma_f64 v[150:151], v[152:153], v[156:157], v[150:151]
	v_div_scale_f64 v[152:153], null, v[150:151], v[150:151], 1.0
	v_rcp_f64_e32 v[154:155], v[152:153]
	v_fma_f64 v[158:159], -v[152:153], v[154:155], 1.0
	v_fma_f64 v[154:155], v[154:155], v[158:159], v[154:155]
	v_fma_f64 v[158:159], -v[152:153], v[154:155], 1.0
	v_fma_f64 v[154:155], v[154:155], v[158:159], v[154:155]
	v_div_scale_f64 v[158:159], vcc_lo, 1.0, v[150:151], 1.0
	v_mul_f64 v[160:161], v[158:159], v[154:155]
	v_fma_f64 v[152:153], -v[152:153], v[160:161], v[158:159]
	v_div_fmas_f64 v[152:153], v[152:153], v[154:155], v[160:161]
	v_div_fixup_f64 v[154:155], v[152:153], v[150:151], 1.0
	v_mul_f64 v[156:157], v[156:157], -v[154:155]
.LBB47_124:
	s_or_b32 exec_lo, exec_lo, s1
	ds_write2_b64 v1, v[154:155], v[156:157] offset1:1
.LBB47_125:
	s_or_b32 exec_lo, exec_lo, s2
	s_waitcnt lgkmcnt(0)
	s_barrier
	buffer_gl0_inv
	ds_read2_b64 v[150:153], v1 offset1:1
	s_mov_b32 s1, exec_lo
	v_cmpx_lt_u32_e32 13, v0
	s_cbranch_execz .LBB47_127
; %bb.126:
	s_waitcnt lgkmcnt(0)
	v_mul_f64 v[154:155], v[150:151], v[44:45]
	v_mul_f64 v[44:45], v[152:153], v[44:45]
	v_fma_f64 v[158:159], v[152:153], v[42:43], v[154:155]
	ds_read2_b64 v[154:157], v244 offset0:28 offset1:29
	v_fma_f64 v[42:43], v[150:151], v[42:43], -v[44:45]
	s_waitcnt lgkmcnt(0)
	v_mul_f64 v[44:45], v[156:157], v[158:159]
	v_fma_f64 v[44:45], v[154:155], v[42:43], -v[44:45]
	v_mul_f64 v[154:155], v[154:155], v[158:159]
	v_add_f64 v[38:39], v[38:39], -v[44:45]
	v_fma_f64 v[154:155], v[156:157], v[42:43], v[154:155]
	v_add_f64 v[40:41], v[40:41], -v[154:155]
	ds_read2_b64 v[154:157], v244 offset0:30 offset1:31
	s_waitcnt lgkmcnt(0)
	v_mul_f64 v[44:45], v[156:157], v[158:159]
	v_fma_f64 v[44:45], v[154:155], v[42:43], -v[44:45]
	v_mul_f64 v[154:155], v[154:155], v[158:159]
	v_add_f64 v[34:35], v[34:35], -v[44:45]
	v_fma_f64 v[154:155], v[156:157], v[42:43], v[154:155]
	v_add_f64 v[36:37], v[36:37], -v[154:155]
	ds_read2_b64 v[154:157], v244 offset0:32 offset1:33
	;; [unrolled: 8-line block ×9, first 2 shown]
	s_waitcnt lgkmcnt(0)
	v_mul_f64 v[44:45], v[156:157], v[158:159]
	v_fma_f64 v[44:45], v[154:155], v[42:43], -v[44:45]
	v_mul_f64 v[154:155], v[154:155], v[158:159]
	v_add_f64 v[2:3], v[2:3], -v[44:45]
	v_fma_f64 v[154:155], v[156:157], v[42:43], v[154:155]
	v_mov_b32_e32 v44, v158
	v_mov_b32_e32 v45, v159
	v_add_f64 v[4:5], v[4:5], -v[154:155]
.LBB47_127:
	s_or_b32 exec_lo, exec_lo, s1
	s_mov_b32 s2, exec_lo
	s_waitcnt lgkmcnt(0)
	s_barrier
	buffer_gl0_inv
	v_cmpx_eq_u32_e32 14, v0
	s_cbranch_execz .LBB47_134
; %bb.128:
	ds_write2_b64 v1, v[38:39], v[40:41] offset1:1
	ds_write2_b64 v244, v[34:35], v[36:37] offset0:30 offset1:31
	ds_write2_b64 v244, v[30:31], v[32:33] offset0:32 offset1:33
	;; [unrolled: 1-line block ×9, first 2 shown]
	ds_read2_b64 v[154:157], v1 offset1:1
	s_waitcnt lgkmcnt(0)
	v_cmp_neq_f64_e32 vcc_lo, 0, v[154:155]
	v_cmp_neq_f64_e64 s1, 0, v[156:157]
	s_or_b32 s1, vcc_lo, s1
	s_and_b32 exec_lo, exec_lo, s1
	s_cbranch_execz .LBB47_134
; %bb.129:
	v_cmp_ngt_f64_e64 s1, |v[154:155]|, |v[156:157]|
                                        ; implicit-def: $vgpr158_vgpr159
	s_and_saveexec_b32 s3, s1
	s_xor_b32 s1, exec_lo, s3
                                        ; implicit-def: $vgpr160_vgpr161
	s_cbranch_execz .LBB47_131
; %bb.130:
	v_div_scale_f64 v[158:159], null, v[156:157], v[156:157], v[154:155]
	v_div_scale_f64 v[164:165], vcc_lo, v[154:155], v[156:157], v[154:155]
	v_rcp_f64_e32 v[160:161], v[158:159]
	v_fma_f64 v[162:163], -v[158:159], v[160:161], 1.0
	v_fma_f64 v[160:161], v[160:161], v[162:163], v[160:161]
	v_fma_f64 v[162:163], -v[158:159], v[160:161], 1.0
	v_fma_f64 v[160:161], v[160:161], v[162:163], v[160:161]
	v_mul_f64 v[162:163], v[164:165], v[160:161]
	v_fma_f64 v[158:159], -v[158:159], v[162:163], v[164:165]
	v_div_fmas_f64 v[158:159], v[158:159], v[160:161], v[162:163]
	v_div_fixup_f64 v[158:159], v[158:159], v[156:157], v[154:155]
	v_fma_f64 v[154:155], v[154:155], v[158:159], v[156:157]
	v_div_scale_f64 v[156:157], null, v[154:155], v[154:155], 1.0
	v_rcp_f64_e32 v[160:161], v[156:157]
	v_fma_f64 v[162:163], -v[156:157], v[160:161], 1.0
	v_fma_f64 v[160:161], v[160:161], v[162:163], v[160:161]
	v_fma_f64 v[162:163], -v[156:157], v[160:161], 1.0
	v_fma_f64 v[160:161], v[160:161], v[162:163], v[160:161]
	v_div_scale_f64 v[162:163], vcc_lo, 1.0, v[154:155], 1.0
	v_mul_f64 v[164:165], v[162:163], v[160:161]
	v_fma_f64 v[156:157], -v[156:157], v[164:165], v[162:163]
	v_div_fmas_f64 v[156:157], v[156:157], v[160:161], v[164:165]
	v_div_fixup_f64 v[160:161], v[156:157], v[154:155], 1.0
                                        ; implicit-def: $vgpr154_vgpr155
	v_mul_f64 v[158:159], v[158:159], v[160:161]
	v_xor_b32_e32 v161, 0x80000000, v161
.LBB47_131:
	s_andn2_saveexec_b32 s1, s1
	s_cbranch_execz .LBB47_133
; %bb.132:
	v_div_scale_f64 v[158:159], null, v[154:155], v[154:155], v[156:157]
	v_div_scale_f64 v[164:165], vcc_lo, v[156:157], v[154:155], v[156:157]
	v_rcp_f64_e32 v[160:161], v[158:159]
	v_fma_f64 v[162:163], -v[158:159], v[160:161], 1.0
	v_fma_f64 v[160:161], v[160:161], v[162:163], v[160:161]
	v_fma_f64 v[162:163], -v[158:159], v[160:161], 1.0
	v_fma_f64 v[160:161], v[160:161], v[162:163], v[160:161]
	v_mul_f64 v[162:163], v[164:165], v[160:161]
	v_fma_f64 v[158:159], -v[158:159], v[162:163], v[164:165]
	v_div_fmas_f64 v[158:159], v[158:159], v[160:161], v[162:163]
	v_div_fixup_f64 v[160:161], v[158:159], v[154:155], v[156:157]
	v_fma_f64 v[154:155], v[156:157], v[160:161], v[154:155]
	v_div_scale_f64 v[156:157], null, v[154:155], v[154:155], 1.0
	v_rcp_f64_e32 v[158:159], v[156:157]
	v_fma_f64 v[162:163], -v[156:157], v[158:159], 1.0
	v_fma_f64 v[158:159], v[158:159], v[162:163], v[158:159]
	v_fma_f64 v[162:163], -v[156:157], v[158:159], 1.0
	v_fma_f64 v[158:159], v[158:159], v[162:163], v[158:159]
	v_div_scale_f64 v[162:163], vcc_lo, 1.0, v[154:155], 1.0
	v_mul_f64 v[164:165], v[162:163], v[158:159]
	v_fma_f64 v[156:157], -v[156:157], v[164:165], v[162:163]
	v_div_fmas_f64 v[156:157], v[156:157], v[158:159], v[164:165]
	v_div_fixup_f64 v[158:159], v[156:157], v[154:155], 1.0
	v_mul_f64 v[160:161], v[160:161], -v[158:159]
.LBB47_133:
	s_or_b32 exec_lo, exec_lo, s1
	ds_write2_b64 v1, v[158:159], v[160:161] offset1:1
.LBB47_134:
	s_or_b32 exec_lo, exec_lo, s2
	s_waitcnt lgkmcnt(0)
	s_barrier
	buffer_gl0_inv
	ds_read2_b64 v[154:157], v1 offset1:1
	s_mov_b32 s1, exec_lo
	v_cmpx_lt_u32_e32 14, v0
	s_cbranch_execz .LBB47_136
; %bb.135:
	s_waitcnt lgkmcnt(0)
	v_mul_f64 v[158:159], v[154:155], v[40:41]
	v_mul_f64 v[40:41], v[156:157], v[40:41]
	v_fma_f64 v[162:163], v[156:157], v[38:39], v[158:159]
	ds_read2_b64 v[158:161], v244 offset0:30 offset1:31
	v_fma_f64 v[38:39], v[154:155], v[38:39], -v[40:41]
	s_waitcnt lgkmcnt(0)
	v_mul_f64 v[40:41], v[160:161], v[162:163]
	v_fma_f64 v[40:41], v[158:159], v[38:39], -v[40:41]
	v_mul_f64 v[158:159], v[158:159], v[162:163]
	v_add_f64 v[34:35], v[34:35], -v[40:41]
	v_fma_f64 v[158:159], v[160:161], v[38:39], v[158:159]
	v_add_f64 v[36:37], v[36:37], -v[158:159]
	ds_read2_b64 v[158:161], v244 offset0:32 offset1:33
	s_waitcnt lgkmcnt(0)
	v_mul_f64 v[40:41], v[160:161], v[162:163]
	v_fma_f64 v[40:41], v[158:159], v[38:39], -v[40:41]
	v_mul_f64 v[158:159], v[158:159], v[162:163]
	v_add_f64 v[30:31], v[30:31], -v[40:41]
	v_fma_f64 v[158:159], v[160:161], v[38:39], v[158:159]
	v_add_f64 v[32:33], v[32:33], -v[158:159]
	ds_read2_b64 v[158:161], v244 offset0:34 offset1:35
	;; [unrolled: 8-line block ×8, first 2 shown]
	s_waitcnt lgkmcnt(0)
	v_mul_f64 v[40:41], v[160:161], v[162:163]
	v_fma_f64 v[40:41], v[158:159], v[38:39], -v[40:41]
	v_mul_f64 v[158:159], v[158:159], v[162:163]
	v_add_f64 v[2:3], v[2:3], -v[40:41]
	v_fma_f64 v[158:159], v[160:161], v[38:39], v[158:159]
	v_mov_b32_e32 v40, v162
	v_mov_b32_e32 v41, v163
	v_add_f64 v[4:5], v[4:5], -v[158:159]
.LBB47_136:
	s_or_b32 exec_lo, exec_lo, s1
	s_mov_b32 s2, exec_lo
	s_waitcnt lgkmcnt(0)
	s_barrier
	buffer_gl0_inv
	v_cmpx_eq_u32_e32 15, v0
	s_cbranch_execz .LBB47_143
; %bb.137:
	ds_write2_b64 v1, v[34:35], v[36:37] offset1:1
	ds_write2_b64 v244, v[30:31], v[32:33] offset0:32 offset1:33
	ds_write2_b64 v244, v[26:27], v[28:29] offset0:34 offset1:35
	;; [unrolled: 1-line block ×8, first 2 shown]
	ds_read2_b64 v[158:161], v1 offset1:1
	s_waitcnt lgkmcnt(0)
	v_cmp_neq_f64_e32 vcc_lo, 0, v[158:159]
	v_cmp_neq_f64_e64 s1, 0, v[160:161]
	s_or_b32 s1, vcc_lo, s1
	s_and_b32 exec_lo, exec_lo, s1
	s_cbranch_execz .LBB47_143
; %bb.138:
	v_cmp_ngt_f64_e64 s1, |v[158:159]|, |v[160:161]|
                                        ; implicit-def: $vgpr162_vgpr163
	s_and_saveexec_b32 s3, s1
	s_xor_b32 s1, exec_lo, s3
                                        ; implicit-def: $vgpr164_vgpr165
	s_cbranch_execz .LBB47_140
; %bb.139:
	v_div_scale_f64 v[162:163], null, v[160:161], v[160:161], v[158:159]
	v_div_scale_f64 v[168:169], vcc_lo, v[158:159], v[160:161], v[158:159]
	v_rcp_f64_e32 v[164:165], v[162:163]
	v_fma_f64 v[166:167], -v[162:163], v[164:165], 1.0
	v_fma_f64 v[164:165], v[164:165], v[166:167], v[164:165]
	v_fma_f64 v[166:167], -v[162:163], v[164:165], 1.0
	v_fma_f64 v[164:165], v[164:165], v[166:167], v[164:165]
	v_mul_f64 v[166:167], v[168:169], v[164:165]
	v_fma_f64 v[162:163], -v[162:163], v[166:167], v[168:169]
	v_div_fmas_f64 v[162:163], v[162:163], v[164:165], v[166:167]
	v_div_fixup_f64 v[162:163], v[162:163], v[160:161], v[158:159]
	v_fma_f64 v[158:159], v[158:159], v[162:163], v[160:161]
	v_div_scale_f64 v[160:161], null, v[158:159], v[158:159], 1.0
	v_rcp_f64_e32 v[164:165], v[160:161]
	v_fma_f64 v[166:167], -v[160:161], v[164:165], 1.0
	v_fma_f64 v[164:165], v[164:165], v[166:167], v[164:165]
	v_fma_f64 v[166:167], -v[160:161], v[164:165], 1.0
	v_fma_f64 v[164:165], v[164:165], v[166:167], v[164:165]
	v_div_scale_f64 v[166:167], vcc_lo, 1.0, v[158:159], 1.0
	v_mul_f64 v[168:169], v[166:167], v[164:165]
	v_fma_f64 v[160:161], -v[160:161], v[168:169], v[166:167]
	v_div_fmas_f64 v[160:161], v[160:161], v[164:165], v[168:169]
	v_div_fixup_f64 v[164:165], v[160:161], v[158:159], 1.0
                                        ; implicit-def: $vgpr158_vgpr159
	v_mul_f64 v[162:163], v[162:163], v[164:165]
	v_xor_b32_e32 v165, 0x80000000, v165
.LBB47_140:
	s_andn2_saveexec_b32 s1, s1
	s_cbranch_execz .LBB47_142
; %bb.141:
	v_div_scale_f64 v[162:163], null, v[158:159], v[158:159], v[160:161]
	v_div_scale_f64 v[168:169], vcc_lo, v[160:161], v[158:159], v[160:161]
	v_rcp_f64_e32 v[164:165], v[162:163]
	v_fma_f64 v[166:167], -v[162:163], v[164:165], 1.0
	v_fma_f64 v[164:165], v[164:165], v[166:167], v[164:165]
	v_fma_f64 v[166:167], -v[162:163], v[164:165], 1.0
	v_fma_f64 v[164:165], v[164:165], v[166:167], v[164:165]
	v_mul_f64 v[166:167], v[168:169], v[164:165]
	v_fma_f64 v[162:163], -v[162:163], v[166:167], v[168:169]
	v_div_fmas_f64 v[162:163], v[162:163], v[164:165], v[166:167]
	v_div_fixup_f64 v[164:165], v[162:163], v[158:159], v[160:161]
	v_fma_f64 v[158:159], v[160:161], v[164:165], v[158:159]
	v_div_scale_f64 v[160:161], null, v[158:159], v[158:159], 1.0
	v_rcp_f64_e32 v[162:163], v[160:161]
	v_fma_f64 v[166:167], -v[160:161], v[162:163], 1.0
	v_fma_f64 v[162:163], v[162:163], v[166:167], v[162:163]
	v_fma_f64 v[166:167], -v[160:161], v[162:163], 1.0
	v_fma_f64 v[162:163], v[162:163], v[166:167], v[162:163]
	v_div_scale_f64 v[166:167], vcc_lo, 1.0, v[158:159], 1.0
	v_mul_f64 v[168:169], v[166:167], v[162:163]
	v_fma_f64 v[160:161], -v[160:161], v[168:169], v[166:167]
	v_div_fmas_f64 v[160:161], v[160:161], v[162:163], v[168:169]
	v_div_fixup_f64 v[162:163], v[160:161], v[158:159], 1.0
	v_mul_f64 v[164:165], v[164:165], -v[162:163]
.LBB47_142:
	s_or_b32 exec_lo, exec_lo, s1
	ds_write2_b64 v1, v[162:163], v[164:165] offset1:1
.LBB47_143:
	s_or_b32 exec_lo, exec_lo, s2
	s_waitcnt lgkmcnt(0)
	s_barrier
	buffer_gl0_inv
	ds_read2_b64 v[158:161], v1 offset1:1
	s_mov_b32 s1, exec_lo
	v_cmpx_lt_u32_e32 15, v0
	s_cbranch_execz .LBB47_145
; %bb.144:
	s_waitcnt lgkmcnt(0)
	v_mul_f64 v[162:163], v[158:159], v[36:37]
	v_mul_f64 v[36:37], v[160:161], v[36:37]
	v_fma_f64 v[166:167], v[160:161], v[34:35], v[162:163]
	ds_read2_b64 v[162:165], v244 offset0:32 offset1:33
	v_fma_f64 v[34:35], v[158:159], v[34:35], -v[36:37]
	s_waitcnt lgkmcnt(0)
	v_mul_f64 v[36:37], v[164:165], v[166:167]
	v_fma_f64 v[36:37], v[162:163], v[34:35], -v[36:37]
	v_mul_f64 v[162:163], v[162:163], v[166:167]
	v_add_f64 v[30:31], v[30:31], -v[36:37]
	v_fma_f64 v[162:163], v[164:165], v[34:35], v[162:163]
	v_add_f64 v[32:33], v[32:33], -v[162:163]
	ds_read2_b64 v[162:165], v244 offset0:34 offset1:35
	s_waitcnt lgkmcnt(0)
	v_mul_f64 v[36:37], v[164:165], v[166:167]
	v_fma_f64 v[36:37], v[162:163], v[34:35], -v[36:37]
	v_mul_f64 v[162:163], v[162:163], v[166:167]
	v_add_f64 v[26:27], v[26:27], -v[36:37]
	v_fma_f64 v[162:163], v[164:165], v[34:35], v[162:163]
	v_add_f64 v[28:29], v[28:29], -v[162:163]
	ds_read2_b64 v[162:165], v244 offset0:36 offset1:37
	;; [unrolled: 8-line block ×7, first 2 shown]
	s_waitcnt lgkmcnt(0)
	v_mul_f64 v[36:37], v[164:165], v[166:167]
	v_fma_f64 v[36:37], v[162:163], v[34:35], -v[36:37]
	v_mul_f64 v[162:163], v[162:163], v[166:167]
	v_add_f64 v[2:3], v[2:3], -v[36:37]
	v_fma_f64 v[162:163], v[164:165], v[34:35], v[162:163]
	v_mov_b32_e32 v36, v166
	v_mov_b32_e32 v37, v167
	v_add_f64 v[4:5], v[4:5], -v[162:163]
.LBB47_145:
	s_or_b32 exec_lo, exec_lo, s1
	s_mov_b32 s2, exec_lo
	s_waitcnt lgkmcnt(0)
	s_barrier
	buffer_gl0_inv
	v_cmpx_eq_u32_e32 16, v0
	s_cbranch_execz .LBB47_152
; %bb.146:
	ds_write2_b64 v1, v[30:31], v[32:33] offset1:1
	ds_write2_b64 v244, v[26:27], v[28:29] offset0:34 offset1:35
	ds_write2_b64 v244, v[22:23], v[24:25] offset0:36 offset1:37
	;; [unrolled: 1-line block ×7, first 2 shown]
	ds_read2_b64 v[162:165], v1 offset1:1
	s_waitcnt lgkmcnt(0)
	v_cmp_neq_f64_e32 vcc_lo, 0, v[162:163]
	v_cmp_neq_f64_e64 s1, 0, v[164:165]
	s_or_b32 s1, vcc_lo, s1
	s_and_b32 exec_lo, exec_lo, s1
	s_cbranch_execz .LBB47_152
; %bb.147:
	v_cmp_ngt_f64_e64 s1, |v[162:163]|, |v[164:165]|
                                        ; implicit-def: $vgpr166_vgpr167
	s_and_saveexec_b32 s3, s1
	s_xor_b32 s1, exec_lo, s3
                                        ; implicit-def: $vgpr168_vgpr169
	s_cbranch_execz .LBB47_149
; %bb.148:
	v_div_scale_f64 v[166:167], null, v[164:165], v[164:165], v[162:163]
	v_div_scale_f64 v[172:173], vcc_lo, v[162:163], v[164:165], v[162:163]
	v_rcp_f64_e32 v[168:169], v[166:167]
	v_fma_f64 v[170:171], -v[166:167], v[168:169], 1.0
	v_fma_f64 v[168:169], v[168:169], v[170:171], v[168:169]
	v_fma_f64 v[170:171], -v[166:167], v[168:169], 1.0
	v_fma_f64 v[168:169], v[168:169], v[170:171], v[168:169]
	v_mul_f64 v[170:171], v[172:173], v[168:169]
	v_fma_f64 v[166:167], -v[166:167], v[170:171], v[172:173]
	v_div_fmas_f64 v[166:167], v[166:167], v[168:169], v[170:171]
	v_div_fixup_f64 v[166:167], v[166:167], v[164:165], v[162:163]
	v_fma_f64 v[162:163], v[162:163], v[166:167], v[164:165]
	v_div_scale_f64 v[164:165], null, v[162:163], v[162:163], 1.0
	v_rcp_f64_e32 v[168:169], v[164:165]
	v_fma_f64 v[170:171], -v[164:165], v[168:169], 1.0
	v_fma_f64 v[168:169], v[168:169], v[170:171], v[168:169]
	v_fma_f64 v[170:171], -v[164:165], v[168:169], 1.0
	v_fma_f64 v[168:169], v[168:169], v[170:171], v[168:169]
	v_div_scale_f64 v[170:171], vcc_lo, 1.0, v[162:163], 1.0
	v_mul_f64 v[172:173], v[170:171], v[168:169]
	v_fma_f64 v[164:165], -v[164:165], v[172:173], v[170:171]
	v_div_fmas_f64 v[164:165], v[164:165], v[168:169], v[172:173]
	v_div_fixup_f64 v[168:169], v[164:165], v[162:163], 1.0
                                        ; implicit-def: $vgpr162_vgpr163
	v_mul_f64 v[166:167], v[166:167], v[168:169]
	v_xor_b32_e32 v169, 0x80000000, v169
.LBB47_149:
	s_andn2_saveexec_b32 s1, s1
	s_cbranch_execz .LBB47_151
; %bb.150:
	v_div_scale_f64 v[166:167], null, v[162:163], v[162:163], v[164:165]
	v_div_scale_f64 v[172:173], vcc_lo, v[164:165], v[162:163], v[164:165]
	v_rcp_f64_e32 v[168:169], v[166:167]
	v_fma_f64 v[170:171], -v[166:167], v[168:169], 1.0
	v_fma_f64 v[168:169], v[168:169], v[170:171], v[168:169]
	v_fma_f64 v[170:171], -v[166:167], v[168:169], 1.0
	v_fma_f64 v[168:169], v[168:169], v[170:171], v[168:169]
	v_mul_f64 v[170:171], v[172:173], v[168:169]
	v_fma_f64 v[166:167], -v[166:167], v[170:171], v[172:173]
	v_div_fmas_f64 v[166:167], v[166:167], v[168:169], v[170:171]
	v_div_fixup_f64 v[168:169], v[166:167], v[162:163], v[164:165]
	v_fma_f64 v[162:163], v[164:165], v[168:169], v[162:163]
	v_div_scale_f64 v[164:165], null, v[162:163], v[162:163], 1.0
	v_rcp_f64_e32 v[166:167], v[164:165]
	v_fma_f64 v[170:171], -v[164:165], v[166:167], 1.0
	v_fma_f64 v[166:167], v[166:167], v[170:171], v[166:167]
	v_fma_f64 v[170:171], -v[164:165], v[166:167], 1.0
	v_fma_f64 v[166:167], v[166:167], v[170:171], v[166:167]
	v_div_scale_f64 v[170:171], vcc_lo, 1.0, v[162:163], 1.0
	v_mul_f64 v[172:173], v[170:171], v[166:167]
	v_fma_f64 v[164:165], -v[164:165], v[172:173], v[170:171]
	v_div_fmas_f64 v[164:165], v[164:165], v[166:167], v[172:173]
	v_div_fixup_f64 v[166:167], v[164:165], v[162:163], 1.0
	v_mul_f64 v[168:169], v[168:169], -v[166:167]
.LBB47_151:
	s_or_b32 exec_lo, exec_lo, s1
	ds_write2_b64 v1, v[166:167], v[168:169] offset1:1
.LBB47_152:
	s_or_b32 exec_lo, exec_lo, s2
	s_waitcnt lgkmcnt(0)
	s_barrier
	buffer_gl0_inv
	ds_read2_b64 v[162:165], v1 offset1:1
	s_mov_b32 s1, exec_lo
	v_cmpx_lt_u32_e32 16, v0
	s_cbranch_execz .LBB47_154
; %bb.153:
	s_waitcnt lgkmcnt(0)
	v_mul_f64 v[166:167], v[162:163], v[32:33]
	v_mul_f64 v[32:33], v[164:165], v[32:33]
	v_fma_f64 v[170:171], v[164:165], v[30:31], v[166:167]
	ds_read2_b64 v[166:169], v244 offset0:34 offset1:35
	v_fma_f64 v[30:31], v[162:163], v[30:31], -v[32:33]
	s_waitcnt lgkmcnt(0)
	v_mul_f64 v[32:33], v[168:169], v[170:171]
	v_fma_f64 v[32:33], v[166:167], v[30:31], -v[32:33]
	v_mul_f64 v[166:167], v[166:167], v[170:171]
	v_add_f64 v[26:27], v[26:27], -v[32:33]
	v_fma_f64 v[166:167], v[168:169], v[30:31], v[166:167]
	v_add_f64 v[28:29], v[28:29], -v[166:167]
	ds_read2_b64 v[166:169], v244 offset0:36 offset1:37
	s_waitcnt lgkmcnt(0)
	v_mul_f64 v[32:33], v[168:169], v[170:171]
	v_fma_f64 v[32:33], v[166:167], v[30:31], -v[32:33]
	v_mul_f64 v[166:167], v[166:167], v[170:171]
	v_add_f64 v[22:23], v[22:23], -v[32:33]
	v_fma_f64 v[166:167], v[168:169], v[30:31], v[166:167]
	v_add_f64 v[24:25], v[24:25], -v[166:167]
	ds_read2_b64 v[166:169], v244 offset0:38 offset1:39
	;; [unrolled: 8-line block ×6, first 2 shown]
	s_waitcnt lgkmcnt(0)
	v_mul_f64 v[32:33], v[168:169], v[170:171]
	v_fma_f64 v[32:33], v[166:167], v[30:31], -v[32:33]
	v_mul_f64 v[166:167], v[166:167], v[170:171]
	v_add_f64 v[2:3], v[2:3], -v[32:33]
	v_fma_f64 v[166:167], v[168:169], v[30:31], v[166:167]
	v_mov_b32_e32 v32, v170
	v_mov_b32_e32 v33, v171
	v_add_f64 v[4:5], v[4:5], -v[166:167]
.LBB47_154:
	s_or_b32 exec_lo, exec_lo, s1
	s_mov_b32 s2, exec_lo
	s_waitcnt lgkmcnt(0)
	s_barrier
	buffer_gl0_inv
	v_cmpx_eq_u32_e32 17, v0
	s_cbranch_execz .LBB47_161
; %bb.155:
	ds_write2_b64 v1, v[26:27], v[28:29] offset1:1
	ds_write2_b64 v244, v[22:23], v[24:25] offset0:36 offset1:37
	ds_write2_b64 v244, v[18:19], v[20:21] offset0:38 offset1:39
	;; [unrolled: 1-line block ×6, first 2 shown]
	ds_read2_b64 v[166:169], v1 offset1:1
	s_waitcnt lgkmcnt(0)
	v_cmp_neq_f64_e32 vcc_lo, 0, v[166:167]
	v_cmp_neq_f64_e64 s1, 0, v[168:169]
	s_or_b32 s1, vcc_lo, s1
	s_and_b32 exec_lo, exec_lo, s1
	s_cbranch_execz .LBB47_161
; %bb.156:
	v_cmp_ngt_f64_e64 s1, |v[166:167]|, |v[168:169]|
                                        ; implicit-def: $vgpr170_vgpr171
	s_and_saveexec_b32 s3, s1
	s_xor_b32 s1, exec_lo, s3
                                        ; implicit-def: $vgpr172_vgpr173
	s_cbranch_execz .LBB47_158
; %bb.157:
	v_div_scale_f64 v[170:171], null, v[168:169], v[168:169], v[166:167]
	v_div_scale_f64 v[176:177], vcc_lo, v[166:167], v[168:169], v[166:167]
	v_rcp_f64_e32 v[172:173], v[170:171]
	v_fma_f64 v[174:175], -v[170:171], v[172:173], 1.0
	v_fma_f64 v[172:173], v[172:173], v[174:175], v[172:173]
	v_fma_f64 v[174:175], -v[170:171], v[172:173], 1.0
	v_fma_f64 v[172:173], v[172:173], v[174:175], v[172:173]
	v_mul_f64 v[174:175], v[176:177], v[172:173]
	v_fma_f64 v[170:171], -v[170:171], v[174:175], v[176:177]
	v_div_fmas_f64 v[170:171], v[170:171], v[172:173], v[174:175]
	v_div_fixup_f64 v[170:171], v[170:171], v[168:169], v[166:167]
	v_fma_f64 v[166:167], v[166:167], v[170:171], v[168:169]
	v_div_scale_f64 v[168:169], null, v[166:167], v[166:167], 1.0
	v_rcp_f64_e32 v[172:173], v[168:169]
	v_fma_f64 v[174:175], -v[168:169], v[172:173], 1.0
	v_fma_f64 v[172:173], v[172:173], v[174:175], v[172:173]
	v_fma_f64 v[174:175], -v[168:169], v[172:173], 1.0
	v_fma_f64 v[172:173], v[172:173], v[174:175], v[172:173]
	v_div_scale_f64 v[174:175], vcc_lo, 1.0, v[166:167], 1.0
	v_mul_f64 v[176:177], v[174:175], v[172:173]
	v_fma_f64 v[168:169], -v[168:169], v[176:177], v[174:175]
	v_div_fmas_f64 v[168:169], v[168:169], v[172:173], v[176:177]
	v_div_fixup_f64 v[172:173], v[168:169], v[166:167], 1.0
                                        ; implicit-def: $vgpr166_vgpr167
	v_mul_f64 v[170:171], v[170:171], v[172:173]
	v_xor_b32_e32 v173, 0x80000000, v173
.LBB47_158:
	s_andn2_saveexec_b32 s1, s1
	s_cbranch_execz .LBB47_160
; %bb.159:
	v_div_scale_f64 v[170:171], null, v[166:167], v[166:167], v[168:169]
	v_div_scale_f64 v[176:177], vcc_lo, v[168:169], v[166:167], v[168:169]
	v_rcp_f64_e32 v[172:173], v[170:171]
	v_fma_f64 v[174:175], -v[170:171], v[172:173], 1.0
	v_fma_f64 v[172:173], v[172:173], v[174:175], v[172:173]
	v_fma_f64 v[174:175], -v[170:171], v[172:173], 1.0
	v_fma_f64 v[172:173], v[172:173], v[174:175], v[172:173]
	v_mul_f64 v[174:175], v[176:177], v[172:173]
	v_fma_f64 v[170:171], -v[170:171], v[174:175], v[176:177]
	v_div_fmas_f64 v[170:171], v[170:171], v[172:173], v[174:175]
	v_div_fixup_f64 v[172:173], v[170:171], v[166:167], v[168:169]
	v_fma_f64 v[166:167], v[168:169], v[172:173], v[166:167]
	v_div_scale_f64 v[168:169], null, v[166:167], v[166:167], 1.0
	v_rcp_f64_e32 v[170:171], v[168:169]
	v_fma_f64 v[174:175], -v[168:169], v[170:171], 1.0
	v_fma_f64 v[170:171], v[170:171], v[174:175], v[170:171]
	v_fma_f64 v[174:175], -v[168:169], v[170:171], 1.0
	v_fma_f64 v[170:171], v[170:171], v[174:175], v[170:171]
	v_div_scale_f64 v[174:175], vcc_lo, 1.0, v[166:167], 1.0
	v_mul_f64 v[176:177], v[174:175], v[170:171]
	v_fma_f64 v[168:169], -v[168:169], v[176:177], v[174:175]
	v_div_fmas_f64 v[168:169], v[168:169], v[170:171], v[176:177]
	v_div_fixup_f64 v[170:171], v[168:169], v[166:167], 1.0
	v_mul_f64 v[172:173], v[172:173], -v[170:171]
.LBB47_160:
	s_or_b32 exec_lo, exec_lo, s1
	ds_write2_b64 v1, v[170:171], v[172:173] offset1:1
.LBB47_161:
	s_or_b32 exec_lo, exec_lo, s2
	s_waitcnt lgkmcnt(0)
	s_barrier
	buffer_gl0_inv
	ds_read2_b64 v[166:169], v1 offset1:1
	s_mov_b32 s1, exec_lo
	v_cmpx_lt_u32_e32 17, v0
	s_cbranch_execz .LBB47_163
; %bb.162:
	s_waitcnt lgkmcnt(0)
	v_mul_f64 v[170:171], v[166:167], v[28:29]
	v_mul_f64 v[28:29], v[168:169], v[28:29]
	v_fma_f64 v[174:175], v[168:169], v[26:27], v[170:171]
	ds_read2_b64 v[170:173], v244 offset0:36 offset1:37
	v_fma_f64 v[26:27], v[166:167], v[26:27], -v[28:29]
	s_waitcnt lgkmcnt(0)
	v_mul_f64 v[28:29], v[172:173], v[174:175]
	v_fma_f64 v[28:29], v[170:171], v[26:27], -v[28:29]
	v_mul_f64 v[170:171], v[170:171], v[174:175]
	v_add_f64 v[22:23], v[22:23], -v[28:29]
	v_fma_f64 v[170:171], v[172:173], v[26:27], v[170:171]
	v_add_f64 v[24:25], v[24:25], -v[170:171]
	ds_read2_b64 v[170:173], v244 offset0:38 offset1:39
	s_waitcnt lgkmcnt(0)
	v_mul_f64 v[28:29], v[172:173], v[174:175]
	v_fma_f64 v[28:29], v[170:171], v[26:27], -v[28:29]
	v_mul_f64 v[170:171], v[170:171], v[174:175]
	v_add_f64 v[18:19], v[18:19], -v[28:29]
	v_fma_f64 v[170:171], v[172:173], v[26:27], v[170:171]
	v_add_f64 v[20:21], v[20:21], -v[170:171]
	ds_read2_b64 v[170:173], v244 offset0:40 offset1:41
	;; [unrolled: 8-line block ×5, first 2 shown]
	s_waitcnt lgkmcnt(0)
	v_mul_f64 v[28:29], v[172:173], v[174:175]
	v_fma_f64 v[28:29], v[170:171], v[26:27], -v[28:29]
	v_mul_f64 v[170:171], v[170:171], v[174:175]
	v_add_f64 v[2:3], v[2:3], -v[28:29]
	v_fma_f64 v[170:171], v[172:173], v[26:27], v[170:171]
	v_mov_b32_e32 v28, v174
	v_mov_b32_e32 v29, v175
	v_add_f64 v[4:5], v[4:5], -v[170:171]
.LBB47_163:
	s_or_b32 exec_lo, exec_lo, s1
	s_mov_b32 s2, exec_lo
	s_waitcnt lgkmcnt(0)
	s_barrier
	buffer_gl0_inv
	v_cmpx_eq_u32_e32 18, v0
	s_cbranch_execz .LBB47_170
; %bb.164:
	ds_write2_b64 v1, v[22:23], v[24:25] offset1:1
	ds_write2_b64 v244, v[18:19], v[20:21] offset0:38 offset1:39
	ds_write2_b64 v244, v[14:15], v[16:17] offset0:40 offset1:41
	;; [unrolled: 1-line block ×5, first 2 shown]
	ds_read2_b64 v[170:173], v1 offset1:1
	s_waitcnt lgkmcnt(0)
	v_cmp_neq_f64_e32 vcc_lo, 0, v[170:171]
	v_cmp_neq_f64_e64 s1, 0, v[172:173]
	s_or_b32 s1, vcc_lo, s1
	s_and_b32 exec_lo, exec_lo, s1
	s_cbranch_execz .LBB47_170
; %bb.165:
	v_cmp_ngt_f64_e64 s1, |v[170:171]|, |v[172:173]|
                                        ; implicit-def: $vgpr174_vgpr175
	s_and_saveexec_b32 s3, s1
	s_xor_b32 s1, exec_lo, s3
                                        ; implicit-def: $vgpr176_vgpr177
	s_cbranch_execz .LBB47_167
; %bb.166:
	v_div_scale_f64 v[174:175], null, v[172:173], v[172:173], v[170:171]
	v_div_scale_f64 v[180:181], vcc_lo, v[170:171], v[172:173], v[170:171]
	v_rcp_f64_e32 v[176:177], v[174:175]
	v_fma_f64 v[178:179], -v[174:175], v[176:177], 1.0
	v_fma_f64 v[176:177], v[176:177], v[178:179], v[176:177]
	v_fma_f64 v[178:179], -v[174:175], v[176:177], 1.0
	v_fma_f64 v[176:177], v[176:177], v[178:179], v[176:177]
	v_mul_f64 v[178:179], v[180:181], v[176:177]
	v_fma_f64 v[174:175], -v[174:175], v[178:179], v[180:181]
	v_div_fmas_f64 v[174:175], v[174:175], v[176:177], v[178:179]
	v_div_fixup_f64 v[174:175], v[174:175], v[172:173], v[170:171]
	v_fma_f64 v[170:171], v[170:171], v[174:175], v[172:173]
	v_div_scale_f64 v[172:173], null, v[170:171], v[170:171], 1.0
	v_rcp_f64_e32 v[176:177], v[172:173]
	v_fma_f64 v[178:179], -v[172:173], v[176:177], 1.0
	v_fma_f64 v[176:177], v[176:177], v[178:179], v[176:177]
	v_fma_f64 v[178:179], -v[172:173], v[176:177], 1.0
	v_fma_f64 v[176:177], v[176:177], v[178:179], v[176:177]
	v_div_scale_f64 v[178:179], vcc_lo, 1.0, v[170:171], 1.0
	v_mul_f64 v[180:181], v[178:179], v[176:177]
	v_fma_f64 v[172:173], -v[172:173], v[180:181], v[178:179]
	v_div_fmas_f64 v[172:173], v[172:173], v[176:177], v[180:181]
	v_div_fixup_f64 v[176:177], v[172:173], v[170:171], 1.0
                                        ; implicit-def: $vgpr170_vgpr171
	v_mul_f64 v[174:175], v[174:175], v[176:177]
	v_xor_b32_e32 v177, 0x80000000, v177
.LBB47_167:
	s_andn2_saveexec_b32 s1, s1
	s_cbranch_execz .LBB47_169
; %bb.168:
	v_div_scale_f64 v[174:175], null, v[170:171], v[170:171], v[172:173]
	v_div_scale_f64 v[180:181], vcc_lo, v[172:173], v[170:171], v[172:173]
	v_rcp_f64_e32 v[176:177], v[174:175]
	v_fma_f64 v[178:179], -v[174:175], v[176:177], 1.0
	v_fma_f64 v[176:177], v[176:177], v[178:179], v[176:177]
	v_fma_f64 v[178:179], -v[174:175], v[176:177], 1.0
	v_fma_f64 v[176:177], v[176:177], v[178:179], v[176:177]
	v_mul_f64 v[178:179], v[180:181], v[176:177]
	v_fma_f64 v[174:175], -v[174:175], v[178:179], v[180:181]
	v_div_fmas_f64 v[174:175], v[174:175], v[176:177], v[178:179]
	v_div_fixup_f64 v[176:177], v[174:175], v[170:171], v[172:173]
	v_fma_f64 v[170:171], v[172:173], v[176:177], v[170:171]
	v_div_scale_f64 v[172:173], null, v[170:171], v[170:171], 1.0
	v_rcp_f64_e32 v[174:175], v[172:173]
	v_fma_f64 v[178:179], -v[172:173], v[174:175], 1.0
	v_fma_f64 v[174:175], v[174:175], v[178:179], v[174:175]
	v_fma_f64 v[178:179], -v[172:173], v[174:175], 1.0
	v_fma_f64 v[174:175], v[174:175], v[178:179], v[174:175]
	v_div_scale_f64 v[178:179], vcc_lo, 1.0, v[170:171], 1.0
	v_mul_f64 v[180:181], v[178:179], v[174:175]
	v_fma_f64 v[172:173], -v[172:173], v[180:181], v[178:179]
	v_div_fmas_f64 v[172:173], v[172:173], v[174:175], v[180:181]
	v_div_fixup_f64 v[174:175], v[172:173], v[170:171], 1.0
	v_mul_f64 v[176:177], v[176:177], -v[174:175]
.LBB47_169:
	s_or_b32 exec_lo, exec_lo, s1
	ds_write2_b64 v1, v[174:175], v[176:177] offset1:1
.LBB47_170:
	s_or_b32 exec_lo, exec_lo, s2
	s_waitcnt lgkmcnt(0)
	s_barrier
	buffer_gl0_inv
	ds_read2_b64 v[170:173], v1 offset1:1
	s_mov_b32 s1, exec_lo
	v_cmpx_lt_u32_e32 18, v0
	s_cbranch_execz .LBB47_172
; %bb.171:
	s_waitcnt lgkmcnt(0)
	v_mul_f64 v[174:175], v[170:171], v[24:25]
	v_mul_f64 v[24:25], v[172:173], v[24:25]
	v_fma_f64 v[178:179], v[172:173], v[22:23], v[174:175]
	ds_read2_b64 v[174:177], v244 offset0:38 offset1:39
	v_fma_f64 v[22:23], v[170:171], v[22:23], -v[24:25]
	s_waitcnt lgkmcnt(0)
	v_mul_f64 v[24:25], v[176:177], v[178:179]
	v_fma_f64 v[24:25], v[174:175], v[22:23], -v[24:25]
	v_mul_f64 v[174:175], v[174:175], v[178:179]
	v_add_f64 v[18:19], v[18:19], -v[24:25]
	v_fma_f64 v[174:175], v[176:177], v[22:23], v[174:175]
	v_add_f64 v[20:21], v[20:21], -v[174:175]
	ds_read2_b64 v[174:177], v244 offset0:40 offset1:41
	s_waitcnt lgkmcnt(0)
	v_mul_f64 v[24:25], v[176:177], v[178:179]
	v_fma_f64 v[24:25], v[174:175], v[22:23], -v[24:25]
	v_mul_f64 v[174:175], v[174:175], v[178:179]
	v_add_f64 v[14:15], v[14:15], -v[24:25]
	v_fma_f64 v[174:175], v[176:177], v[22:23], v[174:175]
	v_add_f64 v[16:17], v[16:17], -v[174:175]
	ds_read2_b64 v[174:177], v244 offset0:42 offset1:43
	;; [unrolled: 8-line block ×4, first 2 shown]
	s_waitcnt lgkmcnt(0)
	v_mul_f64 v[24:25], v[176:177], v[178:179]
	v_fma_f64 v[24:25], v[174:175], v[22:23], -v[24:25]
	v_mul_f64 v[174:175], v[174:175], v[178:179]
	v_add_f64 v[2:3], v[2:3], -v[24:25]
	v_fma_f64 v[174:175], v[176:177], v[22:23], v[174:175]
	v_mov_b32_e32 v24, v178
	v_mov_b32_e32 v25, v179
	v_add_f64 v[4:5], v[4:5], -v[174:175]
.LBB47_172:
	s_or_b32 exec_lo, exec_lo, s1
	s_mov_b32 s2, exec_lo
	s_waitcnt lgkmcnt(0)
	s_barrier
	buffer_gl0_inv
	v_cmpx_eq_u32_e32 19, v0
	s_cbranch_execz .LBB47_179
; %bb.173:
	ds_write2_b64 v1, v[18:19], v[20:21] offset1:1
	ds_write2_b64 v244, v[14:15], v[16:17] offset0:40 offset1:41
	ds_write2_b64 v244, v[10:11], v[12:13] offset0:42 offset1:43
	;; [unrolled: 1-line block ×4, first 2 shown]
	ds_read2_b64 v[174:177], v1 offset1:1
	s_waitcnt lgkmcnt(0)
	v_cmp_neq_f64_e32 vcc_lo, 0, v[174:175]
	v_cmp_neq_f64_e64 s1, 0, v[176:177]
	s_or_b32 s1, vcc_lo, s1
	s_and_b32 exec_lo, exec_lo, s1
	s_cbranch_execz .LBB47_179
; %bb.174:
	v_cmp_ngt_f64_e64 s1, |v[174:175]|, |v[176:177]|
                                        ; implicit-def: $vgpr178_vgpr179
	s_and_saveexec_b32 s3, s1
	s_xor_b32 s1, exec_lo, s3
                                        ; implicit-def: $vgpr180_vgpr181
	s_cbranch_execz .LBB47_176
; %bb.175:
	v_div_scale_f64 v[178:179], null, v[176:177], v[176:177], v[174:175]
	v_div_scale_f64 v[184:185], vcc_lo, v[174:175], v[176:177], v[174:175]
	v_rcp_f64_e32 v[180:181], v[178:179]
	v_fma_f64 v[182:183], -v[178:179], v[180:181], 1.0
	v_fma_f64 v[180:181], v[180:181], v[182:183], v[180:181]
	v_fma_f64 v[182:183], -v[178:179], v[180:181], 1.0
	v_fma_f64 v[180:181], v[180:181], v[182:183], v[180:181]
	v_mul_f64 v[182:183], v[184:185], v[180:181]
	v_fma_f64 v[178:179], -v[178:179], v[182:183], v[184:185]
	v_div_fmas_f64 v[178:179], v[178:179], v[180:181], v[182:183]
	v_div_fixup_f64 v[178:179], v[178:179], v[176:177], v[174:175]
	v_fma_f64 v[174:175], v[174:175], v[178:179], v[176:177]
	v_div_scale_f64 v[176:177], null, v[174:175], v[174:175], 1.0
	v_rcp_f64_e32 v[180:181], v[176:177]
	v_fma_f64 v[182:183], -v[176:177], v[180:181], 1.0
	v_fma_f64 v[180:181], v[180:181], v[182:183], v[180:181]
	v_fma_f64 v[182:183], -v[176:177], v[180:181], 1.0
	v_fma_f64 v[180:181], v[180:181], v[182:183], v[180:181]
	v_div_scale_f64 v[182:183], vcc_lo, 1.0, v[174:175], 1.0
	v_mul_f64 v[184:185], v[182:183], v[180:181]
	v_fma_f64 v[176:177], -v[176:177], v[184:185], v[182:183]
	v_div_fmas_f64 v[176:177], v[176:177], v[180:181], v[184:185]
	v_div_fixup_f64 v[180:181], v[176:177], v[174:175], 1.0
                                        ; implicit-def: $vgpr174_vgpr175
	v_mul_f64 v[178:179], v[178:179], v[180:181]
	v_xor_b32_e32 v181, 0x80000000, v181
.LBB47_176:
	s_andn2_saveexec_b32 s1, s1
	s_cbranch_execz .LBB47_178
; %bb.177:
	v_div_scale_f64 v[178:179], null, v[174:175], v[174:175], v[176:177]
	v_div_scale_f64 v[184:185], vcc_lo, v[176:177], v[174:175], v[176:177]
	v_rcp_f64_e32 v[180:181], v[178:179]
	v_fma_f64 v[182:183], -v[178:179], v[180:181], 1.0
	v_fma_f64 v[180:181], v[180:181], v[182:183], v[180:181]
	v_fma_f64 v[182:183], -v[178:179], v[180:181], 1.0
	v_fma_f64 v[180:181], v[180:181], v[182:183], v[180:181]
	v_mul_f64 v[182:183], v[184:185], v[180:181]
	v_fma_f64 v[178:179], -v[178:179], v[182:183], v[184:185]
	v_div_fmas_f64 v[178:179], v[178:179], v[180:181], v[182:183]
	v_div_fixup_f64 v[180:181], v[178:179], v[174:175], v[176:177]
	v_fma_f64 v[174:175], v[176:177], v[180:181], v[174:175]
	v_div_scale_f64 v[176:177], null, v[174:175], v[174:175], 1.0
	v_rcp_f64_e32 v[178:179], v[176:177]
	v_fma_f64 v[182:183], -v[176:177], v[178:179], 1.0
	v_fma_f64 v[178:179], v[178:179], v[182:183], v[178:179]
	v_fma_f64 v[182:183], -v[176:177], v[178:179], 1.0
	v_fma_f64 v[178:179], v[178:179], v[182:183], v[178:179]
	v_div_scale_f64 v[182:183], vcc_lo, 1.0, v[174:175], 1.0
	v_mul_f64 v[184:185], v[182:183], v[178:179]
	v_fma_f64 v[176:177], -v[176:177], v[184:185], v[182:183]
	v_div_fmas_f64 v[176:177], v[176:177], v[178:179], v[184:185]
	v_div_fixup_f64 v[178:179], v[176:177], v[174:175], 1.0
	v_mul_f64 v[180:181], v[180:181], -v[178:179]
.LBB47_178:
	s_or_b32 exec_lo, exec_lo, s1
	ds_write2_b64 v1, v[178:179], v[180:181] offset1:1
.LBB47_179:
	s_or_b32 exec_lo, exec_lo, s2
	s_waitcnt lgkmcnt(0)
	s_barrier
	buffer_gl0_inv
	ds_read2_b64 v[174:177], v1 offset1:1
	s_mov_b32 s1, exec_lo
	v_cmpx_lt_u32_e32 19, v0
	s_cbranch_execz .LBB47_181
; %bb.180:
	s_waitcnt lgkmcnt(0)
	v_mul_f64 v[178:179], v[174:175], v[20:21]
	v_mul_f64 v[20:21], v[176:177], v[20:21]
	v_fma_f64 v[182:183], v[176:177], v[18:19], v[178:179]
	ds_read2_b64 v[178:181], v244 offset0:40 offset1:41
	v_fma_f64 v[18:19], v[174:175], v[18:19], -v[20:21]
	s_waitcnt lgkmcnt(0)
	v_mul_f64 v[20:21], v[180:181], v[182:183]
	v_fma_f64 v[20:21], v[178:179], v[18:19], -v[20:21]
	v_mul_f64 v[178:179], v[178:179], v[182:183]
	v_add_f64 v[14:15], v[14:15], -v[20:21]
	v_fma_f64 v[178:179], v[180:181], v[18:19], v[178:179]
	v_add_f64 v[16:17], v[16:17], -v[178:179]
	ds_read2_b64 v[178:181], v244 offset0:42 offset1:43
	s_waitcnt lgkmcnt(0)
	v_mul_f64 v[20:21], v[180:181], v[182:183]
	v_fma_f64 v[20:21], v[178:179], v[18:19], -v[20:21]
	v_mul_f64 v[178:179], v[178:179], v[182:183]
	v_add_f64 v[10:11], v[10:11], -v[20:21]
	v_fma_f64 v[178:179], v[180:181], v[18:19], v[178:179]
	v_add_f64 v[12:13], v[12:13], -v[178:179]
	ds_read2_b64 v[178:181], v244 offset0:44 offset1:45
	;; [unrolled: 8-line block ×3, first 2 shown]
	s_waitcnt lgkmcnt(0)
	v_mul_f64 v[20:21], v[180:181], v[182:183]
	v_fma_f64 v[20:21], v[178:179], v[18:19], -v[20:21]
	v_mul_f64 v[178:179], v[178:179], v[182:183]
	v_add_f64 v[2:3], v[2:3], -v[20:21]
	v_fma_f64 v[178:179], v[180:181], v[18:19], v[178:179]
	v_mov_b32_e32 v20, v182
	v_mov_b32_e32 v21, v183
	v_add_f64 v[4:5], v[4:5], -v[178:179]
.LBB47_181:
	s_or_b32 exec_lo, exec_lo, s1
	s_mov_b32 s2, exec_lo
	s_waitcnt lgkmcnt(0)
	s_barrier
	buffer_gl0_inv
	v_cmpx_eq_u32_e32 20, v0
	s_cbranch_execz .LBB47_188
; %bb.182:
	ds_write2_b64 v1, v[14:15], v[16:17] offset1:1
	ds_write2_b64 v244, v[10:11], v[12:13] offset0:42 offset1:43
	ds_write2_b64 v244, v[6:7], v[8:9] offset0:44 offset1:45
	;; [unrolled: 1-line block ×3, first 2 shown]
	ds_read2_b64 v[178:181], v1 offset1:1
	s_waitcnt lgkmcnt(0)
	v_cmp_neq_f64_e32 vcc_lo, 0, v[178:179]
	v_cmp_neq_f64_e64 s1, 0, v[180:181]
	s_or_b32 s1, vcc_lo, s1
	s_and_b32 exec_lo, exec_lo, s1
	s_cbranch_execz .LBB47_188
; %bb.183:
	v_cmp_ngt_f64_e64 s1, |v[178:179]|, |v[180:181]|
                                        ; implicit-def: $vgpr182_vgpr183
	s_and_saveexec_b32 s3, s1
	s_xor_b32 s1, exec_lo, s3
                                        ; implicit-def: $vgpr184_vgpr185
	s_cbranch_execz .LBB47_185
; %bb.184:
	v_div_scale_f64 v[182:183], null, v[180:181], v[180:181], v[178:179]
	v_div_scale_f64 v[188:189], vcc_lo, v[178:179], v[180:181], v[178:179]
	v_rcp_f64_e32 v[184:185], v[182:183]
	v_fma_f64 v[186:187], -v[182:183], v[184:185], 1.0
	v_fma_f64 v[184:185], v[184:185], v[186:187], v[184:185]
	v_fma_f64 v[186:187], -v[182:183], v[184:185], 1.0
	v_fma_f64 v[184:185], v[184:185], v[186:187], v[184:185]
	v_mul_f64 v[186:187], v[188:189], v[184:185]
	v_fma_f64 v[182:183], -v[182:183], v[186:187], v[188:189]
	v_div_fmas_f64 v[182:183], v[182:183], v[184:185], v[186:187]
	v_div_fixup_f64 v[182:183], v[182:183], v[180:181], v[178:179]
	v_fma_f64 v[178:179], v[178:179], v[182:183], v[180:181]
	v_div_scale_f64 v[180:181], null, v[178:179], v[178:179], 1.0
	v_rcp_f64_e32 v[184:185], v[180:181]
	v_fma_f64 v[186:187], -v[180:181], v[184:185], 1.0
	v_fma_f64 v[184:185], v[184:185], v[186:187], v[184:185]
	v_fma_f64 v[186:187], -v[180:181], v[184:185], 1.0
	v_fma_f64 v[184:185], v[184:185], v[186:187], v[184:185]
	v_div_scale_f64 v[186:187], vcc_lo, 1.0, v[178:179], 1.0
	v_mul_f64 v[188:189], v[186:187], v[184:185]
	v_fma_f64 v[180:181], -v[180:181], v[188:189], v[186:187]
	v_div_fmas_f64 v[180:181], v[180:181], v[184:185], v[188:189]
	v_div_fixup_f64 v[184:185], v[180:181], v[178:179], 1.0
                                        ; implicit-def: $vgpr178_vgpr179
	v_mul_f64 v[182:183], v[182:183], v[184:185]
	v_xor_b32_e32 v185, 0x80000000, v185
.LBB47_185:
	s_andn2_saveexec_b32 s1, s1
	s_cbranch_execz .LBB47_187
; %bb.186:
	v_div_scale_f64 v[182:183], null, v[178:179], v[178:179], v[180:181]
	v_div_scale_f64 v[188:189], vcc_lo, v[180:181], v[178:179], v[180:181]
	v_rcp_f64_e32 v[184:185], v[182:183]
	v_fma_f64 v[186:187], -v[182:183], v[184:185], 1.0
	v_fma_f64 v[184:185], v[184:185], v[186:187], v[184:185]
	v_fma_f64 v[186:187], -v[182:183], v[184:185], 1.0
	v_fma_f64 v[184:185], v[184:185], v[186:187], v[184:185]
	v_mul_f64 v[186:187], v[188:189], v[184:185]
	v_fma_f64 v[182:183], -v[182:183], v[186:187], v[188:189]
	v_div_fmas_f64 v[182:183], v[182:183], v[184:185], v[186:187]
	v_div_fixup_f64 v[184:185], v[182:183], v[178:179], v[180:181]
	v_fma_f64 v[178:179], v[180:181], v[184:185], v[178:179]
	v_div_scale_f64 v[180:181], null, v[178:179], v[178:179], 1.0
	v_rcp_f64_e32 v[182:183], v[180:181]
	v_fma_f64 v[186:187], -v[180:181], v[182:183], 1.0
	v_fma_f64 v[182:183], v[182:183], v[186:187], v[182:183]
	v_fma_f64 v[186:187], -v[180:181], v[182:183], 1.0
	v_fma_f64 v[182:183], v[182:183], v[186:187], v[182:183]
	v_div_scale_f64 v[186:187], vcc_lo, 1.0, v[178:179], 1.0
	v_mul_f64 v[188:189], v[186:187], v[182:183]
	v_fma_f64 v[180:181], -v[180:181], v[188:189], v[186:187]
	v_div_fmas_f64 v[180:181], v[180:181], v[182:183], v[188:189]
	v_div_fixup_f64 v[182:183], v[180:181], v[178:179], 1.0
	v_mul_f64 v[184:185], v[184:185], -v[182:183]
.LBB47_187:
	s_or_b32 exec_lo, exec_lo, s1
	ds_write2_b64 v1, v[182:183], v[184:185] offset1:1
.LBB47_188:
	s_or_b32 exec_lo, exec_lo, s2
	s_waitcnt lgkmcnt(0)
	s_barrier
	buffer_gl0_inv
	ds_read2_b64 v[178:181], v1 offset1:1
	s_mov_b32 s1, exec_lo
	v_cmpx_lt_u32_e32 20, v0
	s_cbranch_execz .LBB47_190
; %bb.189:
	s_waitcnt lgkmcnt(0)
	v_mul_f64 v[182:183], v[178:179], v[16:17]
	v_mul_f64 v[16:17], v[180:181], v[16:17]
	v_fma_f64 v[186:187], v[180:181], v[14:15], v[182:183]
	ds_read2_b64 v[182:185], v244 offset0:42 offset1:43
	v_fma_f64 v[14:15], v[178:179], v[14:15], -v[16:17]
	s_waitcnt lgkmcnt(0)
	v_mul_f64 v[16:17], v[184:185], v[186:187]
	v_fma_f64 v[16:17], v[182:183], v[14:15], -v[16:17]
	v_mul_f64 v[182:183], v[182:183], v[186:187]
	v_add_f64 v[10:11], v[10:11], -v[16:17]
	v_fma_f64 v[182:183], v[184:185], v[14:15], v[182:183]
	v_add_f64 v[12:13], v[12:13], -v[182:183]
	ds_read2_b64 v[182:185], v244 offset0:44 offset1:45
	s_waitcnt lgkmcnt(0)
	v_mul_f64 v[16:17], v[184:185], v[186:187]
	v_fma_f64 v[16:17], v[182:183], v[14:15], -v[16:17]
	v_mul_f64 v[182:183], v[182:183], v[186:187]
	v_add_f64 v[6:7], v[6:7], -v[16:17]
	v_fma_f64 v[182:183], v[184:185], v[14:15], v[182:183]
	v_add_f64 v[8:9], v[8:9], -v[182:183]
	ds_read2_b64 v[182:185], v244 offset0:46 offset1:47
	s_waitcnt lgkmcnt(0)
	v_mul_f64 v[16:17], v[184:185], v[186:187]
	v_fma_f64 v[16:17], v[182:183], v[14:15], -v[16:17]
	v_mul_f64 v[182:183], v[182:183], v[186:187]
	v_add_f64 v[2:3], v[2:3], -v[16:17]
	v_fma_f64 v[182:183], v[184:185], v[14:15], v[182:183]
	v_mov_b32_e32 v16, v186
	v_mov_b32_e32 v17, v187
	v_add_f64 v[4:5], v[4:5], -v[182:183]
.LBB47_190:
	s_or_b32 exec_lo, exec_lo, s1
	s_mov_b32 s2, exec_lo
	s_waitcnt lgkmcnt(0)
	s_barrier
	buffer_gl0_inv
	v_cmpx_eq_u32_e32 21, v0
	s_cbranch_execz .LBB47_197
; %bb.191:
	ds_write2_b64 v1, v[10:11], v[12:13] offset1:1
	ds_write2_b64 v244, v[6:7], v[8:9] offset0:44 offset1:45
	ds_write2_b64 v244, v[2:3], v[4:5] offset0:46 offset1:47
	ds_read2_b64 v[182:185], v1 offset1:1
	s_waitcnt lgkmcnt(0)
	v_cmp_neq_f64_e32 vcc_lo, 0, v[182:183]
	v_cmp_neq_f64_e64 s1, 0, v[184:185]
	s_or_b32 s1, vcc_lo, s1
	s_and_b32 exec_lo, exec_lo, s1
	s_cbranch_execz .LBB47_197
; %bb.192:
	v_cmp_ngt_f64_e64 s1, |v[182:183]|, |v[184:185]|
                                        ; implicit-def: $vgpr186_vgpr187
	s_and_saveexec_b32 s3, s1
	s_xor_b32 s1, exec_lo, s3
                                        ; implicit-def: $vgpr188_vgpr189
	s_cbranch_execz .LBB47_194
; %bb.193:
	v_div_scale_f64 v[186:187], null, v[184:185], v[184:185], v[182:183]
	v_div_scale_f64 v[192:193], vcc_lo, v[182:183], v[184:185], v[182:183]
	v_rcp_f64_e32 v[188:189], v[186:187]
	v_fma_f64 v[190:191], -v[186:187], v[188:189], 1.0
	v_fma_f64 v[188:189], v[188:189], v[190:191], v[188:189]
	v_fma_f64 v[190:191], -v[186:187], v[188:189], 1.0
	v_fma_f64 v[188:189], v[188:189], v[190:191], v[188:189]
	v_mul_f64 v[190:191], v[192:193], v[188:189]
	v_fma_f64 v[186:187], -v[186:187], v[190:191], v[192:193]
	v_div_fmas_f64 v[186:187], v[186:187], v[188:189], v[190:191]
	v_div_fixup_f64 v[186:187], v[186:187], v[184:185], v[182:183]
	v_fma_f64 v[182:183], v[182:183], v[186:187], v[184:185]
	v_div_scale_f64 v[184:185], null, v[182:183], v[182:183], 1.0
	v_rcp_f64_e32 v[188:189], v[184:185]
	v_fma_f64 v[190:191], -v[184:185], v[188:189], 1.0
	v_fma_f64 v[188:189], v[188:189], v[190:191], v[188:189]
	v_fma_f64 v[190:191], -v[184:185], v[188:189], 1.0
	v_fma_f64 v[188:189], v[188:189], v[190:191], v[188:189]
	v_div_scale_f64 v[190:191], vcc_lo, 1.0, v[182:183], 1.0
	v_mul_f64 v[192:193], v[190:191], v[188:189]
	v_fma_f64 v[184:185], -v[184:185], v[192:193], v[190:191]
	v_div_fmas_f64 v[184:185], v[184:185], v[188:189], v[192:193]
	v_div_fixup_f64 v[188:189], v[184:185], v[182:183], 1.0
                                        ; implicit-def: $vgpr182_vgpr183
	v_mul_f64 v[186:187], v[186:187], v[188:189]
	v_xor_b32_e32 v189, 0x80000000, v189
.LBB47_194:
	s_andn2_saveexec_b32 s1, s1
	s_cbranch_execz .LBB47_196
; %bb.195:
	v_div_scale_f64 v[186:187], null, v[182:183], v[182:183], v[184:185]
	v_div_scale_f64 v[192:193], vcc_lo, v[184:185], v[182:183], v[184:185]
	v_rcp_f64_e32 v[188:189], v[186:187]
	v_fma_f64 v[190:191], -v[186:187], v[188:189], 1.0
	v_fma_f64 v[188:189], v[188:189], v[190:191], v[188:189]
	v_fma_f64 v[190:191], -v[186:187], v[188:189], 1.0
	v_fma_f64 v[188:189], v[188:189], v[190:191], v[188:189]
	v_mul_f64 v[190:191], v[192:193], v[188:189]
	v_fma_f64 v[186:187], -v[186:187], v[190:191], v[192:193]
	v_div_fmas_f64 v[186:187], v[186:187], v[188:189], v[190:191]
	v_div_fixup_f64 v[188:189], v[186:187], v[182:183], v[184:185]
	v_fma_f64 v[182:183], v[184:185], v[188:189], v[182:183]
	v_div_scale_f64 v[184:185], null, v[182:183], v[182:183], 1.0
	v_rcp_f64_e32 v[186:187], v[184:185]
	v_fma_f64 v[190:191], -v[184:185], v[186:187], 1.0
	v_fma_f64 v[186:187], v[186:187], v[190:191], v[186:187]
	v_fma_f64 v[190:191], -v[184:185], v[186:187], 1.0
	v_fma_f64 v[186:187], v[186:187], v[190:191], v[186:187]
	v_div_scale_f64 v[190:191], vcc_lo, 1.0, v[182:183], 1.0
	v_mul_f64 v[192:193], v[190:191], v[186:187]
	v_fma_f64 v[184:185], -v[184:185], v[192:193], v[190:191]
	v_div_fmas_f64 v[184:185], v[184:185], v[186:187], v[192:193]
	v_div_fixup_f64 v[186:187], v[184:185], v[182:183], 1.0
	v_mul_f64 v[188:189], v[188:189], -v[186:187]
.LBB47_196:
	s_or_b32 exec_lo, exec_lo, s1
	ds_write2_b64 v1, v[186:187], v[188:189] offset1:1
.LBB47_197:
	s_or_b32 exec_lo, exec_lo, s2
	s_waitcnt lgkmcnt(0)
	s_barrier
	buffer_gl0_inv
	ds_read2_b64 v[182:185], v1 offset1:1
	s_mov_b32 s1, exec_lo
	v_cmpx_lt_u32_e32 21, v0
	s_cbranch_execz .LBB47_199
; %bb.198:
	s_waitcnt lgkmcnt(0)
	v_mul_f64 v[186:187], v[182:183], v[12:13]
	v_mul_f64 v[12:13], v[184:185], v[12:13]
	v_fma_f64 v[245:246], v[184:185], v[10:11], v[186:187]
	ds_read2_b64 v[186:189], v244 offset0:44 offset1:45
	ds_read2_b64 v[190:193], v244 offset0:46 offset1:47
	v_fma_f64 v[10:11], v[182:183], v[10:11], -v[12:13]
	s_waitcnt lgkmcnt(1)
	v_mul_f64 v[12:13], v[188:189], v[245:246]
	v_mul_f64 v[247:248], v[186:187], v[245:246]
	s_waitcnt lgkmcnt(0)
	v_mul_f64 v[249:250], v[192:193], v[245:246]
	v_mul_f64 v[251:252], v[190:191], v[245:246]
	v_fma_f64 v[12:13], v[186:187], v[10:11], -v[12:13]
	v_fma_f64 v[186:187], v[188:189], v[10:11], v[247:248]
	v_fma_f64 v[188:189], v[190:191], v[10:11], -v[249:250]
	v_fma_f64 v[190:191], v[192:193], v[10:11], v[251:252]
	v_add_f64 v[6:7], v[6:7], -v[12:13]
	v_add_f64 v[8:9], v[8:9], -v[186:187]
	;; [unrolled: 1-line block ×4, first 2 shown]
	v_mov_b32_e32 v12, v245
	v_mov_b32_e32 v13, v246
.LBB47_199:
	s_or_b32 exec_lo, exec_lo, s1
	s_mov_b32 s2, exec_lo
	s_waitcnt lgkmcnt(0)
	s_barrier
	buffer_gl0_inv
	v_cmpx_eq_u32_e32 22, v0
	s_cbranch_execz .LBB47_206
; %bb.200:
	ds_write2_b64 v1, v[6:7], v[8:9] offset1:1
	ds_write2_b64 v244, v[2:3], v[4:5] offset0:46 offset1:47
	ds_read2_b64 v[186:189], v1 offset1:1
	s_waitcnt lgkmcnt(0)
	v_cmp_neq_f64_e32 vcc_lo, 0, v[186:187]
	v_cmp_neq_f64_e64 s1, 0, v[188:189]
	s_or_b32 s1, vcc_lo, s1
	s_and_b32 exec_lo, exec_lo, s1
	s_cbranch_execz .LBB47_206
; %bb.201:
	v_cmp_ngt_f64_e64 s1, |v[186:187]|, |v[188:189]|
                                        ; implicit-def: $vgpr190_vgpr191
	s_and_saveexec_b32 s3, s1
	s_xor_b32 s1, exec_lo, s3
                                        ; implicit-def: $vgpr192_vgpr193
	s_cbranch_execz .LBB47_203
; %bb.202:
	v_div_scale_f64 v[190:191], null, v[188:189], v[188:189], v[186:187]
	v_div_scale_f64 v[247:248], vcc_lo, v[186:187], v[188:189], v[186:187]
	v_rcp_f64_e32 v[192:193], v[190:191]
	v_fma_f64 v[245:246], -v[190:191], v[192:193], 1.0
	v_fma_f64 v[192:193], v[192:193], v[245:246], v[192:193]
	v_fma_f64 v[245:246], -v[190:191], v[192:193], 1.0
	v_fma_f64 v[192:193], v[192:193], v[245:246], v[192:193]
	v_mul_f64 v[245:246], v[247:248], v[192:193]
	v_fma_f64 v[190:191], -v[190:191], v[245:246], v[247:248]
	v_div_fmas_f64 v[190:191], v[190:191], v[192:193], v[245:246]
	v_div_fixup_f64 v[190:191], v[190:191], v[188:189], v[186:187]
	v_fma_f64 v[186:187], v[186:187], v[190:191], v[188:189]
	v_div_scale_f64 v[188:189], null, v[186:187], v[186:187], 1.0
	v_rcp_f64_e32 v[192:193], v[188:189]
	v_fma_f64 v[245:246], -v[188:189], v[192:193], 1.0
	v_fma_f64 v[192:193], v[192:193], v[245:246], v[192:193]
	v_fma_f64 v[245:246], -v[188:189], v[192:193], 1.0
	v_fma_f64 v[192:193], v[192:193], v[245:246], v[192:193]
	v_div_scale_f64 v[245:246], vcc_lo, 1.0, v[186:187], 1.0
	v_mul_f64 v[247:248], v[245:246], v[192:193]
	v_fma_f64 v[188:189], -v[188:189], v[247:248], v[245:246]
	v_div_fmas_f64 v[188:189], v[188:189], v[192:193], v[247:248]
	v_div_fixup_f64 v[192:193], v[188:189], v[186:187], 1.0
                                        ; implicit-def: $vgpr186_vgpr187
	v_mul_f64 v[190:191], v[190:191], v[192:193]
	v_xor_b32_e32 v193, 0x80000000, v193
.LBB47_203:
	s_andn2_saveexec_b32 s1, s1
	s_cbranch_execz .LBB47_205
; %bb.204:
	v_div_scale_f64 v[190:191], null, v[186:187], v[186:187], v[188:189]
	v_div_scale_f64 v[247:248], vcc_lo, v[188:189], v[186:187], v[188:189]
	v_rcp_f64_e32 v[192:193], v[190:191]
	v_fma_f64 v[245:246], -v[190:191], v[192:193], 1.0
	v_fma_f64 v[192:193], v[192:193], v[245:246], v[192:193]
	v_fma_f64 v[245:246], -v[190:191], v[192:193], 1.0
	v_fma_f64 v[192:193], v[192:193], v[245:246], v[192:193]
	v_mul_f64 v[245:246], v[247:248], v[192:193]
	v_fma_f64 v[190:191], -v[190:191], v[245:246], v[247:248]
	v_div_fmas_f64 v[190:191], v[190:191], v[192:193], v[245:246]
	v_div_fixup_f64 v[192:193], v[190:191], v[186:187], v[188:189]
	v_fma_f64 v[186:187], v[188:189], v[192:193], v[186:187]
	v_div_scale_f64 v[188:189], null, v[186:187], v[186:187], 1.0
	v_rcp_f64_e32 v[190:191], v[188:189]
	v_fma_f64 v[245:246], -v[188:189], v[190:191], 1.0
	v_fma_f64 v[190:191], v[190:191], v[245:246], v[190:191]
	v_fma_f64 v[245:246], -v[188:189], v[190:191], 1.0
	v_fma_f64 v[190:191], v[190:191], v[245:246], v[190:191]
	v_div_scale_f64 v[245:246], vcc_lo, 1.0, v[186:187], 1.0
	v_mul_f64 v[247:248], v[245:246], v[190:191]
	v_fma_f64 v[188:189], -v[188:189], v[247:248], v[245:246]
	v_div_fmas_f64 v[188:189], v[188:189], v[190:191], v[247:248]
	v_div_fixup_f64 v[190:191], v[188:189], v[186:187], 1.0
	v_mul_f64 v[192:193], v[192:193], -v[190:191]
.LBB47_205:
	s_or_b32 exec_lo, exec_lo, s1
	ds_write2_b64 v1, v[190:191], v[192:193] offset1:1
.LBB47_206:
	s_or_b32 exec_lo, exec_lo, s2
	s_waitcnt lgkmcnt(0)
	s_barrier
	buffer_gl0_inv
	ds_read2_b64 v[186:189], v1 offset1:1
	s_mov_b32 s1, exec_lo
	v_cmpx_lt_u32_e32 22, v0
	s_cbranch_execz .LBB47_208
; %bb.207:
	s_waitcnt lgkmcnt(0)
	v_mul_f64 v[190:191], v[186:187], v[8:9]
	v_mul_f64 v[8:9], v[188:189], v[8:9]
	v_fma_f64 v[245:246], v[188:189], v[6:7], v[190:191]
	ds_read2_b64 v[190:193], v244 offset0:46 offset1:47
	v_fma_f64 v[6:7], v[186:187], v[6:7], -v[8:9]
	s_waitcnt lgkmcnt(0)
	v_mul_f64 v[8:9], v[192:193], v[245:246]
	v_mul_f64 v[247:248], v[190:191], v[245:246]
	v_fma_f64 v[8:9], v[190:191], v[6:7], -v[8:9]
	v_fma_f64 v[190:191], v[192:193], v[6:7], v[247:248]
	v_add_f64 v[2:3], v[2:3], -v[8:9]
	v_add_f64 v[4:5], v[4:5], -v[190:191]
	v_mov_b32_e32 v8, v245
	v_mov_b32_e32 v9, v246
.LBB47_208:
	s_or_b32 exec_lo, exec_lo, s1
	s_mov_b32 s2, exec_lo
	s_waitcnt lgkmcnt(0)
	s_barrier
	buffer_gl0_inv
	v_cmpx_eq_u32_e32 23, v0
	s_cbranch_execz .LBB47_215
; %bb.209:
	v_cmp_neq_f64_e32 vcc_lo, 0, v[2:3]
	v_cmp_neq_f64_e64 s1, 0, v[4:5]
	ds_write2_b64 v1, v[2:3], v[4:5] offset1:1
	s_or_b32 s1, vcc_lo, s1
	s_and_b32 exec_lo, exec_lo, s1
	s_cbranch_execz .LBB47_215
; %bb.210:
	v_cmp_ngt_f64_e64 s1, |v[2:3]|, |v[4:5]|
                                        ; implicit-def: $vgpr190_vgpr191
	s_and_saveexec_b32 s3, s1
	s_xor_b32 s1, exec_lo, s3
                                        ; implicit-def: $vgpr192_vgpr193
	s_cbranch_execz .LBB47_212
; %bb.211:
	v_div_scale_f64 v[190:191], null, v[4:5], v[4:5], v[2:3]
	v_div_scale_f64 v[246:247], vcc_lo, v[2:3], v[4:5], v[2:3]
	v_rcp_f64_e32 v[192:193], v[190:191]
	v_fma_f64 v[244:245], -v[190:191], v[192:193], 1.0
	v_fma_f64 v[192:193], v[192:193], v[244:245], v[192:193]
	v_fma_f64 v[244:245], -v[190:191], v[192:193], 1.0
	v_fma_f64 v[192:193], v[192:193], v[244:245], v[192:193]
	v_mul_f64 v[244:245], v[246:247], v[192:193]
	v_fma_f64 v[190:191], -v[190:191], v[244:245], v[246:247]
	v_div_fmas_f64 v[190:191], v[190:191], v[192:193], v[244:245]
	v_div_fixup_f64 v[190:191], v[190:191], v[4:5], v[2:3]
	v_fma_f64 v[192:193], v[2:3], v[190:191], v[4:5]
	v_div_scale_f64 v[244:245], null, v[192:193], v[192:193], 1.0
	v_rcp_f64_e32 v[246:247], v[244:245]
	v_fma_f64 v[248:249], -v[244:245], v[246:247], 1.0
	v_fma_f64 v[246:247], v[246:247], v[248:249], v[246:247]
	v_fma_f64 v[248:249], -v[244:245], v[246:247], 1.0
	v_fma_f64 v[246:247], v[246:247], v[248:249], v[246:247]
	v_div_scale_f64 v[248:249], vcc_lo, 1.0, v[192:193], 1.0
	v_mul_f64 v[250:251], v[248:249], v[246:247]
	v_fma_f64 v[244:245], -v[244:245], v[250:251], v[248:249]
	v_div_fmas_f64 v[244:245], v[244:245], v[246:247], v[250:251]
	v_div_fixup_f64 v[192:193], v[244:245], v[192:193], 1.0
	v_mul_f64 v[190:191], v[190:191], v[192:193]
	v_xor_b32_e32 v193, 0x80000000, v193
.LBB47_212:
	s_andn2_saveexec_b32 s1, s1
	s_cbranch_execz .LBB47_214
; %bb.213:
	v_div_scale_f64 v[190:191], null, v[2:3], v[2:3], v[4:5]
	v_div_scale_f64 v[246:247], vcc_lo, v[4:5], v[2:3], v[4:5]
	v_rcp_f64_e32 v[192:193], v[190:191]
	v_fma_f64 v[244:245], -v[190:191], v[192:193], 1.0
	v_fma_f64 v[192:193], v[192:193], v[244:245], v[192:193]
	v_fma_f64 v[244:245], -v[190:191], v[192:193], 1.0
	v_fma_f64 v[192:193], v[192:193], v[244:245], v[192:193]
	v_mul_f64 v[244:245], v[246:247], v[192:193]
	v_fma_f64 v[190:191], -v[190:191], v[244:245], v[246:247]
	v_div_fmas_f64 v[190:191], v[190:191], v[192:193], v[244:245]
	v_div_fixup_f64 v[192:193], v[190:191], v[2:3], v[4:5]
	v_fma_f64 v[190:191], v[4:5], v[192:193], v[2:3]
	v_div_scale_f64 v[244:245], null, v[190:191], v[190:191], 1.0
	v_rcp_f64_e32 v[246:247], v[244:245]
	v_fma_f64 v[248:249], -v[244:245], v[246:247], 1.0
	v_fma_f64 v[246:247], v[246:247], v[248:249], v[246:247]
	v_fma_f64 v[248:249], -v[244:245], v[246:247], 1.0
	v_fma_f64 v[246:247], v[246:247], v[248:249], v[246:247]
	v_div_scale_f64 v[248:249], vcc_lo, 1.0, v[190:191], 1.0
	v_mul_f64 v[250:251], v[248:249], v[246:247]
	v_fma_f64 v[244:245], -v[244:245], v[250:251], v[248:249]
	v_div_fmas_f64 v[244:245], v[244:245], v[246:247], v[250:251]
	v_div_fixup_f64 v[190:191], v[244:245], v[190:191], 1.0
	v_mul_f64 v[192:193], v[192:193], -v[190:191]
.LBB47_214:
	s_or_b32 exec_lo, exec_lo, s1
	ds_write2_b64 v1, v[190:191], v[192:193] offset1:1
.LBB47_215:
	s_or_b32 exec_lo, exec_lo, s2
	s_waitcnt lgkmcnt(0)
	s_barrier
	buffer_gl0_inv
	ds_read2_b64 v[190:193], v1 offset1:1
	s_mov_b32 s1, exec_lo
	v_cmpx_lt_u32_e32 23, v0
	s_cbranch_execz .LBB47_217
; %bb.216:
	s_waitcnt lgkmcnt(0)
	v_mul_f64 v[0:1], v[192:193], v[4:5]
	v_mul_f64 v[4:5], v[190:191], v[4:5]
	v_fma_f64 v[0:1], v[190:191], v[2:3], -v[0:1]
	v_fma_f64 v[4:5], v[192:193], v[2:3], v[4:5]
	v_mov_b32_e32 v3, v1
	v_mov_b32_e32 v2, v0
.LBB47_217:
	s_or_b32 exec_lo, exec_lo, s1
	s_waitcnt lgkmcnt(0)
	s_barrier
	buffer_gl0_inv
	s_and_saveexec_b32 s6, s0
	s_cbranch_execz .LBB47_220
; %bb.218:
	v_lshlrev_b64 v[0:1], 2, v[226:227]
	v_cmp_eq_f64_e64 s0, 0, v[100:101]
	v_cmp_neq_f64_e64 s1, 0, v[102:103]
	v_cmp_neq_f64_e64 s2, 0, v[104:105]
	v_cmp_eq_f64_e64 s3, 0, v[106:107]
	v_cmp_eq_f64_e64 s4, 0, v[108:109]
	v_add_co_u32 v0, vcc_lo, s10, v0
	v_add_co_ci_u32_e64 v1, null, s11, v1, vcc_lo
	v_cmp_eq_f64_e32 vcc_lo, 0, v[98:99]
	v_cmp_eq_f64_e64 s5, 0, v[110:111]
	global_load_dword v226, v[0:1], off
	s_or_b32 s1, s1, s2
	v_cmp_eq_f64_e64 s2, 0, v[116:117]
	s_and_b32 s3, s3, s4
	v_cmp_eq_f64_e64 s4, 0, v[120:121]
	s_and_b32 s0, vcc_lo, s0
	v_cmp_eq_f64_e32 vcc_lo, 0, v[112:113]
	v_cndmask_b32_e64 v98, 0, 1, s0
	s_or_b32 s0, s1, s0
	v_cmp_eq_f64_e64 s1, 0, v[114:115]
	v_cndmask_b32_e64 v98, 2, v98, s0
	v_cmp_eq_u32_e64 s0, 0, v98
	s_and_b32 s0, s3, s0
	v_cmp_eq_f64_e64 s3, 0, v[118:119]
	v_cndmask_b32_e64 v98, v98, 3, s0
	s_and_b32 s5, s5, vcc_lo
	v_cmp_eq_u32_e64 s0, 0, v98
	s_and_b32 s1, s1, s2
	v_cmp_eq_f64_e64 s2, 0, v[128:129]
	s_and_b32 s0, s5, s0
	v_cmp_eq_f64_e64 s5, 0, v[124:125]
	v_cndmask_b32_e64 v98, v98, 4, s0
	v_cmp_eq_f64_e64 s0, 0, v[122:123]
	v_cmp_eq_u32_e32 vcc_lo, 0, v98
	s_and_b32 s3, s3, s4
	s_and_b32 s1, s1, vcc_lo
	v_cmp_eq_f64_e64 s4, 0, v[132:133]
	v_cndmask_b32_e64 v98, v98, 5, s1
	v_cmp_eq_f64_e64 s1, 0, v[126:127]
	v_cmp_eq_u32_e32 vcc_lo, 0, v98
	s_and_b32 s3, s3, vcc_lo
	s_and_b32 s0, s0, s5
	v_cndmask_b32_e64 v98, v98, 6, s3
	v_cmp_eq_f64_e64 s3, 0, v[130:131]
	v_cmp_eq_f64_e64 s5, 0, v[136:137]
	v_cmp_eq_u32_e32 vcc_lo, 0, v98
	s_and_b32 s0, s0, vcc_lo
	s_and_b32 s1, s1, s2
	v_cndmask_b32_e64 v98, v98, 7, s0
	v_cmp_eq_f64_e64 s0, 0, v[134:135]
	;; [unrolled: 6-line block ×16, first 2 shown]
	v_cmp_eq_u32_e32 vcc_lo, 0, v98
	s_and_b32 s0, s0, vcc_lo
	v_cndmask_b32_e64 v98, v98, 22, s0
	s_and_b32 s0, s1, s2
	v_cmp_eq_u32_e32 vcc_lo, 0, v98
	s_and_b32 s0, s0, vcc_lo
	v_cndmask_b32_e64 v98, v98, 23, s0
	s_and_b32 s0, s3, s4
	v_cmp_eq_u32_e32 vcc_lo, 0, v98
	s_and_b32 s0, s0, vcc_lo
	v_cndmask_b32_e64 v98, v98, 24, s0
	v_cmp_ne_u32_e64 s0, 0, v98
	s_waitcnt vmcnt(0)
	v_cmp_eq_u32_e32 vcc_lo, 0, v226
	s_and_b32 s0, vcc_lo, s0
	s_and_b32 exec_lo, exec_lo, s0
	s_cbranch_execz .LBB47_220
; %bb.219:
	v_add_nc_u32_e32 v98, s13, v98
	global_store_dword v[0:1], v98, off
.LBB47_220:
	s_or_b32 exec_lo, exec_lo, s6
	global_store_dwordx4 v[200:201], v[94:97], off
	global_store_dwordx4 v[202:203], v[90:93], off
	global_store_dwordx4 v[198:199], v[86:89], off
	global_store_dwordx4 v[196:197], v[82:85], off
	global_store_dwordx4 v[194:195], v[78:81], off
	global_store_dwordx4 v[204:205], v[74:77], off
	global_store_dwordx4 v[206:207], v[70:73], off
	global_store_dwordx4 v[208:209], v[66:69], off
	global_store_dwordx4 v[210:211], v[62:65], off
	global_store_dwordx4 v[212:213], v[58:61], off
	global_store_dwordx4 v[214:215], v[54:57], off
	global_store_dwordx4 v[216:217], v[50:53], off
	global_store_dwordx4 v[218:219], v[46:49], off
	global_store_dwordx4 v[220:221], v[42:45], off
	global_store_dwordx4 v[222:223], v[38:41], off
	global_store_dwordx4 v[224:225], v[34:37], off
	global_store_dwordx4 v[228:229], v[30:33], off
	global_store_dwordx4 v[230:231], v[26:29], off
	global_store_dwordx4 v[232:233], v[22:25], off
	global_store_dwordx4 v[234:235], v[18:21], off
	global_store_dwordx4 v[240:241], v[14:17], off
	global_store_dwordx4 v[236:237], v[10:13], off
	global_store_dwordx4 v[238:239], v[6:9], off
	global_store_dwordx4 v[242:243], v[2:5], off
.LBB47_221:
	s_endpgm
	.section	.rodata,"a",@progbits
	.p2align	6, 0x0
	.amdhsa_kernel _ZN9rocsolver6v33100L23getf2_npvt_small_kernelILi24E19rocblas_complex_numIdEiiPS3_EEvT1_T3_lS5_lPT2_S5_S5_
		.amdhsa_group_segment_fixed_size 0
		.amdhsa_private_segment_fixed_size 0
		.amdhsa_kernarg_size 312
		.amdhsa_user_sgpr_count 6
		.amdhsa_user_sgpr_private_segment_buffer 1
		.amdhsa_user_sgpr_dispatch_ptr 0
		.amdhsa_user_sgpr_queue_ptr 0
		.amdhsa_user_sgpr_kernarg_segment_ptr 1
		.amdhsa_user_sgpr_dispatch_id 0
		.amdhsa_user_sgpr_flat_scratch_init 0
		.amdhsa_user_sgpr_private_segment_size 0
		.amdhsa_wavefront_size32 1
		.amdhsa_uses_dynamic_stack 0
		.amdhsa_system_sgpr_private_segment_wavefront_offset 0
		.amdhsa_system_sgpr_workgroup_id_x 1
		.amdhsa_system_sgpr_workgroup_id_y 1
		.amdhsa_system_sgpr_workgroup_id_z 0
		.amdhsa_system_sgpr_workgroup_info 0
		.amdhsa_system_vgpr_workitem_id 1
		.amdhsa_next_free_vgpr 253
		.amdhsa_next_free_sgpr 15
		.amdhsa_reserve_vcc 1
		.amdhsa_reserve_flat_scratch 0
		.amdhsa_float_round_mode_32 0
		.amdhsa_float_round_mode_16_64 0
		.amdhsa_float_denorm_mode_32 3
		.amdhsa_float_denorm_mode_16_64 3
		.amdhsa_dx10_clamp 1
		.amdhsa_ieee_mode 1
		.amdhsa_fp16_overflow 0
		.amdhsa_workgroup_processor_mode 1
		.amdhsa_memory_ordered 1
		.amdhsa_forward_progress 1
		.amdhsa_shared_vgpr_count 0
		.amdhsa_exception_fp_ieee_invalid_op 0
		.amdhsa_exception_fp_denorm_src 0
		.amdhsa_exception_fp_ieee_div_zero 0
		.amdhsa_exception_fp_ieee_overflow 0
		.amdhsa_exception_fp_ieee_underflow 0
		.amdhsa_exception_fp_ieee_inexact 0
		.amdhsa_exception_int_div_zero 0
	.end_amdhsa_kernel
	.section	.text._ZN9rocsolver6v33100L23getf2_npvt_small_kernelILi24E19rocblas_complex_numIdEiiPS3_EEvT1_T3_lS5_lPT2_S5_S5_,"axG",@progbits,_ZN9rocsolver6v33100L23getf2_npvt_small_kernelILi24E19rocblas_complex_numIdEiiPS3_EEvT1_T3_lS5_lPT2_S5_S5_,comdat
.Lfunc_end47:
	.size	_ZN9rocsolver6v33100L23getf2_npvt_small_kernelILi24E19rocblas_complex_numIdEiiPS3_EEvT1_T3_lS5_lPT2_S5_S5_, .Lfunc_end47-_ZN9rocsolver6v33100L23getf2_npvt_small_kernelILi24E19rocblas_complex_numIdEiiPS3_EEvT1_T3_lS5_lPT2_S5_S5_
                                        ; -- End function
	.set _ZN9rocsolver6v33100L23getf2_npvt_small_kernelILi24E19rocblas_complex_numIdEiiPS3_EEvT1_T3_lS5_lPT2_S5_S5_.num_vgpr, 253
	.set _ZN9rocsolver6v33100L23getf2_npvt_small_kernelILi24E19rocblas_complex_numIdEiiPS3_EEvT1_T3_lS5_lPT2_S5_S5_.num_agpr, 0
	.set _ZN9rocsolver6v33100L23getf2_npvt_small_kernelILi24E19rocblas_complex_numIdEiiPS3_EEvT1_T3_lS5_lPT2_S5_S5_.numbered_sgpr, 15
	.set _ZN9rocsolver6v33100L23getf2_npvt_small_kernelILi24E19rocblas_complex_numIdEiiPS3_EEvT1_T3_lS5_lPT2_S5_S5_.num_named_barrier, 0
	.set _ZN9rocsolver6v33100L23getf2_npvt_small_kernelILi24E19rocblas_complex_numIdEiiPS3_EEvT1_T3_lS5_lPT2_S5_S5_.private_seg_size, 0
	.set _ZN9rocsolver6v33100L23getf2_npvt_small_kernelILi24E19rocblas_complex_numIdEiiPS3_EEvT1_T3_lS5_lPT2_S5_S5_.uses_vcc, 1
	.set _ZN9rocsolver6v33100L23getf2_npvt_small_kernelILi24E19rocblas_complex_numIdEiiPS3_EEvT1_T3_lS5_lPT2_S5_S5_.uses_flat_scratch, 0
	.set _ZN9rocsolver6v33100L23getf2_npvt_small_kernelILi24E19rocblas_complex_numIdEiiPS3_EEvT1_T3_lS5_lPT2_S5_S5_.has_dyn_sized_stack, 0
	.set _ZN9rocsolver6v33100L23getf2_npvt_small_kernelILi24E19rocblas_complex_numIdEiiPS3_EEvT1_T3_lS5_lPT2_S5_S5_.has_recursion, 0
	.set _ZN9rocsolver6v33100L23getf2_npvt_small_kernelILi24E19rocblas_complex_numIdEiiPS3_EEvT1_T3_lS5_lPT2_S5_S5_.has_indirect_call, 0
	.section	.AMDGPU.csdata,"",@progbits
; Kernel info:
; codeLenInByte = 34912
; TotalNumSgprs: 17
; NumVgprs: 253
; ScratchSize: 0
; MemoryBound: 1
; FloatMode: 240
; IeeeMode: 1
; LDSByteSize: 0 bytes/workgroup (compile time only)
; SGPRBlocks: 0
; VGPRBlocks: 31
; NumSGPRsForWavesPerEU: 17
; NumVGPRsForWavesPerEU: 253
; Occupancy: 4
; WaveLimiterHint : 0
; COMPUTE_PGM_RSRC2:SCRATCH_EN: 0
; COMPUTE_PGM_RSRC2:USER_SGPR: 6
; COMPUTE_PGM_RSRC2:TRAP_HANDLER: 0
; COMPUTE_PGM_RSRC2:TGID_X_EN: 1
; COMPUTE_PGM_RSRC2:TGID_Y_EN: 1
; COMPUTE_PGM_RSRC2:TGID_Z_EN: 0
; COMPUTE_PGM_RSRC2:TIDIG_COMP_CNT: 1
	.section	.text._ZN9rocsolver6v33100L18getf2_small_kernelILi25E19rocblas_complex_numIdEiiPS3_EEvT1_T3_lS5_lPS5_llPT2_S5_S5_S7_l,"axG",@progbits,_ZN9rocsolver6v33100L18getf2_small_kernelILi25E19rocblas_complex_numIdEiiPS3_EEvT1_T3_lS5_lPS5_llPT2_S5_S5_S7_l,comdat
	.globl	_ZN9rocsolver6v33100L18getf2_small_kernelILi25E19rocblas_complex_numIdEiiPS3_EEvT1_T3_lS5_lPS5_llPT2_S5_S5_S7_l ; -- Begin function _ZN9rocsolver6v33100L18getf2_small_kernelILi25E19rocblas_complex_numIdEiiPS3_EEvT1_T3_lS5_lPS5_llPT2_S5_S5_S7_l
	.p2align	8
	.type	_ZN9rocsolver6v33100L18getf2_small_kernelILi25E19rocblas_complex_numIdEiiPS3_EEvT1_T3_lS5_lPS5_llPT2_S5_S5_S7_l,@function
_ZN9rocsolver6v33100L18getf2_small_kernelILi25E19rocblas_complex_numIdEiiPS3_EEvT1_T3_lS5_lPS5_llPT2_S5_S5_S7_l: ; @_ZN9rocsolver6v33100L18getf2_small_kernelILi25E19rocblas_complex_numIdEiiPS3_EEvT1_T3_lS5_lPS5_llPT2_S5_S5_S7_l
; %bb.0:
	s_clause 0x1
	s_load_dword s0, s[4:5], 0x6c
	s_load_dwordx2 s[16:17], s[4:5], 0x48
	s_waitcnt lgkmcnt(0)
	s_lshr_b32 s0, s0, 16
	v_mad_u64_u32 v[106:107], null, s7, s0, v[1:2]
	s_mov_b32 s0, exec_lo
	v_cmpx_gt_i32_e64 s16, v106
	s_cbranch_execz .LBB48_528
; %bb.1:
	s_load_dwordx4 s[0:3], s[4:5], 0x50
	v_mov_b32_e32 v108, 0
	v_ashrrev_i32_e32 v107, 31, v106
	v_mov_b32_e32 v109, 0
	s_waitcnt lgkmcnt(0)
	s_cmp_eq_u64 s[0:1], 0
	s_cselect_b32 s16, -1, 0
	s_and_b32 vcc_lo, exec_lo, s16
	s_cbranch_vccnz .LBB48_3
; %bb.2:
	v_mul_lo_u32 v4, s3, v106
	v_mul_lo_u32 v5, s2, v107
	v_mad_u64_u32 v[2:3], null, s2, v106, 0
	v_add3_u32 v3, v3, v5, v4
	v_lshlrev_b64 v[2:3], 2, v[2:3]
	v_add_co_u32 v108, vcc_lo, s0, v2
	v_add_co_ci_u32_e64 v109, null, s1, v3, vcc_lo
.LBB48_3:
	s_clause 0x2
	s_load_dwordx8 s[8:15], s[4:5], 0x20
	s_load_dword s6, s[4:5], 0x18
	s_load_dwordx4 s[0:3], s[4:5], 0x8
	v_lshlrev_b32_e32 v112, 4, v0
	s_clause 0x1
	s_load_dword s18, s[4:5], 0x0
	s_load_dwordx2 s[4:5], s[4:5], 0x40
	s_waitcnt lgkmcnt(0)
	v_mul_lo_u32 v5, s9, v106
	v_mul_lo_u32 v7, s8, v107
	v_mad_u64_u32 v[2:3], null, s8, v106, 0
	v_add3_u32 v4, s6, s6, v0
	s_lshl_b64 s[2:3], s[2:3], 4
	s_ashr_i32 s7, s6, 31
	s_lshl_b64 s[8:9], s[6:7], 4
	v_add_nc_u32_e32 v6, s6, v4
	v_add3_u32 v3, v3, v7, v5
	v_ashrrev_i32_e32 v5, 31, v4
	v_add_nc_u32_e32 v8, s6, v6
	v_lshlrev_b64 v[2:3], 4, v[2:3]
	v_ashrrev_i32_e32 v7, 31, v6
	v_lshlrev_b64 v[4:5], 4, v[4:5]
	v_ashrrev_i32_e32 v9, 31, v8
	v_add_nc_u32_e32 v10, s6, v8
	v_add_co_u32 v12, vcc_lo, s0, v2
	v_add_co_ci_u32_e64 v13, null, s1, v3, vcc_lo
	v_lshlrev_b64 v[2:3], 4, v[8:9]
	v_add_nc_u32_e32 v8, s6, v10
	v_add_co_u32 v113, vcc_lo, v12, s2
	v_add_co_ci_u32_e64 v114, null, s3, v13, vcc_lo
	v_add_nc_u32_e32 v12, s6, v8
	v_lshlrev_b64 v[6:7], 4, v[6:7]
	v_ashrrev_i32_e32 v11, 31, v10
	v_add_co_u32 v14, vcc_lo, v113, v112
	v_add_nc_u32_e32 v18, s6, v12
	v_ashrrev_i32_e32 v9, 31, v8
	v_add_co_ci_u32_e64 v15, null, 0, v114, vcc_lo
	v_add_co_u32 v4, vcc_lo, v113, v4
	v_add_nc_u32_e32 v20, s6, v18
	v_ashrrev_i32_e32 v13, 31, v12
	v_lshlrev_b64 v[10:11], 4, v[10:11]
	v_add_co_ci_u32_e64 v5, null, v114, v5, vcc_lo
	v_add_nc_u32_e32 v22, s6, v20
	v_add_co_u32 v6, vcc_lo, v113, v6
	v_ashrrev_i32_e32 v19, 31, v18
	v_add_co_ci_u32_e64 v7, null, v114, v7, vcc_lo
	v_add_nc_u32_e32 v24, s6, v22
	v_add_co_u32 v16, vcc_lo, v14, s8
	v_lshlrev_b64 v[8:9], 4, v[8:9]
	v_ashrrev_i32_e32 v21, 31, v20
	v_add_nc_u32_e32 v26, s6, v24
	v_add_co_ci_u32_e64 v17, null, s9, v15, vcc_lo
	v_add_co_u32 v2, vcc_lo, v113, v2
	v_add_nc_u32_e32 v28, s6, v26
	v_lshlrev_b64 v[12:13], 4, v[12:13]
	v_ashrrev_i32_e32 v23, 31, v22
	v_add_co_ci_u32_e64 v3, null, v114, v3, vcc_lo
	v_add_nc_u32_e32 v30, s6, v28
	v_add_co_u32 v10, vcc_lo, v113, v10
	v_lshlrev_b64 v[18:19], 4, v[18:19]
	v_ashrrev_i32_e32 v25, 31, v24
	v_add_nc_u32_e32 v32, s6, v30
	v_add_co_ci_u32_e64 v11, null, v114, v11, vcc_lo
	v_add_co_u32 v8, vcc_lo, v113, v8
	v_add_nc_u32_e32 v34, s6, v32
	v_lshlrev_b64 v[20:21], 4, v[20:21]
	v_ashrrev_i32_e32 v27, 31, v26
	v_add_co_ci_u32_e64 v9, null, v114, v9, vcc_lo
	v_add_co_u32 v12, vcc_lo, v113, v12
	v_lshlrev_b64 v[22:23], 4, v[22:23]
	v_ashrrev_i32_e32 v29, 31, v28
	v_add_co_ci_u32_e64 v13, null, v114, v13, vcc_lo
	v_add_co_u32 v18, vcc_lo, v113, v18
	v_lshlrev_b64 v[24:25], 4, v[24:25]
	v_add_nc_u32_e32 v36, s6, v34
	v_ashrrev_i32_e32 v31, 31, v30
	v_add_co_ci_u32_e64 v19, null, v114, v19, vcc_lo
	v_add_co_u32 v20, vcc_lo, v113, v20
	v_lshlrev_b64 v[26:27], 4, v[26:27]
	v_ashrrev_i32_e32 v33, 31, v32
	v_add_co_ci_u32_e64 v21, null, v114, v21, vcc_lo
	v_add_co_u32 v22, vcc_lo, v113, v22
	v_lshlrev_b64 v[28:29], 4, v[28:29]
	v_ashrrev_i32_e32 v35, 31, v34
	v_add_nc_u32_e32 v38, s6, v36
	v_add_co_ci_u32_e64 v23, null, v114, v23, vcc_lo
	v_add_co_u32 v24, vcc_lo, v113, v24
	v_lshlrev_b64 v[30:31], 4, v[30:31]
	v_ashrrev_i32_e32 v37, 31, v36
	v_add_co_ci_u32_e64 v25, null, v114, v25, vcc_lo
	v_add_co_u32 v26, vcc_lo, v113, v26
	v_lshlrev_b64 v[32:33], 4, v[32:33]
	v_add_co_ci_u32_e64 v27, null, v114, v27, vcc_lo
	v_add_co_u32 v28, vcc_lo, v113, v28
	v_lshlrev_b64 v[34:35], 4, v[34:35]
	v_add_nc_u32_e32 v40, s6, v38
	v_add_co_ci_u32_e64 v29, null, v114, v29, vcc_lo
	v_add_co_u32 v30, vcc_lo, v113, v30
	v_lshlrev_b64 v[36:37], 4, v[36:37]
	v_ashrrev_i32_e32 v39, 31, v38
	v_add_co_ci_u32_e64 v31, null, v114, v31, vcc_lo
	v_add_co_u32 v32, vcc_lo, v113, v32
	v_ashrrev_i32_e32 v41, 31, v40
	v_add_nc_u32_e32 v42, s6, v40
	v_add_co_ci_u32_e64 v33, null, v114, v33, vcc_lo
	v_add_co_u32 v34, vcc_lo, v113, v34
	v_lshlrev_b64 v[38:39], 4, v[38:39]
	v_add_co_ci_u32_e64 v35, null, v114, v35, vcc_lo
	v_add_co_u32 v102, vcc_lo, v113, v36
	v_add_co_ci_u32_e64 v103, null, v114, v37, vcc_lo
	v_lshlrev_b64 v[36:37], 4, v[40:41]
	v_ashrrev_i32_e32 v43, 31, v42
	v_add_nc_u32_e32 v40, s6, v42
	v_add_co_u32 v104, vcc_lo, v113, v38
	v_add_co_ci_u32_e64 v105, null, v114, v39, vcc_lo
	v_lshlrev_b64 v[38:39], 4, v[42:43]
	v_ashrrev_i32_e32 v41, 31, v40
	v_add_nc_u32_e32 v42, s6, v40
	v_add_co_u32 v110, vcc_lo, v113, v36
	v_add_co_ci_u32_e64 v111, null, v114, v37, vcc_lo
	v_lshlrev_b64 v[36:37], 4, v[40:41]
	v_ashrrev_i32_e32 v43, 31, v42
	v_add_nc_u32_e32 v40, s6, v42
	v_add_co_u32 v115, vcc_lo, v113, v38
	v_add_co_ci_u32_e64 v116, null, v114, v39, vcc_lo
	v_lshlrev_b64 v[38:39], 4, v[42:43]
	v_add_nc_u32_e32 v42, s6, v40
	v_ashrrev_i32_e32 v41, 31, v40
	v_add_co_u32 v117, vcc_lo, v113, v36
	v_add_co_ci_u32_e64 v118, null, v114, v37, vcc_lo
	v_ashrrev_i32_e32 v43, 31, v42
	v_lshlrev_b64 v[36:37], 4, v[40:41]
	v_add_co_u32 v119, vcc_lo, v113, v38
	v_add_co_ci_u32_e64 v120, null, v114, v39, vcc_lo
	v_lshlrev_b64 v[38:39], 4, v[42:43]
	v_add_co_u32 v121, vcc_lo, v113, v36
	v_add_co_ci_u32_e64 v122, null, v114, v37, vcc_lo
	global_load_dwordx4 v[90:93], v[14:15], off
	v_add_co_u32 v123, vcc_lo, v113, v38
	v_add_co_ci_u32_e64 v124, null, v114, v39, vcc_lo
	s_clause 0x17
	global_load_dwordx4 v[94:97], v[16:17], off
	global_load_dwordx4 v[98:101], v[4:5], off
	;; [unrolled: 1-line block ×24, first 2 shown]
	s_max_i32 s0, s18, 25
	s_cmp_lt_i32 s18, 2
	v_mul_lo_u32 v110, s0, v1
	v_lshl_add_u32 v1, v110, 4, 0
	v_add_nc_u32_e32 v102, v1, v112
	v_lshlrev_b32_e32 v112, 4, v110
	v_mov_b32_e32 v110, 0
	s_waitcnt vmcnt(24)
	ds_write2_b64 v102, v[90:91], v[92:93] offset1:1
	s_waitcnt vmcnt(0) lgkmcnt(0)
	s_barrier
	buffer_gl0_inv
	ds_read2_b64 v[102:105], v1 offset1:1
	s_cbranch_scc1 .LBB48_6
; %bb.4:
	v_add3_u32 v111, v112, 0, 16
	v_mov_b32_e32 v110, 0
	s_mov_b32 s1, 1
	s_inst_prefetch 0x1
	.p2align	6
.LBB48_5:                               ; =>This Inner Loop Header: Depth=1
	s_waitcnt lgkmcnt(0)
	v_cmp_gt_f64_e32 vcc_lo, 0, v[104:105]
	v_cmp_gt_f64_e64 s0, 0, v[102:103]
	ds_read2_b64 v[115:118], v111 offset1:1
	v_xor_b32_e32 v120, 0x80000000, v103
	v_xor_b32_e32 v122, 0x80000000, v105
	v_mov_b32_e32 v119, v102
	v_mov_b32_e32 v121, v104
	v_add_nc_u32_e32 v111, 16, v111
	s_waitcnt lgkmcnt(0)
	v_xor_b32_e32 v124, 0x80000000, v118
	v_cndmask_b32_e64 v120, v103, v120, s0
	v_cndmask_b32_e32 v122, v105, v122, vcc_lo
	v_cmp_gt_f64_e32 vcc_lo, 0, v[117:118]
	v_cmp_gt_f64_e64 s0, 0, v[115:116]
	v_mov_b32_e32 v123, v117
	v_add_f64 v[119:120], v[119:120], v[121:122]
	v_xor_b32_e32 v122, 0x80000000, v116
	v_mov_b32_e32 v121, v115
	v_cndmask_b32_e32 v124, v118, v124, vcc_lo
	v_cndmask_b32_e64 v122, v116, v122, s0
	v_add_f64 v[121:122], v[121:122], v[123:124]
	v_cmp_lt_f64_e32 vcc_lo, v[119:120], v[121:122]
	v_cndmask_b32_e32 v103, v103, v116, vcc_lo
	v_cndmask_b32_e32 v102, v102, v115, vcc_lo
	;; [unrolled: 1-line block ×4, first 2 shown]
	v_cndmask_b32_e64 v110, v110, s1, vcc_lo
	s_add_i32 s1, s1, 1
	s_cmp_eq_u32 s18, s1
	s_cbranch_scc0 .LBB48_5
.LBB48_6:
	s_inst_prefetch 0x2
	s_waitcnt lgkmcnt(0)
	v_cmp_neq_f64_e32 vcc_lo, 0, v[102:103]
	v_cmp_neq_f64_e64 s0, 0, v[104:105]
	v_mov_b32_e32 v115, 1
	v_mov_b32_e32 v117, 1
	s_or_b32 s1, vcc_lo, s0
	s_and_saveexec_b32 s0, s1
	s_cbranch_execz .LBB48_12
; %bb.7:
	v_cmp_ngt_f64_e64 s1, |v[102:103]|, |v[104:105]|
	s_and_saveexec_b32 s2, s1
	s_xor_b32 s1, exec_lo, s2
	s_cbranch_execz .LBB48_9
; %bb.8:
	v_div_scale_f64 v[115:116], null, v[104:105], v[104:105], v[102:103]
	v_div_scale_f64 v[121:122], vcc_lo, v[102:103], v[104:105], v[102:103]
	v_rcp_f64_e32 v[117:118], v[115:116]
	v_fma_f64 v[119:120], -v[115:116], v[117:118], 1.0
	v_fma_f64 v[117:118], v[117:118], v[119:120], v[117:118]
	v_fma_f64 v[119:120], -v[115:116], v[117:118], 1.0
	v_fma_f64 v[117:118], v[117:118], v[119:120], v[117:118]
	v_mul_f64 v[119:120], v[121:122], v[117:118]
	v_fma_f64 v[115:116], -v[115:116], v[119:120], v[121:122]
	v_div_fmas_f64 v[115:116], v[115:116], v[117:118], v[119:120]
	v_div_fixup_f64 v[115:116], v[115:116], v[104:105], v[102:103]
	v_fma_f64 v[102:103], v[102:103], v[115:116], v[104:105]
	v_div_scale_f64 v[104:105], null, v[102:103], v[102:103], 1.0
	v_rcp_f64_e32 v[117:118], v[104:105]
	v_fma_f64 v[119:120], -v[104:105], v[117:118], 1.0
	v_fma_f64 v[117:118], v[117:118], v[119:120], v[117:118]
	v_fma_f64 v[119:120], -v[104:105], v[117:118], 1.0
	v_fma_f64 v[117:118], v[117:118], v[119:120], v[117:118]
	v_div_scale_f64 v[119:120], vcc_lo, 1.0, v[102:103], 1.0
	v_mul_f64 v[121:122], v[119:120], v[117:118]
	v_fma_f64 v[104:105], -v[104:105], v[121:122], v[119:120]
	v_div_fmas_f64 v[104:105], v[104:105], v[117:118], v[121:122]
	v_div_fixup_f64 v[104:105], v[104:105], v[102:103], 1.0
	v_mul_f64 v[102:103], v[115:116], v[104:105]
	v_xor_b32_e32 v105, 0x80000000, v105
.LBB48_9:
	s_andn2_saveexec_b32 s1, s1
	s_cbranch_execz .LBB48_11
; %bb.10:
	v_div_scale_f64 v[115:116], null, v[102:103], v[102:103], v[104:105]
	v_div_scale_f64 v[121:122], vcc_lo, v[104:105], v[102:103], v[104:105]
	v_rcp_f64_e32 v[117:118], v[115:116]
	v_fma_f64 v[119:120], -v[115:116], v[117:118], 1.0
	v_fma_f64 v[117:118], v[117:118], v[119:120], v[117:118]
	v_fma_f64 v[119:120], -v[115:116], v[117:118], 1.0
	v_fma_f64 v[117:118], v[117:118], v[119:120], v[117:118]
	v_mul_f64 v[119:120], v[121:122], v[117:118]
	v_fma_f64 v[115:116], -v[115:116], v[119:120], v[121:122]
	v_div_fmas_f64 v[115:116], v[115:116], v[117:118], v[119:120]
	v_div_fixup_f64 v[115:116], v[115:116], v[102:103], v[104:105]
	v_fma_f64 v[102:103], v[104:105], v[115:116], v[102:103]
	v_div_scale_f64 v[104:105], null, v[102:103], v[102:103], 1.0
	v_rcp_f64_e32 v[117:118], v[104:105]
	v_fma_f64 v[119:120], -v[104:105], v[117:118], 1.0
	v_fma_f64 v[117:118], v[117:118], v[119:120], v[117:118]
	v_fma_f64 v[119:120], -v[104:105], v[117:118], 1.0
	v_fma_f64 v[117:118], v[117:118], v[119:120], v[117:118]
	v_div_scale_f64 v[119:120], vcc_lo, 1.0, v[102:103], 1.0
	v_mul_f64 v[121:122], v[119:120], v[117:118]
	v_fma_f64 v[104:105], -v[104:105], v[121:122], v[119:120]
	v_div_fmas_f64 v[104:105], v[104:105], v[117:118], v[121:122]
	v_div_fixup_f64 v[102:103], v[104:105], v[102:103], 1.0
	v_mul_f64 v[104:105], v[115:116], -v[102:103]
.LBB48_11:
	s_or_b32 exec_lo, exec_lo, s1
	v_mov_b32_e32 v117, 0
	v_mov_b32_e32 v115, 2
.LBB48_12:
	s_or_b32 exec_lo, exec_lo, s0
	s_mov_b32 s0, exec_lo
	v_cmpx_ne_u32_e64 v0, v110
	s_xor_b32 s0, exec_lo, s0
	s_cbranch_execz .LBB48_18
; %bb.13:
	s_mov_b32 s1, exec_lo
	v_cmpx_eq_u32_e32 0, v0
	s_cbranch_execz .LBB48_17
; %bb.14:
	v_cmp_ne_u32_e32 vcc_lo, 0, v110
	s_xor_b32 s2, s16, -1
	s_and_b32 s3, s2, vcc_lo
	s_and_saveexec_b32 s2, s3
	s_cbranch_execz .LBB48_16
; %bb.15:
	v_ashrrev_i32_e32 v111, 31, v110
	v_lshlrev_b64 v[118:119], 2, v[110:111]
	v_add_co_u32 v118, vcc_lo, v108, v118
	v_add_co_ci_u32_e64 v119, null, v109, v119, vcc_lo
	s_clause 0x1
	global_load_dword v0, v[118:119], off
	global_load_dword v111, v[108:109], off
	s_waitcnt vmcnt(1)
	global_store_dword v[108:109], v0, off
	s_waitcnt vmcnt(0)
	global_store_dword v[118:119], v111, off
.LBB48_16:
	s_or_b32 exec_lo, exec_lo, s2
	v_mov_b32_e32 v0, v110
.LBB48_17:
	s_or_b32 exec_lo, exec_lo, s1
.LBB48_18:
	s_or_saveexec_b32 s0, s0
	v_mov_b32_e32 v116, v0
	s_xor_b32 exec_lo, exec_lo, s0
	s_cbranch_execz .LBB48_20
; %bb.19:
	v_mov_b32_e32 v116, 0
	ds_write2_b64 v1, v[94:95], v[96:97] offset0:2 offset1:3
	ds_write2_b64 v1, v[98:99], v[100:101] offset0:4 offset1:5
	;; [unrolled: 1-line block ×24, first 2 shown]
.LBB48_20:
	s_or_b32 exec_lo, exec_lo, s0
	s_mov_b32 s0, exec_lo
	s_waitcnt lgkmcnt(0)
	s_waitcnt_vscnt null, 0x0
	s_barrier
	buffer_gl0_inv
	v_cmpx_lt_i32_e32 0, v116
	s_cbranch_execz .LBB48_22
; %bb.21:
	v_mul_f64 v[110:111], v[104:105], v[92:93]
	v_mul_f64 v[92:93], v[102:103], v[92:93]
	v_fma_f64 v[110:111], v[102:103], v[90:91], -v[110:111]
	v_fma_f64 v[92:93], v[104:105], v[90:91], v[92:93]
	ds_read2_b64 v[102:105], v1 offset0:2 offset1:3
	s_waitcnt lgkmcnt(0)
	v_mul_f64 v[90:91], v[104:105], v[92:93]
	v_fma_f64 v[90:91], v[102:103], v[110:111], -v[90:91]
	v_mul_f64 v[102:103], v[102:103], v[92:93]
	v_add_f64 v[94:95], v[94:95], -v[90:91]
	v_fma_f64 v[102:103], v[104:105], v[110:111], v[102:103]
	v_add_f64 v[96:97], v[96:97], -v[102:103]
	ds_read2_b64 v[102:105], v1 offset0:4 offset1:5
	s_waitcnt lgkmcnt(0)
	v_mul_f64 v[90:91], v[104:105], v[92:93]
	v_fma_f64 v[90:91], v[102:103], v[110:111], -v[90:91]
	v_mul_f64 v[102:103], v[102:103], v[92:93]
	v_add_f64 v[98:99], v[98:99], -v[90:91]
	v_fma_f64 v[102:103], v[104:105], v[110:111], v[102:103]
	v_add_f64 v[100:101], v[100:101], -v[102:103]
	;; [unrolled: 8-line block ×23, first 2 shown]
	ds_read2_b64 v[102:105], v1 offset0:48 offset1:49
	s_waitcnt lgkmcnt(0)
	v_mul_f64 v[90:91], v[104:105], v[92:93]
	v_fma_f64 v[90:91], v[102:103], v[110:111], -v[90:91]
	v_mul_f64 v[102:103], v[102:103], v[92:93]
	v_add_f64 v[2:3], v[2:3], -v[90:91]
	v_fma_f64 v[102:103], v[104:105], v[110:111], v[102:103]
	v_mov_b32_e32 v90, v110
	v_mov_b32_e32 v91, v111
	v_add_f64 v[4:5], v[4:5], -v[102:103]
.LBB48_22:
	s_or_b32 exec_lo, exec_lo, s0
	v_lshl_add_u32 v102, v116, 4, v1
	s_barrier
	buffer_gl0_inv
	v_mov_b32_e32 v110, 1
	ds_write2_b64 v102, v[94:95], v[96:97] offset1:1
	s_waitcnt lgkmcnt(0)
	s_barrier
	buffer_gl0_inv
	ds_read2_b64 v[102:105], v1 offset0:2 offset1:3
	s_cmp_lt_i32 s18, 3
	s_cbranch_scc1 .LBB48_25
; %bb.23:
	v_add3_u32 v111, v112, 0, 32
	v_mov_b32_e32 v110, 1
	s_mov_b32 s3, 2
	s_inst_prefetch 0x1
	.p2align	6
.LBB48_24:                              ; =>This Inner Loop Header: Depth=1
	ds_read2_b64 v[118:121], v111 offset1:1
	s_waitcnt lgkmcnt(1)
	v_cmp_gt_f64_e32 vcc_lo, 0, v[102:103]
	v_cmp_gt_f64_e64 s0, 0, v[104:105]
	v_xor_b32_e32 v123, 0x80000000, v103
	v_xor_b32_e32 v125, 0x80000000, v105
	v_mov_b32_e32 v122, v102
	v_mov_b32_e32 v124, v104
	v_add_nc_u32_e32 v111, 16, v111
	s_waitcnt lgkmcnt(0)
	v_cmp_gt_f64_e64 s1, 0, v[118:119]
	v_cmp_gt_f64_e64 s2, 0, v[120:121]
	v_xor_b32_e32 v127, 0x80000000, v119
	v_xor_b32_e32 v129, 0x80000000, v121
	v_mov_b32_e32 v126, v118
	v_mov_b32_e32 v128, v120
	v_cndmask_b32_e32 v123, v103, v123, vcc_lo
	v_cndmask_b32_e64 v125, v105, v125, s0
	v_add_f64 v[122:123], v[122:123], v[124:125]
	v_cndmask_b32_e64 v127, v119, v127, s1
	v_cndmask_b32_e64 v129, v121, v129, s2
	v_add_f64 v[124:125], v[126:127], v[128:129]
	v_cmp_lt_f64_e32 vcc_lo, v[122:123], v[124:125]
	v_cndmask_b32_e32 v103, v103, v119, vcc_lo
	v_cndmask_b32_e32 v102, v102, v118, vcc_lo
	;; [unrolled: 1-line block ×4, first 2 shown]
	v_cndmask_b32_e64 v110, v110, s3, vcc_lo
	s_add_i32 s3, s3, 1
	s_cmp_lg_u32 s18, s3
	s_cbranch_scc1 .LBB48_24
.LBB48_25:
	s_inst_prefetch 0x2
	s_waitcnt lgkmcnt(0)
	v_cmp_neq_f64_e32 vcc_lo, 0, v[102:103]
	v_cmp_neq_f64_e64 s0, 0, v[104:105]
	s_or_b32 s1, vcc_lo, s0
	s_and_saveexec_b32 s0, s1
	s_cbranch_execz .LBB48_31
; %bb.26:
	v_cmp_ngt_f64_e64 s1, |v[102:103]|, |v[104:105]|
	s_and_saveexec_b32 s2, s1
	s_xor_b32 s1, exec_lo, s2
	s_cbranch_execz .LBB48_28
; %bb.27:
	v_div_scale_f64 v[118:119], null, v[104:105], v[104:105], v[102:103]
	v_div_scale_f64 v[124:125], vcc_lo, v[102:103], v[104:105], v[102:103]
	v_rcp_f64_e32 v[120:121], v[118:119]
	v_fma_f64 v[122:123], -v[118:119], v[120:121], 1.0
	v_fma_f64 v[120:121], v[120:121], v[122:123], v[120:121]
	v_fma_f64 v[122:123], -v[118:119], v[120:121], 1.0
	v_fma_f64 v[120:121], v[120:121], v[122:123], v[120:121]
	v_mul_f64 v[122:123], v[124:125], v[120:121]
	v_fma_f64 v[118:119], -v[118:119], v[122:123], v[124:125]
	v_div_fmas_f64 v[118:119], v[118:119], v[120:121], v[122:123]
	v_div_fixup_f64 v[118:119], v[118:119], v[104:105], v[102:103]
	v_fma_f64 v[102:103], v[102:103], v[118:119], v[104:105]
	v_div_scale_f64 v[104:105], null, v[102:103], v[102:103], 1.0
	v_rcp_f64_e32 v[120:121], v[104:105]
	v_fma_f64 v[122:123], -v[104:105], v[120:121], 1.0
	v_fma_f64 v[120:121], v[120:121], v[122:123], v[120:121]
	v_fma_f64 v[122:123], -v[104:105], v[120:121], 1.0
	v_fma_f64 v[120:121], v[120:121], v[122:123], v[120:121]
	v_div_scale_f64 v[122:123], vcc_lo, 1.0, v[102:103], 1.0
	v_mul_f64 v[124:125], v[122:123], v[120:121]
	v_fma_f64 v[104:105], -v[104:105], v[124:125], v[122:123]
	v_div_fmas_f64 v[104:105], v[104:105], v[120:121], v[124:125]
	v_div_fixup_f64 v[104:105], v[104:105], v[102:103], 1.0
	v_mul_f64 v[102:103], v[118:119], v[104:105]
	v_xor_b32_e32 v105, 0x80000000, v105
.LBB48_28:
	s_andn2_saveexec_b32 s1, s1
	s_cbranch_execz .LBB48_30
; %bb.29:
	v_div_scale_f64 v[118:119], null, v[102:103], v[102:103], v[104:105]
	v_div_scale_f64 v[124:125], vcc_lo, v[104:105], v[102:103], v[104:105]
	v_rcp_f64_e32 v[120:121], v[118:119]
	v_fma_f64 v[122:123], -v[118:119], v[120:121], 1.0
	v_fma_f64 v[120:121], v[120:121], v[122:123], v[120:121]
	v_fma_f64 v[122:123], -v[118:119], v[120:121], 1.0
	v_fma_f64 v[120:121], v[120:121], v[122:123], v[120:121]
	v_mul_f64 v[122:123], v[124:125], v[120:121]
	v_fma_f64 v[118:119], -v[118:119], v[122:123], v[124:125]
	v_div_fmas_f64 v[118:119], v[118:119], v[120:121], v[122:123]
	v_div_fixup_f64 v[118:119], v[118:119], v[102:103], v[104:105]
	v_fma_f64 v[102:103], v[104:105], v[118:119], v[102:103]
	v_div_scale_f64 v[104:105], null, v[102:103], v[102:103], 1.0
	v_rcp_f64_e32 v[120:121], v[104:105]
	v_fma_f64 v[122:123], -v[104:105], v[120:121], 1.0
	v_fma_f64 v[120:121], v[120:121], v[122:123], v[120:121]
	v_fma_f64 v[122:123], -v[104:105], v[120:121], 1.0
	v_fma_f64 v[120:121], v[120:121], v[122:123], v[120:121]
	v_div_scale_f64 v[122:123], vcc_lo, 1.0, v[102:103], 1.0
	v_mul_f64 v[124:125], v[122:123], v[120:121]
	v_fma_f64 v[104:105], -v[104:105], v[124:125], v[122:123]
	v_div_fmas_f64 v[104:105], v[104:105], v[120:121], v[124:125]
	v_div_fixup_f64 v[102:103], v[104:105], v[102:103], 1.0
	v_mul_f64 v[104:105], v[118:119], -v[102:103]
.LBB48_30:
	s_or_b32 exec_lo, exec_lo, s1
	v_mov_b32_e32 v115, v117
.LBB48_31:
	s_or_b32 exec_lo, exec_lo, s0
	s_mov_b32 s0, exec_lo
	v_cmpx_ne_u32_e64 v116, v110
	s_xor_b32 s0, exec_lo, s0
	s_cbranch_execz .LBB48_37
; %bb.32:
	s_mov_b32 s1, exec_lo
	v_cmpx_eq_u32_e32 1, v116
	s_cbranch_execz .LBB48_36
; %bb.33:
	v_cmp_ne_u32_e32 vcc_lo, 1, v110
	s_xor_b32 s2, s16, -1
	s_and_b32 s3, s2, vcc_lo
	s_and_saveexec_b32 s2, s3
	s_cbranch_execz .LBB48_35
; %bb.34:
	v_ashrrev_i32_e32 v111, 31, v110
	v_lshlrev_b64 v[116:117], 2, v[110:111]
	v_add_co_u32 v116, vcc_lo, v108, v116
	v_add_co_ci_u32_e64 v117, null, v109, v117, vcc_lo
	s_clause 0x1
	global_load_dword v0, v[116:117], off
	global_load_dword v111, v[108:109], off offset:4
	s_waitcnt vmcnt(1)
	global_store_dword v[108:109], v0, off offset:4
	s_waitcnt vmcnt(0)
	global_store_dword v[116:117], v111, off
.LBB48_35:
	s_or_b32 exec_lo, exec_lo, s2
	v_mov_b32_e32 v116, v110
	v_mov_b32_e32 v0, v110
.LBB48_36:
	s_or_b32 exec_lo, exec_lo, s1
.LBB48_37:
	s_andn2_saveexec_b32 s0, s0
	s_cbranch_execz .LBB48_39
; %bb.38:
	v_mov_b32_e32 v116, 1
	ds_write2_b64 v1, v[98:99], v[100:101] offset0:4 offset1:5
	ds_write2_b64 v1, v[86:87], v[88:89] offset0:6 offset1:7
	;; [unrolled: 1-line block ×23, first 2 shown]
.LBB48_39:
	s_or_b32 exec_lo, exec_lo, s0
	s_mov_b32 s0, exec_lo
	s_waitcnt lgkmcnt(0)
	s_waitcnt_vscnt null, 0x0
	s_barrier
	buffer_gl0_inv
	v_cmpx_lt_i32_e32 1, v116
	s_cbranch_execz .LBB48_41
; %bb.40:
	v_mul_f64 v[110:111], v[104:105], v[96:97]
	v_mul_f64 v[96:97], v[102:103], v[96:97]
	v_fma_f64 v[110:111], v[102:103], v[94:95], -v[110:111]
	v_fma_f64 v[96:97], v[104:105], v[94:95], v[96:97]
	ds_read2_b64 v[102:105], v1 offset0:4 offset1:5
	s_waitcnt lgkmcnt(0)
	v_mul_f64 v[94:95], v[104:105], v[96:97]
	v_fma_f64 v[94:95], v[102:103], v[110:111], -v[94:95]
	v_mul_f64 v[102:103], v[102:103], v[96:97]
	v_add_f64 v[98:99], v[98:99], -v[94:95]
	v_fma_f64 v[102:103], v[104:105], v[110:111], v[102:103]
	v_add_f64 v[100:101], v[100:101], -v[102:103]
	ds_read2_b64 v[102:105], v1 offset0:6 offset1:7
	s_waitcnt lgkmcnt(0)
	v_mul_f64 v[94:95], v[104:105], v[96:97]
	v_fma_f64 v[94:95], v[102:103], v[110:111], -v[94:95]
	v_mul_f64 v[102:103], v[102:103], v[96:97]
	v_add_f64 v[86:87], v[86:87], -v[94:95]
	v_fma_f64 v[102:103], v[104:105], v[110:111], v[102:103]
	v_add_f64 v[88:89], v[88:89], -v[102:103]
	;; [unrolled: 8-line block ×22, first 2 shown]
	ds_read2_b64 v[102:105], v1 offset0:48 offset1:49
	s_waitcnt lgkmcnt(0)
	v_mul_f64 v[94:95], v[104:105], v[96:97]
	v_fma_f64 v[94:95], v[102:103], v[110:111], -v[94:95]
	v_mul_f64 v[102:103], v[102:103], v[96:97]
	v_add_f64 v[2:3], v[2:3], -v[94:95]
	v_fma_f64 v[102:103], v[104:105], v[110:111], v[102:103]
	v_mov_b32_e32 v94, v110
	v_mov_b32_e32 v95, v111
	v_add_f64 v[4:5], v[4:5], -v[102:103]
.LBB48_41:
	s_or_b32 exec_lo, exec_lo, s0
	v_lshl_add_u32 v102, v116, 4, v1
	s_barrier
	buffer_gl0_inv
	v_mov_b32_e32 v110, 2
	ds_write2_b64 v102, v[98:99], v[100:101] offset1:1
	s_waitcnt lgkmcnt(0)
	s_barrier
	buffer_gl0_inv
	ds_read2_b64 v[102:105], v1 offset0:4 offset1:5
	s_cmp_lt_i32 s18, 4
	s_cbranch_scc1 .LBB48_44
; %bb.42:
	v_add3_u32 v111, v112, 0, 48
	v_mov_b32_e32 v110, 2
	s_mov_b32 s1, 3
	s_inst_prefetch 0x1
	.p2align	6
.LBB48_43:                              ; =>This Inner Loop Header: Depth=1
	s_waitcnt lgkmcnt(0)
	v_cmp_gt_f64_e32 vcc_lo, 0, v[104:105]
	v_cmp_gt_f64_e64 s0, 0, v[102:103]
	ds_read2_b64 v[117:120], v111 offset1:1
	v_xor_b32_e32 v122, 0x80000000, v103
	v_xor_b32_e32 v124, 0x80000000, v105
	v_mov_b32_e32 v121, v102
	v_mov_b32_e32 v123, v104
	v_add_nc_u32_e32 v111, 16, v111
	s_waitcnt lgkmcnt(0)
	v_xor_b32_e32 v126, 0x80000000, v120
	v_cndmask_b32_e64 v122, v103, v122, s0
	v_cndmask_b32_e32 v124, v105, v124, vcc_lo
	v_cmp_gt_f64_e32 vcc_lo, 0, v[119:120]
	v_cmp_gt_f64_e64 s0, 0, v[117:118]
	v_mov_b32_e32 v125, v119
	v_add_f64 v[121:122], v[121:122], v[123:124]
	v_xor_b32_e32 v124, 0x80000000, v118
	v_mov_b32_e32 v123, v117
	v_cndmask_b32_e32 v126, v120, v126, vcc_lo
	v_cndmask_b32_e64 v124, v118, v124, s0
	v_add_f64 v[123:124], v[123:124], v[125:126]
	v_cmp_lt_f64_e32 vcc_lo, v[121:122], v[123:124]
	v_cndmask_b32_e32 v103, v103, v118, vcc_lo
	v_cndmask_b32_e32 v102, v102, v117, vcc_lo
	;; [unrolled: 1-line block ×4, first 2 shown]
	v_cndmask_b32_e64 v110, v110, s1, vcc_lo
	s_add_i32 s1, s1, 1
	s_cmp_lg_u32 s18, s1
	s_cbranch_scc1 .LBB48_43
.LBB48_44:
	s_inst_prefetch 0x2
	s_waitcnt lgkmcnt(0)
	v_cmp_eq_f64_e32 vcc_lo, 0, v[102:103]
	v_cmp_eq_f64_e64 s0, 0, v[104:105]
	s_and_b32 s0, vcc_lo, s0
	s_and_saveexec_b32 s1, s0
	s_xor_b32 s0, exec_lo, s1
; %bb.45:
	v_cmp_ne_u32_e32 vcc_lo, 0, v115
	v_cndmask_b32_e32 v115, 3, v115, vcc_lo
; %bb.46:
	s_andn2_saveexec_b32 s0, s0
	s_cbranch_execz .LBB48_52
; %bb.47:
	v_cmp_ngt_f64_e64 s1, |v[102:103]|, |v[104:105]|
	s_and_saveexec_b32 s2, s1
	s_xor_b32 s1, exec_lo, s2
	s_cbranch_execz .LBB48_49
; %bb.48:
	v_div_scale_f64 v[117:118], null, v[104:105], v[104:105], v[102:103]
	v_div_scale_f64 v[123:124], vcc_lo, v[102:103], v[104:105], v[102:103]
	v_rcp_f64_e32 v[119:120], v[117:118]
	v_fma_f64 v[121:122], -v[117:118], v[119:120], 1.0
	v_fma_f64 v[119:120], v[119:120], v[121:122], v[119:120]
	v_fma_f64 v[121:122], -v[117:118], v[119:120], 1.0
	v_fma_f64 v[119:120], v[119:120], v[121:122], v[119:120]
	v_mul_f64 v[121:122], v[123:124], v[119:120]
	v_fma_f64 v[117:118], -v[117:118], v[121:122], v[123:124]
	v_div_fmas_f64 v[117:118], v[117:118], v[119:120], v[121:122]
	v_div_fixup_f64 v[117:118], v[117:118], v[104:105], v[102:103]
	v_fma_f64 v[102:103], v[102:103], v[117:118], v[104:105]
	v_div_scale_f64 v[104:105], null, v[102:103], v[102:103], 1.0
	v_rcp_f64_e32 v[119:120], v[104:105]
	v_fma_f64 v[121:122], -v[104:105], v[119:120], 1.0
	v_fma_f64 v[119:120], v[119:120], v[121:122], v[119:120]
	v_fma_f64 v[121:122], -v[104:105], v[119:120], 1.0
	v_fma_f64 v[119:120], v[119:120], v[121:122], v[119:120]
	v_div_scale_f64 v[121:122], vcc_lo, 1.0, v[102:103], 1.0
	v_mul_f64 v[123:124], v[121:122], v[119:120]
	v_fma_f64 v[104:105], -v[104:105], v[123:124], v[121:122]
	v_div_fmas_f64 v[104:105], v[104:105], v[119:120], v[123:124]
	v_div_fixup_f64 v[104:105], v[104:105], v[102:103], 1.0
	v_mul_f64 v[102:103], v[117:118], v[104:105]
	v_xor_b32_e32 v105, 0x80000000, v105
.LBB48_49:
	s_andn2_saveexec_b32 s1, s1
	s_cbranch_execz .LBB48_51
; %bb.50:
	v_div_scale_f64 v[117:118], null, v[102:103], v[102:103], v[104:105]
	v_div_scale_f64 v[123:124], vcc_lo, v[104:105], v[102:103], v[104:105]
	v_rcp_f64_e32 v[119:120], v[117:118]
	v_fma_f64 v[121:122], -v[117:118], v[119:120], 1.0
	v_fma_f64 v[119:120], v[119:120], v[121:122], v[119:120]
	v_fma_f64 v[121:122], -v[117:118], v[119:120], 1.0
	v_fma_f64 v[119:120], v[119:120], v[121:122], v[119:120]
	v_mul_f64 v[121:122], v[123:124], v[119:120]
	v_fma_f64 v[117:118], -v[117:118], v[121:122], v[123:124]
	v_div_fmas_f64 v[117:118], v[117:118], v[119:120], v[121:122]
	v_div_fixup_f64 v[117:118], v[117:118], v[102:103], v[104:105]
	v_fma_f64 v[102:103], v[104:105], v[117:118], v[102:103]
	v_div_scale_f64 v[104:105], null, v[102:103], v[102:103], 1.0
	v_rcp_f64_e32 v[119:120], v[104:105]
	v_fma_f64 v[121:122], -v[104:105], v[119:120], 1.0
	v_fma_f64 v[119:120], v[119:120], v[121:122], v[119:120]
	v_fma_f64 v[121:122], -v[104:105], v[119:120], 1.0
	v_fma_f64 v[119:120], v[119:120], v[121:122], v[119:120]
	v_div_scale_f64 v[121:122], vcc_lo, 1.0, v[102:103], 1.0
	v_mul_f64 v[123:124], v[121:122], v[119:120]
	v_fma_f64 v[104:105], -v[104:105], v[123:124], v[121:122]
	v_div_fmas_f64 v[104:105], v[104:105], v[119:120], v[123:124]
	v_div_fixup_f64 v[102:103], v[104:105], v[102:103], 1.0
	v_mul_f64 v[104:105], v[117:118], -v[102:103]
.LBB48_51:
	s_or_b32 exec_lo, exec_lo, s1
.LBB48_52:
	s_or_b32 exec_lo, exec_lo, s0
	s_mov_b32 s0, exec_lo
	v_cmpx_ne_u32_e64 v116, v110
	s_xor_b32 s0, exec_lo, s0
	s_cbranch_execz .LBB48_58
; %bb.53:
	s_mov_b32 s1, exec_lo
	v_cmpx_eq_u32_e32 2, v116
	s_cbranch_execz .LBB48_57
; %bb.54:
	v_cmp_ne_u32_e32 vcc_lo, 2, v110
	s_xor_b32 s2, s16, -1
	s_and_b32 s3, s2, vcc_lo
	s_and_saveexec_b32 s2, s3
	s_cbranch_execz .LBB48_56
; %bb.55:
	v_ashrrev_i32_e32 v111, 31, v110
	v_lshlrev_b64 v[116:117], 2, v[110:111]
	v_add_co_u32 v116, vcc_lo, v108, v116
	v_add_co_ci_u32_e64 v117, null, v109, v117, vcc_lo
	s_clause 0x1
	global_load_dword v0, v[116:117], off
	global_load_dword v111, v[108:109], off offset:8
	s_waitcnt vmcnt(1)
	global_store_dword v[108:109], v0, off offset:8
	s_waitcnt vmcnt(0)
	global_store_dword v[116:117], v111, off
.LBB48_56:
	s_or_b32 exec_lo, exec_lo, s2
	v_mov_b32_e32 v116, v110
	v_mov_b32_e32 v0, v110
.LBB48_57:
	s_or_b32 exec_lo, exec_lo, s1
.LBB48_58:
	s_andn2_saveexec_b32 s0, s0
	s_cbranch_execz .LBB48_60
; %bb.59:
	v_mov_b32_e32 v116, 2
	ds_write2_b64 v1, v[86:87], v[88:89] offset0:6 offset1:7
	ds_write2_b64 v1, v[82:83], v[84:85] offset0:8 offset1:9
	;; [unrolled: 1-line block ×22, first 2 shown]
.LBB48_60:
	s_or_b32 exec_lo, exec_lo, s0
	s_mov_b32 s0, exec_lo
	s_waitcnt lgkmcnt(0)
	s_waitcnt_vscnt null, 0x0
	s_barrier
	buffer_gl0_inv
	v_cmpx_lt_i32_e32 2, v116
	s_cbranch_execz .LBB48_62
; %bb.61:
	v_mul_f64 v[110:111], v[104:105], v[100:101]
	v_mul_f64 v[100:101], v[102:103], v[100:101]
	v_fma_f64 v[110:111], v[102:103], v[98:99], -v[110:111]
	v_fma_f64 v[100:101], v[104:105], v[98:99], v[100:101]
	ds_read2_b64 v[102:105], v1 offset0:6 offset1:7
	s_waitcnt lgkmcnt(0)
	v_mul_f64 v[98:99], v[104:105], v[100:101]
	v_fma_f64 v[98:99], v[102:103], v[110:111], -v[98:99]
	v_mul_f64 v[102:103], v[102:103], v[100:101]
	v_add_f64 v[86:87], v[86:87], -v[98:99]
	v_fma_f64 v[102:103], v[104:105], v[110:111], v[102:103]
	v_add_f64 v[88:89], v[88:89], -v[102:103]
	ds_read2_b64 v[102:105], v1 offset0:8 offset1:9
	s_waitcnt lgkmcnt(0)
	v_mul_f64 v[98:99], v[104:105], v[100:101]
	v_fma_f64 v[98:99], v[102:103], v[110:111], -v[98:99]
	v_mul_f64 v[102:103], v[102:103], v[100:101]
	v_add_f64 v[82:83], v[82:83], -v[98:99]
	v_fma_f64 v[102:103], v[104:105], v[110:111], v[102:103]
	v_add_f64 v[84:85], v[84:85], -v[102:103]
	;; [unrolled: 8-line block ×21, first 2 shown]
	ds_read2_b64 v[102:105], v1 offset0:48 offset1:49
	s_waitcnt lgkmcnt(0)
	v_mul_f64 v[98:99], v[104:105], v[100:101]
	v_fma_f64 v[98:99], v[102:103], v[110:111], -v[98:99]
	v_mul_f64 v[102:103], v[102:103], v[100:101]
	v_add_f64 v[2:3], v[2:3], -v[98:99]
	v_fma_f64 v[102:103], v[104:105], v[110:111], v[102:103]
	v_mov_b32_e32 v98, v110
	v_mov_b32_e32 v99, v111
	v_add_f64 v[4:5], v[4:5], -v[102:103]
.LBB48_62:
	s_or_b32 exec_lo, exec_lo, s0
	v_lshl_add_u32 v102, v116, 4, v1
	s_barrier
	buffer_gl0_inv
	v_mov_b32_e32 v110, 3
	ds_write2_b64 v102, v[86:87], v[88:89] offset1:1
	s_waitcnt lgkmcnt(0)
	s_barrier
	buffer_gl0_inv
	ds_read2_b64 v[102:105], v1 offset0:6 offset1:7
	s_cmp_lt_i32 s18, 5
	s_mov_b32 s1, 4
	s_cbranch_scc1 .LBB48_65
; %bb.63:
	v_add3_u32 v111, v112, 0, 64
	v_mov_b32_e32 v110, 3
	s_inst_prefetch 0x1
	.p2align	6
.LBB48_64:                              ; =>This Inner Loop Header: Depth=1
	s_waitcnt lgkmcnt(0)
	v_cmp_gt_f64_e32 vcc_lo, 0, v[104:105]
	v_cmp_gt_f64_e64 s0, 0, v[102:103]
	ds_read2_b64 v[117:120], v111 offset1:1
	v_xor_b32_e32 v122, 0x80000000, v103
	v_xor_b32_e32 v124, 0x80000000, v105
	v_mov_b32_e32 v121, v102
	v_mov_b32_e32 v123, v104
	v_add_nc_u32_e32 v111, 16, v111
	s_waitcnt lgkmcnt(0)
	v_xor_b32_e32 v126, 0x80000000, v120
	v_cndmask_b32_e64 v122, v103, v122, s0
	v_cndmask_b32_e32 v124, v105, v124, vcc_lo
	v_cmp_gt_f64_e32 vcc_lo, 0, v[119:120]
	v_cmp_gt_f64_e64 s0, 0, v[117:118]
	v_mov_b32_e32 v125, v119
	v_add_f64 v[121:122], v[121:122], v[123:124]
	v_xor_b32_e32 v124, 0x80000000, v118
	v_mov_b32_e32 v123, v117
	v_cndmask_b32_e32 v126, v120, v126, vcc_lo
	v_cndmask_b32_e64 v124, v118, v124, s0
	v_add_f64 v[123:124], v[123:124], v[125:126]
	v_cmp_lt_f64_e32 vcc_lo, v[121:122], v[123:124]
	v_cndmask_b32_e32 v103, v103, v118, vcc_lo
	v_cndmask_b32_e32 v102, v102, v117, vcc_lo
	;; [unrolled: 1-line block ×4, first 2 shown]
	v_cndmask_b32_e64 v110, v110, s1, vcc_lo
	s_add_i32 s1, s1, 1
	s_cmp_lg_u32 s18, s1
	s_cbranch_scc1 .LBB48_64
.LBB48_65:
	s_inst_prefetch 0x2
	s_waitcnt lgkmcnt(0)
	v_cmp_eq_f64_e32 vcc_lo, 0, v[102:103]
	v_cmp_eq_f64_e64 s0, 0, v[104:105]
	s_and_b32 s0, vcc_lo, s0
	s_and_saveexec_b32 s1, s0
	s_xor_b32 s0, exec_lo, s1
; %bb.66:
	v_cmp_ne_u32_e32 vcc_lo, 0, v115
	v_cndmask_b32_e32 v115, 4, v115, vcc_lo
; %bb.67:
	s_andn2_saveexec_b32 s0, s0
	s_cbranch_execz .LBB48_73
; %bb.68:
	v_cmp_ngt_f64_e64 s1, |v[102:103]|, |v[104:105]|
	s_and_saveexec_b32 s2, s1
	s_xor_b32 s1, exec_lo, s2
	s_cbranch_execz .LBB48_70
; %bb.69:
	v_div_scale_f64 v[117:118], null, v[104:105], v[104:105], v[102:103]
	v_div_scale_f64 v[123:124], vcc_lo, v[102:103], v[104:105], v[102:103]
	v_rcp_f64_e32 v[119:120], v[117:118]
	v_fma_f64 v[121:122], -v[117:118], v[119:120], 1.0
	v_fma_f64 v[119:120], v[119:120], v[121:122], v[119:120]
	v_fma_f64 v[121:122], -v[117:118], v[119:120], 1.0
	v_fma_f64 v[119:120], v[119:120], v[121:122], v[119:120]
	v_mul_f64 v[121:122], v[123:124], v[119:120]
	v_fma_f64 v[117:118], -v[117:118], v[121:122], v[123:124]
	v_div_fmas_f64 v[117:118], v[117:118], v[119:120], v[121:122]
	v_div_fixup_f64 v[117:118], v[117:118], v[104:105], v[102:103]
	v_fma_f64 v[102:103], v[102:103], v[117:118], v[104:105]
	v_div_scale_f64 v[104:105], null, v[102:103], v[102:103], 1.0
	v_rcp_f64_e32 v[119:120], v[104:105]
	v_fma_f64 v[121:122], -v[104:105], v[119:120], 1.0
	v_fma_f64 v[119:120], v[119:120], v[121:122], v[119:120]
	v_fma_f64 v[121:122], -v[104:105], v[119:120], 1.0
	v_fma_f64 v[119:120], v[119:120], v[121:122], v[119:120]
	v_div_scale_f64 v[121:122], vcc_lo, 1.0, v[102:103], 1.0
	v_mul_f64 v[123:124], v[121:122], v[119:120]
	v_fma_f64 v[104:105], -v[104:105], v[123:124], v[121:122]
	v_div_fmas_f64 v[104:105], v[104:105], v[119:120], v[123:124]
	v_div_fixup_f64 v[104:105], v[104:105], v[102:103], 1.0
	v_mul_f64 v[102:103], v[117:118], v[104:105]
	v_xor_b32_e32 v105, 0x80000000, v105
.LBB48_70:
	s_andn2_saveexec_b32 s1, s1
	s_cbranch_execz .LBB48_72
; %bb.71:
	v_div_scale_f64 v[117:118], null, v[102:103], v[102:103], v[104:105]
	v_div_scale_f64 v[123:124], vcc_lo, v[104:105], v[102:103], v[104:105]
	v_rcp_f64_e32 v[119:120], v[117:118]
	v_fma_f64 v[121:122], -v[117:118], v[119:120], 1.0
	v_fma_f64 v[119:120], v[119:120], v[121:122], v[119:120]
	v_fma_f64 v[121:122], -v[117:118], v[119:120], 1.0
	v_fma_f64 v[119:120], v[119:120], v[121:122], v[119:120]
	v_mul_f64 v[121:122], v[123:124], v[119:120]
	v_fma_f64 v[117:118], -v[117:118], v[121:122], v[123:124]
	v_div_fmas_f64 v[117:118], v[117:118], v[119:120], v[121:122]
	v_div_fixup_f64 v[117:118], v[117:118], v[102:103], v[104:105]
	v_fma_f64 v[102:103], v[104:105], v[117:118], v[102:103]
	v_div_scale_f64 v[104:105], null, v[102:103], v[102:103], 1.0
	v_rcp_f64_e32 v[119:120], v[104:105]
	v_fma_f64 v[121:122], -v[104:105], v[119:120], 1.0
	v_fma_f64 v[119:120], v[119:120], v[121:122], v[119:120]
	v_fma_f64 v[121:122], -v[104:105], v[119:120], 1.0
	v_fma_f64 v[119:120], v[119:120], v[121:122], v[119:120]
	v_div_scale_f64 v[121:122], vcc_lo, 1.0, v[102:103], 1.0
	v_mul_f64 v[123:124], v[121:122], v[119:120]
	v_fma_f64 v[104:105], -v[104:105], v[123:124], v[121:122]
	v_div_fmas_f64 v[104:105], v[104:105], v[119:120], v[123:124]
	v_div_fixup_f64 v[102:103], v[104:105], v[102:103], 1.0
	v_mul_f64 v[104:105], v[117:118], -v[102:103]
.LBB48_72:
	s_or_b32 exec_lo, exec_lo, s1
.LBB48_73:
	s_or_b32 exec_lo, exec_lo, s0
	s_mov_b32 s0, exec_lo
	v_cmpx_ne_u32_e64 v116, v110
	s_xor_b32 s0, exec_lo, s0
	s_cbranch_execz .LBB48_79
; %bb.74:
	s_mov_b32 s1, exec_lo
	v_cmpx_eq_u32_e32 3, v116
	s_cbranch_execz .LBB48_78
; %bb.75:
	v_cmp_ne_u32_e32 vcc_lo, 3, v110
	s_xor_b32 s2, s16, -1
	s_and_b32 s3, s2, vcc_lo
	s_and_saveexec_b32 s2, s3
	s_cbranch_execz .LBB48_77
; %bb.76:
	v_ashrrev_i32_e32 v111, 31, v110
	v_lshlrev_b64 v[116:117], 2, v[110:111]
	v_add_co_u32 v116, vcc_lo, v108, v116
	v_add_co_ci_u32_e64 v117, null, v109, v117, vcc_lo
	s_clause 0x1
	global_load_dword v0, v[116:117], off
	global_load_dword v111, v[108:109], off offset:12
	s_waitcnt vmcnt(1)
	global_store_dword v[108:109], v0, off offset:12
	s_waitcnt vmcnt(0)
	global_store_dword v[116:117], v111, off
.LBB48_77:
	s_or_b32 exec_lo, exec_lo, s2
	v_mov_b32_e32 v116, v110
	v_mov_b32_e32 v0, v110
.LBB48_78:
	s_or_b32 exec_lo, exec_lo, s1
.LBB48_79:
	s_andn2_saveexec_b32 s0, s0
	s_cbranch_execz .LBB48_81
; %bb.80:
	v_mov_b32_e32 v116, 3
	ds_write2_b64 v1, v[82:83], v[84:85] offset0:8 offset1:9
	ds_write2_b64 v1, v[78:79], v[80:81] offset0:10 offset1:11
	;; [unrolled: 1-line block ×21, first 2 shown]
.LBB48_81:
	s_or_b32 exec_lo, exec_lo, s0
	s_mov_b32 s0, exec_lo
	s_waitcnt lgkmcnt(0)
	s_waitcnt_vscnt null, 0x0
	s_barrier
	buffer_gl0_inv
	v_cmpx_lt_i32_e32 3, v116
	s_cbranch_execz .LBB48_83
; %bb.82:
	v_mul_f64 v[110:111], v[104:105], v[88:89]
	v_mul_f64 v[88:89], v[102:103], v[88:89]
	v_fma_f64 v[110:111], v[102:103], v[86:87], -v[110:111]
	v_fma_f64 v[88:89], v[104:105], v[86:87], v[88:89]
	ds_read2_b64 v[102:105], v1 offset0:8 offset1:9
	s_waitcnt lgkmcnt(0)
	v_mul_f64 v[86:87], v[104:105], v[88:89]
	v_fma_f64 v[86:87], v[102:103], v[110:111], -v[86:87]
	v_mul_f64 v[102:103], v[102:103], v[88:89]
	v_add_f64 v[82:83], v[82:83], -v[86:87]
	v_fma_f64 v[102:103], v[104:105], v[110:111], v[102:103]
	v_add_f64 v[84:85], v[84:85], -v[102:103]
	ds_read2_b64 v[102:105], v1 offset0:10 offset1:11
	s_waitcnt lgkmcnt(0)
	v_mul_f64 v[86:87], v[104:105], v[88:89]
	v_fma_f64 v[86:87], v[102:103], v[110:111], -v[86:87]
	v_mul_f64 v[102:103], v[102:103], v[88:89]
	v_add_f64 v[78:79], v[78:79], -v[86:87]
	v_fma_f64 v[102:103], v[104:105], v[110:111], v[102:103]
	v_add_f64 v[80:81], v[80:81], -v[102:103]
	;; [unrolled: 8-line block ×20, first 2 shown]
	ds_read2_b64 v[102:105], v1 offset0:48 offset1:49
	s_waitcnt lgkmcnt(0)
	v_mul_f64 v[86:87], v[104:105], v[88:89]
	v_fma_f64 v[86:87], v[102:103], v[110:111], -v[86:87]
	v_mul_f64 v[102:103], v[102:103], v[88:89]
	v_add_f64 v[2:3], v[2:3], -v[86:87]
	v_fma_f64 v[102:103], v[104:105], v[110:111], v[102:103]
	v_mov_b32_e32 v86, v110
	v_mov_b32_e32 v87, v111
	v_add_f64 v[4:5], v[4:5], -v[102:103]
.LBB48_83:
	s_or_b32 exec_lo, exec_lo, s0
	v_lshl_add_u32 v102, v116, 4, v1
	s_barrier
	buffer_gl0_inv
	v_mov_b32_e32 v110, 4
	ds_write2_b64 v102, v[82:83], v[84:85] offset1:1
	s_waitcnt lgkmcnt(0)
	s_barrier
	buffer_gl0_inv
	ds_read2_b64 v[102:105], v1 offset0:8 offset1:9
	s_cmp_lt_i32 s18, 6
	s_cbranch_scc1 .LBB48_86
; %bb.84:
	v_mov_b32_e32 v110, 4
	v_add3_u32 v111, v112, 0, 0x50
	s_mov_b32 s1, 5
	s_inst_prefetch 0x1
	.p2align	6
.LBB48_85:                              ; =>This Inner Loop Header: Depth=1
	s_waitcnt lgkmcnt(0)
	v_cmp_gt_f64_e32 vcc_lo, 0, v[104:105]
	v_cmp_gt_f64_e64 s0, 0, v[102:103]
	ds_read2_b64 v[117:120], v111 offset1:1
	v_xor_b32_e32 v122, 0x80000000, v103
	v_xor_b32_e32 v124, 0x80000000, v105
	v_mov_b32_e32 v121, v102
	v_mov_b32_e32 v123, v104
	v_add_nc_u32_e32 v111, 16, v111
	s_waitcnt lgkmcnt(0)
	v_xor_b32_e32 v126, 0x80000000, v120
	v_cndmask_b32_e64 v122, v103, v122, s0
	v_cndmask_b32_e32 v124, v105, v124, vcc_lo
	v_cmp_gt_f64_e32 vcc_lo, 0, v[119:120]
	v_cmp_gt_f64_e64 s0, 0, v[117:118]
	v_mov_b32_e32 v125, v119
	v_add_f64 v[121:122], v[121:122], v[123:124]
	v_xor_b32_e32 v124, 0x80000000, v118
	v_mov_b32_e32 v123, v117
	v_cndmask_b32_e32 v126, v120, v126, vcc_lo
	v_cndmask_b32_e64 v124, v118, v124, s0
	v_add_f64 v[123:124], v[123:124], v[125:126]
	v_cmp_lt_f64_e32 vcc_lo, v[121:122], v[123:124]
	v_cndmask_b32_e32 v103, v103, v118, vcc_lo
	v_cndmask_b32_e32 v102, v102, v117, vcc_lo
	;; [unrolled: 1-line block ×4, first 2 shown]
	v_cndmask_b32_e64 v110, v110, s1, vcc_lo
	s_add_i32 s1, s1, 1
	s_cmp_lg_u32 s18, s1
	s_cbranch_scc1 .LBB48_85
.LBB48_86:
	s_inst_prefetch 0x2
	s_waitcnt lgkmcnt(0)
	v_cmp_eq_f64_e32 vcc_lo, 0, v[102:103]
	v_cmp_eq_f64_e64 s0, 0, v[104:105]
	s_and_b32 s0, vcc_lo, s0
	s_and_saveexec_b32 s1, s0
	s_xor_b32 s0, exec_lo, s1
; %bb.87:
	v_cmp_ne_u32_e32 vcc_lo, 0, v115
	v_cndmask_b32_e32 v115, 5, v115, vcc_lo
; %bb.88:
	s_andn2_saveexec_b32 s0, s0
	s_cbranch_execz .LBB48_94
; %bb.89:
	v_cmp_ngt_f64_e64 s1, |v[102:103]|, |v[104:105]|
	s_and_saveexec_b32 s2, s1
	s_xor_b32 s1, exec_lo, s2
	s_cbranch_execz .LBB48_91
; %bb.90:
	v_div_scale_f64 v[117:118], null, v[104:105], v[104:105], v[102:103]
	v_div_scale_f64 v[123:124], vcc_lo, v[102:103], v[104:105], v[102:103]
	v_rcp_f64_e32 v[119:120], v[117:118]
	v_fma_f64 v[121:122], -v[117:118], v[119:120], 1.0
	v_fma_f64 v[119:120], v[119:120], v[121:122], v[119:120]
	v_fma_f64 v[121:122], -v[117:118], v[119:120], 1.0
	v_fma_f64 v[119:120], v[119:120], v[121:122], v[119:120]
	v_mul_f64 v[121:122], v[123:124], v[119:120]
	v_fma_f64 v[117:118], -v[117:118], v[121:122], v[123:124]
	v_div_fmas_f64 v[117:118], v[117:118], v[119:120], v[121:122]
	v_div_fixup_f64 v[117:118], v[117:118], v[104:105], v[102:103]
	v_fma_f64 v[102:103], v[102:103], v[117:118], v[104:105]
	v_div_scale_f64 v[104:105], null, v[102:103], v[102:103], 1.0
	v_rcp_f64_e32 v[119:120], v[104:105]
	v_fma_f64 v[121:122], -v[104:105], v[119:120], 1.0
	v_fma_f64 v[119:120], v[119:120], v[121:122], v[119:120]
	v_fma_f64 v[121:122], -v[104:105], v[119:120], 1.0
	v_fma_f64 v[119:120], v[119:120], v[121:122], v[119:120]
	v_div_scale_f64 v[121:122], vcc_lo, 1.0, v[102:103], 1.0
	v_mul_f64 v[123:124], v[121:122], v[119:120]
	v_fma_f64 v[104:105], -v[104:105], v[123:124], v[121:122]
	v_div_fmas_f64 v[104:105], v[104:105], v[119:120], v[123:124]
	v_div_fixup_f64 v[104:105], v[104:105], v[102:103], 1.0
	v_mul_f64 v[102:103], v[117:118], v[104:105]
	v_xor_b32_e32 v105, 0x80000000, v105
.LBB48_91:
	s_andn2_saveexec_b32 s1, s1
	s_cbranch_execz .LBB48_93
; %bb.92:
	v_div_scale_f64 v[117:118], null, v[102:103], v[102:103], v[104:105]
	v_div_scale_f64 v[123:124], vcc_lo, v[104:105], v[102:103], v[104:105]
	v_rcp_f64_e32 v[119:120], v[117:118]
	v_fma_f64 v[121:122], -v[117:118], v[119:120], 1.0
	v_fma_f64 v[119:120], v[119:120], v[121:122], v[119:120]
	v_fma_f64 v[121:122], -v[117:118], v[119:120], 1.0
	v_fma_f64 v[119:120], v[119:120], v[121:122], v[119:120]
	v_mul_f64 v[121:122], v[123:124], v[119:120]
	v_fma_f64 v[117:118], -v[117:118], v[121:122], v[123:124]
	v_div_fmas_f64 v[117:118], v[117:118], v[119:120], v[121:122]
	v_div_fixup_f64 v[117:118], v[117:118], v[102:103], v[104:105]
	v_fma_f64 v[102:103], v[104:105], v[117:118], v[102:103]
	v_div_scale_f64 v[104:105], null, v[102:103], v[102:103], 1.0
	v_rcp_f64_e32 v[119:120], v[104:105]
	v_fma_f64 v[121:122], -v[104:105], v[119:120], 1.0
	v_fma_f64 v[119:120], v[119:120], v[121:122], v[119:120]
	v_fma_f64 v[121:122], -v[104:105], v[119:120], 1.0
	v_fma_f64 v[119:120], v[119:120], v[121:122], v[119:120]
	v_div_scale_f64 v[121:122], vcc_lo, 1.0, v[102:103], 1.0
	v_mul_f64 v[123:124], v[121:122], v[119:120]
	v_fma_f64 v[104:105], -v[104:105], v[123:124], v[121:122]
	v_div_fmas_f64 v[104:105], v[104:105], v[119:120], v[123:124]
	v_div_fixup_f64 v[102:103], v[104:105], v[102:103], 1.0
	v_mul_f64 v[104:105], v[117:118], -v[102:103]
.LBB48_93:
	s_or_b32 exec_lo, exec_lo, s1
.LBB48_94:
	s_or_b32 exec_lo, exec_lo, s0
	s_mov_b32 s0, exec_lo
	v_cmpx_ne_u32_e64 v116, v110
	s_xor_b32 s0, exec_lo, s0
	s_cbranch_execz .LBB48_100
; %bb.95:
	s_mov_b32 s1, exec_lo
	v_cmpx_eq_u32_e32 4, v116
	s_cbranch_execz .LBB48_99
; %bb.96:
	v_cmp_ne_u32_e32 vcc_lo, 4, v110
	s_xor_b32 s2, s16, -1
	s_and_b32 s3, s2, vcc_lo
	s_and_saveexec_b32 s2, s3
	s_cbranch_execz .LBB48_98
; %bb.97:
	v_ashrrev_i32_e32 v111, 31, v110
	v_lshlrev_b64 v[116:117], 2, v[110:111]
	v_add_co_u32 v116, vcc_lo, v108, v116
	v_add_co_ci_u32_e64 v117, null, v109, v117, vcc_lo
	s_clause 0x1
	global_load_dword v0, v[116:117], off
	global_load_dword v111, v[108:109], off offset:16
	s_waitcnt vmcnt(1)
	global_store_dword v[108:109], v0, off offset:16
	s_waitcnt vmcnt(0)
	global_store_dword v[116:117], v111, off
.LBB48_98:
	s_or_b32 exec_lo, exec_lo, s2
	v_mov_b32_e32 v116, v110
	v_mov_b32_e32 v0, v110
.LBB48_99:
	s_or_b32 exec_lo, exec_lo, s1
.LBB48_100:
	s_andn2_saveexec_b32 s0, s0
	s_cbranch_execz .LBB48_102
; %bb.101:
	v_mov_b32_e32 v116, 4
	ds_write2_b64 v1, v[78:79], v[80:81] offset0:10 offset1:11
	ds_write2_b64 v1, v[74:75], v[76:77] offset0:12 offset1:13
	;; [unrolled: 1-line block ×20, first 2 shown]
.LBB48_102:
	s_or_b32 exec_lo, exec_lo, s0
	s_mov_b32 s0, exec_lo
	s_waitcnt lgkmcnt(0)
	s_waitcnt_vscnt null, 0x0
	s_barrier
	buffer_gl0_inv
	v_cmpx_lt_i32_e32 4, v116
	s_cbranch_execz .LBB48_104
; %bb.103:
	v_mul_f64 v[110:111], v[104:105], v[84:85]
	v_mul_f64 v[84:85], v[102:103], v[84:85]
	v_fma_f64 v[110:111], v[102:103], v[82:83], -v[110:111]
	v_fma_f64 v[84:85], v[104:105], v[82:83], v[84:85]
	ds_read2_b64 v[102:105], v1 offset0:10 offset1:11
	s_waitcnt lgkmcnt(0)
	v_mul_f64 v[82:83], v[104:105], v[84:85]
	v_fma_f64 v[82:83], v[102:103], v[110:111], -v[82:83]
	v_mul_f64 v[102:103], v[102:103], v[84:85]
	v_add_f64 v[78:79], v[78:79], -v[82:83]
	v_fma_f64 v[102:103], v[104:105], v[110:111], v[102:103]
	v_add_f64 v[80:81], v[80:81], -v[102:103]
	ds_read2_b64 v[102:105], v1 offset0:12 offset1:13
	s_waitcnt lgkmcnt(0)
	v_mul_f64 v[82:83], v[104:105], v[84:85]
	v_fma_f64 v[82:83], v[102:103], v[110:111], -v[82:83]
	v_mul_f64 v[102:103], v[102:103], v[84:85]
	v_add_f64 v[74:75], v[74:75], -v[82:83]
	v_fma_f64 v[102:103], v[104:105], v[110:111], v[102:103]
	v_add_f64 v[76:77], v[76:77], -v[102:103]
	;; [unrolled: 8-line block ×19, first 2 shown]
	ds_read2_b64 v[102:105], v1 offset0:48 offset1:49
	s_waitcnt lgkmcnt(0)
	v_mul_f64 v[82:83], v[104:105], v[84:85]
	v_fma_f64 v[82:83], v[102:103], v[110:111], -v[82:83]
	v_mul_f64 v[102:103], v[102:103], v[84:85]
	v_add_f64 v[2:3], v[2:3], -v[82:83]
	v_fma_f64 v[102:103], v[104:105], v[110:111], v[102:103]
	v_mov_b32_e32 v82, v110
	v_mov_b32_e32 v83, v111
	v_add_f64 v[4:5], v[4:5], -v[102:103]
.LBB48_104:
	s_or_b32 exec_lo, exec_lo, s0
	v_lshl_add_u32 v102, v116, 4, v1
	s_barrier
	buffer_gl0_inv
	v_mov_b32_e32 v110, 5
	ds_write2_b64 v102, v[78:79], v[80:81] offset1:1
	s_waitcnt lgkmcnt(0)
	s_barrier
	buffer_gl0_inv
	ds_read2_b64 v[102:105], v1 offset0:10 offset1:11
	s_cmp_lt_i32 s18, 7
	s_cbranch_scc1 .LBB48_107
; %bb.105:
	v_add3_u32 v111, v112, 0, 0x60
	v_mov_b32_e32 v110, 5
	s_mov_b32 s1, 6
	s_inst_prefetch 0x1
	.p2align	6
.LBB48_106:                             ; =>This Inner Loop Header: Depth=1
	s_waitcnt lgkmcnt(0)
	v_cmp_gt_f64_e32 vcc_lo, 0, v[104:105]
	v_cmp_gt_f64_e64 s0, 0, v[102:103]
	ds_read2_b64 v[117:120], v111 offset1:1
	v_xor_b32_e32 v122, 0x80000000, v103
	v_xor_b32_e32 v124, 0x80000000, v105
	v_mov_b32_e32 v121, v102
	v_mov_b32_e32 v123, v104
	v_add_nc_u32_e32 v111, 16, v111
	s_waitcnt lgkmcnt(0)
	v_xor_b32_e32 v126, 0x80000000, v120
	v_cndmask_b32_e64 v122, v103, v122, s0
	v_cndmask_b32_e32 v124, v105, v124, vcc_lo
	v_cmp_gt_f64_e32 vcc_lo, 0, v[119:120]
	v_cmp_gt_f64_e64 s0, 0, v[117:118]
	v_mov_b32_e32 v125, v119
	v_add_f64 v[121:122], v[121:122], v[123:124]
	v_xor_b32_e32 v124, 0x80000000, v118
	v_mov_b32_e32 v123, v117
	v_cndmask_b32_e32 v126, v120, v126, vcc_lo
	v_cndmask_b32_e64 v124, v118, v124, s0
	v_add_f64 v[123:124], v[123:124], v[125:126]
	v_cmp_lt_f64_e32 vcc_lo, v[121:122], v[123:124]
	v_cndmask_b32_e32 v103, v103, v118, vcc_lo
	v_cndmask_b32_e32 v102, v102, v117, vcc_lo
	v_cndmask_b32_e32 v105, v105, v120, vcc_lo
	v_cndmask_b32_e32 v104, v104, v119, vcc_lo
	v_cndmask_b32_e64 v110, v110, s1, vcc_lo
	s_add_i32 s1, s1, 1
	s_cmp_lg_u32 s18, s1
	s_cbranch_scc1 .LBB48_106
.LBB48_107:
	s_inst_prefetch 0x2
	s_waitcnt lgkmcnt(0)
	v_cmp_eq_f64_e32 vcc_lo, 0, v[102:103]
	v_cmp_eq_f64_e64 s0, 0, v[104:105]
	s_and_b32 s0, vcc_lo, s0
	s_and_saveexec_b32 s1, s0
	s_xor_b32 s0, exec_lo, s1
; %bb.108:
	v_cmp_ne_u32_e32 vcc_lo, 0, v115
	v_cndmask_b32_e32 v115, 6, v115, vcc_lo
; %bb.109:
	s_andn2_saveexec_b32 s0, s0
	s_cbranch_execz .LBB48_115
; %bb.110:
	v_cmp_ngt_f64_e64 s1, |v[102:103]|, |v[104:105]|
	s_and_saveexec_b32 s2, s1
	s_xor_b32 s1, exec_lo, s2
	s_cbranch_execz .LBB48_112
; %bb.111:
	v_div_scale_f64 v[117:118], null, v[104:105], v[104:105], v[102:103]
	v_div_scale_f64 v[123:124], vcc_lo, v[102:103], v[104:105], v[102:103]
	v_rcp_f64_e32 v[119:120], v[117:118]
	v_fma_f64 v[121:122], -v[117:118], v[119:120], 1.0
	v_fma_f64 v[119:120], v[119:120], v[121:122], v[119:120]
	v_fma_f64 v[121:122], -v[117:118], v[119:120], 1.0
	v_fma_f64 v[119:120], v[119:120], v[121:122], v[119:120]
	v_mul_f64 v[121:122], v[123:124], v[119:120]
	v_fma_f64 v[117:118], -v[117:118], v[121:122], v[123:124]
	v_div_fmas_f64 v[117:118], v[117:118], v[119:120], v[121:122]
	v_div_fixup_f64 v[117:118], v[117:118], v[104:105], v[102:103]
	v_fma_f64 v[102:103], v[102:103], v[117:118], v[104:105]
	v_div_scale_f64 v[104:105], null, v[102:103], v[102:103], 1.0
	v_rcp_f64_e32 v[119:120], v[104:105]
	v_fma_f64 v[121:122], -v[104:105], v[119:120], 1.0
	v_fma_f64 v[119:120], v[119:120], v[121:122], v[119:120]
	v_fma_f64 v[121:122], -v[104:105], v[119:120], 1.0
	v_fma_f64 v[119:120], v[119:120], v[121:122], v[119:120]
	v_div_scale_f64 v[121:122], vcc_lo, 1.0, v[102:103], 1.0
	v_mul_f64 v[123:124], v[121:122], v[119:120]
	v_fma_f64 v[104:105], -v[104:105], v[123:124], v[121:122]
	v_div_fmas_f64 v[104:105], v[104:105], v[119:120], v[123:124]
	v_div_fixup_f64 v[104:105], v[104:105], v[102:103], 1.0
	v_mul_f64 v[102:103], v[117:118], v[104:105]
	v_xor_b32_e32 v105, 0x80000000, v105
.LBB48_112:
	s_andn2_saveexec_b32 s1, s1
	s_cbranch_execz .LBB48_114
; %bb.113:
	v_div_scale_f64 v[117:118], null, v[102:103], v[102:103], v[104:105]
	v_div_scale_f64 v[123:124], vcc_lo, v[104:105], v[102:103], v[104:105]
	v_rcp_f64_e32 v[119:120], v[117:118]
	v_fma_f64 v[121:122], -v[117:118], v[119:120], 1.0
	v_fma_f64 v[119:120], v[119:120], v[121:122], v[119:120]
	v_fma_f64 v[121:122], -v[117:118], v[119:120], 1.0
	v_fma_f64 v[119:120], v[119:120], v[121:122], v[119:120]
	v_mul_f64 v[121:122], v[123:124], v[119:120]
	v_fma_f64 v[117:118], -v[117:118], v[121:122], v[123:124]
	v_div_fmas_f64 v[117:118], v[117:118], v[119:120], v[121:122]
	v_div_fixup_f64 v[117:118], v[117:118], v[102:103], v[104:105]
	v_fma_f64 v[102:103], v[104:105], v[117:118], v[102:103]
	v_div_scale_f64 v[104:105], null, v[102:103], v[102:103], 1.0
	v_rcp_f64_e32 v[119:120], v[104:105]
	v_fma_f64 v[121:122], -v[104:105], v[119:120], 1.0
	v_fma_f64 v[119:120], v[119:120], v[121:122], v[119:120]
	v_fma_f64 v[121:122], -v[104:105], v[119:120], 1.0
	v_fma_f64 v[119:120], v[119:120], v[121:122], v[119:120]
	v_div_scale_f64 v[121:122], vcc_lo, 1.0, v[102:103], 1.0
	v_mul_f64 v[123:124], v[121:122], v[119:120]
	v_fma_f64 v[104:105], -v[104:105], v[123:124], v[121:122]
	v_div_fmas_f64 v[104:105], v[104:105], v[119:120], v[123:124]
	v_div_fixup_f64 v[102:103], v[104:105], v[102:103], 1.0
	v_mul_f64 v[104:105], v[117:118], -v[102:103]
.LBB48_114:
	s_or_b32 exec_lo, exec_lo, s1
.LBB48_115:
	s_or_b32 exec_lo, exec_lo, s0
	s_mov_b32 s0, exec_lo
	v_cmpx_ne_u32_e64 v116, v110
	s_xor_b32 s0, exec_lo, s0
	s_cbranch_execz .LBB48_121
; %bb.116:
	s_mov_b32 s1, exec_lo
	v_cmpx_eq_u32_e32 5, v116
	s_cbranch_execz .LBB48_120
; %bb.117:
	v_cmp_ne_u32_e32 vcc_lo, 5, v110
	s_xor_b32 s2, s16, -1
	s_and_b32 s3, s2, vcc_lo
	s_and_saveexec_b32 s2, s3
	s_cbranch_execz .LBB48_119
; %bb.118:
	v_ashrrev_i32_e32 v111, 31, v110
	v_lshlrev_b64 v[116:117], 2, v[110:111]
	v_add_co_u32 v116, vcc_lo, v108, v116
	v_add_co_ci_u32_e64 v117, null, v109, v117, vcc_lo
	s_clause 0x1
	global_load_dword v0, v[116:117], off
	global_load_dword v111, v[108:109], off offset:20
	s_waitcnt vmcnt(1)
	global_store_dword v[108:109], v0, off offset:20
	s_waitcnt vmcnt(0)
	global_store_dword v[116:117], v111, off
.LBB48_119:
	s_or_b32 exec_lo, exec_lo, s2
	v_mov_b32_e32 v116, v110
	v_mov_b32_e32 v0, v110
.LBB48_120:
	s_or_b32 exec_lo, exec_lo, s1
.LBB48_121:
	s_andn2_saveexec_b32 s0, s0
	s_cbranch_execz .LBB48_123
; %bb.122:
	v_mov_b32_e32 v116, 5
	ds_write2_b64 v1, v[74:75], v[76:77] offset0:12 offset1:13
	ds_write2_b64 v1, v[70:71], v[72:73] offset0:14 offset1:15
	ds_write2_b64 v1, v[66:67], v[68:69] offset0:16 offset1:17
	ds_write2_b64 v1, v[62:63], v[64:65] offset0:18 offset1:19
	ds_write2_b64 v1, v[58:59], v[60:61] offset0:20 offset1:21
	ds_write2_b64 v1, v[54:55], v[56:57] offset0:22 offset1:23
	ds_write2_b64 v1, v[50:51], v[52:53] offset0:24 offset1:25
	ds_write2_b64 v1, v[46:47], v[48:49] offset0:26 offset1:27
	ds_write2_b64 v1, v[42:43], v[44:45] offset0:28 offset1:29
	ds_write2_b64 v1, v[38:39], v[40:41] offset0:30 offset1:31
	ds_write2_b64 v1, v[34:35], v[36:37] offset0:32 offset1:33
	ds_write2_b64 v1, v[30:31], v[32:33] offset0:34 offset1:35
	ds_write2_b64 v1, v[26:27], v[28:29] offset0:36 offset1:37
	ds_write2_b64 v1, v[22:23], v[24:25] offset0:38 offset1:39
	ds_write2_b64 v1, v[18:19], v[20:21] offset0:40 offset1:41
	ds_write2_b64 v1, v[14:15], v[16:17] offset0:42 offset1:43
	ds_write2_b64 v1, v[10:11], v[12:13] offset0:44 offset1:45
	ds_write2_b64 v1, v[6:7], v[8:9] offset0:46 offset1:47
	ds_write2_b64 v1, v[2:3], v[4:5] offset0:48 offset1:49
.LBB48_123:
	s_or_b32 exec_lo, exec_lo, s0
	s_mov_b32 s0, exec_lo
	s_waitcnt lgkmcnt(0)
	s_waitcnt_vscnt null, 0x0
	s_barrier
	buffer_gl0_inv
	v_cmpx_lt_i32_e32 5, v116
	s_cbranch_execz .LBB48_125
; %bb.124:
	v_mul_f64 v[110:111], v[104:105], v[80:81]
	v_mul_f64 v[80:81], v[102:103], v[80:81]
	v_fma_f64 v[110:111], v[102:103], v[78:79], -v[110:111]
	v_fma_f64 v[80:81], v[104:105], v[78:79], v[80:81]
	ds_read2_b64 v[102:105], v1 offset0:12 offset1:13
	s_waitcnt lgkmcnt(0)
	v_mul_f64 v[78:79], v[104:105], v[80:81]
	v_fma_f64 v[78:79], v[102:103], v[110:111], -v[78:79]
	v_mul_f64 v[102:103], v[102:103], v[80:81]
	v_add_f64 v[74:75], v[74:75], -v[78:79]
	v_fma_f64 v[102:103], v[104:105], v[110:111], v[102:103]
	v_add_f64 v[76:77], v[76:77], -v[102:103]
	ds_read2_b64 v[102:105], v1 offset0:14 offset1:15
	s_waitcnt lgkmcnt(0)
	v_mul_f64 v[78:79], v[104:105], v[80:81]
	v_fma_f64 v[78:79], v[102:103], v[110:111], -v[78:79]
	v_mul_f64 v[102:103], v[102:103], v[80:81]
	v_add_f64 v[70:71], v[70:71], -v[78:79]
	v_fma_f64 v[102:103], v[104:105], v[110:111], v[102:103]
	v_add_f64 v[72:73], v[72:73], -v[102:103]
	;; [unrolled: 8-line block ×18, first 2 shown]
	ds_read2_b64 v[102:105], v1 offset0:48 offset1:49
	s_waitcnt lgkmcnt(0)
	v_mul_f64 v[78:79], v[104:105], v[80:81]
	v_fma_f64 v[78:79], v[102:103], v[110:111], -v[78:79]
	v_mul_f64 v[102:103], v[102:103], v[80:81]
	v_add_f64 v[2:3], v[2:3], -v[78:79]
	v_fma_f64 v[102:103], v[104:105], v[110:111], v[102:103]
	v_mov_b32_e32 v78, v110
	v_mov_b32_e32 v79, v111
	v_add_f64 v[4:5], v[4:5], -v[102:103]
.LBB48_125:
	s_or_b32 exec_lo, exec_lo, s0
	v_lshl_add_u32 v102, v116, 4, v1
	s_barrier
	buffer_gl0_inv
	v_mov_b32_e32 v110, 6
	ds_write2_b64 v102, v[74:75], v[76:77] offset1:1
	s_waitcnt lgkmcnt(0)
	s_barrier
	buffer_gl0_inv
	ds_read2_b64 v[102:105], v1 offset0:12 offset1:13
	s_cmp_lt_i32 s18, 8
	s_cbranch_scc1 .LBB48_128
; %bb.126:
	v_add3_u32 v111, v112, 0, 0x70
	v_mov_b32_e32 v110, 6
	s_mov_b32 s1, 7
	s_inst_prefetch 0x1
	.p2align	6
.LBB48_127:                             ; =>This Inner Loop Header: Depth=1
	s_waitcnt lgkmcnt(0)
	v_cmp_gt_f64_e32 vcc_lo, 0, v[104:105]
	v_cmp_gt_f64_e64 s0, 0, v[102:103]
	ds_read2_b64 v[117:120], v111 offset1:1
	v_xor_b32_e32 v122, 0x80000000, v103
	v_xor_b32_e32 v124, 0x80000000, v105
	v_mov_b32_e32 v121, v102
	v_mov_b32_e32 v123, v104
	v_add_nc_u32_e32 v111, 16, v111
	s_waitcnt lgkmcnt(0)
	v_xor_b32_e32 v126, 0x80000000, v120
	v_cndmask_b32_e64 v122, v103, v122, s0
	v_cndmask_b32_e32 v124, v105, v124, vcc_lo
	v_cmp_gt_f64_e32 vcc_lo, 0, v[119:120]
	v_cmp_gt_f64_e64 s0, 0, v[117:118]
	v_mov_b32_e32 v125, v119
	v_add_f64 v[121:122], v[121:122], v[123:124]
	v_xor_b32_e32 v124, 0x80000000, v118
	v_mov_b32_e32 v123, v117
	v_cndmask_b32_e32 v126, v120, v126, vcc_lo
	v_cndmask_b32_e64 v124, v118, v124, s0
	v_add_f64 v[123:124], v[123:124], v[125:126]
	v_cmp_lt_f64_e32 vcc_lo, v[121:122], v[123:124]
	v_cndmask_b32_e32 v103, v103, v118, vcc_lo
	v_cndmask_b32_e32 v102, v102, v117, vcc_lo
	;; [unrolled: 1-line block ×4, first 2 shown]
	v_cndmask_b32_e64 v110, v110, s1, vcc_lo
	s_add_i32 s1, s1, 1
	s_cmp_lg_u32 s18, s1
	s_cbranch_scc1 .LBB48_127
.LBB48_128:
	s_inst_prefetch 0x2
	s_waitcnt lgkmcnt(0)
	v_cmp_eq_f64_e32 vcc_lo, 0, v[102:103]
	v_cmp_eq_f64_e64 s0, 0, v[104:105]
	s_and_b32 s0, vcc_lo, s0
	s_and_saveexec_b32 s1, s0
	s_xor_b32 s0, exec_lo, s1
; %bb.129:
	v_cmp_ne_u32_e32 vcc_lo, 0, v115
	v_cndmask_b32_e32 v115, 7, v115, vcc_lo
; %bb.130:
	s_andn2_saveexec_b32 s0, s0
	s_cbranch_execz .LBB48_136
; %bb.131:
	v_cmp_ngt_f64_e64 s1, |v[102:103]|, |v[104:105]|
	s_and_saveexec_b32 s2, s1
	s_xor_b32 s1, exec_lo, s2
	s_cbranch_execz .LBB48_133
; %bb.132:
	v_div_scale_f64 v[117:118], null, v[104:105], v[104:105], v[102:103]
	v_div_scale_f64 v[123:124], vcc_lo, v[102:103], v[104:105], v[102:103]
	v_rcp_f64_e32 v[119:120], v[117:118]
	v_fma_f64 v[121:122], -v[117:118], v[119:120], 1.0
	v_fma_f64 v[119:120], v[119:120], v[121:122], v[119:120]
	v_fma_f64 v[121:122], -v[117:118], v[119:120], 1.0
	v_fma_f64 v[119:120], v[119:120], v[121:122], v[119:120]
	v_mul_f64 v[121:122], v[123:124], v[119:120]
	v_fma_f64 v[117:118], -v[117:118], v[121:122], v[123:124]
	v_div_fmas_f64 v[117:118], v[117:118], v[119:120], v[121:122]
	v_div_fixup_f64 v[117:118], v[117:118], v[104:105], v[102:103]
	v_fma_f64 v[102:103], v[102:103], v[117:118], v[104:105]
	v_div_scale_f64 v[104:105], null, v[102:103], v[102:103], 1.0
	v_rcp_f64_e32 v[119:120], v[104:105]
	v_fma_f64 v[121:122], -v[104:105], v[119:120], 1.0
	v_fma_f64 v[119:120], v[119:120], v[121:122], v[119:120]
	v_fma_f64 v[121:122], -v[104:105], v[119:120], 1.0
	v_fma_f64 v[119:120], v[119:120], v[121:122], v[119:120]
	v_div_scale_f64 v[121:122], vcc_lo, 1.0, v[102:103], 1.0
	v_mul_f64 v[123:124], v[121:122], v[119:120]
	v_fma_f64 v[104:105], -v[104:105], v[123:124], v[121:122]
	v_div_fmas_f64 v[104:105], v[104:105], v[119:120], v[123:124]
	v_div_fixup_f64 v[104:105], v[104:105], v[102:103], 1.0
	v_mul_f64 v[102:103], v[117:118], v[104:105]
	v_xor_b32_e32 v105, 0x80000000, v105
.LBB48_133:
	s_andn2_saveexec_b32 s1, s1
	s_cbranch_execz .LBB48_135
; %bb.134:
	v_div_scale_f64 v[117:118], null, v[102:103], v[102:103], v[104:105]
	v_div_scale_f64 v[123:124], vcc_lo, v[104:105], v[102:103], v[104:105]
	v_rcp_f64_e32 v[119:120], v[117:118]
	v_fma_f64 v[121:122], -v[117:118], v[119:120], 1.0
	v_fma_f64 v[119:120], v[119:120], v[121:122], v[119:120]
	v_fma_f64 v[121:122], -v[117:118], v[119:120], 1.0
	v_fma_f64 v[119:120], v[119:120], v[121:122], v[119:120]
	v_mul_f64 v[121:122], v[123:124], v[119:120]
	v_fma_f64 v[117:118], -v[117:118], v[121:122], v[123:124]
	v_div_fmas_f64 v[117:118], v[117:118], v[119:120], v[121:122]
	v_div_fixup_f64 v[117:118], v[117:118], v[102:103], v[104:105]
	v_fma_f64 v[102:103], v[104:105], v[117:118], v[102:103]
	v_div_scale_f64 v[104:105], null, v[102:103], v[102:103], 1.0
	v_rcp_f64_e32 v[119:120], v[104:105]
	v_fma_f64 v[121:122], -v[104:105], v[119:120], 1.0
	v_fma_f64 v[119:120], v[119:120], v[121:122], v[119:120]
	v_fma_f64 v[121:122], -v[104:105], v[119:120], 1.0
	v_fma_f64 v[119:120], v[119:120], v[121:122], v[119:120]
	v_div_scale_f64 v[121:122], vcc_lo, 1.0, v[102:103], 1.0
	v_mul_f64 v[123:124], v[121:122], v[119:120]
	v_fma_f64 v[104:105], -v[104:105], v[123:124], v[121:122]
	v_div_fmas_f64 v[104:105], v[104:105], v[119:120], v[123:124]
	v_div_fixup_f64 v[102:103], v[104:105], v[102:103], 1.0
	v_mul_f64 v[104:105], v[117:118], -v[102:103]
.LBB48_135:
	s_or_b32 exec_lo, exec_lo, s1
.LBB48_136:
	s_or_b32 exec_lo, exec_lo, s0
	s_mov_b32 s0, exec_lo
	v_cmpx_ne_u32_e64 v116, v110
	s_xor_b32 s0, exec_lo, s0
	s_cbranch_execz .LBB48_142
; %bb.137:
	s_mov_b32 s1, exec_lo
	v_cmpx_eq_u32_e32 6, v116
	s_cbranch_execz .LBB48_141
; %bb.138:
	v_cmp_ne_u32_e32 vcc_lo, 6, v110
	s_xor_b32 s2, s16, -1
	s_and_b32 s3, s2, vcc_lo
	s_and_saveexec_b32 s2, s3
	s_cbranch_execz .LBB48_140
; %bb.139:
	v_ashrrev_i32_e32 v111, 31, v110
	v_lshlrev_b64 v[116:117], 2, v[110:111]
	v_add_co_u32 v116, vcc_lo, v108, v116
	v_add_co_ci_u32_e64 v117, null, v109, v117, vcc_lo
	s_clause 0x1
	global_load_dword v0, v[116:117], off
	global_load_dword v111, v[108:109], off offset:24
	s_waitcnt vmcnt(1)
	global_store_dword v[108:109], v0, off offset:24
	s_waitcnt vmcnt(0)
	global_store_dword v[116:117], v111, off
.LBB48_140:
	s_or_b32 exec_lo, exec_lo, s2
	v_mov_b32_e32 v116, v110
	v_mov_b32_e32 v0, v110
.LBB48_141:
	s_or_b32 exec_lo, exec_lo, s1
.LBB48_142:
	s_andn2_saveexec_b32 s0, s0
	s_cbranch_execz .LBB48_144
; %bb.143:
	v_mov_b32_e32 v116, 6
	ds_write2_b64 v1, v[70:71], v[72:73] offset0:14 offset1:15
	ds_write2_b64 v1, v[66:67], v[68:69] offset0:16 offset1:17
	;; [unrolled: 1-line block ×18, first 2 shown]
.LBB48_144:
	s_or_b32 exec_lo, exec_lo, s0
	s_mov_b32 s0, exec_lo
	s_waitcnt lgkmcnt(0)
	s_waitcnt_vscnt null, 0x0
	s_barrier
	buffer_gl0_inv
	v_cmpx_lt_i32_e32 6, v116
	s_cbranch_execz .LBB48_146
; %bb.145:
	v_mul_f64 v[110:111], v[104:105], v[76:77]
	v_mul_f64 v[76:77], v[102:103], v[76:77]
	v_fma_f64 v[110:111], v[102:103], v[74:75], -v[110:111]
	v_fma_f64 v[76:77], v[104:105], v[74:75], v[76:77]
	ds_read2_b64 v[102:105], v1 offset0:14 offset1:15
	s_waitcnt lgkmcnt(0)
	v_mul_f64 v[74:75], v[104:105], v[76:77]
	v_fma_f64 v[74:75], v[102:103], v[110:111], -v[74:75]
	v_mul_f64 v[102:103], v[102:103], v[76:77]
	v_add_f64 v[70:71], v[70:71], -v[74:75]
	v_fma_f64 v[102:103], v[104:105], v[110:111], v[102:103]
	v_add_f64 v[72:73], v[72:73], -v[102:103]
	ds_read2_b64 v[102:105], v1 offset0:16 offset1:17
	s_waitcnt lgkmcnt(0)
	v_mul_f64 v[74:75], v[104:105], v[76:77]
	v_fma_f64 v[74:75], v[102:103], v[110:111], -v[74:75]
	v_mul_f64 v[102:103], v[102:103], v[76:77]
	v_add_f64 v[66:67], v[66:67], -v[74:75]
	v_fma_f64 v[102:103], v[104:105], v[110:111], v[102:103]
	v_add_f64 v[68:69], v[68:69], -v[102:103]
	;; [unrolled: 8-line block ×17, first 2 shown]
	ds_read2_b64 v[102:105], v1 offset0:48 offset1:49
	s_waitcnt lgkmcnt(0)
	v_mul_f64 v[74:75], v[104:105], v[76:77]
	v_fma_f64 v[74:75], v[102:103], v[110:111], -v[74:75]
	v_mul_f64 v[102:103], v[102:103], v[76:77]
	v_add_f64 v[2:3], v[2:3], -v[74:75]
	v_fma_f64 v[102:103], v[104:105], v[110:111], v[102:103]
	v_mov_b32_e32 v74, v110
	v_mov_b32_e32 v75, v111
	v_add_f64 v[4:5], v[4:5], -v[102:103]
.LBB48_146:
	s_or_b32 exec_lo, exec_lo, s0
	v_lshl_add_u32 v102, v116, 4, v1
	s_barrier
	buffer_gl0_inv
	v_mov_b32_e32 v110, 7
	ds_write2_b64 v102, v[70:71], v[72:73] offset1:1
	s_waitcnt lgkmcnt(0)
	s_barrier
	buffer_gl0_inv
	ds_read2_b64 v[102:105], v1 offset0:14 offset1:15
	s_cmp_lt_i32 s18, 9
	s_cbranch_scc1 .LBB48_149
; %bb.147:
	v_add3_u32 v111, v112, 0, 0x80
	v_mov_b32_e32 v110, 7
	s_mov_b32 s1, 8
	s_inst_prefetch 0x1
	.p2align	6
.LBB48_148:                             ; =>This Inner Loop Header: Depth=1
	s_waitcnt lgkmcnt(0)
	v_cmp_gt_f64_e32 vcc_lo, 0, v[104:105]
	v_cmp_gt_f64_e64 s0, 0, v[102:103]
	ds_read2_b64 v[117:120], v111 offset1:1
	v_xor_b32_e32 v122, 0x80000000, v103
	v_xor_b32_e32 v124, 0x80000000, v105
	v_mov_b32_e32 v121, v102
	v_mov_b32_e32 v123, v104
	v_add_nc_u32_e32 v111, 16, v111
	s_waitcnt lgkmcnt(0)
	v_xor_b32_e32 v126, 0x80000000, v120
	v_cndmask_b32_e64 v122, v103, v122, s0
	v_cndmask_b32_e32 v124, v105, v124, vcc_lo
	v_cmp_gt_f64_e32 vcc_lo, 0, v[119:120]
	v_cmp_gt_f64_e64 s0, 0, v[117:118]
	v_mov_b32_e32 v125, v119
	v_add_f64 v[121:122], v[121:122], v[123:124]
	v_xor_b32_e32 v124, 0x80000000, v118
	v_mov_b32_e32 v123, v117
	v_cndmask_b32_e32 v126, v120, v126, vcc_lo
	v_cndmask_b32_e64 v124, v118, v124, s0
	v_add_f64 v[123:124], v[123:124], v[125:126]
	v_cmp_lt_f64_e32 vcc_lo, v[121:122], v[123:124]
	v_cndmask_b32_e32 v103, v103, v118, vcc_lo
	v_cndmask_b32_e32 v102, v102, v117, vcc_lo
	;; [unrolled: 1-line block ×4, first 2 shown]
	v_cndmask_b32_e64 v110, v110, s1, vcc_lo
	s_add_i32 s1, s1, 1
	s_cmp_lg_u32 s18, s1
	s_cbranch_scc1 .LBB48_148
.LBB48_149:
	s_inst_prefetch 0x2
	s_waitcnt lgkmcnt(0)
	v_cmp_eq_f64_e32 vcc_lo, 0, v[102:103]
	v_cmp_eq_f64_e64 s0, 0, v[104:105]
	s_and_b32 s0, vcc_lo, s0
	s_and_saveexec_b32 s1, s0
	s_xor_b32 s0, exec_lo, s1
; %bb.150:
	v_cmp_ne_u32_e32 vcc_lo, 0, v115
	v_cndmask_b32_e32 v115, 8, v115, vcc_lo
; %bb.151:
	s_andn2_saveexec_b32 s0, s0
	s_cbranch_execz .LBB48_157
; %bb.152:
	v_cmp_ngt_f64_e64 s1, |v[102:103]|, |v[104:105]|
	s_and_saveexec_b32 s2, s1
	s_xor_b32 s1, exec_lo, s2
	s_cbranch_execz .LBB48_154
; %bb.153:
	v_div_scale_f64 v[117:118], null, v[104:105], v[104:105], v[102:103]
	v_div_scale_f64 v[123:124], vcc_lo, v[102:103], v[104:105], v[102:103]
	v_rcp_f64_e32 v[119:120], v[117:118]
	v_fma_f64 v[121:122], -v[117:118], v[119:120], 1.0
	v_fma_f64 v[119:120], v[119:120], v[121:122], v[119:120]
	v_fma_f64 v[121:122], -v[117:118], v[119:120], 1.0
	v_fma_f64 v[119:120], v[119:120], v[121:122], v[119:120]
	v_mul_f64 v[121:122], v[123:124], v[119:120]
	v_fma_f64 v[117:118], -v[117:118], v[121:122], v[123:124]
	v_div_fmas_f64 v[117:118], v[117:118], v[119:120], v[121:122]
	v_div_fixup_f64 v[117:118], v[117:118], v[104:105], v[102:103]
	v_fma_f64 v[102:103], v[102:103], v[117:118], v[104:105]
	v_div_scale_f64 v[104:105], null, v[102:103], v[102:103], 1.0
	v_rcp_f64_e32 v[119:120], v[104:105]
	v_fma_f64 v[121:122], -v[104:105], v[119:120], 1.0
	v_fma_f64 v[119:120], v[119:120], v[121:122], v[119:120]
	v_fma_f64 v[121:122], -v[104:105], v[119:120], 1.0
	v_fma_f64 v[119:120], v[119:120], v[121:122], v[119:120]
	v_div_scale_f64 v[121:122], vcc_lo, 1.0, v[102:103], 1.0
	v_mul_f64 v[123:124], v[121:122], v[119:120]
	v_fma_f64 v[104:105], -v[104:105], v[123:124], v[121:122]
	v_div_fmas_f64 v[104:105], v[104:105], v[119:120], v[123:124]
	v_div_fixup_f64 v[104:105], v[104:105], v[102:103], 1.0
	v_mul_f64 v[102:103], v[117:118], v[104:105]
	v_xor_b32_e32 v105, 0x80000000, v105
.LBB48_154:
	s_andn2_saveexec_b32 s1, s1
	s_cbranch_execz .LBB48_156
; %bb.155:
	v_div_scale_f64 v[117:118], null, v[102:103], v[102:103], v[104:105]
	v_div_scale_f64 v[123:124], vcc_lo, v[104:105], v[102:103], v[104:105]
	v_rcp_f64_e32 v[119:120], v[117:118]
	v_fma_f64 v[121:122], -v[117:118], v[119:120], 1.0
	v_fma_f64 v[119:120], v[119:120], v[121:122], v[119:120]
	v_fma_f64 v[121:122], -v[117:118], v[119:120], 1.0
	v_fma_f64 v[119:120], v[119:120], v[121:122], v[119:120]
	v_mul_f64 v[121:122], v[123:124], v[119:120]
	v_fma_f64 v[117:118], -v[117:118], v[121:122], v[123:124]
	v_div_fmas_f64 v[117:118], v[117:118], v[119:120], v[121:122]
	v_div_fixup_f64 v[117:118], v[117:118], v[102:103], v[104:105]
	v_fma_f64 v[102:103], v[104:105], v[117:118], v[102:103]
	v_div_scale_f64 v[104:105], null, v[102:103], v[102:103], 1.0
	v_rcp_f64_e32 v[119:120], v[104:105]
	v_fma_f64 v[121:122], -v[104:105], v[119:120], 1.0
	v_fma_f64 v[119:120], v[119:120], v[121:122], v[119:120]
	v_fma_f64 v[121:122], -v[104:105], v[119:120], 1.0
	v_fma_f64 v[119:120], v[119:120], v[121:122], v[119:120]
	v_div_scale_f64 v[121:122], vcc_lo, 1.0, v[102:103], 1.0
	v_mul_f64 v[123:124], v[121:122], v[119:120]
	v_fma_f64 v[104:105], -v[104:105], v[123:124], v[121:122]
	v_div_fmas_f64 v[104:105], v[104:105], v[119:120], v[123:124]
	v_div_fixup_f64 v[102:103], v[104:105], v[102:103], 1.0
	v_mul_f64 v[104:105], v[117:118], -v[102:103]
.LBB48_156:
	s_or_b32 exec_lo, exec_lo, s1
.LBB48_157:
	s_or_b32 exec_lo, exec_lo, s0
	s_mov_b32 s0, exec_lo
	v_cmpx_ne_u32_e64 v116, v110
	s_xor_b32 s0, exec_lo, s0
	s_cbranch_execz .LBB48_163
; %bb.158:
	s_mov_b32 s1, exec_lo
	v_cmpx_eq_u32_e32 7, v116
	s_cbranch_execz .LBB48_162
; %bb.159:
	v_cmp_ne_u32_e32 vcc_lo, 7, v110
	s_xor_b32 s2, s16, -1
	s_and_b32 s3, s2, vcc_lo
	s_and_saveexec_b32 s2, s3
	s_cbranch_execz .LBB48_161
; %bb.160:
	v_ashrrev_i32_e32 v111, 31, v110
	v_lshlrev_b64 v[116:117], 2, v[110:111]
	v_add_co_u32 v116, vcc_lo, v108, v116
	v_add_co_ci_u32_e64 v117, null, v109, v117, vcc_lo
	s_clause 0x1
	global_load_dword v0, v[116:117], off
	global_load_dword v111, v[108:109], off offset:28
	s_waitcnt vmcnt(1)
	global_store_dword v[108:109], v0, off offset:28
	s_waitcnt vmcnt(0)
	global_store_dword v[116:117], v111, off
.LBB48_161:
	s_or_b32 exec_lo, exec_lo, s2
	v_mov_b32_e32 v116, v110
	v_mov_b32_e32 v0, v110
.LBB48_162:
	s_or_b32 exec_lo, exec_lo, s1
.LBB48_163:
	s_andn2_saveexec_b32 s0, s0
	s_cbranch_execz .LBB48_165
; %bb.164:
	v_mov_b32_e32 v116, 7
	ds_write2_b64 v1, v[66:67], v[68:69] offset0:16 offset1:17
	ds_write2_b64 v1, v[62:63], v[64:65] offset0:18 offset1:19
	ds_write2_b64 v1, v[58:59], v[60:61] offset0:20 offset1:21
	ds_write2_b64 v1, v[54:55], v[56:57] offset0:22 offset1:23
	ds_write2_b64 v1, v[50:51], v[52:53] offset0:24 offset1:25
	ds_write2_b64 v1, v[46:47], v[48:49] offset0:26 offset1:27
	ds_write2_b64 v1, v[42:43], v[44:45] offset0:28 offset1:29
	ds_write2_b64 v1, v[38:39], v[40:41] offset0:30 offset1:31
	ds_write2_b64 v1, v[34:35], v[36:37] offset0:32 offset1:33
	ds_write2_b64 v1, v[30:31], v[32:33] offset0:34 offset1:35
	ds_write2_b64 v1, v[26:27], v[28:29] offset0:36 offset1:37
	ds_write2_b64 v1, v[22:23], v[24:25] offset0:38 offset1:39
	ds_write2_b64 v1, v[18:19], v[20:21] offset0:40 offset1:41
	ds_write2_b64 v1, v[14:15], v[16:17] offset0:42 offset1:43
	ds_write2_b64 v1, v[10:11], v[12:13] offset0:44 offset1:45
	ds_write2_b64 v1, v[6:7], v[8:9] offset0:46 offset1:47
	ds_write2_b64 v1, v[2:3], v[4:5] offset0:48 offset1:49
.LBB48_165:
	s_or_b32 exec_lo, exec_lo, s0
	s_mov_b32 s0, exec_lo
	s_waitcnt lgkmcnt(0)
	s_waitcnt_vscnt null, 0x0
	s_barrier
	buffer_gl0_inv
	v_cmpx_lt_i32_e32 7, v116
	s_cbranch_execz .LBB48_167
; %bb.166:
	v_mul_f64 v[110:111], v[104:105], v[72:73]
	v_mul_f64 v[72:73], v[102:103], v[72:73]
	v_fma_f64 v[110:111], v[102:103], v[70:71], -v[110:111]
	v_fma_f64 v[72:73], v[104:105], v[70:71], v[72:73]
	ds_read2_b64 v[102:105], v1 offset0:16 offset1:17
	s_waitcnt lgkmcnt(0)
	v_mul_f64 v[70:71], v[104:105], v[72:73]
	v_fma_f64 v[70:71], v[102:103], v[110:111], -v[70:71]
	v_mul_f64 v[102:103], v[102:103], v[72:73]
	v_add_f64 v[66:67], v[66:67], -v[70:71]
	v_fma_f64 v[102:103], v[104:105], v[110:111], v[102:103]
	v_add_f64 v[68:69], v[68:69], -v[102:103]
	ds_read2_b64 v[102:105], v1 offset0:18 offset1:19
	s_waitcnt lgkmcnt(0)
	v_mul_f64 v[70:71], v[104:105], v[72:73]
	v_fma_f64 v[70:71], v[102:103], v[110:111], -v[70:71]
	v_mul_f64 v[102:103], v[102:103], v[72:73]
	v_add_f64 v[62:63], v[62:63], -v[70:71]
	v_fma_f64 v[102:103], v[104:105], v[110:111], v[102:103]
	v_add_f64 v[64:65], v[64:65], -v[102:103]
	;; [unrolled: 8-line block ×16, first 2 shown]
	ds_read2_b64 v[102:105], v1 offset0:48 offset1:49
	s_waitcnt lgkmcnt(0)
	v_mul_f64 v[70:71], v[104:105], v[72:73]
	v_fma_f64 v[70:71], v[102:103], v[110:111], -v[70:71]
	v_mul_f64 v[102:103], v[102:103], v[72:73]
	v_add_f64 v[2:3], v[2:3], -v[70:71]
	v_fma_f64 v[102:103], v[104:105], v[110:111], v[102:103]
	v_mov_b32_e32 v70, v110
	v_mov_b32_e32 v71, v111
	v_add_f64 v[4:5], v[4:5], -v[102:103]
.LBB48_167:
	s_or_b32 exec_lo, exec_lo, s0
	v_lshl_add_u32 v102, v116, 4, v1
	s_barrier
	buffer_gl0_inv
	v_mov_b32_e32 v110, 8
	ds_write2_b64 v102, v[66:67], v[68:69] offset1:1
	s_waitcnt lgkmcnt(0)
	s_barrier
	buffer_gl0_inv
	ds_read2_b64 v[102:105], v1 offset0:16 offset1:17
	s_cmp_lt_i32 s18, 10
	s_cbranch_scc1 .LBB48_170
; %bb.168:
	v_add3_u32 v111, v112, 0, 0x90
	v_mov_b32_e32 v110, 8
	s_mov_b32 s1, 9
	s_inst_prefetch 0x1
	.p2align	6
.LBB48_169:                             ; =>This Inner Loop Header: Depth=1
	s_waitcnt lgkmcnt(0)
	v_cmp_gt_f64_e32 vcc_lo, 0, v[104:105]
	v_cmp_gt_f64_e64 s0, 0, v[102:103]
	ds_read2_b64 v[117:120], v111 offset1:1
	v_xor_b32_e32 v122, 0x80000000, v103
	v_xor_b32_e32 v124, 0x80000000, v105
	v_mov_b32_e32 v121, v102
	v_mov_b32_e32 v123, v104
	v_add_nc_u32_e32 v111, 16, v111
	s_waitcnt lgkmcnt(0)
	v_xor_b32_e32 v126, 0x80000000, v120
	v_cndmask_b32_e64 v122, v103, v122, s0
	v_cndmask_b32_e32 v124, v105, v124, vcc_lo
	v_cmp_gt_f64_e32 vcc_lo, 0, v[119:120]
	v_cmp_gt_f64_e64 s0, 0, v[117:118]
	v_mov_b32_e32 v125, v119
	v_add_f64 v[121:122], v[121:122], v[123:124]
	v_xor_b32_e32 v124, 0x80000000, v118
	v_mov_b32_e32 v123, v117
	v_cndmask_b32_e32 v126, v120, v126, vcc_lo
	v_cndmask_b32_e64 v124, v118, v124, s0
	v_add_f64 v[123:124], v[123:124], v[125:126]
	v_cmp_lt_f64_e32 vcc_lo, v[121:122], v[123:124]
	v_cndmask_b32_e32 v103, v103, v118, vcc_lo
	v_cndmask_b32_e32 v102, v102, v117, vcc_lo
	;; [unrolled: 1-line block ×4, first 2 shown]
	v_cndmask_b32_e64 v110, v110, s1, vcc_lo
	s_add_i32 s1, s1, 1
	s_cmp_lg_u32 s18, s1
	s_cbranch_scc1 .LBB48_169
.LBB48_170:
	s_inst_prefetch 0x2
	s_waitcnt lgkmcnt(0)
	v_cmp_eq_f64_e32 vcc_lo, 0, v[102:103]
	v_cmp_eq_f64_e64 s0, 0, v[104:105]
	s_and_b32 s0, vcc_lo, s0
	s_and_saveexec_b32 s1, s0
	s_xor_b32 s0, exec_lo, s1
; %bb.171:
	v_cmp_ne_u32_e32 vcc_lo, 0, v115
	v_cndmask_b32_e32 v115, 9, v115, vcc_lo
; %bb.172:
	s_andn2_saveexec_b32 s0, s0
	s_cbranch_execz .LBB48_178
; %bb.173:
	v_cmp_ngt_f64_e64 s1, |v[102:103]|, |v[104:105]|
	s_and_saveexec_b32 s2, s1
	s_xor_b32 s1, exec_lo, s2
	s_cbranch_execz .LBB48_175
; %bb.174:
	v_div_scale_f64 v[117:118], null, v[104:105], v[104:105], v[102:103]
	v_div_scale_f64 v[123:124], vcc_lo, v[102:103], v[104:105], v[102:103]
	v_rcp_f64_e32 v[119:120], v[117:118]
	v_fma_f64 v[121:122], -v[117:118], v[119:120], 1.0
	v_fma_f64 v[119:120], v[119:120], v[121:122], v[119:120]
	v_fma_f64 v[121:122], -v[117:118], v[119:120], 1.0
	v_fma_f64 v[119:120], v[119:120], v[121:122], v[119:120]
	v_mul_f64 v[121:122], v[123:124], v[119:120]
	v_fma_f64 v[117:118], -v[117:118], v[121:122], v[123:124]
	v_div_fmas_f64 v[117:118], v[117:118], v[119:120], v[121:122]
	v_div_fixup_f64 v[117:118], v[117:118], v[104:105], v[102:103]
	v_fma_f64 v[102:103], v[102:103], v[117:118], v[104:105]
	v_div_scale_f64 v[104:105], null, v[102:103], v[102:103], 1.0
	v_rcp_f64_e32 v[119:120], v[104:105]
	v_fma_f64 v[121:122], -v[104:105], v[119:120], 1.0
	v_fma_f64 v[119:120], v[119:120], v[121:122], v[119:120]
	v_fma_f64 v[121:122], -v[104:105], v[119:120], 1.0
	v_fma_f64 v[119:120], v[119:120], v[121:122], v[119:120]
	v_div_scale_f64 v[121:122], vcc_lo, 1.0, v[102:103], 1.0
	v_mul_f64 v[123:124], v[121:122], v[119:120]
	v_fma_f64 v[104:105], -v[104:105], v[123:124], v[121:122]
	v_div_fmas_f64 v[104:105], v[104:105], v[119:120], v[123:124]
	v_div_fixup_f64 v[104:105], v[104:105], v[102:103], 1.0
	v_mul_f64 v[102:103], v[117:118], v[104:105]
	v_xor_b32_e32 v105, 0x80000000, v105
.LBB48_175:
	s_andn2_saveexec_b32 s1, s1
	s_cbranch_execz .LBB48_177
; %bb.176:
	v_div_scale_f64 v[117:118], null, v[102:103], v[102:103], v[104:105]
	v_div_scale_f64 v[123:124], vcc_lo, v[104:105], v[102:103], v[104:105]
	v_rcp_f64_e32 v[119:120], v[117:118]
	v_fma_f64 v[121:122], -v[117:118], v[119:120], 1.0
	v_fma_f64 v[119:120], v[119:120], v[121:122], v[119:120]
	v_fma_f64 v[121:122], -v[117:118], v[119:120], 1.0
	v_fma_f64 v[119:120], v[119:120], v[121:122], v[119:120]
	v_mul_f64 v[121:122], v[123:124], v[119:120]
	v_fma_f64 v[117:118], -v[117:118], v[121:122], v[123:124]
	v_div_fmas_f64 v[117:118], v[117:118], v[119:120], v[121:122]
	v_div_fixup_f64 v[117:118], v[117:118], v[102:103], v[104:105]
	v_fma_f64 v[102:103], v[104:105], v[117:118], v[102:103]
	v_div_scale_f64 v[104:105], null, v[102:103], v[102:103], 1.0
	v_rcp_f64_e32 v[119:120], v[104:105]
	v_fma_f64 v[121:122], -v[104:105], v[119:120], 1.0
	v_fma_f64 v[119:120], v[119:120], v[121:122], v[119:120]
	v_fma_f64 v[121:122], -v[104:105], v[119:120], 1.0
	v_fma_f64 v[119:120], v[119:120], v[121:122], v[119:120]
	v_div_scale_f64 v[121:122], vcc_lo, 1.0, v[102:103], 1.0
	v_mul_f64 v[123:124], v[121:122], v[119:120]
	v_fma_f64 v[104:105], -v[104:105], v[123:124], v[121:122]
	v_div_fmas_f64 v[104:105], v[104:105], v[119:120], v[123:124]
	v_div_fixup_f64 v[102:103], v[104:105], v[102:103], 1.0
	v_mul_f64 v[104:105], v[117:118], -v[102:103]
.LBB48_177:
	s_or_b32 exec_lo, exec_lo, s1
.LBB48_178:
	s_or_b32 exec_lo, exec_lo, s0
	s_mov_b32 s0, exec_lo
	v_cmpx_ne_u32_e64 v116, v110
	s_xor_b32 s0, exec_lo, s0
	s_cbranch_execz .LBB48_184
; %bb.179:
	s_mov_b32 s1, exec_lo
	v_cmpx_eq_u32_e32 8, v116
	s_cbranch_execz .LBB48_183
; %bb.180:
	v_cmp_ne_u32_e32 vcc_lo, 8, v110
	s_xor_b32 s2, s16, -1
	s_and_b32 s3, s2, vcc_lo
	s_and_saveexec_b32 s2, s3
	s_cbranch_execz .LBB48_182
; %bb.181:
	v_ashrrev_i32_e32 v111, 31, v110
	v_lshlrev_b64 v[116:117], 2, v[110:111]
	v_add_co_u32 v116, vcc_lo, v108, v116
	v_add_co_ci_u32_e64 v117, null, v109, v117, vcc_lo
	s_clause 0x1
	global_load_dword v0, v[116:117], off
	global_load_dword v111, v[108:109], off offset:32
	s_waitcnt vmcnt(1)
	global_store_dword v[108:109], v0, off offset:32
	s_waitcnt vmcnt(0)
	global_store_dword v[116:117], v111, off
.LBB48_182:
	s_or_b32 exec_lo, exec_lo, s2
	v_mov_b32_e32 v116, v110
	v_mov_b32_e32 v0, v110
.LBB48_183:
	s_or_b32 exec_lo, exec_lo, s1
.LBB48_184:
	s_andn2_saveexec_b32 s0, s0
	s_cbranch_execz .LBB48_186
; %bb.185:
	v_mov_b32_e32 v116, 8
	ds_write2_b64 v1, v[62:63], v[64:65] offset0:18 offset1:19
	ds_write2_b64 v1, v[58:59], v[60:61] offset0:20 offset1:21
	;; [unrolled: 1-line block ×16, first 2 shown]
.LBB48_186:
	s_or_b32 exec_lo, exec_lo, s0
	s_mov_b32 s0, exec_lo
	s_waitcnt lgkmcnt(0)
	s_waitcnt_vscnt null, 0x0
	s_barrier
	buffer_gl0_inv
	v_cmpx_lt_i32_e32 8, v116
	s_cbranch_execz .LBB48_188
; %bb.187:
	v_mul_f64 v[110:111], v[102:103], v[68:69]
	v_mul_f64 v[68:69], v[104:105], v[68:69]
	v_fma_f64 v[110:111], v[104:105], v[66:67], v[110:111]
	v_fma_f64 v[66:67], v[102:103], v[66:67], -v[68:69]
	ds_read2_b64 v[102:105], v1 offset0:18 offset1:19
	s_waitcnt lgkmcnt(0)
	v_mul_f64 v[68:69], v[104:105], v[110:111]
	v_fma_f64 v[68:69], v[102:103], v[66:67], -v[68:69]
	v_mul_f64 v[102:103], v[102:103], v[110:111]
	v_add_f64 v[62:63], v[62:63], -v[68:69]
	v_fma_f64 v[102:103], v[104:105], v[66:67], v[102:103]
	v_add_f64 v[64:65], v[64:65], -v[102:103]
	ds_read2_b64 v[102:105], v1 offset0:20 offset1:21
	s_waitcnt lgkmcnt(0)
	v_mul_f64 v[68:69], v[104:105], v[110:111]
	v_fma_f64 v[68:69], v[102:103], v[66:67], -v[68:69]
	v_mul_f64 v[102:103], v[102:103], v[110:111]
	v_add_f64 v[58:59], v[58:59], -v[68:69]
	v_fma_f64 v[102:103], v[104:105], v[66:67], v[102:103]
	v_add_f64 v[60:61], v[60:61], -v[102:103]
	;; [unrolled: 8-line block ×15, first 2 shown]
	ds_read2_b64 v[102:105], v1 offset0:48 offset1:49
	s_waitcnt lgkmcnt(0)
	v_mul_f64 v[68:69], v[104:105], v[110:111]
	v_fma_f64 v[68:69], v[102:103], v[66:67], -v[68:69]
	v_mul_f64 v[102:103], v[102:103], v[110:111]
	v_add_f64 v[2:3], v[2:3], -v[68:69]
	v_fma_f64 v[102:103], v[104:105], v[66:67], v[102:103]
	v_mov_b32_e32 v68, v110
	v_mov_b32_e32 v69, v111
	v_add_f64 v[4:5], v[4:5], -v[102:103]
.LBB48_188:
	s_or_b32 exec_lo, exec_lo, s0
	v_lshl_add_u32 v102, v116, 4, v1
	s_barrier
	buffer_gl0_inv
	v_mov_b32_e32 v110, 9
	ds_write2_b64 v102, v[62:63], v[64:65] offset1:1
	s_waitcnt lgkmcnt(0)
	s_barrier
	buffer_gl0_inv
	ds_read2_b64 v[102:105], v1 offset0:18 offset1:19
	s_cmp_lt_i32 s18, 11
	s_cbranch_scc1 .LBB48_191
; %bb.189:
	v_add3_u32 v111, v112, 0, 0xa0
	v_mov_b32_e32 v110, 9
	s_mov_b32 s1, 10
	s_inst_prefetch 0x1
	.p2align	6
.LBB48_190:                             ; =>This Inner Loop Header: Depth=1
	s_waitcnt lgkmcnt(0)
	v_cmp_gt_f64_e32 vcc_lo, 0, v[104:105]
	v_cmp_gt_f64_e64 s0, 0, v[102:103]
	ds_read2_b64 v[117:120], v111 offset1:1
	v_xor_b32_e32 v122, 0x80000000, v103
	v_xor_b32_e32 v124, 0x80000000, v105
	v_mov_b32_e32 v121, v102
	v_mov_b32_e32 v123, v104
	v_add_nc_u32_e32 v111, 16, v111
	s_waitcnt lgkmcnt(0)
	v_xor_b32_e32 v126, 0x80000000, v120
	v_cndmask_b32_e64 v122, v103, v122, s0
	v_cndmask_b32_e32 v124, v105, v124, vcc_lo
	v_cmp_gt_f64_e32 vcc_lo, 0, v[119:120]
	v_cmp_gt_f64_e64 s0, 0, v[117:118]
	v_mov_b32_e32 v125, v119
	v_add_f64 v[121:122], v[121:122], v[123:124]
	v_xor_b32_e32 v124, 0x80000000, v118
	v_mov_b32_e32 v123, v117
	v_cndmask_b32_e32 v126, v120, v126, vcc_lo
	v_cndmask_b32_e64 v124, v118, v124, s0
	v_add_f64 v[123:124], v[123:124], v[125:126]
	v_cmp_lt_f64_e32 vcc_lo, v[121:122], v[123:124]
	v_cndmask_b32_e32 v103, v103, v118, vcc_lo
	v_cndmask_b32_e32 v102, v102, v117, vcc_lo
	;; [unrolled: 1-line block ×4, first 2 shown]
	v_cndmask_b32_e64 v110, v110, s1, vcc_lo
	s_add_i32 s1, s1, 1
	s_cmp_lg_u32 s18, s1
	s_cbranch_scc1 .LBB48_190
.LBB48_191:
	s_inst_prefetch 0x2
	s_waitcnt lgkmcnt(0)
	v_cmp_eq_f64_e32 vcc_lo, 0, v[102:103]
	v_cmp_eq_f64_e64 s0, 0, v[104:105]
	s_and_b32 s0, vcc_lo, s0
	s_and_saveexec_b32 s1, s0
	s_xor_b32 s0, exec_lo, s1
; %bb.192:
	v_cmp_ne_u32_e32 vcc_lo, 0, v115
	v_cndmask_b32_e32 v115, 10, v115, vcc_lo
; %bb.193:
	s_andn2_saveexec_b32 s0, s0
	s_cbranch_execz .LBB48_199
; %bb.194:
	v_cmp_ngt_f64_e64 s1, |v[102:103]|, |v[104:105]|
	s_and_saveexec_b32 s2, s1
	s_xor_b32 s1, exec_lo, s2
	s_cbranch_execz .LBB48_196
; %bb.195:
	v_div_scale_f64 v[117:118], null, v[104:105], v[104:105], v[102:103]
	v_div_scale_f64 v[123:124], vcc_lo, v[102:103], v[104:105], v[102:103]
	v_rcp_f64_e32 v[119:120], v[117:118]
	v_fma_f64 v[121:122], -v[117:118], v[119:120], 1.0
	v_fma_f64 v[119:120], v[119:120], v[121:122], v[119:120]
	v_fma_f64 v[121:122], -v[117:118], v[119:120], 1.0
	v_fma_f64 v[119:120], v[119:120], v[121:122], v[119:120]
	v_mul_f64 v[121:122], v[123:124], v[119:120]
	v_fma_f64 v[117:118], -v[117:118], v[121:122], v[123:124]
	v_div_fmas_f64 v[117:118], v[117:118], v[119:120], v[121:122]
	v_div_fixup_f64 v[117:118], v[117:118], v[104:105], v[102:103]
	v_fma_f64 v[102:103], v[102:103], v[117:118], v[104:105]
	v_div_scale_f64 v[104:105], null, v[102:103], v[102:103], 1.0
	v_rcp_f64_e32 v[119:120], v[104:105]
	v_fma_f64 v[121:122], -v[104:105], v[119:120], 1.0
	v_fma_f64 v[119:120], v[119:120], v[121:122], v[119:120]
	v_fma_f64 v[121:122], -v[104:105], v[119:120], 1.0
	v_fma_f64 v[119:120], v[119:120], v[121:122], v[119:120]
	v_div_scale_f64 v[121:122], vcc_lo, 1.0, v[102:103], 1.0
	v_mul_f64 v[123:124], v[121:122], v[119:120]
	v_fma_f64 v[104:105], -v[104:105], v[123:124], v[121:122]
	v_div_fmas_f64 v[104:105], v[104:105], v[119:120], v[123:124]
	v_div_fixup_f64 v[104:105], v[104:105], v[102:103], 1.0
	v_mul_f64 v[102:103], v[117:118], v[104:105]
	v_xor_b32_e32 v105, 0x80000000, v105
.LBB48_196:
	s_andn2_saveexec_b32 s1, s1
	s_cbranch_execz .LBB48_198
; %bb.197:
	v_div_scale_f64 v[117:118], null, v[102:103], v[102:103], v[104:105]
	v_div_scale_f64 v[123:124], vcc_lo, v[104:105], v[102:103], v[104:105]
	v_rcp_f64_e32 v[119:120], v[117:118]
	v_fma_f64 v[121:122], -v[117:118], v[119:120], 1.0
	v_fma_f64 v[119:120], v[119:120], v[121:122], v[119:120]
	v_fma_f64 v[121:122], -v[117:118], v[119:120], 1.0
	v_fma_f64 v[119:120], v[119:120], v[121:122], v[119:120]
	v_mul_f64 v[121:122], v[123:124], v[119:120]
	v_fma_f64 v[117:118], -v[117:118], v[121:122], v[123:124]
	v_div_fmas_f64 v[117:118], v[117:118], v[119:120], v[121:122]
	v_div_fixup_f64 v[117:118], v[117:118], v[102:103], v[104:105]
	v_fma_f64 v[102:103], v[104:105], v[117:118], v[102:103]
	v_div_scale_f64 v[104:105], null, v[102:103], v[102:103], 1.0
	v_rcp_f64_e32 v[119:120], v[104:105]
	v_fma_f64 v[121:122], -v[104:105], v[119:120], 1.0
	v_fma_f64 v[119:120], v[119:120], v[121:122], v[119:120]
	v_fma_f64 v[121:122], -v[104:105], v[119:120], 1.0
	v_fma_f64 v[119:120], v[119:120], v[121:122], v[119:120]
	v_div_scale_f64 v[121:122], vcc_lo, 1.0, v[102:103], 1.0
	v_mul_f64 v[123:124], v[121:122], v[119:120]
	v_fma_f64 v[104:105], -v[104:105], v[123:124], v[121:122]
	v_div_fmas_f64 v[104:105], v[104:105], v[119:120], v[123:124]
	v_div_fixup_f64 v[102:103], v[104:105], v[102:103], 1.0
	v_mul_f64 v[104:105], v[117:118], -v[102:103]
.LBB48_198:
	s_or_b32 exec_lo, exec_lo, s1
.LBB48_199:
	s_or_b32 exec_lo, exec_lo, s0
	s_mov_b32 s0, exec_lo
	v_cmpx_ne_u32_e64 v116, v110
	s_xor_b32 s0, exec_lo, s0
	s_cbranch_execz .LBB48_205
; %bb.200:
	s_mov_b32 s1, exec_lo
	v_cmpx_eq_u32_e32 9, v116
	s_cbranch_execz .LBB48_204
; %bb.201:
	v_cmp_ne_u32_e32 vcc_lo, 9, v110
	s_xor_b32 s2, s16, -1
	s_and_b32 s3, s2, vcc_lo
	s_and_saveexec_b32 s2, s3
	s_cbranch_execz .LBB48_203
; %bb.202:
	v_ashrrev_i32_e32 v111, 31, v110
	v_lshlrev_b64 v[116:117], 2, v[110:111]
	v_add_co_u32 v116, vcc_lo, v108, v116
	v_add_co_ci_u32_e64 v117, null, v109, v117, vcc_lo
	s_clause 0x1
	global_load_dword v0, v[116:117], off
	global_load_dword v111, v[108:109], off offset:36
	s_waitcnt vmcnt(1)
	global_store_dword v[108:109], v0, off offset:36
	s_waitcnt vmcnt(0)
	global_store_dword v[116:117], v111, off
.LBB48_203:
	s_or_b32 exec_lo, exec_lo, s2
	v_mov_b32_e32 v116, v110
	v_mov_b32_e32 v0, v110
.LBB48_204:
	s_or_b32 exec_lo, exec_lo, s1
.LBB48_205:
	s_andn2_saveexec_b32 s0, s0
	s_cbranch_execz .LBB48_207
; %bb.206:
	v_mov_b32_e32 v116, 9
	ds_write2_b64 v1, v[58:59], v[60:61] offset0:20 offset1:21
	ds_write2_b64 v1, v[54:55], v[56:57] offset0:22 offset1:23
	;; [unrolled: 1-line block ×15, first 2 shown]
.LBB48_207:
	s_or_b32 exec_lo, exec_lo, s0
	s_mov_b32 s0, exec_lo
	s_waitcnt lgkmcnt(0)
	s_waitcnt_vscnt null, 0x0
	s_barrier
	buffer_gl0_inv
	v_cmpx_lt_i32_e32 9, v116
	s_cbranch_execz .LBB48_209
; %bb.208:
	v_mul_f64 v[110:111], v[102:103], v[64:65]
	v_mul_f64 v[64:65], v[104:105], v[64:65]
	v_fma_f64 v[110:111], v[104:105], v[62:63], v[110:111]
	v_fma_f64 v[62:63], v[102:103], v[62:63], -v[64:65]
	ds_read2_b64 v[102:105], v1 offset0:20 offset1:21
	s_waitcnt lgkmcnt(0)
	v_mul_f64 v[64:65], v[104:105], v[110:111]
	v_fma_f64 v[64:65], v[102:103], v[62:63], -v[64:65]
	v_mul_f64 v[102:103], v[102:103], v[110:111]
	v_add_f64 v[58:59], v[58:59], -v[64:65]
	v_fma_f64 v[102:103], v[104:105], v[62:63], v[102:103]
	v_add_f64 v[60:61], v[60:61], -v[102:103]
	ds_read2_b64 v[102:105], v1 offset0:22 offset1:23
	s_waitcnt lgkmcnt(0)
	v_mul_f64 v[64:65], v[104:105], v[110:111]
	v_fma_f64 v[64:65], v[102:103], v[62:63], -v[64:65]
	v_mul_f64 v[102:103], v[102:103], v[110:111]
	v_add_f64 v[54:55], v[54:55], -v[64:65]
	v_fma_f64 v[102:103], v[104:105], v[62:63], v[102:103]
	v_add_f64 v[56:57], v[56:57], -v[102:103]
	ds_read2_b64 v[102:105], v1 offset0:24 offset1:25
	s_waitcnt lgkmcnt(0)
	v_mul_f64 v[64:65], v[104:105], v[110:111]
	v_fma_f64 v[64:65], v[102:103], v[62:63], -v[64:65]
	v_mul_f64 v[102:103], v[102:103], v[110:111]
	v_add_f64 v[50:51], v[50:51], -v[64:65]
	v_fma_f64 v[102:103], v[104:105], v[62:63], v[102:103]
	v_add_f64 v[52:53], v[52:53], -v[102:103]
	ds_read2_b64 v[102:105], v1 offset0:26 offset1:27
	s_waitcnt lgkmcnt(0)
	v_mul_f64 v[64:65], v[104:105], v[110:111]
	v_fma_f64 v[64:65], v[102:103], v[62:63], -v[64:65]
	v_mul_f64 v[102:103], v[102:103], v[110:111]
	v_add_f64 v[46:47], v[46:47], -v[64:65]
	v_fma_f64 v[102:103], v[104:105], v[62:63], v[102:103]
	v_add_f64 v[48:49], v[48:49], -v[102:103]
	ds_read2_b64 v[102:105], v1 offset0:28 offset1:29
	s_waitcnt lgkmcnt(0)
	v_mul_f64 v[64:65], v[104:105], v[110:111]
	v_fma_f64 v[64:65], v[102:103], v[62:63], -v[64:65]
	v_mul_f64 v[102:103], v[102:103], v[110:111]
	v_add_f64 v[42:43], v[42:43], -v[64:65]
	v_fma_f64 v[102:103], v[104:105], v[62:63], v[102:103]
	v_add_f64 v[44:45], v[44:45], -v[102:103]
	ds_read2_b64 v[102:105], v1 offset0:30 offset1:31
	s_waitcnt lgkmcnt(0)
	v_mul_f64 v[64:65], v[104:105], v[110:111]
	v_fma_f64 v[64:65], v[102:103], v[62:63], -v[64:65]
	v_mul_f64 v[102:103], v[102:103], v[110:111]
	v_add_f64 v[38:39], v[38:39], -v[64:65]
	v_fma_f64 v[102:103], v[104:105], v[62:63], v[102:103]
	v_add_f64 v[40:41], v[40:41], -v[102:103]
	ds_read2_b64 v[102:105], v1 offset0:32 offset1:33
	s_waitcnt lgkmcnt(0)
	v_mul_f64 v[64:65], v[104:105], v[110:111]
	v_fma_f64 v[64:65], v[102:103], v[62:63], -v[64:65]
	v_mul_f64 v[102:103], v[102:103], v[110:111]
	v_add_f64 v[34:35], v[34:35], -v[64:65]
	v_fma_f64 v[102:103], v[104:105], v[62:63], v[102:103]
	v_add_f64 v[36:37], v[36:37], -v[102:103]
	ds_read2_b64 v[102:105], v1 offset0:34 offset1:35
	s_waitcnt lgkmcnt(0)
	v_mul_f64 v[64:65], v[104:105], v[110:111]
	v_fma_f64 v[64:65], v[102:103], v[62:63], -v[64:65]
	v_mul_f64 v[102:103], v[102:103], v[110:111]
	v_add_f64 v[30:31], v[30:31], -v[64:65]
	v_fma_f64 v[102:103], v[104:105], v[62:63], v[102:103]
	v_add_f64 v[32:33], v[32:33], -v[102:103]
	ds_read2_b64 v[102:105], v1 offset0:36 offset1:37
	s_waitcnt lgkmcnt(0)
	v_mul_f64 v[64:65], v[104:105], v[110:111]
	v_fma_f64 v[64:65], v[102:103], v[62:63], -v[64:65]
	v_mul_f64 v[102:103], v[102:103], v[110:111]
	v_add_f64 v[26:27], v[26:27], -v[64:65]
	v_fma_f64 v[102:103], v[104:105], v[62:63], v[102:103]
	v_add_f64 v[28:29], v[28:29], -v[102:103]
	ds_read2_b64 v[102:105], v1 offset0:38 offset1:39
	s_waitcnt lgkmcnt(0)
	v_mul_f64 v[64:65], v[104:105], v[110:111]
	v_fma_f64 v[64:65], v[102:103], v[62:63], -v[64:65]
	v_mul_f64 v[102:103], v[102:103], v[110:111]
	v_add_f64 v[22:23], v[22:23], -v[64:65]
	v_fma_f64 v[102:103], v[104:105], v[62:63], v[102:103]
	v_add_f64 v[24:25], v[24:25], -v[102:103]
	ds_read2_b64 v[102:105], v1 offset0:40 offset1:41
	s_waitcnt lgkmcnt(0)
	v_mul_f64 v[64:65], v[104:105], v[110:111]
	v_fma_f64 v[64:65], v[102:103], v[62:63], -v[64:65]
	v_mul_f64 v[102:103], v[102:103], v[110:111]
	v_add_f64 v[18:19], v[18:19], -v[64:65]
	v_fma_f64 v[102:103], v[104:105], v[62:63], v[102:103]
	v_add_f64 v[20:21], v[20:21], -v[102:103]
	ds_read2_b64 v[102:105], v1 offset0:42 offset1:43
	s_waitcnt lgkmcnt(0)
	v_mul_f64 v[64:65], v[104:105], v[110:111]
	v_fma_f64 v[64:65], v[102:103], v[62:63], -v[64:65]
	v_mul_f64 v[102:103], v[102:103], v[110:111]
	v_add_f64 v[14:15], v[14:15], -v[64:65]
	v_fma_f64 v[102:103], v[104:105], v[62:63], v[102:103]
	v_add_f64 v[16:17], v[16:17], -v[102:103]
	ds_read2_b64 v[102:105], v1 offset0:44 offset1:45
	s_waitcnt lgkmcnt(0)
	v_mul_f64 v[64:65], v[104:105], v[110:111]
	v_fma_f64 v[64:65], v[102:103], v[62:63], -v[64:65]
	v_mul_f64 v[102:103], v[102:103], v[110:111]
	v_add_f64 v[10:11], v[10:11], -v[64:65]
	v_fma_f64 v[102:103], v[104:105], v[62:63], v[102:103]
	v_add_f64 v[12:13], v[12:13], -v[102:103]
	ds_read2_b64 v[102:105], v1 offset0:46 offset1:47
	s_waitcnt lgkmcnt(0)
	v_mul_f64 v[64:65], v[104:105], v[110:111]
	v_fma_f64 v[64:65], v[102:103], v[62:63], -v[64:65]
	v_mul_f64 v[102:103], v[102:103], v[110:111]
	v_add_f64 v[6:7], v[6:7], -v[64:65]
	v_fma_f64 v[102:103], v[104:105], v[62:63], v[102:103]
	v_add_f64 v[8:9], v[8:9], -v[102:103]
	ds_read2_b64 v[102:105], v1 offset0:48 offset1:49
	s_waitcnt lgkmcnt(0)
	v_mul_f64 v[64:65], v[104:105], v[110:111]
	v_fma_f64 v[64:65], v[102:103], v[62:63], -v[64:65]
	v_mul_f64 v[102:103], v[102:103], v[110:111]
	v_add_f64 v[2:3], v[2:3], -v[64:65]
	v_fma_f64 v[102:103], v[104:105], v[62:63], v[102:103]
	v_mov_b32_e32 v64, v110
	v_mov_b32_e32 v65, v111
	v_add_f64 v[4:5], v[4:5], -v[102:103]
.LBB48_209:
	s_or_b32 exec_lo, exec_lo, s0
	v_lshl_add_u32 v102, v116, 4, v1
	s_barrier
	buffer_gl0_inv
	v_mov_b32_e32 v110, 10
	ds_write2_b64 v102, v[58:59], v[60:61] offset1:1
	s_waitcnt lgkmcnt(0)
	s_barrier
	buffer_gl0_inv
	ds_read2_b64 v[102:105], v1 offset0:20 offset1:21
	s_cmp_lt_i32 s18, 12
	s_cbranch_scc1 .LBB48_212
; %bb.210:
	v_add3_u32 v111, v112, 0, 0xb0
	v_mov_b32_e32 v110, 10
	s_mov_b32 s1, 11
	s_inst_prefetch 0x1
	.p2align	6
.LBB48_211:                             ; =>This Inner Loop Header: Depth=1
	s_waitcnt lgkmcnt(0)
	v_cmp_gt_f64_e32 vcc_lo, 0, v[104:105]
	v_cmp_gt_f64_e64 s0, 0, v[102:103]
	ds_read2_b64 v[117:120], v111 offset1:1
	v_xor_b32_e32 v122, 0x80000000, v103
	v_xor_b32_e32 v124, 0x80000000, v105
	v_mov_b32_e32 v121, v102
	v_mov_b32_e32 v123, v104
	v_add_nc_u32_e32 v111, 16, v111
	s_waitcnt lgkmcnt(0)
	v_xor_b32_e32 v126, 0x80000000, v120
	v_cndmask_b32_e64 v122, v103, v122, s0
	v_cndmask_b32_e32 v124, v105, v124, vcc_lo
	v_cmp_gt_f64_e32 vcc_lo, 0, v[119:120]
	v_cmp_gt_f64_e64 s0, 0, v[117:118]
	v_mov_b32_e32 v125, v119
	v_add_f64 v[121:122], v[121:122], v[123:124]
	v_xor_b32_e32 v124, 0x80000000, v118
	v_mov_b32_e32 v123, v117
	v_cndmask_b32_e32 v126, v120, v126, vcc_lo
	v_cndmask_b32_e64 v124, v118, v124, s0
	v_add_f64 v[123:124], v[123:124], v[125:126]
	v_cmp_lt_f64_e32 vcc_lo, v[121:122], v[123:124]
	v_cndmask_b32_e32 v103, v103, v118, vcc_lo
	v_cndmask_b32_e32 v102, v102, v117, vcc_lo
	;; [unrolled: 1-line block ×4, first 2 shown]
	v_cndmask_b32_e64 v110, v110, s1, vcc_lo
	s_add_i32 s1, s1, 1
	s_cmp_lg_u32 s18, s1
	s_cbranch_scc1 .LBB48_211
.LBB48_212:
	s_inst_prefetch 0x2
	s_waitcnt lgkmcnt(0)
	v_cmp_eq_f64_e32 vcc_lo, 0, v[102:103]
	v_cmp_eq_f64_e64 s0, 0, v[104:105]
	s_and_b32 s0, vcc_lo, s0
	s_and_saveexec_b32 s1, s0
	s_xor_b32 s0, exec_lo, s1
; %bb.213:
	v_cmp_ne_u32_e32 vcc_lo, 0, v115
	v_cndmask_b32_e32 v115, 11, v115, vcc_lo
; %bb.214:
	s_andn2_saveexec_b32 s0, s0
	s_cbranch_execz .LBB48_220
; %bb.215:
	v_cmp_ngt_f64_e64 s1, |v[102:103]|, |v[104:105]|
	s_and_saveexec_b32 s2, s1
	s_xor_b32 s1, exec_lo, s2
	s_cbranch_execz .LBB48_217
; %bb.216:
	v_div_scale_f64 v[117:118], null, v[104:105], v[104:105], v[102:103]
	v_div_scale_f64 v[123:124], vcc_lo, v[102:103], v[104:105], v[102:103]
	v_rcp_f64_e32 v[119:120], v[117:118]
	v_fma_f64 v[121:122], -v[117:118], v[119:120], 1.0
	v_fma_f64 v[119:120], v[119:120], v[121:122], v[119:120]
	v_fma_f64 v[121:122], -v[117:118], v[119:120], 1.0
	v_fma_f64 v[119:120], v[119:120], v[121:122], v[119:120]
	v_mul_f64 v[121:122], v[123:124], v[119:120]
	v_fma_f64 v[117:118], -v[117:118], v[121:122], v[123:124]
	v_div_fmas_f64 v[117:118], v[117:118], v[119:120], v[121:122]
	v_div_fixup_f64 v[117:118], v[117:118], v[104:105], v[102:103]
	v_fma_f64 v[102:103], v[102:103], v[117:118], v[104:105]
	v_div_scale_f64 v[104:105], null, v[102:103], v[102:103], 1.0
	v_rcp_f64_e32 v[119:120], v[104:105]
	v_fma_f64 v[121:122], -v[104:105], v[119:120], 1.0
	v_fma_f64 v[119:120], v[119:120], v[121:122], v[119:120]
	v_fma_f64 v[121:122], -v[104:105], v[119:120], 1.0
	v_fma_f64 v[119:120], v[119:120], v[121:122], v[119:120]
	v_div_scale_f64 v[121:122], vcc_lo, 1.0, v[102:103], 1.0
	v_mul_f64 v[123:124], v[121:122], v[119:120]
	v_fma_f64 v[104:105], -v[104:105], v[123:124], v[121:122]
	v_div_fmas_f64 v[104:105], v[104:105], v[119:120], v[123:124]
	v_div_fixup_f64 v[104:105], v[104:105], v[102:103], 1.0
	v_mul_f64 v[102:103], v[117:118], v[104:105]
	v_xor_b32_e32 v105, 0x80000000, v105
.LBB48_217:
	s_andn2_saveexec_b32 s1, s1
	s_cbranch_execz .LBB48_219
; %bb.218:
	v_div_scale_f64 v[117:118], null, v[102:103], v[102:103], v[104:105]
	v_div_scale_f64 v[123:124], vcc_lo, v[104:105], v[102:103], v[104:105]
	v_rcp_f64_e32 v[119:120], v[117:118]
	v_fma_f64 v[121:122], -v[117:118], v[119:120], 1.0
	v_fma_f64 v[119:120], v[119:120], v[121:122], v[119:120]
	v_fma_f64 v[121:122], -v[117:118], v[119:120], 1.0
	v_fma_f64 v[119:120], v[119:120], v[121:122], v[119:120]
	v_mul_f64 v[121:122], v[123:124], v[119:120]
	v_fma_f64 v[117:118], -v[117:118], v[121:122], v[123:124]
	v_div_fmas_f64 v[117:118], v[117:118], v[119:120], v[121:122]
	v_div_fixup_f64 v[117:118], v[117:118], v[102:103], v[104:105]
	v_fma_f64 v[102:103], v[104:105], v[117:118], v[102:103]
	v_div_scale_f64 v[104:105], null, v[102:103], v[102:103], 1.0
	v_rcp_f64_e32 v[119:120], v[104:105]
	v_fma_f64 v[121:122], -v[104:105], v[119:120], 1.0
	v_fma_f64 v[119:120], v[119:120], v[121:122], v[119:120]
	v_fma_f64 v[121:122], -v[104:105], v[119:120], 1.0
	v_fma_f64 v[119:120], v[119:120], v[121:122], v[119:120]
	v_div_scale_f64 v[121:122], vcc_lo, 1.0, v[102:103], 1.0
	v_mul_f64 v[123:124], v[121:122], v[119:120]
	v_fma_f64 v[104:105], -v[104:105], v[123:124], v[121:122]
	v_div_fmas_f64 v[104:105], v[104:105], v[119:120], v[123:124]
	v_div_fixup_f64 v[102:103], v[104:105], v[102:103], 1.0
	v_mul_f64 v[104:105], v[117:118], -v[102:103]
.LBB48_219:
	s_or_b32 exec_lo, exec_lo, s1
.LBB48_220:
	s_or_b32 exec_lo, exec_lo, s0
	s_mov_b32 s0, exec_lo
	v_cmpx_ne_u32_e64 v116, v110
	s_xor_b32 s0, exec_lo, s0
	s_cbranch_execz .LBB48_226
; %bb.221:
	s_mov_b32 s1, exec_lo
	v_cmpx_eq_u32_e32 10, v116
	s_cbranch_execz .LBB48_225
; %bb.222:
	v_cmp_ne_u32_e32 vcc_lo, 10, v110
	s_xor_b32 s2, s16, -1
	s_and_b32 s3, s2, vcc_lo
	s_and_saveexec_b32 s2, s3
	s_cbranch_execz .LBB48_224
; %bb.223:
	v_ashrrev_i32_e32 v111, 31, v110
	v_lshlrev_b64 v[116:117], 2, v[110:111]
	v_add_co_u32 v116, vcc_lo, v108, v116
	v_add_co_ci_u32_e64 v117, null, v109, v117, vcc_lo
	s_clause 0x1
	global_load_dword v0, v[116:117], off
	global_load_dword v111, v[108:109], off offset:40
	s_waitcnt vmcnt(1)
	global_store_dword v[108:109], v0, off offset:40
	s_waitcnt vmcnt(0)
	global_store_dword v[116:117], v111, off
.LBB48_224:
	s_or_b32 exec_lo, exec_lo, s2
	v_mov_b32_e32 v116, v110
	v_mov_b32_e32 v0, v110
.LBB48_225:
	s_or_b32 exec_lo, exec_lo, s1
.LBB48_226:
	s_andn2_saveexec_b32 s0, s0
	s_cbranch_execz .LBB48_228
; %bb.227:
	v_mov_b32_e32 v116, 10
	ds_write2_b64 v1, v[54:55], v[56:57] offset0:22 offset1:23
	ds_write2_b64 v1, v[50:51], v[52:53] offset0:24 offset1:25
	;; [unrolled: 1-line block ×14, first 2 shown]
.LBB48_228:
	s_or_b32 exec_lo, exec_lo, s0
	s_mov_b32 s0, exec_lo
	s_waitcnt lgkmcnt(0)
	s_waitcnt_vscnt null, 0x0
	s_barrier
	buffer_gl0_inv
	v_cmpx_lt_i32_e32 10, v116
	s_cbranch_execz .LBB48_230
; %bb.229:
	v_mul_f64 v[110:111], v[102:103], v[60:61]
	v_mul_f64 v[60:61], v[104:105], v[60:61]
	v_fma_f64 v[110:111], v[104:105], v[58:59], v[110:111]
	v_fma_f64 v[58:59], v[102:103], v[58:59], -v[60:61]
	ds_read2_b64 v[102:105], v1 offset0:22 offset1:23
	s_waitcnt lgkmcnt(0)
	v_mul_f64 v[60:61], v[104:105], v[110:111]
	v_fma_f64 v[60:61], v[102:103], v[58:59], -v[60:61]
	v_mul_f64 v[102:103], v[102:103], v[110:111]
	v_add_f64 v[54:55], v[54:55], -v[60:61]
	v_fma_f64 v[102:103], v[104:105], v[58:59], v[102:103]
	v_add_f64 v[56:57], v[56:57], -v[102:103]
	ds_read2_b64 v[102:105], v1 offset0:24 offset1:25
	s_waitcnt lgkmcnt(0)
	v_mul_f64 v[60:61], v[104:105], v[110:111]
	v_fma_f64 v[60:61], v[102:103], v[58:59], -v[60:61]
	v_mul_f64 v[102:103], v[102:103], v[110:111]
	v_add_f64 v[50:51], v[50:51], -v[60:61]
	v_fma_f64 v[102:103], v[104:105], v[58:59], v[102:103]
	v_add_f64 v[52:53], v[52:53], -v[102:103]
	;; [unrolled: 8-line block ×13, first 2 shown]
	ds_read2_b64 v[102:105], v1 offset0:48 offset1:49
	s_waitcnt lgkmcnt(0)
	v_mul_f64 v[60:61], v[104:105], v[110:111]
	v_fma_f64 v[60:61], v[102:103], v[58:59], -v[60:61]
	v_mul_f64 v[102:103], v[102:103], v[110:111]
	v_add_f64 v[2:3], v[2:3], -v[60:61]
	v_fma_f64 v[102:103], v[104:105], v[58:59], v[102:103]
	v_mov_b32_e32 v60, v110
	v_mov_b32_e32 v61, v111
	v_add_f64 v[4:5], v[4:5], -v[102:103]
.LBB48_230:
	s_or_b32 exec_lo, exec_lo, s0
	v_lshl_add_u32 v102, v116, 4, v1
	s_barrier
	buffer_gl0_inv
	v_mov_b32_e32 v110, 11
	ds_write2_b64 v102, v[54:55], v[56:57] offset1:1
	s_waitcnt lgkmcnt(0)
	s_barrier
	buffer_gl0_inv
	ds_read2_b64 v[102:105], v1 offset0:22 offset1:23
	s_cmp_lt_i32 s18, 13
	s_cbranch_scc1 .LBB48_233
; %bb.231:
	v_add3_u32 v111, v112, 0, 0xc0
	v_mov_b32_e32 v110, 11
	s_mov_b32 s1, 12
	s_inst_prefetch 0x1
	.p2align	6
.LBB48_232:                             ; =>This Inner Loop Header: Depth=1
	s_waitcnt lgkmcnt(0)
	v_cmp_gt_f64_e32 vcc_lo, 0, v[104:105]
	v_cmp_gt_f64_e64 s0, 0, v[102:103]
	ds_read2_b64 v[117:120], v111 offset1:1
	v_xor_b32_e32 v122, 0x80000000, v103
	v_xor_b32_e32 v124, 0x80000000, v105
	v_mov_b32_e32 v121, v102
	v_mov_b32_e32 v123, v104
	v_add_nc_u32_e32 v111, 16, v111
	s_waitcnt lgkmcnt(0)
	v_xor_b32_e32 v126, 0x80000000, v120
	v_cndmask_b32_e64 v122, v103, v122, s0
	v_cndmask_b32_e32 v124, v105, v124, vcc_lo
	v_cmp_gt_f64_e32 vcc_lo, 0, v[119:120]
	v_cmp_gt_f64_e64 s0, 0, v[117:118]
	v_mov_b32_e32 v125, v119
	v_add_f64 v[121:122], v[121:122], v[123:124]
	v_xor_b32_e32 v124, 0x80000000, v118
	v_mov_b32_e32 v123, v117
	v_cndmask_b32_e32 v126, v120, v126, vcc_lo
	v_cndmask_b32_e64 v124, v118, v124, s0
	v_add_f64 v[123:124], v[123:124], v[125:126]
	v_cmp_lt_f64_e32 vcc_lo, v[121:122], v[123:124]
	v_cndmask_b32_e32 v103, v103, v118, vcc_lo
	v_cndmask_b32_e32 v102, v102, v117, vcc_lo
	;; [unrolled: 1-line block ×4, first 2 shown]
	v_cndmask_b32_e64 v110, v110, s1, vcc_lo
	s_add_i32 s1, s1, 1
	s_cmp_lg_u32 s18, s1
	s_cbranch_scc1 .LBB48_232
.LBB48_233:
	s_inst_prefetch 0x2
	s_waitcnt lgkmcnt(0)
	v_cmp_eq_f64_e32 vcc_lo, 0, v[102:103]
	v_cmp_eq_f64_e64 s0, 0, v[104:105]
	s_and_b32 s0, vcc_lo, s0
	s_and_saveexec_b32 s1, s0
	s_xor_b32 s0, exec_lo, s1
; %bb.234:
	v_cmp_ne_u32_e32 vcc_lo, 0, v115
	v_cndmask_b32_e32 v115, 12, v115, vcc_lo
; %bb.235:
	s_andn2_saveexec_b32 s0, s0
	s_cbranch_execz .LBB48_241
; %bb.236:
	v_cmp_ngt_f64_e64 s1, |v[102:103]|, |v[104:105]|
	s_and_saveexec_b32 s2, s1
	s_xor_b32 s1, exec_lo, s2
	s_cbranch_execz .LBB48_238
; %bb.237:
	v_div_scale_f64 v[117:118], null, v[104:105], v[104:105], v[102:103]
	v_div_scale_f64 v[123:124], vcc_lo, v[102:103], v[104:105], v[102:103]
	v_rcp_f64_e32 v[119:120], v[117:118]
	v_fma_f64 v[121:122], -v[117:118], v[119:120], 1.0
	v_fma_f64 v[119:120], v[119:120], v[121:122], v[119:120]
	v_fma_f64 v[121:122], -v[117:118], v[119:120], 1.0
	v_fma_f64 v[119:120], v[119:120], v[121:122], v[119:120]
	v_mul_f64 v[121:122], v[123:124], v[119:120]
	v_fma_f64 v[117:118], -v[117:118], v[121:122], v[123:124]
	v_div_fmas_f64 v[117:118], v[117:118], v[119:120], v[121:122]
	v_div_fixup_f64 v[117:118], v[117:118], v[104:105], v[102:103]
	v_fma_f64 v[102:103], v[102:103], v[117:118], v[104:105]
	v_div_scale_f64 v[104:105], null, v[102:103], v[102:103], 1.0
	v_rcp_f64_e32 v[119:120], v[104:105]
	v_fma_f64 v[121:122], -v[104:105], v[119:120], 1.0
	v_fma_f64 v[119:120], v[119:120], v[121:122], v[119:120]
	v_fma_f64 v[121:122], -v[104:105], v[119:120], 1.0
	v_fma_f64 v[119:120], v[119:120], v[121:122], v[119:120]
	v_div_scale_f64 v[121:122], vcc_lo, 1.0, v[102:103], 1.0
	v_mul_f64 v[123:124], v[121:122], v[119:120]
	v_fma_f64 v[104:105], -v[104:105], v[123:124], v[121:122]
	v_div_fmas_f64 v[104:105], v[104:105], v[119:120], v[123:124]
	v_div_fixup_f64 v[104:105], v[104:105], v[102:103], 1.0
	v_mul_f64 v[102:103], v[117:118], v[104:105]
	v_xor_b32_e32 v105, 0x80000000, v105
.LBB48_238:
	s_andn2_saveexec_b32 s1, s1
	s_cbranch_execz .LBB48_240
; %bb.239:
	v_div_scale_f64 v[117:118], null, v[102:103], v[102:103], v[104:105]
	v_div_scale_f64 v[123:124], vcc_lo, v[104:105], v[102:103], v[104:105]
	v_rcp_f64_e32 v[119:120], v[117:118]
	v_fma_f64 v[121:122], -v[117:118], v[119:120], 1.0
	v_fma_f64 v[119:120], v[119:120], v[121:122], v[119:120]
	v_fma_f64 v[121:122], -v[117:118], v[119:120], 1.0
	v_fma_f64 v[119:120], v[119:120], v[121:122], v[119:120]
	v_mul_f64 v[121:122], v[123:124], v[119:120]
	v_fma_f64 v[117:118], -v[117:118], v[121:122], v[123:124]
	v_div_fmas_f64 v[117:118], v[117:118], v[119:120], v[121:122]
	v_div_fixup_f64 v[117:118], v[117:118], v[102:103], v[104:105]
	v_fma_f64 v[102:103], v[104:105], v[117:118], v[102:103]
	v_div_scale_f64 v[104:105], null, v[102:103], v[102:103], 1.0
	v_rcp_f64_e32 v[119:120], v[104:105]
	v_fma_f64 v[121:122], -v[104:105], v[119:120], 1.0
	v_fma_f64 v[119:120], v[119:120], v[121:122], v[119:120]
	v_fma_f64 v[121:122], -v[104:105], v[119:120], 1.0
	v_fma_f64 v[119:120], v[119:120], v[121:122], v[119:120]
	v_div_scale_f64 v[121:122], vcc_lo, 1.0, v[102:103], 1.0
	v_mul_f64 v[123:124], v[121:122], v[119:120]
	v_fma_f64 v[104:105], -v[104:105], v[123:124], v[121:122]
	v_div_fmas_f64 v[104:105], v[104:105], v[119:120], v[123:124]
	v_div_fixup_f64 v[102:103], v[104:105], v[102:103], 1.0
	v_mul_f64 v[104:105], v[117:118], -v[102:103]
.LBB48_240:
	s_or_b32 exec_lo, exec_lo, s1
.LBB48_241:
	s_or_b32 exec_lo, exec_lo, s0
	s_mov_b32 s0, exec_lo
	v_cmpx_ne_u32_e64 v116, v110
	s_xor_b32 s0, exec_lo, s0
	s_cbranch_execz .LBB48_247
; %bb.242:
	s_mov_b32 s1, exec_lo
	v_cmpx_eq_u32_e32 11, v116
	s_cbranch_execz .LBB48_246
; %bb.243:
	v_cmp_ne_u32_e32 vcc_lo, 11, v110
	s_xor_b32 s2, s16, -1
	s_and_b32 s3, s2, vcc_lo
	s_and_saveexec_b32 s2, s3
	s_cbranch_execz .LBB48_245
; %bb.244:
	v_ashrrev_i32_e32 v111, 31, v110
	v_lshlrev_b64 v[116:117], 2, v[110:111]
	v_add_co_u32 v116, vcc_lo, v108, v116
	v_add_co_ci_u32_e64 v117, null, v109, v117, vcc_lo
	s_clause 0x1
	global_load_dword v0, v[116:117], off
	global_load_dword v111, v[108:109], off offset:44
	s_waitcnt vmcnt(1)
	global_store_dword v[108:109], v0, off offset:44
	s_waitcnt vmcnt(0)
	global_store_dword v[116:117], v111, off
.LBB48_245:
	s_or_b32 exec_lo, exec_lo, s2
	v_mov_b32_e32 v116, v110
	v_mov_b32_e32 v0, v110
.LBB48_246:
	s_or_b32 exec_lo, exec_lo, s1
.LBB48_247:
	s_andn2_saveexec_b32 s0, s0
	s_cbranch_execz .LBB48_249
; %bb.248:
	v_mov_b32_e32 v116, 11
	ds_write2_b64 v1, v[50:51], v[52:53] offset0:24 offset1:25
	ds_write2_b64 v1, v[46:47], v[48:49] offset0:26 offset1:27
	;; [unrolled: 1-line block ×13, first 2 shown]
.LBB48_249:
	s_or_b32 exec_lo, exec_lo, s0
	s_mov_b32 s0, exec_lo
	s_waitcnt lgkmcnt(0)
	s_waitcnt_vscnt null, 0x0
	s_barrier
	buffer_gl0_inv
	v_cmpx_lt_i32_e32 11, v116
	s_cbranch_execz .LBB48_251
; %bb.250:
	v_mul_f64 v[110:111], v[102:103], v[56:57]
	v_mul_f64 v[56:57], v[104:105], v[56:57]
	v_fma_f64 v[110:111], v[104:105], v[54:55], v[110:111]
	v_fma_f64 v[54:55], v[102:103], v[54:55], -v[56:57]
	ds_read2_b64 v[102:105], v1 offset0:24 offset1:25
	s_waitcnt lgkmcnt(0)
	v_mul_f64 v[56:57], v[104:105], v[110:111]
	v_fma_f64 v[56:57], v[102:103], v[54:55], -v[56:57]
	v_mul_f64 v[102:103], v[102:103], v[110:111]
	v_add_f64 v[50:51], v[50:51], -v[56:57]
	v_fma_f64 v[102:103], v[104:105], v[54:55], v[102:103]
	v_add_f64 v[52:53], v[52:53], -v[102:103]
	ds_read2_b64 v[102:105], v1 offset0:26 offset1:27
	s_waitcnt lgkmcnt(0)
	v_mul_f64 v[56:57], v[104:105], v[110:111]
	v_fma_f64 v[56:57], v[102:103], v[54:55], -v[56:57]
	v_mul_f64 v[102:103], v[102:103], v[110:111]
	v_add_f64 v[46:47], v[46:47], -v[56:57]
	v_fma_f64 v[102:103], v[104:105], v[54:55], v[102:103]
	v_add_f64 v[48:49], v[48:49], -v[102:103]
	;; [unrolled: 8-line block ×12, first 2 shown]
	ds_read2_b64 v[102:105], v1 offset0:48 offset1:49
	s_waitcnt lgkmcnt(0)
	v_mul_f64 v[56:57], v[104:105], v[110:111]
	v_fma_f64 v[56:57], v[102:103], v[54:55], -v[56:57]
	v_mul_f64 v[102:103], v[102:103], v[110:111]
	v_add_f64 v[2:3], v[2:3], -v[56:57]
	v_fma_f64 v[102:103], v[104:105], v[54:55], v[102:103]
	v_mov_b32_e32 v56, v110
	v_mov_b32_e32 v57, v111
	v_add_f64 v[4:5], v[4:5], -v[102:103]
.LBB48_251:
	s_or_b32 exec_lo, exec_lo, s0
	v_lshl_add_u32 v102, v116, 4, v1
	s_barrier
	buffer_gl0_inv
	v_mov_b32_e32 v110, 12
	ds_write2_b64 v102, v[50:51], v[52:53] offset1:1
	s_waitcnt lgkmcnt(0)
	s_barrier
	buffer_gl0_inv
	ds_read2_b64 v[102:105], v1 offset0:24 offset1:25
	s_cmp_lt_i32 s18, 14
	s_cbranch_scc1 .LBB48_254
; %bb.252:
	v_add3_u32 v111, v112, 0, 0xd0
	v_mov_b32_e32 v110, 12
	s_mov_b32 s1, 13
	s_inst_prefetch 0x1
	.p2align	6
.LBB48_253:                             ; =>This Inner Loop Header: Depth=1
	s_waitcnt lgkmcnt(0)
	v_cmp_gt_f64_e32 vcc_lo, 0, v[104:105]
	v_cmp_gt_f64_e64 s0, 0, v[102:103]
	ds_read2_b64 v[117:120], v111 offset1:1
	v_xor_b32_e32 v122, 0x80000000, v103
	v_xor_b32_e32 v124, 0x80000000, v105
	v_mov_b32_e32 v121, v102
	v_mov_b32_e32 v123, v104
	v_add_nc_u32_e32 v111, 16, v111
	s_waitcnt lgkmcnt(0)
	v_xor_b32_e32 v126, 0x80000000, v120
	v_cndmask_b32_e64 v122, v103, v122, s0
	v_cndmask_b32_e32 v124, v105, v124, vcc_lo
	v_cmp_gt_f64_e32 vcc_lo, 0, v[119:120]
	v_cmp_gt_f64_e64 s0, 0, v[117:118]
	v_mov_b32_e32 v125, v119
	v_add_f64 v[121:122], v[121:122], v[123:124]
	v_xor_b32_e32 v124, 0x80000000, v118
	v_mov_b32_e32 v123, v117
	v_cndmask_b32_e32 v126, v120, v126, vcc_lo
	v_cndmask_b32_e64 v124, v118, v124, s0
	v_add_f64 v[123:124], v[123:124], v[125:126]
	v_cmp_lt_f64_e32 vcc_lo, v[121:122], v[123:124]
	v_cndmask_b32_e32 v103, v103, v118, vcc_lo
	v_cndmask_b32_e32 v102, v102, v117, vcc_lo
	;; [unrolled: 1-line block ×4, first 2 shown]
	v_cndmask_b32_e64 v110, v110, s1, vcc_lo
	s_add_i32 s1, s1, 1
	s_cmp_lg_u32 s18, s1
	s_cbranch_scc1 .LBB48_253
.LBB48_254:
	s_inst_prefetch 0x2
	s_waitcnt lgkmcnt(0)
	v_cmp_eq_f64_e32 vcc_lo, 0, v[102:103]
	v_cmp_eq_f64_e64 s0, 0, v[104:105]
	s_and_b32 s0, vcc_lo, s0
	s_and_saveexec_b32 s1, s0
	s_xor_b32 s0, exec_lo, s1
; %bb.255:
	v_cmp_ne_u32_e32 vcc_lo, 0, v115
	v_cndmask_b32_e32 v115, 13, v115, vcc_lo
; %bb.256:
	s_andn2_saveexec_b32 s0, s0
	s_cbranch_execz .LBB48_262
; %bb.257:
	v_cmp_ngt_f64_e64 s1, |v[102:103]|, |v[104:105]|
	s_and_saveexec_b32 s2, s1
	s_xor_b32 s1, exec_lo, s2
	s_cbranch_execz .LBB48_259
; %bb.258:
	v_div_scale_f64 v[117:118], null, v[104:105], v[104:105], v[102:103]
	v_div_scale_f64 v[123:124], vcc_lo, v[102:103], v[104:105], v[102:103]
	v_rcp_f64_e32 v[119:120], v[117:118]
	v_fma_f64 v[121:122], -v[117:118], v[119:120], 1.0
	v_fma_f64 v[119:120], v[119:120], v[121:122], v[119:120]
	v_fma_f64 v[121:122], -v[117:118], v[119:120], 1.0
	v_fma_f64 v[119:120], v[119:120], v[121:122], v[119:120]
	v_mul_f64 v[121:122], v[123:124], v[119:120]
	v_fma_f64 v[117:118], -v[117:118], v[121:122], v[123:124]
	v_div_fmas_f64 v[117:118], v[117:118], v[119:120], v[121:122]
	v_div_fixup_f64 v[117:118], v[117:118], v[104:105], v[102:103]
	v_fma_f64 v[102:103], v[102:103], v[117:118], v[104:105]
	v_div_scale_f64 v[104:105], null, v[102:103], v[102:103], 1.0
	v_rcp_f64_e32 v[119:120], v[104:105]
	v_fma_f64 v[121:122], -v[104:105], v[119:120], 1.0
	v_fma_f64 v[119:120], v[119:120], v[121:122], v[119:120]
	v_fma_f64 v[121:122], -v[104:105], v[119:120], 1.0
	v_fma_f64 v[119:120], v[119:120], v[121:122], v[119:120]
	v_div_scale_f64 v[121:122], vcc_lo, 1.0, v[102:103], 1.0
	v_mul_f64 v[123:124], v[121:122], v[119:120]
	v_fma_f64 v[104:105], -v[104:105], v[123:124], v[121:122]
	v_div_fmas_f64 v[104:105], v[104:105], v[119:120], v[123:124]
	v_div_fixup_f64 v[104:105], v[104:105], v[102:103], 1.0
	v_mul_f64 v[102:103], v[117:118], v[104:105]
	v_xor_b32_e32 v105, 0x80000000, v105
.LBB48_259:
	s_andn2_saveexec_b32 s1, s1
	s_cbranch_execz .LBB48_261
; %bb.260:
	v_div_scale_f64 v[117:118], null, v[102:103], v[102:103], v[104:105]
	v_div_scale_f64 v[123:124], vcc_lo, v[104:105], v[102:103], v[104:105]
	v_rcp_f64_e32 v[119:120], v[117:118]
	v_fma_f64 v[121:122], -v[117:118], v[119:120], 1.0
	v_fma_f64 v[119:120], v[119:120], v[121:122], v[119:120]
	v_fma_f64 v[121:122], -v[117:118], v[119:120], 1.0
	v_fma_f64 v[119:120], v[119:120], v[121:122], v[119:120]
	v_mul_f64 v[121:122], v[123:124], v[119:120]
	v_fma_f64 v[117:118], -v[117:118], v[121:122], v[123:124]
	v_div_fmas_f64 v[117:118], v[117:118], v[119:120], v[121:122]
	v_div_fixup_f64 v[117:118], v[117:118], v[102:103], v[104:105]
	v_fma_f64 v[102:103], v[104:105], v[117:118], v[102:103]
	v_div_scale_f64 v[104:105], null, v[102:103], v[102:103], 1.0
	v_rcp_f64_e32 v[119:120], v[104:105]
	v_fma_f64 v[121:122], -v[104:105], v[119:120], 1.0
	v_fma_f64 v[119:120], v[119:120], v[121:122], v[119:120]
	v_fma_f64 v[121:122], -v[104:105], v[119:120], 1.0
	v_fma_f64 v[119:120], v[119:120], v[121:122], v[119:120]
	v_div_scale_f64 v[121:122], vcc_lo, 1.0, v[102:103], 1.0
	v_mul_f64 v[123:124], v[121:122], v[119:120]
	v_fma_f64 v[104:105], -v[104:105], v[123:124], v[121:122]
	v_div_fmas_f64 v[104:105], v[104:105], v[119:120], v[123:124]
	v_div_fixup_f64 v[102:103], v[104:105], v[102:103], 1.0
	v_mul_f64 v[104:105], v[117:118], -v[102:103]
.LBB48_261:
	s_or_b32 exec_lo, exec_lo, s1
.LBB48_262:
	s_or_b32 exec_lo, exec_lo, s0
	s_mov_b32 s0, exec_lo
	v_cmpx_ne_u32_e64 v116, v110
	s_xor_b32 s0, exec_lo, s0
	s_cbranch_execz .LBB48_268
; %bb.263:
	s_mov_b32 s1, exec_lo
	v_cmpx_eq_u32_e32 12, v116
	s_cbranch_execz .LBB48_267
; %bb.264:
	v_cmp_ne_u32_e32 vcc_lo, 12, v110
	s_xor_b32 s2, s16, -1
	s_and_b32 s3, s2, vcc_lo
	s_and_saveexec_b32 s2, s3
	s_cbranch_execz .LBB48_266
; %bb.265:
	v_ashrrev_i32_e32 v111, 31, v110
	v_lshlrev_b64 v[116:117], 2, v[110:111]
	v_add_co_u32 v116, vcc_lo, v108, v116
	v_add_co_ci_u32_e64 v117, null, v109, v117, vcc_lo
	s_clause 0x1
	global_load_dword v0, v[116:117], off
	global_load_dword v111, v[108:109], off offset:48
	s_waitcnt vmcnt(1)
	global_store_dword v[108:109], v0, off offset:48
	s_waitcnt vmcnt(0)
	global_store_dword v[116:117], v111, off
.LBB48_266:
	s_or_b32 exec_lo, exec_lo, s2
	v_mov_b32_e32 v116, v110
	v_mov_b32_e32 v0, v110
.LBB48_267:
	s_or_b32 exec_lo, exec_lo, s1
.LBB48_268:
	s_andn2_saveexec_b32 s0, s0
	s_cbranch_execz .LBB48_270
; %bb.269:
	v_mov_b32_e32 v116, 12
	ds_write2_b64 v1, v[46:47], v[48:49] offset0:26 offset1:27
	ds_write2_b64 v1, v[42:43], v[44:45] offset0:28 offset1:29
	ds_write2_b64 v1, v[38:39], v[40:41] offset0:30 offset1:31
	ds_write2_b64 v1, v[34:35], v[36:37] offset0:32 offset1:33
	ds_write2_b64 v1, v[30:31], v[32:33] offset0:34 offset1:35
	ds_write2_b64 v1, v[26:27], v[28:29] offset0:36 offset1:37
	ds_write2_b64 v1, v[22:23], v[24:25] offset0:38 offset1:39
	ds_write2_b64 v1, v[18:19], v[20:21] offset0:40 offset1:41
	ds_write2_b64 v1, v[14:15], v[16:17] offset0:42 offset1:43
	ds_write2_b64 v1, v[10:11], v[12:13] offset0:44 offset1:45
	ds_write2_b64 v1, v[6:7], v[8:9] offset0:46 offset1:47
	ds_write2_b64 v1, v[2:3], v[4:5] offset0:48 offset1:49
.LBB48_270:
	s_or_b32 exec_lo, exec_lo, s0
	s_mov_b32 s0, exec_lo
	s_waitcnt lgkmcnt(0)
	s_waitcnt_vscnt null, 0x0
	s_barrier
	buffer_gl0_inv
	v_cmpx_lt_i32_e32 12, v116
	s_cbranch_execz .LBB48_272
; %bb.271:
	v_mul_f64 v[110:111], v[102:103], v[52:53]
	v_mul_f64 v[52:53], v[104:105], v[52:53]
	v_fma_f64 v[110:111], v[104:105], v[50:51], v[110:111]
	v_fma_f64 v[50:51], v[102:103], v[50:51], -v[52:53]
	ds_read2_b64 v[102:105], v1 offset0:26 offset1:27
	s_waitcnt lgkmcnt(0)
	v_mul_f64 v[52:53], v[104:105], v[110:111]
	v_fma_f64 v[52:53], v[102:103], v[50:51], -v[52:53]
	v_mul_f64 v[102:103], v[102:103], v[110:111]
	v_add_f64 v[46:47], v[46:47], -v[52:53]
	v_fma_f64 v[102:103], v[104:105], v[50:51], v[102:103]
	v_add_f64 v[48:49], v[48:49], -v[102:103]
	ds_read2_b64 v[102:105], v1 offset0:28 offset1:29
	s_waitcnt lgkmcnt(0)
	v_mul_f64 v[52:53], v[104:105], v[110:111]
	v_fma_f64 v[52:53], v[102:103], v[50:51], -v[52:53]
	v_mul_f64 v[102:103], v[102:103], v[110:111]
	v_add_f64 v[42:43], v[42:43], -v[52:53]
	v_fma_f64 v[102:103], v[104:105], v[50:51], v[102:103]
	v_add_f64 v[44:45], v[44:45], -v[102:103]
	;; [unrolled: 8-line block ×11, first 2 shown]
	ds_read2_b64 v[102:105], v1 offset0:48 offset1:49
	s_waitcnt lgkmcnt(0)
	v_mul_f64 v[52:53], v[104:105], v[110:111]
	v_fma_f64 v[52:53], v[102:103], v[50:51], -v[52:53]
	v_mul_f64 v[102:103], v[102:103], v[110:111]
	v_add_f64 v[2:3], v[2:3], -v[52:53]
	v_fma_f64 v[102:103], v[104:105], v[50:51], v[102:103]
	v_mov_b32_e32 v52, v110
	v_mov_b32_e32 v53, v111
	v_add_f64 v[4:5], v[4:5], -v[102:103]
.LBB48_272:
	s_or_b32 exec_lo, exec_lo, s0
	v_lshl_add_u32 v102, v116, 4, v1
	s_barrier
	buffer_gl0_inv
	v_mov_b32_e32 v110, 13
	ds_write2_b64 v102, v[46:47], v[48:49] offset1:1
	s_waitcnt lgkmcnt(0)
	s_barrier
	buffer_gl0_inv
	ds_read2_b64 v[102:105], v1 offset0:26 offset1:27
	s_cmp_lt_i32 s18, 15
	s_cbranch_scc1 .LBB48_275
; %bb.273:
	v_add3_u32 v111, v112, 0, 0xe0
	v_mov_b32_e32 v110, 13
	s_mov_b32 s1, 14
	s_inst_prefetch 0x1
	.p2align	6
.LBB48_274:                             ; =>This Inner Loop Header: Depth=1
	s_waitcnt lgkmcnt(0)
	v_cmp_gt_f64_e32 vcc_lo, 0, v[104:105]
	v_cmp_gt_f64_e64 s0, 0, v[102:103]
	ds_read2_b64 v[117:120], v111 offset1:1
	v_xor_b32_e32 v122, 0x80000000, v103
	v_xor_b32_e32 v124, 0x80000000, v105
	v_mov_b32_e32 v121, v102
	v_mov_b32_e32 v123, v104
	v_add_nc_u32_e32 v111, 16, v111
	s_waitcnt lgkmcnt(0)
	v_xor_b32_e32 v126, 0x80000000, v120
	v_cndmask_b32_e64 v122, v103, v122, s0
	v_cndmask_b32_e32 v124, v105, v124, vcc_lo
	v_cmp_gt_f64_e32 vcc_lo, 0, v[119:120]
	v_cmp_gt_f64_e64 s0, 0, v[117:118]
	v_mov_b32_e32 v125, v119
	v_add_f64 v[121:122], v[121:122], v[123:124]
	v_xor_b32_e32 v124, 0x80000000, v118
	v_mov_b32_e32 v123, v117
	v_cndmask_b32_e32 v126, v120, v126, vcc_lo
	v_cndmask_b32_e64 v124, v118, v124, s0
	v_add_f64 v[123:124], v[123:124], v[125:126]
	v_cmp_lt_f64_e32 vcc_lo, v[121:122], v[123:124]
	v_cndmask_b32_e32 v103, v103, v118, vcc_lo
	v_cndmask_b32_e32 v102, v102, v117, vcc_lo
	;; [unrolled: 1-line block ×4, first 2 shown]
	v_cndmask_b32_e64 v110, v110, s1, vcc_lo
	s_add_i32 s1, s1, 1
	s_cmp_lg_u32 s18, s1
	s_cbranch_scc1 .LBB48_274
.LBB48_275:
	s_inst_prefetch 0x2
	s_waitcnt lgkmcnt(0)
	v_cmp_eq_f64_e32 vcc_lo, 0, v[102:103]
	v_cmp_eq_f64_e64 s0, 0, v[104:105]
	s_and_b32 s0, vcc_lo, s0
	s_and_saveexec_b32 s1, s0
	s_xor_b32 s0, exec_lo, s1
; %bb.276:
	v_cmp_ne_u32_e32 vcc_lo, 0, v115
	v_cndmask_b32_e32 v115, 14, v115, vcc_lo
; %bb.277:
	s_andn2_saveexec_b32 s0, s0
	s_cbranch_execz .LBB48_283
; %bb.278:
	v_cmp_ngt_f64_e64 s1, |v[102:103]|, |v[104:105]|
	s_and_saveexec_b32 s2, s1
	s_xor_b32 s1, exec_lo, s2
	s_cbranch_execz .LBB48_280
; %bb.279:
	v_div_scale_f64 v[117:118], null, v[104:105], v[104:105], v[102:103]
	v_div_scale_f64 v[123:124], vcc_lo, v[102:103], v[104:105], v[102:103]
	v_rcp_f64_e32 v[119:120], v[117:118]
	v_fma_f64 v[121:122], -v[117:118], v[119:120], 1.0
	v_fma_f64 v[119:120], v[119:120], v[121:122], v[119:120]
	v_fma_f64 v[121:122], -v[117:118], v[119:120], 1.0
	v_fma_f64 v[119:120], v[119:120], v[121:122], v[119:120]
	v_mul_f64 v[121:122], v[123:124], v[119:120]
	v_fma_f64 v[117:118], -v[117:118], v[121:122], v[123:124]
	v_div_fmas_f64 v[117:118], v[117:118], v[119:120], v[121:122]
	v_div_fixup_f64 v[117:118], v[117:118], v[104:105], v[102:103]
	v_fma_f64 v[102:103], v[102:103], v[117:118], v[104:105]
	v_div_scale_f64 v[104:105], null, v[102:103], v[102:103], 1.0
	v_rcp_f64_e32 v[119:120], v[104:105]
	v_fma_f64 v[121:122], -v[104:105], v[119:120], 1.0
	v_fma_f64 v[119:120], v[119:120], v[121:122], v[119:120]
	v_fma_f64 v[121:122], -v[104:105], v[119:120], 1.0
	v_fma_f64 v[119:120], v[119:120], v[121:122], v[119:120]
	v_div_scale_f64 v[121:122], vcc_lo, 1.0, v[102:103], 1.0
	v_mul_f64 v[123:124], v[121:122], v[119:120]
	v_fma_f64 v[104:105], -v[104:105], v[123:124], v[121:122]
	v_div_fmas_f64 v[104:105], v[104:105], v[119:120], v[123:124]
	v_div_fixup_f64 v[104:105], v[104:105], v[102:103], 1.0
	v_mul_f64 v[102:103], v[117:118], v[104:105]
	v_xor_b32_e32 v105, 0x80000000, v105
.LBB48_280:
	s_andn2_saveexec_b32 s1, s1
	s_cbranch_execz .LBB48_282
; %bb.281:
	v_div_scale_f64 v[117:118], null, v[102:103], v[102:103], v[104:105]
	v_div_scale_f64 v[123:124], vcc_lo, v[104:105], v[102:103], v[104:105]
	v_rcp_f64_e32 v[119:120], v[117:118]
	v_fma_f64 v[121:122], -v[117:118], v[119:120], 1.0
	v_fma_f64 v[119:120], v[119:120], v[121:122], v[119:120]
	v_fma_f64 v[121:122], -v[117:118], v[119:120], 1.0
	v_fma_f64 v[119:120], v[119:120], v[121:122], v[119:120]
	v_mul_f64 v[121:122], v[123:124], v[119:120]
	v_fma_f64 v[117:118], -v[117:118], v[121:122], v[123:124]
	v_div_fmas_f64 v[117:118], v[117:118], v[119:120], v[121:122]
	v_div_fixup_f64 v[117:118], v[117:118], v[102:103], v[104:105]
	v_fma_f64 v[102:103], v[104:105], v[117:118], v[102:103]
	v_div_scale_f64 v[104:105], null, v[102:103], v[102:103], 1.0
	v_rcp_f64_e32 v[119:120], v[104:105]
	v_fma_f64 v[121:122], -v[104:105], v[119:120], 1.0
	v_fma_f64 v[119:120], v[119:120], v[121:122], v[119:120]
	v_fma_f64 v[121:122], -v[104:105], v[119:120], 1.0
	v_fma_f64 v[119:120], v[119:120], v[121:122], v[119:120]
	v_div_scale_f64 v[121:122], vcc_lo, 1.0, v[102:103], 1.0
	v_mul_f64 v[123:124], v[121:122], v[119:120]
	v_fma_f64 v[104:105], -v[104:105], v[123:124], v[121:122]
	v_div_fmas_f64 v[104:105], v[104:105], v[119:120], v[123:124]
	v_div_fixup_f64 v[102:103], v[104:105], v[102:103], 1.0
	v_mul_f64 v[104:105], v[117:118], -v[102:103]
.LBB48_282:
	s_or_b32 exec_lo, exec_lo, s1
.LBB48_283:
	s_or_b32 exec_lo, exec_lo, s0
	s_mov_b32 s0, exec_lo
	v_cmpx_ne_u32_e64 v116, v110
	s_xor_b32 s0, exec_lo, s0
	s_cbranch_execz .LBB48_289
; %bb.284:
	s_mov_b32 s1, exec_lo
	v_cmpx_eq_u32_e32 13, v116
	s_cbranch_execz .LBB48_288
; %bb.285:
	v_cmp_ne_u32_e32 vcc_lo, 13, v110
	s_xor_b32 s2, s16, -1
	s_and_b32 s3, s2, vcc_lo
	s_and_saveexec_b32 s2, s3
	s_cbranch_execz .LBB48_287
; %bb.286:
	v_ashrrev_i32_e32 v111, 31, v110
	v_lshlrev_b64 v[116:117], 2, v[110:111]
	v_add_co_u32 v116, vcc_lo, v108, v116
	v_add_co_ci_u32_e64 v117, null, v109, v117, vcc_lo
	s_clause 0x1
	global_load_dword v0, v[116:117], off
	global_load_dword v111, v[108:109], off offset:52
	s_waitcnt vmcnt(1)
	global_store_dword v[108:109], v0, off offset:52
	s_waitcnt vmcnt(0)
	global_store_dword v[116:117], v111, off
.LBB48_287:
	s_or_b32 exec_lo, exec_lo, s2
	v_mov_b32_e32 v116, v110
	v_mov_b32_e32 v0, v110
.LBB48_288:
	s_or_b32 exec_lo, exec_lo, s1
.LBB48_289:
	s_andn2_saveexec_b32 s0, s0
	s_cbranch_execz .LBB48_291
; %bb.290:
	v_mov_b32_e32 v116, 13
	ds_write2_b64 v1, v[42:43], v[44:45] offset0:28 offset1:29
	ds_write2_b64 v1, v[38:39], v[40:41] offset0:30 offset1:31
	;; [unrolled: 1-line block ×11, first 2 shown]
.LBB48_291:
	s_or_b32 exec_lo, exec_lo, s0
	s_mov_b32 s0, exec_lo
	s_waitcnt lgkmcnt(0)
	s_waitcnt_vscnt null, 0x0
	s_barrier
	buffer_gl0_inv
	v_cmpx_lt_i32_e32 13, v116
	s_cbranch_execz .LBB48_293
; %bb.292:
	v_mul_f64 v[110:111], v[102:103], v[48:49]
	v_mul_f64 v[48:49], v[104:105], v[48:49]
	v_fma_f64 v[110:111], v[104:105], v[46:47], v[110:111]
	v_fma_f64 v[46:47], v[102:103], v[46:47], -v[48:49]
	ds_read2_b64 v[102:105], v1 offset0:28 offset1:29
	s_waitcnt lgkmcnt(0)
	v_mul_f64 v[48:49], v[104:105], v[110:111]
	v_fma_f64 v[48:49], v[102:103], v[46:47], -v[48:49]
	v_mul_f64 v[102:103], v[102:103], v[110:111]
	v_add_f64 v[42:43], v[42:43], -v[48:49]
	v_fma_f64 v[102:103], v[104:105], v[46:47], v[102:103]
	v_add_f64 v[44:45], v[44:45], -v[102:103]
	ds_read2_b64 v[102:105], v1 offset0:30 offset1:31
	s_waitcnt lgkmcnt(0)
	v_mul_f64 v[48:49], v[104:105], v[110:111]
	v_fma_f64 v[48:49], v[102:103], v[46:47], -v[48:49]
	v_mul_f64 v[102:103], v[102:103], v[110:111]
	v_add_f64 v[38:39], v[38:39], -v[48:49]
	v_fma_f64 v[102:103], v[104:105], v[46:47], v[102:103]
	v_add_f64 v[40:41], v[40:41], -v[102:103]
	;; [unrolled: 8-line block ×10, first 2 shown]
	ds_read2_b64 v[102:105], v1 offset0:48 offset1:49
	s_waitcnt lgkmcnt(0)
	v_mul_f64 v[48:49], v[104:105], v[110:111]
	v_fma_f64 v[48:49], v[102:103], v[46:47], -v[48:49]
	v_mul_f64 v[102:103], v[102:103], v[110:111]
	v_add_f64 v[2:3], v[2:3], -v[48:49]
	v_fma_f64 v[102:103], v[104:105], v[46:47], v[102:103]
	v_mov_b32_e32 v48, v110
	v_mov_b32_e32 v49, v111
	v_add_f64 v[4:5], v[4:5], -v[102:103]
.LBB48_293:
	s_or_b32 exec_lo, exec_lo, s0
	v_lshl_add_u32 v102, v116, 4, v1
	s_barrier
	buffer_gl0_inv
	v_mov_b32_e32 v110, 14
	ds_write2_b64 v102, v[42:43], v[44:45] offset1:1
	s_waitcnt lgkmcnt(0)
	s_barrier
	buffer_gl0_inv
	ds_read2_b64 v[102:105], v1 offset0:28 offset1:29
	s_cmp_lt_i32 s18, 16
	s_cbranch_scc1 .LBB48_296
; %bb.294:
	v_add3_u32 v111, v112, 0, 0xf0
	v_mov_b32_e32 v110, 14
	s_mov_b32 s1, 15
	s_inst_prefetch 0x1
	.p2align	6
.LBB48_295:                             ; =>This Inner Loop Header: Depth=1
	s_waitcnt lgkmcnt(0)
	v_cmp_gt_f64_e32 vcc_lo, 0, v[104:105]
	v_cmp_gt_f64_e64 s0, 0, v[102:103]
	ds_read2_b64 v[117:120], v111 offset1:1
	v_xor_b32_e32 v122, 0x80000000, v103
	v_xor_b32_e32 v124, 0x80000000, v105
	v_mov_b32_e32 v121, v102
	v_mov_b32_e32 v123, v104
	v_add_nc_u32_e32 v111, 16, v111
	s_waitcnt lgkmcnt(0)
	v_xor_b32_e32 v126, 0x80000000, v120
	v_cndmask_b32_e64 v122, v103, v122, s0
	v_cndmask_b32_e32 v124, v105, v124, vcc_lo
	v_cmp_gt_f64_e32 vcc_lo, 0, v[119:120]
	v_cmp_gt_f64_e64 s0, 0, v[117:118]
	v_mov_b32_e32 v125, v119
	v_add_f64 v[121:122], v[121:122], v[123:124]
	v_xor_b32_e32 v124, 0x80000000, v118
	v_mov_b32_e32 v123, v117
	v_cndmask_b32_e32 v126, v120, v126, vcc_lo
	v_cndmask_b32_e64 v124, v118, v124, s0
	v_add_f64 v[123:124], v[123:124], v[125:126]
	v_cmp_lt_f64_e32 vcc_lo, v[121:122], v[123:124]
	v_cndmask_b32_e32 v103, v103, v118, vcc_lo
	v_cndmask_b32_e32 v102, v102, v117, vcc_lo
	;; [unrolled: 1-line block ×4, first 2 shown]
	v_cndmask_b32_e64 v110, v110, s1, vcc_lo
	s_add_i32 s1, s1, 1
	s_cmp_lg_u32 s18, s1
	s_cbranch_scc1 .LBB48_295
.LBB48_296:
	s_inst_prefetch 0x2
	s_waitcnt lgkmcnt(0)
	v_cmp_eq_f64_e32 vcc_lo, 0, v[102:103]
	v_cmp_eq_f64_e64 s0, 0, v[104:105]
	s_and_b32 s0, vcc_lo, s0
	s_and_saveexec_b32 s1, s0
	s_xor_b32 s0, exec_lo, s1
; %bb.297:
	v_cmp_ne_u32_e32 vcc_lo, 0, v115
	v_cndmask_b32_e32 v115, 15, v115, vcc_lo
; %bb.298:
	s_andn2_saveexec_b32 s0, s0
	s_cbranch_execz .LBB48_304
; %bb.299:
	v_cmp_ngt_f64_e64 s1, |v[102:103]|, |v[104:105]|
	s_and_saveexec_b32 s2, s1
	s_xor_b32 s1, exec_lo, s2
	s_cbranch_execz .LBB48_301
; %bb.300:
	v_div_scale_f64 v[117:118], null, v[104:105], v[104:105], v[102:103]
	v_div_scale_f64 v[123:124], vcc_lo, v[102:103], v[104:105], v[102:103]
	v_rcp_f64_e32 v[119:120], v[117:118]
	v_fma_f64 v[121:122], -v[117:118], v[119:120], 1.0
	v_fma_f64 v[119:120], v[119:120], v[121:122], v[119:120]
	v_fma_f64 v[121:122], -v[117:118], v[119:120], 1.0
	v_fma_f64 v[119:120], v[119:120], v[121:122], v[119:120]
	v_mul_f64 v[121:122], v[123:124], v[119:120]
	v_fma_f64 v[117:118], -v[117:118], v[121:122], v[123:124]
	v_div_fmas_f64 v[117:118], v[117:118], v[119:120], v[121:122]
	v_div_fixup_f64 v[117:118], v[117:118], v[104:105], v[102:103]
	v_fma_f64 v[102:103], v[102:103], v[117:118], v[104:105]
	v_div_scale_f64 v[104:105], null, v[102:103], v[102:103], 1.0
	v_rcp_f64_e32 v[119:120], v[104:105]
	v_fma_f64 v[121:122], -v[104:105], v[119:120], 1.0
	v_fma_f64 v[119:120], v[119:120], v[121:122], v[119:120]
	v_fma_f64 v[121:122], -v[104:105], v[119:120], 1.0
	v_fma_f64 v[119:120], v[119:120], v[121:122], v[119:120]
	v_div_scale_f64 v[121:122], vcc_lo, 1.0, v[102:103], 1.0
	v_mul_f64 v[123:124], v[121:122], v[119:120]
	v_fma_f64 v[104:105], -v[104:105], v[123:124], v[121:122]
	v_div_fmas_f64 v[104:105], v[104:105], v[119:120], v[123:124]
	v_div_fixup_f64 v[104:105], v[104:105], v[102:103], 1.0
	v_mul_f64 v[102:103], v[117:118], v[104:105]
	v_xor_b32_e32 v105, 0x80000000, v105
.LBB48_301:
	s_andn2_saveexec_b32 s1, s1
	s_cbranch_execz .LBB48_303
; %bb.302:
	v_div_scale_f64 v[117:118], null, v[102:103], v[102:103], v[104:105]
	v_div_scale_f64 v[123:124], vcc_lo, v[104:105], v[102:103], v[104:105]
	v_rcp_f64_e32 v[119:120], v[117:118]
	v_fma_f64 v[121:122], -v[117:118], v[119:120], 1.0
	v_fma_f64 v[119:120], v[119:120], v[121:122], v[119:120]
	v_fma_f64 v[121:122], -v[117:118], v[119:120], 1.0
	v_fma_f64 v[119:120], v[119:120], v[121:122], v[119:120]
	v_mul_f64 v[121:122], v[123:124], v[119:120]
	v_fma_f64 v[117:118], -v[117:118], v[121:122], v[123:124]
	v_div_fmas_f64 v[117:118], v[117:118], v[119:120], v[121:122]
	v_div_fixup_f64 v[117:118], v[117:118], v[102:103], v[104:105]
	v_fma_f64 v[102:103], v[104:105], v[117:118], v[102:103]
	v_div_scale_f64 v[104:105], null, v[102:103], v[102:103], 1.0
	v_rcp_f64_e32 v[119:120], v[104:105]
	v_fma_f64 v[121:122], -v[104:105], v[119:120], 1.0
	v_fma_f64 v[119:120], v[119:120], v[121:122], v[119:120]
	v_fma_f64 v[121:122], -v[104:105], v[119:120], 1.0
	v_fma_f64 v[119:120], v[119:120], v[121:122], v[119:120]
	v_div_scale_f64 v[121:122], vcc_lo, 1.0, v[102:103], 1.0
	v_mul_f64 v[123:124], v[121:122], v[119:120]
	v_fma_f64 v[104:105], -v[104:105], v[123:124], v[121:122]
	v_div_fmas_f64 v[104:105], v[104:105], v[119:120], v[123:124]
	v_div_fixup_f64 v[102:103], v[104:105], v[102:103], 1.0
	v_mul_f64 v[104:105], v[117:118], -v[102:103]
.LBB48_303:
	s_or_b32 exec_lo, exec_lo, s1
.LBB48_304:
	s_or_b32 exec_lo, exec_lo, s0
	s_mov_b32 s0, exec_lo
	v_cmpx_ne_u32_e64 v116, v110
	s_xor_b32 s0, exec_lo, s0
	s_cbranch_execz .LBB48_310
; %bb.305:
	s_mov_b32 s1, exec_lo
	v_cmpx_eq_u32_e32 14, v116
	s_cbranch_execz .LBB48_309
; %bb.306:
	v_cmp_ne_u32_e32 vcc_lo, 14, v110
	s_xor_b32 s2, s16, -1
	s_and_b32 s3, s2, vcc_lo
	s_and_saveexec_b32 s2, s3
	s_cbranch_execz .LBB48_308
; %bb.307:
	v_ashrrev_i32_e32 v111, 31, v110
	v_lshlrev_b64 v[116:117], 2, v[110:111]
	v_add_co_u32 v116, vcc_lo, v108, v116
	v_add_co_ci_u32_e64 v117, null, v109, v117, vcc_lo
	s_clause 0x1
	global_load_dword v0, v[116:117], off
	global_load_dword v111, v[108:109], off offset:56
	s_waitcnt vmcnt(1)
	global_store_dword v[108:109], v0, off offset:56
	s_waitcnt vmcnt(0)
	global_store_dword v[116:117], v111, off
.LBB48_308:
	s_or_b32 exec_lo, exec_lo, s2
	v_mov_b32_e32 v116, v110
	v_mov_b32_e32 v0, v110
.LBB48_309:
	s_or_b32 exec_lo, exec_lo, s1
.LBB48_310:
	s_andn2_saveexec_b32 s0, s0
	s_cbranch_execz .LBB48_312
; %bb.311:
	v_mov_b32_e32 v116, 14
	ds_write2_b64 v1, v[38:39], v[40:41] offset0:30 offset1:31
	ds_write2_b64 v1, v[34:35], v[36:37] offset0:32 offset1:33
	;; [unrolled: 1-line block ×10, first 2 shown]
.LBB48_312:
	s_or_b32 exec_lo, exec_lo, s0
	s_mov_b32 s0, exec_lo
	s_waitcnt lgkmcnt(0)
	s_waitcnt_vscnt null, 0x0
	s_barrier
	buffer_gl0_inv
	v_cmpx_lt_i32_e32 14, v116
	s_cbranch_execz .LBB48_314
; %bb.313:
	v_mul_f64 v[110:111], v[102:103], v[44:45]
	v_mul_f64 v[44:45], v[104:105], v[44:45]
	v_fma_f64 v[110:111], v[104:105], v[42:43], v[110:111]
	v_fma_f64 v[42:43], v[102:103], v[42:43], -v[44:45]
	ds_read2_b64 v[102:105], v1 offset0:30 offset1:31
	s_waitcnt lgkmcnt(0)
	v_mul_f64 v[44:45], v[104:105], v[110:111]
	v_fma_f64 v[44:45], v[102:103], v[42:43], -v[44:45]
	v_mul_f64 v[102:103], v[102:103], v[110:111]
	v_add_f64 v[38:39], v[38:39], -v[44:45]
	v_fma_f64 v[102:103], v[104:105], v[42:43], v[102:103]
	v_add_f64 v[40:41], v[40:41], -v[102:103]
	ds_read2_b64 v[102:105], v1 offset0:32 offset1:33
	s_waitcnt lgkmcnt(0)
	v_mul_f64 v[44:45], v[104:105], v[110:111]
	v_fma_f64 v[44:45], v[102:103], v[42:43], -v[44:45]
	v_mul_f64 v[102:103], v[102:103], v[110:111]
	v_add_f64 v[34:35], v[34:35], -v[44:45]
	v_fma_f64 v[102:103], v[104:105], v[42:43], v[102:103]
	v_add_f64 v[36:37], v[36:37], -v[102:103]
	;; [unrolled: 8-line block ×9, first 2 shown]
	ds_read2_b64 v[102:105], v1 offset0:48 offset1:49
	s_waitcnt lgkmcnt(0)
	v_mul_f64 v[44:45], v[104:105], v[110:111]
	v_fma_f64 v[44:45], v[102:103], v[42:43], -v[44:45]
	v_mul_f64 v[102:103], v[102:103], v[110:111]
	v_add_f64 v[2:3], v[2:3], -v[44:45]
	v_fma_f64 v[102:103], v[104:105], v[42:43], v[102:103]
	v_mov_b32_e32 v44, v110
	v_mov_b32_e32 v45, v111
	v_add_f64 v[4:5], v[4:5], -v[102:103]
.LBB48_314:
	s_or_b32 exec_lo, exec_lo, s0
	v_lshl_add_u32 v102, v116, 4, v1
	s_barrier
	buffer_gl0_inv
	v_mov_b32_e32 v110, 15
	ds_write2_b64 v102, v[38:39], v[40:41] offset1:1
	s_waitcnt lgkmcnt(0)
	s_barrier
	buffer_gl0_inv
	ds_read2_b64 v[102:105], v1 offset0:30 offset1:31
	s_cmp_lt_i32 s18, 17
	s_cbranch_scc1 .LBB48_317
; %bb.315:
	v_add3_u32 v111, v112, 0, 0x100
	v_mov_b32_e32 v110, 15
	s_mov_b32 s1, 16
	s_inst_prefetch 0x1
	.p2align	6
.LBB48_316:                             ; =>This Inner Loop Header: Depth=1
	s_waitcnt lgkmcnt(0)
	v_cmp_gt_f64_e32 vcc_lo, 0, v[104:105]
	v_cmp_gt_f64_e64 s0, 0, v[102:103]
	ds_read2_b64 v[117:120], v111 offset1:1
	v_xor_b32_e32 v122, 0x80000000, v103
	v_xor_b32_e32 v124, 0x80000000, v105
	v_mov_b32_e32 v121, v102
	v_mov_b32_e32 v123, v104
	v_add_nc_u32_e32 v111, 16, v111
	s_waitcnt lgkmcnt(0)
	v_xor_b32_e32 v126, 0x80000000, v120
	v_cndmask_b32_e64 v122, v103, v122, s0
	v_cndmask_b32_e32 v124, v105, v124, vcc_lo
	v_cmp_gt_f64_e32 vcc_lo, 0, v[119:120]
	v_cmp_gt_f64_e64 s0, 0, v[117:118]
	v_mov_b32_e32 v125, v119
	v_add_f64 v[121:122], v[121:122], v[123:124]
	v_xor_b32_e32 v124, 0x80000000, v118
	v_mov_b32_e32 v123, v117
	v_cndmask_b32_e32 v126, v120, v126, vcc_lo
	v_cndmask_b32_e64 v124, v118, v124, s0
	v_add_f64 v[123:124], v[123:124], v[125:126]
	v_cmp_lt_f64_e32 vcc_lo, v[121:122], v[123:124]
	v_cndmask_b32_e32 v103, v103, v118, vcc_lo
	v_cndmask_b32_e32 v102, v102, v117, vcc_lo
	;; [unrolled: 1-line block ×4, first 2 shown]
	v_cndmask_b32_e64 v110, v110, s1, vcc_lo
	s_add_i32 s1, s1, 1
	s_cmp_lg_u32 s18, s1
	s_cbranch_scc1 .LBB48_316
.LBB48_317:
	s_inst_prefetch 0x2
	s_waitcnt lgkmcnt(0)
	v_cmp_eq_f64_e32 vcc_lo, 0, v[102:103]
	v_cmp_eq_f64_e64 s0, 0, v[104:105]
	s_and_b32 s0, vcc_lo, s0
	s_and_saveexec_b32 s1, s0
	s_xor_b32 s0, exec_lo, s1
; %bb.318:
	v_cmp_ne_u32_e32 vcc_lo, 0, v115
	v_cndmask_b32_e32 v115, 16, v115, vcc_lo
; %bb.319:
	s_andn2_saveexec_b32 s0, s0
	s_cbranch_execz .LBB48_325
; %bb.320:
	v_cmp_ngt_f64_e64 s1, |v[102:103]|, |v[104:105]|
	s_and_saveexec_b32 s2, s1
	s_xor_b32 s1, exec_lo, s2
	s_cbranch_execz .LBB48_322
; %bb.321:
	v_div_scale_f64 v[117:118], null, v[104:105], v[104:105], v[102:103]
	v_div_scale_f64 v[123:124], vcc_lo, v[102:103], v[104:105], v[102:103]
	v_rcp_f64_e32 v[119:120], v[117:118]
	v_fma_f64 v[121:122], -v[117:118], v[119:120], 1.0
	v_fma_f64 v[119:120], v[119:120], v[121:122], v[119:120]
	v_fma_f64 v[121:122], -v[117:118], v[119:120], 1.0
	v_fma_f64 v[119:120], v[119:120], v[121:122], v[119:120]
	v_mul_f64 v[121:122], v[123:124], v[119:120]
	v_fma_f64 v[117:118], -v[117:118], v[121:122], v[123:124]
	v_div_fmas_f64 v[117:118], v[117:118], v[119:120], v[121:122]
	v_div_fixup_f64 v[117:118], v[117:118], v[104:105], v[102:103]
	v_fma_f64 v[102:103], v[102:103], v[117:118], v[104:105]
	v_div_scale_f64 v[104:105], null, v[102:103], v[102:103], 1.0
	v_rcp_f64_e32 v[119:120], v[104:105]
	v_fma_f64 v[121:122], -v[104:105], v[119:120], 1.0
	v_fma_f64 v[119:120], v[119:120], v[121:122], v[119:120]
	v_fma_f64 v[121:122], -v[104:105], v[119:120], 1.0
	v_fma_f64 v[119:120], v[119:120], v[121:122], v[119:120]
	v_div_scale_f64 v[121:122], vcc_lo, 1.0, v[102:103], 1.0
	v_mul_f64 v[123:124], v[121:122], v[119:120]
	v_fma_f64 v[104:105], -v[104:105], v[123:124], v[121:122]
	v_div_fmas_f64 v[104:105], v[104:105], v[119:120], v[123:124]
	v_div_fixup_f64 v[104:105], v[104:105], v[102:103], 1.0
	v_mul_f64 v[102:103], v[117:118], v[104:105]
	v_xor_b32_e32 v105, 0x80000000, v105
.LBB48_322:
	s_andn2_saveexec_b32 s1, s1
	s_cbranch_execz .LBB48_324
; %bb.323:
	v_div_scale_f64 v[117:118], null, v[102:103], v[102:103], v[104:105]
	v_div_scale_f64 v[123:124], vcc_lo, v[104:105], v[102:103], v[104:105]
	v_rcp_f64_e32 v[119:120], v[117:118]
	v_fma_f64 v[121:122], -v[117:118], v[119:120], 1.0
	v_fma_f64 v[119:120], v[119:120], v[121:122], v[119:120]
	v_fma_f64 v[121:122], -v[117:118], v[119:120], 1.0
	v_fma_f64 v[119:120], v[119:120], v[121:122], v[119:120]
	v_mul_f64 v[121:122], v[123:124], v[119:120]
	v_fma_f64 v[117:118], -v[117:118], v[121:122], v[123:124]
	v_div_fmas_f64 v[117:118], v[117:118], v[119:120], v[121:122]
	v_div_fixup_f64 v[117:118], v[117:118], v[102:103], v[104:105]
	v_fma_f64 v[102:103], v[104:105], v[117:118], v[102:103]
	v_div_scale_f64 v[104:105], null, v[102:103], v[102:103], 1.0
	v_rcp_f64_e32 v[119:120], v[104:105]
	v_fma_f64 v[121:122], -v[104:105], v[119:120], 1.0
	v_fma_f64 v[119:120], v[119:120], v[121:122], v[119:120]
	v_fma_f64 v[121:122], -v[104:105], v[119:120], 1.0
	v_fma_f64 v[119:120], v[119:120], v[121:122], v[119:120]
	v_div_scale_f64 v[121:122], vcc_lo, 1.0, v[102:103], 1.0
	v_mul_f64 v[123:124], v[121:122], v[119:120]
	v_fma_f64 v[104:105], -v[104:105], v[123:124], v[121:122]
	v_div_fmas_f64 v[104:105], v[104:105], v[119:120], v[123:124]
	v_div_fixup_f64 v[102:103], v[104:105], v[102:103], 1.0
	v_mul_f64 v[104:105], v[117:118], -v[102:103]
.LBB48_324:
	s_or_b32 exec_lo, exec_lo, s1
.LBB48_325:
	s_or_b32 exec_lo, exec_lo, s0
	s_mov_b32 s0, exec_lo
	v_cmpx_ne_u32_e64 v116, v110
	s_xor_b32 s0, exec_lo, s0
	s_cbranch_execz .LBB48_331
; %bb.326:
	s_mov_b32 s1, exec_lo
	v_cmpx_eq_u32_e32 15, v116
	s_cbranch_execz .LBB48_330
; %bb.327:
	v_cmp_ne_u32_e32 vcc_lo, 15, v110
	s_xor_b32 s2, s16, -1
	s_and_b32 s3, s2, vcc_lo
	s_and_saveexec_b32 s2, s3
	s_cbranch_execz .LBB48_329
; %bb.328:
	v_ashrrev_i32_e32 v111, 31, v110
	v_lshlrev_b64 v[116:117], 2, v[110:111]
	v_add_co_u32 v116, vcc_lo, v108, v116
	v_add_co_ci_u32_e64 v117, null, v109, v117, vcc_lo
	s_clause 0x1
	global_load_dword v0, v[116:117], off
	global_load_dword v111, v[108:109], off offset:60
	s_waitcnt vmcnt(1)
	global_store_dword v[108:109], v0, off offset:60
	s_waitcnt vmcnt(0)
	global_store_dword v[116:117], v111, off
.LBB48_329:
	s_or_b32 exec_lo, exec_lo, s2
	v_mov_b32_e32 v116, v110
	v_mov_b32_e32 v0, v110
.LBB48_330:
	s_or_b32 exec_lo, exec_lo, s1
.LBB48_331:
	s_andn2_saveexec_b32 s0, s0
	s_cbranch_execz .LBB48_333
; %bb.332:
	v_mov_b32_e32 v116, 15
	ds_write2_b64 v1, v[34:35], v[36:37] offset0:32 offset1:33
	ds_write2_b64 v1, v[30:31], v[32:33] offset0:34 offset1:35
	ds_write2_b64 v1, v[26:27], v[28:29] offset0:36 offset1:37
	ds_write2_b64 v1, v[22:23], v[24:25] offset0:38 offset1:39
	ds_write2_b64 v1, v[18:19], v[20:21] offset0:40 offset1:41
	ds_write2_b64 v1, v[14:15], v[16:17] offset0:42 offset1:43
	ds_write2_b64 v1, v[10:11], v[12:13] offset0:44 offset1:45
	ds_write2_b64 v1, v[6:7], v[8:9] offset0:46 offset1:47
	ds_write2_b64 v1, v[2:3], v[4:5] offset0:48 offset1:49
.LBB48_333:
	s_or_b32 exec_lo, exec_lo, s0
	s_mov_b32 s0, exec_lo
	s_waitcnt lgkmcnt(0)
	s_waitcnt_vscnt null, 0x0
	s_barrier
	buffer_gl0_inv
	v_cmpx_lt_i32_e32 15, v116
	s_cbranch_execz .LBB48_335
; %bb.334:
	v_mul_f64 v[110:111], v[102:103], v[40:41]
	v_mul_f64 v[40:41], v[104:105], v[40:41]
	v_fma_f64 v[110:111], v[104:105], v[38:39], v[110:111]
	v_fma_f64 v[38:39], v[102:103], v[38:39], -v[40:41]
	ds_read2_b64 v[102:105], v1 offset0:32 offset1:33
	s_waitcnt lgkmcnt(0)
	v_mul_f64 v[40:41], v[104:105], v[110:111]
	v_fma_f64 v[40:41], v[102:103], v[38:39], -v[40:41]
	v_mul_f64 v[102:103], v[102:103], v[110:111]
	v_add_f64 v[34:35], v[34:35], -v[40:41]
	v_fma_f64 v[102:103], v[104:105], v[38:39], v[102:103]
	v_add_f64 v[36:37], v[36:37], -v[102:103]
	ds_read2_b64 v[102:105], v1 offset0:34 offset1:35
	s_waitcnt lgkmcnt(0)
	v_mul_f64 v[40:41], v[104:105], v[110:111]
	v_fma_f64 v[40:41], v[102:103], v[38:39], -v[40:41]
	v_mul_f64 v[102:103], v[102:103], v[110:111]
	v_add_f64 v[30:31], v[30:31], -v[40:41]
	v_fma_f64 v[102:103], v[104:105], v[38:39], v[102:103]
	v_add_f64 v[32:33], v[32:33], -v[102:103]
	;; [unrolled: 8-line block ×8, first 2 shown]
	ds_read2_b64 v[102:105], v1 offset0:48 offset1:49
	s_waitcnt lgkmcnt(0)
	v_mul_f64 v[40:41], v[104:105], v[110:111]
	v_fma_f64 v[40:41], v[102:103], v[38:39], -v[40:41]
	v_mul_f64 v[102:103], v[102:103], v[110:111]
	v_add_f64 v[2:3], v[2:3], -v[40:41]
	v_fma_f64 v[102:103], v[104:105], v[38:39], v[102:103]
	v_mov_b32_e32 v40, v110
	v_mov_b32_e32 v41, v111
	v_add_f64 v[4:5], v[4:5], -v[102:103]
.LBB48_335:
	s_or_b32 exec_lo, exec_lo, s0
	v_lshl_add_u32 v102, v116, 4, v1
	s_barrier
	buffer_gl0_inv
	v_mov_b32_e32 v110, 16
	ds_write2_b64 v102, v[34:35], v[36:37] offset1:1
	s_waitcnt lgkmcnt(0)
	s_barrier
	buffer_gl0_inv
	ds_read2_b64 v[102:105], v1 offset0:32 offset1:33
	s_cmp_lt_i32 s18, 18
	s_cbranch_scc1 .LBB48_338
; %bb.336:
	v_add3_u32 v111, v112, 0, 0x110
	v_mov_b32_e32 v110, 16
	s_mov_b32 s1, 17
	s_inst_prefetch 0x1
	.p2align	6
.LBB48_337:                             ; =>This Inner Loop Header: Depth=1
	s_waitcnt lgkmcnt(0)
	v_cmp_gt_f64_e32 vcc_lo, 0, v[104:105]
	v_cmp_gt_f64_e64 s0, 0, v[102:103]
	ds_read2_b64 v[117:120], v111 offset1:1
	v_xor_b32_e32 v122, 0x80000000, v103
	v_xor_b32_e32 v124, 0x80000000, v105
	v_mov_b32_e32 v121, v102
	v_mov_b32_e32 v123, v104
	v_add_nc_u32_e32 v111, 16, v111
	s_waitcnt lgkmcnt(0)
	v_xor_b32_e32 v126, 0x80000000, v120
	v_cndmask_b32_e64 v122, v103, v122, s0
	v_cndmask_b32_e32 v124, v105, v124, vcc_lo
	v_cmp_gt_f64_e32 vcc_lo, 0, v[119:120]
	v_cmp_gt_f64_e64 s0, 0, v[117:118]
	v_mov_b32_e32 v125, v119
	v_add_f64 v[121:122], v[121:122], v[123:124]
	v_xor_b32_e32 v124, 0x80000000, v118
	v_mov_b32_e32 v123, v117
	v_cndmask_b32_e32 v126, v120, v126, vcc_lo
	v_cndmask_b32_e64 v124, v118, v124, s0
	v_add_f64 v[123:124], v[123:124], v[125:126]
	v_cmp_lt_f64_e32 vcc_lo, v[121:122], v[123:124]
	v_cndmask_b32_e32 v103, v103, v118, vcc_lo
	v_cndmask_b32_e32 v102, v102, v117, vcc_lo
	;; [unrolled: 1-line block ×4, first 2 shown]
	v_cndmask_b32_e64 v110, v110, s1, vcc_lo
	s_add_i32 s1, s1, 1
	s_cmp_lg_u32 s18, s1
	s_cbranch_scc1 .LBB48_337
.LBB48_338:
	s_inst_prefetch 0x2
	s_waitcnt lgkmcnt(0)
	v_cmp_eq_f64_e32 vcc_lo, 0, v[102:103]
	v_cmp_eq_f64_e64 s0, 0, v[104:105]
	s_and_b32 s0, vcc_lo, s0
	s_and_saveexec_b32 s1, s0
	s_xor_b32 s0, exec_lo, s1
; %bb.339:
	v_cmp_ne_u32_e32 vcc_lo, 0, v115
	v_cndmask_b32_e32 v115, 17, v115, vcc_lo
; %bb.340:
	s_andn2_saveexec_b32 s0, s0
	s_cbranch_execz .LBB48_346
; %bb.341:
	v_cmp_ngt_f64_e64 s1, |v[102:103]|, |v[104:105]|
	s_and_saveexec_b32 s2, s1
	s_xor_b32 s1, exec_lo, s2
	s_cbranch_execz .LBB48_343
; %bb.342:
	v_div_scale_f64 v[117:118], null, v[104:105], v[104:105], v[102:103]
	v_div_scale_f64 v[123:124], vcc_lo, v[102:103], v[104:105], v[102:103]
	v_rcp_f64_e32 v[119:120], v[117:118]
	v_fma_f64 v[121:122], -v[117:118], v[119:120], 1.0
	v_fma_f64 v[119:120], v[119:120], v[121:122], v[119:120]
	v_fma_f64 v[121:122], -v[117:118], v[119:120], 1.0
	v_fma_f64 v[119:120], v[119:120], v[121:122], v[119:120]
	v_mul_f64 v[121:122], v[123:124], v[119:120]
	v_fma_f64 v[117:118], -v[117:118], v[121:122], v[123:124]
	v_div_fmas_f64 v[117:118], v[117:118], v[119:120], v[121:122]
	v_div_fixup_f64 v[117:118], v[117:118], v[104:105], v[102:103]
	v_fma_f64 v[102:103], v[102:103], v[117:118], v[104:105]
	v_div_scale_f64 v[104:105], null, v[102:103], v[102:103], 1.0
	v_rcp_f64_e32 v[119:120], v[104:105]
	v_fma_f64 v[121:122], -v[104:105], v[119:120], 1.0
	v_fma_f64 v[119:120], v[119:120], v[121:122], v[119:120]
	v_fma_f64 v[121:122], -v[104:105], v[119:120], 1.0
	v_fma_f64 v[119:120], v[119:120], v[121:122], v[119:120]
	v_div_scale_f64 v[121:122], vcc_lo, 1.0, v[102:103], 1.0
	v_mul_f64 v[123:124], v[121:122], v[119:120]
	v_fma_f64 v[104:105], -v[104:105], v[123:124], v[121:122]
	v_div_fmas_f64 v[104:105], v[104:105], v[119:120], v[123:124]
	v_div_fixup_f64 v[104:105], v[104:105], v[102:103], 1.0
	v_mul_f64 v[102:103], v[117:118], v[104:105]
	v_xor_b32_e32 v105, 0x80000000, v105
.LBB48_343:
	s_andn2_saveexec_b32 s1, s1
	s_cbranch_execz .LBB48_345
; %bb.344:
	v_div_scale_f64 v[117:118], null, v[102:103], v[102:103], v[104:105]
	v_div_scale_f64 v[123:124], vcc_lo, v[104:105], v[102:103], v[104:105]
	v_rcp_f64_e32 v[119:120], v[117:118]
	v_fma_f64 v[121:122], -v[117:118], v[119:120], 1.0
	v_fma_f64 v[119:120], v[119:120], v[121:122], v[119:120]
	v_fma_f64 v[121:122], -v[117:118], v[119:120], 1.0
	v_fma_f64 v[119:120], v[119:120], v[121:122], v[119:120]
	v_mul_f64 v[121:122], v[123:124], v[119:120]
	v_fma_f64 v[117:118], -v[117:118], v[121:122], v[123:124]
	v_div_fmas_f64 v[117:118], v[117:118], v[119:120], v[121:122]
	v_div_fixup_f64 v[117:118], v[117:118], v[102:103], v[104:105]
	v_fma_f64 v[102:103], v[104:105], v[117:118], v[102:103]
	v_div_scale_f64 v[104:105], null, v[102:103], v[102:103], 1.0
	v_rcp_f64_e32 v[119:120], v[104:105]
	v_fma_f64 v[121:122], -v[104:105], v[119:120], 1.0
	v_fma_f64 v[119:120], v[119:120], v[121:122], v[119:120]
	v_fma_f64 v[121:122], -v[104:105], v[119:120], 1.0
	v_fma_f64 v[119:120], v[119:120], v[121:122], v[119:120]
	v_div_scale_f64 v[121:122], vcc_lo, 1.0, v[102:103], 1.0
	v_mul_f64 v[123:124], v[121:122], v[119:120]
	v_fma_f64 v[104:105], -v[104:105], v[123:124], v[121:122]
	v_div_fmas_f64 v[104:105], v[104:105], v[119:120], v[123:124]
	v_div_fixup_f64 v[102:103], v[104:105], v[102:103], 1.0
	v_mul_f64 v[104:105], v[117:118], -v[102:103]
.LBB48_345:
	s_or_b32 exec_lo, exec_lo, s1
.LBB48_346:
	s_or_b32 exec_lo, exec_lo, s0
	s_mov_b32 s0, exec_lo
	v_cmpx_ne_u32_e64 v116, v110
	s_xor_b32 s0, exec_lo, s0
	s_cbranch_execz .LBB48_352
; %bb.347:
	s_mov_b32 s1, exec_lo
	v_cmpx_eq_u32_e32 16, v116
	s_cbranch_execz .LBB48_351
; %bb.348:
	v_cmp_ne_u32_e32 vcc_lo, 16, v110
	s_xor_b32 s2, s16, -1
	s_and_b32 s3, s2, vcc_lo
	s_and_saveexec_b32 s2, s3
	s_cbranch_execz .LBB48_350
; %bb.349:
	v_ashrrev_i32_e32 v111, 31, v110
	v_lshlrev_b64 v[116:117], 2, v[110:111]
	v_add_co_u32 v116, vcc_lo, v108, v116
	v_add_co_ci_u32_e64 v117, null, v109, v117, vcc_lo
	s_clause 0x1
	global_load_dword v0, v[116:117], off
	global_load_dword v111, v[108:109], off offset:64
	s_waitcnt vmcnt(1)
	global_store_dword v[108:109], v0, off offset:64
	s_waitcnt vmcnt(0)
	global_store_dword v[116:117], v111, off
.LBB48_350:
	s_or_b32 exec_lo, exec_lo, s2
	v_mov_b32_e32 v116, v110
	v_mov_b32_e32 v0, v110
.LBB48_351:
	s_or_b32 exec_lo, exec_lo, s1
.LBB48_352:
	s_andn2_saveexec_b32 s0, s0
	s_cbranch_execz .LBB48_354
; %bb.353:
	v_mov_b32_e32 v116, 16
	ds_write2_b64 v1, v[30:31], v[32:33] offset0:34 offset1:35
	ds_write2_b64 v1, v[26:27], v[28:29] offset0:36 offset1:37
	;; [unrolled: 1-line block ×8, first 2 shown]
.LBB48_354:
	s_or_b32 exec_lo, exec_lo, s0
	s_mov_b32 s0, exec_lo
	s_waitcnt lgkmcnt(0)
	s_waitcnt_vscnt null, 0x0
	s_barrier
	buffer_gl0_inv
	v_cmpx_lt_i32_e32 16, v116
	s_cbranch_execz .LBB48_356
; %bb.355:
	v_mul_f64 v[110:111], v[102:103], v[36:37]
	v_mul_f64 v[36:37], v[104:105], v[36:37]
	v_fma_f64 v[110:111], v[104:105], v[34:35], v[110:111]
	v_fma_f64 v[34:35], v[102:103], v[34:35], -v[36:37]
	ds_read2_b64 v[102:105], v1 offset0:34 offset1:35
	s_waitcnt lgkmcnt(0)
	v_mul_f64 v[36:37], v[104:105], v[110:111]
	v_fma_f64 v[36:37], v[102:103], v[34:35], -v[36:37]
	v_mul_f64 v[102:103], v[102:103], v[110:111]
	v_add_f64 v[30:31], v[30:31], -v[36:37]
	v_fma_f64 v[102:103], v[104:105], v[34:35], v[102:103]
	v_add_f64 v[32:33], v[32:33], -v[102:103]
	ds_read2_b64 v[102:105], v1 offset0:36 offset1:37
	s_waitcnt lgkmcnt(0)
	v_mul_f64 v[36:37], v[104:105], v[110:111]
	v_fma_f64 v[36:37], v[102:103], v[34:35], -v[36:37]
	v_mul_f64 v[102:103], v[102:103], v[110:111]
	v_add_f64 v[26:27], v[26:27], -v[36:37]
	v_fma_f64 v[102:103], v[104:105], v[34:35], v[102:103]
	v_add_f64 v[28:29], v[28:29], -v[102:103]
	;; [unrolled: 8-line block ×7, first 2 shown]
	ds_read2_b64 v[102:105], v1 offset0:48 offset1:49
	s_waitcnt lgkmcnt(0)
	v_mul_f64 v[36:37], v[104:105], v[110:111]
	v_fma_f64 v[36:37], v[102:103], v[34:35], -v[36:37]
	v_mul_f64 v[102:103], v[102:103], v[110:111]
	v_add_f64 v[2:3], v[2:3], -v[36:37]
	v_fma_f64 v[102:103], v[104:105], v[34:35], v[102:103]
	v_mov_b32_e32 v36, v110
	v_mov_b32_e32 v37, v111
	v_add_f64 v[4:5], v[4:5], -v[102:103]
.LBB48_356:
	s_or_b32 exec_lo, exec_lo, s0
	v_lshl_add_u32 v102, v116, 4, v1
	s_barrier
	buffer_gl0_inv
	v_mov_b32_e32 v110, 17
	ds_write2_b64 v102, v[30:31], v[32:33] offset1:1
	s_waitcnt lgkmcnt(0)
	s_barrier
	buffer_gl0_inv
	ds_read2_b64 v[102:105], v1 offset0:34 offset1:35
	s_cmp_lt_i32 s18, 19
	s_cbranch_scc1 .LBB48_359
; %bb.357:
	v_add3_u32 v111, v112, 0, 0x120
	v_mov_b32_e32 v110, 17
	s_mov_b32 s1, 18
	s_inst_prefetch 0x1
	.p2align	6
.LBB48_358:                             ; =>This Inner Loop Header: Depth=1
	s_waitcnt lgkmcnt(0)
	v_cmp_gt_f64_e32 vcc_lo, 0, v[104:105]
	v_cmp_gt_f64_e64 s0, 0, v[102:103]
	ds_read2_b64 v[117:120], v111 offset1:1
	v_xor_b32_e32 v122, 0x80000000, v103
	v_xor_b32_e32 v124, 0x80000000, v105
	v_mov_b32_e32 v121, v102
	v_mov_b32_e32 v123, v104
	v_add_nc_u32_e32 v111, 16, v111
	s_waitcnt lgkmcnt(0)
	v_xor_b32_e32 v126, 0x80000000, v120
	v_cndmask_b32_e64 v122, v103, v122, s0
	v_cndmask_b32_e32 v124, v105, v124, vcc_lo
	v_cmp_gt_f64_e32 vcc_lo, 0, v[119:120]
	v_cmp_gt_f64_e64 s0, 0, v[117:118]
	v_mov_b32_e32 v125, v119
	v_add_f64 v[121:122], v[121:122], v[123:124]
	v_xor_b32_e32 v124, 0x80000000, v118
	v_mov_b32_e32 v123, v117
	v_cndmask_b32_e32 v126, v120, v126, vcc_lo
	v_cndmask_b32_e64 v124, v118, v124, s0
	v_add_f64 v[123:124], v[123:124], v[125:126]
	v_cmp_lt_f64_e32 vcc_lo, v[121:122], v[123:124]
	v_cndmask_b32_e32 v103, v103, v118, vcc_lo
	v_cndmask_b32_e32 v102, v102, v117, vcc_lo
	;; [unrolled: 1-line block ×4, first 2 shown]
	v_cndmask_b32_e64 v110, v110, s1, vcc_lo
	s_add_i32 s1, s1, 1
	s_cmp_lg_u32 s18, s1
	s_cbranch_scc1 .LBB48_358
.LBB48_359:
	s_inst_prefetch 0x2
	s_waitcnt lgkmcnt(0)
	v_cmp_eq_f64_e32 vcc_lo, 0, v[102:103]
	v_cmp_eq_f64_e64 s0, 0, v[104:105]
	s_and_b32 s0, vcc_lo, s0
	s_and_saveexec_b32 s1, s0
	s_xor_b32 s0, exec_lo, s1
; %bb.360:
	v_cmp_ne_u32_e32 vcc_lo, 0, v115
	v_cndmask_b32_e32 v115, 18, v115, vcc_lo
; %bb.361:
	s_andn2_saveexec_b32 s0, s0
	s_cbranch_execz .LBB48_367
; %bb.362:
	v_cmp_ngt_f64_e64 s1, |v[102:103]|, |v[104:105]|
	s_and_saveexec_b32 s2, s1
	s_xor_b32 s1, exec_lo, s2
	s_cbranch_execz .LBB48_364
; %bb.363:
	v_div_scale_f64 v[117:118], null, v[104:105], v[104:105], v[102:103]
	v_div_scale_f64 v[123:124], vcc_lo, v[102:103], v[104:105], v[102:103]
	v_rcp_f64_e32 v[119:120], v[117:118]
	v_fma_f64 v[121:122], -v[117:118], v[119:120], 1.0
	v_fma_f64 v[119:120], v[119:120], v[121:122], v[119:120]
	v_fma_f64 v[121:122], -v[117:118], v[119:120], 1.0
	v_fma_f64 v[119:120], v[119:120], v[121:122], v[119:120]
	v_mul_f64 v[121:122], v[123:124], v[119:120]
	v_fma_f64 v[117:118], -v[117:118], v[121:122], v[123:124]
	v_div_fmas_f64 v[117:118], v[117:118], v[119:120], v[121:122]
	v_div_fixup_f64 v[117:118], v[117:118], v[104:105], v[102:103]
	v_fma_f64 v[102:103], v[102:103], v[117:118], v[104:105]
	v_div_scale_f64 v[104:105], null, v[102:103], v[102:103], 1.0
	v_rcp_f64_e32 v[119:120], v[104:105]
	v_fma_f64 v[121:122], -v[104:105], v[119:120], 1.0
	v_fma_f64 v[119:120], v[119:120], v[121:122], v[119:120]
	v_fma_f64 v[121:122], -v[104:105], v[119:120], 1.0
	v_fma_f64 v[119:120], v[119:120], v[121:122], v[119:120]
	v_div_scale_f64 v[121:122], vcc_lo, 1.0, v[102:103], 1.0
	v_mul_f64 v[123:124], v[121:122], v[119:120]
	v_fma_f64 v[104:105], -v[104:105], v[123:124], v[121:122]
	v_div_fmas_f64 v[104:105], v[104:105], v[119:120], v[123:124]
	v_div_fixup_f64 v[104:105], v[104:105], v[102:103], 1.0
	v_mul_f64 v[102:103], v[117:118], v[104:105]
	v_xor_b32_e32 v105, 0x80000000, v105
.LBB48_364:
	s_andn2_saveexec_b32 s1, s1
	s_cbranch_execz .LBB48_366
; %bb.365:
	v_div_scale_f64 v[117:118], null, v[102:103], v[102:103], v[104:105]
	v_div_scale_f64 v[123:124], vcc_lo, v[104:105], v[102:103], v[104:105]
	v_rcp_f64_e32 v[119:120], v[117:118]
	v_fma_f64 v[121:122], -v[117:118], v[119:120], 1.0
	v_fma_f64 v[119:120], v[119:120], v[121:122], v[119:120]
	v_fma_f64 v[121:122], -v[117:118], v[119:120], 1.0
	v_fma_f64 v[119:120], v[119:120], v[121:122], v[119:120]
	v_mul_f64 v[121:122], v[123:124], v[119:120]
	v_fma_f64 v[117:118], -v[117:118], v[121:122], v[123:124]
	v_div_fmas_f64 v[117:118], v[117:118], v[119:120], v[121:122]
	v_div_fixup_f64 v[117:118], v[117:118], v[102:103], v[104:105]
	v_fma_f64 v[102:103], v[104:105], v[117:118], v[102:103]
	v_div_scale_f64 v[104:105], null, v[102:103], v[102:103], 1.0
	v_rcp_f64_e32 v[119:120], v[104:105]
	v_fma_f64 v[121:122], -v[104:105], v[119:120], 1.0
	v_fma_f64 v[119:120], v[119:120], v[121:122], v[119:120]
	v_fma_f64 v[121:122], -v[104:105], v[119:120], 1.0
	v_fma_f64 v[119:120], v[119:120], v[121:122], v[119:120]
	v_div_scale_f64 v[121:122], vcc_lo, 1.0, v[102:103], 1.0
	v_mul_f64 v[123:124], v[121:122], v[119:120]
	v_fma_f64 v[104:105], -v[104:105], v[123:124], v[121:122]
	v_div_fmas_f64 v[104:105], v[104:105], v[119:120], v[123:124]
	v_div_fixup_f64 v[102:103], v[104:105], v[102:103], 1.0
	v_mul_f64 v[104:105], v[117:118], -v[102:103]
.LBB48_366:
	s_or_b32 exec_lo, exec_lo, s1
.LBB48_367:
	s_or_b32 exec_lo, exec_lo, s0
	s_mov_b32 s0, exec_lo
	v_cmpx_ne_u32_e64 v116, v110
	s_xor_b32 s0, exec_lo, s0
	s_cbranch_execz .LBB48_373
; %bb.368:
	s_mov_b32 s1, exec_lo
	v_cmpx_eq_u32_e32 17, v116
	s_cbranch_execz .LBB48_372
; %bb.369:
	v_cmp_ne_u32_e32 vcc_lo, 17, v110
	s_xor_b32 s2, s16, -1
	s_and_b32 s3, s2, vcc_lo
	s_and_saveexec_b32 s2, s3
	s_cbranch_execz .LBB48_371
; %bb.370:
	v_ashrrev_i32_e32 v111, 31, v110
	v_lshlrev_b64 v[116:117], 2, v[110:111]
	v_add_co_u32 v116, vcc_lo, v108, v116
	v_add_co_ci_u32_e64 v117, null, v109, v117, vcc_lo
	s_clause 0x1
	global_load_dword v0, v[116:117], off
	global_load_dword v111, v[108:109], off offset:68
	s_waitcnt vmcnt(1)
	global_store_dword v[108:109], v0, off offset:68
	s_waitcnt vmcnt(0)
	global_store_dword v[116:117], v111, off
.LBB48_371:
	s_or_b32 exec_lo, exec_lo, s2
	v_mov_b32_e32 v116, v110
	v_mov_b32_e32 v0, v110
.LBB48_372:
	s_or_b32 exec_lo, exec_lo, s1
.LBB48_373:
	s_andn2_saveexec_b32 s0, s0
	s_cbranch_execz .LBB48_375
; %bb.374:
	v_mov_b32_e32 v116, 17
	ds_write2_b64 v1, v[26:27], v[28:29] offset0:36 offset1:37
	ds_write2_b64 v1, v[22:23], v[24:25] offset0:38 offset1:39
	;; [unrolled: 1-line block ×7, first 2 shown]
.LBB48_375:
	s_or_b32 exec_lo, exec_lo, s0
	s_mov_b32 s0, exec_lo
	s_waitcnt lgkmcnt(0)
	s_waitcnt_vscnt null, 0x0
	s_barrier
	buffer_gl0_inv
	v_cmpx_lt_i32_e32 17, v116
	s_cbranch_execz .LBB48_377
; %bb.376:
	v_mul_f64 v[110:111], v[102:103], v[32:33]
	v_mul_f64 v[32:33], v[104:105], v[32:33]
	v_fma_f64 v[110:111], v[104:105], v[30:31], v[110:111]
	v_fma_f64 v[30:31], v[102:103], v[30:31], -v[32:33]
	ds_read2_b64 v[102:105], v1 offset0:36 offset1:37
	s_waitcnt lgkmcnt(0)
	v_mul_f64 v[32:33], v[104:105], v[110:111]
	v_fma_f64 v[32:33], v[102:103], v[30:31], -v[32:33]
	v_mul_f64 v[102:103], v[102:103], v[110:111]
	v_add_f64 v[26:27], v[26:27], -v[32:33]
	v_fma_f64 v[102:103], v[104:105], v[30:31], v[102:103]
	v_add_f64 v[28:29], v[28:29], -v[102:103]
	ds_read2_b64 v[102:105], v1 offset0:38 offset1:39
	s_waitcnt lgkmcnt(0)
	v_mul_f64 v[32:33], v[104:105], v[110:111]
	v_fma_f64 v[32:33], v[102:103], v[30:31], -v[32:33]
	v_mul_f64 v[102:103], v[102:103], v[110:111]
	v_add_f64 v[22:23], v[22:23], -v[32:33]
	v_fma_f64 v[102:103], v[104:105], v[30:31], v[102:103]
	v_add_f64 v[24:25], v[24:25], -v[102:103]
	;; [unrolled: 8-line block ×6, first 2 shown]
	ds_read2_b64 v[102:105], v1 offset0:48 offset1:49
	s_waitcnt lgkmcnt(0)
	v_mul_f64 v[32:33], v[104:105], v[110:111]
	v_fma_f64 v[32:33], v[102:103], v[30:31], -v[32:33]
	v_mul_f64 v[102:103], v[102:103], v[110:111]
	v_add_f64 v[2:3], v[2:3], -v[32:33]
	v_fma_f64 v[102:103], v[104:105], v[30:31], v[102:103]
	v_mov_b32_e32 v32, v110
	v_mov_b32_e32 v33, v111
	v_add_f64 v[4:5], v[4:5], -v[102:103]
.LBB48_377:
	s_or_b32 exec_lo, exec_lo, s0
	v_lshl_add_u32 v102, v116, 4, v1
	s_barrier
	buffer_gl0_inv
	v_mov_b32_e32 v110, 18
	ds_write2_b64 v102, v[26:27], v[28:29] offset1:1
	s_waitcnt lgkmcnt(0)
	s_barrier
	buffer_gl0_inv
	ds_read2_b64 v[102:105], v1 offset0:36 offset1:37
	s_cmp_lt_i32 s18, 20
	s_cbranch_scc1 .LBB48_380
; %bb.378:
	v_add3_u32 v111, v112, 0, 0x130
	v_mov_b32_e32 v110, 18
	s_mov_b32 s1, 19
	s_inst_prefetch 0x1
	.p2align	6
.LBB48_379:                             ; =>This Inner Loop Header: Depth=1
	s_waitcnt lgkmcnt(0)
	v_cmp_gt_f64_e32 vcc_lo, 0, v[104:105]
	v_cmp_gt_f64_e64 s0, 0, v[102:103]
	ds_read2_b64 v[117:120], v111 offset1:1
	v_xor_b32_e32 v122, 0x80000000, v103
	v_xor_b32_e32 v124, 0x80000000, v105
	v_mov_b32_e32 v121, v102
	v_mov_b32_e32 v123, v104
	v_add_nc_u32_e32 v111, 16, v111
	s_waitcnt lgkmcnt(0)
	v_xor_b32_e32 v126, 0x80000000, v120
	v_cndmask_b32_e64 v122, v103, v122, s0
	v_cndmask_b32_e32 v124, v105, v124, vcc_lo
	v_cmp_gt_f64_e32 vcc_lo, 0, v[119:120]
	v_cmp_gt_f64_e64 s0, 0, v[117:118]
	v_mov_b32_e32 v125, v119
	v_add_f64 v[121:122], v[121:122], v[123:124]
	v_xor_b32_e32 v124, 0x80000000, v118
	v_mov_b32_e32 v123, v117
	v_cndmask_b32_e32 v126, v120, v126, vcc_lo
	v_cndmask_b32_e64 v124, v118, v124, s0
	v_add_f64 v[123:124], v[123:124], v[125:126]
	v_cmp_lt_f64_e32 vcc_lo, v[121:122], v[123:124]
	v_cndmask_b32_e32 v103, v103, v118, vcc_lo
	v_cndmask_b32_e32 v102, v102, v117, vcc_lo
	;; [unrolled: 1-line block ×4, first 2 shown]
	v_cndmask_b32_e64 v110, v110, s1, vcc_lo
	s_add_i32 s1, s1, 1
	s_cmp_lg_u32 s18, s1
	s_cbranch_scc1 .LBB48_379
.LBB48_380:
	s_inst_prefetch 0x2
	s_waitcnt lgkmcnt(0)
	v_cmp_eq_f64_e32 vcc_lo, 0, v[102:103]
	v_cmp_eq_f64_e64 s0, 0, v[104:105]
	s_and_b32 s0, vcc_lo, s0
	s_and_saveexec_b32 s1, s0
	s_xor_b32 s0, exec_lo, s1
; %bb.381:
	v_cmp_ne_u32_e32 vcc_lo, 0, v115
	v_cndmask_b32_e32 v115, 19, v115, vcc_lo
; %bb.382:
	s_andn2_saveexec_b32 s0, s0
	s_cbranch_execz .LBB48_388
; %bb.383:
	v_cmp_ngt_f64_e64 s1, |v[102:103]|, |v[104:105]|
	s_and_saveexec_b32 s2, s1
	s_xor_b32 s1, exec_lo, s2
	s_cbranch_execz .LBB48_385
; %bb.384:
	v_div_scale_f64 v[117:118], null, v[104:105], v[104:105], v[102:103]
	v_div_scale_f64 v[123:124], vcc_lo, v[102:103], v[104:105], v[102:103]
	v_rcp_f64_e32 v[119:120], v[117:118]
	v_fma_f64 v[121:122], -v[117:118], v[119:120], 1.0
	v_fma_f64 v[119:120], v[119:120], v[121:122], v[119:120]
	v_fma_f64 v[121:122], -v[117:118], v[119:120], 1.0
	v_fma_f64 v[119:120], v[119:120], v[121:122], v[119:120]
	v_mul_f64 v[121:122], v[123:124], v[119:120]
	v_fma_f64 v[117:118], -v[117:118], v[121:122], v[123:124]
	v_div_fmas_f64 v[117:118], v[117:118], v[119:120], v[121:122]
	v_div_fixup_f64 v[117:118], v[117:118], v[104:105], v[102:103]
	v_fma_f64 v[102:103], v[102:103], v[117:118], v[104:105]
	v_div_scale_f64 v[104:105], null, v[102:103], v[102:103], 1.0
	v_rcp_f64_e32 v[119:120], v[104:105]
	v_fma_f64 v[121:122], -v[104:105], v[119:120], 1.0
	v_fma_f64 v[119:120], v[119:120], v[121:122], v[119:120]
	v_fma_f64 v[121:122], -v[104:105], v[119:120], 1.0
	v_fma_f64 v[119:120], v[119:120], v[121:122], v[119:120]
	v_div_scale_f64 v[121:122], vcc_lo, 1.0, v[102:103], 1.0
	v_mul_f64 v[123:124], v[121:122], v[119:120]
	v_fma_f64 v[104:105], -v[104:105], v[123:124], v[121:122]
	v_div_fmas_f64 v[104:105], v[104:105], v[119:120], v[123:124]
	v_div_fixup_f64 v[104:105], v[104:105], v[102:103], 1.0
	v_mul_f64 v[102:103], v[117:118], v[104:105]
	v_xor_b32_e32 v105, 0x80000000, v105
.LBB48_385:
	s_andn2_saveexec_b32 s1, s1
	s_cbranch_execz .LBB48_387
; %bb.386:
	v_div_scale_f64 v[117:118], null, v[102:103], v[102:103], v[104:105]
	v_div_scale_f64 v[123:124], vcc_lo, v[104:105], v[102:103], v[104:105]
	v_rcp_f64_e32 v[119:120], v[117:118]
	v_fma_f64 v[121:122], -v[117:118], v[119:120], 1.0
	v_fma_f64 v[119:120], v[119:120], v[121:122], v[119:120]
	v_fma_f64 v[121:122], -v[117:118], v[119:120], 1.0
	v_fma_f64 v[119:120], v[119:120], v[121:122], v[119:120]
	v_mul_f64 v[121:122], v[123:124], v[119:120]
	v_fma_f64 v[117:118], -v[117:118], v[121:122], v[123:124]
	v_div_fmas_f64 v[117:118], v[117:118], v[119:120], v[121:122]
	v_div_fixup_f64 v[117:118], v[117:118], v[102:103], v[104:105]
	v_fma_f64 v[102:103], v[104:105], v[117:118], v[102:103]
	v_div_scale_f64 v[104:105], null, v[102:103], v[102:103], 1.0
	v_rcp_f64_e32 v[119:120], v[104:105]
	v_fma_f64 v[121:122], -v[104:105], v[119:120], 1.0
	v_fma_f64 v[119:120], v[119:120], v[121:122], v[119:120]
	v_fma_f64 v[121:122], -v[104:105], v[119:120], 1.0
	v_fma_f64 v[119:120], v[119:120], v[121:122], v[119:120]
	v_div_scale_f64 v[121:122], vcc_lo, 1.0, v[102:103], 1.0
	v_mul_f64 v[123:124], v[121:122], v[119:120]
	v_fma_f64 v[104:105], -v[104:105], v[123:124], v[121:122]
	v_div_fmas_f64 v[104:105], v[104:105], v[119:120], v[123:124]
	v_div_fixup_f64 v[102:103], v[104:105], v[102:103], 1.0
	v_mul_f64 v[104:105], v[117:118], -v[102:103]
.LBB48_387:
	s_or_b32 exec_lo, exec_lo, s1
.LBB48_388:
	s_or_b32 exec_lo, exec_lo, s0
	s_mov_b32 s0, exec_lo
	v_cmpx_ne_u32_e64 v116, v110
	s_xor_b32 s0, exec_lo, s0
	s_cbranch_execz .LBB48_394
; %bb.389:
	s_mov_b32 s1, exec_lo
	v_cmpx_eq_u32_e32 18, v116
	s_cbranch_execz .LBB48_393
; %bb.390:
	v_cmp_ne_u32_e32 vcc_lo, 18, v110
	s_xor_b32 s2, s16, -1
	s_and_b32 s3, s2, vcc_lo
	s_and_saveexec_b32 s2, s3
	s_cbranch_execz .LBB48_392
; %bb.391:
	v_ashrrev_i32_e32 v111, 31, v110
	v_lshlrev_b64 v[116:117], 2, v[110:111]
	v_add_co_u32 v116, vcc_lo, v108, v116
	v_add_co_ci_u32_e64 v117, null, v109, v117, vcc_lo
	s_clause 0x1
	global_load_dword v0, v[116:117], off
	global_load_dword v111, v[108:109], off offset:72
	s_waitcnt vmcnt(1)
	global_store_dword v[108:109], v0, off offset:72
	s_waitcnt vmcnt(0)
	global_store_dword v[116:117], v111, off
.LBB48_392:
	s_or_b32 exec_lo, exec_lo, s2
	v_mov_b32_e32 v116, v110
	v_mov_b32_e32 v0, v110
.LBB48_393:
	s_or_b32 exec_lo, exec_lo, s1
.LBB48_394:
	s_andn2_saveexec_b32 s0, s0
	s_cbranch_execz .LBB48_396
; %bb.395:
	v_mov_b32_e32 v116, 18
	ds_write2_b64 v1, v[22:23], v[24:25] offset0:38 offset1:39
	ds_write2_b64 v1, v[18:19], v[20:21] offset0:40 offset1:41
	;; [unrolled: 1-line block ×6, first 2 shown]
.LBB48_396:
	s_or_b32 exec_lo, exec_lo, s0
	s_mov_b32 s0, exec_lo
	s_waitcnt lgkmcnt(0)
	s_waitcnt_vscnt null, 0x0
	s_barrier
	buffer_gl0_inv
	v_cmpx_lt_i32_e32 18, v116
	s_cbranch_execz .LBB48_398
; %bb.397:
	v_mul_f64 v[110:111], v[102:103], v[28:29]
	v_mul_f64 v[28:29], v[104:105], v[28:29]
	v_fma_f64 v[110:111], v[104:105], v[26:27], v[110:111]
	v_fma_f64 v[26:27], v[102:103], v[26:27], -v[28:29]
	ds_read2_b64 v[102:105], v1 offset0:38 offset1:39
	s_waitcnt lgkmcnt(0)
	v_mul_f64 v[28:29], v[104:105], v[110:111]
	v_fma_f64 v[28:29], v[102:103], v[26:27], -v[28:29]
	v_mul_f64 v[102:103], v[102:103], v[110:111]
	v_add_f64 v[22:23], v[22:23], -v[28:29]
	v_fma_f64 v[102:103], v[104:105], v[26:27], v[102:103]
	v_add_f64 v[24:25], v[24:25], -v[102:103]
	ds_read2_b64 v[102:105], v1 offset0:40 offset1:41
	s_waitcnt lgkmcnt(0)
	v_mul_f64 v[28:29], v[104:105], v[110:111]
	v_fma_f64 v[28:29], v[102:103], v[26:27], -v[28:29]
	v_mul_f64 v[102:103], v[102:103], v[110:111]
	v_add_f64 v[18:19], v[18:19], -v[28:29]
	v_fma_f64 v[102:103], v[104:105], v[26:27], v[102:103]
	v_add_f64 v[20:21], v[20:21], -v[102:103]
	;; [unrolled: 8-line block ×5, first 2 shown]
	ds_read2_b64 v[102:105], v1 offset0:48 offset1:49
	s_waitcnt lgkmcnt(0)
	v_mul_f64 v[28:29], v[104:105], v[110:111]
	v_fma_f64 v[28:29], v[102:103], v[26:27], -v[28:29]
	v_mul_f64 v[102:103], v[102:103], v[110:111]
	v_add_f64 v[2:3], v[2:3], -v[28:29]
	v_fma_f64 v[102:103], v[104:105], v[26:27], v[102:103]
	v_mov_b32_e32 v28, v110
	v_mov_b32_e32 v29, v111
	v_add_f64 v[4:5], v[4:5], -v[102:103]
.LBB48_398:
	s_or_b32 exec_lo, exec_lo, s0
	v_lshl_add_u32 v102, v116, 4, v1
	s_barrier
	buffer_gl0_inv
	v_mov_b32_e32 v110, 19
	ds_write2_b64 v102, v[22:23], v[24:25] offset1:1
	s_waitcnt lgkmcnt(0)
	s_barrier
	buffer_gl0_inv
	ds_read2_b64 v[102:105], v1 offset0:38 offset1:39
	s_cmp_lt_i32 s18, 21
	s_cbranch_scc1 .LBB48_401
; %bb.399:
	v_add3_u32 v111, v112, 0, 0x140
	v_mov_b32_e32 v110, 19
	s_mov_b32 s1, 20
	s_inst_prefetch 0x1
	.p2align	6
.LBB48_400:                             ; =>This Inner Loop Header: Depth=1
	s_waitcnt lgkmcnt(0)
	v_cmp_gt_f64_e32 vcc_lo, 0, v[104:105]
	v_cmp_gt_f64_e64 s0, 0, v[102:103]
	ds_read2_b64 v[117:120], v111 offset1:1
	v_xor_b32_e32 v122, 0x80000000, v103
	v_xor_b32_e32 v124, 0x80000000, v105
	v_mov_b32_e32 v121, v102
	v_mov_b32_e32 v123, v104
	v_add_nc_u32_e32 v111, 16, v111
	s_waitcnt lgkmcnt(0)
	v_xor_b32_e32 v126, 0x80000000, v120
	v_cndmask_b32_e64 v122, v103, v122, s0
	v_cndmask_b32_e32 v124, v105, v124, vcc_lo
	v_cmp_gt_f64_e32 vcc_lo, 0, v[119:120]
	v_cmp_gt_f64_e64 s0, 0, v[117:118]
	v_mov_b32_e32 v125, v119
	v_add_f64 v[121:122], v[121:122], v[123:124]
	v_xor_b32_e32 v124, 0x80000000, v118
	v_mov_b32_e32 v123, v117
	v_cndmask_b32_e32 v126, v120, v126, vcc_lo
	v_cndmask_b32_e64 v124, v118, v124, s0
	v_add_f64 v[123:124], v[123:124], v[125:126]
	v_cmp_lt_f64_e32 vcc_lo, v[121:122], v[123:124]
	v_cndmask_b32_e32 v103, v103, v118, vcc_lo
	v_cndmask_b32_e32 v102, v102, v117, vcc_lo
	;; [unrolled: 1-line block ×4, first 2 shown]
	v_cndmask_b32_e64 v110, v110, s1, vcc_lo
	s_add_i32 s1, s1, 1
	s_cmp_lg_u32 s18, s1
	s_cbranch_scc1 .LBB48_400
.LBB48_401:
	s_inst_prefetch 0x2
	s_waitcnt lgkmcnt(0)
	v_cmp_eq_f64_e32 vcc_lo, 0, v[102:103]
	v_cmp_eq_f64_e64 s0, 0, v[104:105]
	s_and_b32 s0, vcc_lo, s0
	s_and_saveexec_b32 s1, s0
	s_xor_b32 s0, exec_lo, s1
; %bb.402:
	v_cmp_ne_u32_e32 vcc_lo, 0, v115
	v_cndmask_b32_e32 v115, 20, v115, vcc_lo
; %bb.403:
	s_andn2_saveexec_b32 s0, s0
	s_cbranch_execz .LBB48_409
; %bb.404:
	v_cmp_ngt_f64_e64 s1, |v[102:103]|, |v[104:105]|
	s_and_saveexec_b32 s2, s1
	s_xor_b32 s1, exec_lo, s2
	s_cbranch_execz .LBB48_406
; %bb.405:
	v_div_scale_f64 v[117:118], null, v[104:105], v[104:105], v[102:103]
	v_div_scale_f64 v[123:124], vcc_lo, v[102:103], v[104:105], v[102:103]
	v_rcp_f64_e32 v[119:120], v[117:118]
	v_fma_f64 v[121:122], -v[117:118], v[119:120], 1.0
	v_fma_f64 v[119:120], v[119:120], v[121:122], v[119:120]
	v_fma_f64 v[121:122], -v[117:118], v[119:120], 1.0
	v_fma_f64 v[119:120], v[119:120], v[121:122], v[119:120]
	v_mul_f64 v[121:122], v[123:124], v[119:120]
	v_fma_f64 v[117:118], -v[117:118], v[121:122], v[123:124]
	v_div_fmas_f64 v[117:118], v[117:118], v[119:120], v[121:122]
	v_div_fixup_f64 v[117:118], v[117:118], v[104:105], v[102:103]
	v_fma_f64 v[102:103], v[102:103], v[117:118], v[104:105]
	v_div_scale_f64 v[104:105], null, v[102:103], v[102:103], 1.0
	v_rcp_f64_e32 v[119:120], v[104:105]
	v_fma_f64 v[121:122], -v[104:105], v[119:120], 1.0
	v_fma_f64 v[119:120], v[119:120], v[121:122], v[119:120]
	v_fma_f64 v[121:122], -v[104:105], v[119:120], 1.0
	v_fma_f64 v[119:120], v[119:120], v[121:122], v[119:120]
	v_div_scale_f64 v[121:122], vcc_lo, 1.0, v[102:103], 1.0
	v_mul_f64 v[123:124], v[121:122], v[119:120]
	v_fma_f64 v[104:105], -v[104:105], v[123:124], v[121:122]
	v_div_fmas_f64 v[104:105], v[104:105], v[119:120], v[123:124]
	v_div_fixup_f64 v[104:105], v[104:105], v[102:103], 1.0
	v_mul_f64 v[102:103], v[117:118], v[104:105]
	v_xor_b32_e32 v105, 0x80000000, v105
.LBB48_406:
	s_andn2_saveexec_b32 s1, s1
	s_cbranch_execz .LBB48_408
; %bb.407:
	v_div_scale_f64 v[117:118], null, v[102:103], v[102:103], v[104:105]
	v_div_scale_f64 v[123:124], vcc_lo, v[104:105], v[102:103], v[104:105]
	v_rcp_f64_e32 v[119:120], v[117:118]
	v_fma_f64 v[121:122], -v[117:118], v[119:120], 1.0
	v_fma_f64 v[119:120], v[119:120], v[121:122], v[119:120]
	v_fma_f64 v[121:122], -v[117:118], v[119:120], 1.0
	v_fma_f64 v[119:120], v[119:120], v[121:122], v[119:120]
	v_mul_f64 v[121:122], v[123:124], v[119:120]
	v_fma_f64 v[117:118], -v[117:118], v[121:122], v[123:124]
	v_div_fmas_f64 v[117:118], v[117:118], v[119:120], v[121:122]
	v_div_fixup_f64 v[117:118], v[117:118], v[102:103], v[104:105]
	v_fma_f64 v[102:103], v[104:105], v[117:118], v[102:103]
	v_div_scale_f64 v[104:105], null, v[102:103], v[102:103], 1.0
	v_rcp_f64_e32 v[119:120], v[104:105]
	v_fma_f64 v[121:122], -v[104:105], v[119:120], 1.0
	v_fma_f64 v[119:120], v[119:120], v[121:122], v[119:120]
	v_fma_f64 v[121:122], -v[104:105], v[119:120], 1.0
	v_fma_f64 v[119:120], v[119:120], v[121:122], v[119:120]
	v_div_scale_f64 v[121:122], vcc_lo, 1.0, v[102:103], 1.0
	v_mul_f64 v[123:124], v[121:122], v[119:120]
	v_fma_f64 v[104:105], -v[104:105], v[123:124], v[121:122]
	v_div_fmas_f64 v[104:105], v[104:105], v[119:120], v[123:124]
	v_div_fixup_f64 v[102:103], v[104:105], v[102:103], 1.0
	v_mul_f64 v[104:105], v[117:118], -v[102:103]
.LBB48_408:
	s_or_b32 exec_lo, exec_lo, s1
.LBB48_409:
	s_or_b32 exec_lo, exec_lo, s0
	s_mov_b32 s0, exec_lo
	v_cmpx_ne_u32_e64 v116, v110
	s_xor_b32 s0, exec_lo, s0
	s_cbranch_execz .LBB48_415
; %bb.410:
	s_mov_b32 s1, exec_lo
	v_cmpx_eq_u32_e32 19, v116
	s_cbranch_execz .LBB48_414
; %bb.411:
	v_cmp_ne_u32_e32 vcc_lo, 19, v110
	s_xor_b32 s2, s16, -1
	s_and_b32 s3, s2, vcc_lo
	s_and_saveexec_b32 s2, s3
	s_cbranch_execz .LBB48_413
; %bb.412:
	v_ashrrev_i32_e32 v111, 31, v110
	v_lshlrev_b64 v[116:117], 2, v[110:111]
	v_add_co_u32 v116, vcc_lo, v108, v116
	v_add_co_ci_u32_e64 v117, null, v109, v117, vcc_lo
	s_clause 0x1
	global_load_dword v0, v[116:117], off
	global_load_dword v111, v[108:109], off offset:76
	s_waitcnt vmcnt(1)
	global_store_dword v[108:109], v0, off offset:76
	s_waitcnt vmcnt(0)
	global_store_dword v[116:117], v111, off
.LBB48_413:
	s_or_b32 exec_lo, exec_lo, s2
	v_mov_b32_e32 v116, v110
	v_mov_b32_e32 v0, v110
.LBB48_414:
	s_or_b32 exec_lo, exec_lo, s1
.LBB48_415:
	s_andn2_saveexec_b32 s0, s0
	s_cbranch_execz .LBB48_417
; %bb.416:
	v_mov_b32_e32 v116, 19
	ds_write2_b64 v1, v[18:19], v[20:21] offset0:40 offset1:41
	ds_write2_b64 v1, v[14:15], v[16:17] offset0:42 offset1:43
	;; [unrolled: 1-line block ×5, first 2 shown]
.LBB48_417:
	s_or_b32 exec_lo, exec_lo, s0
	s_mov_b32 s0, exec_lo
	s_waitcnt lgkmcnt(0)
	s_waitcnt_vscnt null, 0x0
	s_barrier
	buffer_gl0_inv
	v_cmpx_lt_i32_e32 19, v116
	s_cbranch_execz .LBB48_419
; %bb.418:
	v_mul_f64 v[110:111], v[102:103], v[24:25]
	v_mul_f64 v[24:25], v[104:105], v[24:25]
	v_fma_f64 v[110:111], v[104:105], v[22:23], v[110:111]
	v_fma_f64 v[22:23], v[102:103], v[22:23], -v[24:25]
	ds_read2_b64 v[102:105], v1 offset0:40 offset1:41
	s_waitcnt lgkmcnt(0)
	v_mul_f64 v[24:25], v[104:105], v[110:111]
	v_fma_f64 v[24:25], v[102:103], v[22:23], -v[24:25]
	v_mul_f64 v[102:103], v[102:103], v[110:111]
	v_add_f64 v[18:19], v[18:19], -v[24:25]
	v_fma_f64 v[102:103], v[104:105], v[22:23], v[102:103]
	v_add_f64 v[20:21], v[20:21], -v[102:103]
	ds_read2_b64 v[102:105], v1 offset0:42 offset1:43
	s_waitcnt lgkmcnt(0)
	v_mul_f64 v[24:25], v[104:105], v[110:111]
	v_fma_f64 v[24:25], v[102:103], v[22:23], -v[24:25]
	v_mul_f64 v[102:103], v[102:103], v[110:111]
	v_add_f64 v[14:15], v[14:15], -v[24:25]
	v_fma_f64 v[102:103], v[104:105], v[22:23], v[102:103]
	v_add_f64 v[16:17], v[16:17], -v[102:103]
	;; [unrolled: 8-line block ×4, first 2 shown]
	ds_read2_b64 v[102:105], v1 offset0:48 offset1:49
	s_waitcnt lgkmcnt(0)
	v_mul_f64 v[24:25], v[104:105], v[110:111]
	v_fma_f64 v[24:25], v[102:103], v[22:23], -v[24:25]
	v_mul_f64 v[102:103], v[102:103], v[110:111]
	v_add_f64 v[2:3], v[2:3], -v[24:25]
	v_fma_f64 v[102:103], v[104:105], v[22:23], v[102:103]
	v_mov_b32_e32 v24, v110
	v_mov_b32_e32 v25, v111
	v_add_f64 v[4:5], v[4:5], -v[102:103]
.LBB48_419:
	s_or_b32 exec_lo, exec_lo, s0
	v_lshl_add_u32 v102, v116, 4, v1
	s_barrier
	buffer_gl0_inv
	v_mov_b32_e32 v110, 20
	ds_write2_b64 v102, v[18:19], v[20:21] offset1:1
	s_waitcnt lgkmcnt(0)
	s_barrier
	buffer_gl0_inv
	ds_read2_b64 v[102:105], v1 offset0:40 offset1:41
	s_cmp_lt_i32 s18, 22
	s_cbranch_scc1 .LBB48_422
; %bb.420:
	v_add3_u32 v111, v112, 0, 0x150
	v_mov_b32_e32 v110, 20
	s_mov_b32 s1, 21
	s_inst_prefetch 0x1
	.p2align	6
.LBB48_421:                             ; =>This Inner Loop Header: Depth=1
	s_waitcnt lgkmcnt(0)
	v_cmp_gt_f64_e32 vcc_lo, 0, v[104:105]
	v_cmp_gt_f64_e64 s0, 0, v[102:103]
	ds_read2_b64 v[117:120], v111 offset1:1
	v_xor_b32_e32 v122, 0x80000000, v103
	v_xor_b32_e32 v124, 0x80000000, v105
	v_mov_b32_e32 v121, v102
	v_mov_b32_e32 v123, v104
	v_add_nc_u32_e32 v111, 16, v111
	s_waitcnt lgkmcnt(0)
	v_xor_b32_e32 v126, 0x80000000, v120
	v_cndmask_b32_e64 v122, v103, v122, s0
	v_cndmask_b32_e32 v124, v105, v124, vcc_lo
	v_cmp_gt_f64_e32 vcc_lo, 0, v[119:120]
	v_cmp_gt_f64_e64 s0, 0, v[117:118]
	v_mov_b32_e32 v125, v119
	v_add_f64 v[121:122], v[121:122], v[123:124]
	v_xor_b32_e32 v124, 0x80000000, v118
	v_mov_b32_e32 v123, v117
	v_cndmask_b32_e32 v126, v120, v126, vcc_lo
	v_cndmask_b32_e64 v124, v118, v124, s0
	v_add_f64 v[123:124], v[123:124], v[125:126]
	v_cmp_lt_f64_e32 vcc_lo, v[121:122], v[123:124]
	v_cndmask_b32_e32 v103, v103, v118, vcc_lo
	v_cndmask_b32_e32 v102, v102, v117, vcc_lo
	;; [unrolled: 1-line block ×4, first 2 shown]
	v_cndmask_b32_e64 v110, v110, s1, vcc_lo
	s_add_i32 s1, s1, 1
	s_cmp_lg_u32 s18, s1
	s_cbranch_scc1 .LBB48_421
.LBB48_422:
	s_inst_prefetch 0x2
	s_waitcnt lgkmcnt(0)
	v_cmp_eq_f64_e32 vcc_lo, 0, v[102:103]
	v_cmp_eq_f64_e64 s0, 0, v[104:105]
	s_and_b32 s0, vcc_lo, s0
	s_and_saveexec_b32 s1, s0
	s_xor_b32 s0, exec_lo, s1
; %bb.423:
	v_cmp_ne_u32_e32 vcc_lo, 0, v115
	v_cndmask_b32_e32 v115, 21, v115, vcc_lo
; %bb.424:
	s_andn2_saveexec_b32 s0, s0
	s_cbranch_execz .LBB48_430
; %bb.425:
	v_cmp_ngt_f64_e64 s1, |v[102:103]|, |v[104:105]|
	s_and_saveexec_b32 s2, s1
	s_xor_b32 s1, exec_lo, s2
	s_cbranch_execz .LBB48_427
; %bb.426:
	v_div_scale_f64 v[117:118], null, v[104:105], v[104:105], v[102:103]
	v_div_scale_f64 v[123:124], vcc_lo, v[102:103], v[104:105], v[102:103]
	v_rcp_f64_e32 v[119:120], v[117:118]
	v_fma_f64 v[121:122], -v[117:118], v[119:120], 1.0
	v_fma_f64 v[119:120], v[119:120], v[121:122], v[119:120]
	v_fma_f64 v[121:122], -v[117:118], v[119:120], 1.0
	v_fma_f64 v[119:120], v[119:120], v[121:122], v[119:120]
	v_mul_f64 v[121:122], v[123:124], v[119:120]
	v_fma_f64 v[117:118], -v[117:118], v[121:122], v[123:124]
	v_div_fmas_f64 v[117:118], v[117:118], v[119:120], v[121:122]
	v_div_fixup_f64 v[117:118], v[117:118], v[104:105], v[102:103]
	v_fma_f64 v[102:103], v[102:103], v[117:118], v[104:105]
	v_div_scale_f64 v[104:105], null, v[102:103], v[102:103], 1.0
	v_rcp_f64_e32 v[119:120], v[104:105]
	v_fma_f64 v[121:122], -v[104:105], v[119:120], 1.0
	v_fma_f64 v[119:120], v[119:120], v[121:122], v[119:120]
	v_fma_f64 v[121:122], -v[104:105], v[119:120], 1.0
	v_fma_f64 v[119:120], v[119:120], v[121:122], v[119:120]
	v_div_scale_f64 v[121:122], vcc_lo, 1.0, v[102:103], 1.0
	v_mul_f64 v[123:124], v[121:122], v[119:120]
	v_fma_f64 v[104:105], -v[104:105], v[123:124], v[121:122]
	v_div_fmas_f64 v[104:105], v[104:105], v[119:120], v[123:124]
	v_div_fixup_f64 v[104:105], v[104:105], v[102:103], 1.0
	v_mul_f64 v[102:103], v[117:118], v[104:105]
	v_xor_b32_e32 v105, 0x80000000, v105
.LBB48_427:
	s_andn2_saveexec_b32 s1, s1
	s_cbranch_execz .LBB48_429
; %bb.428:
	v_div_scale_f64 v[117:118], null, v[102:103], v[102:103], v[104:105]
	v_div_scale_f64 v[123:124], vcc_lo, v[104:105], v[102:103], v[104:105]
	v_rcp_f64_e32 v[119:120], v[117:118]
	v_fma_f64 v[121:122], -v[117:118], v[119:120], 1.0
	v_fma_f64 v[119:120], v[119:120], v[121:122], v[119:120]
	v_fma_f64 v[121:122], -v[117:118], v[119:120], 1.0
	v_fma_f64 v[119:120], v[119:120], v[121:122], v[119:120]
	v_mul_f64 v[121:122], v[123:124], v[119:120]
	v_fma_f64 v[117:118], -v[117:118], v[121:122], v[123:124]
	v_div_fmas_f64 v[117:118], v[117:118], v[119:120], v[121:122]
	v_div_fixup_f64 v[117:118], v[117:118], v[102:103], v[104:105]
	v_fma_f64 v[102:103], v[104:105], v[117:118], v[102:103]
	v_div_scale_f64 v[104:105], null, v[102:103], v[102:103], 1.0
	v_rcp_f64_e32 v[119:120], v[104:105]
	v_fma_f64 v[121:122], -v[104:105], v[119:120], 1.0
	v_fma_f64 v[119:120], v[119:120], v[121:122], v[119:120]
	v_fma_f64 v[121:122], -v[104:105], v[119:120], 1.0
	v_fma_f64 v[119:120], v[119:120], v[121:122], v[119:120]
	v_div_scale_f64 v[121:122], vcc_lo, 1.0, v[102:103], 1.0
	v_mul_f64 v[123:124], v[121:122], v[119:120]
	v_fma_f64 v[104:105], -v[104:105], v[123:124], v[121:122]
	v_div_fmas_f64 v[104:105], v[104:105], v[119:120], v[123:124]
	v_div_fixup_f64 v[102:103], v[104:105], v[102:103], 1.0
	v_mul_f64 v[104:105], v[117:118], -v[102:103]
.LBB48_429:
	s_or_b32 exec_lo, exec_lo, s1
.LBB48_430:
	s_or_b32 exec_lo, exec_lo, s0
	s_mov_b32 s0, exec_lo
	v_cmpx_ne_u32_e64 v116, v110
	s_xor_b32 s0, exec_lo, s0
	s_cbranch_execz .LBB48_436
; %bb.431:
	s_mov_b32 s1, exec_lo
	v_cmpx_eq_u32_e32 20, v116
	s_cbranch_execz .LBB48_435
; %bb.432:
	v_cmp_ne_u32_e32 vcc_lo, 20, v110
	s_xor_b32 s2, s16, -1
	s_and_b32 s3, s2, vcc_lo
	s_and_saveexec_b32 s2, s3
	s_cbranch_execz .LBB48_434
; %bb.433:
	v_ashrrev_i32_e32 v111, 31, v110
	v_lshlrev_b64 v[116:117], 2, v[110:111]
	v_add_co_u32 v116, vcc_lo, v108, v116
	v_add_co_ci_u32_e64 v117, null, v109, v117, vcc_lo
	s_clause 0x1
	global_load_dword v0, v[116:117], off
	global_load_dword v111, v[108:109], off offset:80
	s_waitcnt vmcnt(1)
	global_store_dword v[108:109], v0, off offset:80
	s_waitcnt vmcnt(0)
	global_store_dword v[116:117], v111, off
.LBB48_434:
	s_or_b32 exec_lo, exec_lo, s2
	v_mov_b32_e32 v116, v110
	v_mov_b32_e32 v0, v110
.LBB48_435:
	s_or_b32 exec_lo, exec_lo, s1
.LBB48_436:
	s_andn2_saveexec_b32 s0, s0
	s_cbranch_execz .LBB48_438
; %bb.437:
	v_mov_b32_e32 v116, 20
	ds_write2_b64 v1, v[14:15], v[16:17] offset0:42 offset1:43
	ds_write2_b64 v1, v[10:11], v[12:13] offset0:44 offset1:45
	;; [unrolled: 1-line block ×4, first 2 shown]
.LBB48_438:
	s_or_b32 exec_lo, exec_lo, s0
	s_mov_b32 s0, exec_lo
	s_waitcnt lgkmcnt(0)
	s_waitcnt_vscnt null, 0x0
	s_barrier
	buffer_gl0_inv
	v_cmpx_lt_i32_e32 20, v116
	s_cbranch_execz .LBB48_440
; %bb.439:
	v_mul_f64 v[110:111], v[102:103], v[20:21]
	v_mul_f64 v[20:21], v[104:105], v[20:21]
	v_fma_f64 v[110:111], v[104:105], v[18:19], v[110:111]
	v_fma_f64 v[18:19], v[102:103], v[18:19], -v[20:21]
	ds_read2_b64 v[102:105], v1 offset0:42 offset1:43
	s_waitcnt lgkmcnt(0)
	v_mul_f64 v[20:21], v[104:105], v[110:111]
	v_fma_f64 v[20:21], v[102:103], v[18:19], -v[20:21]
	v_mul_f64 v[102:103], v[102:103], v[110:111]
	v_add_f64 v[14:15], v[14:15], -v[20:21]
	v_fma_f64 v[102:103], v[104:105], v[18:19], v[102:103]
	v_add_f64 v[16:17], v[16:17], -v[102:103]
	ds_read2_b64 v[102:105], v1 offset0:44 offset1:45
	s_waitcnt lgkmcnt(0)
	v_mul_f64 v[20:21], v[104:105], v[110:111]
	v_fma_f64 v[20:21], v[102:103], v[18:19], -v[20:21]
	v_mul_f64 v[102:103], v[102:103], v[110:111]
	v_add_f64 v[10:11], v[10:11], -v[20:21]
	v_fma_f64 v[102:103], v[104:105], v[18:19], v[102:103]
	v_add_f64 v[12:13], v[12:13], -v[102:103]
	;; [unrolled: 8-line block ×3, first 2 shown]
	ds_read2_b64 v[102:105], v1 offset0:48 offset1:49
	s_waitcnt lgkmcnt(0)
	v_mul_f64 v[20:21], v[104:105], v[110:111]
	v_fma_f64 v[20:21], v[102:103], v[18:19], -v[20:21]
	v_mul_f64 v[102:103], v[102:103], v[110:111]
	v_add_f64 v[2:3], v[2:3], -v[20:21]
	v_fma_f64 v[102:103], v[104:105], v[18:19], v[102:103]
	v_mov_b32_e32 v20, v110
	v_mov_b32_e32 v21, v111
	v_add_f64 v[4:5], v[4:5], -v[102:103]
.LBB48_440:
	s_or_b32 exec_lo, exec_lo, s0
	v_lshl_add_u32 v102, v116, 4, v1
	s_barrier
	buffer_gl0_inv
	v_mov_b32_e32 v110, 21
	ds_write2_b64 v102, v[14:15], v[16:17] offset1:1
	s_waitcnt lgkmcnt(0)
	s_barrier
	buffer_gl0_inv
	ds_read2_b64 v[102:105], v1 offset0:42 offset1:43
	s_cmp_lt_i32 s18, 23
	s_cbranch_scc1 .LBB48_443
; %bb.441:
	v_add3_u32 v111, v112, 0, 0x160
	v_mov_b32_e32 v110, 21
	s_mov_b32 s1, 22
	s_inst_prefetch 0x1
	.p2align	6
.LBB48_442:                             ; =>This Inner Loop Header: Depth=1
	s_waitcnt lgkmcnt(0)
	v_cmp_gt_f64_e32 vcc_lo, 0, v[104:105]
	v_cmp_gt_f64_e64 s0, 0, v[102:103]
	ds_read2_b64 v[117:120], v111 offset1:1
	v_xor_b32_e32 v122, 0x80000000, v103
	v_xor_b32_e32 v124, 0x80000000, v105
	v_mov_b32_e32 v121, v102
	v_mov_b32_e32 v123, v104
	v_add_nc_u32_e32 v111, 16, v111
	s_waitcnt lgkmcnt(0)
	v_xor_b32_e32 v126, 0x80000000, v120
	v_cndmask_b32_e64 v122, v103, v122, s0
	v_cndmask_b32_e32 v124, v105, v124, vcc_lo
	v_cmp_gt_f64_e32 vcc_lo, 0, v[119:120]
	v_cmp_gt_f64_e64 s0, 0, v[117:118]
	v_mov_b32_e32 v125, v119
	v_add_f64 v[121:122], v[121:122], v[123:124]
	v_xor_b32_e32 v124, 0x80000000, v118
	v_mov_b32_e32 v123, v117
	v_cndmask_b32_e32 v126, v120, v126, vcc_lo
	v_cndmask_b32_e64 v124, v118, v124, s0
	v_add_f64 v[123:124], v[123:124], v[125:126]
	v_cmp_lt_f64_e32 vcc_lo, v[121:122], v[123:124]
	v_cndmask_b32_e32 v103, v103, v118, vcc_lo
	v_cndmask_b32_e32 v102, v102, v117, vcc_lo
	v_cndmask_b32_e32 v105, v105, v120, vcc_lo
	v_cndmask_b32_e32 v104, v104, v119, vcc_lo
	v_cndmask_b32_e64 v110, v110, s1, vcc_lo
	s_add_i32 s1, s1, 1
	s_cmp_lg_u32 s18, s1
	s_cbranch_scc1 .LBB48_442
.LBB48_443:
	s_inst_prefetch 0x2
	s_waitcnt lgkmcnt(0)
	v_cmp_eq_f64_e32 vcc_lo, 0, v[102:103]
	v_cmp_eq_f64_e64 s0, 0, v[104:105]
	s_and_b32 s0, vcc_lo, s0
	s_and_saveexec_b32 s1, s0
	s_xor_b32 s0, exec_lo, s1
; %bb.444:
	v_cmp_ne_u32_e32 vcc_lo, 0, v115
	v_cndmask_b32_e32 v115, 22, v115, vcc_lo
; %bb.445:
	s_andn2_saveexec_b32 s0, s0
	s_cbranch_execz .LBB48_451
; %bb.446:
	v_cmp_ngt_f64_e64 s1, |v[102:103]|, |v[104:105]|
	s_and_saveexec_b32 s2, s1
	s_xor_b32 s1, exec_lo, s2
	s_cbranch_execz .LBB48_448
; %bb.447:
	v_div_scale_f64 v[117:118], null, v[104:105], v[104:105], v[102:103]
	v_div_scale_f64 v[123:124], vcc_lo, v[102:103], v[104:105], v[102:103]
	v_rcp_f64_e32 v[119:120], v[117:118]
	v_fma_f64 v[121:122], -v[117:118], v[119:120], 1.0
	v_fma_f64 v[119:120], v[119:120], v[121:122], v[119:120]
	v_fma_f64 v[121:122], -v[117:118], v[119:120], 1.0
	v_fma_f64 v[119:120], v[119:120], v[121:122], v[119:120]
	v_mul_f64 v[121:122], v[123:124], v[119:120]
	v_fma_f64 v[117:118], -v[117:118], v[121:122], v[123:124]
	v_div_fmas_f64 v[117:118], v[117:118], v[119:120], v[121:122]
	v_div_fixup_f64 v[117:118], v[117:118], v[104:105], v[102:103]
	v_fma_f64 v[102:103], v[102:103], v[117:118], v[104:105]
	v_div_scale_f64 v[104:105], null, v[102:103], v[102:103], 1.0
	v_rcp_f64_e32 v[119:120], v[104:105]
	v_fma_f64 v[121:122], -v[104:105], v[119:120], 1.0
	v_fma_f64 v[119:120], v[119:120], v[121:122], v[119:120]
	v_fma_f64 v[121:122], -v[104:105], v[119:120], 1.0
	v_fma_f64 v[119:120], v[119:120], v[121:122], v[119:120]
	v_div_scale_f64 v[121:122], vcc_lo, 1.0, v[102:103], 1.0
	v_mul_f64 v[123:124], v[121:122], v[119:120]
	v_fma_f64 v[104:105], -v[104:105], v[123:124], v[121:122]
	v_div_fmas_f64 v[104:105], v[104:105], v[119:120], v[123:124]
	v_div_fixup_f64 v[104:105], v[104:105], v[102:103], 1.0
	v_mul_f64 v[102:103], v[117:118], v[104:105]
	v_xor_b32_e32 v105, 0x80000000, v105
.LBB48_448:
	s_andn2_saveexec_b32 s1, s1
	s_cbranch_execz .LBB48_450
; %bb.449:
	v_div_scale_f64 v[117:118], null, v[102:103], v[102:103], v[104:105]
	v_div_scale_f64 v[123:124], vcc_lo, v[104:105], v[102:103], v[104:105]
	v_rcp_f64_e32 v[119:120], v[117:118]
	v_fma_f64 v[121:122], -v[117:118], v[119:120], 1.0
	v_fma_f64 v[119:120], v[119:120], v[121:122], v[119:120]
	v_fma_f64 v[121:122], -v[117:118], v[119:120], 1.0
	v_fma_f64 v[119:120], v[119:120], v[121:122], v[119:120]
	v_mul_f64 v[121:122], v[123:124], v[119:120]
	v_fma_f64 v[117:118], -v[117:118], v[121:122], v[123:124]
	v_div_fmas_f64 v[117:118], v[117:118], v[119:120], v[121:122]
	v_div_fixup_f64 v[117:118], v[117:118], v[102:103], v[104:105]
	v_fma_f64 v[102:103], v[104:105], v[117:118], v[102:103]
	v_div_scale_f64 v[104:105], null, v[102:103], v[102:103], 1.0
	v_rcp_f64_e32 v[119:120], v[104:105]
	v_fma_f64 v[121:122], -v[104:105], v[119:120], 1.0
	v_fma_f64 v[119:120], v[119:120], v[121:122], v[119:120]
	v_fma_f64 v[121:122], -v[104:105], v[119:120], 1.0
	v_fma_f64 v[119:120], v[119:120], v[121:122], v[119:120]
	v_div_scale_f64 v[121:122], vcc_lo, 1.0, v[102:103], 1.0
	v_mul_f64 v[123:124], v[121:122], v[119:120]
	v_fma_f64 v[104:105], -v[104:105], v[123:124], v[121:122]
	v_div_fmas_f64 v[104:105], v[104:105], v[119:120], v[123:124]
	v_div_fixup_f64 v[102:103], v[104:105], v[102:103], 1.0
	v_mul_f64 v[104:105], v[117:118], -v[102:103]
.LBB48_450:
	s_or_b32 exec_lo, exec_lo, s1
.LBB48_451:
	s_or_b32 exec_lo, exec_lo, s0
	s_mov_b32 s0, exec_lo
	v_cmpx_ne_u32_e64 v116, v110
	s_xor_b32 s0, exec_lo, s0
	s_cbranch_execz .LBB48_457
; %bb.452:
	s_mov_b32 s1, exec_lo
	v_cmpx_eq_u32_e32 21, v116
	s_cbranch_execz .LBB48_456
; %bb.453:
	v_cmp_ne_u32_e32 vcc_lo, 21, v110
	s_xor_b32 s2, s16, -1
	s_and_b32 s3, s2, vcc_lo
	s_and_saveexec_b32 s2, s3
	s_cbranch_execz .LBB48_455
; %bb.454:
	v_ashrrev_i32_e32 v111, 31, v110
	v_lshlrev_b64 v[116:117], 2, v[110:111]
	v_add_co_u32 v116, vcc_lo, v108, v116
	v_add_co_ci_u32_e64 v117, null, v109, v117, vcc_lo
	s_clause 0x1
	global_load_dword v0, v[116:117], off
	global_load_dword v111, v[108:109], off offset:84
	s_waitcnt vmcnt(1)
	global_store_dword v[108:109], v0, off offset:84
	s_waitcnt vmcnt(0)
	global_store_dword v[116:117], v111, off
.LBB48_455:
	s_or_b32 exec_lo, exec_lo, s2
	v_mov_b32_e32 v116, v110
	v_mov_b32_e32 v0, v110
.LBB48_456:
	s_or_b32 exec_lo, exec_lo, s1
.LBB48_457:
	s_andn2_saveexec_b32 s0, s0
	s_cbranch_execz .LBB48_459
; %bb.458:
	v_mov_b32_e32 v116, 21
	ds_write2_b64 v1, v[10:11], v[12:13] offset0:44 offset1:45
	ds_write2_b64 v1, v[6:7], v[8:9] offset0:46 offset1:47
	ds_write2_b64 v1, v[2:3], v[4:5] offset0:48 offset1:49
.LBB48_459:
	s_or_b32 exec_lo, exec_lo, s0
	s_mov_b32 s0, exec_lo
	s_waitcnt lgkmcnt(0)
	s_waitcnt_vscnt null, 0x0
	s_barrier
	buffer_gl0_inv
	v_cmpx_lt_i32_e32 21, v116
	s_cbranch_execz .LBB48_461
; %bb.460:
	v_mul_f64 v[110:111], v[102:103], v[16:17]
	v_mul_f64 v[16:17], v[104:105], v[16:17]
	ds_read2_b64 v[117:120], v1 offset0:44 offset1:45
	ds_read2_b64 v[121:124], v1 offset0:46 offset1:47
	;; [unrolled: 1-line block ×3, first 2 shown]
	v_fma_f64 v[104:105], v[104:105], v[14:15], v[110:111]
	v_fma_f64 v[14:15], v[102:103], v[14:15], -v[16:17]
	s_waitcnt lgkmcnt(2)
	v_mul_f64 v[16:17], v[119:120], v[104:105]
	v_mul_f64 v[102:103], v[117:118], v[104:105]
	s_waitcnt lgkmcnt(1)
	v_mul_f64 v[110:111], v[123:124], v[104:105]
	v_mul_f64 v[129:130], v[121:122], v[104:105]
	;; [unrolled: 3-line block ×3, first 2 shown]
	v_fma_f64 v[16:17], v[117:118], v[14:15], -v[16:17]
	v_fma_f64 v[102:103], v[119:120], v[14:15], v[102:103]
	v_fma_f64 v[110:111], v[121:122], v[14:15], -v[110:111]
	v_fma_f64 v[117:118], v[123:124], v[14:15], v[129:130]
	;; [unrolled: 2-line block ×3, first 2 shown]
	v_add_f64 v[10:11], v[10:11], -v[16:17]
	v_add_f64 v[12:13], v[12:13], -v[102:103]
	;; [unrolled: 1-line block ×6, first 2 shown]
	v_mov_b32_e32 v16, v104
	v_mov_b32_e32 v17, v105
.LBB48_461:
	s_or_b32 exec_lo, exec_lo, s0
	v_lshl_add_u32 v102, v116, 4, v1
	s_barrier
	buffer_gl0_inv
	v_mov_b32_e32 v110, 22
	ds_write2_b64 v102, v[10:11], v[12:13] offset1:1
	s_waitcnt lgkmcnt(0)
	s_barrier
	buffer_gl0_inv
	ds_read2_b64 v[102:105], v1 offset0:44 offset1:45
	s_cmp_lt_i32 s18, 24
	s_cbranch_scc1 .LBB48_464
; %bb.462:
	v_add3_u32 v111, v112, 0, 0x170
	v_mov_b32_e32 v110, 22
	s_mov_b32 s1, 23
	s_inst_prefetch 0x1
	.p2align	6
.LBB48_463:                             ; =>This Inner Loop Header: Depth=1
	s_waitcnt lgkmcnt(0)
	v_cmp_gt_f64_e32 vcc_lo, 0, v[104:105]
	v_cmp_gt_f64_e64 s0, 0, v[102:103]
	ds_read2_b64 v[117:120], v111 offset1:1
	v_xor_b32_e32 v122, 0x80000000, v103
	v_xor_b32_e32 v124, 0x80000000, v105
	v_mov_b32_e32 v121, v102
	v_mov_b32_e32 v123, v104
	v_add_nc_u32_e32 v111, 16, v111
	s_waitcnt lgkmcnt(0)
	v_xor_b32_e32 v126, 0x80000000, v120
	v_cndmask_b32_e64 v122, v103, v122, s0
	v_cndmask_b32_e32 v124, v105, v124, vcc_lo
	v_cmp_gt_f64_e32 vcc_lo, 0, v[119:120]
	v_cmp_gt_f64_e64 s0, 0, v[117:118]
	v_mov_b32_e32 v125, v119
	v_add_f64 v[121:122], v[121:122], v[123:124]
	v_xor_b32_e32 v124, 0x80000000, v118
	v_mov_b32_e32 v123, v117
	v_cndmask_b32_e32 v126, v120, v126, vcc_lo
	v_cndmask_b32_e64 v124, v118, v124, s0
	v_add_f64 v[123:124], v[123:124], v[125:126]
	v_cmp_lt_f64_e32 vcc_lo, v[121:122], v[123:124]
	v_cndmask_b32_e32 v103, v103, v118, vcc_lo
	v_cndmask_b32_e32 v102, v102, v117, vcc_lo
	v_cndmask_b32_e32 v105, v105, v120, vcc_lo
	v_cndmask_b32_e32 v104, v104, v119, vcc_lo
	v_cndmask_b32_e64 v110, v110, s1, vcc_lo
	s_add_i32 s1, s1, 1
	s_cmp_lg_u32 s18, s1
	s_cbranch_scc1 .LBB48_463
.LBB48_464:
	s_inst_prefetch 0x2
	s_waitcnt lgkmcnt(0)
	v_cmp_eq_f64_e32 vcc_lo, 0, v[102:103]
	v_cmp_eq_f64_e64 s0, 0, v[104:105]
	s_and_b32 s0, vcc_lo, s0
	s_and_saveexec_b32 s1, s0
	s_xor_b32 s0, exec_lo, s1
; %bb.465:
	v_cmp_ne_u32_e32 vcc_lo, 0, v115
	v_cndmask_b32_e32 v115, 23, v115, vcc_lo
; %bb.466:
	s_andn2_saveexec_b32 s0, s0
	s_cbranch_execz .LBB48_472
; %bb.467:
	v_cmp_ngt_f64_e64 s1, |v[102:103]|, |v[104:105]|
	s_and_saveexec_b32 s2, s1
	s_xor_b32 s1, exec_lo, s2
	s_cbranch_execz .LBB48_469
; %bb.468:
	v_div_scale_f64 v[117:118], null, v[104:105], v[104:105], v[102:103]
	v_div_scale_f64 v[123:124], vcc_lo, v[102:103], v[104:105], v[102:103]
	v_rcp_f64_e32 v[119:120], v[117:118]
	v_fma_f64 v[121:122], -v[117:118], v[119:120], 1.0
	v_fma_f64 v[119:120], v[119:120], v[121:122], v[119:120]
	v_fma_f64 v[121:122], -v[117:118], v[119:120], 1.0
	v_fma_f64 v[119:120], v[119:120], v[121:122], v[119:120]
	v_mul_f64 v[121:122], v[123:124], v[119:120]
	v_fma_f64 v[117:118], -v[117:118], v[121:122], v[123:124]
	v_div_fmas_f64 v[117:118], v[117:118], v[119:120], v[121:122]
	v_div_fixup_f64 v[117:118], v[117:118], v[104:105], v[102:103]
	v_fma_f64 v[102:103], v[102:103], v[117:118], v[104:105]
	v_div_scale_f64 v[104:105], null, v[102:103], v[102:103], 1.0
	v_rcp_f64_e32 v[119:120], v[104:105]
	v_fma_f64 v[121:122], -v[104:105], v[119:120], 1.0
	v_fma_f64 v[119:120], v[119:120], v[121:122], v[119:120]
	v_fma_f64 v[121:122], -v[104:105], v[119:120], 1.0
	v_fma_f64 v[119:120], v[119:120], v[121:122], v[119:120]
	v_div_scale_f64 v[121:122], vcc_lo, 1.0, v[102:103], 1.0
	v_mul_f64 v[123:124], v[121:122], v[119:120]
	v_fma_f64 v[104:105], -v[104:105], v[123:124], v[121:122]
	v_div_fmas_f64 v[104:105], v[104:105], v[119:120], v[123:124]
	v_div_fixup_f64 v[104:105], v[104:105], v[102:103], 1.0
	v_mul_f64 v[102:103], v[117:118], v[104:105]
	v_xor_b32_e32 v105, 0x80000000, v105
.LBB48_469:
	s_andn2_saveexec_b32 s1, s1
	s_cbranch_execz .LBB48_471
; %bb.470:
	v_div_scale_f64 v[117:118], null, v[102:103], v[102:103], v[104:105]
	v_div_scale_f64 v[123:124], vcc_lo, v[104:105], v[102:103], v[104:105]
	v_rcp_f64_e32 v[119:120], v[117:118]
	v_fma_f64 v[121:122], -v[117:118], v[119:120], 1.0
	v_fma_f64 v[119:120], v[119:120], v[121:122], v[119:120]
	v_fma_f64 v[121:122], -v[117:118], v[119:120], 1.0
	v_fma_f64 v[119:120], v[119:120], v[121:122], v[119:120]
	v_mul_f64 v[121:122], v[123:124], v[119:120]
	v_fma_f64 v[117:118], -v[117:118], v[121:122], v[123:124]
	v_div_fmas_f64 v[117:118], v[117:118], v[119:120], v[121:122]
	v_div_fixup_f64 v[117:118], v[117:118], v[102:103], v[104:105]
	v_fma_f64 v[102:103], v[104:105], v[117:118], v[102:103]
	v_div_scale_f64 v[104:105], null, v[102:103], v[102:103], 1.0
	v_rcp_f64_e32 v[119:120], v[104:105]
	v_fma_f64 v[121:122], -v[104:105], v[119:120], 1.0
	v_fma_f64 v[119:120], v[119:120], v[121:122], v[119:120]
	v_fma_f64 v[121:122], -v[104:105], v[119:120], 1.0
	v_fma_f64 v[119:120], v[119:120], v[121:122], v[119:120]
	v_div_scale_f64 v[121:122], vcc_lo, 1.0, v[102:103], 1.0
	v_mul_f64 v[123:124], v[121:122], v[119:120]
	v_fma_f64 v[104:105], -v[104:105], v[123:124], v[121:122]
	v_div_fmas_f64 v[104:105], v[104:105], v[119:120], v[123:124]
	v_div_fixup_f64 v[102:103], v[104:105], v[102:103], 1.0
	v_mul_f64 v[104:105], v[117:118], -v[102:103]
.LBB48_471:
	s_or_b32 exec_lo, exec_lo, s1
.LBB48_472:
	s_or_b32 exec_lo, exec_lo, s0
	s_mov_b32 s0, exec_lo
	v_cmpx_ne_u32_e64 v116, v110
	s_xor_b32 s0, exec_lo, s0
	s_cbranch_execz .LBB48_478
; %bb.473:
	s_mov_b32 s1, exec_lo
	v_cmpx_eq_u32_e32 22, v116
	s_cbranch_execz .LBB48_477
; %bb.474:
	v_cmp_ne_u32_e32 vcc_lo, 22, v110
	s_xor_b32 s2, s16, -1
	s_and_b32 s3, s2, vcc_lo
	s_and_saveexec_b32 s2, s3
	s_cbranch_execz .LBB48_476
; %bb.475:
	v_ashrrev_i32_e32 v111, 31, v110
	v_lshlrev_b64 v[116:117], 2, v[110:111]
	v_add_co_u32 v116, vcc_lo, v108, v116
	v_add_co_ci_u32_e64 v117, null, v109, v117, vcc_lo
	s_clause 0x1
	global_load_dword v0, v[116:117], off
	global_load_dword v111, v[108:109], off offset:88
	s_waitcnt vmcnt(1)
	global_store_dword v[108:109], v0, off offset:88
	s_waitcnt vmcnt(0)
	global_store_dword v[116:117], v111, off
.LBB48_476:
	s_or_b32 exec_lo, exec_lo, s2
	v_mov_b32_e32 v116, v110
	v_mov_b32_e32 v0, v110
.LBB48_477:
	s_or_b32 exec_lo, exec_lo, s1
.LBB48_478:
	s_andn2_saveexec_b32 s0, s0
	s_cbranch_execz .LBB48_480
; %bb.479:
	v_mov_b32_e32 v116, 22
	ds_write2_b64 v1, v[6:7], v[8:9] offset0:46 offset1:47
	ds_write2_b64 v1, v[2:3], v[4:5] offset0:48 offset1:49
.LBB48_480:
	s_or_b32 exec_lo, exec_lo, s0
	s_mov_b32 s0, exec_lo
	s_waitcnt lgkmcnt(0)
	s_waitcnt_vscnt null, 0x0
	s_barrier
	buffer_gl0_inv
	v_cmpx_lt_i32_e32 22, v116
	s_cbranch_execz .LBB48_482
; %bb.481:
	v_mul_f64 v[110:111], v[102:103], v[12:13]
	v_mul_f64 v[12:13], v[104:105], v[12:13]
	ds_read2_b64 v[117:120], v1 offset0:46 offset1:47
	ds_read2_b64 v[121:124], v1 offset0:48 offset1:49
	v_fma_f64 v[104:105], v[104:105], v[10:11], v[110:111]
	v_fma_f64 v[10:11], v[102:103], v[10:11], -v[12:13]
	s_waitcnt lgkmcnt(1)
	v_mul_f64 v[12:13], v[119:120], v[104:105]
	v_mul_f64 v[102:103], v[117:118], v[104:105]
	s_waitcnt lgkmcnt(0)
	v_mul_f64 v[110:111], v[123:124], v[104:105]
	v_mul_f64 v[125:126], v[121:122], v[104:105]
	v_fma_f64 v[12:13], v[117:118], v[10:11], -v[12:13]
	v_fma_f64 v[102:103], v[119:120], v[10:11], v[102:103]
	v_fma_f64 v[110:111], v[121:122], v[10:11], -v[110:111]
	v_fma_f64 v[117:118], v[123:124], v[10:11], v[125:126]
	v_add_f64 v[6:7], v[6:7], -v[12:13]
	v_add_f64 v[8:9], v[8:9], -v[102:103]
	;; [unrolled: 1-line block ×4, first 2 shown]
	v_mov_b32_e32 v12, v104
	v_mov_b32_e32 v13, v105
.LBB48_482:
	s_or_b32 exec_lo, exec_lo, s0
	v_lshl_add_u32 v102, v116, 4, v1
	s_barrier
	buffer_gl0_inv
	v_mov_b32_e32 v110, 23
	ds_write2_b64 v102, v[6:7], v[8:9] offset1:1
	s_waitcnt lgkmcnt(0)
	s_barrier
	buffer_gl0_inv
	ds_read2_b64 v[102:105], v1 offset0:46 offset1:47
	s_cmp_lt_i32 s18, 25
	s_cbranch_scc1 .LBB48_485
; %bb.483:
	v_add3_u32 v111, v112, 0, 0x180
	v_mov_b32_e32 v110, 23
	s_mov_b32 s1, 24
	s_inst_prefetch 0x1
	.p2align	6
.LBB48_484:                             ; =>This Inner Loop Header: Depth=1
	s_waitcnt lgkmcnt(0)
	v_cmp_gt_f64_e32 vcc_lo, 0, v[104:105]
	v_cmp_gt_f64_e64 s0, 0, v[102:103]
	ds_read2_b64 v[117:120], v111 offset1:1
	v_xor_b32_e32 v122, 0x80000000, v103
	v_xor_b32_e32 v124, 0x80000000, v105
	v_mov_b32_e32 v121, v102
	v_mov_b32_e32 v123, v104
	v_add_nc_u32_e32 v111, 16, v111
	s_waitcnt lgkmcnt(0)
	v_xor_b32_e32 v126, 0x80000000, v120
	v_cndmask_b32_e64 v122, v103, v122, s0
	v_cndmask_b32_e32 v124, v105, v124, vcc_lo
	v_cmp_gt_f64_e32 vcc_lo, 0, v[119:120]
	v_cmp_gt_f64_e64 s0, 0, v[117:118]
	v_mov_b32_e32 v125, v119
	v_add_f64 v[121:122], v[121:122], v[123:124]
	v_xor_b32_e32 v124, 0x80000000, v118
	v_mov_b32_e32 v123, v117
	v_cndmask_b32_e32 v126, v120, v126, vcc_lo
	v_cndmask_b32_e64 v124, v118, v124, s0
	v_add_f64 v[123:124], v[123:124], v[125:126]
	v_cmp_lt_f64_e32 vcc_lo, v[121:122], v[123:124]
	v_cndmask_b32_e32 v103, v103, v118, vcc_lo
	v_cndmask_b32_e32 v102, v102, v117, vcc_lo
	;; [unrolled: 1-line block ×4, first 2 shown]
	v_cndmask_b32_e64 v110, v110, s1, vcc_lo
	s_add_i32 s1, s1, 1
	s_cmp_lg_u32 s18, s1
	s_cbranch_scc1 .LBB48_484
.LBB48_485:
	s_inst_prefetch 0x2
	s_waitcnt lgkmcnt(0)
	v_cmp_eq_f64_e32 vcc_lo, 0, v[102:103]
	v_cmp_eq_f64_e64 s0, 0, v[104:105]
	s_and_b32 s0, vcc_lo, s0
	s_and_saveexec_b32 s1, s0
	s_xor_b32 s0, exec_lo, s1
; %bb.486:
	v_cmp_ne_u32_e32 vcc_lo, 0, v115
	v_cndmask_b32_e32 v115, 24, v115, vcc_lo
; %bb.487:
	s_andn2_saveexec_b32 s0, s0
	s_cbranch_execz .LBB48_493
; %bb.488:
	v_cmp_ngt_f64_e64 s1, |v[102:103]|, |v[104:105]|
	s_and_saveexec_b32 s2, s1
	s_xor_b32 s1, exec_lo, s2
	s_cbranch_execz .LBB48_490
; %bb.489:
	v_div_scale_f64 v[117:118], null, v[104:105], v[104:105], v[102:103]
	v_div_scale_f64 v[123:124], vcc_lo, v[102:103], v[104:105], v[102:103]
	v_rcp_f64_e32 v[119:120], v[117:118]
	v_fma_f64 v[121:122], -v[117:118], v[119:120], 1.0
	v_fma_f64 v[119:120], v[119:120], v[121:122], v[119:120]
	v_fma_f64 v[121:122], -v[117:118], v[119:120], 1.0
	v_fma_f64 v[119:120], v[119:120], v[121:122], v[119:120]
	v_mul_f64 v[121:122], v[123:124], v[119:120]
	v_fma_f64 v[117:118], -v[117:118], v[121:122], v[123:124]
	v_div_fmas_f64 v[117:118], v[117:118], v[119:120], v[121:122]
	v_div_fixup_f64 v[117:118], v[117:118], v[104:105], v[102:103]
	v_fma_f64 v[102:103], v[102:103], v[117:118], v[104:105]
	v_div_scale_f64 v[104:105], null, v[102:103], v[102:103], 1.0
	v_rcp_f64_e32 v[119:120], v[104:105]
	v_fma_f64 v[121:122], -v[104:105], v[119:120], 1.0
	v_fma_f64 v[119:120], v[119:120], v[121:122], v[119:120]
	v_fma_f64 v[121:122], -v[104:105], v[119:120], 1.0
	v_fma_f64 v[119:120], v[119:120], v[121:122], v[119:120]
	v_div_scale_f64 v[121:122], vcc_lo, 1.0, v[102:103], 1.0
	v_mul_f64 v[123:124], v[121:122], v[119:120]
	v_fma_f64 v[104:105], -v[104:105], v[123:124], v[121:122]
	v_div_fmas_f64 v[104:105], v[104:105], v[119:120], v[123:124]
	v_div_fixup_f64 v[104:105], v[104:105], v[102:103], 1.0
	v_mul_f64 v[102:103], v[117:118], v[104:105]
	v_xor_b32_e32 v105, 0x80000000, v105
.LBB48_490:
	s_andn2_saveexec_b32 s1, s1
	s_cbranch_execz .LBB48_492
; %bb.491:
	v_div_scale_f64 v[117:118], null, v[102:103], v[102:103], v[104:105]
	v_div_scale_f64 v[123:124], vcc_lo, v[104:105], v[102:103], v[104:105]
	v_rcp_f64_e32 v[119:120], v[117:118]
	v_fma_f64 v[121:122], -v[117:118], v[119:120], 1.0
	v_fma_f64 v[119:120], v[119:120], v[121:122], v[119:120]
	v_fma_f64 v[121:122], -v[117:118], v[119:120], 1.0
	v_fma_f64 v[119:120], v[119:120], v[121:122], v[119:120]
	v_mul_f64 v[121:122], v[123:124], v[119:120]
	v_fma_f64 v[117:118], -v[117:118], v[121:122], v[123:124]
	v_div_fmas_f64 v[117:118], v[117:118], v[119:120], v[121:122]
	v_div_fixup_f64 v[117:118], v[117:118], v[102:103], v[104:105]
	v_fma_f64 v[102:103], v[104:105], v[117:118], v[102:103]
	v_div_scale_f64 v[104:105], null, v[102:103], v[102:103], 1.0
	v_rcp_f64_e32 v[119:120], v[104:105]
	v_fma_f64 v[121:122], -v[104:105], v[119:120], 1.0
	v_fma_f64 v[119:120], v[119:120], v[121:122], v[119:120]
	v_fma_f64 v[121:122], -v[104:105], v[119:120], 1.0
	v_fma_f64 v[119:120], v[119:120], v[121:122], v[119:120]
	v_div_scale_f64 v[121:122], vcc_lo, 1.0, v[102:103], 1.0
	v_mul_f64 v[123:124], v[121:122], v[119:120]
	v_fma_f64 v[104:105], -v[104:105], v[123:124], v[121:122]
	v_div_fmas_f64 v[104:105], v[104:105], v[119:120], v[123:124]
	v_div_fixup_f64 v[102:103], v[104:105], v[102:103], 1.0
	v_mul_f64 v[104:105], v[117:118], -v[102:103]
.LBB48_492:
	s_or_b32 exec_lo, exec_lo, s1
.LBB48_493:
	s_or_b32 exec_lo, exec_lo, s0
	s_mov_b32 s0, exec_lo
	v_cmpx_ne_u32_e64 v116, v110
	s_xor_b32 s0, exec_lo, s0
	s_cbranch_execz .LBB48_499
; %bb.494:
	s_mov_b32 s1, exec_lo
	v_cmpx_eq_u32_e32 23, v116
	s_cbranch_execz .LBB48_498
; %bb.495:
	v_cmp_ne_u32_e32 vcc_lo, 23, v110
	s_xor_b32 s2, s16, -1
	s_and_b32 s3, s2, vcc_lo
	s_and_saveexec_b32 s2, s3
	s_cbranch_execz .LBB48_497
; %bb.496:
	v_ashrrev_i32_e32 v111, 31, v110
	v_lshlrev_b64 v[116:117], 2, v[110:111]
	v_add_co_u32 v116, vcc_lo, v108, v116
	v_add_co_ci_u32_e64 v117, null, v109, v117, vcc_lo
	s_clause 0x1
	global_load_dword v0, v[116:117], off
	global_load_dword v111, v[108:109], off offset:92
	s_waitcnt vmcnt(1)
	global_store_dword v[108:109], v0, off offset:92
	s_waitcnt vmcnt(0)
	global_store_dword v[116:117], v111, off
.LBB48_497:
	s_or_b32 exec_lo, exec_lo, s2
	v_mov_b32_e32 v116, v110
	v_mov_b32_e32 v0, v110
.LBB48_498:
	s_or_b32 exec_lo, exec_lo, s1
.LBB48_499:
	s_andn2_saveexec_b32 s0, s0
; %bb.500:
	v_mov_b32_e32 v116, 23
	ds_write2_b64 v1, v[2:3], v[4:5] offset0:48 offset1:49
; %bb.501:
	s_or_b32 exec_lo, exec_lo, s0
	s_mov_b32 s0, exec_lo
	s_waitcnt lgkmcnt(0)
	s_waitcnt_vscnt null, 0x0
	s_barrier
	buffer_gl0_inv
	v_cmpx_lt_i32_e32 23, v116
	s_cbranch_execz .LBB48_503
; %bb.502:
	v_mul_f64 v[110:111], v[102:103], v[8:9]
	v_mul_f64 v[8:9], v[104:105], v[8:9]
	ds_read2_b64 v[117:120], v1 offset0:48 offset1:49
	v_fma_f64 v[104:105], v[104:105], v[6:7], v[110:111]
	v_fma_f64 v[6:7], v[102:103], v[6:7], -v[8:9]
	s_waitcnt lgkmcnt(0)
	v_mul_f64 v[8:9], v[119:120], v[104:105]
	v_mul_f64 v[102:103], v[117:118], v[104:105]
	v_fma_f64 v[8:9], v[117:118], v[6:7], -v[8:9]
	v_fma_f64 v[102:103], v[119:120], v[6:7], v[102:103]
	v_add_f64 v[2:3], v[2:3], -v[8:9]
	v_add_f64 v[4:5], v[4:5], -v[102:103]
	v_mov_b32_e32 v8, v104
	v_mov_b32_e32 v9, v105
.LBB48_503:
	s_or_b32 exec_lo, exec_lo, s0
	v_lshl_add_u32 v102, v116, 4, v1
	s_barrier
	buffer_gl0_inv
	v_mov_b32_e32 v110, 24
	ds_write2_b64 v102, v[2:3], v[4:5] offset1:1
	s_waitcnt lgkmcnt(0)
	s_barrier
	buffer_gl0_inv
	ds_read2_b64 v[102:105], v1 offset0:48 offset1:49
	s_cmp_lt_i32 s18, 26
	s_cbranch_scc1 .LBB48_506
; %bb.504:
	v_add3_u32 v1, v112, 0, 0x190
	v_mov_b32_e32 v110, 24
	s_mov_b32 s1, 25
	s_inst_prefetch 0x1
	.p2align	6
.LBB48_505:                             ; =>This Inner Loop Header: Depth=1
	s_waitcnt lgkmcnt(0)
	v_cmp_gt_f64_e32 vcc_lo, 0, v[104:105]
	v_cmp_gt_f64_e64 s0, 0, v[102:103]
	ds_read2_b64 v[117:120], v1 offset1:1
	v_xor_b32_e32 v112, 0x80000000, v103
	v_xor_b32_e32 v122, 0x80000000, v105
	v_mov_b32_e32 v111, v102
	v_mov_b32_e32 v121, v104
	v_add_nc_u32_e32 v1, 16, v1
	s_waitcnt lgkmcnt(0)
	v_xor_b32_e32 v124, 0x80000000, v120
	v_cndmask_b32_e64 v112, v103, v112, s0
	v_cndmask_b32_e32 v122, v105, v122, vcc_lo
	v_cmp_gt_f64_e32 vcc_lo, 0, v[119:120]
	v_cmp_gt_f64_e64 s0, 0, v[117:118]
	v_mov_b32_e32 v123, v119
	v_add_f64 v[111:112], v[111:112], v[121:122]
	v_xor_b32_e32 v122, 0x80000000, v118
	v_mov_b32_e32 v121, v117
	v_cndmask_b32_e32 v124, v120, v124, vcc_lo
	v_cndmask_b32_e64 v122, v118, v122, s0
	v_add_f64 v[121:122], v[121:122], v[123:124]
	v_cmp_lt_f64_e32 vcc_lo, v[111:112], v[121:122]
	v_cndmask_b32_e32 v103, v103, v118, vcc_lo
	v_cndmask_b32_e32 v102, v102, v117, vcc_lo
	;; [unrolled: 1-line block ×4, first 2 shown]
	v_cndmask_b32_e64 v110, v110, s1, vcc_lo
	s_add_i32 s1, s1, 1
	s_cmp_lg_u32 s18, s1
	s_cbranch_scc1 .LBB48_505
.LBB48_506:
	s_inst_prefetch 0x2
	s_waitcnt lgkmcnt(0)
	v_cmp_eq_f64_e32 vcc_lo, 0, v[102:103]
	v_cmp_eq_f64_e64 s0, 0, v[104:105]
	s_and_b32 s0, vcc_lo, s0
	s_and_saveexec_b32 s1, s0
	s_xor_b32 s0, exec_lo, s1
; %bb.507:
	v_cmp_ne_u32_e32 vcc_lo, 0, v115
	v_cndmask_b32_e32 v115, 25, v115, vcc_lo
; %bb.508:
	s_andn2_saveexec_b32 s0, s0
	s_cbranch_execz .LBB48_514
; %bb.509:
	v_cmp_ngt_f64_e64 s1, |v[102:103]|, |v[104:105]|
	s_and_saveexec_b32 s2, s1
	s_xor_b32 s1, exec_lo, s2
	s_cbranch_execz .LBB48_511
; %bb.510:
	v_div_scale_f64 v[111:112], null, v[104:105], v[104:105], v[102:103]
	v_div_scale_f64 v[121:122], vcc_lo, v[102:103], v[104:105], v[102:103]
	v_rcp_f64_e32 v[117:118], v[111:112]
	v_fma_f64 v[119:120], -v[111:112], v[117:118], 1.0
	v_fma_f64 v[117:118], v[117:118], v[119:120], v[117:118]
	v_fma_f64 v[119:120], -v[111:112], v[117:118], 1.0
	v_fma_f64 v[117:118], v[117:118], v[119:120], v[117:118]
	v_mul_f64 v[119:120], v[121:122], v[117:118]
	v_fma_f64 v[111:112], -v[111:112], v[119:120], v[121:122]
	v_div_fmas_f64 v[111:112], v[111:112], v[117:118], v[119:120]
	v_div_fixup_f64 v[111:112], v[111:112], v[104:105], v[102:103]
	v_fma_f64 v[102:103], v[102:103], v[111:112], v[104:105]
	v_div_scale_f64 v[104:105], null, v[102:103], v[102:103], 1.0
	v_rcp_f64_e32 v[117:118], v[104:105]
	v_fma_f64 v[119:120], -v[104:105], v[117:118], 1.0
	v_fma_f64 v[117:118], v[117:118], v[119:120], v[117:118]
	v_fma_f64 v[119:120], -v[104:105], v[117:118], 1.0
	v_fma_f64 v[117:118], v[117:118], v[119:120], v[117:118]
	v_div_scale_f64 v[119:120], vcc_lo, 1.0, v[102:103], 1.0
	v_mul_f64 v[121:122], v[119:120], v[117:118]
	v_fma_f64 v[104:105], -v[104:105], v[121:122], v[119:120]
	v_div_fmas_f64 v[104:105], v[104:105], v[117:118], v[121:122]
	v_div_fixup_f64 v[104:105], v[104:105], v[102:103], 1.0
	v_mul_f64 v[102:103], v[111:112], v[104:105]
	v_xor_b32_e32 v105, 0x80000000, v105
.LBB48_511:
	s_andn2_saveexec_b32 s1, s1
	s_cbranch_execz .LBB48_513
; %bb.512:
	v_div_scale_f64 v[111:112], null, v[102:103], v[102:103], v[104:105]
	v_div_scale_f64 v[121:122], vcc_lo, v[104:105], v[102:103], v[104:105]
	v_rcp_f64_e32 v[117:118], v[111:112]
	v_fma_f64 v[119:120], -v[111:112], v[117:118], 1.0
	v_fma_f64 v[117:118], v[117:118], v[119:120], v[117:118]
	v_fma_f64 v[119:120], -v[111:112], v[117:118], 1.0
	v_fma_f64 v[117:118], v[117:118], v[119:120], v[117:118]
	v_mul_f64 v[119:120], v[121:122], v[117:118]
	v_fma_f64 v[111:112], -v[111:112], v[119:120], v[121:122]
	v_div_fmas_f64 v[111:112], v[111:112], v[117:118], v[119:120]
	v_div_fixup_f64 v[111:112], v[111:112], v[102:103], v[104:105]
	v_fma_f64 v[102:103], v[104:105], v[111:112], v[102:103]
	v_div_scale_f64 v[104:105], null, v[102:103], v[102:103], 1.0
	v_rcp_f64_e32 v[117:118], v[104:105]
	v_fma_f64 v[119:120], -v[104:105], v[117:118], 1.0
	v_fma_f64 v[117:118], v[117:118], v[119:120], v[117:118]
	v_fma_f64 v[119:120], -v[104:105], v[117:118], 1.0
	v_fma_f64 v[117:118], v[117:118], v[119:120], v[117:118]
	v_div_scale_f64 v[119:120], vcc_lo, 1.0, v[102:103], 1.0
	v_mul_f64 v[121:122], v[119:120], v[117:118]
	v_fma_f64 v[104:105], -v[104:105], v[121:122], v[119:120]
	v_div_fmas_f64 v[104:105], v[104:105], v[117:118], v[121:122]
	v_div_fixup_f64 v[102:103], v[104:105], v[102:103], 1.0
	v_mul_f64 v[104:105], v[111:112], -v[102:103]
.LBB48_513:
	s_or_b32 exec_lo, exec_lo, s1
.LBB48_514:
	s_or_b32 exec_lo, exec_lo, s0
	v_mov_b32_e32 v111, 24
	s_mov_b32 s0, exec_lo
	v_cmpx_ne_u32_e64 v116, v110
	s_cbranch_execz .LBB48_520
; %bb.515:
	s_mov_b32 s1, exec_lo
	v_cmpx_eq_u32_e32 24, v116
	s_cbranch_execz .LBB48_519
; %bb.516:
	v_cmp_ne_u32_e32 vcc_lo, 24, v110
	s_xor_b32 s2, s16, -1
	s_and_b32 s3, s2, vcc_lo
	s_and_saveexec_b32 s2, s3
	s_cbranch_execz .LBB48_518
; %bb.517:
	v_ashrrev_i32_e32 v111, 31, v110
	v_lshlrev_b64 v[0:1], 2, v[110:111]
	v_add_co_u32 v0, vcc_lo, v108, v0
	v_add_co_ci_u32_e64 v1, null, v109, v1, vcc_lo
	s_clause 0x1
	global_load_dword v111, v[0:1], off
	global_load_dword v112, v[108:109], off offset:96
	s_waitcnt vmcnt(1)
	global_store_dword v[108:109], v111, off offset:96
	s_waitcnt vmcnt(0)
	global_store_dword v[0:1], v112, off
.LBB48_518:
	s_or_b32 exec_lo, exec_lo, s2
	v_mov_b32_e32 v116, v110
	v_mov_b32_e32 v0, v110
.LBB48_519:
	s_or_b32 exec_lo, exec_lo, s1
	v_mov_b32_e32 v111, v116
.LBB48_520:
	s_or_b32 exec_lo, exec_lo, s0
	s_mov_b32 s0, exec_lo
	s_waitcnt_vscnt null, 0x0
	s_barrier
	buffer_gl0_inv
	v_cmpx_lt_i32_e32 24, v111
	s_cbranch_execz .LBB48_522
; %bb.521:
	v_mul_f64 v[108:109], v[104:105], v[4:5]
	v_mul_f64 v[4:5], v[102:103], v[4:5]
	v_fma_f64 v[102:103], v[102:103], v[2:3], -v[108:109]
	v_fma_f64 v[4:5], v[104:105], v[2:3], v[4:5]
	v_mov_b32_e32 v2, v102
	v_mov_b32_e32 v3, v103
.LBB48_522:
	s_or_b32 exec_lo, exec_lo, s0
	v_ashrrev_i32_e32 v112, 31, v111
	s_mov_b32 s0, exec_lo
	s_barrier
	buffer_gl0_inv
	v_cmpx_gt_i32_e32 25, v111
	s_cbranch_execz .LBB48_524
; %bb.523:
	v_mul_lo_u32 v1, s15, v106
	v_mul_lo_u32 v104, s14, v107
	v_mad_u64_u32 v[102:103], null, s14, v106, 0
	s_lshl_b64 s[2:3], s[12:13], 2
	v_add3_u32 v0, v0, s17, 1
	v_add3_u32 v103, v103, v104, v1
	v_lshlrev_b64 v[102:103], 2, v[102:103]
	v_add_co_u32 v1, vcc_lo, s10, v102
	v_add_co_ci_u32_e64 v104, null, s11, v103, vcc_lo
	v_lshlrev_b64 v[102:103], 2, v[111:112]
	v_add_co_u32 v1, vcc_lo, v1, s2
	v_add_co_ci_u32_e64 v104, null, s3, v104, vcc_lo
	v_add_co_u32 v102, vcc_lo, v1, v102
	v_add_co_ci_u32_e64 v103, null, v104, v103, vcc_lo
	global_store_dword v[102:103], v0, off
.LBB48_524:
	s_or_b32 exec_lo, exec_lo, s0
	s_mov_b32 s1, exec_lo
	v_cmpx_eq_u32_e32 0, v111
	s_cbranch_execz .LBB48_527
; %bb.525:
	v_lshlrev_b64 v[0:1], 2, v[106:107]
	v_cmp_ne_u32_e64 s0, 0, v115
	v_add_co_u32 v0, vcc_lo, s4, v0
	v_add_co_ci_u32_e64 v1, null, s5, v1, vcc_lo
	global_load_dword v102, v[0:1], off
	s_waitcnt vmcnt(0)
	v_cmp_eq_u32_e32 vcc_lo, 0, v102
	s_and_b32 s0, vcc_lo, s0
	s_and_b32 exec_lo, exec_lo, s0
	s_cbranch_execz .LBB48_527
; %bb.526:
	v_add_nc_u32_e32 v102, s17, v115
	global_store_dword v[0:1], v102, off
.LBB48_527:
	s_or_b32 exec_lo, exec_lo, s1
	v_add3_u32 v0, s6, s6, v111
	v_lshlrev_b64 v[102:103], 4, v[111:112]
	v_ashrrev_i32_e32 v1, 31, v0
	v_add_nc_u32_e32 v104, s6, v0
	v_add_co_u32 v102, vcc_lo, v113, v102
	v_add_co_ci_u32_e64 v103, null, v114, v103, vcc_lo
	v_lshlrev_b64 v[0:1], 4, v[0:1]
	v_add_nc_u32_e32 v106, s6, v104
	v_add_co_u32 v108, vcc_lo, v102, s8
	v_ashrrev_i32_e32 v105, 31, v104
	v_add_co_ci_u32_e64 v109, null, s9, v103, vcc_lo
	v_add_co_u32 v0, vcc_lo, v113, v0
	global_store_dwordx4 v[102:103], v[90:93], off
	v_add_nc_u32_e32 v92, s6, v106
	v_add_co_ci_u32_e64 v1, null, v114, v1, vcc_lo
	v_ashrrev_i32_e32 v107, 31, v106
	v_lshlrev_b64 v[90:91], 4, v[104:105]
	global_store_dwordx4 v[108:109], v[94:97], off
	global_store_dwordx4 v[0:1], v[98:101], off
	v_add_nc_u32_e32 v94, s6, v92
	v_ashrrev_i32_e32 v93, 31, v92
	v_lshlrev_b64 v[0:1], 4, v[106:107]
	v_add_co_u32 v90, vcc_lo, v113, v90
	v_add_nc_u32_e32 v96, s6, v94
	v_add_co_ci_u32_e64 v91, null, v114, v91, vcc_lo
	v_add_co_u32 v0, vcc_lo, v113, v0
	v_ashrrev_i32_e32 v95, 31, v94
	v_add_co_ci_u32_e64 v1, null, v114, v1, vcc_lo
	v_ashrrev_i32_e32 v97, 31, v96
	v_lshlrev_b64 v[92:93], 4, v[92:93]
	global_store_dwordx4 v[90:91], v[86:89], off
	global_store_dwordx4 v[0:1], v[82:85], off
	v_lshlrev_b64 v[0:1], 4, v[94:95]
	v_add_nc_u32_e32 v86, s6, v96
	v_lshlrev_b64 v[84:85], 4, v[96:97]
	v_add_co_u32 v82, vcc_lo, v113, v92
	v_add_co_ci_u32_e64 v83, null, v114, v93, vcc_lo
	v_add_co_u32 v0, vcc_lo, v113, v0
	v_add_co_ci_u32_e64 v1, null, v114, v1, vcc_lo
	v_add_co_u32 v84, vcc_lo, v113, v84
	v_add_nc_u32_e32 v88, s6, v86
	v_add_co_ci_u32_e64 v85, null, v114, v85, vcc_lo
	v_ashrrev_i32_e32 v87, 31, v86
	global_store_dwordx4 v[82:83], v[78:81], off
	global_store_dwordx4 v[0:1], v[74:77], off
	;; [unrolled: 1-line block ×3, first 2 shown]
	v_add_nc_u32_e32 v70, s6, v88
	v_ashrrev_i32_e32 v89, 31, v88
	v_lshlrev_b64 v[78:79], 4, v[86:87]
	v_add_nc_u32_e32 v74, s6, v70
	v_lshlrev_b64 v[0:1], 4, v[88:89]
	v_ashrrev_i32_e32 v71, 31, v70
	v_add_co_u32 v72, vcc_lo, v113, v78
	v_add_nc_u32_e32 v76, s6, v74
	v_add_co_ci_u32_e64 v73, null, v114, v79, vcc_lo
	v_add_co_u32 v0, vcc_lo, v113, v0
	v_ashrrev_i32_e32 v75, 31, v74
	v_add_co_ci_u32_e64 v1, null, v114, v1, vcc_lo
	v_ashrrev_i32_e32 v77, 31, v76
	v_lshlrev_b64 v[70:71], 4, v[70:71]
	global_store_dwordx4 v[72:73], v[66:69], off
	global_store_dwordx4 v[0:1], v[62:65], off
	v_lshlrev_b64 v[0:1], 4, v[74:75]
	v_add_nc_u32_e32 v66, s6, v76
	v_lshlrev_b64 v[64:65], 4, v[76:77]
	v_add_co_u32 v62, vcc_lo, v113, v70
	v_add_co_ci_u32_e64 v63, null, v114, v71, vcc_lo
	v_add_co_u32 v0, vcc_lo, v113, v0
	v_add_co_ci_u32_e64 v1, null, v114, v1, vcc_lo
	v_add_co_u32 v64, vcc_lo, v113, v64
	v_add_nc_u32_e32 v68, s6, v66
	v_add_co_ci_u32_e64 v65, null, v114, v65, vcc_lo
	v_ashrrev_i32_e32 v67, 31, v66
	global_store_dwordx4 v[62:63], v[58:61], off
	global_store_dwordx4 v[0:1], v[54:57], off
	;; [unrolled: 1-line block ×3, first 2 shown]
	v_add_nc_u32_e32 v50, s6, v68
	v_ashrrev_i32_e32 v69, 31, v68
	v_lshlrev_b64 v[58:59], 4, v[66:67]
	v_add_nc_u32_e32 v54, s6, v50
	v_lshlrev_b64 v[0:1], 4, v[68:69]
	v_ashrrev_i32_e32 v51, 31, v50
	v_add_co_u32 v52, vcc_lo, v113, v58
	v_add_nc_u32_e32 v56, s6, v54
	v_add_co_ci_u32_e64 v53, null, v114, v59, vcc_lo
	v_add_co_u32 v0, vcc_lo, v113, v0
	v_ashrrev_i32_e32 v55, 31, v54
	v_add_co_ci_u32_e64 v1, null, v114, v1, vcc_lo
	v_ashrrev_i32_e32 v57, 31, v56
	v_lshlrev_b64 v[50:51], 4, v[50:51]
	global_store_dwordx4 v[52:53], v[46:49], off
	global_store_dwordx4 v[0:1], v[42:45], off
	v_lshlrev_b64 v[0:1], 4, v[54:55]
	v_add_nc_u32_e32 v46, s6, v56
	v_lshlrev_b64 v[44:45], 4, v[56:57]
	v_add_co_u32 v42, vcc_lo, v113, v50
	v_add_co_ci_u32_e64 v43, null, v114, v51, vcc_lo
	v_add_co_u32 v0, vcc_lo, v113, v0
	v_add_nc_u32_e32 v48, s6, v46
	v_add_co_ci_u32_e64 v1, null, v114, v1, vcc_lo
	v_add_co_u32 v44, vcc_lo, v113, v44
	v_ashrrev_i32_e32 v47, 31, v46
	v_add_co_ci_u32_e64 v45, null, v114, v45, vcc_lo
	v_ashrrev_i32_e32 v49, 31, v48
	global_store_dwordx4 v[42:43], v[38:41], off
	v_lshlrev_b64 v[38:39], 4, v[46:47]
	global_store_dwordx4 v[0:1], v[34:37], off
	global_store_dwordx4 v[44:45], v[30:33], off
	v_add_nc_u32_e32 v30, s6, v48
	v_lshlrev_b64 v[0:1], 4, v[48:49]
	v_add_co_u32 v32, vcc_lo, v113, v38
	v_add_nc_u32_e32 v34, s6, v30
	v_add_co_ci_u32_e64 v33, null, v114, v39, vcc_lo
	v_add_co_u32 v0, vcc_lo, v113, v0
	v_add_co_ci_u32_e64 v1, null, v114, v1, vcc_lo
	v_add_nc_u32_e32 v36, s6, v34
	v_ashrrev_i32_e32 v31, 31, v30
	global_store_dwordx4 v[32:33], v[26:29], off
	global_store_dwordx4 v[0:1], v[22:25], off
	v_ashrrev_i32_e32 v35, 31, v34
	v_add_nc_u32_e32 v22, s6, v36
	v_lshlrev_b64 v[26:27], 4, v[30:31]
	v_ashrrev_i32_e32 v37, 31, v36
	v_lshlrev_b64 v[0:1], 4, v[34:35]
	v_add_nc_u32_e32 v28, s6, v22
	v_ashrrev_i32_e32 v23, 31, v22
	v_add_co_u32 v24, vcc_lo, v113, v26
	v_add_co_ci_u32_e64 v25, null, v114, v27, vcc_lo
	v_ashrrev_i32_e32 v29, 31, v28
	v_lshlrev_b64 v[26:27], 4, v[36:37]
	v_lshlrev_b64 v[22:23], 4, v[22:23]
	v_add_co_u32 v0, vcc_lo, v113, v0
	v_lshlrev_b64 v[28:29], 4, v[28:29]
	v_add_co_ci_u32_e64 v1, null, v114, v1, vcc_lo
	v_add_co_u32 v26, vcc_lo, v113, v26
	v_add_co_ci_u32_e64 v27, null, v114, v27, vcc_lo
	v_add_co_u32 v22, vcc_lo, v113, v22
	;; [unrolled: 2-line block ×3, first 2 shown]
	v_add_co_ci_u32_e64 v29, null, v114, v29, vcc_lo
	global_store_dwordx4 v[24:25], v[18:21], off
	global_store_dwordx4 v[0:1], v[14:17], off
	global_store_dwordx4 v[26:27], v[10:13], off
	global_store_dwordx4 v[22:23], v[6:9], off
	global_store_dwordx4 v[28:29], v[2:5], off
.LBB48_528:
	s_endpgm
	.section	.rodata,"a",@progbits
	.p2align	6, 0x0
	.amdhsa_kernel _ZN9rocsolver6v33100L18getf2_small_kernelILi25E19rocblas_complex_numIdEiiPS3_EEvT1_T3_lS5_lPS5_llPT2_S5_S5_S7_l
		.amdhsa_group_segment_fixed_size 0
		.amdhsa_private_segment_fixed_size 0
		.amdhsa_kernarg_size 352
		.amdhsa_user_sgpr_count 6
		.amdhsa_user_sgpr_private_segment_buffer 1
		.amdhsa_user_sgpr_dispatch_ptr 0
		.amdhsa_user_sgpr_queue_ptr 0
		.amdhsa_user_sgpr_kernarg_segment_ptr 1
		.amdhsa_user_sgpr_dispatch_id 0
		.amdhsa_user_sgpr_flat_scratch_init 0
		.amdhsa_user_sgpr_private_segment_size 0
		.amdhsa_wavefront_size32 1
		.amdhsa_uses_dynamic_stack 0
		.amdhsa_system_sgpr_private_segment_wavefront_offset 0
		.amdhsa_system_sgpr_workgroup_id_x 1
		.amdhsa_system_sgpr_workgroup_id_y 1
		.amdhsa_system_sgpr_workgroup_id_z 0
		.amdhsa_system_sgpr_workgroup_info 0
		.amdhsa_system_vgpr_workitem_id 1
		.amdhsa_next_free_vgpr 135
		.amdhsa_next_free_sgpr 19
		.amdhsa_reserve_vcc 1
		.amdhsa_reserve_flat_scratch 0
		.amdhsa_float_round_mode_32 0
		.amdhsa_float_round_mode_16_64 0
		.amdhsa_float_denorm_mode_32 3
		.amdhsa_float_denorm_mode_16_64 3
		.amdhsa_dx10_clamp 1
		.amdhsa_ieee_mode 1
		.amdhsa_fp16_overflow 0
		.amdhsa_workgroup_processor_mode 1
		.amdhsa_memory_ordered 1
		.amdhsa_forward_progress 1
		.amdhsa_shared_vgpr_count 0
		.amdhsa_exception_fp_ieee_invalid_op 0
		.amdhsa_exception_fp_denorm_src 0
		.amdhsa_exception_fp_ieee_div_zero 0
		.amdhsa_exception_fp_ieee_overflow 0
		.amdhsa_exception_fp_ieee_underflow 0
		.amdhsa_exception_fp_ieee_inexact 0
		.amdhsa_exception_int_div_zero 0
	.end_amdhsa_kernel
	.section	.text._ZN9rocsolver6v33100L18getf2_small_kernelILi25E19rocblas_complex_numIdEiiPS3_EEvT1_T3_lS5_lPS5_llPT2_S5_S5_S7_l,"axG",@progbits,_ZN9rocsolver6v33100L18getf2_small_kernelILi25E19rocblas_complex_numIdEiiPS3_EEvT1_T3_lS5_lPS5_llPT2_S5_S5_S7_l,comdat
.Lfunc_end48:
	.size	_ZN9rocsolver6v33100L18getf2_small_kernelILi25E19rocblas_complex_numIdEiiPS3_EEvT1_T3_lS5_lPS5_llPT2_S5_S5_S7_l, .Lfunc_end48-_ZN9rocsolver6v33100L18getf2_small_kernelILi25E19rocblas_complex_numIdEiiPS3_EEvT1_T3_lS5_lPS5_llPT2_S5_S5_S7_l
                                        ; -- End function
	.set _ZN9rocsolver6v33100L18getf2_small_kernelILi25E19rocblas_complex_numIdEiiPS3_EEvT1_T3_lS5_lPS5_llPT2_S5_S5_S7_l.num_vgpr, 135
	.set _ZN9rocsolver6v33100L18getf2_small_kernelILi25E19rocblas_complex_numIdEiiPS3_EEvT1_T3_lS5_lPS5_llPT2_S5_S5_S7_l.num_agpr, 0
	.set _ZN9rocsolver6v33100L18getf2_small_kernelILi25E19rocblas_complex_numIdEiiPS3_EEvT1_T3_lS5_lPS5_llPT2_S5_S5_S7_l.numbered_sgpr, 19
	.set _ZN9rocsolver6v33100L18getf2_small_kernelILi25E19rocblas_complex_numIdEiiPS3_EEvT1_T3_lS5_lPS5_llPT2_S5_S5_S7_l.num_named_barrier, 0
	.set _ZN9rocsolver6v33100L18getf2_small_kernelILi25E19rocblas_complex_numIdEiiPS3_EEvT1_T3_lS5_lPS5_llPT2_S5_S5_S7_l.private_seg_size, 0
	.set _ZN9rocsolver6v33100L18getf2_small_kernelILi25E19rocblas_complex_numIdEiiPS3_EEvT1_T3_lS5_lPS5_llPT2_S5_S5_S7_l.uses_vcc, 1
	.set _ZN9rocsolver6v33100L18getf2_small_kernelILi25E19rocblas_complex_numIdEiiPS3_EEvT1_T3_lS5_lPS5_llPT2_S5_S5_S7_l.uses_flat_scratch, 0
	.set _ZN9rocsolver6v33100L18getf2_small_kernelILi25E19rocblas_complex_numIdEiiPS3_EEvT1_T3_lS5_lPS5_llPT2_S5_S5_S7_l.has_dyn_sized_stack, 0
	.set _ZN9rocsolver6v33100L18getf2_small_kernelILi25E19rocblas_complex_numIdEiiPS3_EEvT1_T3_lS5_lPS5_llPT2_S5_S5_S7_l.has_recursion, 0
	.set _ZN9rocsolver6v33100L18getf2_small_kernelILi25E19rocblas_complex_numIdEiiPS3_EEvT1_T3_lS5_lPS5_llPT2_S5_S5_S7_l.has_indirect_call, 0
	.section	.AMDGPU.csdata,"",@progbits
; Kernel info:
; codeLenInByte = 47512
; TotalNumSgprs: 21
; NumVgprs: 135
; ScratchSize: 0
; MemoryBound: 0
; FloatMode: 240
; IeeeMode: 1
; LDSByteSize: 0 bytes/workgroup (compile time only)
; SGPRBlocks: 0
; VGPRBlocks: 16
; NumSGPRsForWavesPerEU: 21
; NumVGPRsForWavesPerEU: 135
; Occupancy: 7
; WaveLimiterHint : 0
; COMPUTE_PGM_RSRC2:SCRATCH_EN: 0
; COMPUTE_PGM_RSRC2:USER_SGPR: 6
; COMPUTE_PGM_RSRC2:TRAP_HANDLER: 0
; COMPUTE_PGM_RSRC2:TGID_X_EN: 1
; COMPUTE_PGM_RSRC2:TGID_Y_EN: 1
; COMPUTE_PGM_RSRC2:TGID_Z_EN: 0
; COMPUTE_PGM_RSRC2:TIDIG_COMP_CNT: 1
	.section	.text._ZN9rocsolver6v33100L23getf2_npvt_small_kernelILi25E19rocblas_complex_numIdEiiPS3_EEvT1_T3_lS5_lPT2_S5_S5_,"axG",@progbits,_ZN9rocsolver6v33100L23getf2_npvt_small_kernelILi25E19rocblas_complex_numIdEiiPS3_EEvT1_T3_lS5_lPT2_S5_S5_,comdat
	.globl	_ZN9rocsolver6v33100L23getf2_npvt_small_kernelILi25E19rocblas_complex_numIdEiiPS3_EEvT1_T3_lS5_lPT2_S5_S5_ ; -- Begin function _ZN9rocsolver6v33100L23getf2_npvt_small_kernelILi25E19rocblas_complex_numIdEiiPS3_EEvT1_T3_lS5_lPT2_S5_S5_
	.p2align	8
	.type	_ZN9rocsolver6v33100L23getf2_npvt_small_kernelILi25E19rocblas_complex_numIdEiiPS3_EEvT1_T3_lS5_lPT2_S5_S5_,@function
_ZN9rocsolver6v33100L23getf2_npvt_small_kernelILi25E19rocblas_complex_numIdEiiPS3_EEvT1_T3_lS5_lPT2_S5_S5_: ; @_ZN9rocsolver6v33100L23getf2_npvt_small_kernelILi25E19rocblas_complex_numIdEiiPS3_EEvT1_T3_lS5_lPT2_S5_S5_
; %bb.0:
	s_mov_b64 s[18:19], s[2:3]
	s_mov_b64 s[16:17], s[0:1]
	s_clause 0x1
	s_load_dword s0, s[4:5], 0x44
	s_load_dwordx2 s[12:13], s[4:5], 0x30
	s_add_u32 s16, s16, s8
	s_addc_u32 s17, s17, 0
	s_waitcnt lgkmcnt(0)
	s_lshr_b32 s14, s0, 16
	s_mov_b32 s0, exec_lo
	v_mad_u64_u32 v[236:237], null, s7, s14, v[1:2]
	v_cmpx_gt_i32_e64 s12, v236
	s_cbranch_execz .LBB49_230
; %bb.1:
	s_clause 0x2
	s_load_dwordx4 s[8:11], s[4:5], 0x20
	s_load_dword s6, s[4:5], 0x18
	s_load_dwordx4 s[0:3], s[4:5], 0x8
	v_ashrrev_i32_e32 v237, 31, v236
	v_lshlrev_b32_e32 v13, 4, v0
	v_lshlrev_b32_e32 v102, 4, v1
	s_mulk_i32 s14, 0x190
	v_mad_u32_u24 v254, 0x190, v1, 0
	v_add3_u32 v1, 0, s14, v102
	s_waitcnt lgkmcnt(0)
	v_mul_lo_u32 v5, s9, v236
	v_mul_lo_u32 v7, s8, v237
	v_mad_u64_u32 v[2:3], null, s8, v236, 0
	v_add3_u32 v4, s6, s6, v0
	s_lshl_b64 s[2:3], s[2:3], 4
	s_ashr_i32 s7, s6, 31
	s_lshl_b64 s[4:5], s[6:7], 4
	v_add_nc_u32_e32 v6, s6, v4
	v_add3_u32 v3, v3, v7, v5
	v_ashrrev_i32_e32 v5, 31, v4
	v_add_nc_u32_e32 v8, s6, v6
	v_lshlrev_b64 v[2:3], 4, v[2:3]
	v_ashrrev_i32_e32 v7, 31, v6
	v_lshlrev_b64 v[4:5], 4, v[4:5]
	v_add_nc_u32_e32 v10, s6, v8
	v_ashrrev_i32_e32 v9, 31, v8
	v_add_co_u32 v12, vcc_lo, s0, v2
	v_add_co_ci_u32_e64 v14, null, s1, v3, vcc_lo
	v_lshlrev_b64 v[6:7], 4, v[6:7]
	v_add_co_u32 v15, vcc_lo, v12, s2
	v_add_co_ci_u32_e64 v14, null, s3, v14, vcc_lo
	v_ashrrev_i32_e32 v11, 31, v10
	v_add_co_u32 v208, vcc_lo, v15, v13
	v_lshlrev_b64 v[2:3], 4, v[8:9]
	v_add_co_ci_u32_e64 v209, null, 0, v14, vcc_lo
	v_add_co_u32 v210, vcc_lo, v15, v4
	v_add_nc_u32_e32 v8, s6, v10
	v_lshlrev_b64 v[10:11], 4, v[10:11]
	v_add_co_ci_u32_e64 v211, null, v14, v5, vcc_lo
	v_add_co_u32 v206, vcc_lo, v15, v6
	v_add_co_ci_u32_e64 v207, null, v14, v7, vcc_lo
	v_add_co_u32 v212, vcc_lo, v208, s4
	;; [unrolled: 2-line block ×4, first 2 shown]
	v_add_co_ci_u32_e64 v11, null, v14, v11, vcc_lo
	s_clause 0x4
	global_load_dwordx4 v[98:101], v[208:209], off
	global_load_dwordx4 v[94:97], v[212:213], off
	;; [unrolled: 1-line block ×5, first 2 shown]
	buffer_store_dword v10, off, s[16:19], 0 offset:24 ; 4-byte Folded Spill
	buffer_store_dword v11, off, s[16:19], 0 offset:28 ; 4-byte Folded Spill
	v_ashrrev_i32_e32 v9, 31, v8
	v_add_nc_u32_e32 v12, s6, v8
	v_cmp_ne_u32_e64 s1, 0, v0
	v_cmp_eq_u32_e64 s0, 0, v0
	v_lshlrev_b64 v[2:3], 4, v[8:9]
	v_ashrrev_i32_e32 v13, 31, v12
	v_add_nc_u32_e32 v4, s6, v12
	v_lshlrev_b64 v[6:7], 4, v[12:13]
	v_add_co_u32 v12, vcc_lo, v15, v2
	v_add_co_ci_u32_e64 v13, null, v14, v3, vcc_lo
	v_ashrrev_i32_e32 v5, 31, v4
	v_add_co_u32 v16, vcc_lo, v15, v6
	v_add_co_ci_u32_e64 v17, null, v14, v7, vcc_lo
	v_add_nc_u32_e32 v8, s6, v4
	v_lshlrev_b64 v[2:3], 4, v[4:5]
	v_ashrrev_i32_e32 v9, 31, v8
	v_add_nc_u32_e32 v4, s6, v8
	v_add_co_u32 v220, vcc_lo, v15, v2
	v_add_co_ci_u32_e64 v221, null, v14, v3, vcc_lo
	v_lshlrev_b64 v[6:7], 4, v[8:9]
	v_ashrrev_i32_e32 v5, 31, v4
	v_add_nc_u32_e32 v8, s6, v4
	v_lshlrev_b64 v[2:3], 4, v[4:5]
	v_ashrrev_i32_e32 v9, 31, v8
	v_add_nc_u32_e32 v4, s6, v8
	v_add_co_u32 v222, vcc_lo, v15, v6
	v_add_co_ci_u32_e64 v223, null, v14, v7, vcc_lo
	v_lshlrev_b64 v[6:7], 4, v[8:9]
	v_ashrrev_i32_e32 v5, 31, v4
	v_add_nc_u32_e32 v8, s6, v4
	v_add_co_u32 v224, vcc_lo, v15, v2
	v_add_co_ci_u32_e64 v225, null, v14, v3, vcc_lo
	;; [unrolled: 5-line block ×12, first 2 shown]
	v_lshlrev_b64 v[2:3], 4, v[4:5]
	v_add_nc_u32_e32 v4, s6, v8
	v_ashrrev_i32_e32 v9, 31, v8
	v_add_co_u32 v252, vcc_lo, v15, v6
	v_add_co_ci_u32_e64 v253, null, v14, v7, vcc_lo
	v_ashrrev_i32_e32 v5, 31, v4
	v_lshlrev_b64 v[6:7], 4, v[8:9]
	v_add_co_u32 v248, vcc_lo, v15, v2
	v_add_co_ci_u32_e64 v249, null, v14, v3, vcc_lo
	v_lshlrev_b64 v[2:3], 4, v[4:5]
	v_add_co_u32 v250, vcc_lo, v15, v6
	v_add_co_ci_u32_e64 v251, null, v14, v7, vcc_lo
	v_add_co_u32 v204, vcc_lo, v15, v2
	v_add_co_ci_u32_e64 v205, null, v14, v3, vcc_lo
	global_load_dwordx4 v[78:81], v[10:11], off
	buffer_store_dword v12, off, s[16:19], 0 offset:16 ; 4-byte Folded Spill
	buffer_store_dword v13, off, s[16:19], 0 offset:20 ; 4-byte Folded Spill
	global_load_dwordx4 v[74:77], v[12:13], off
	buffer_store_dword v16, off, s[16:19], 0 offset:32 ; 4-byte Folded Spill
	buffer_store_dword v17, off, s[16:19], 0 offset:36 ; 4-byte Folded Spill
	s_clause 0x11
	global_load_dwordx4 v[70:73], v[16:17], off
	global_load_dwordx4 v[66:69], v[220:221], off
	;; [unrolled: 1-line block ×18, first 2 shown]
	s_and_saveexec_b32 s3, s0
	s_cbranch_execz .LBB49_8
; %bb.2:
	s_waitcnt vmcnt(24)
	ds_write2_b64 v1, v[98:99], v[100:101] offset1:1
	s_waitcnt vmcnt(23)
	ds_write2_b64 v254, v[94:95], v[96:97] offset0:2 offset1:3
	s_waitcnt vmcnt(22)
	ds_write2_b64 v254, v[90:91], v[92:93] offset0:4 offset1:5
	;; [unrolled: 2-line block ×24, first 2 shown]
	ds_read2_b64 v[102:105], v1 offset1:1
	s_waitcnt lgkmcnt(0)
	v_cmp_neq_f64_e32 vcc_lo, 0, v[102:103]
	v_cmp_neq_f64_e64 s2, 0, v[104:105]
	s_or_b32 s2, vcc_lo, s2
	s_and_b32 exec_lo, exec_lo, s2
	s_cbranch_execz .LBB49_8
; %bb.3:
	v_cmp_ngt_f64_e64 s2, |v[102:103]|, |v[104:105]|
                                        ; implicit-def: $vgpr106_vgpr107
	s_and_saveexec_b32 s4, s2
	s_xor_b32 s2, exec_lo, s4
                                        ; implicit-def: $vgpr108_vgpr109
	s_cbranch_execz .LBB49_5
; %bb.4:
	v_div_scale_f64 v[106:107], null, v[104:105], v[104:105], v[102:103]
	v_div_scale_f64 v[112:113], vcc_lo, v[102:103], v[104:105], v[102:103]
	v_rcp_f64_e32 v[108:109], v[106:107]
	v_fma_f64 v[110:111], -v[106:107], v[108:109], 1.0
	v_fma_f64 v[108:109], v[108:109], v[110:111], v[108:109]
	v_fma_f64 v[110:111], -v[106:107], v[108:109], 1.0
	v_fma_f64 v[108:109], v[108:109], v[110:111], v[108:109]
	v_mul_f64 v[110:111], v[112:113], v[108:109]
	v_fma_f64 v[106:107], -v[106:107], v[110:111], v[112:113]
	v_div_fmas_f64 v[106:107], v[106:107], v[108:109], v[110:111]
	v_div_fixup_f64 v[106:107], v[106:107], v[104:105], v[102:103]
	v_fma_f64 v[102:103], v[102:103], v[106:107], v[104:105]
	v_div_scale_f64 v[104:105], null, v[102:103], v[102:103], 1.0
	v_rcp_f64_e32 v[108:109], v[104:105]
	v_fma_f64 v[110:111], -v[104:105], v[108:109], 1.0
	v_fma_f64 v[108:109], v[108:109], v[110:111], v[108:109]
	v_fma_f64 v[110:111], -v[104:105], v[108:109], 1.0
	v_fma_f64 v[108:109], v[108:109], v[110:111], v[108:109]
	v_div_scale_f64 v[110:111], vcc_lo, 1.0, v[102:103], 1.0
	v_mul_f64 v[112:113], v[110:111], v[108:109]
	v_fma_f64 v[104:105], -v[104:105], v[112:113], v[110:111]
	v_div_fmas_f64 v[104:105], v[104:105], v[108:109], v[112:113]
	v_div_fixup_f64 v[108:109], v[104:105], v[102:103], 1.0
                                        ; implicit-def: $vgpr102_vgpr103
	v_mul_f64 v[106:107], v[106:107], v[108:109]
	v_xor_b32_e32 v109, 0x80000000, v109
.LBB49_5:
	s_andn2_saveexec_b32 s2, s2
	s_cbranch_execz .LBB49_7
; %bb.6:
	v_div_scale_f64 v[106:107], null, v[102:103], v[102:103], v[104:105]
	v_div_scale_f64 v[112:113], vcc_lo, v[104:105], v[102:103], v[104:105]
	v_rcp_f64_e32 v[108:109], v[106:107]
	v_fma_f64 v[110:111], -v[106:107], v[108:109], 1.0
	v_fma_f64 v[108:109], v[108:109], v[110:111], v[108:109]
	v_fma_f64 v[110:111], -v[106:107], v[108:109], 1.0
	v_fma_f64 v[108:109], v[108:109], v[110:111], v[108:109]
	v_mul_f64 v[110:111], v[112:113], v[108:109]
	v_fma_f64 v[106:107], -v[106:107], v[110:111], v[112:113]
	v_div_fmas_f64 v[106:107], v[106:107], v[108:109], v[110:111]
	v_div_fixup_f64 v[108:109], v[106:107], v[102:103], v[104:105]
	v_fma_f64 v[102:103], v[104:105], v[108:109], v[102:103]
	v_div_scale_f64 v[104:105], null, v[102:103], v[102:103], 1.0
	v_rcp_f64_e32 v[106:107], v[104:105]
	v_fma_f64 v[110:111], -v[104:105], v[106:107], 1.0
	v_fma_f64 v[106:107], v[106:107], v[110:111], v[106:107]
	v_fma_f64 v[110:111], -v[104:105], v[106:107], 1.0
	v_fma_f64 v[106:107], v[106:107], v[110:111], v[106:107]
	v_div_scale_f64 v[110:111], vcc_lo, 1.0, v[102:103], 1.0
	v_mul_f64 v[112:113], v[110:111], v[106:107]
	v_fma_f64 v[104:105], -v[104:105], v[112:113], v[110:111]
	v_div_fmas_f64 v[104:105], v[104:105], v[106:107], v[112:113]
	v_div_fixup_f64 v[106:107], v[104:105], v[102:103], 1.0
	v_mul_f64 v[108:109], v[108:109], -v[106:107]
.LBB49_7:
	s_or_b32 exec_lo, exec_lo, s2
	ds_write2_b64 v1, v[106:107], v[108:109] offset1:1
.LBB49_8:
	s_or_b32 exec_lo, exec_lo, s3
	s_waitcnt vmcnt(0) lgkmcnt(0)
	s_waitcnt_vscnt null, 0x0
	s_barrier
	buffer_gl0_inv
	ds_read2_b64 v[102:105], v1 offset1:1
	s_waitcnt lgkmcnt(0)
	buffer_store_dword v102, off, s[16:19], 0 ; 4-byte Folded Spill
	buffer_store_dword v103, off, s[16:19], 0 offset:4 ; 4-byte Folded Spill
	buffer_store_dword v104, off, s[16:19], 0 offset:8 ; 4-byte Folded Spill
	buffer_store_dword v105, off, s[16:19], 0 offset:12 ; 4-byte Folded Spill
	s_and_saveexec_b32 s2, s1
	s_cbranch_execz .LBB49_10
; %bb.9:
	s_clause 0x3
	buffer_load_dword v102, off, s[16:19], 0
	buffer_load_dword v103, off, s[16:19], 0 offset:4
	buffer_load_dword v104, off, s[16:19], 0 offset:8
	buffer_load_dword v105, off, s[16:19], 0 offset:12
	s_waitcnt vmcnt(2)
	v_mul_f64 v[106:107], v[102:103], v[100:101]
	s_waitcnt vmcnt(0)
	v_mul_f64 v[130:131], v[104:105], v[100:101]
	v_fma_f64 v[100:101], v[104:105], v[98:99], v[106:107]
	ds_read2_b64 v[106:109], v254 offset0:2 offset1:3
	ds_read2_b64 v[110:113], v254 offset0:4 offset1:5
	;; [unrolled: 1-line block ×6, first 2 shown]
	v_fma_f64 v[98:99], v[102:103], v[98:99], -v[130:131]
	ds_read2_b64 v[130:133], v254 offset0:14 offset1:15
	ds_read2_b64 v[134:137], v254 offset0:16 offset1:17
	;; [unrolled: 1-line block ×8, first 2 shown]
	s_waitcnt lgkmcnt(13)
	v_mul_f64 v[162:163], v[108:109], v[100:101]
	v_mul_f64 v[164:165], v[106:107], v[100:101]
	s_waitcnt lgkmcnt(12)
	v_mul_f64 v[166:167], v[112:113], v[100:101]
	v_mul_f64 v[168:169], v[110:111], v[100:101]
	;; [unrolled: 3-line block ×7, first 2 shown]
	v_fma_f64 v[162:163], v[106:107], v[98:99], -v[162:163]
	v_fma_f64 v[164:165], v[108:109], v[98:99], v[164:165]
	v_mul_f64 v[106:107], v[132:133], v[100:101]
	v_mul_f64 v[108:109], v[130:131], v[100:101]
	v_fma_f64 v[110:111], v[110:111], v[98:99], -v[166:167]
	v_fma_f64 v[112:113], v[112:113], v[98:99], v[168:169]
	v_mul_f64 v[166:167], v[136:137], v[100:101]
	v_mul_f64 v[168:169], v[134:135], v[100:101]
	;; [unrolled: 4-line block ×6, first 2 shown]
	v_fma_f64 v[130:131], v[130:131], v[98:99], -v[106:107]
	v_fma_f64 v[132:133], v[132:133], v[98:99], v[108:109]
	ds_read2_b64 v[106:109], v254 offset0:30 offset1:31
	v_fma_f64 v[154:155], v[154:155], v[98:99], -v[186:187]
	v_fma_f64 v[134:135], v[134:135], v[98:99], -v[166:167]
	v_fma_f64 v[136:137], v[136:137], v[98:99], v[168:169]
	s_waitcnt lgkmcnt(1)
	v_mul_f64 v[166:167], v[160:161], v[100:101]
	v_mul_f64 v[168:169], v[158:159], v[100:101]
	v_fma_f64 v[138:139], v[138:139], v[98:99], -v[170:171]
	v_fma_f64 v[140:141], v[140:141], v[98:99], v[172:173]
	v_fma_f64 v[156:157], v[156:157], v[98:99], v[188:189]
	v_add_f64 v[94:95], v[94:95], -v[162:163]
	v_fma_f64 v[142:143], v[142:143], v[98:99], -v[174:175]
	v_fma_f64 v[144:145], v[144:145], v[98:99], v[176:177]
	v_add_f64 v[96:97], v[96:97], -v[164:165]
	v_add_f64 v[90:91], v[90:91], -v[110:111]
	v_fma_f64 v[146:147], v[146:147], v[98:99], -v[178:179]
	v_fma_f64 v[148:149], v[148:149], v[98:99], v[180:181]
	v_add_f64 v[92:93], v[92:93], -v[112:113]
	ds_read2_b64 v[110:113], v254 offset0:32 offset1:33
	v_fma_f64 v[150:151], v[150:151], v[98:99], -v[182:183]
	v_fma_f64 v[152:153], v[152:153], v[98:99], v[184:185]
	s_waitcnt lgkmcnt(1)
	v_mul_f64 v[162:163], v[108:109], v[100:101]
	v_mul_f64 v[164:165], v[106:107], v[100:101]
	v_add_f64 v[86:87], v[86:87], -v[114:115]
	v_add_f64 v[88:89], v[88:89], -v[116:117]
	;; [unrolled: 1-line block ×16, first 2 shown]
	ds_read2_b64 v[114:117], v254 offset0:34 offset1:35
	ds_read2_b64 v[118:121], v254 offset0:36 offset1:37
	;; [unrolled: 1-line block ×8, first 2 shown]
	v_add_f64 v[54:55], v[54:55], -v[146:147]
	v_add_f64 v[56:57], v[56:57], -v[148:149]
	v_add_f64 v[50:51], v[50:51], -v[150:151]
	v_add_f64 v[52:53], v[52:53], -v[152:153]
	v_add_f64 v[46:47], v[46:47], -v[154:155]
	v_add_f64 v[48:49], v[48:49], -v[156:157]
	v_fma_f64 v[146:147], v[158:159], v[98:99], -v[166:167]
	v_fma_f64 v[148:149], v[160:161], v[98:99], v[168:169]
	v_fma_f64 v[106:107], v[106:107], v[98:99], -v[162:163]
	v_fma_f64 v[108:109], v[108:109], v[98:99], v[164:165]
	s_waitcnt lgkmcnt(8)
	v_mul_f64 v[150:151], v[112:113], v[100:101]
	v_mul_f64 v[152:153], v[110:111], v[100:101]
	s_waitcnt lgkmcnt(7)
	v_mul_f64 v[154:155], v[116:117], v[100:101]
	v_mul_f64 v[156:157], v[114:115], v[100:101]
	;; [unrolled: 3-line block ×9, first 2 shown]
	v_add_f64 v[42:43], v[42:43], -v[146:147]
	v_add_f64 v[44:45], v[44:45], -v[148:149]
	;; [unrolled: 1-line block ×4, first 2 shown]
	v_fma_f64 v[110:111], v[110:111], v[98:99], -v[150:151]
	v_fma_f64 v[112:113], v[112:113], v[98:99], v[152:153]
	v_fma_f64 v[114:115], v[114:115], v[98:99], -v[154:155]
	v_fma_f64 v[116:117], v[116:117], v[98:99], v[156:157]
	;; [unrolled: 2-line block ×9, first 2 shown]
	v_add_f64 v[34:35], v[34:35], -v[110:111]
	v_add_f64 v[36:37], v[36:37], -v[112:113]
	;; [unrolled: 1-line block ×18, first 2 shown]
.LBB49_10:
	s_or_b32 exec_lo, exec_lo, s2
	s_mov_b32 s2, exec_lo
	s_waitcnt_vscnt null, 0x0
	s_barrier
	buffer_gl0_inv
	v_cmpx_eq_u32_e32 1, v0
	s_cbranch_execz .LBB49_17
; %bb.11:
	ds_write2_b64 v1, v[94:95], v[96:97] offset1:1
	ds_write2_b64 v254, v[90:91], v[92:93] offset0:4 offset1:5
	ds_write2_b64 v254, v[86:87], v[88:89] offset0:6 offset1:7
	;; [unrolled: 1-line block ×23, first 2 shown]
	ds_read2_b64 v[106:109], v1 offset1:1
	s_waitcnt lgkmcnt(0)
	v_cmp_neq_f64_e32 vcc_lo, 0, v[106:107]
	v_cmp_neq_f64_e64 s1, 0, v[108:109]
	s_or_b32 s1, vcc_lo, s1
	s_and_b32 exec_lo, exec_lo, s1
	s_cbranch_execz .LBB49_17
; %bb.12:
	v_cmp_ngt_f64_e64 s1, |v[106:107]|, |v[108:109]|
                                        ; implicit-def: $vgpr110_vgpr111
	s_and_saveexec_b32 s3, s1
	s_xor_b32 s1, exec_lo, s3
                                        ; implicit-def: $vgpr112_vgpr113
	s_cbranch_execz .LBB49_14
; %bb.13:
	v_div_scale_f64 v[110:111], null, v[108:109], v[108:109], v[106:107]
	v_div_scale_f64 v[116:117], vcc_lo, v[106:107], v[108:109], v[106:107]
	v_rcp_f64_e32 v[112:113], v[110:111]
	v_fma_f64 v[114:115], -v[110:111], v[112:113], 1.0
	v_fma_f64 v[112:113], v[112:113], v[114:115], v[112:113]
	v_fma_f64 v[114:115], -v[110:111], v[112:113], 1.0
	v_fma_f64 v[112:113], v[112:113], v[114:115], v[112:113]
	v_mul_f64 v[114:115], v[116:117], v[112:113]
	v_fma_f64 v[110:111], -v[110:111], v[114:115], v[116:117]
	v_div_fmas_f64 v[110:111], v[110:111], v[112:113], v[114:115]
	v_div_fixup_f64 v[110:111], v[110:111], v[108:109], v[106:107]
	v_fma_f64 v[106:107], v[106:107], v[110:111], v[108:109]
	v_div_scale_f64 v[108:109], null, v[106:107], v[106:107], 1.0
	v_rcp_f64_e32 v[112:113], v[108:109]
	v_fma_f64 v[114:115], -v[108:109], v[112:113], 1.0
	v_fma_f64 v[112:113], v[112:113], v[114:115], v[112:113]
	v_fma_f64 v[114:115], -v[108:109], v[112:113], 1.0
	v_fma_f64 v[112:113], v[112:113], v[114:115], v[112:113]
	v_div_scale_f64 v[114:115], vcc_lo, 1.0, v[106:107], 1.0
	v_mul_f64 v[116:117], v[114:115], v[112:113]
	v_fma_f64 v[108:109], -v[108:109], v[116:117], v[114:115]
	v_div_fmas_f64 v[108:109], v[108:109], v[112:113], v[116:117]
	v_div_fixup_f64 v[112:113], v[108:109], v[106:107], 1.0
                                        ; implicit-def: $vgpr106_vgpr107
	v_mul_f64 v[110:111], v[110:111], v[112:113]
	v_xor_b32_e32 v113, 0x80000000, v113
.LBB49_14:
	s_andn2_saveexec_b32 s1, s1
	s_cbranch_execz .LBB49_16
; %bb.15:
	v_div_scale_f64 v[110:111], null, v[106:107], v[106:107], v[108:109]
	v_div_scale_f64 v[116:117], vcc_lo, v[108:109], v[106:107], v[108:109]
	v_rcp_f64_e32 v[112:113], v[110:111]
	v_fma_f64 v[114:115], -v[110:111], v[112:113], 1.0
	v_fma_f64 v[112:113], v[112:113], v[114:115], v[112:113]
	v_fma_f64 v[114:115], -v[110:111], v[112:113], 1.0
	v_fma_f64 v[112:113], v[112:113], v[114:115], v[112:113]
	v_mul_f64 v[114:115], v[116:117], v[112:113]
	v_fma_f64 v[110:111], -v[110:111], v[114:115], v[116:117]
	v_div_fmas_f64 v[110:111], v[110:111], v[112:113], v[114:115]
	v_div_fixup_f64 v[112:113], v[110:111], v[106:107], v[108:109]
	v_fma_f64 v[106:107], v[108:109], v[112:113], v[106:107]
	v_div_scale_f64 v[108:109], null, v[106:107], v[106:107], 1.0
	v_rcp_f64_e32 v[110:111], v[108:109]
	v_fma_f64 v[114:115], -v[108:109], v[110:111], 1.0
	v_fma_f64 v[110:111], v[110:111], v[114:115], v[110:111]
	v_fma_f64 v[114:115], -v[108:109], v[110:111], 1.0
	v_fma_f64 v[110:111], v[110:111], v[114:115], v[110:111]
	v_div_scale_f64 v[114:115], vcc_lo, 1.0, v[106:107], 1.0
	v_mul_f64 v[116:117], v[114:115], v[110:111]
	v_fma_f64 v[108:109], -v[108:109], v[116:117], v[114:115]
	v_div_fmas_f64 v[108:109], v[108:109], v[110:111], v[116:117]
	v_div_fixup_f64 v[110:111], v[108:109], v[106:107], 1.0
	v_mul_f64 v[112:113], v[112:113], -v[110:111]
.LBB49_16:
	s_or_b32 exec_lo, exec_lo, s1
	ds_write2_b64 v1, v[110:111], v[112:113] offset1:1
.LBB49_17:
	s_or_b32 exec_lo, exec_lo, s2
	s_waitcnt lgkmcnt(0)
	s_barrier
	buffer_gl0_inv
	ds_read2_b64 v[106:109], v1 offset1:1
	s_mov_b32 s1, exec_lo
	v_cmpx_lt_u32_e32 1, v0
	s_cbranch_execz .LBB49_19
; %bb.18:
	s_waitcnt lgkmcnt(0)
	v_mul_f64 v[110:111], v[108:109], v[96:97]
	v_mul_f64 v[96:97], v[106:107], v[96:97]
	ds_read2_b64 v[112:115], v254 offset0:4 offset1:5
	v_fma_f64 v[110:111], v[106:107], v[94:95], -v[110:111]
	v_fma_f64 v[96:97], v[108:109], v[94:95], v[96:97]
	s_waitcnt lgkmcnt(0)
	v_mul_f64 v[94:95], v[114:115], v[96:97]
	v_fma_f64 v[94:95], v[112:113], v[110:111], -v[94:95]
	v_mul_f64 v[112:113], v[112:113], v[96:97]
	v_add_f64 v[90:91], v[90:91], -v[94:95]
	v_fma_f64 v[112:113], v[114:115], v[110:111], v[112:113]
	v_add_f64 v[92:93], v[92:93], -v[112:113]
	ds_read2_b64 v[112:115], v254 offset0:6 offset1:7
	s_waitcnt lgkmcnt(0)
	v_mul_f64 v[94:95], v[114:115], v[96:97]
	v_fma_f64 v[94:95], v[112:113], v[110:111], -v[94:95]
	v_mul_f64 v[112:113], v[112:113], v[96:97]
	v_add_f64 v[86:87], v[86:87], -v[94:95]
	v_fma_f64 v[112:113], v[114:115], v[110:111], v[112:113]
	v_add_f64 v[88:89], v[88:89], -v[112:113]
	ds_read2_b64 v[112:115], v254 offset0:8 offset1:9
	;; [unrolled: 8-line block ×22, first 2 shown]
	s_waitcnt lgkmcnt(0)
	v_mul_f64 v[94:95], v[114:115], v[96:97]
	v_fma_f64 v[94:95], v[112:113], v[110:111], -v[94:95]
	v_mul_f64 v[112:113], v[112:113], v[96:97]
	v_add_f64 v[2:3], v[2:3], -v[94:95]
	v_fma_f64 v[112:113], v[114:115], v[110:111], v[112:113]
	v_mov_b32_e32 v94, v110
	v_mov_b32_e32 v95, v111
	v_add_f64 v[4:5], v[4:5], -v[112:113]
.LBB49_19:
	s_or_b32 exec_lo, exec_lo, s1
	s_mov_b32 s2, exec_lo
	s_waitcnt lgkmcnt(0)
	s_barrier
	buffer_gl0_inv
	v_cmpx_eq_u32_e32 2, v0
	s_cbranch_execz .LBB49_26
; %bb.20:
	ds_write2_b64 v1, v[90:91], v[92:93] offset1:1
	ds_write2_b64 v254, v[86:87], v[88:89] offset0:6 offset1:7
	ds_write2_b64 v254, v[82:83], v[84:85] offset0:8 offset1:9
	;; [unrolled: 1-line block ×22, first 2 shown]
	ds_read2_b64 v[110:113], v1 offset1:1
	s_waitcnt lgkmcnt(0)
	v_cmp_neq_f64_e32 vcc_lo, 0, v[110:111]
	v_cmp_neq_f64_e64 s1, 0, v[112:113]
	s_or_b32 s1, vcc_lo, s1
	s_and_b32 exec_lo, exec_lo, s1
	s_cbranch_execz .LBB49_26
; %bb.21:
	v_cmp_ngt_f64_e64 s1, |v[110:111]|, |v[112:113]|
                                        ; implicit-def: $vgpr114_vgpr115
	s_and_saveexec_b32 s3, s1
	s_xor_b32 s1, exec_lo, s3
                                        ; implicit-def: $vgpr116_vgpr117
	s_cbranch_execz .LBB49_23
; %bb.22:
	v_div_scale_f64 v[114:115], null, v[112:113], v[112:113], v[110:111]
	v_div_scale_f64 v[120:121], vcc_lo, v[110:111], v[112:113], v[110:111]
	v_rcp_f64_e32 v[116:117], v[114:115]
	v_fma_f64 v[118:119], -v[114:115], v[116:117], 1.0
	v_fma_f64 v[116:117], v[116:117], v[118:119], v[116:117]
	v_fma_f64 v[118:119], -v[114:115], v[116:117], 1.0
	v_fma_f64 v[116:117], v[116:117], v[118:119], v[116:117]
	v_mul_f64 v[118:119], v[120:121], v[116:117]
	v_fma_f64 v[114:115], -v[114:115], v[118:119], v[120:121]
	v_div_fmas_f64 v[114:115], v[114:115], v[116:117], v[118:119]
	v_div_fixup_f64 v[114:115], v[114:115], v[112:113], v[110:111]
	v_fma_f64 v[110:111], v[110:111], v[114:115], v[112:113]
	v_div_scale_f64 v[112:113], null, v[110:111], v[110:111], 1.0
	v_rcp_f64_e32 v[116:117], v[112:113]
	v_fma_f64 v[118:119], -v[112:113], v[116:117], 1.0
	v_fma_f64 v[116:117], v[116:117], v[118:119], v[116:117]
	v_fma_f64 v[118:119], -v[112:113], v[116:117], 1.0
	v_fma_f64 v[116:117], v[116:117], v[118:119], v[116:117]
	v_div_scale_f64 v[118:119], vcc_lo, 1.0, v[110:111], 1.0
	v_mul_f64 v[120:121], v[118:119], v[116:117]
	v_fma_f64 v[112:113], -v[112:113], v[120:121], v[118:119]
	v_div_fmas_f64 v[112:113], v[112:113], v[116:117], v[120:121]
	v_div_fixup_f64 v[116:117], v[112:113], v[110:111], 1.0
                                        ; implicit-def: $vgpr110_vgpr111
	v_mul_f64 v[114:115], v[114:115], v[116:117]
	v_xor_b32_e32 v117, 0x80000000, v117
.LBB49_23:
	s_andn2_saveexec_b32 s1, s1
	s_cbranch_execz .LBB49_25
; %bb.24:
	v_div_scale_f64 v[114:115], null, v[110:111], v[110:111], v[112:113]
	v_div_scale_f64 v[120:121], vcc_lo, v[112:113], v[110:111], v[112:113]
	v_rcp_f64_e32 v[116:117], v[114:115]
	v_fma_f64 v[118:119], -v[114:115], v[116:117], 1.0
	v_fma_f64 v[116:117], v[116:117], v[118:119], v[116:117]
	v_fma_f64 v[118:119], -v[114:115], v[116:117], 1.0
	v_fma_f64 v[116:117], v[116:117], v[118:119], v[116:117]
	v_mul_f64 v[118:119], v[120:121], v[116:117]
	v_fma_f64 v[114:115], -v[114:115], v[118:119], v[120:121]
	v_div_fmas_f64 v[114:115], v[114:115], v[116:117], v[118:119]
	v_div_fixup_f64 v[116:117], v[114:115], v[110:111], v[112:113]
	v_fma_f64 v[110:111], v[112:113], v[116:117], v[110:111]
	v_div_scale_f64 v[112:113], null, v[110:111], v[110:111], 1.0
	v_rcp_f64_e32 v[114:115], v[112:113]
	v_fma_f64 v[118:119], -v[112:113], v[114:115], 1.0
	v_fma_f64 v[114:115], v[114:115], v[118:119], v[114:115]
	v_fma_f64 v[118:119], -v[112:113], v[114:115], 1.0
	v_fma_f64 v[114:115], v[114:115], v[118:119], v[114:115]
	v_div_scale_f64 v[118:119], vcc_lo, 1.0, v[110:111], 1.0
	v_mul_f64 v[120:121], v[118:119], v[114:115]
	v_fma_f64 v[112:113], -v[112:113], v[120:121], v[118:119]
	v_div_fmas_f64 v[112:113], v[112:113], v[114:115], v[120:121]
	v_div_fixup_f64 v[114:115], v[112:113], v[110:111], 1.0
	v_mul_f64 v[116:117], v[116:117], -v[114:115]
.LBB49_25:
	s_or_b32 exec_lo, exec_lo, s1
	ds_write2_b64 v1, v[114:115], v[116:117] offset1:1
.LBB49_26:
	s_or_b32 exec_lo, exec_lo, s2
	s_waitcnt lgkmcnt(0)
	s_barrier
	buffer_gl0_inv
	ds_read2_b64 v[110:113], v1 offset1:1
	s_mov_b32 s1, exec_lo
	v_cmpx_lt_u32_e32 2, v0
	s_cbranch_execz .LBB49_28
; %bb.27:
	s_waitcnt lgkmcnt(0)
	v_mul_f64 v[114:115], v[112:113], v[92:93]
	v_mul_f64 v[92:93], v[110:111], v[92:93]
	ds_read2_b64 v[116:119], v254 offset0:6 offset1:7
	v_fma_f64 v[114:115], v[110:111], v[90:91], -v[114:115]
	v_fma_f64 v[92:93], v[112:113], v[90:91], v[92:93]
	s_waitcnt lgkmcnt(0)
	v_mul_f64 v[90:91], v[118:119], v[92:93]
	v_fma_f64 v[90:91], v[116:117], v[114:115], -v[90:91]
	v_mul_f64 v[116:117], v[116:117], v[92:93]
	v_add_f64 v[86:87], v[86:87], -v[90:91]
	v_fma_f64 v[116:117], v[118:119], v[114:115], v[116:117]
	v_add_f64 v[88:89], v[88:89], -v[116:117]
	ds_read2_b64 v[116:119], v254 offset0:8 offset1:9
	s_waitcnt lgkmcnt(0)
	v_mul_f64 v[90:91], v[118:119], v[92:93]
	v_fma_f64 v[90:91], v[116:117], v[114:115], -v[90:91]
	v_mul_f64 v[116:117], v[116:117], v[92:93]
	v_add_f64 v[82:83], v[82:83], -v[90:91]
	v_fma_f64 v[116:117], v[118:119], v[114:115], v[116:117]
	v_add_f64 v[84:85], v[84:85], -v[116:117]
	ds_read2_b64 v[116:119], v254 offset0:10 offset1:11
	;; [unrolled: 8-line block ×21, first 2 shown]
	s_waitcnt lgkmcnt(0)
	v_mul_f64 v[90:91], v[118:119], v[92:93]
	v_fma_f64 v[90:91], v[116:117], v[114:115], -v[90:91]
	v_mul_f64 v[116:117], v[116:117], v[92:93]
	v_add_f64 v[2:3], v[2:3], -v[90:91]
	v_fma_f64 v[116:117], v[118:119], v[114:115], v[116:117]
	v_mov_b32_e32 v90, v114
	v_mov_b32_e32 v91, v115
	v_add_f64 v[4:5], v[4:5], -v[116:117]
.LBB49_28:
	s_or_b32 exec_lo, exec_lo, s1
	s_mov_b32 s2, exec_lo
	s_waitcnt lgkmcnt(0)
	s_barrier
	buffer_gl0_inv
	v_cmpx_eq_u32_e32 3, v0
	s_cbranch_execz .LBB49_35
; %bb.29:
	ds_write2_b64 v1, v[86:87], v[88:89] offset1:1
	ds_write2_b64 v254, v[82:83], v[84:85] offset0:8 offset1:9
	ds_write2_b64 v254, v[78:79], v[80:81] offset0:10 offset1:11
	;; [unrolled: 1-line block ×21, first 2 shown]
	ds_read2_b64 v[114:117], v1 offset1:1
	s_waitcnt lgkmcnt(0)
	v_cmp_neq_f64_e32 vcc_lo, 0, v[114:115]
	v_cmp_neq_f64_e64 s1, 0, v[116:117]
	s_or_b32 s1, vcc_lo, s1
	s_and_b32 exec_lo, exec_lo, s1
	s_cbranch_execz .LBB49_35
; %bb.30:
	v_cmp_ngt_f64_e64 s1, |v[114:115]|, |v[116:117]|
                                        ; implicit-def: $vgpr118_vgpr119
	s_and_saveexec_b32 s3, s1
	s_xor_b32 s1, exec_lo, s3
                                        ; implicit-def: $vgpr120_vgpr121
	s_cbranch_execz .LBB49_32
; %bb.31:
	v_div_scale_f64 v[118:119], null, v[116:117], v[116:117], v[114:115]
	v_div_scale_f64 v[124:125], vcc_lo, v[114:115], v[116:117], v[114:115]
	v_rcp_f64_e32 v[120:121], v[118:119]
	v_fma_f64 v[122:123], -v[118:119], v[120:121], 1.0
	v_fma_f64 v[120:121], v[120:121], v[122:123], v[120:121]
	v_fma_f64 v[122:123], -v[118:119], v[120:121], 1.0
	v_fma_f64 v[120:121], v[120:121], v[122:123], v[120:121]
	v_mul_f64 v[122:123], v[124:125], v[120:121]
	v_fma_f64 v[118:119], -v[118:119], v[122:123], v[124:125]
	v_div_fmas_f64 v[118:119], v[118:119], v[120:121], v[122:123]
	v_div_fixup_f64 v[118:119], v[118:119], v[116:117], v[114:115]
	v_fma_f64 v[114:115], v[114:115], v[118:119], v[116:117]
	v_div_scale_f64 v[116:117], null, v[114:115], v[114:115], 1.0
	v_rcp_f64_e32 v[120:121], v[116:117]
	v_fma_f64 v[122:123], -v[116:117], v[120:121], 1.0
	v_fma_f64 v[120:121], v[120:121], v[122:123], v[120:121]
	v_fma_f64 v[122:123], -v[116:117], v[120:121], 1.0
	v_fma_f64 v[120:121], v[120:121], v[122:123], v[120:121]
	v_div_scale_f64 v[122:123], vcc_lo, 1.0, v[114:115], 1.0
	v_mul_f64 v[124:125], v[122:123], v[120:121]
	v_fma_f64 v[116:117], -v[116:117], v[124:125], v[122:123]
	v_div_fmas_f64 v[116:117], v[116:117], v[120:121], v[124:125]
	v_div_fixup_f64 v[120:121], v[116:117], v[114:115], 1.0
                                        ; implicit-def: $vgpr114_vgpr115
	v_mul_f64 v[118:119], v[118:119], v[120:121]
	v_xor_b32_e32 v121, 0x80000000, v121
.LBB49_32:
	s_andn2_saveexec_b32 s1, s1
	s_cbranch_execz .LBB49_34
; %bb.33:
	v_div_scale_f64 v[118:119], null, v[114:115], v[114:115], v[116:117]
	v_div_scale_f64 v[124:125], vcc_lo, v[116:117], v[114:115], v[116:117]
	v_rcp_f64_e32 v[120:121], v[118:119]
	v_fma_f64 v[122:123], -v[118:119], v[120:121], 1.0
	v_fma_f64 v[120:121], v[120:121], v[122:123], v[120:121]
	v_fma_f64 v[122:123], -v[118:119], v[120:121], 1.0
	v_fma_f64 v[120:121], v[120:121], v[122:123], v[120:121]
	v_mul_f64 v[122:123], v[124:125], v[120:121]
	v_fma_f64 v[118:119], -v[118:119], v[122:123], v[124:125]
	v_div_fmas_f64 v[118:119], v[118:119], v[120:121], v[122:123]
	v_div_fixup_f64 v[120:121], v[118:119], v[114:115], v[116:117]
	v_fma_f64 v[114:115], v[116:117], v[120:121], v[114:115]
	v_div_scale_f64 v[116:117], null, v[114:115], v[114:115], 1.0
	v_rcp_f64_e32 v[118:119], v[116:117]
	v_fma_f64 v[122:123], -v[116:117], v[118:119], 1.0
	v_fma_f64 v[118:119], v[118:119], v[122:123], v[118:119]
	v_fma_f64 v[122:123], -v[116:117], v[118:119], 1.0
	v_fma_f64 v[118:119], v[118:119], v[122:123], v[118:119]
	v_div_scale_f64 v[122:123], vcc_lo, 1.0, v[114:115], 1.0
	v_mul_f64 v[124:125], v[122:123], v[118:119]
	v_fma_f64 v[116:117], -v[116:117], v[124:125], v[122:123]
	v_div_fmas_f64 v[116:117], v[116:117], v[118:119], v[124:125]
	v_div_fixup_f64 v[118:119], v[116:117], v[114:115], 1.0
	v_mul_f64 v[120:121], v[120:121], -v[118:119]
.LBB49_34:
	s_or_b32 exec_lo, exec_lo, s1
	ds_write2_b64 v1, v[118:119], v[120:121] offset1:1
.LBB49_35:
	s_or_b32 exec_lo, exec_lo, s2
	s_waitcnt lgkmcnt(0)
	s_barrier
	buffer_gl0_inv
	ds_read2_b64 v[114:117], v1 offset1:1
	s_mov_b32 s1, exec_lo
	v_cmpx_lt_u32_e32 3, v0
	s_cbranch_execz .LBB49_37
; %bb.36:
	s_waitcnt lgkmcnt(0)
	v_mul_f64 v[118:119], v[116:117], v[88:89]
	v_mul_f64 v[88:89], v[114:115], v[88:89]
	ds_read2_b64 v[120:123], v254 offset0:8 offset1:9
	v_fma_f64 v[118:119], v[114:115], v[86:87], -v[118:119]
	v_fma_f64 v[88:89], v[116:117], v[86:87], v[88:89]
	s_waitcnt lgkmcnt(0)
	v_mul_f64 v[86:87], v[122:123], v[88:89]
	v_fma_f64 v[86:87], v[120:121], v[118:119], -v[86:87]
	v_mul_f64 v[120:121], v[120:121], v[88:89]
	v_add_f64 v[82:83], v[82:83], -v[86:87]
	v_fma_f64 v[120:121], v[122:123], v[118:119], v[120:121]
	v_add_f64 v[84:85], v[84:85], -v[120:121]
	ds_read2_b64 v[120:123], v254 offset0:10 offset1:11
	s_waitcnt lgkmcnt(0)
	v_mul_f64 v[86:87], v[122:123], v[88:89]
	v_fma_f64 v[86:87], v[120:121], v[118:119], -v[86:87]
	v_mul_f64 v[120:121], v[120:121], v[88:89]
	v_add_f64 v[78:79], v[78:79], -v[86:87]
	v_fma_f64 v[120:121], v[122:123], v[118:119], v[120:121]
	v_add_f64 v[80:81], v[80:81], -v[120:121]
	ds_read2_b64 v[120:123], v254 offset0:12 offset1:13
	;; [unrolled: 8-line block ×20, first 2 shown]
	s_waitcnt lgkmcnt(0)
	v_mul_f64 v[86:87], v[122:123], v[88:89]
	v_fma_f64 v[86:87], v[120:121], v[118:119], -v[86:87]
	v_mul_f64 v[120:121], v[120:121], v[88:89]
	v_add_f64 v[2:3], v[2:3], -v[86:87]
	v_fma_f64 v[120:121], v[122:123], v[118:119], v[120:121]
	v_mov_b32_e32 v86, v118
	v_mov_b32_e32 v87, v119
	v_add_f64 v[4:5], v[4:5], -v[120:121]
.LBB49_37:
	s_or_b32 exec_lo, exec_lo, s1
	s_mov_b32 s2, exec_lo
	s_waitcnt lgkmcnt(0)
	s_barrier
	buffer_gl0_inv
	v_cmpx_eq_u32_e32 4, v0
	s_cbranch_execz .LBB49_44
; %bb.38:
	ds_write2_b64 v1, v[82:83], v[84:85] offset1:1
	ds_write2_b64 v254, v[78:79], v[80:81] offset0:10 offset1:11
	ds_write2_b64 v254, v[74:75], v[76:77] offset0:12 offset1:13
	;; [unrolled: 1-line block ×20, first 2 shown]
	ds_read2_b64 v[118:121], v1 offset1:1
	s_waitcnt lgkmcnt(0)
	v_cmp_neq_f64_e32 vcc_lo, 0, v[118:119]
	v_cmp_neq_f64_e64 s1, 0, v[120:121]
	s_or_b32 s1, vcc_lo, s1
	s_and_b32 exec_lo, exec_lo, s1
	s_cbranch_execz .LBB49_44
; %bb.39:
	v_cmp_ngt_f64_e64 s1, |v[118:119]|, |v[120:121]|
                                        ; implicit-def: $vgpr122_vgpr123
	s_and_saveexec_b32 s3, s1
	s_xor_b32 s1, exec_lo, s3
                                        ; implicit-def: $vgpr124_vgpr125
	s_cbranch_execz .LBB49_41
; %bb.40:
	v_div_scale_f64 v[122:123], null, v[120:121], v[120:121], v[118:119]
	v_div_scale_f64 v[128:129], vcc_lo, v[118:119], v[120:121], v[118:119]
	v_rcp_f64_e32 v[124:125], v[122:123]
	v_fma_f64 v[126:127], -v[122:123], v[124:125], 1.0
	v_fma_f64 v[124:125], v[124:125], v[126:127], v[124:125]
	v_fma_f64 v[126:127], -v[122:123], v[124:125], 1.0
	v_fma_f64 v[124:125], v[124:125], v[126:127], v[124:125]
	v_mul_f64 v[126:127], v[128:129], v[124:125]
	v_fma_f64 v[122:123], -v[122:123], v[126:127], v[128:129]
	v_div_fmas_f64 v[122:123], v[122:123], v[124:125], v[126:127]
	v_div_fixup_f64 v[122:123], v[122:123], v[120:121], v[118:119]
	v_fma_f64 v[118:119], v[118:119], v[122:123], v[120:121]
	v_div_scale_f64 v[120:121], null, v[118:119], v[118:119], 1.0
	v_rcp_f64_e32 v[124:125], v[120:121]
	v_fma_f64 v[126:127], -v[120:121], v[124:125], 1.0
	v_fma_f64 v[124:125], v[124:125], v[126:127], v[124:125]
	v_fma_f64 v[126:127], -v[120:121], v[124:125], 1.0
	v_fma_f64 v[124:125], v[124:125], v[126:127], v[124:125]
	v_div_scale_f64 v[126:127], vcc_lo, 1.0, v[118:119], 1.0
	v_mul_f64 v[128:129], v[126:127], v[124:125]
	v_fma_f64 v[120:121], -v[120:121], v[128:129], v[126:127]
	v_div_fmas_f64 v[120:121], v[120:121], v[124:125], v[128:129]
	v_div_fixup_f64 v[124:125], v[120:121], v[118:119], 1.0
                                        ; implicit-def: $vgpr118_vgpr119
	v_mul_f64 v[122:123], v[122:123], v[124:125]
	v_xor_b32_e32 v125, 0x80000000, v125
.LBB49_41:
	s_andn2_saveexec_b32 s1, s1
	s_cbranch_execz .LBB49_43
; %bb.42:
	v_div_scale_f64 v[122:123], null, v[118:119], v[118:119], v[120:121]
	v_div_scale_f64 v[128:129], vcc_lo, v[120:121], v[118:119], v[120:121]
	v_rcp_f64_e32 v[124:125], v[122:123]
	v_fma_f64 v[126:127], -v[122:123], v[124:125], 1.0
	v_fma_f64 v[124:125], v[124:125], v[126:127], v[124:125]
	v_fma_f64 v[126:127], -v[122:123], v[124:125], 1.0
	v_fma_f64 v[124:125], v[124:125], v[126:127], v[124:125]
	v_mul_f64 v[126:127], v[128:129], v[124:125]
	v_fma_f64 v[122:123], -v[122:123], v[126:127], v[128:129]
	v_div_fmas_f64 v[122:123], v[122:123], v[124:125], v[126:127]
	v_div_fixup_f64 v[124:125], v[122:123], v[118:119], v[120:121]
	v_fma_f64 v[118:119], v[120:121], v[124:125], v[118:119]
	v_div_scale_f64 v[120:121], null, v[118:119], v[118:119], 1.0
	v_rcp_f64_e32 v[122:123], v[120:121]
	v_fma_f64 v[126:127], -v[120:121], v[122:123], 1.0
	v_fma_f64 v[122:123], v[122:123], v[126:127], v[122:123]
	v_fma_f64 v[126:127], -v[120:121], v[122:123], 1.0
	v_fma_f64 v[122:123], v[122:123], v[126:127], v[122:123]
	v_div_scale_f64 v[126:127], vcc_lo, 1.0, v[118:119], 1.0
	v_mul_f64 v[128:129], v[126:127], v[122:123]
	v_fma_f64 v[120:121], -v[120:121], v[128:129], v[126:127]
	v_div_fmas_f64 v[120:121], v[120:121], v[122:123], v[128:129]
	v_div_fixup_f64 v[122:123], v[120:121], v[118:119], 1.0
	v_mul_f64 v[124:125], v[124:125], -v[122:123]
.LBB49_43:
	s_or_b32 exec_lo, exec_lo, s1
	ds_write2_b64 v1, v[122:123], v[124:125] offset1:1
.LBB49_44:
	s_or_b32 exec_lo, exec_lo, s2
	s_waitcnt lgkmcnt(0)
	s_barrier
	buffer_gl0_inv
	ds_read2_b64 v[118:121], v1 offset1:1
	s_mov_b32 s1, exec_lo
	v_cmpx_lt_u32_e32 4, v0
	s_cbranch_execz .LBB49_46
; %bb.45:
	s_waitcnt lgkmcnt(0)
	v_mul_f64 v[122:123], v[120:121], v[84:85]
	v_mul_f64 v[84:85], v[118:119], v[84:85]
	ds_read2_b64 v[124:127], v254 offset0:10 offset1:11
	v_fma_f64 v[122:123], v[118:119], v[82:83], -v[122:123]
	v_fma_f64 v[84:85], v[120:121], v[82:83], v[84:85]
	s_waitcnt lgkmcnt(0)
	v_mul_f64 v[82:83], v[126:127], v[84:85]
	v_fma_f64 v[82:83], v[124:125], v[122:123], -v[82:83]
	v_mul_f64 v[124:125], v[124:125], v[84:85]
	v_add_f64 v[78:79], v[78:79], -v[82:83]
	v_fma_f64 v[124:125], v[126:127], v[122:123], v[124:125]
	v_add_f64 v[80:81], v[80:81], -v[124:125]
	ds_read2_b64 v[124:127], v254 offset0:12 offset1:13
	s_waitcnt lgkmcnt(0)
	v_mul_f64 v[82:83], v[126:127], v[84:85]
	v_fma_f64 v[82:83], v[124:125], v[122:123], -v[82:83]
	v_mul_f64 v[124:125], v[124:125], v[84:85]
	v_add_f64 v[74:75], v[74:75], -v[82:83]
	v_fma_f64 v[124:125], v[126:127], v[122:123], v[124:125]
	v_add_f64 v[76:77], v[76:77], -v[124:125]
	ds_read2_b64 v[124:127], v254 offset0:14 offset1:15
	;; [unrolled: 8-line block ×19, first 2 shown]
	s_waitcnt lgkmcnt(0)
	v_mul_f64 v[82:83], v[126:127], v[84:85]
	v_fma_f64 v[82:83], v[124:125], v[122:123], -v[82:83]
	v_mul_f64 v[124:125], v[124:125], v[84:85]
	v_add_f64 v[2:3], v[2:3], -v[82:83]
	v_fma_f64 v[124:125], v[126:127], v[122:123], v[124:125]
	v_mov_b32_e32 v82, v122
	v_mov_b32_e32 v83, v123
	v_add_f64 v[4:5], v[4:5], -v[124:125]
.LBB49_46:
	s_or_b32 exec_lo, exec_lo, s1
	s_mov_b32 s2, exec_lo
	s_waitcnt lgkmcnt(0)
	s_barrier
	buffer_gl0_inv
	v_cmpx_eq_u32_e32 5, v0
	s_cbranch_execz .LBB49_53
; %bb.47:
	ds_write2_b64 v1, v[78:79], v[80:81] offset1:1
	ds_write2_b64 v254, v[74:75], v[76:77] offset0:12 offset1:13
	ds_write2_b64 v254, v[70:71], v[72:73] offset0:14 offset1:15
	ds_write2_b64 v254, v[66:67], v[68:69] offset0:16 offset1:17
	ds_write2_b64 v254, v[62:63], v[64:65] offset0:18 offset1:19
	ds_write2_b64 v254, v[58:59], v[60:61] offset0:20 offset1:21
	ds_write2_b64 v254, v[54:55], v[56:57] offset0:22 offset1:23
	ds_write2_b64 v254, v[50:51], v[52:53] offset0:24 offset1:25
	ds_write2_b64 v254, v[46:47], v[48:49] offset0:26 offset1:27
	ds_write2_b64 v254, v[42:43], v[44:45] offset0:28 offset1:29
	ds_write2_b64 v254, v[38:39], v[40:41] offset0:30 offset1:31
	ds_write2_b64 v254, v[34:35], v[36:37] offset0:32 offset1:33
	ds_write2_b64 v254, v[30:31], v[32:33] offset0:34 offset1:35
	ds_write2_b64 v254, v[26:27], v[28:29] offset0:36 offset1:37
	ds_write2_b64 v254, v[22:23], v[24:25] offset0:38 offset1:39
	ds_write2_b64 v254, v[18:19], v[20:21] offset0:40 offset1:41
	ds_write2_b64 v254, v[14:15], v[16:17] offset0:42 offset1:43
	ds_write2_b64 v254, v[10:11], v[12:13] offset0:44 offset1:45
	ds_write2_b64 v254, v[6:7], v[8:9] offset0:46 offset1:47
	ds_write2_b64 v254, v[2:3], v[4:5] offset0:48 offset1:49
	ds_read2_b64 v[122:125], v1 offset1:1
	s_waitcnt lgkmcnt(0)
	v_cmp_neq_f64_e32 vcc_lo, 0, v[122:123]
	v_cmp_neq_f64_e64 s1, 0, v[124:125]
	s_or_b32 s1, vcc_lo, s1
	s_and_b32 exec_lo, exec_lo, s1
	s_cbranch_execz .LBB49_53
; %bb.48:
	v_cmp_ngt_f64_e64 s1, |v[122:123]|, |v[124:125]|
                                        ; implicit-def: $vgpr126_vgpr127
	s_and_saveexec_b32 s3, s1
	s_xor_b32 s1, exec_lo, s3
                                        ; implicit-def: $vgpr128_vgpr129
	s_cbranch_execz .LBB49_50
; %bb.49:
	v_div_scale_f64 v[126:127], null, v[124:125], v[124:125], v[122:123]
	v_div_scale_f64 v[132:133], vcc_lo, v[122:123], v[124:125], v[122:123]
	v_rcp_f64_e32 v[128:129], v[126:127]
	v_fma_f64 v[130:131], -v[126:127], v[128:129], 1.0
	v_fma_f64 v[128:129], v[128:129], v[130:131], v[128:129]
	v_fma_f64 v[130:131], -v[126:127], v[128:129], 1.0
	v_fma_f64 v[128:129], v[128:129], v[130:131], v[128:129]
	v_mul_f64 v[130:131], v[132:133], v[128:129]
	v_fma_f64 v[126:127], -v[126:127], v[130:131], v[132:133]
	v_div_fmas_f64 v[126:127], v[126:127], v[128:129], v[130:131]
	v_div_fixup_f64 v[126:127], v[126:127], v[124:125], v[122:123]
	v_fma_f64 v[122:123], v[122:123], v[126:127], v[124:125]
	v_div_scale_f64 v[124:125], null, v[122:123], v[122:123], 1.0
	v_rcp_f64_e32 v[128:129], v[124:125]
	v_fma_f64 v[130:131], -v[124:125], v[128:129], 1.0
	v_fma_f64 v[128:129], v[128:129], v[130:131], v[128:129]
	v_fma_f64 v[130:131], -v[124:125], v[128:129], 1.0
	v_fma_f64 v[128:129], v[128:129], v[130:131], v[128:129]
	v_div_scale_f64 v[130:131], vcc_lo, 1.0, v[122:123], 1.0
	v_mul_f64 v[132:133], v[130:131], v[128:129]
	v_fma_f64 v[124:125], -v[124:125], v[132:133], v[130:131]
	v_div_fmas_f64 v[124:125], v[124:125], v[128:129], v[132:133]
	v_div_fixup_f64 v[128:129], v[124:125], v[122:123], 1.0
                                        ; implicit-def: $vgpr122_vgpr123
	v_mul_f64 v[126:127], v[126:127], v[128:129]
	v_xor_b32_e32 v129, 0x80000000, v129
.LBB49_50:
	s_andn2_saveexec_b32 s1, s1
	s_cbranch_execz .LBB49_52
; %bb.51:
	v_div_scale_f64 v[126:127], null, v[122:123], v[122:123], v[124:125]
	v_div_scale_f64 v[132:133], vcc_lo, v[124:125], v[122:123], v[124:125]
	v_rcp_f64_e32 v[128:129], v[126:127]
	v_fma_f64 v[130:131], -v[126:127], v[128:129], 1.0
	v_fma_f64 v[128:129], v[128:129], v[130:131], v[128:129]
	v_fma_f64 v[130:131], -v[126:127], v[128:129], 1.0
	v_fma_f64 v[128:129], v[128:129], v[130:131], v[128:129]
	v_mul_f64 v[130:131], v[132:133], v[128:129]
	v_fma_f64 v[126:127], -v[126:127], v[130:131], v[132:133]
	v_div_fmas_f64 v[126:127], v[126:127], v[128:129], v[130:131]
	v_div_fixup_f64 v[128:129], v[126:127], v[122:123], v[124:125]
	v_fma_f64 v[122:123], v[124:125], v[128:129], v[122:123]
	v_div_scale_f64 v[124:125], null, v[122:123], v[122:123], 1.0
	v_rcp_f64_e32 v[126:127], v[124:125]
	v_fma_f64 v[130:131], -v[124:125], v[126:127], 1.0
	v_fma_f64 v[126:127], v[126:127], v[130:131], v[126:127]
	v_fma_f64 v[130:131], -v[124:125], v[126:127], 1.0
	v_fma_f64 v[126:127], v[126:127], v[130:131], v[126:127]
	v_div_scale_f64 v[130:131], vcc_lo, 1.0, v[122:123], 1.0
	v_mul_f64 v[132:133], v[130:131], v[126:127]
	v_fma_f64 v[124:125], -v[124:125], v[132:133], v[130:131]
	v_div_fmas_f64 v[124:125], v[124:125], v[126:127], v[132:133]
	v_div_fixup_f64 v[126:127], v[124:125], v[122:123], 1.0
	v_mul_f64 v[128:129], v[128:129], -v[126:127]
.LBB49_52:
	s_or_b32 exec_lo, exec_lo, s1
	ds_write2_b64 v1, v[126:127], v[128:129] offset1:1
.LBB49_53:
	s_or_b32 exec_lo, exec_lo, s2
	s_waitcnt lgkmcnt(0)
	s_barrier
	buffer_gl0_inv
	ds_read2_b64 v[122:125], v1 offset1:1
	s_mov_b32 s1, exec_lo
	v_cmpx_lt_u32_e32 5, v0
	s_cbranch_execz .LBB49_55
; %bb.54:
	s_waitcnt lgkmcnt(0)
	v_mul_f64 v[126:127], v[124:125], v[80:81]
	v_mul_f64 v[80:81], v[122:123], v[80:81]
	ds_read2_b64 v[128:131], v254 offset0:12 offset1:13
	v_fma_f64 v[126:127], v[122:123], v[78:79], -v[126:127]
	v_fma_f64 v[80:81], v[124:125], v[78:79], v[80:81]
	s_waitcnt lgkmcnt(0)
	v_mul_f64 v[78:79], v[130:131], v[80:81]
	v_fma_f64 v[78:79], v[128:129], v[126:127], -v[78:79]
	v_mul_f64 v[128:129], v[128:129], v[80:81]
	v_add_f64 v[74:75], v[74:75], -v[78:79]
	v_fma_f64 v[128:129], v[130:131], v[126:127], v[128:129]
	v_add_f64 v[76:77], v[76:77], -v[128:129]
	ds_read2_b64 v[128:131], v254 offset0:14 offset1:15
	s_waitcnt lgkmcnt(0)
	v_mul_f64 v[78:79], v[130:131], v[80:81]
	v_fma_f64 v[78:79], v[128:129], v[126:127], -v[78:79]
	v_mul_f64 v[128:129], v[128:129], v[80:81]
	v_add_f64 v[70:71], v[70:71], -v[78:79]
	v_fma_f64 v[128:129], v[130:131], v[126:127], v[128:129]
	v_add_f64 v[72:73], v[72:73], -v[128:129]
	ds_read2_b64 v[128:131], v254 offset0:16 offset1:17
	;; [unrolled: 8-line block ×18, first 2 shown]
	s_waitcnt lgkmcnt(0)
	v_mul_f64 v[78:79], v[130:131], v[80:81]
	v_fma_f64 v[78:79], v[128:129], v[126:127], -v[78:79]
	v_mul_f64 v[128:129], v[128:129], v[80:81]
	v_add_f64 v[2:3], v[2:3], -v[78:79]
	v_fma_f64 v[128:129], v[130:131], v[126:127], v[128:129]
	v_mov_b32_e32 v78, v126
	v_mov_b32_e32 v79, v127
	v_add_f64 v[4:5], v[4:5], -v[128:129]
.LBB49_55:
	s_or_b32 exec_lo, exec_lo, s1
	s_mov_b32 s2, exec_lo
	s_waitcnt lgkmcnt(0)
	s_barrier
	buffer_gl0_inv
	v_cmpx_eq_u32_e32 6, v0
	s_cbranch_execz .LBB49_62
; %bb.56:
	ds_write2_b64 v1, v[74:75], v[76:77] offset1:1
	ds_write2_b64 v254, v[70:71], v[72:73] offset0:14 offset1:15
	ds_write2_b64 v254, v[66:67], v[68:69] offset0:16 offset1:17
	;; [unrolled: 1-line block ×18, first 2 shown]
	ds_read2_b64 v[126:129], v1 offset1:1
	s_waitcnt lgkmcnt(0)
	v_cmp_neq_f64_e32 vcc_lo, 0, v[126:127]
	v_cmp_neq_f64_e64 s1, 0, v[128:129]
	s_or_b32 s1, vcc_lo, s1
	s_and_b32 exec_lo, exec_lo, s1
	s_cbranch_execz .LBB49_62
; %bb.57:
	v_cmp_ngt_f64_e64 s1, |v[126:127]|, |v[128:129]|
                                        ; implicit-def: $vgpr130_vgpr131
	s_and_saveexec_b32 s3, s1
	s_xor_b32 s1, exec_lo, s3
                                        ; implicit-def: $vgpr132_vgpr133
	s_cbranch_execz .LBB49_59
; %bb.58:
	v_div_scale_f64 v[130:131], null, v[128:129], v[128:129], v[126:127]
	v_div_scale_f64 v[136:137], vcc_lo, v[126:127], v[128:129], v[126:127]
	v_rcp_f64_e32 v[132:133], v[130:131]
	v_fma_f64 v[134:135], -v[130:131], v[132:133], 1.0
	v_fma_f64 v[132:133], v[132:133], v[134:135], v[132:133]
	v_fma_f64 v[134:135], -v[130:131], v[132:133], 1.0
	v_fma_f64 v[132:133], v[132:133], v[134:135], v[132:133]
	v_mul_f64 v[134:135], v[136:137], v[132:133]
	v_fma_f64 v[130:131], -v[130:131], v[134:135], v[136:137]
	v_div_fmas_f64 v[130:131], v[130:131], v[132:133], v[134:135]
	v_div_fixup_f64 v[130:131], v[130:131], v[128:129], v[126:127]
	v_fma_f64 v[126:127], v[126:127], v[130:131], v[128:129]
	v_div_scale_f64 v[128:129], null, v[126:127], v[126:127], 1.0
	v_rcp_f64_e32 v[132:133], v[128:129]
	v_fma_f64 v[134:135], -v[128:129], v[132:133], 1.0
	v_fma_f64 v[132:133], v[132:133], v[134:135], v[132:133]
	v_fma_f64 v[134:135], -v[128:129], v[132:133], 1.0
	v_fma_f64 v[132:133], v[132:133], v[134:135], v[132:133]
	v_div_scale_f64 v[134:135], vcc_lo, 1.0, v[126:127], 1.0
	v_mul_f64 v[136:137], v[134:135], v[132:133]
	v_fma_f64 v[128:129], -v[128:129], v[136:137], v[134:135]
	v_div_fmas_f64 v[128:129], v[128:129], v[132:133], v[136:137]
	v_div_fixup_f64 v[132:133], v[128:129], v[126:127], 1.0
                                        ; implicit-def: $vgpr126_vgpr127
	v_mul_f64 v[130:131], v[130:131], v[132:133]
	v_xor_b32_e32 v133, 0x80000000, v133
.LBB49_59:
	s_andn2_saveexec_b32 s1, s1
	s_cbranch_execz .LBB49_61
; %bb.60:
	v_div_scale_f64 v[130:131], null, v[126:127], v[126:127], v[128:129]
	v_div_scale_f64 v[136:137], vcc_lo, v[128:129], v[126:127], v[128:129]
	v_rcp_f64_e32 v[132:133], v[130:131]
	v_fma_f64 v[134:135], -v[130:131], v[132:133], 1.0
	v_fma_f64 v[132:133], v[132:133], v[134:135], v[132:133]
	v_fma_f64 v[134:135], -v[130:131], v[132:133], 1.0
	v_fma_f64 v[132:133], v[132:133], v[134:135], v[132:133]
	v_mul_f64 v[134:135], v[136:137], v[132:133]
	v_fma_f64 v[130:131], -v[130:131], v[134:135], v[136:137]
	v_div_fmas_f64 v[130:131], v[130:131], v[132:133], v[134:135]
	v_div_fixup_f64 v[132:133], v[130:131], v[126:127], v[128:129]
	v_fma_f64 v[126:127], v[128:129], v[132:133], v[126:127]
	v_div_scale_f64 v[128:129], null, v[126:127], v[126:127], 1.0
	v_rcp_f64_e32 v[130:131], v[128:129]
	v_fma_f64 v[134:135], -v[128:129], v[130:131], 1.0
	v_fma_f64 v[130:131], v[130:131], v[134:135], v[130:131]
	v_fma_f64 v[134:135], -v[128:129], v[130:131], 1.0
	v_fma_f64 v[130:131], v[130:131], v[134:135], v[130:131]
	v_div_scale_f64 v[134:135], vcc_lo, 1.0, v[126:127], 1.0
	v_mul_f64 v[136:137], v[134:135], v[130:131]
	v_fma_f64 v[128:129], -v[128:129], v[136:137], v[134:135]
	v_div_fmas_f64 v[128:129], v[128:129], v[130:131], v[136:137]
	v_div_fixup_f64 v[130:131], v[128:129], v[126:127], 1.0
	v_mul_f64 v[132:133], v[132:133], -v[130:131]
.LBB49_61:
	s_or_b32 exec_lo, exec_lo, s1
	ds_write2_b64 v1, v[130:131], v[132:133] offset1:1
.LBB49_62:
	s_or_b32 exec_lo, exec_lo, s2
	s_waitcnt lgkmcnt(0)
	s_barrier
	buffer_gl0_inv
	ds_read2_b64 v[126:129], v1 offset1:1
	s_mov_b32 s1, exec_lo
	v_cmpx_lt_u32_e32 6, v0
	s_cbranch_execz .LBB49_64
; %bb.63:
	s_waitcnt lgkmcnt(0)
	v_mul_f64 v[130:131], v[128:129], v[76:77]
	v_mul_f64 v[76:77], v[126:127], v[76:77]
	ds_read2_b64 v[132:135], v254 offset0:14 offset1:15
	v_fma_f64 v[130:131], v[126:127], v[74:75], -v[130:131]
	v_fma_f64 v[76:77], v[128:129], v[74:75], v[76:77]
	s_waitcnt lgkmcnt(0)
	v_mul_f64 v[74:75], v[134:135], v[76:77]
	v_fma_f64 v[74:75], v[132:133], v[130:131], -v[74:75]
	v_mul_f64 v[132:133], v[132:133], v[76:77]
	v_add_f64 v[70:71], v[70:71], -v[74:75]
	v_fma_f64 v[132:133], v[134:135], v[130:131], v[132:133]
	v_add_f64 v[72:73], v[72:73], -v[132:133]
	ds_read2_b64 v[132:135], v254 offset0:16 offset1:17
	s_waitcnt lgkmcnt(0)
	v_mul_f64 v[74:75], v[134:135], v[76:77]
	v_fma_f64 v[74:75], v[132:133], v[130:131], -v[74:75]
	v_mul_f64 v[132:133], v[132:133], v[76:77]
	v_add_f64 v[66:67], v[66:67], -v[74:75]
	v_fma_f64 v[132:133], v[134:135], v[130:131], v[132:133]
	v_add_f64 v[68:69], v[68:69], -v[132:133]
	ds_read2_b64 v[132:135], v254 offset0:18 offset1:19
	s_waitcnt lgkmcnt(0)
	v_mul_f64 v[74:75], v[134:135], v[76:77]
	v_fma_f64 v[74:75], v[132:133], v[130:131], -v[74:75]
	v_mul_f64 v[132:133], v[132:133], v[76:77]
	v_add_f64 v[62:63], v[62:63], -v[74:75]
	v_fma_f64 v[132:133], v[134:135], v[130:131], v[132:133]
	v_add_f64 v[64:65], v[64:65], -v[132:133]
	ds_read2_b64 v[132:135], v254 offset0:20 offset1:21
	s_waitcnt lgkmcnt(0)
	v_mul_f64 v[74:75], v[134:135], v[76:77]
	v_fma_f64 v[74:75], v[132:133], v[130:131], -v[74:75]
	v_mul_f64 v[132:133], v[132:133], v[76:77]
	v_add_f64 v[58:59], v[58:59], -v[74:75]
	v_fma_f64 v[132:133], v[134:135], v[130:131], v[132:133]
	v_add_f64 v[60:61], v[60:61], -v[132:133]
	ds_read2_b64 v[132:135], v254 offset0:22 offset1:23
	s_waitcnt lgkmcnt(0)
	v_mul_f64 v[74:75], v[134:135], v[76:77]
	v_fma_f64 v[74:75], v[132:133], v[130:131], -v[74:75]
	v_mul_f64 v[132:133], v[132:133], v[76:77]
	v_add_f64 v[54:55], v[54:55], -v[74:75]
	v_fma_f64 v[132:133], v[134:135], v[130:131], v[132:133]
	v_add_f64 v[56:57], v[56:57], -v[132:133]
	ds_read2_b64 v[132:135], v254 offset0:24 offset1:25
	s_waitcnt lgkmcnt(0)
	v_mul_f64 v[74:75], v[134:135], v[76:77]
	v_fma_f64 v[74:75], v[132:133], v[130:131], -v[74:75]
	v_mul_f64 v[132:133], v[132:133], v[76:77]
	v_add_f64 v[50:51], v[50:51], -v[74:75]
	v_fma_f64 v[132:133], v[134:135], v[130:131], v[132:133]
	v_add_f64 v[52:53], v[52:53], -v[132:133]
	ds_read2_b64 v[132:135], v254 offset0:26 offset1:27
	s_waitcnt lgkmcnt(0)
	v_mul_f64 v[74:75], v[134:135], v[76:77]
	v_fma_f64 v[74:75], v[132:133], v[130:131], -v[74:75]
	v_mul_f64 v[132:133], v[132:133], v[76:77]
	v_add_f64 v[46:47], v[46:47], -v[74:75]
	v_fma_f64 v[132:133], v[134:135], v[130:131], v[132:133]
	v_add_f64 v[48:49], v[48:49], -v[132:133]
	ds_read2_b64 v[132:135], v254 offset0:28 offset1:29
	s_waitcnt lgkmcnt(0)
	v_mul_f64 v[74:75], v[134:135], v[76:77]
	v_fma_f64 v[74:75], v[132:133], v[130:131], -v[74:75]
	v_mul_f64 v[132:133], v[132:133], v[76:77]
	v_add_f64 v[42:43], v[42:43], -v[74:75]
	v_fma_f64 v[132:133], v[134:135], v[130:131], v[132:133]
	v_add_f64 v[44:45], v[44:45], -v[132:133]
	ds_read2_b64 v[132:135], v254 offset0:30 offset1:31
	s_waitcnt lgkmcnt(0)
	v_mul_f64 v[74:75], v[134:135], v[76:77]
	v_fma_f64 v[74:75], v[132:133], v[130:131], -v[74:75]
	v_mul_f64 v[132:133], v[132:133], v[76:77]
	v_add_f64 v[38:39], v[38:39], -v[74:75]
	v_fma_f64 v[132:133], v[134:135], v[130:131], v[132:133]
	v_add_f64 v[40:41], v[40:41], -v[132:133]
	ds_read2_b64 v[132:135], v254 offset0:32 offset1:33
	s_waitcnt lgkmcnt(0)
	v_mul_f64 v[74:75], v[134:135], v[76:77]
	v_fma_f64 v[74:75], v[132:133], v[130:131], -v[74:75]
	v_mul_f64 v[132:133], v[132:133], v[76:77]
	v_add_f64 v[34:35], v[34:35], -v[74:75]
	v_fma_f64 v[132:133], v[134:135], v[130:131], v[132:133]
	v_add_f64 v[36:37], v[36:37], -v[132:133]
	ds_read2_b64 v[132:135], v254 offset0:34 offset1:35
	s_waitcnt lgkmcnt(0)
	v_mul_f64 v[74:75], v[134:135], v[76:77]
	v_fma_f64 v[74:75], v[132:133], v[130:131], -v[74:75]
	v_mul_f64 v[132:133], v[132:133], v[76:77]
	v_add_f64 v[30:31], v[30:31], -v[74:75]
	v_fma_f64 v[132:133], v[134:135], v[130:131], v[132:133]
	v_add_f64 v[32:33], v[32:33], -v[132:133]
	ds_read2_b64 v[132:135], v254 offset0:36 offset1:37
	s_waitcnt lgkmcnt(0)
	v_mul_f64 v[74:75], v[134:135], v[76:77]
	v_fma_f64 v[74:75], v[132:133], v[130:131], -v[74:75]
	v_mul_f64 v[132:133], v[132:133], v[76:77]
	v_add_f64 v[26:27], v[26:27], -v[74:75]
	v_fma_f64 v[132:133], v[134:135], v[130:131], v[132:133]
	v_add_f64 v[28:29], v[28:29], -v[132:133]
	ds_read2_b64 v[132:135], v254 offset0:38 offset1:39
	s_waitcnt lgkmcnt(0)
	v_mul_f64 v[74:75], v[134:135], v[76:77]
	v_fma_f64 v[74:75], v[132:133], v[130:131], -v[74:75]
	v_mul_f64 v[132:133], v[132:133], v[76:77]
	v_add_f64 v[22:23], v[22:23], -v[74:75]
	v_fma_f64 v[132:133], v[134:135], v[130:131], v[132:133]
	v_add_f64 v[24:25], v[24:25], -v[132:133]
	ds_read2_b64 v[132:135], v254 offset0:40 offset1:41
	s_waitcnt lgkmcnt(0)
	v_mul_f64 v[74:75], v[134:135], v[76:77]
	v_fma_f64 v[74:75], v[132:133], v[130:131], -v[74:75]
	v_mul_f64 v[132:133], v[132:133], v[76:77]
	v_add_f64 v[18:19], v[18:19], -v[74:75]
	v_fma_f64 v[132:133], v[134:135], v[130:131], v[132:133]
	v_add_f64 v[20:21], v[20:21], -v[132:133]
	ds_read2_b64 v[132:135], v254 offset0:42 offset1:43
	s_waitcnt lgkmcnt(0)
	v_mul_f64 v[74:75], v[134:135], v[76:77]
	v_fma_f64 v[74:75], v[132:133], v[130:131], -v[74:75]
	v_mul_f64 v[132:133], v[132:133], v[76:77]
	v_add_f64 v[14:15], v[14:15], -v[74:75]
	v_fma_f64 v[132:133], v[134:135], v[130:131], v[132:133]
	v_add_f64 v[16:17], v[16:17], -v[132:133]
	ds_read2_b64 v[132:135], v254 offset0:44 offset1:45
	s_waitcnt lgkmcnt(0)
	v_mul_f64 v[74:75], v[134:135], v[76:77]
	v_fma_f64 v[74:75], v[132:133], v[130:131], -v[74:75]
	v_mul_f64 v[132:133], v[132:133], v[76:77]
	v_add_f64 v[10:11], v[10:11], -v[74:75]
	v_fma_f64 v[132:133], v[134:135], v[130:131], v[132:133]
	v_add_f64 v[12:13], v[12:13], -v[132:133]
	ds_read2_b64 v[132:135], v254 offset0:46 offset1:47
	s_waitcnt lgkmcnt(0)
	v_mul_f64 v[74:75], v[134:135], v[76:77]
	v_fma_f64 v[74:75], v[132:133], v[130:131], -v[74:75]
	v_mul_f64 v[132:133], v[132:133], v[76:77]
	v_add_f64 v[6:7], v[6:7], -v[74:75]
	v_fma_f64 v[132:133], v[134:135], v[130:131], v[132:133]
	v_add_f64 v[8:9], v[8:9], -v[132:133]
	ds_read2_b64 v[132:135], v254 offset0:48 offset1:49
	s_waitcnt lgkmcnt(0)
	v_mul_f64 v[74:75], v[134:135], v[76:77]
	v_fma_f64 v[74:75], v[132:133], v[130:131], -v[74:75]
	v_mul_f64 v[132:133], v[132:133], v[76:77]
	v_add_f64 v[2:3], v[2:3], -v[74:75]
	v_fma_f64 v[132:133], v[134:135], v[130:131], v[132:133]
	v_mov_b32_e32 v74, v130
	v_mov_b32_e32 v75, v131
	v_add_f64 v[4:5], v[4:5], -v[132:133]
.LBB49_64:
	s_or_b32 exec_lo, exec_lo, s1
	s_mov_b32 s2, exec_lo
	s_waitcnt lgkmcnt(0)
	s_barrier
	buffer_gl0_inv
	v_cmpx_eq_u32_e32 7, v0
	s_cbranch_execz .LBB49_71
; %bb.65:
	ds_write2_b64 v1, v[70:71], v[72:73] offset1:1
	ds_write2_b64 v254, v[66:67], v[68:69] offset0:16 offset1:17
	ds_write2_b64 v254, v[62:63], v[64:65] offset0:18 offset1:19
	;; [unrolled: 1-line block ×17, first 2 shown]
	ds_read2_b64 v[130:133], v1 offset1:1
	s_waitcnt lgkmcnt(0)
	v_cmp_neq_f64_e32 vcc_lo, 0, v[130:131]
	v_cmp_neq_f64_e64 s1, 0, v[132:133]
	s_or_b32 s1, vcc_lo, s1
	s_and_b32 exec_lo, exec_lo, s1
	s_cbranch_execz .LBB49_71
; %bb.66:
	v_cmp_ngt_f64_e64 s1, |v[130:131]|, |v[132:133]|
                                        ; implicit-def: $vgpr134_vgpr135
	s_and_saveexec_b32 s3, s1
	s_xor_b32 s1, exec_lo, s3
                                        ; implicit-def: $vgpr136_vgpr137
	s_cbranch_execz .LBB49_68
; %bb.67:
	v_div_scale_f64 v[134:135], null, v[132:133], v[132:133], v[130:131]
	v_div_scale_f64 v[140:141], vcc_lo, v[130:131], v[132:133], v[130:131]
	v_rcp_f64_e32 v[136:137], v[134:135]
	v_fma_f64 v[138:139], -v[134:135], v[136:137], 1.0
	v_fma_f64 v[136:137], v[136:137], v[138:139], v[136:137]
	v_fma_f64 v[138:139], -v[134:135], v[136:137], 1.0
	v_fma_f64 v[136:137], v[136:137], v[138:139], v[136:137]
	v_mul_f64 v[138:139], v[140:141], v[136:137]
	v_fma_f64 v[134:135], -v[134:135], v[138:139], v[140:141]
	v_div_fmas_f64 v[134:135], v[134:135], v[136:137], v[138:139]
	v_div_fixup_f64 v[134:135], v[134:135], v[132:133], v[130:131]
	v_fma_f64 v[130:131], v[130:131], v[134:135], v[132:133]
	v_div_scale_f64 v[132:133], null, v[130:131], v[130:131], 1.0
	v_rcp_f64_e32 v[136:137], v[132:133]
	v_fma_f64 v[138:139], -v[132:133], v[136:137], 1.0
	v_fma_f64 v[136:137], v[136:137], v[138:139], v[136:137]
	v_fma_f64 v[138:139], -v[132:133], v[136:137], 1.0
	v_fma_f64 v[136:137], v[136:137], v[138:139], v[136:137]
	v_div_scale_f64 v[138:139], vcc_lo, 1.0, v[130:131], 1.0
	v_mul_f64 v[140:141], v[138:139], v[136:137]
	v_fma_f64 v[132:133], -v[132:133], v[140:141], v[138:139]
	v_div_fmas_f64 v[132:133], v[132:133], v[136:137], v[140:141]
	v_div_fixup_f64 v[136:137], v[132:133], v[130:131], 1.0
                                        ; implicit-def: $vgpr130_vgpr131
	v_mul_f64 v[134:135], v[134:135], v[136:137]
	v_xor_b32_e32 v137, 0x80000000, v137
.LBB49_68:
	s_andn2_saveexec_b32 s1, s1
	s_cbranch_execz .LBB49_70
; %bb.69:
	v_div_scale_f64 v[134:135], null, v[130:131], v[130:131], v[132:133]
	v_div_scale_f64 v[140:141], vcc_lo, v[132:133], v[130:131], v[132:133]
	v_rcp_f64_e32 v[136:137], v[134:135]
	v_fma_f64 v[138:139], -v[134:135], v[136:137], 1.0
	v_fma_f64 v[136:137], v[136:137], v[138:139], v[136:137]
	v_fma_f64 v[138:139], -v[134:135], v[136:137], 1.0
	v_fma_f64 v[136:137], v[136:137], v[138:139], v[136:137]
	v_mul_f64 v[138:139], v[140:141], v[136:137]
	v_fma_f64 v[134:135], -v[134:135], v[138:139], v[140:141]
	v_div_fmas_f64 v[134:135], v[134:135], v[136:137], v[138:139]
	v_div_fixup_f64 v[136:137], v[134:135], v[130:131], v[132:133]
	v_fma_f64 v[130:131], v[132:133], v[136:137], v[130:131]
	v_div_scale_f64 v[132:133], null, v[130:131], v[130:131], 1.0
	v_rcp_f64_e32 v[134:135], v[132:133]
	v_fma_f64 v[138:139], -v[132:133], v[134:135], 1.0
	v_fma_f64 v[134:135], v[134:135], v[138:139], v[134:135]
	v_fma_f64 v[138:139], -v[132:133], v[134:135], 1.0
	v_fma_f64 v[134:135], v[134:135], v[138:139], v[134:135]
	v_div_scale_f64 v[138:139], vcc_lo, 1.0, v[130:131], 1.0
	v_mul_f64 v[140:141], v[138:139], v[134:135]
	v_fma_f64 v[132:133], -v[132:133], v[140:141], v[138:139]
	v_div_fmas_f64 v[132:133], v[132:133], v[134:135], v[140:141]
	v_div_fixup_f64 v[134:135], v[132:133], v[130:131], 1.0
	v_mul_f64 v[136:137], v[136:137], -v[134:135]
.LBB49_70:
	s_or_b32 exec_lo, exec_lo, s1
	ds_write2_b64 v1, v[134:135], v[136:137] offset1:1
.LBB49_71:
	s_or_b32 exec_lo, exec_lo, s2
	s_waitcnt lgkmcnt(0)
	s_barrier
	buffer_gl0_inv
	ds_read2_b64 v[130:133], v1 offset1:1
	s_mov_b32 s1, exec_lo
	v_cmpx_lt_u32_e32 7, v0
	s_cbranch_execz .LBB49_73
; %bb.72:
	s_waitcnt lgkmcnt(0)
	v_mul_f64 v[134:135], v[132:133], v[72:73]
	v_mul_f64 v[72:73], v[130:131], v[72:73]
	ds_read2_b64 v[136:139], v254 offset0:16 offset1:17
	v_fma_f64 v[134:135], v[130:131], v[70:71], -v[134:135]
	v_fma_f64 v[72:73], v[132:133], v[70:71], v[72:73]
	s_waitcnt lgkmcnt(0)
	v_mul_f64 v[70:71], v[138:139], v[72:73]
	v_fma_f64 v[70:71], v[136:137], v[134:135], -v[70:71]
	v_mul_f64 v[136:137], v[136:137], v[72:73]
	v_add_f64 v[66:67], v[66:67], -v[70:71]
	v_fma_f64 v[136:137], v[138:139], v[134:135], v[136:137]
	v_add_f64 v[68:69], v[68:69], -v[136:137]
	ds_read2_b64 v[136:139], v254 offset0:18 offset1:19
	s_waitcnt lgkmcnt(0)
	v_mul_f64 v[70:71], v[138:139], v[72:73]
	v_fma_f64 v[70:71], v[136:137], v[134:135], -v[70:71]
	v_mul_f64 v[136:137], v[136:137], v[72:73]
	v_add_f64 v[62:63], v[62:63], -v[70:71]
	v_fma_f64 v[136:137], v[138:139], v[134:135], v[136:137]
	v_add_f64 v[64:65], v[64:65], -v[136:137]
	ds_read2_b64 v[136:139], v254 offset0:20 offset1:21
	;; [unrolled: 8-line block ×16, first 2 shown]
	s_waitcnt lgkmcnt(0)
	v_mul_f64 v[70:71], v[138:139], v[72:73]
	v_fma_f64 v[70:71], v[136:137], v[134:135], -v[70:71]
	v_mul_f64 v[136:137], v[136:137], v[72:73]
	v_add_f64 v[2:3], v[2:3], -v[70:71]
	v_fma_f64 v[136:137], v[138:139], v[134:135], v[136:137]
	v_mov_b32_e32 v70, v134
	v_mov_b32_e32 v71, v135
	v_add_f64 v[4:5], v[4:5], -v[136:137]
.LBB49_73:
	s_or_b32 exec_lo, exec_lo, s1
	s_mov_b32 s2, exec_lo
	s_waitcnt lgkmcnt(0)
	s_barrier
	buffer_gl0_inv
	v_cmpx_eq_u32_e32 8, v0
	s_cbranch_execz .LBB49_80
; %bb.74:
	ds_write2_b64 v1, v[66:67], v[68:69] offset1:1
	ds_write2_b64 v254, v[62:63], v[64:65] offset0:18 offset1:19
	ds_write2_b64 v254, v[58:59], v[60:61] offset0:20 offset1:21
	ds_write2_b64 v254, v[54:55], v[56:57] offset0:22 offset1:23
	ds_write2_b64 v254, v[50:51], v[52:53] offset0:24 offset1:25
	ds_write2_b64 v254, v[46:47], v[48:49] offset0:26 offset1:27
	ds_write2_b64 v254, v[42:43], v[44:45] offset0:28 offset1:29
	ds_write2_b64 v254, v[38:39], v[40:41] offset0:30 offset1:31
	ds_write2_b64 v254, v[34:35], v[36:37] offset0:32 offset1:33
	ds_write2_b64 v254, v[30:31], v[32:33] offset0:34 offset1:35
	ds_write2_b64 v254, v[26:27], v[28:29] offset0:36 offset1:37
	ds_write2_b64 v254, v[22:23], v[24:25] offset0:38 offset1:39
	ds_write2_b64 v254, v[18:19], v[20:21] offset0:40 offset1:41
	ds_write2_b64 v254, v[14:15], v[16:17] offset0:42 offset1:43
	ds_write2_b64 v254, v[10:11], v[12:13] offset0:44 offset1:45
	ds_write2_b64 v254, v[6:7], v[8:9] offset0:46 offset1:47
	ds_write2_b64 v254, v[2:3], v[4:5] offset0:48 offset1:49
	ds_read2_b64 v[134:137], v1 offset1:1
	s_waitcnt lgkmcnt(0)
	v_cmp_neq_f64_e32 vcc_lo, 0, v[134:135]
	v_cmp_neq_f64_e64 s1, 0, v[136:137]
	s_or_b32 s1, vcc_lo, s1
	s_and_b32 exec_lo, exec_lo, s1
	s_cbranch_execz .LBB49_80
; %bb.75:
	v_cmp_ngt_f64_e64 s1, |v[134:135]|, |v[136:137]|
                                        ; implicit-def: $vgpr138_vgpr139
	s_and_saveexec_b32 s3, s1
	s_xor_b32 s1, exec_lo, s3
                                        ; implicit-def: $vgpr140_vgpr141
	s_cbranch_execz .LBB49_77
; %bb.76:
	v_div_scale_f64 v[138:139], null, v[136:137], v[136:137], v[134:135]
	v_div_scale_f64 v[144:145], vcc_lo, v[134:135], v[136:137], v[134:135]
	v_rcp_f64_e32 v[140:141], v[138:139]
	v_fma_f64 v[142:143], -v[138:139], v[140:141], 1.0
	v_fma_f64 v[140:141], v[140:141], v[142:143], v[140:141]
	v_fma_f64 v[142:143], -v[138:139], v[140:141], 1.0
	v_fma_f64 v[140:141], v[140:141], v[142:143], v[140:141]
	v_mul_f64 v[142:143], v[144:145], v[140:141]
	v_fma_f64 v[138:139], -v[138:139], v[142:143], v[144:145]
	v_div_fmas_f64 v[138:139], v[138:139], v[140:141], v[142:143]
	v_div_fixup_f64 v[138:139], v[138:139], v[136:137], v[134:135]
	v_fma_f64 v[134:135], v[134:135], v[138:139], v[136:137]
	v_div_scale_f64 v[136:137], null, v[134:135], v[134:135], 1.0
	v_rcp_f64_e32 v[140:141], v[136:137]
	v_fma_f64 v[142:143], -v[136:137], v[140:141], 1.0
	v_fma_f64 v[140:141], v[140:141], v[142:143], v[140:141]
	v_fma_f64 v[142:143], -v[136:137], v[140:141], 1.0
	v_fma_f64 v[140:141], v[140:141], v[142:143], v[140:141]
	v_div_scale_f64 v[142:143], vcc_lo, 1.0, v[134:135], 1.0
	v_mul_f64 v[144:145], v[142:143], v[140:141]
	v_fma_f64 v[136:137], -v[136:137], v[144:145], v[142:143]
	v_div_fmas_f64 v[136:137], v[136:137], v[140:141], v[144:145]
	v_div_fixup_f64 v[140:141], v[136:137], v[134:135], 1.0
                                        ; implicit-def: $vgpr134_vgpr135
	v_mul_f64 v[138:139], v[138:139], v[140:141]
	v_xor_b32_e32 v141, 0x80000000, v141
.LBB49_77:
	s_andn2_saveexec_b32 s1, s1
	s_cbranch_execz .LBB49_79
; %bb.78:
	v_div_scale_f64 v[138:139], null, v[134:135], v[134:135], v[136:137]
	v_div_scale_f64 v[144:145], vcc_lo, v[136:137], v[134:135], v[136:137]
	v_rcp_f64_e32 v[140:141], v[138:139]
	v_fma_f64 v[142:143], -v[138:139], v[140:141], 1.0
	v_fma_f64 v[140:141], v[140:141], v[142:143], v[140:141]
	v_fma_f64 v[142:143], -v[138:139], v[140:141], 1.0
	v_fma_f64 v[140:141], v[140:141], v[142:143], v[140:141]
	v_mul_f64 v[142:143], v[144:145], v[140:141]
	v_fma_f64 v[138:139], -v[138:139], v[142:143], v[144:145]
	v_div_fmas_f64 v[138:139], v[138:139], v[140:141], v[142:143]
	v_div_fixup_f64 v[140:141], v[138:139], v[134:135], v[136:137]
	v_fma_f64 v[134:135], v[136:137], v[140:141], v[134:135]
	v_div_scale_f64 v[136:137], null, v[134:135], v[134:135], 1.0
	v_rcp_f64_e32 v[138:139], v[136:137]
	v_fma_f64 v[142:143], -v[136:137], v[138:139], 1.0
	v_fma_f64 v[138:139], v[138:139], v[142:143], v[138:139]
	v_fma_f64 v[142:143], -v[136:137], v[138:139], 1.0
	v_fma_f64 v[138:139], v[138:139], v[142:143], v[138:139]
	v_div_scale_f64 v[142:143], vcc_lo, 1.0, v[134:135], 1.0
	v_mul_f64 v[144:145], v[142:143], v[138:139]
	v_fma_f64 v[136:137], -v[136:137], v[144:145], v[142:143]
	v_div_fmas_f64 v[136:137], v[136:137], v[138:139], v[144:145]
	v_div_fixup_f64 v[138:139], v[136:137], v[134:135], 1.0
	v_mul_f64 v[140:141], v[140:141], -v[138:139]
.LBB49_79:
	s_or_b32 exec_lo, exec_lo, s1
	ds_write2_b64 v1, v[138:139], v[140:141] offset1:1
.LBB49_80:
	s_or_b32 exec_lo, exec_lo, s2
	s_waitcnt lgkmcnt(0)
	s_barrier
	buffer_gl0_inv
	ds_read2_b64 v[134:137], v1 offset1:1
	s_mov_b32 s1, exec_lo
	v_cmpx_lt_u32_e32 8, v0
	s_cbranch_execz .LBB49_82
; %bb.81:
	s_waitcnt lgkmcnt(0)
	v_mul_f64 v[138:139], v[134:135], v[68:69]
	v_mul_f64 v[68:69], v[136:137], v[68:69]
	ds_read2_b64 v[140:143], v254 offset0:18 offset1:19
	v_fma_f64 v[138:139], v[136:137], v[66:67], v[138:139]
	v_fma_f64 v[66:67], v[134:135], v[66:67], -v[68:69]
	s_waitcnt lgkmcnt(0)
	v_mul_f64 v[68:69], v[142:143], v[138:139]
	v_fma_f64 v[68:69], v[140:141], v[66:67], -v[68:69]
	v_mul_f64 v[140:141], v[140:141], v[138:139]
	v_add_f64 v[62:63], v[62:63], -v[68:69]
	v_fma_f64 v[140:141], v[142:143], v[66:67], v[140:141]
	v_add_f64 v[64:65], v[64:65], -v[140:141]
	ds_read2_b64 v[140:143], v254 offset0:20 offset1:21
	s_waitcnt lgkmcnt(0)
	v_mul_f64 v[68:69], v[142:143], v[138:139]
	v_fma_f64 v[68:69], v[140:141], v[66:67], -v[68:69]
	v_mul_f64 v[140:141], v[140:141], v[138:139]
	v_add_f64 v[58:59], v[58:59], -v[68:69]
	v_fma_f64 v[140:141], v[142:143], v[66:67], v[140:141]
	v_add_f64 v[60:61], v[60:61], -v[140:141]
	ds_read2_b64 v[140:143], v254 offset0:22 offset1:23
	;; [unrolled: 8-line block ×15, first 2 shown]
	s_waitcnt lgkmcnt(0)
	v_mul_f64 v[68:69], v[142:143], v[138:139]
	v_fma_f64 v[68:69], v[140:141], v[66:67], -v[68:69]
	v_mul_f64 v[140:141], v[140:141], v[138:139]
	v_add_f64 v[2:3], v[2:3], -v[68:69]
	v_fma_f64 v[140:141], v[142:143], v[66:67], v[140:141]
	v_mov_b32_e32 v68, v138
	v_mov_b32_e32 v69, v139
	v_add_f64 v[4:5], v[4:5], -v[140:141]
.LBB49_82:
	s_or_b32 exec_lo, exec_lo, s1
	s_mov_b32 s2, exec_lo
	s_waitcnt lgkmcnt(0)
	s_barrier
	buffer_gl0_inv
	v_cmpx_eq_u32_e32 9, v0
	s_cbranch_execz .LBB49_89
; %bb.83:
	ds_write2_b64 v1, v[62:63], v[64:65] offset1:1
	ds_write2_b64 v254, v[58:59], v[60:61] offset0:20 offset1:21
	ds_write2_b64 v254, v[54:55], v[56:57] offset0:22 offset1:23
	;; [unrolled: 1-line block ×15, first 2 shown]
	ds_read2_b64 v[138:141], v1 offset1:1
	s_waitcnt lgkmcnt(0)
	v_cmp_neq_f64_e32 vcc_lo, 0, v[138:139]
	v_cmp_neq_f64_e64 s1, 0, v[140:141]
	s_or_b32 s1, vcc_lo, s1
	s_and_b32 exec_lo, exec_lo, s1
	s_cbranch_execz .LBB49_89
; %bb.84:
	v_cmp_ngt_f64_e64 s1, |v[138:139]|, |v[140:141]|
                                        ; implicit-def: $vgpr142_vgpr143
	s_and_saveexec_b32 s3, s1
	s_xor_b32 s1, exec_lo, s3
                                        ; implicit-def: $vgpr144_vgpr145
	s_cbranch_execz .LBB49_86
; %bb.85:
	v_div_scale_f64 v[142:143], null, v[140:141], v[140:141], v[138:139]
	v_div_scale_f64 v[148:149], vcc_lo, v[138:139], v[140:141], v[138:139]
	v_rcp_f64_e32 v[144:145], v[142:143]
	v_fma_f64 v[146:147], -v[142:143], v[144:145], 1.0
	v_fma_f64 v[144:145], v[144:145], v[146:147], v[144:145]
	v_fma_f64 v[146:147], -v[142:143], v[144:145], 1.0
	v_fma_f64 v[144:145], v[144:145], v[146:147], v[144:145]
	v_mul_f64 v[146:147], v[148:149], v[144:145]
	v_fma_f64 v[142:143], -v[142:143], v[146:147], v[148:149]
	v_div_fmas_f64 v[142:143], v[142:143], v[144:145], v[146:147]
	v_div_fixup_f64 v[142:143], v[142:143], v[140:141], v[138:139]
	v_fma_f64 v[138:139], v[138:139], v[142:143], v[140:141]
	v_div_scale_f64 v[140:141], null, v[138:139], v[138:139], 1.0
	v_rcp_f64_e32 v[144:145], v[140:141]
	v_fma_f64 v[146:147], -v[140:141], v[144:145], 1.0
	v_fma_f64 v[144:145], v[144:145], v[146:147], v[144:145]
	v_fma_f64 v[146:147], -v[140:141], v[144:145], 1.0
	v_fma_f64 v[144:145], v[144:145], v[146:147], v[144:145]
	v_div_scale_f64 v[146:147], vcc_lo, 1.0, v[138:139], 1.0
	v_mul_f64 v[148:149], v[146:147], v[144:145]
	v_fma_f64 v[140:141], -v[140:141], v[148:149], v[146:147]
	v_div_fmas_f64 v[140:141], v[140:141], v[144:145], v[148:149]
	v_div_fixup_f64 v[144:145], v[140:141], v[138:139], 1.0
                                        ; implicit-def: $vgpr138_vgpr139
	v_mul_f64 v[142:143], v[142:143], v[144:145]
	v_xor_b32_e32 v145, 0x80000000, v145
.LBB49_86:
	s_andn2_saveexec_b32 s1, s1
	s_cbranch_execz .LBB49_88
; %bb.87:
	v_div_scale_f64 v[142:143], null, v[138:139], v[138:139], v[140:141]
	v_div_scale_f64 v[148:149], vcc_lo, v[140:141], v[138:139], v[140:141]
	v_rcp_f64_e32 v[144:145], v[142:143]
	v_fma_f64 v[146:147], -v[142:143], v[144:145], 1.0
	v_fma_f64 v[144:145], v[144:145], v[146:147], v[144:145]
	v_fma_f64 v[146:147], -v[142:143], v[144:145], 1.0
	v_fma_f64 v[144:145], v[144:145], v[146:147], v[144:145]
	v_mul_f64 v[146:147], v[148:149], v[144:145]
	v_fma_f64 v[142:143], -v[142:143], v[146:147], v[148:149]
	v_div_fmas_f64 v[142:143], v[142:143], v[144:145], v[146:147]
	v_div_fixup_f64 v[144:145], v[142:143], v[138:139], v[140:141]
	v_fma_f64 v[138:139], v[140:141], v[144:145], v[138:139]
	v_div_scale_f64 v[140:141], null, v[138:139], v[138:139], 1.0
	v_rcp_f64_e32 v[142:143], v[140:141]
	v_fma_f64 v[146:147], -v[140:141], v[142:143], 1.0
	v_fma_f64 v[142:143], v[142:143], v[146:147], v[142:143]
	v_fma_f64 v[146:147], -v[140:141], v[142:143], 1.0
	v_fma_f64 v[142:143], v[142:143], v[146:147], v[142:143]
	v_div_scale_f64 v[146:147], vcc_lo, 1.0, v[138:139], 1.0
	v_mul_f64 v[148:149], v[146:147], v[142:143]
	v_fma_f64 v[140:141], -v[140:141], v[148:149], v[146:147]
	v_div_fmas_f64 v[140:141], v[140:141], v[142:143], v[148:149]
	v_div_fixup_f64 v[142:143], v[140:141], v[138:139], 1.0
	v_mul_f64 v[144:145], v[144:145], -v[142:143]
.LBB49_88:
	s_or_b32 exec_lo, exec_lo, s1
	ds_write2_b64 v1, v[142:143], v[144:145] offset1:1
.LBB49_89:
	s_or_b32 exec_lo, exec_lo, s2
	s_waitcnt lgkmcnt(0)
	s_barrier
	buffer_gl0_inv
	ds_read2_b64 v[138:141], v1 offset1:1
	s_mov_b32 s1, exec_lo
	v_cmpx_lt_u32_e32 9, v0
	s_cbranch_execz .LBB49_91
; %bb.90:
	s_waitcnt lgkmcnt(0)
	v_mul_f64 v[142:143], v[138:139], v[64:65]
	v_mul_f64 v[64:65], v[140:141], v[64:65]
	ds_read2_b64 v[144:147], v254 offset0:20 offset1:21
	v_fma_f64 v[142:143], v[140:141], v[62:63], v[142:143]
	v_fma_f64 v[62:63], v[138:139], v[62:63], -v[64:65]
	s_waitcnt lgkmcnt(0)
	v_mul_f64 v[64:65], v[146:147], v[142:143]
	v_fma_f64 v[64:65], v[144:145], v[62:63], -v[64:65]
	v_mul_f64 v[144:145], v[144:145], v[142:143]
	v_add_f64 v[58:59], v[58:59], -v[64:65]
	v_fma_f64 v[144:145], v[146:147], v[62:63], v[144:145]
	v_add_f64 v[60:61], v[60:61], -v[144:145]
	ds_read2_b64 v[144:147], v254 offset0:22 offset1:23
	s_waitcnt lgkmcnt(0)
	v_mul_f64 v[64:65], v[146:147], v[142:143]
	v_fma_f64 v[64:65], v[144:145], v[62:63], -v[64:65]
	v_mul_f64 v[144:145], v[144:145], v[142:143]
	v_add_f64 v[54:55], v[54:55], -v[64:65]
	v_fma_f64 v[144:145], v[146:147], v[62:63], v[144:145]
	v_add_f64 v[56:57], v[56:57], -v[144:145]
	ds_read2_b64 v[144:147], v254 offset0:24 offset1:25
	;; [unrolled: 8-line block ×14, first 2 shown]
	s_waitcnt lgkmcnt(0)
	v_mul_f64 v[64:65], v[146:147], v[142:143]
	v_fma_f64 v[64:65], v[144:145], v[62:63], -v[64:65]
	v_mul_f64 v[144:145], v[144:145], v[142:143]
	v_add_f64 v[2:3], v[2:3], -v[64:65]
	v_fma_f64 v[144:145], v[146:147], v[62:63], v[144:145]
	v_mov_b32_e32 v64, v142
	v_mov_b32_e32 v65, v143
	v_add_f64 v[4:5], v[4:5], -v[144:145]
.LBB49_91:
	s_or_b32 exec_lo, exec_lo, s1
	s_mov_b32 s2, exec_lo
	s_waitcnt lgkmcnt(0)
	s_barrier
	buffer_gl0_inv
	v_cmpx_eq_u32_e32 10, v0
	s_cbranch_execz .LBB49_98
; %bb.92:
	ds_write2_b64 v1, v[58:59], v[60:61] offset1:1
	ds_write2_b64 v254, v[54:55], v[56:57] offset0:22 offset1:23
	ds_write2_b64 v254, v[50:51], v[52:53] offset0:24 offset1:25
	;; [unrolled: 1-line block ×14, first 2 shown]
	ds_read2_b64 v[142:145], v1 offset1:1
	s_waitcnt lgkmcnt(0)
	v_cmp_neq_f64_e32 vcc_lo, 0, v[142:143]
	v_cmp_neq_f64_e64 s1, 0, v[144:145]
	s_or_b32 s1, vcc_lo, s1
	s_and_b32 exec_lo, exec_lo, s1
	s_cbranch_execz .LBB49_98
; %bb.93:
	v_cmp_ngt_f64_e64 s1, |v[142:143]|, |v[144:145]|
                                        ; implicit-def: $vgpr146_vgpr147
	s_and_saveexec_b32 s3, s1
	s_xor_b32 s1, exec_lo, s3
                                        ; implicit-def: $vgpr148_vgpr149
	s_cbranch_execz .LBB49_95
; %bb.94:
	v_div_scale_f64 v[146:147], null, v[144:145], v[144:145], v[142:143]
	v_div_scale_f64 v[152:153], vcc_lo, v[142:143], v[144:145], v[142:143]
	v_rcp_f64_e32 v[148:149], v[146:147]
	v_fma_f64 v[150:151], -v[146:147], v[148:149], 1.0
	v_fma_f64 v[148:149], v[148:149], v[150:151], v[148:149]
	v_fma_f64 v[150:151], -v[146:147], v[148:149], 1.0
	v_fma_f64 v[148:149], v[148:149], v[150:151], v[148:149]
	v_mul_f64 v[150:151], v[152:153], v[148:149]
	v_fma_f64 v[146:147], -v[146:147], v[150:151], v[152:153]
	v_div_fmas_f64 v[146:147], v[146:147], v[148:149], v[150:151]
	v_div_fixup_f64 v[146:147], v[146:147], v[144:145], v[142:143]
	v_fma_f64 v[142:143], v[142:143], v[146:147], v[144:145]
	v_div_scale_f64 v[144:145], null, v[142:143], v[142:143], 1.0
	v_rcp_f64_e32 v[148:149], v[144:145]
	v_fma_f64 v[150:151], -v[144:145], v[148:149], 1.0
	v_fma_f64 v[148:149], v[148:149], v[150:151], v[148:149]
	v_fma_f64 v[150:151], -v[144:145], v[148:149], 1.0
	v_fma_f64 v[148:149], v[148:149], v[150:151], v[148:149]
	v_div_scale_f64 v[150:151], vcc_lo, 1.0, v[142:143], 1.0
	v_mul_f64 v[152:153], v[150:151], v[148:149]
	v_fma_f64 v[144:145], -v[144:145], v[152:153], v[150:151]
	v_div_fmas_f64 v[144:145], v[144:145], v[148:149], v[152:153]
	v_div_fixup_f64 v[148:149], v[144:145], v[142:143], 1.0
                                        ; implicit-def: $vgpr142_vgpr143
	v_mul_f64 v[146:147], v[146:147], v[148:149]
	v_xor_b32_e32 v149, 0x80000000, v149
.LBB49_95:
	s_andn2_saveexec_b32 s1, s1
	s_cbranch_execz .LBB49_97
; %bb.96:
	v_div_scale_f64 v[146:147], null, v[142:143], v[142:143], v[144:145]
	v_div_scale_f64 v[152:153], vcc_lo, v[144:145], v[142:143], v[144:145]
	v_rcp_f64_e32 v[148:149], v[146:147]
	v_fma_f64 v[150:151], -v[146:147], v[148:149], 1.0
	v_fma_f64 v[148:149], v[148:149], v[150:151], v[148:149]
	v_fma_f64 v[150:151], -v[146:147], v[148:149], 1.0
	v_fma_f64 v[148:149], v[148:149], v[150:151], v[148:149]
	v_mul_f64 v[150:151], v[152:153], v[148:149]
	v_fma_f64 v[146:147], -v[146:147], v[150:151], v[152:153]
	v_div_fmas_f64 v[146:147], v[146:147], v[148:149], v[150:151]
	v_div_fixup_f64 v[148:149], v[146:147], v[142:143], v[144:145]
	v_fma_f64 v[142:143], v[144:145], v[148:149], v[142:143]
	v_div_scale_f64 v[144:145], null, v[142:143], v[142:143], 1.0
	v_rcp_f64_e32 v[146:147], v[144:145]
	v_fma_f64 v[150:151], -v[144:145], v[146:147], 1.0
	v_fma_f64 v[146:147], v[146:147], v[150:151], v[146:147]
	v_fma_f64 v[150:151], -v[144:145], v[146:147], 1.0
	v_fma_f64 v[146:147], v[146:147], v[150:151], v[146:147]
	v_div_scale_f64 v[150:151], vcc_lo, 1.0, v[142:143], 1.0
	v_mul_f64 v[152:153], v[150:151], v[146:147]
	v_fma_f64 v[144:145], -v[144:145], v[152:153], v[150:151]
	v_div_fmas_f64 v[144:145], v[144:145], v[146:147], v[152:153]
	v_div_fixup_f64 v[146:147], v[144:145], v[142:143], 1.0
	v_mul_f64 v[148:149], v[148:149], -v[146:147]
.LBB49_97:
	s_or_b32 exec_lo, exec_lo, s1
	ds_write2_b64 v1, v[146:147], v[148:149] offset1:1
.LBB49_98:
	s_or_b32 exec_lo, exec_lo, s2
	s_waitcnt lgkmcnt(0)
	s_barrier
	buffer_gl0_inv
	ds_read2_b64 v[142:145], v1 offset1:1
	s_mov_b32 s1, exec_lo
	v_cmpx_lt_u32_e32 10, v0
	s_cbranch_execz .LBB49_100
; %bb.99:
	s_waitcnt lgkmcnt(0)
	v_mul_f64 v[146:147], v[142:143], v[60:61]
	v_mul_f64 v[60:61], v[144:145], v[60:61]
	ds_read2_b64 v[148:151], v254 offset0:22 offset1:23
	v_fma_f64 v[146:147], v[144:145], v[58:59], v[146:147]
	v_fma_f64 v[58:59], v[142:143], v[58:59], -v[60:61]
	s_waitcnt lgkmcnt(0)
	v_mul_f64 v[60:61], v[150:151], v[146:147]
	v_fma_f64 v[60:61], v[148:149], v[58:59], -v[60:61]
	v_mul_f64 v[148:149], v[148:149], v[146:147]
	v_add_f64 v[54:55], v[54:55], -v[60:61]
	v_fma_f64 v[148:149], v[150:151], v[58:59], v[148:149]
	v_add_f64 v[56:57], v[56:57], -v[148:149]
	ds_read2_b64 v[148:151], v254 offset0:24 offset1:25
	s_waitcnt lgkmcnt(0)
	v_mul_f64 v[60:61], v[150:151], v[146:147]
	v_fma_f64 v[60:61], v[148:149], v[58:59], -v[60:61]
	v_mul_f64 v[148:149], v[148:149], v[146:147]
	v_add_f64 v[50:51], v[50:51], -v[60:61]
	v_fma_f64 v[148:149], v[150:151], v[58:59], v[148:149]
	v_add_f64 v[52:53], v[52:53], -v[148:149]
	ds_read2_b64 v[148:151], v254 offset0:26 offset1:27
	;; [unrolled: 8-line block ×13, first 2 shown]
	s_waitcnt lgkmcnt(0)
	v_mul_f64 v[60:61], v[150:151], v[146:147]
	v_fma_f64 v[60:61], v[148:149], v[58:59], -v[60:61]
	v_mul_f64 v[148:149], v[148:149], v[146:147]
	v_add_f64 v[2:3], v[2:3], -v[60:61]
	v_fma_f64 v[148:149], v[150:151], v[58:59], v[148:149]
	v_mov_b32_e32 v60, v146
	v_mov_b32_e32 v61, v147
	v_add_f64 v[4:5], v[4:5], -v[148:149]
.LBB49_100:
	s_or_b32 exec_lo, exec_lo, s1
	s_mov_b32 s2, exec_lo
	s_waitcnt lgkmcnt(0)
	s_barrier
	buffer_gl0_inv
	v_cmpx_eq_u32_e32 11, v0
	s_cbranch_execz .LBB49_107
; %bb.101:
	ds_write2_b64 v1, v[54:55], v[56:57] offset1:1
	ds_write2_b64 v254, v[50:51], v[52:53] offset0:24 offset1:25
	ds_write2_b64 v254, v[46:47], v[48:49] offset0:26 offset1:27
	;; [unrolled: 1-line block ×13, first 2 shown]
	ds_read2_b64 v[146:149], v1 offset1:1
	s_waitcnt lgkmcnt(0)
	v_cmp_neq_f64_e32 vcc_lo, 0, v[146:147]
	v_cmp_neq_f64_e64 s1, 0, v[148:149]
	s_or_b32 s1, vcc_lo, s1
	s_and_b32 exec_lo, exec_lo, s1
	s_cbranch_execz .LBB49_107
; %bb.102:
	v_cmp_ngt_f64_e64 s1, |v[146:147]|, |v[148:149]|
                                        ; implicit-def: $vgpr150_vgpr151
	s_and_saveexec_b32 s3, s1
	s_xor_b32 s1, exec_lo, s3
                                        ; implicit-def: $vgpr152_vgpr153
	s_cbranch_execz .LBB49_104
; %bb.103:
	v_div_scale_f64 v[150:151], null, v[148:149], v[148:149], v[146:147]
	v_div_scale_f64 v[156:157], vcc_lo, v[146:147], v[148:149], v[146:147]
	v_rcp_f64_e32 v[152:153], v[150:151]
	v_fma_f64 v[154:155], -v[150:151], v[152:153], 1.0
	v_fma_f64 v[152:153], v[152:153], v[154:155], v[152:153]
	v_fma_f64 v[154:155], -v[150:151], v[152:153], 1.0
	v_fma_f64 v[152:153], v[152:153], v[154:155], v[152:153]
	v_mul_f64 v[154:155], v[156:157], v[152:153]
	v_fma_f64 v[150:151], -v[150:151], v[154:155], v[156:157]
	v_div_fmas_f64 v[150:151], v[150:151], v[152:153], v[154:155]
	v_div_fixup_f64 v[150:151], v[150:151], v[148:149], v[146:147]
	v_fma_f64 v[146:147], v[146:147], v[150:151], v[148:149]
	v_div_scale_f64 v[148:149], null, v[146:147], v[146:147], 1.0
	v_rcp_f64_e32 v[152:153], v[148:149]
	v_fma_f64 v[154:155], -v[148:149], v[152:153], 1.0
	v_fma_f64 v[152:153], v[152:153], v[154:155], v[152:153]
	v_fma_f64 v[154:155], -v[148:149], v[152:153], 1.0
	v_fma_f64 v[152:153], v[152:153], v[154:155], v[152:153]
	v_div_scale_f64 v[154:155], vcc_lo, 1.0, v[146:147], 1.0
	v_mul_f64 v[156:157], v[154:155], v[152:153]
	v_fma_f64 v[148:149], -v[148:149], v[156:157], v[154:155]
	v_div_fmas_f64 v[148:149], v[148:149], v[152:153], v[156:157]
	v_div_fixup_f64 v[152:153], v[148:149], v[146:147], 1.0
                                        ; implicit-def: $vgpr146_vgpr147
	v_mul_f64 v[150:151], v[150:151], v[152:153]
	v_xor_b32_e32 v153, 0x80000000, v153
.LBB49_104:
	s_andn2_saveexec_b32 s1, s1
	s_cbranch_execz .LBB49_106
; %bb.105:
	v_div_scale_f64 v[150:151], null, v[146:147], v[146:147], v[148:149]
	v_div_scale_f64 v[156:157], vcc_lo, v[148:149], v[146:147], v[148:149]
	v_rcp_f64_e32 v[152:153], v[150:151]
	v_fma_f64 v[154:155], -v[150:151], v[152:153], 1.0
	v_fma_f64 v[152:153], v[152:153], v[154:155], v[152:153]
	v_fma_f64 v[154:155], -v[150:151], v[152:153], 1.0
	v_fma_f64 v[152:153], v[152:153], v[154:155], v[152:153]
	v_mul_f64 v[154:155], v[156:157], v[152:153]
	v_fma_f64 v[150:151], -v[150:151], v[154:155], v[156:157]
	v_div_fmas_f64 v[150:151], v[150:151], v[152:153], v[154:155]
	v_div_fixup_f64 v[152:153], v[150:151], v[146:147], v[148:149]
	v_fma_f64 v[146:147], v[148:149], v[152:153], v[146:147]
	v_div_scale_f64 v[148:149], null, v[146:147], v[146:147], 1.0
	v_rcp_f64_e32 v[150:151], v[148:149]
	v_fma_f64 v[154:155], -v[148:149], v[150:151], 1.0
	v_fma_f64 v[150:151], v[150:151], v[154:155], v[150:151]
	v_fma_f64 v[154:155], -v[148:149], v[150:151], 1.0
	v_fma_f64 v[150:151], v[150:151], v[154:155], v[150:151]
	v_div_scale_f64 v[154:155], vcc_lo, 1.0, v[146:147], 1.0
	v_mul_f64 v[156:157], v[154:155], v[150:151]
	v_fma_f64 v[148:149], -v[148:149], v[156:157], v[154:155]
	v_div_fmas_f64 v[148:149], v[148:149], v[150:151], v[156:157]
	v_div_fixup_f64 v[150:151], v[148:149], v[146:147], 1.0
	v_mul_f64 v[152:153], v[152:153], -v[150:151]
.LBB49_106:
	s_or_b32 exec_lo, exec_lo, s1
	ds_write2_b64 v1, v[150:151], v[152:153] offset1:1
.LBB49_107:
	s_or_b32 exec_lo, exec_lo, s2
	s_waitcnt lgkmcnt(0)
	s_barrier
	buffer_gl0_inv
	ds_read2_b64 v[146:149], v1 offset1:1
	s_mov_b32 s1, exec_lo
	v_cmpx_lt_u32_e32 11, v0
	s_cbranch_execz .LBB49_109
; %bb.108:
	s_waitcnt lgkmcnt(0)
	v_mul_f64 v[150:151], v[146:147], v[56:57]
	v_mul_f64 v[56:57], v[148:149], v[56:57]
	v_fma_f64 v[154:155], v[148:149], v[54:55], v[150:151]
	ds_read2_b64 v[150:153], v254 offset0:24 offset1:25
	v_fma_f64 v[54:55], v[146:147], v[54:55], -v[56:57]
	s_waitcnt lgkmcnt(0)
	v_mul_f64 v[56:57], v[152:153], v[154:155]
	v_fma_f64 v[56:57], v[150:151], v[54:55], -v[56:57]
	v_mul_f64 v[150:151], v[150:151], v[154:155]
	v_add_f64 v[50:51], v[50:51], -v[56:57]
	v_fma_f64 v[150:151], v[152:153], v[54:55], v[150:151]
	v_add_f64 v[52:53], v[52:53], -v[150:151]
	ds_read2_b64 v[150:153], v254 offset0:26 offset1:27
	s_waitcnt lgkmcnt(0)
	v_mul_f64 v[56:57], v[152:153], v[154:155]
	v_fma_f64 v[56:57], v[150:151], v[54:55], -v[56:57]
	v_mul_f64 v[150:151], v[150:151], v[154:155]
	v_add_f64 v[46:47], v[46:47], -v[56:57]
	v_fma_f64 v[150:151], v[152:153], v[54:55], v[150:151]
	v_add_f64 v[48:49], v[48:49], -v[150:151]
	ds_read2_b64 v[150:153], v254 offset0:28 offset1:29
	;; [unrolled: 8-line block ×12, first 2 shown]
	s_waitcnt lgkmcnt(0)
	v_mul_f64 v[56:57], v[152:153], v[154:155]
	v_fma_f64 v[56:57], v[150:151], v[54:55], -v[56:57]
	v_mul_f64 v[150:151], v[150:151], v[154:155]
	v_add_f64 v[2:3], v[2:3], -v[56:57]
	v_fma_f64 v[150:151], v[152:153], v[54:55], v[150:151]
	v_mov_b32_e32 v56, v154
	v_mov_b32_e32 v57, v155
	v_add_f64 v[4:5], v[4:5], -v[150:151]
.LBB49_109:
	s_or_b32 exec_lo, exec_lo, s1
	s_mov_b32 s2, exec_lo
	s_waitcnt lgkmcnt(0)
	s_barrier
	buffer_gl0_inv
	v_cmpx_eq_u32_e32 12, v0
	s_cbranch_execz .LBB49_116
; %bb.110:
	ds_write2_b64 v1, v[50:51], v[52:53] offset1:1
	ds_write2_b64 v254, v[46:47], v[48:49] offset0:26 offset1:27
	ds_write2_b64 v254, v[42:43], v[44:45] offset0:28 offset1:29
	;; [unrolled: 1-line block ×12, first 2 shown]
	ds_read2_b64 v[150:153], v1 offset1:1
	s_waitcnt lgkmcnt(0)
	v_cmp_neq_f64_e32 vcc_lo, 0, v[150:151]
	v_cmp_neq_f64_e64 s1, 0, v[152:153]
	s_or_b32 s1, vcc_lo, s1
	s_and_b32 exec_lo, exec_lo, s1
	s_cbranch_execz .LBB49_116
; %bb.111:
	v_cmp_ngt_f64_e64 s1, |v[150:151]|, |v[152:153]|
                                        ; implicit-def: $vgpr154_vgpr155
	s_and_saveexec_b32 s3, s1
	s_xor_b32 s1, exec_lo, s3
                                        ; implicit-def: $vgpr156_vgpr157
	s_cbranch_execz .LBB49_113
; %bb.112:
	v_div_scale_f64 v[154:155], null, v[152:153], v[152:153], v[150:151]
	v_div_scale_f64 v[160:161], vcc_lo, v[150:151], v[152:153], v[150:151]
	v_rcp_f64_e32 v[156:157], v[154:155]
	v_fma_f64 v[158:159], -v[154:155], v[156:157], 1.0
	v_fma_f64 v[156:157], v[156:157], v[158:159], v[156:157]
	v_fma_f64 v[158:159], -v[154:155], v[156:157], 1.0
	v_fma_f64 v[156:157], v[156:157], v[158:159], v[156:157]
	v_mul_f64 v[158:159], v[160:161], v[156:157]
	v_fma_f64 v[154:155], -v[154:155], v[158:159], v[160:161]
	v_div_fmas_f64 v[154:155], v[154:155], v[156:157], v[158:159]
	v_div_fixup_f64 v[154:155], v[154:155], v[152:153], v[150:151]
	v_fma_f64 v[150:151], v[150:151], v[154:155], v[152:153]
	v_div_scale_f64 v[152:153], null, v[150:151], v[150:151], 1.0
	v_rcp_f64_e32 v[156:157], v[152:153]
	v_fma_f64 v[158:159], -v[152:153], v[156:157], 1.0
	v_fma_f64 v[156:157], v[156:157], v[158:159], v[156:157]
	v_fma_f64 v[158:159], -v[152:153], v[156:157], 1.0
	v_fma_f64 v[156:157], v[156:157], v[158:159], v[156:157]
	v_div_scale_f64 v[158:159], vcc_lo, 1.0, v[150:151], 1.0
	v_mul_f64 v[160:161], v[158:159], v[156:157]
	v_fma_f64 v[152:153], -v[152:153], v[160:161], v[158:159]
	v_div_fmas_f64 v[152:153], v[152:153], v[156:157], v[160:161]
	v_div_fixup_f64 v[156:157], v[152:153], v[150:151], 1.0
                                        ; implicit-def: $vgpr150_vgpr151
	v_mul_f64 v[154:155], v[154:155], v[156:157]
	v_xor_b32_e32 v157, 0x80000000, v157
.LBB49_113:
	s_andn2_saveexec_b32 s1, s1
	s_cbranch_execz .LBB49_115
; %bb.114:
	v_div_scale_f64 v[154:155], null, v[150:151], v[150:151], v[152:153]
	v_div_scale_f64 v[160:161], vcc_lo, v[152:153], v[150:151], v[152:153]
	v_rcp_f64_e32 v[156:157], v[154:155]
	v_fma_f64 v[158:159], -v[154:155], v[156:157], 1.0
	v_fma_f64 v[156:157], v[156:157], v[158:159], v[156:157]
	v_fma_f64 v[158:159], -v[154:155], v[156:157], 1.0
	v_fma_f64 v[156:157], v[156:157], v[158:159], v[156:157]
	v_mul_f64 v[158:159], v[160:161], v[156:157]
	v_fma_f64 v[154:155], -v[154:155], v[158:159], v[160:161]
	v_div_fmas_f64 v[154:155], v[154:155], v[156:157], v[158:159]
	v_div_fixup_f64 v[156:157], v[154:155], v[150:151], v[152:153]
	v_fma_f64 v[150:151], v[152:153], v[156:157], v[150:151]
	v_div_scale_f64 v[152:153], null, v[150:151], v[150:151], 1.0
	v_rcp_f64_e32 v[154:155], v[152:153]
	v_fma_f64 v[158:159], -v[152:153], v[154:155], 1.0
	v_fma_f64 v[154:155], v[154:155], v[158:159], v[154:155]
	v_fma_f64 v[158:159], -v[152:153], v[154:155], 1.0
	v_fma_f64 v[154:155], v[154:155], v[158:159], v[154:155]
	v_div_scale_f64 v[158:159], vcc_lo, 1.0, v[150:151], 1.0
	v_mul_f64 v[160:161], v[158:159], v[154:155]
	v_fma_f64 v[152:153], -v[152:153], v[160:161], v[158:159]
	v_div_fmas_f64 v[152:153], v[152:153], v[154:155], v[160:161]
	v_div_fixup_f64 v[154:155], v[152:153], v[150:151], 1.0
	v_mul_f64 v[156:157], v[156:157], -v[154:155]
.LBB49_115:
	s_or_b32 exec_lo, exec_lo, s1
	ds_write2_b64 v1, v[154:155], v[156:157] offset1:1
.LBB49_116:
	s_or_b32 exec_lo, exec_lo, s2
	s_waitcnt lgkmcnt(0)
	s_barrier
	buffer_gl0_inv
	ds_read2_b64 v[150:153], v1 offset1:1
	s_mov_b32 s1, exec_lo
	v_cmpx_lt_u32_e32 12, v0
	s_cbranch_execz .LBB49_118
; %bb.117:
	s_waitcnt lgkmcnt(0)
	v_mul_f64 v[154:155], v[150:151], v[52:53]
	v_mul_f64 v[52:53], v[152:153], v[52:53]
	v_fma_f64 v[158:159], v[152:153], v[50:51], v[154:155]
	ds_read2_b64 v[154:157], v254 offset0:26 offset1:27
	v_fma_f64 v[50:51], v[150:151], v[50:51], -v[52:53]
	s_waitcnt lgkmcnt(0)
	v_mul_f64 v[52:53], v[156:157], v[158:159]
	v_fma_f64 v[52:53], v[154:155], v[50:51], -v[52:53]
	v_mul_f64 v[154:155], v[154:155], v[158:159]
	v_add_f64 v[46:47], v[46:47], -v[52:53]
	v_fma_f64 v[154:155], v[156:157], v[50:51], v[154:155]
	v_add_f64 v[48:49], v[48:49], -v[154:155]
	ds_read2_b64 v[154:157], v254 offset0:28 offset1:29
	s_waitcnt lgkmcnt(0)
	v_mul_f64 v[52:53], v[156:157], v[158:159]
	v_fma_f64 v[52:53], v[154:155], v[50:51], -v[52:53]
	v_mul_f64 v[154:155], v[154:155], v[158:159]
	v_add_f64 v[42:43], v[42:43], -v[52:53]
	v_fma_f64 v[154:155], v[156:157], v[50:51], v[154:155]
	v_add_f64 v[44:45], v[44:45], -v[154:155]
	ds_read2_b64 v[154:157], v254 offset0:30 offset1:31
	;; [unrolled: 8-line block ×11, first 2 shown]
	s_waitcnt lgkmcnt(0)
	v_mul_f64 v[52:53], v[156:157], v[158:159]
	v_fma_f64 v[52:53], v[154:155], v[50:51], -v[52:53]
	v_mul_f64 v[154:155], v[154:155], v[158:159]
	v_add_f64 v[2:3], v[2:3], -v[52:53]
	v_fma_f64 v[154:155], v[156:157], v[50:51], v[154:155]
	v_mov_b32_e32 v52, v158
	v_mov_b32_e32 v53, v159
	v_add_f64 v[4:5], v[4:5], -v[154:155]
.LBB49_118:
	s_or_b32 exec_lo, exec_lo, s1
	s_mov_b32 s2, exec_lo
	s_waitcnt lgkmcnt(0)
	s_barrier
	buffer_gl0_inv
	v_cmpx_eq_u32_e32 13, v0
	s_cbranch_execz .LBB49_125
; %bb.119:
	ds_write2_b64 v1, v[46:47], v[48:49] offset1:1
	ds_write2_b64 v254, v[42:43], v[44:45] offset0:28 offset1:29
	ds_write2_b64 v254, v[38:39], v[40:41] offset0:30 offset1:31
	;; [unrolled: 1-line block ×11, first 2 shown]
	ds_read2_b64 v[154:157], v1 offset1:1
	s_waitcnt lgkmcnt(0)
	v_cmp_neq_f64_e32 vcc_lo, 0, v[154:155]
	v_cmp_neq_f64_e64 s1, 0, v[156:157]
	s_or_b32 s1, vcc_lo, s1
	s_and_b32 exec_lo, exec_lo, s1
	s_cbranch_execz .LBB49_125
; %bb.120:
	v_cmp_ngt_f64_e64 s1, |v[154:155]|, |v[156:157]|
                                        ; implicit-def: $vgpr158_vgpr159
	s_and_saveexec_b32 s3, s1
	s_xor_b32 s1, exec_lo, s3
                                        ; implicit-def: $vgpr160_vgpr161
	s_cbranch_execz .LBB49_122
; %bb.121:
	v_div_scale_f64 v[158:159], null, v[156:157], v[156:157], v[154:155]
	v_div_scale_f64 v[164:165], vcc_lo, v[154:155], v[156:157], v[154:155]
	v_rcp_f64_e32 v[160:161], v[158:159]
	v_fma_f64 v[162:163], -v[158:159], v[160:161], 1.0
	v_fma_f64 v[160:161], v[160:161], v[162:163], v[160:161]
	v_fma_f64 v[162:163], -v[158:159], v[160:161], 1.0
	v_fma_f64 v[160:161], v[160:161], v[162:163], v[160:161]
	v_mul_f64 v[162:163], v[164:165], v[160:161]
	v_fma_f64 v[158:159], -v[158:159], v[162:163], v[164:165]
	v_div_fmas_f64 v[158:159], v[158:159], v[160:161], v[162:163]
	v_div_fixup_f64 v[158:159], v[158:159], v[156:157], v[154:155]
	v_fma_f64 v[154:155], v[154:155], v[158:159], v[156:157]
	v_div_scale_f64 v[156:157], null, v[154:155], v[154:155], 1.0
	v_rcp_f64_e32 v[160:161], v[156:157]
	v_fma_f64 v[162:163], -v[156:157], v[160:161], 1.0
	v_fma_f64 v[160:161], v[160:161], v[162:163], v[160:161]
	v_fma_f64 v[162:163], -v[156:157], v[160:161], 1.0
	v_fma_f64 v[160:161], v[160:161], v[162:163], v[160:161]
	v_div_scale_f64 v[162:163], vcc_lo, 1.0, v[154:155], 1.0
	v_mul_f64 v[164:165], v[162:163], v[160:161]
	v_fma_f64 v[156:157], -v[156:157], v[164:165], v[162:163]
	v_div_fmas_f64 v[156:157], v[156:157], v[160:161], v[164:165]
	v_div_fixup_f64 v[160:161], v[156:157], v[154:155], 1.0
                                        ; implicit-def: $vgpr154_vgpr155
	v_mul_f64 v[158:159], v[158:159], v[160:161]
	v_xor_b32_e32 v161, 0x80000000, v161
.LBB49_122:
	s_andn2_saveexec_b32 s1, s1
	s_cbranch_execz .LBB49_124
; %bb.123:
	v_div_scale_f64 v[158:159], null, v[154:155], v[154:155], v[156:157]
	v_div_scale_f64 v[164:165], vcc_lo, v[156:157], v[154:155], v[156:157]
	v_rcp_f64_e32 v[160:161], v[158:159]
	v_fma_f64 v[162:163], -v[158:159], v[160:161], 1.0
	v_fma_f64 v[160:161], v[160:161], v[162:163], v[160:161]
	v_fma_f64 v[162:163], -v[158:159], v[160:161], 1.0
	v_fma_f64 v[160:161], v[160:161], v[162:163], v[160:161]
	v_mul_f64 v[162:163], v[164:165], v[160:161]
	v_fma_f64 v[158:159], -v[158:159], v[162:163], v[164:165]
	v_div_fmas_f64 v[158:159], v[158:159], v[160:161], v[162:163]
	v_div_fixup_f64 v[160:161], v[158:159], v[154:155], v[156:157]
	v_fma_f64 v[154:155], v[156:157], v[160:161], v[154:155]
	v_div_scale_f64 v[156:157], null, v[154:155], v[154:155], 1.0
	v_rcp_f64_e32 v[158:159], v[156:157]
	v_fma_f64 v[162:163], -v[156:157], v[158:159], 1.0
	v_fma_f64 v[158:159], v[158:159], v[162:163], v[158:159]
	v_fma_f64 v[162:163], -v[156:157], v[158:159], 1.0
	v_fma_f64 v[158:159], v[158:159], v[162:163], v[158:159]
	v_div_scale_f64 v[162:163], vcc_lo, 1.0, v[154:155], 1.0
	v_mul_f64 v[164:165], v[162:163], v[158:159]
	v_fma_f64 v[156:157], -v[156:157], v[164:165], v[162:163]
	v_div_fmas_f64 v[156:157], v[156:157], v[158:159], v[164:165]
	v_div_fixup_f64 v[158:159], v[156:157], v[154:155], 1.0
	v_mul_f64 v[160:161], v[160:161], -v[158:159]
.LBB49_124:
	s_or_b32 exec_lo, exec_lo, s1
	ds_write2_b64 v1, v[158:159], v[160:161] offset1:1
.LBB49_125:
	s_or_b32 exec_lo, exec_lo, s2
	s_waitcnt lgkmcnt(0)
	s_barrier
	buffer_gl0_inv
	ds_read2_b64 v[154:157], v1 offset1:1
	s_mov_b32 s1, exec_lo
	v_cmpx_lt_u32_e32 13, v0
	s_cbranch_execz .LBB49_127
; %bb.126:
	s_waitcnt lgkmcnt(0)
	v_mul_f64 v[158:159], v[154:155], v[48:49]
	v_mul_f64 v[48:49], v[156:157], v[48:49]
	v_fma_f64 v[162:163], v[156:157], v[46:47], v[158:159]
	ds_read2_b64 v[158:161], v254 offset0:28 offset1:29
	v_fma_f64 v[46:47], v[154:155], v[46:47], -v[48:49]
	s_waitcnt lgkmcnt(0)
	v_mul_f64 v[48:49], v[160:161], v[162:163]
	v_fma_f64 v[48:49], v[158:159], v[46:47], -v[48:49]
	v_mul_f64 v[158:159], v[158:159], v[162:163]
	v_add_f64 v[42:43], v[42:43], -v[48:49]
	v_fma_f64 v[158:159], v[160:161], v[46:47], v[158:159]
	v_add_f64 v[44:45], v[44:45], -v[158:159]
	ds_read2_b64 v[158:161], v254 offset0:30 offset1:31
	s_waitcnt lgkmcnt(0)
	v_mul_f64 v[48:49], v[160:161], v[162:163]
	v_fma_f64 v[48:49], v[158:159], v[46:47], -v[48:49]
	v_mul_f64 v[158:159], v[158:159], v[162:163]
	v_add_f64 v[38:39], v[38:39], -v[48:49]
	v_fma_f64 v[158:159], v[160:161], v[46:47], v[158:159]
	v_add_f64 v[40:41], v[40:41], -v[158:159]
	ds_read2_b64 v[158:161], v254 offset0:32 offset1:33
	;; [unrolled: 8-line block ×10, first 2 shown]
	s_waitcnt lgkmcnt(0)
	v_mul_f64 v[48:49], v[160:161], v[162:163]
	v_fma_f64 v[48:49], v[158:159], v[46:47], -v[48:49]
	v_mul_f64 v[158:159], v[158:159], v[162:163]
	v_add_f64 v[2:3], v[2:3], -v[48:49]
	v_fma_f64 v[158:159], v[160:161], v[46:47], v[158:159]
	v_mov_b32_e32 v48, v162
	v_mov_b32_e32 v49, v163
	v_add_f64 v[4:5], v[4:5], -v[158:159]
.LBB49_127:
	s_or_b32 exec_lo, exec_lo, s1
	s_mov_b32 s2, exec_lo
	s_waitcnt lgkmcnt(0)
	s_barrier
	buffer_gl0_inv
	v_cmpx_eq_u32_e32 14, v0
	s_cbranch_execz .LBB49_134
; %bb.128:
	ds_write2_b64 v1, v[42:43], v[44:45] offset1:1
	ds_write2_b64 v254, v[38:39], v[40:41] offset0:30 offset1:31
	ds_write2_b64 v254, v[34:35], v[36:37] offset0:32 offset1:33
	;; [unrolled: 1-line block ×10, first 2 shown]
	ds_read2_b64 v[158:161], v1 offset1:1
	s_waitcnt lgkmcnt(0)
	v_cmp_neq_f64_e32 vcc_lo, 0, v[158:159]
	v_cmp_neq_f64_e64 s1, 0, v[160:161]
	s_or_b32 s1, vcc_lo, s1
	s_and_b32 exec_lo, exec_lo, s1
	s_cbranch_execz .LBB49_134
; %bb.129:
	v_cmp_ngt_f64_e64 s1, |v[158:159]|, |v[160:161]|
                                        ; implicit-def: $vgpr162_vgpr163
	s_and_saveexec_b32 s3, s1
	s_xor_b32 s1, exec_lo, s3
                                        ; implicit-def: $vgpr164_vgpr165
	s_cbranch_execz .LBB49_131
; %bb.130:
	v_div_scale_f64 v[162:163], null, v[160:161], v[160:161], v[158:159]
	v_div_scale_f64 v[168:169], vcc_lo, v[158:159], v[160:161], v[158:159]
	v_rcp_f64_e32 v[164:165], v[162:163]
	v_fma_f64 v[166:167], -v[162:163], v[164:165], 1.0
	v_fma_f64 v[164:165], v[164:165], v[166:167], v[164:165]
	v_fma_f64 v[166:167], -v[162:163], v[164:165], 1.0
	v_fma_f64 v[164:165], v[164:165], v[166:167], v[164:165]
	v_mul_f64 v[166:167], v[168:169], v[164:165]
	v_fma_f64 v[162:163], -v[162:163], v[166:167], v[168:169]
	v_div_fmas_f64 v[162:163], v[162:163], v[164:165], v[166:167]
	v_div_fixup_f64 v[162:163], v[162:163], v[160:161], v[158:159]
	v_fma_f64 v[158:159], v[158:159], v[162:163], v[160:161]
	v_div_scale_f64 v[160:161], null, v[158:159], v[158:159], 1.0
	v_rcp_f64_e32 v[164:165], v[160:161]
	v_fma_f64 v[166:167], -v[160:161], v[164:165], 1.0
	v_fma_f64 v[164:165], v[164:165], v[166:167], v[164:165]
	v_fma_f64 v[166:167], -v[160:161], v[164:165], 1.0
	v_fma_f64 v[164:165], v[164:165], v[166:167], v[164:165]
	v_div_scale_f64 v[166:167], vcc_lo, 1.0, v[158:159], 1.0
	v_mul_f64 v[168:169], v[166:167], v[164:165]
	v_fma_f64 v[160:161], -v[160:161], v[168:169], v[166:167]
	v_div_fmas_f64 v[160:161], v[160:161], v[164:165], v[168:169]
	v_div_fixup_f64 v[164:165], v[160:161], v[158:159], 1.0
                                        ; implicit-def: $vgpr158_vgpr159
	v_mul_f64 v[162:163], v[162:163], v[164:165]
	v_xor_b32_e32 v165, 0x80000000, v165
.LBB49_131:
	s_andn2_saveexec_b32 s1, s1
	s_cbranch_execz .LBB49_133
; %bb.132:
	v_div_scale_f64 v[162:163], null, v[158:159], v[158:159], v[160:161]
	v_div_scale_f64 v[168:169], vcc_lo, v[160:161], v[158:159], v[160:161]
	v_rcp_f64_e32 v[164:165], v[162:163]
	v_fma_f64 v[166:167], -v[162:163], v[164:165], 1.0
	v_fma_f64 v[164:165], v[164:165], v[166:167], v[164:165]
	v_fma_f64 v[166:167], -v[162:163], v[164:165], 1.0
	v_fma_f64 v[164:165], v[164:165], v[166:167], v[164:165]
	v_mul_f64 v[166:167], v[168:169], v[164:165]
	v_fma_f64 v[162:163], -v[162:163], v[166:167], v[168:169]
	v_div_fmas_f64 v[162:163], v[162:163], v[164:165], v[166:167]
	v_div_fixup_f64 v[164:165], v[162:163], v[158:159], v[160:161]
	v_fma_f64 v[158:159], v[160:161], v[164:165], v[158:159]
	v_div_scale_f64 v[160:161], null, v[158:159], v[158:159], 1.0
	v_rcp_f64_e32 v[162:163], v[160:161]
	v_fma_f64 v[166:167], -v[160:161], v[162:163], 1.0
	v_fma_f64 v[162:163], v[162:163], v[166:167], v[162:163]
	v_fma_f64 v[166:167], -v[160:161], v[162:163], 1.0
	v_fma_f64 v[162:163], v[162:163], v[166:167], v[162:163]
	v_div_scale_f64 v[166:167], vcc_lo, 1.0, v[158:159], 1.0
	v_mul_f64 v[168:169], v[166:167], v[162:163]
	v_fma_f64 v[160:161], -v[160:161], v[168:169], v[166:167]
	v_div_fmas_f64 v[160:161], v[160:161], v[162:163], v[168:169]
	v_div_fixup_f64 v[162:163], v[160:161], v[158:159], 1.0
	v_mul_f64 v[164:165], v[164:165], -v[162:163]
.LBB49_133:
	s_or_b32 exec_lo, exec_lo, s1
	ds_write2_b64 v1, v[162:163], v[164:165] offset1:1
.LBB49_134:
	s_or_b32 exec_lo, exec_lo, s2
	s_waitcnt lgkmcnt(0)
	s_barrier
	buffer_gl0_inv
	ds_read2_b64 v[158:161], v1 offset1:1
	s_mov_b32 s1, exec_lo
	v_cmpx_lt_u32_e32 14, v0
	s_cbranch_execz .LBB49_136
; %bb.135:
	s_waitcnt lgkmcnt(0)
	v_mul_f64 v[162:163], v[158:159], v[44:45]
	v_mul_f64 v[44:45], v[160:161], v[44:45]
	v_fma_f64 v[166:167], v[160:161], v[42:43], v[162:163]
	ds_read2_b64 v[162:165], v254 offset0:30 offset1:31
	v_fma_f64 v[42:43], v[158:159], v[42:43], -v[44:45]
	s_waitcnt lgkmcnt(0)
	v_mul_f64 v[44:45], v[164:165], v[166:167]
	v_fma_f64 v[44:45], v[162:163], v[42:43], -v[44:45]
	v_mul_f64 v[162:163], v[162:163], v[166:167]
	v_add_f64 v[38:39], v[38:39], -v[44:45]
	v_fma_f64 v[162:163], v[164:165], v[42:43], v[162:163]
	v_add_f64 v[40:41], v[40:41], -v[162:163]
	ds_read2_b64 v[162:165], v254 offset0:32 offset1:33
	s_waitcnt lgkmcnt(0)
	v_mul_f64 v[44:45], v[164:165], v[166:167]
	v_fma_f64 v[44:45], v[162:163], v[42:43], -v[44:45]
	v_mul_f64 v[162:163], v[162:163], v[166:167]
	v_add_f64 v[34:35], v[34:35], -v[44:45]
	v_fma_f64 v[162:163], v[164:165], v[42:43], v[162:163]
	v_add_f64 v[36:37], v[36:37], -v[162:163]
	ds_read2_b64 v[162:165], v254 offset0:34 offset1:35
	s_waitcnt lgkmcnt(0)
	v_mul_f64 v[44:45], v[164:165], v[166:167]
	v_fma_f64 v[44:45], v[162:163], v[42:43], -v[44:45]
	v_mul_f64 v[162:163], v[162:163], v[166:167]
	v_add_f64 v[30:31], v[30:31], -v[44:45]
	v_fma_f64 v[162:163], v[164:165], v[42:43], v[162:163]
	v_add_f64 v[32:33], v[32:33], -v[162:163]
	ds_read2_b64 v[162:165], v254 offset0:36 offset1:37
	s_waitcnt lgkmcnt(0)
	v_mul_f64 v[44:45], v[164:165], v[166:167]
	v_fma_f64 v[44:45], v[162:163], v[42:43], -v[44:45]
	v_mul_f64 v[162:163], v[162:163], v[166:167]
	v_add_f64 v[26:27], v[26:27], -v[44:45]
	v_fma_f64 v[162:163], v[164:165], v[42:43], v[162:163]
	v_add_f64 v[28:29], v[28:29], -v[162:163]
	ds_read2_b64 v[162:165], v254 offset0:38 offset1:39
	s_waitcnt lgkmcnt(0)
	v_mul_f64 v[44:45], v[164:165], v[166:167]
	v_fma_f64 v[44:45], v[162:163], v[42:43], -v[44:45]
	v_mul_f64 v[162:163], v[162:163], v[166:167]
	v_add_f64 v[22:23], v[22:23], -v[44:45]
	v_fma_f64 v[162:163], v[164:165], v[42:43], v[162:163]
	v_add_f64 v[24:25], v[24:25], -v[162:163]
	ds_read2_b64 v[162:165], v254 offset0:40 offset1:41
	s_waitcnt lgkmcnt(0)
	v_mul_f64 v[44:45], v[164:165], v[166:167]
	v_fma_f64 v[44:45], v[162:163], v[42:43], -v[44:45]
	v_mul_f64 v[162:163], v[162:163], v[166:167]
	v_add_f64 v[18:19], v[18:19], -v[44:45]
	v_fma_f64 v[162:163], v[164:165], v[42:43], v[162:163]
	v_add_f64 v[20:21], v[20:21], -v[162:163]
	ds_read2_b64 v[162:165], v254 offset0:42 offset1:43
	s_waitcnt lgkmcnt(0)
	v_mul_f64 v[44:45], v[164:165], v[166:167]
	v_fma_f64 v[44:45], v[162:163], v[42:43], -v[44:45]
	v_mul_f64 v[162:163], v[162:163], v[166:167]
	v_add_f64 v[14:15], v[14:15], -v[44:45]
	v_fma_f64 v[162:163], v[164:165], v[42:43], v[162:163]
	v_add_f64 v[16:17], v[16:17], -v[162:163]
	ds_read2_b64 v[162:165], v254 offset0:44 offset1:45
	s_waitcnt lgkmcnt(0)
	v_mul_f64 v[44:45], v[164:165], v[166:167]
	v_fma_f64 v[44:45], v[162:163], v[42:43], -v[44:45]
	v_mul_f64 v[162:163], v[162:163], v[166:167]
	v_add_f64 v[10:11], v[10:11], -v[44:45]
	v_fma_f64 v[162:163], v[164:165], v[42:43], v[162:163]
	v_add_f64 v[12:13], v[12:13], -v[162:163]
	ds_read2_b64 v[162:165], v254 offset0:46 offset1:47
	s_waitcnt lgkmcnt(0)
	v_mul_f64 v[44:45], v[164:165], v[166:167]
	v_fma_f64 v[44:45], v[162:163], v[42:43], -v[44:45]
	v_mul_f64 v[162:163], v[162:163], v[166:167]
	v_add_f64 v[6:7], v[6:7], -v[44:45]
	v_fma_f64 v[162:163], v[164:165], v[42:43], v[162:163]
	v_add_f64 v[8:9], v[8:9], -v[162:163]
	ds_read2_b64 v[162:165], v254 offset0:48 offset1:49
	s_waitcnt lgkmcnt(0)
	v_mul_f64 v[44:45], v[164:165], v[166:167]
	v_fma_f64 v[44:45], v[162:163], v[42:43], -v[44:45]
	v_mul_f64 v[162:163], v[162:163], v[166:167]
	v_add_f64 v[2:3], v[2:3], -v[44:45]
	v_fma_f64 v[162:163], v[164:165], v[42:43], v[162:163]
	v_mov_b32_e32 v44, v166
	v_mov_b32_e32 v45, v167
	v_add_f64 v[4:5], v[4:5], -v[162:163]
.LBB49_136:
	s_or_b32 exec_lo, exec_lo, s1
	s_mov_b32 s2, exec_lo
	s_waitcnt lgkmcnt(0)
	s_barrier
	buffer_gl0_inv
	v_cmpx_eq_u32_e32 15, v0
	s_cbranch_execz .LBB49_143
; %bb.137:
	ds_write2_b64 v1, v[38:39], v[40:41] offset1:1
	ds_write2_b64 v254, v[34:35], v[36:37] offset0:32 offset1:33
	ds_write2_b64 v254, v[30:31], v[32:33] offset0:34 offset1:35
	ds_write2_b64 v254, v[26:27], v[28:29] offset0:36 offset1:37
	ds_write2_b64 v254, v[22:23], v[24:25] offset0:38 offset1:39
	ds_write2_b64 v254, v[18:19], v[20:21] offset0:40 offset1:41
	ds_write2_b64 v254, v[14:15], v[16:17] offset0:42 offset1:43
	ds_write2_b64 v254, v[10:11], v[12:13] offset0:44 offset1:45
	ds_write2_b64 v254, v[6:7], v[8:9] offset0:46 offset1:47
	ds_write2_b64 v254, v[2:3], v[4:5] offset0:48 offset1:49
	ds_read2_b64 v[162:165], v1 offset1:1
	s_waitcnt lgkmcnt(0)
	v_cmp_neq_f64_e32 vcc_lo, 0, v[162:163]
	v_cmp_neq_f64_e64 s1, 0, v[164:165]
	s_or_b32 s1, vcc_lo, s1
	s_and_b32 exec_lo, exec_lo, s1
	s_cbranch_execz .LBB49_143
; %bb.138:
	v_cmp_ngt_f64_e64 s1, |v[162:163]|, |v[164:165]|
                                        ; implicit-def: $vgpr166_vgpr167
	s_and_saveexec_b32 s3, s1
	s_xor_b32 s1, exec_lo, s3
                                        ; implicit-def: $vgpr168_vgpr169
	s_cbranch_execz .LBB49_140
; %bb.139:
	v_div_scale_f64 v[166:167], null, v[164:165], v[164:165], v[162:163]
	v_div_scale_f64 v[172:173], vcc_lo, v[162:163], v[164:165], v[162:163]
	v_rcp_f64_e32 v[168:169], v[166:167]
	v_fma_f64 v[170:171], -v[166:167], v[168:169], 1.0
	v_fma_f64 v[168:169], v[168:169], v[170:171], v[168:169]
	v_fma_f64 v[170:171], -v[166:167], v[168:169], 1.0
	v_fma_f64 v[168:169], v[168:169], v[170:171], v[168:169]
	v_mul_f64 v[170:171], v[172:173], v[168:169]
	v_fma_f64 v[166:167], -v[166:167], v[170:171], v[172:173]
	v_div_fmas_f64 v[166:167], v[166:167], v[168:169], v[170:171]
	v_div_fixup_f64 v[166:167], v[166:167], v[164:165], v[162:163]
	v_fma_f64 v[162:163], v[162:163], v[166:167], v[164:165]
	v_div_scale_f64 v[164:165], null, v[162:163], v[162:163], 1.0
	v_rcp_f64_e32 v[168:169], v[164:165]
	v_fma_f64 v[170:171], -v[164:165], v[168:169], 1.0
	v_fma_f64 v[168:169], v[168:169], v[170:171], v[168:169]
	v_fma_f64 v[170:171], -v[164:165], v[168:169], 1.0
	v_fma_f64 v[168:169], v[168:169], v[170:171], v[168:169]
	v_div_scale_f64 v[170:171], vcc_lo, 1.0, v[162:163], 1.0
	v_mul_f64 v[172:173], v[170:171], v[168:169]
	v_fma_f64 v[164:165], -v[164:165], v[172:173], v[170:171]
	v_div_fmas_f64 v[164:165], v[164:165], v[168:169], v[172:173]
	v_div_fixup_f64 v[168:169], v[164:165], v[162:163], 1.0
                                        ; implicit-def: $vgpr162_vgpr163
	v_mul_f64 v[166:167], v[166:167], v[168:169]
	v_xor_b32_e32 v169, 0x80000000, v169
.LBB49_140:
	s_andn2_saveexec_b32 s1, s1
	s_cbranch_execz .LBB49_142
; %bb.141:
	v_div_scale_f64 v[166:167], null, v[162:163], v[162:163], v[164:165]
	v_div_scale_f64 v[172:173], vcc_lo, v[164:165], v[162:163], v[164:165]
	v_rcp_f64_e32 v[168:169], v[166:167]
	v_fma_f64 v[170:171], -v[166:167], v[168:169], 1.0
	v_fma_f64 v[168:169], v[168:169], v[170:171], v[168:169]
	v_fma_f64 v[170:171], -v[166:167], v[168:169], 1.0
	v_fma_f64 v[168:169], v[168:169], v[170:171], v[168:169]
	v_mul_f64 v[170:171], v[172:173], v[168:169]
	v_fma_f64 v[166:167], -v[166:167], v[170:171], v[172:173]
	v_div_fmas_f64 v[166:167], v[166:167], v[168:169], v[170:171]
	v_div_fixup_f64 v[168:169], v[166:167], v[162:163], v[164:165]
	v_fma_f64 v[162:163], v[164:165], v[168:169], v[162:163]
	v_div_scale_f64 v[164:165], null, v[162:163], v[162:163], 1.0
	v_rcp_f64_e32 v[166:167], v[164:165]
	v_fma_f64 v[170:171], -v[164:165], v[166:167], 1.0
	v_fma_f64 v[166:167], v[166:167], v[170:171], v[166:167]
	v_fma_f64 v[170:171], -v[164:165], v[166:167], 1.0
	v_fma_f64 v[166:167], v[166:167], v[170:171], v[166:167]
	v_div_scale_f64 v[170:171], vcc_lo, 1.0, v[162:163], 1.0
	v_mul_f64 v[172:173], v[170:171], v[166:167]
	v_fma_f64 v[164:165], -v[164:165], v[172:173], v[170:171]
	v_div_fmas_f64 v[164:165], v[164:165], v[166:167], v[172:173]
	v_div_fixup_f64 v[166:167], v[164:165], v[162:163], 1.0
	v_mul_f64 v[168:169], v[168:169], -v[166:167]
.LBB49_142:
	s_or_b32 exec_lo, exec_lo, s1
	ds_write2_b64 v1, v[166:167], v[168:169] offset1:1
.LBB49_143:
	s_or_b32 exec_lo, exec_lo, s2
	s_waitcnt lgkmcnt(0)
	s_barrier
	buffer_gl0_inv
	ds_read2_b64 v[162:165], v1 offset1:1
	s_mov_b32 s1, exec_lo
	v_cmpx_lt_u32_e32 15, v0
	s_cbranch_execz .LBB49_145
; %bb.144:
	s_waitcnt lgkmcnt(0)
	v_mul_f64 v[166:167], v[162:163], v[40:41]
	v_mul_f64 v[40:41], v[164:165], v[40:41]
	v_fma_f64 v[170:171], v[164:165], v[38:39], v[166:167]
	ds_read2_b64 v[166:169], v254 offset0:32 offset1:33
	v_fma_f64 v[38:39], v[162:163], v[38:39], -v[40:41]
	s_waitcnt lgkmcnt(0)
	v_mul_f64 v[40:41], v[168:169], v[170:171]
	v_fma_f64 v[40:41], v[166:167], v[38:39], -v[40:41]
	v_mul_f64 v[166:167], v[166:167], v[170:171]
	v_add_f64 v[34:35], v[34:35], -v[40:41]
	v_fma_f64 v[166:167], v[168:169], v[38:39], v[166:167]
	v_add_f64 v[36:37], v[36:37], -v[166:167]
	ds_read2_b64 v[166:169], v254 offset0:34 offset1:35
	s_waitcnt lgkmcnt(0)
	v_mul_f64 v[40:41], v[168:169], v[170:171]
	v_fma_f64 v[40:41], v[166:167], v[38:39], -v[40:41]
	v_mul_f64 v[166:167], v[166:167], v[170:171]
	v_add_f64 v[30:31], v[30:31], -v[40:41]
	v_fma_f64 v[166:167], v[168:169], v[38:39], v[166:167]
	v_add_f64 v[32:33], v[32:33], -v[166:167]
	ds_read2_b64 v[166:169], v254 offset0:36 offset1:37
	;; [unrolled: 8-line block ×8, first 2 shown]
	s_waitcnt lgkmcnt(0)
	v_mul_f64 v[40:41], v[168:169], v[170:171]
	v_fma_f64 v[40:41], v[166:167], v[38:39], -v[40:41]
	v_mul_f64 v[166:167], v[166:167], v[170:171]
	v_add_f64 v[2:3], v[2:3], -v[40:41]
	v_fma_f64 v[166:167], v[168:169], v[38:39], v[166:167]
	v_mov_b32_e32 v40, v170
	v_mov_b32_e32 v41, v171
	v_add_f64 v[4:5], v[4:5], -v[166:167]
.LBB49_145:
	s_or_b32 exec_lo, exec_lo, s1
	s_mov_b32 s2, exec_lo
	s_waitcnt lgkmcnt(0)
	s_barrier
	buffer_gl0_inv
	v_cmpx_eq_u32_e32 16, v0
	s_cbranch_execz .LBB49_152
; %bb.146:
	ds_write2_b64 v1, v[34:35], v[36:37] offset1:1
	ds_write2_b64 v254, v[30:31], v[32:33] offset0:34 offset1:35
	ds_write2_b64 v254, v[26:27], v[28:29] offset0:36 offset1:37
	;; [unrolled: 1-line block ×8, first 2 shown]
	ds_read2_b64 v[166:169], v1 offset1:1
	s_waitcnt lgkmcnt(0)
	v_cmp_neq_f64_e32 vcc_lo, 0, v[166:167]
	v_cmp_neq_f64_e64 s1, 0, v[168:169]
	s_or_b32 s1, vcc_lo, s1
	s_and_b32 exec_lo, exec_lo, s1
	s_cbranch_execz .LBB49_152
; %bb.147:
	v_cmp_ngt_f64_e64 s1, |v[166:167]|, |v[168:169]|
                                        ; implicit-def: $vgpr170_vgpr171
	s_and_saveexec_b32 s3, s1
	s_xor_b32 s1, exec_lo, s3
                                        ; implicit-def: $vgpr172_vgpr173
	s_cbranch_execz .LBB49_149
; %bb.148:
	v_div_scale_f64 v[170:171], null, v[168:169], v[168:169], v[166:167]
	v_div_scale_f64 v[176:177], vcc_lo, v[166:167], v[168:169], v[166:167]
	v_rcp_f64_e32 v[172:173], v[170:171]
	v_fma_f64 v[174:175], -v[170:171], v[172:173], 1.0
	v_fma_f64 v[172:173], v[172:173], v[174:175], v[172:173]
	v_fma_f64 v[174:175], -v[170:171], v[172:173], 1.0
	v_fma_f64 v[172:173], v[172:173], v[174:175], v[172:173]
	v_mul_f64 v[174:175], v[176:177], v[172:173]
	v_fma_f64 v[170:171], -v[170:171], v[174:175], v[176:177]
	v_div_fmas_f64 v[170:171], v[170:171], v[172:173], v[174:175]
	v_div_fixup_f64 v[170:171], v[170:171], v[168:169], v[166:167]
	v_fma_f64 v[166:167], v[166:167], v[170:171], v[168:169]
	v_div_scale_f64 v[168:169], null, v[166:167], v[166:167], 1.0
	v_rcp_f64_e32 v[172:173], v[168:169]
	v_fma_f64 v[174:175], -v[168:169], v[172:173], 1.0
	v_fma_f64 v[172:173], v[172:173], v[174:175], v[172:173]
	v_fma_f64 v[174:175], -v[168:169], v[172:173], 1.0
	v_fma_f64 v[172:173], v[172:173], v[174:175], v[172:173]
	v_div_scale_f64 v[174:175], vcc_lo, 1.0, v[166:167], 1.0
	v_mul_f64 v[176:177], v[174:175], v[172:173]
	v_fma_f64 v[168:169], -v[168:169], v[176:177], v[174:175]
	v_div_fmas_f64 v[168:169], v[168:169], v[172:173], v[176:177]
	v_div_fixup_f64 v[172:173], v[168:169], v[166:167], 1.0
                                        ; implicit-def: $vgpr166_vgpr167
	v_mul_f64 v[170:171], v[170:171], v[172:173]
	v_xor_b32_e32 v173, 0x80000000, v173
.LBB49_149:
	s_andn2_saveexec_b32 s1, s1
	s_cbranch_execz .LBB49_151
; %bb.150:
	v_div_scale_f64 v[170:171], null, v[166:167], v[166:167], v[168:169]
	v_div_scale_f64 v[176:177], vcc_lo, v[168:169], v[166:167], v[168:169]
	v_rcp_f64_e32 v[172:173], v[170:171]
	v_fma_f64 v[174:175], -v[170:171], v[172:173], 1.0
	v_fma_f64 v[172:173], v[172:173], v[174:175], v[172:173]
	v_fma_f64 v[174:175], -v[170:171], v[172:173], 1.0
	v_fma_f64 v[172:173], v[172:173], v[174:175], v[172:173]
	v_mul_f64 v[174:175], v[176:177], v[172:173]
	v_fma_f64 v[170:171], -v[170:171], v[174:175], v[176:177]
	v_div_fmas_f64 v[170:171], v[170:171], v[172:173], v[174:175]
	v_div_fixup_f64 v[172:173], v[170:171], v[166:167], v[168:169]
	v_fma_f64 v[166:167], v[168:169], v[172:173], v[166:167]
	v_div_scale_f64 v[168:169], null, v[166:167], v[166:167], 1.0
	v_rcp_f64_e32 v[170:171], v[168:169]
	v_fma_f64 v[174:175], -v[168:169], v[170:171], 1.0
	v_fma_f64 v[170:171], v[170:171], v[174:175], v[170:171]
	v_fma_f64 v[174:175], -v[168:169], v[170:171], 1.0
	v_fma_f64 v[170:171], v[170:171], v[174:175], v[170:171]
	v_div_scale_f64 v[174:175], vcc_lo, 1.0, v[166:167], 1.0
	v_mul_f64 v[176:177], v[174:175], v[170:171]
	v_fma_f64 v[168:169], -v[168:169], v[176:177], v[174:175]
	v_div_fmas_f64 v[168:169], v[168:169], v[170:171], v[176:177]
	v_div_fixup_f64 v[170:171], v[168:169], v[166:167], 1.0
	v_mul_f64 v[172:173], v[172:173], -v[170:171]
.LBB49_151:
	s_or_b32 exec_lo, exec_lo, s1
	ds_write2_b64 v1, v[170:171], v[172:173] offset1:1
.LBB49_152:
	s_or_b32 exec_lo, exec_lo, s2
	s_waitcnt lgkmcnt(0)
	s_barrier
	buffer_gl0_inv
	ds_read2_b64 v[166:169], v1 offset1:1
	s_mov_b32 s1, exec_lo
	v_cmpx_lt_u32_e32 16, v0
	s_cbranch_execz .LBB49_154
; %bb.153:
	s_waitcnt lgkmcnt(0)
	v_mul_f64 v[170:171], v[166:167], v[36:37]
	v_mul_f64 v[36:37], v[168:169], v[36:37]
	v_fma_f64 v[174:175], v[168:169], v[34:35], v[170:171]
	ds_read2_b64 v[170:173], v254 offset0:34 offset1:35
	v_fma_f64 v[34:35], v[166:167], v[34:35], -v[36:37]
	s_waitcnt lgkmcnt(0)
	v_mul_f64 v[36:37], v[172:173], v[174:175]
	v_fma_f64 v[36:37], v[170:171], v[34:35], -v[36:37]
	v_mul_f64 v[170:171], v[170:171], v[174:175]
	v_add_f64 v[30:31], v[30:31], -v[36:37]
	v_fma_f64 v[170:171], v[172:173], v[34:35], v[170:171]
	v_add_f64 v[32:33], v[32:33], -v[170:171]
	ds_read2_b64 v[170:173], v254 offset0:36 offset1:37
	s_waitcnt lgkmcnt(0)
	v_mul_f64 v[36:37], v[172:173], v[174:175]
	v_fma_f64 v[36:37], v[170:171], v[34:35], -v[36:37]
	v_mul_f64 v[170:171], v[170:171], v[174:175]
	v_add_f64 v[26:27], v[26:27], -v[36:37]
	v_fma_f64 v[170:171], v[172:173], v[34:35], v[170:171]
	v_add_f64 v[28:29], v[28:29], -v[170:171]
	ds_read2_b64 v[170:173], v254 offset0:38 offset1:39
	;; [unrolled: 8-line block ×7, first 2 shown]
	s_waitcnt lgkmcnt(0)
	v_mul_f64 v[36:37], v[172:173], v[174:175]
	v_fma_f64 v[36:37], v[170:171], v[34:35], -v[36:37]
	v_mul_f64 v[170:171], v[170:171], v[174:175]
	v_add_f64 v[2:3], v[2:3], -v[36:37]
	v_fma_f64 v[170:171], v[172:173], v[34:35], v[170:171]
	v_mov_b32_e32 v36, v174
	v_mov_b32_e32 v37, v175
	v_add_f64 v[4:5], v[4:5], -v[170:171]
.LBB49_154:
	s_or_b32 exec_lo, exec_lo, s1
	s_mov_b32 s2, exec_lo
	s_waitcnt lgkmcnt(0)
	s_barrier
	buffer_gl0_inv
	v_cmpx_eq_u32_e32 17, v0
	s_cbranch_execz .LBB49_161
; %bb.155:
	ds_write2_b64 v1, v[30:31], v[32:33] offset1:1
	ds_write2_b64 v254, v[26:27], v[28:29] offset0:36 offset1:37
	ds_write2_b64 v254, v[22:23], v[24:25] offset0:38 offset1:39
	;; [unrolled: 1-line block ×7, first 2 shown]
	ds_read2_b64 v[170:173], v1 offset1:1
	s_waitcnt lgkmcnt(0)
	v_cmp_neq_f64_e32 vcc_lo, 0, v[170:171]
	v_cmp_neq_f64_e64 s1, 0, v[172:173]
	s_or_b32 s1, vcc_lo, s1
	s_and_b32 exec_lo, exec_lo, s1
	s_cbranch_execz .LBB49_161
; %bb.156:
	v_cmp_ngt_f64_e64 s1, |v[170:171]|, |v[172:173]|
                                        ; implicit-def: $vgpr174_vgpr175
	s_and_saveexec_b32 s3, s1
	s_xor_b32 s1, exec_lo, s3
                                        ; implicit-def: $vgpr176_vgpr177
	s_cbranch_execz .LBB49_158
; %bb.157:
	v_div_scale_f64 v[174:175], null, v[172:173], v[172:173], v[170:171]
	v_div_scale_f64 v[180:181], vcc_lo, v[170:171], v[172:173], v[170:171]
	v_rcp_f64_e32 v[176:177], v[174:175]
	v_fma_f64 v[178:179], -v[174:175], v[176:177], 1.0
	v_fma_f64 v[176:177], v[176:177], v[178:179], v[176:177]
	v_fma_f64 v[178:179], -v[174:175], v[176:177], 1.0
	v_fma_f64 v[176:177], v[176:177], v[178:179], v[176:177]
	v_mul_f64 v[178:179], v[180:181], v[176:177]
	v_fma_f64 v[174:175], -v[174:175], v[178:179], v[180:181]
	v_div_fmas_f64 v[174:175], v[174:175], v[176:177], v[178:179]
	v_div_fixup_f64 v[174:175], v[174:175], v[172:173], v[170:171]
	v_fma_f64 v[170:171], v[170:171], v[174:175], v[172:173]
	v_div_scale_f64 v[172:173], null, v[170:171], v[170:171], 1.0
	v_rcp_f64_e32 v[176:177], v[172:173]
	v_fma_f64 v[178:179], -v[172:173], v[176:177], 1.0
	v_fma_f64 v[176:177], v[176:177], v[178:179], v[176:177]
	v_fma_f64 v[178:179], -v[172:173], v[176:177], 1.0
	v_fma_f64 v[176:177], v[176:177], v[178:179], v[176:177]
	v_div_scale_f64 v[178:179], vcc_lo, 1.0, v[170:171], 1.0
	v_mul_f64 v[180:181], v[178:179], v[176:177]
	v_fma_f64 v[172:173], -v[172:173], v[180:181], v[178:179]
	v_div_fmas_f64 v[172:173], v[172:173], v[176:177], v[180:181]
	v_div_fixup_f64 v[176:177], v[172:173], v[170:171], 1.0
                                        ; implicit-def: $vgpr170_vgpr171
	v_mul_f64 v[174:175], v[174:175], v[176:177]
	v_xor_b32_e32 v177, 0x80000000, v177
.LBB49_158:
	s_andn2_saveexec_b32 s1, s1
	s_cbranch_execz .LBB49_160
; %bb.159:
	v_div_scale_f64 v[174:175], null, v[170:171], v[170:171], v[172:173]
	v_div_scale_f64 v[180:181], vcc_lo, v[172:173], v[170:171], v[172:173]
	v_rcp_f64_e32 v[176:177], v[174:175]
	v_fma_f64 v[178:179], -v[174:175], v[176:177], 1.0
	v_fma_f64 v[176:177], v[176:177], v[178:179], v[176:177]
	v_fma_f64 v[178:179], -v[174:175], v[176:177], 1.0
	v_fma_f64 v[176:177], v[176:177], v[178:179], v[176:177]
	v_mul_f64 v[178:179], v[180:181], v[176:177]
	v_fma_f64 v[174:175], -v[174:175], v[178:179], v[180:181]
	v_div_fmas_f64 v[174:175], v[174:175], v[176:177], v[178:179]
	v_div_fixup_f64 v[176:177], v[174:175], v[170:171], v[172:173]
	v_fma_f64 v[170:171], v[172:173], v[176:177], v[170:171]
	v_div_scale_f64 v[172:173], null, v[170:171], v[170:171], 1.0
	v_rcp_f64_e32 v[174:175], v[172:173]
	v_fma_f64 v[178:179], -v[172:173], v[174:175], 1.0
	v_fma_f64 v[174:175], v[174:175], v[178:179], v[174:175]
	v_fma_f64 v[178:179], -v[172:173], v[174:175], 1.0
	v_fma_f64 v[174:175], v[174:175], v[178:179], v[174:175]
	v_div_scale_f64 v[178:179], vcc_lo, 1.0, v[170:171], 1.0
	v_mul_f64 v[180:181], v[178:179], v[174:175]
	v_fma_f64 v[172:173], -v[172:173], v[180:181], v[178:179]
	v_div_fmas_f64 v[172:173], v[172:173], v[174:175], v[180:181]
	v_div_fixup_f64 v[174:175], v[172:173], v[170:171], 1.0
	v_mul_f64 v[176:177], v[176:177], -v[174:175]
.LBB49_160:
	s_or_b32 exec_lo, exec_lo, s1
	ds_write2_b64 v1, v[174:175], v[176:177] offset1:1
.LBB49_161:
	s_or_b32 exec_lo, exec_lo, s2
	s_waitcnt lgkmcnt(0)
	s_barrier
	buffer_gl0_inv
	ds_read2_b64 v[170:173], v1 offset1:1
	s_mov_b32 s1, exec_lo
	v_cmpx_lt_u32_e32 17, v0
	s_cbranch_execz .LBB49_163
; %bb.162:
	s_waitcnt lgkmcnt(0)
	v_mul_f64 v[174:175], v[170:171], v[32:33]
	v_mul_f64 v[32:33], v[172:173], v[32:33]
	v_fma_f64 v[178:179], v[172:173], v[30:31], v[174:175]
	ds_read2_b64 v[174:177], v254 offset0:36 offset1:37
	v_fma_f64 v[30:31], v[170:171], v[30:31], -v[32:33]
	s_waitcnt lgkmcnt(0)
	v_mul_f64 v[32:33], v[176:177], v[178:179]
	v_fma_f64 v[32:33], v[174:175], v[30:31], -v[32:33]
	v_mul_f64 v[174:175], v[174:175], v[178:179]
	v_add_f64 v[26:27], v[26:27], -v[32:33]
	v_fma_f64 v[174:175], v[176:177], v[30:31], v[174:175]
	v_add_f64 v[28:29], v[28:29], -v[174:175]
	ds_read2_b64 v[174:177], v254 offset0:38 offset1:39
	s_waitcnt lgkmcnt(0)
	v_mul_f64 v[32:33], v[176:177], v[178:179]
	v_fma_f64 v[32:33], v[174:175], v[30:31], -v[32:33]
	v_mul_f64 v[174:175], v[174:175], v[178:179]
	v_add_f64 v[22:23], v[22:23], -v[32:33]
	v_fma_f64 v[174:175], v[176:177], v[30:31], v[174:175]
	v_add_f64 v[24:25], v[24:25], -v[174:175]
	ds_read2_b64 v[174:177], v254 offset0:40 offset1:41
	;; [unrolled: 8-line block ×6, first 2 shown]
	s_waitcnt lgkmcnt(0)
	v_mul_f64 v[32:33], v[176:177], v[178:179]
	v_fma_f64 v[32:33], v[174:175], v[30:31], -v[32:33]
	v_mul_f64 v[174:175], v[174:175], v[178:179]
	v_add_f64 v[2:3], v[2:3], -v[32:33]
	v_fma_f64 v[174:175], v[176:177], v[30:31], v[174:175]
	v_mov_b32_e32 v32, v178
	v_mov_b32_e32 v33, v179
	v_add_f64 v[4:5], v[4:5], -v[174:175]
.LBB49_163:
	s_or_b32 exec_lo, exec_lo, s1
	s_mov_b32 s2, exec_lo
	s_waitcnt lgkmcnt(0)
	s_barrier
	buffer_gl0_inv
	v_cmpx_eq_u32_e32 18, v0
	s_cbranch_execz .LBB49_170
; %bb.164:
	ds_write2_b64 v1, v[26:27], v[28:29] offset1:1
	ds_write2_b64 v254, v[22:23], v[24:25] offset0:38 offset1:39
	ds_write2_b64 v254, v[18:19], v[20:21] offset0:40 offset1:41
	;; [unrolled: 1-line block ×6, first 2 shown]
	ds_read2_b64 v[174:177], v1 offset1:1
	s_waitcnt lgkmcnt(0)
	v_cmp_neq_f64_e32 vcc_lo, 0, v[174:175]
	v_cmp_neq_f64_e64 s1, 0, v[176:177]
	s_or_b32 s1, vcc_lo, s1
	s_and_b32 exec_lo, exec_lo, s1
	s_cbranch_execz .LBB49_170
; %bb.165:
	v_cmp_ngt_f64_e64 s1, |v[174:175]|, |v[176:177]|
                                        ; implicit-def: $vgpr178_vgpr179
	s_and_saveexec_b32 s3, s1
	s_xor_b32 s1, exec_lo, s3
                                        ; implicit-def: $vgpr180_vgpr181
	s_cbranch_execz .LBB49_167
; %bb.166:
	v_div_scale_f64 v[178:179], null, v[176:177], v[176:177], v[174:175]
	v_div_scale_f64 v[184:185], vcc_lo, v[174:175], v[176:177], v[174:175]
	v_rcp_f64_e32 v[180:181], v[178:179]
	v_fma_f64 v[182:183], -v[178:179], v[180:181], 1.0
	v_fma_f64 v[180:181], v[180:181], v[182:183], v[180:181]
	v_fma_f64 v[182:183], -v[178:179], v[180:181], 1.0
	v_fma_f64 v[180:181], v[180:181], v[182:183], v[180:181]
	v_mul_f64 v[182:183], v[184:185], v[180:181]
	v_fma_f64 v[178:179], -v[178:179], v[182:183], v[184:185]
	v_div_fmas_f64 v[178:179], v[178:179], v[180:181], v[182:183]
	v_div_fixup_f64 v[178:179], v[178:179], v[176:177], v[174:175]
	v_fma_f64 v[174:175], v[174:175], v[178:179], v[176:177]
	v_div_scale_f64 v[176:177], null, v[174:175], v[174:175], 1.0
	v_rcp_f64_e32 v[180:181], v[176:177]
	v_fma_f64 v[182:183], -v[176:177], v[180:181], 1.0
	v_fma_f64 v[180:181], v[180:181], v[182:183], v[180:181]
	v_fma_f64 v[182:183], -v[176:177], v[180:181], 1.0
	v_fma_f64 v[180:181], v[180:181], v[182:183], v[180:181]
	v_div_scale_f64 v[182:183], vcc_lo, 1.0, v[174:175], 1.0
	v_mul_f64 v[184:185], v[182:183], v[180:181]
	v_fma_f64 v[176:177], -v[176:177], v[184:185], v[182:183]
	v_div_fmas_f64 v[176:177], v[176:177], v[180:181], v[184:185]
	v_div_fixup_f64 v[180:181], v[176:177], v[174:175], 1.0
                                        ; implicit-def: $vgpr174_vgpr175
	v_mul_f64 v[178:179], v[178:179], v[180:181]
	v_xor_b32_e32 v181, 0x80000000, v181
.LBB49_167:
	s_andn2_saveexec_b32 s1, s1
	s_cbranch_execz .LBB49_169
; %bb.168:
	v_div_scale_f64 v[178:179], null, v[174:175], v[174:175], v[176:177]
	v_div_scale_f64 v[184:185], vcc_lo, v[176:177], v[174:175], v[176:177]
	v_rcp_f64_e32 v[180:181], v[178:179]
	v_fma_f64 v[182:183], -v[178:179], v[180:181], 1.0
	v_fma_f64 v[180:181], v[180:181], v[182:183], v[180:181]
	v_fma_f64 v[182:183], -v[178:179], v[180:181], 1.0
	v_fma_f64 v[180:181], v[180:181], v[182:183], v[180:181]
	v_mul_f64 v[182:183], v[184:185], v[180:181]
	v_fma_f64 v[178:179], -v[178:179], v[182:183], v[184:185]
	v_div_fmas_f64 v[178:179], v[178:179], v[180:181], v[182:183]
	v_div_fixup_f64 v[180:181], v[178:179], v[174:175], v[176:177]
	v_fma_f64 v[174:175], v[176:177], v[180:181], v[174:175]
	v_div_scale_f64 v[176:177], null, v[174:175], v[174:175], 1.0
	v_rcp_f64_e32 v[178:179], v[176:177]
	v_fma_f64 v[182:183], -v[176:177], v[178:179], 1.0
	v_fma_f64 v[178:179], v[178:179], v[182:183], v[178:179]
	v_fma_f64 v[182:183], -v[176:177], v[178:179], 1.0
	v_fma_f64 v[178:179], v[178:179], v[182:183], v[178:179]
	v_div_scale_f64 v[182:183], vcc_lo, 1.0, v[174:175], 1.0
	v_mul_f64 v[184:185], v[182:183], v[178:179]
	v_fma_f64 v[176:177], -v[176:177], v[184:185], v[182:183]
	v_div_fmas_f64 v[176:177], v[176:177], v[178:179], v[184:185]
	v_div_fixup_f64 v[178:179], v[176:177], v[174:175], 1.0
	v_mul_f64 v[180:181], v[180:181], -v[178:179]
.LBB49_169:
	s_or_b32 exec_lo, exec_lo, s1
	ds_write2_b64 v1, v[178:179], v[180:181] offset1:1
.LBB49_170:
	s_or_b32 exec_lo, exec_lo, s2
	s_waitcnt lgkmcnt(0)
	s_barrier
	buffer_gl0_inv
	ds_read2_b64 v[174:177], v1 offset1:1
	s_mov_b32 s1, exec_lo
	v_cmpx_lt_u32_e32 18, v0
	s_cbranch_execz .LBB49_172
; %bb.171:
	s_waitcnt lgkmcnt(0)
	v_mul_f64 v[178:179], v[174:175], v[28:29]
	v_mul_f64 v[28:29], v[176:177], v[28:29]
	v_fma_f64 v[182:183], v[176:177], v[26:27], v[178:179]
	ds_read2_b64 v[178:181], v254 offset0:38 offset1:39
	v_fma_f64 v[26:27], v[174:175], v[26:27], -v[28:29]
	s_waitcnt lgkmcnt(0)
	v_mul_f64 v[28:29], v[180:181], v[182:183]
	v_fma_f64 v[28:29], v[178:179], v[26:27], -v[28:29]
	v_mul_f64 v[178:179], v[178:179], v[182:183]
	v_add_f64 v[22:23], v[22:23], -v[28:29]
	v_fma_f64 v[178:179], v[180:181], v[26:27], v[178:179]
	v_add_f64 v[24:25], v[24:25], -v[178:179]
	ds_read2_b64 v[178:181], v254 offset0:40 offset1:41
	s_waitcnt lgkmcnt(0)
	v_mul_f64 v[28:29], v[180:181], v[182:183]
	v_fma_f64 v[28:29], v[178:179], v[26:27], -v[28:29]
	v_mul_f64 v[178:179], v[178:179], v[182:183]
	v_add_f64 v[18:19], v[18:19], -v[28:29]
	v_fma_f64 v[178:179], v[180:181], v[26:27], v[178:179]
	v_add_f64 v[20:21], v[20:21], -v[178:179]
	ds_read2_b64 v[178:181], v254 offset0:42 offset1:43
	s_waitcnt lgkmcnt(0)
	v_mul_f64 v[28:29], v[180:181], v[182:183]
	v_fma_f64 v[28:29], v[178:179], v[26:27], -v[28:29]
	v_mul_f64 v[178:179], v[178:179], v[182:183]
	v_add_f64 v[14:15], v[14:15], -v[28:29]
	v_fma_f64 v[178:179], v[180:181], v[26:27], v[178:179]
	v_add_f64 v[16:17], v[16:17], -v[178:179]
	ds_read2_b64 v[178:181], v254 offset0:44 offset1:45
	s_waitcnt lgkmcnt(0)
	v_mul_f64 v[28:29], v[180:181], v[182:183]
	v_fma_f64 v[28:29], v[178:179], v[26:27], -v[28:29]
	v_mul_f64 v[178:179], v[178:179], v[182:183]
	v_add_f64 v[10:11], v[10:11], -v[28:29]
	v_fma_f64 v[178:179], v[180:181], v[26:27], v[178:179]
	v_add_f64 v[12:13], v[12:13], -v[178:179]
	ds_read2_b64 v[178:181], v254 offset0:46 offset1:47
	s_waitcnt lgkmcnt(0)
	v_mul_f64 v[28:29], v[180:181], v[182:183]
	v_fma_f64 v[28:29], v[178:179], v[26:27], -v[28:29]
	v_mul_f64 v[178:179], v[178:179], v[182:183]
	v_add_f64 v[6:7], v[6:7], -v[28:29]
	v_fma_f64 v[178:179], v[180:181], v[26:27], v[178:179]
	v_add_f64 v[8:9], v[8:9], -v[178:179]
	ds_read2_b64 v[178:181], v254 offset0:48 offset1:49
	s_waitcnt lgkmcnt(0)
	v_mul_f64 v[28:29], v[180:181], v[182:183]
	v_fma_f64 v[28:29], v[178:179], v[26:27], -v[28:29]
	v_mul_f64 v[178:179], v[178:179], v[182:183]
	v_add_f64 v[2:3], v[2:3], -v[28:29]
	v_fma_f64 v[178:179], v[180:181], v[26:27], v[178:179]
	v_mov_b32_e32 v28, v182
	v_mov_b32_e32 v29, v183
	v_add_f64 v[4:5], v[4:5], -v[178:179]
.LBB49_172:
	s_or_b32 exec_lo, exec_lo, s1
	s_mov_b32 s2, exec_lo
	s_waitcnt lgkmcnt(0)
	s_barrier
	buffer_gl0_inv
	v_cmpx_eq_u32_e32 19, v0
	s_cbranch_execz .LBB49_179
; %bb.173:
	ds_write2_b64 v1, v[22:23], v[24:25] offset1:1
	ds_write2_b64 v254, v[18:19], v[20:21] offset0:40 offset1:41
	ds_write2_b64 v254, v[14:15], v[16:17] offset0:42 offset1:43
	;; [unrolled: 1-line block ×5, first 2 shown]
	ds_read2_b64 v[178:181], v1 offset1:1
	s_waitcnt lgkmcnt(0)
	v_cmp_neq_f64_e32 vcc_lo, 0, v[178:179]
	v_cmp_neq_f64_e64 s1, 0, v[180:181]
	s_or_b32 s1, vcc_lo, s1
	s_and_b32 exec_lo, exec_lo, s1
	s_cbranch_execz .LBB49_179
; %bb.174:
	v_cmp_ngt_f64_e64 s1, |v[178:179]|, |v[180:181]|
                                        ; implicit-def: $vgpr182_vgpr183
	s_and_saveexec_b32 s3, s1
	s_xor_b32 s1, exec_lo, s3
                                        ; implicit-def: $vgpr184_vgpr185
	s_cbranch_execz .LBB49_176
; %bb.175:
	v_div_scale_f64 v[182:183], null, v[180:181], v[180:181], v[178:179]
	v_div_scale_f64 v[188:189], vcc_lo, v[178:179], v[180:181], v[178:179]
	v_rcp_f64_e32 v[184:185], v[182:183]
	v_fma_f64 v[186:187], -v[182:183], v[184:185], 1.0
	v_fma_f64 v[184:185], v[184:185], v[186:187], v[184:185]
	v_fma_f64 v[186:187], -v[182:183], v[184:185], 1.0
	v_fma_f64 v[184:185], v[184:185], v[186:187], v[184:185]
	v_mul_f64 v[186:187], v[188:189], v[184:185]
	v_fma_f64 v[182:183], -v[182:183], v[186:187], v[188:189]
	v_div_fmas_f64 v[182:183], v[182:183], v[184:185], v[186:187]
	v_div_fixup_f64 v[182:183], v[182:183], v[180:181], v[178:179]
	v_fma_f64 v[178:179], v[178:179], v[182:183], v[180:181]
	v_div_scale_f64 v[180:181], null, v[178:179], v[178:179], 1.0
	v_rcp_f64_e32 v[184:185], v[180:181]
	v_fma_f64 v[186:187], -v[180:181], v[184:185], 1.0
	v_fma_f64 v[184:185], v[184:185], v[186:187], v[184:185]
	v_fma_f64 v[186:187], -v[180:181], v[184:185], 1.0
	v_fma_f64 v[184:185], v[184:185], v[186:187], v[184:185]
	v_div_scale_f64 v[186:187], vcc_lo, 1.0, v[178:179], 1.0
	v_mul_f64 v[188:189], v[186:187], v[184:185]
	v_fma_f64 v[180:181], -v[180:181], v[188:189], v[186:187]
	v_div_fmas_f64 v[180:181], v[180:181], v[184:185], v[188:189]
	v_div_fixup_f64 v[184:185], v[180:181], v[178:179], 1.0
                                        ; implicit-def: $vgpr178_vgpr179
	v_mul_f64 v[182:183], v[182:183], v[184:185]
	v_xor_b32_e32 v185, 0x80000000, v185
.LBB49_176:
	s_andn2_saveexec_b32 s1, s1
	s_cbranch_execz .LBB49_178
; %bb.177:
	v_div_scale_f64 v[182:183], null, v[178:179], v[178:179], v[180:181]
	v_div_scale_f64 v[188:189], vcc_lo, v[180:181], v[178:179], v[180:181]
	v_rcp_f64_e32 v[184:185], v[182:183]
	v_fma_f64 v[186:187], -v[182:183], v[184:185], 1.0
	v_fma_f64 v[184:185], v[184:185], v[186:187], v[184:185]
	v_fma_f64 v[186:187], -v[182:183], v[184:185], 1.0
	v_fma_f64 v[184:185], v[184:185], v[186:187], v[184:185]
	v_mul_f64 v[186:187], v[188:189], v[184:185]
	v_fma_f64 v[182:183], -v[182:183], v[186:187], v[188:189]
	v_div_fmas_f64 v[182:183], v[182:183], v[184:185], v[186:187]
	v_div_fixup_f64 v[184:185], v[182:183], v[178:179], v[180:181]
	v_fma_f64 v[178:179], v[180:181], v[184:185], v[178:179]
	v_div_scale_f64 v[180:181], null, v[178:179], v[178:179], 1.0
	v_rcp_f64_e32 v[182:183], v[180:181]
	v_fma_f64 v[186:187], -v[180:181], v[182:183], 1.0
	v_fma_f64 v[182:183], v[182:183], v[186:187], v[182:183]
	v_fma_f64 v[186:187], -v[180:181], v[182:183], 1.0
	v_fma_f64 v[182:183], v[182:183], v[186:187], v[182:183]
	v_div_scale_f64 v[186:187], vcc_lo, 1.0, v[178:179], 1.0
	v_mul_f64 v[188:189], v[186:187], v[182:183]
	v_fma_f64 v[180:181], -v[180:181], v[188:189], v[186:187]
	v_div_fmas_f64 v[180:181], v[180:181], v[182:183], v[188:189]
	v_div_fixup_f64 v[182:183], v[180:181], v[178:179], 1.0
	v_mul_f64 v[184:185], v[184:185], -v[182:183]
.LBB49_178:
	s_or_b32 exec_lo, exec_lo, s1
	ds_write2_b64 v1, v[182:183], v[184:185] offset1:1
.LBB49_179:
	s_or_b32 exec_lo, exec_lo, s2
	s_waitcnt lgkmcnt(0)
	s_barrier
	buffer_gl0_inv
	ds_read2_b64 v[178:181], v1 offset1:1
	s_mov_b32 s1, exec_lo
	v_cmpx_lt_u32_e32 19, v0
	s_cbranch_execz .LBB49_181
; %bb.180:
	s_waitcnt lgkmcnt(0)
	v_mul_f64 v[182:183], v[178:179], v[24:25]
	v_mul_f64 v[24:25], v[180:181], v[24:25]
	v_fma_f64 v[186:187], v[180:181], v[22:23], v[182:183]
	ds_read2_b64 v[182:185], v254 offset0:40 offset1:41
	v_fma_f64 v[22:23], v[178:179], v[22:23], -v[24:25]
	s_waitcnt lgkmcnt(0)
	v_mul_f64 v[24:25], v[184:185], v[186:187]
	v_fma_f64 v[24:25], v[182:183], v[22:23], -v[24:25]
	v_mul_f64 v[182:183], v[182:183], v[186:187]
	v_add_f64 v[18:19], v[18:19], -v[24:25]
	v_fma_f64 v[182:183], v[184:185], v[22:23], v[182:183]
	v_add_f64 v[20:21], v[20:21], -v[182:183]
	ds_read2_b64 v[182:185], v254 offset0:42 offset1:43
	s_waitcnt lgkmcnt(0)
	v_mul_f64 v[24:25], v[184:185], v[186:187]
	v_fma_f64 v[24:25], v[182:183], v[22:23], -v[24:25]
	v_mul_f64 v[182:183], v[182:183], v[186:187]
	v_add_f64 v[14:15], v[14:15], -v[24:25]
	v_fma_f64 v[182:183], v[184:185], v[22:23], v[182:183]
	v_add_f64 v[16:17], v[16:17], -v[182:183]
	ds_read2_b64 v[182:185], v254 offset0:44 offset1:45
	;; [unrolled: 8-line block ×4, first 2 shown]
	s_waitcnt lgkmcnt(0)
	v_mul_f64 v[24:25], v[184:185], v[186:187]
	v_fma_f64 v[24:25], v[182:183], v[22:23], -v[24:25]
	v_mul_f64 v[182:183], v[182:183], v[186:187]
	v_add_f64 v[2:3], v[2:3], -v[24:25]
	v_fma_f64 v[182:183], v[184:185], v[22:23], v[182:183]
	v_mov_b32_e32 v24, v186
	v_mov_b32_e32 v25, v187
	v_add_f64 v[4:5], v[4:5], -v[182:183]
.LBB49_181:
	s_or_b32 exec_lo, exec_lo, s1
	s_mov_b32 s2, exec_lo
	s_waitcnt lgkmcnt(0)
	s_barrier
	buffer_gl0_inv
	v_cmpx_eq_u32_e32 20, v0
	s_cbranch_execz .LBB49_188
; %bb.182:
	ds_write2_b64 v1, v[18:19], v[20:21] offset1:1
	ds_write2_b64 v254, v[14:15], v[16:17] offset0:42 offset1:43
	ds_write2_b64 v254, v[10:11], v[12:13] offset0:44 offset1:45
	;; [unrolled: 1-line block ×4, first 2 shown]
	ds_read2_b64 v[182:185], v1 offset1:1
	s_waitcnt lgkmcnt(0)
	v_cmp_neq_f64_e32 vcc_lo, 0, v[182:183]
	v_cmp_neq_f64_e64 s1, 0, v[184:185]
	s_or_b32 s1, vcc_lo, s1
	s_and_b32 exec_lo, exec_lo, s1
	s_cbranch_execz .LBB49_188
; %bb.183:
	v_cmp_ngt_f64_e64 s1, |v[182:183]|, |v[184:185]|
                                        ; implicit-def: $vgpr186_vgpr187
	s_and_saveexec_b32 s3, s1
	s_xor_b32 s1, exec_lo, s3
                                        ; implicit-def: $vgpr188_vgpr189
	s_cbranch_execz .LBB49_185
; %bb.184:
	v_div_scale_f64 v[186:187], null, v[184:185], v[184:185], v[182:183]
	v_div_scale_f64 v[192:193], vcc_lo, v[182:183], v[184:185], v[182:183]
	v_rcp_f64_e32 v[188:189], v[186:187]
	v_fma_f64 v[190:191], -v[186:187], v[188:189], 1.0
	v_fma_f64 v[188:189], v[188:189], v[190:191], v[188:189]
	v_fma_f64 v[190:191], -v[186:187], v[188:189], 1.0
	v_fma_f64 v[188:189], v[188:189], v[190:191], v[188:189]
	v_mul_f64 v[190:191], v[192:193], v[188:189]
	v_fma_f64 v[186:187], -v[186:187], v[190:191], v[192:193]
	v_div_fmas_f64 v[186:187], v[186:187], v[188:189], v[190:191]
	v_div_fixup_f64 v[186:187], v[186:187], v[184:185], v[182:183]
	v_fma_f64 v[182:183], v[182:183], v[186:187], v[184:185]
	v_div_scale_f64 v[184:185], null, v[182:183], v[182:183], 1.0
	v_rcp_f64_e32 v[188:189], v[184:185]
	v_fma_f64 v[190:191], -v[184:185], v[188:189], 1.0
	v_fma_f64 v[188:189], v[188:189], v[190:191], v[188:189]
	v_fma_f64 v[190:191], -v[184:185], v[188:189], 1.0
	v_fma_f64 v[188:189], v[188:189], v[190:191], v[188:189]
	v_div_scale_f64 v[190:191], vcc_lo, 1.0, v[182:183], 1.0
	v_mul_f64 v[192:193], v[190:191], v[188:189]
	v_fma_f64 v[184:185], -v[184:185], v[192:193], v[190:191]
	v_div_fmas_f64 v[184:185], v[184:185], v[188:189], v[192:193]
	v_div_fixup_f64 v[188:189], v[184:185], v[182:183], 1.0
                                        ; implicit-def: $vgpr182_vgpr183
	v_mul_f64 v[186:187], v[186:187], v[188:189]
	v_xor_b32_e32 v189, 0x80000000, v189
.LBB49_185:
	s_andn2_saveexec_b32 s1, s1
	s_cbranch_execz .LBB49_187
; %bb.186:
	v_div_scale_f64 v[186:187], null, v[182:183], v[182:183], v[184:185]
	v_div_scale_f64 v[192:193], vcc_lo, v[184:185], v[182:183], v[184:185]
	v_rcp_f64_e32 v[188:189], v[186:187]
	v_fma_f64 v[190:191], -v[186:187], v[188:189], 1.0
	v_fma_f64 v[188:189], v[188:189], v[190:191], v[188:189]
	v_fma_f64 v[190:191], -v[186:187], v[188:189], 1.0
	v_fma_f64 v[188:189], v[188:189], v[190:191], v[188:189]
	v_mul_f64 v[190:191], v[192:193], v[188:189]
	v_fma_f64 v[186:187], -v[186:187], v[190:191], v[192:193]
	v_div_fmas_f64 v[186:187], v[186:187], v[188:189], v[190:191]
	v_div_fixup_f64 v[188:189], v[186:187], v[182:183], v[184:185]
	v_fma_f64 v[182:183], v[184:185], v[188:189], v[182:183]
	v_div_scale_f64 v[184:185], null, v[182:183], v[182:183], 1.0
	v_rcp_f64_e32 v[186:187], v[184:185]
	v_fma_f64 v[190:191], -v[184:185], v[186:187], 1.0
	v_fma_f64 v[186:187], v[186:187], v[190:191], v[186:187]
	v_fma_f64 v[190:191], -v[184:185], v[186:187], 1.0
	v_fma_f64 v[186:187], v[186:187], v[190:191], v[186:187]
	v_div_scale_f64 v[190:191], vcc_lo, 1.0, v[182:183], 1.0
	v_mul_f64 v[192:193], v[190:191], v[186:187]
	v_fma_f64 v[184:185], -v[184:185], v[192:193], v[190:191]
	v_div_fmas_f64 v[184:185], v[184:185], v[186:187], v[192:193]
	v_div_fixup_f64 v[186:187], v[184:185], v[182:183], 1.0
	v_mul_f64 v[188:189], v[188:189], -v[186:187]
.LBB49_187:
	s_or_b32 exec_lo, exec_lo, s1
	ds_write2_b64 v1, v[186:187], v[188:189] offset1:1
.LBB49_188:
	s_or_b32 exec_lo, exec_lo, s2
	s_waitcnt lgkmcnt(0)
	s_barrier
	buffer_gl0_inv
	ds_read2_b64 v[182:185], v1 offset1:1
	s_mov_b32 s1, exec_lo
	v_cmpx_lt_u32_e32 20, v0
	s_cbranch_execz .LBB49_190
; %bb.189:
	s_waitcnt lgkmcnt(0)
	v_mul_f64 v[186:187], v[182:183], v[20:21]
	v_mul_f64 v[20:21], v[184:185], v[20:21]
	v_fma_f64 v[190:191], v[184:185], v[18:19], v[186:187]
	ds_read2_b64 v[186:189], v254 offset0:42 offset1:43
	v_fma_f64 v[18:19], v[182:183], v[18:19], -v[20:21]
	s_waitcnt lgkmcnt(0)
	v_mul_f64 v[20:21], v[188:189], v[190:191]
	v_fma_f64 v[20:21], v[186:187], v[18:19], -v[20:21]
	v_mul_f64 v[186:187], v[186:187], v[190:191]
	v_add_f64 v[14:15], v[14:15], -v[20:21]
	v_fma_f64 v[186:187], v[188:189], v[18:19], v[186:187]
	v_add_f64 v[16:17], v[16:17], -v[186:187]
	ds_read2_b64 v[186:189], v254 offset0:44 offset1:45
	s_waitcnt lgkmcnt(0)
	v_mul_f64 v[20:21], v[188:189], v[190:191]
	v_fma_f64 v[20:21], v[186:187], v[18:19], -v[20:21]
	v_mul_f64 v[186:187], v[186:187], v[190:191]
	v_add_f64 v[10:11], v[10:11], -v[20:21]
	v_fma_f64 v[186:187], v[188:189], v[18:19], v[186:187]
	v_add_f64 v[12:13], v[12:13], -v[186:187]
	ds_read2_b64 v[186:189], v254 offset0:46 offset1:47
	;; [unrolled: 8-line block ×3, first 2 shown]
	s_waitcnt lgkmcnt(0)
	v_mul_f64 v[20:21], v[188:189], v[190:191]
	v_fma_f64 v[20:21], v[186:187], v[18:19], -v[20:21]
	v_mul_f64 v[186:187], v[186:187], v[190:191]
	v_add_f64 v[2:3], v[2:3], -v[20:21]
	v_fma_f64 v[186:187], v[188:189], v[18:19], v[186:187]
	v_mov_b32_e32 v20, v190
	v_mov_b32_e32 v21, v191
	v_add_f64 v[4:5], v[4:5], -v[186:187]
.LBB49_190:
	s_or_b32 exec_lo, exec_lo, s1
	s_mov_b32 s2, exec_lo
	s_waitcnt lgkmcnt(0)
	s_barrier
	buffer_gl0_inv
	v_cmpx_eq_u32_e32 21, v0
	s_cbranch_execz .LBB49_197
; %bb.191:
	ds_write2_b64 v1, v[14:15], v[16:17] offset1:1
	ds_write2_b64 v254, v[10:11], v[12:13] offset0:44 offset1:45
	ds_write2_b64 v254, v[6:7], v[8:9] offset0:46 offset1:47
	ds_write2_b64 v254, v[2:3], v[4:5] offset0:48 offset1:49
	ds_read2_b64 v[186:189], v1 offset1:1
	s_waitcnt lgkmcnt(0)
	v_cmp_neq_f64_e32 vcc_lo, 0, v[186:187]
	v_cmp_neq_f64_e64 s1, 0, v[188:189]
	s_or_b32 s1, vcc_lo, s1
	s_and_b32 exec_lo, exec_lo, s1
	s_cbranch_execz .LBB49_197
; %bb.192:
	v_cmp_ngt_f64_e64 s1, |v[186:187]|, |v[188:189]|
                                        ; implicit-def: $vgpr190_vgpr191
	s_and_saveexec_b32 s3, s1
	s_xor_b32 s1, exec_lo, s3
                                        ; implicit-def: $vgpr192_vgpr193
	s_cbranch_execz .LBB49_194
; %bb.193:
	v_div_scale_f64 v[190:191], null, v[188:189], v[188:189], v[186:187]
	v_div_scale_f64 v[196:197], vcc_lo, v[186:187], v[188:189], v[186:187]
	v_rcp_f64_e32 v[192:193], v[190:191]
	v_fma_f64 v[194:195], -v[190:191], v[192:193], 1.0
	v_fma_f64 v[192:193], v[192:193], v[194:195], v[192:193]
	v_fma_f64 v[194:195], -v[190:191], v[192:193], 1.0
	v_fma_f64 v[192:193], v[192:193], v[194:195], v[192:193]
	v_mul_f64 v[194:195], v[196:197], v[192:193]
	v_fma_f64 v[190:191], -v[190:191], v[194:195], v[196:197]
	v_div_fmas_f64 v[190:191], v[190:191], v[192:193], v[194:195]
	v_div_fixup_f64 v[190:191], v[190:191], v[188:189], v[186:187]
	v_fma_f64 v[186:187], v[186:187], v[190:191], v[188:189]
	v_div_scale_f64 v[188:189], null, v[186:187], v[186:187], 1.0
	v_rcp_f64_e32 v[192:193], v[188:189]
	v_fma_f64 v[194:195], -v[188:189], v[192:193], 1.0
	v_fma_f64 v[192:193], v[192:193], v[194:195], v[192:193]
	v_fma_f64 v[194:195], -v[188:189], v[192:193], 1.0
	v_fma_f64 v[192:193], v[192:193], v[194:195], v[192:193]
	v_div_scale_f64 v[194:195], vcc_lo, 1.0, v[186:187], 1.0
	v_mul_f64 v[196:197], v[194:195], v[192:193]
	v_fma_f64 v[188:189], -v[188:189], v[196:197], v[194:195]
	v_div_fmas_f64 v[188:189], v[188:189], v[192:193], v[196:197]
	v_div_fixup_f64 v[192:193], v[188:189], v[186:187], 1.0
                                        ; implicit-def: $vgpr186_vgpr187
	v_mul_f64 v[190:191], v[190:191], v[192:193]
	v_xor_b32_e32 v193, 0x80000000, v193
.LBB49_194:
	s_andn2_saveexec_b32 s1, s1
	s_cbranch_execz .LBB49_196
; %bb.195:
	v_div_scale_f64 v[190:191], null, v[186:187], v[186:187], v[188:189]
	v_div_scale_f64 v[196:197], vcc_lo, v[188:189], v[186:187], v[188:189]
	v_rcp_f64_e32 v[192:193], v[190:191]
	v_fma_f64 v[194:195], -v[190:191], v[192:193], 1.0
	v_fma_f64 v[192:193], v[192:193], v[194:195], v[192:193]
	v_fma_f64 v[194:195], -v[190:191], v[192:193], 1.0
	v_fma_f64 v[192:193], v[192:193], v[194:195], v[192:193]
	v_mul_f64 v[194:195], v[196:197], v[192:193]
	v_fma_f64 v[190:191], -v[190:191], v[194:195], v[196:197]
	v_div_fmas_f64 v[190:191], v[190:191], v[192:193], v[194:195]
	v_div_fixup_f64 v[192:193], v[190:191], v[186:187], v[188:189]
	v_fma_f64 v[186:187], v[188:189], v[192:193], v[186:187]
	v_div_scale_f64 v[188:189], null, v[186:187], v[186:187], 1.0
	v_rcp_f64_e32 v[190:191], v[188:189]
	v_fma_f64 v[194:195], -v[188:189], v[190:191], 1.0
	v_fma_f64 v[190:191], v[190:191], v[194:195], v[190:191]
	v_fma_f64 v[194:195], -v[188:189], v[190:191], 1.0
	v_fma_f64 v[190:191], v[190:191], v[194:195], v[190:191]
	v_div_scale_f64 v[194:195], vcc_lo, 1.0, v[186:187], 1.0
	v_mul_f64 v[196:197], v[194:195], v[190:191]
	v_fma_f64 v[188:189], -v[188:189], v[196:197], v[194:195]
	v_div_fmas_f64 v[188:189], v[188:189], v[190:191], v[196:197]
	v_div_fixup_f64 v[190:191], v[188:189], v[186:187], 1.0
	v_mul_f64 v[192:193], v[192:193], -v[190:191]
.LBB49_196:
	s_or_b32 exec_lo, exec_lo, s1
	ds_write2_b64 v1, v[190:191], v[192:193] offset1:1
.LBB49_197:
	s_or_b32 exec_lo, exec_lo, s2
	s_waitcnt lgkmcnt(0)
	s_barrier
	buffer_gl0_inv
	ds_read2_b64 v[186:189], v1 offset1:1
	s_mov_b32 s1, exec_lo
	v_cmpx_lt_u32_e32 21, v0
	s_cbranch_execz .LBB49_199
; %bb.198:
	s_waitcnt lgkmcnt(0)
	v_mul_f64 v[190:191], v[186:187], v[16:17]
	v_mul_f64 v[16:17], v[188:189], v[16:17]
	v_fma_f64 v[194:195], v[188:189], v[14:15], v[190:191]
	ds_read2_b64 v[190:193], v254 offset0:44 offset1:45
	v_fma_f64 v[14:15], v[186:187], v[14:15], -v[16:17]
	s_waitcnt lgkmcnt(0)
	v_mul_f64 v[16:17], v[192:193], v[194:195]
	v_fma_f64 v[16:17], v[190:191], v[14:15], -v[16:17]
	v_mul_f64 v[190:191], v[190:191], v[194:195]
	v_add_f64 v[10:11], v[10:11], -v[16:17]
	v_fma_f64 v[190:191], v[192:193], v[14:15], v[190:191]
	v_add_f64 v[12:13], v[12:13], -v[190:191]
	ds_read2_b64 v[190:193], v254 offset0:46 offset1:47
	s_waitcnt lgkmcnt(0)
	v_mul_f64 v[16:17], v[192:193], v[194:195]
	v_fma_f64 v[16:17], v[190:191], v[14:15], -v[16:17]
	v_mul_f64 v[190:191], v[190:191], v[194:195]
	v_add_f64 v[6:7], v[6:7], -v[16:17]
	v_fma_f64 v[190:191], v[192:193], v[14:15], v[190:191]
	v_add_f64 v[8:9], v[8:9], -v[190:191]
	ds_read2_b64 v[190:193], v254 offset0:48 offset1:49
	s_waitcnt lgkmcnt(0)
	v_mul_f64 v[16:17], v[192:193], v[194:195]
	v_fma_f64 v[16:17], v[190:191], v[14:15], -v[16:17]
	v_mul_f64 v[190:191], v[190:191], v[194:195]
	v_add_f64 v[2:3], v[2:3], -v[16:17]
	v_fma_f64 v[190:191], v[192:193], v[14:15], v[190:191]
	v_mov_b32_e32 v16, v194
	v_mov_b32_e32 v17, v195
	v_add_f64 v[4:5], v[4:5], -v[190:191]
.LBB49_199:
	s_or_b32 exec_lo, exec_lo, s1
	s_mov_b32 s2, exec_lo
	s_waitcnt lgkmcnt(0)
	s_barrier
	buffer_gl0_inv
	v_cmpx_eq_u32_e32 22, v0
	s_cbranch_execz .LBB49_206
; %bb.200:
	ds_write2_b64 v1, v[10:11], v[12:13] offset1:1
	ds_write2_b64 v254, v[6:7], v[8:9] offset0:46 offset1:47
	ds_write2_b64 v254, v[2:3], v[4:5] offset0:48 offset1:49
	ds_read2_b64 v[190:193], v1 offset1:1
	s_waitcnt lgkmcnt(0)
	v_cmp_neq_f64_e32 vcc_lo, 0, v[190:191]
	v_cmp_neq_f64_e64 s1, 0, v[192:193]
	s_or_b32 s1, vcc_lo, s1
	s_and_b32 exec_lo, exec_lo, s1
	s_cbranch_execz .LBB49_206
; %bb.201:
	v_cmp_ngt_f64_e64 s1, |v[190:191]|, |v[192:193]|
                                        ; implicit-def: $vgpr194_vgpr195
	s_and_saveexec_b32 s3, s1
	s_xor_b32 s1, exec_lo, s3
                                        ; implicit-def: $vgpr196_vgpr197
	s_cbranch_execz .LBB49_203
; %bb.202:
	v_div_scale_f64 v[194:195], null, v[192:193], v[192:193], v[190:191]
	v_div_scale_f64 v[200:201], vcc_lo, v[190:191], v[192:193], v[190:191]
	v_rcp_f64_e32 v[196:197], v[194:195]
	v_fma_f64 v[198:199], -v[194:195], v[196:197], 1.0
	v_fma_f64 v[196:197], v[196:197], v[198:199], v[196:197]
	v_fma_f64 v[198:199], -v[194:195], v[196:197], 1.0
	v_fma_f64 v[196:197], v[196:197], v[198:199], v[196:197]
	v_mul_f64 v[198:199], v[200:201], v[196:197]
	v_fma_f64 v[194:195], -v[194:195], v[198:199], v[200:201]
	v_div_fmas_f64 v[194:195], v[194:195], v[196:197], v[198:199]
	v_div_fixup_f64 v[194:195], v[194:195], v[192:193], v[190:191]
	v_fma_f64 v[190:191], v[190:191], v[194:195], v[192:193]
	v_div_scale_f64 v[192:193], null, v[190:191], v[190:191], 1.0
	v_rcp_f64_e32 v[196:197], v[192:193]
	v_fma_f64 v[198:199], -v[192:193], v[196:197], 1.0
	v_fma_f64 v[196:197], v[196:197], v[198:199], v[196:197]
	v_fma_f64 v[198:199], -v[192:193], v[196:197], 1.0
	v_fma_f64 v[196:197], v[196:197], v[198:199], v[196:197]
	v_div_scale_f64 v[198:199], vcc_lo, 1.0, v[190:191], 1.0
	v_mul_f64 v[200:201], v[198:199], v[196:197]
	v_fma_f64 v[192:193], -v[192:193], v[200:201], v[198:199]
	v_div_fmas_f64 v[192:193], v[192:193], v[196:197], v[200:201]
	v_div_fixup_f64 v[196:197], v[192:193], v[190:191], 1.0
                                        ; implicit-def: $vgpr190_vgpr191
	v_mul_f64 v[194:195], v[194:195], v[196:197]
	v_xor_b32_e32 v197, 0x80000000, v197
.LBB49_203:
	s_andn2_saveexec_b32 s1, s1
	s_cbranch_execz .LBB49_205
; %bb.204:
	v_div_scale_f64 v[194:195], null, v[190:191], v[190:191], v[192:193]
	v_div_scale_f64 v[200:201], vcc_lo, v[192:193], v[190:191], v[192:193]
	v_rcp_f64_e32 v[196:197], v[194:195]
	v_fma_f64 v[198:199], -v[194:195], v[196:197], 1.0
	v_fma_f64 v[196:197], v[196:197], v[198:199], v[196:197]
	v_fma_f64 v[198:199], -v[194:195], v[196:197], 1.0
	v_fma_f64 v[196:197], v[196:197], v[198:199], v[196:197]
	v_mul_f64 v[198:199], v[200:201], v[196:197]
	v_fma_f64 v[194:195], -v[194:195], v[198:199], v[200:201]
	v_div_fmas_f64 v[194:195], v[194:195], v[196:197], v[198:199]
	v_div_fixup_f64 v[196:197], v[194:195], v[190:191], v[192:193]
	v_fma_f64 v[190:191], v[192:193], v[196:197], v[190:191]
	v_div_scale_f64 v[192:193], null, v[190:191], v[190:191], 1.0
	v_rcp_f64_e32 v[194:195], v[192:193]
	v_fma_f64 v[198:199], -v[192:193], v[194:195], 1.0
	v_fma_f64 v[194:195], v[194:195], v[198:199], v[194:195]
	v_fma_f64 v[198:199], -v[192:193], v[194:195], 1.0
	v_fma_f64 v[194:195], v[194:195], v[198:199], v[194:195]
	v_div_scale_f64 v[198:199], vcc_lo, 1.0, v[190:191], 1.0
	v_mul_f64 v[200:201], v[198:199], v[194:195]
	v_fma_f64 v[192:193], -v[192:193], v[200:201], v[198:199]
	v_div_fmas_f64 v[192:193], v[192:193], v[194:195], v[200:201]
	v_div_fixup_f64 v[194:195], v[192:193], v[190:191], 1.0
	v_mul_f64 v[196:197], v[196:197], -v[194:195]
.LBB49_205:
	s_or_b32 exec_lo, exec_lo, s1
	ds_write2_b64 v1, v[194:195], v[196:197] offset1:1
.LBB49_206:
	s_or_b32 exec_lo, exec_lo, s2
	s_waitcnt lgkmcnt(0)
	s_barrier
	buffer_gl0_inv
	ds_read2_b64 v[190:193], v1 offset1:1
	s_mov_b32 s1, exec_lo
	v_cmpx_lt_u32_e32 22, v0
	s_cbranch_execz .LBB49_208
; %bb.207:
	s_waitcnt lgkmcnt(0)
	v_mul_f64 v[194:195], v[190:191], v[12:13]
	v_mul_f64 v[12:13], v[192:193], v[12:13]
	v_fma_f64 v[198:199], v[192:193], v[10:11], v[194:195]
	ds_read2_b64 v[194:197], v254 offset0:46 offset1:47
	v_fma_f64 v[10:11], v[190:191], v[10:11], -v[12:13]
	s_waitcnt lgkmcnt(0)
	v_mul_f64 v[12:13], v[196:197], v[198:199]
	v_fma_f64 v[12:13], v[194:195], v[10:11], -v[12:13]
	v_mul_f64 v[194:195], v[194:195], v[198:199]
	v_add_f64 v[6:7], v[6:7], -v[12:13]
	v_fma_f64 v[194:195], v[196:197], v[10:11], v[194:195]
	v_add_f64 v[8:9], v[8:9], -v[194:195]
	ds_read2_b64 v[194:197], v254 offset0:48 offset1:49
	s_waitcnt lgkmcnt(0)
	v_mul_f64 v[12:13], v[196:197], v[198:199]
	v_fma_f64 v[12:13], v[194:195], v[10:11], -v[12:13]
	v_mul_f64 v[194:195], v[194:195], v[198:199]
	v_add_f64 v[2:3], v[2:3], -v[12:13]
	v_fma_f64 v[194:195], v[196:197], v[10:11], v[194:195]
	v_mov_b32_e32 v12, v198
	v_mov_b32_e32 v13, v199
	v_add_f64 v[4:5], v[4:5], -v[194:195]
.LBB49_208:
	s_or_b32 exec_lo, exec_lo, s1
	s_mov_b32 s2, exec_lo
	s_waitcnt lgkmcnt(0)
	s_barrier
	buffer_gl0_inv
	v_cmpx_eq_u32_e32 23, v0
	s_cbranch_execz .LBB49_215
; %bb.209:
	ds_write2_b64 v1, v[6:7], v[8:9] offset1:1
	ds_write2_b64 v254, v[2:3], v[4:5] offset0:48 offset1:49
	ds_read2_b64 v[194:197], v1 offset1:1
	s_waitcnt lgkmcnt(0)
	v_cmp_neq_f64_e32 vcc_lo, 0, v[194:195]
	v_cmp_neq_f64_e64 s1, 0, v[196:197]
	s_or_b32 s1, vcc_lo, s1
	s_and_b32 exec_lo, exec_lo, s1
	s_cbranch_execz .LBB49_215
; %bb.210:
	v_cmp_ngt_f64_e64 s1, |v[194:195]|, |v[196:197]|
                                        ; implicit-def: $vgpr198_vgpr199
	s_and_saveexec_b32 s3, s1
	s_xor_b32 s1, exec_lo, s3
                                        ; implicit-def: $vgpr200_vgpr201
	s_cbranch_execz .LBB49_212
; %bb.211:
	v_div_scale_f64 v[198:199], null, v[196:197], v[196:197], v[194:195]
	v_rcp_f64_e32 v[200:201], v[198:199]
	v_fma_f64 v[102:103], -v[198:199], v[200:201], 1.0
	v_fma_f64 v[102:103], v[200:201], v[102:103], v[200:201]
	v_div_scale_f64 v[200:201], vcc_lo, v[194:195], v[196:197], v[194:195]
	v_fma_f64 v[104:105], -v[198:199], v[102:103], 1.0
	v_fma_f64 v[102:103], v[102:103], v[104:105], v[102:103]
	v_mul_f64 v[104:105], v[200:201], v[102:103]
	v_fma_f64 v[198:199], -v[198:199], v[104:105], v[200:201]
	v_div_fmas_f64 v[102:103], v[198:199], v[102:103], v[104:105]
	v_div_fixup_f64 v[102:103], v[102:103], v[196:197], v[194:195]
	v_fma_f64 v[104:105], v[194:195], v[102:103], v[196:197]
	v_div_scale_f64 v[194:195], null, v[104:105], v[104:105], 1.0
	v_rcp_f64_e32 v[196:197], v[194:195]
	v_fma_f64 v[198:199], -v[194:195], v[196:197], 1.0
	v_fma_f64 v[196:197], v[196:197], v[198:199], v[196:197]
	v_fma_f64 v[198:199], -v[194:195], v[196:197], 1.0
	v_fma_f64 v[196:197], v[196:197], v[198:199], v[196:197]
	v_div_scale_f64 v[198:199], vcc_lo, 1.0, v[104:105], 1.0
	v_mul_f64 v[200:201], v[198:199], v[196:197]
	v_fma_f64 v[194:195], -v[194:195], v[200:201], v[198:199]
	v_div_fmas_f64 v[194:195], v[194:195], v[196:197], v[200:201]
	v_div_fixup_f64 v[200:201], v[194:195], v[104:105], 1.0
                                        ; implicit-def: $vgpr194_vgpr195
	v_mul_f64 v[198:199], v[102:103], v[200:201]
	v_xor_b32_e32 v201, 0x80000000, v201
.LBB49_212:
	s_andn2_saveexec_b32 s1, s1
	s_cbranch_execz .LBB49_214
; %bb.213:
	v_div_scale_f64 v[102:103], null, v[194:195], v[194:195], v[196:197]
	v_div_scale_f64 v[200:201], vcc_lo, v[196:197], v[194:195], v[196:197]
	v_rcp_f64_e32 v[104:105], v[102:103]
	v_fma_f64 v[198:199], -v[102:103], v[104:105], 1.0
	v_fma_f64 v[104:105], v[104:105], v[198:199], v[104:105]
	v_fma_f64 v[198:199], -v[102:103], v[104:105], 1.0
	v_fma_f64 v[104:105], v[104:105], v[198:199], v[104:105]
	v_mul_f64 v[198:199], v[200:201], v[104:105]
	v_fma_f64 v[102:103], -v[102:103], v[198:199], v[200:201]
	v_div_fmas_f64 v[102:103], v[102:103], v[104:105], v[198:199]
	v_div_fixup_f64 v[102:103], v[102:103], v[194:195], v[196:197]
	v_fma_f64 v[104:105], v[196:197], v[102:103], v[194:195]
	v_div_scale_f64 v[194:195], null, v[104:105], v[104:105], 1.0
	v_rcp_f64_e32 v[196:197], v[194:195]
	v_fma_f64 v[198:199], -v[194:195], v[196:197], 1.0
	v_fma_f64 v[196:197], v[196:197], v[198:199], v[196:197]
	v_fma_f64 v[198:199], -v[194:195], v[196:197], 1.0
	v_fma_f64 v[196:197], v[196:197], v[198:199], v[196:197]
	v_div_scale_f64 v[198:199], vcc_lo, 1.0, v[104:105], 1.0
	v_mul_f64 v[200:201], v[198:199], v[196:197]
	v_fma_f64 v[194:195], -v[194:195], v[200:201], v[198:199]
	v_div_fmas_f64 v[194:195], v[194:195], v[196:197], v[200:201]
	v_div_fixup_f64 v[198:199], v[194:195], v[104:105], 1.0
	v_mul_f64 v[200:201], v[102:103], -v[198:199]
.LBB49_214:
	s_or_b32 exec_lo, exec_lo, s1
	ds_write2_b64 v1, v[198:199], v[200:201] offset1:1
.LBB49_215:
	s_or_b32 exec_lo, exec_lo, s2
	s_waitcnt lgkmcnt(0)
	s_barrier
	buffer_gl0_inv
	ds_read2_b64 v[194:197], v1 offset1:1
	s_mov_b32 s1, exec_lo
	v_cmpx_lt_u32_e32 23, v0
	s_cbranch_execz .LBB49_217
; %bb.216:
	s_waitcnt lgkmcnt(0)
	v_mul_f64 v[102:103], v[194:195], v[8:9]
	v_mul_f64 v[8:9], v[196:197], v[8:9]
	ds_read2_b64 v[198:201], v254 offset0:48 offset1:49
	v_fma_f64 v[102:103], v[196:197], v[6:7], v[102:103]
	v_fma_f64 v[6:7], v[194:195], v[6:7], -v[8:9]
	s_waitcnt lgkmcnt(0)
	v_mul_f64 v[8:9], v[200:201], v[102:103]
	v_mul_f64 v[104:105], v[198:199], v[102:103]
	v_fma_f64 v[8:9], v[198:199], v[6:7], -v[8:9]
	v_fma_f64 v[104:105], v[200:201], v[6:7], v[104:105]
	v_add_f64 v[2:3], v[2:3], -v[8:9]
	v_add_f64 v[4:5], v[4:5], -v[104:105]
	v_mov_b32_e32 v8, v102
	v_mov_b32_e32 v9, v103
.LBB49_217:
	s_or_b32 exec_lo, exec_lo, s1
	s_mov_b32 s2, exec_lo
	s_waitcnt lgkmcnt(0)
	s_barrier
	buffer_gl0_inv
	v_cmpx_eq_u32_e32 24, v0
	s_cbranch_execz .LBB49_224
; %bb.218:
	v_cmp_neq_f64_e32 vcc_lo, 0, v[2:3]
	v_cmp_neq_f64_e64 s1, 0, v[4:5]
	ds_write2_b64 v1, v[2:3], v[4:5] offset1:1
	s_or_b32 s1, vcc_lo, s1
	s_and_b32 exec_lo, exec_lo, s1
	s_cbranch_execz .LBB49_224
; %bb.219:
	v_cmp_ngt_f64_e64 s1, |v[2:3]|, |v[4:5]|
                                        ; implicit-def: $vgpr198_vgpr199
	s_and_saveexec_b32 s3, s1
	s_xor_b32 s1, exec_lo, s3
                                        ; implicit-def: $vgpr200_vgpr201
	s_cbranch_execz .LBB49_221
; %bb.220:
	v_div_scale_f64 v[102:103], null, v[4:5], v[4:5], v[2:3]
	v_div_scale_f64 v[200:201], vcc_lo, v[2:3], v[4:5], v[2:3]
	v_mov_b32_e32 v219, v177
	v_mov_b32_e32 v218, v176
	v_mov_b32_e32 v217, v175
	v_mov_b32_e32 v216, v174
	v_mov_b32_e32 v177, v101
	v_mov_b32_e32 v176, v100
	v_mov_b32_e32 v175, v99
	v_mov_b32_e32 v174, v98
	v_mov_b32_e32 v98, v170
	v_mov_b32_e32 v99, v171
	v_mov_b32_e32 v100, v172
	v_mov_b32_e32 v101, v173
	v_mov_b32_e32 v173, v169
	v_mov_b32_e32 v172, v168
	v_mov_b32_e32 v171, v167
	v_mov_b32_e32 v170, v166
	v_mov_b32_e32 v169, v165
	v_mov_b32_e32 v168, v164
	v_rcp_f64_e32 v[104:105], v[102:103]
	v_mov_b32_e32 v167, v163
	v_mov_b32_e32 v166, v162
	;; [unrolled: 1-line block ×23, first 2 shown]
	v_fma_f64 v[198:199], -v[102:103], v[104:105], 1.0
	v_mov_b32_e32 v144, v140
	v_mov_b32_e32 v143, v139
	v_mov_b32_e32 v142, v138
	v_mov_b32_e32 v141, v137
	v_mov_b32_e32 v140, v136
	v_mov_b32_e32 v139, v135
	v_mov_b32_e32 v138, v134
	v_mov_b32_e32 v137, v133
	v_mov_b32_e32 v136, v132
	v_mov_b32_e32 v135, v131
	v_mov_b32_e32 v134, v130
	v_mov_b32_e32 v133, v129
	v_mov_b32_e32 v132, v128
	v_mov_b32_e32 v131, v127
	v_mov_b32_e32 v130, v126
	v_mov_b32_e32 v129, v125
	v_mov_b32_e32 v215, v213
	v_mov_b32_e32 v128, v124
	v_mov_b32_e32 v127, v123
	v_mov_b32_e32 v126, v122
	v_mov_b32_e32 v125, v121
	v_fma_f64 v[104:105], v[104:105], v[198:199], v[104:105]
	v_mov_b32_e32 v214, v212
	v_mov_b32_e32 v213, v211
	;; [unrolled: 1-line block ×21, first 2 shown]
	v_fma_f64 v[198:199], -v[102:103], v[104:105], 1.0
	v_mov_b32_e32 v112, v108
	v_mov_b32_e32 v111, v107
	;; [unrolled: 1-line block ×21, first 2 shown]
	v_fma_f64 v[104:105], v[104:105], v[198:199], v[104:105]
	v_mov_b32_e32 v235, v233
	v_mov_b32_e32 v234, v232
	;; [unrolled: 1-line block ×17, first 2 shown]
	v_mul_f64 v[198:199], v[200:201], v[104:105]
	v_mov_b32_e32 v231, v233
	v_mov_b32_e32 v232, v234
	;; [unrolled: 1-line block ×21, first 2 shown]
	v_fma_f64 v[102:103], -v[102:103], v[198:199], v[200:201]
	v_div_fmas_f64 v[102:103], v[102:103], v[104:105], v[198:199]
	v_div_fixup_f64 v[102:103], v[102:103], v[4:5], v[2:3]
	v_fma_f64 v[104:105], v[2:3], v[102:103], v[4:5]
	v_div_scale_f64 v[198:199], null, v[104:105], v[104:105], 1.0
	v_rcp_f64_e32 v[200:201], v[198:199]
	v_fma_f64 v[254:255], -v[198:199], v[200:201], 1.0
	v_fma_f64 v[200:201], v[200:201], v[254:255], v[200:201]
	v_fma_f64 v[254:255], -v[198:199], v[200:201], 1.0
	v_fma_f64 v[200:201], v[200:201], v[254:255], v[200:201]
	v_div_scale_f64 v[254:255], vcc_lo, 1.0, v[104:105], 1.0
	v_mul_f64 v[106:107], v[254:255], v[200:201]
	v_fma_f64 v[108:109], -v[198:199], v[106:107], v[254:255]
	v_div_fmas_f64 v[106:107], v[108:109], v[200:201], v[106:107]
	v_div_fixup_f64 v[200:201], v[106:107], v[104:105], 1.0
	v_mov_b32_e32 v106, v110
	v_mov_b32_e32 v107, v111
	;; [unrolled: 1-line block ×21, first 2 shown]
	v_mul_f64 v[198:199], v[102:103], v[200:201]
	v_mov_b32_e32 v125, v129
	v_mov_b32_e32 v126, v130
	;; [unrolled: 1-line block ×65, first 2 shown]
	v_xor_b32_e32 v201, 0x80000000, v201
.LBB49_221:
	s_andn2_saveexec_b32 s1, s1
	s_cbranch_execz .LBB49_223
; %bb.222:
	v_div_scale_f64 v[102:103], null, v[2:3], v[2:3], v[4:5]
	v_mov_b32_e32 v217, v177
	v_mov_b32_e32 v216, v176
	;; [unrolled: 1-line block ×20, first 2 shown]
	v_rcp_f64_e32 v[104:105], v[102:103]
	v_mov_b32_e32 v163, v161
	v_mov_b32_e32 v162, v160
	;; [unrolled: 1-line block ×60, first 2 shown]
	v_fma_f64 v[106:107], -v[102:103], v[104:105], 1.0
	v_div_scale_f64 v[108:109], vcc_lo, v[4:5], v[2:3], v[4:5]
	v_fma_f64 v[104:105], v[104:105], v[106:107], v[104:105]
	v_fma_f64 v[106:107], -v[102:103], v[104:105], 1.0
	v_fma_f64 v[104:105], v[104:105], v[106:107], v[104:105]
	v_mul_f64 v[106:107], v[108:109], v[104:105]
	v_fma_f64 v[102:103], -v[102:103], v[106:107], v[108:109]
	v_div_fmas_f64 v[102:103], v[102:103], v[104:105], v[106:107]
	v_div_fixup_f64 v[102:103], v[102:103], v[2:3], v[4:5]
	v_fma_f64 v[104:105], v[4:5], v[102:103], v[2:3]
	v_div_scale_f64 v[106:107], null, v[104:105], v[104:105], 1.0
	v_rcp_f64_e32 v[108:109], v[106:107]
	v_fma_f64 v[198:199], -v[106:107], v[108:109], 1.0
	v_fma_f64 v[108:109], v[108:109], v[198:199], v[108:109]
	v_fma_f64 v[198:199], -v[106:107], v[108:109], 1.0
	v_fma_f64 v[108:109], v[108:109], v[198:199], v[108:109]
	v_div_scale_f64 v[198:199], vcc_lo, 1.0, v[104:105], 1.0
	v_mul_f64 v[200:201], v[198:199], v[108:109]
	v_fma_f64 v[106:107], -v[106:107], v[200:201], v[198:199]
	v_div_fmas_f64 v[106:107], v[106:107], v[108:109], v[200:201]
	v_div_fixup_f64 v[198:199], v[106:107], v[104:105], 1.0
	v_mov_b32_e32 v106, v110
	v_mov_b32_e32 v107, v111
	;; [unrolled: 1-line block ×21, first 2 shown]
	v_mul_f64 v[200:201], v[102:103], -v[198:199]
	v_mov_b32_e32 v125, v127
	v_mov_b32_e32 v126, v128
	;; [unrolled: 1-line block ×59, first 2 shown]
.LBB49_223:
	s_or_b32 exec_lo, exec_lo, s1
	ds_write2_b64 v1, v[198:199], v[200:201] offset1:1
.LBB49_224:
	s_or_b32 exec_lo, exec_lo, s2
	s_waitcnt lgkmcnt(0)
	s_barrier
	buffer_gl0_inv
	ds_read2_b64 v[198:201], v1 offset1:1
	s_mov_b32 s1, exec_lo
	v_cmpx_lt_u32_e32 24, v0
	s_cbranch_execz .LBB49_226
; %bb.225:
	s_waitcnt lgkmcnt(0)
	v_mul_f64 v[0:1], v[200:201], v[4:5]
	v_mul_f64 v[4:5], v[198:199], v[4:5]
	v_fma_f64 v[0:1], v[198:199], v[2:3], -v[0:1]
	v_fma_f64 v[4:5], v[200:201], v[2:3], v[4:5]
	v_mov_b32_e32 v3, v1
	v_mov_b32_e32 v2, v0
.LBB49_226:
	s_or_b32 exec_lo, exec_lo, s1
	s_waitcnt lgkmcnt(0)
	s_barrier
	buffer_gl0_inv
	s_and_saveexec_b32 s6, s0
	s_cbranch_execz .LBB49_229
; %bb.227:
	v_mov_b32_e32 v217, v101
	v_mov_b32_e32 v216, v100
	;; [unrolled: 1-line block ×21, first 2 shown]
	v_lshlrev_b64 v[0:1], 2, v[236:237]
	v_mov_b32_e32 v158, v156
	v_mov_b32_e32 v157, v155
	;; [unrolled: 1-line block ×24, first 2 shown]
	v_add_co_u32 v0, vcc_lo, s10, v0
	v_mov_b32_e32 v134, v132
	v_mov_b32_e32 v133, v131
	;; [unrolled: 1-line block ×9, first 2 shown]
	v_add_co_ci_u32_e64 v1, null, s11, v1, vcc_lo
	v_mov_b32_e32 v236, v212
	v_mov_b32_e32 v213, v211
	;; [unrolled: 1-line block ×25, first 2 shown]
	global_load_dword v103, v[0:1], off
	v_mov_b32_e32 v110, v108
	v_mov_b32_e32 v109, v107
	;; [unrolled: 1-line block ×3, first 2 shown]
	s_clause 0x3
	buffer_load_dword v104, off, s[16:19], 0
	buffer_load_dword v105, off, s[16:19], 0 offset:4
	buffer_load_dword v106, off, s[16:19], 0 offset:8
	;; [unrolled: 1-line block ×3, first 2 shown]
	v_cmp_eq_f64_e64 s3, 0, v[202:203]
	v_cmp_neq_f64_e64 s2, 0, v[110:111]
	v_cmp_eq_f64_e64 s4, 0, v[204:205]
	v_cmp_neq_f64_e64 s1, 0, v[108:109]
	v_cmp_eq_f64_e64 s5, 0, v[116:117]
	v_mov_b32_e32 v202, v206
	v_mov_b32_e32 v203, v207
	;; [unrolled: 1-line block ×10, first 2 shown]
	s_and_b32 s3, s3, s4
	s_or_b32 s1, s1, s2
	v_cmp_eq_f64_e64 s2, 0, v[122:123]
	v_cmp_eq_f64_e64 s4, 0, v[126:127]
	s_waitcnt vmcnt(2)
	v_cmp_eq_f64_e32 vcc_lo, 0, v[104:105]
	s_waitcnt vmcnt(0)
	v_cmp_eq_f64_e64 s0, 0, v[106:107]
	s_and_b32 s0, vcc_lo, s0
	v_cmp_eq_f64_e32 vcc_lo, 0, v[118:119]
	v_cndmask_b32_e64 v102, 0, 1, s0
	s_or_b32 s0, s1, s0
	v_cmp_eq_f64_e64 s1, 0, v[120:121]
	v_cndmask_b32_e64 v102, 2, v102, s0
	v_cmp_eq_u32_e64 s0, 0, v102
	s_and_b32 s0, s3, s0
	v_cmp_eq_f64_e64 s3, 0, v[124:125]
	v_cndmask_b32_e64 v102, v102, 3, s0
	s_and_b32 s5, s5, vcc_lo
	v_cmp_eq_u32_e64 s0, 0, v102
	s_and_b32 s1, s1, s2
	v_cmp_eq_f64_e64 s2, 0, v[134:135]
	s_and_b32 s0, s5, s0
	v_cmp_eq_f64_e64 s5, 0, v[130:131]
	v_cndmask_b32_e64 v102, v102, 4, s0
	v_cmp_eq_f64_e64 s0, 0, v[128:129]
	v_cmp_eq_u32_e32 vcc_lo, 0, v102
	s_and_b32 s3, s3, s4
	s_and_b32 s1, s1, vcc_lo
	v_cmp_eq_f64_e64 s4, 0, v[138:139]
	v_cndmask_b32_e64 v102, v102, 5, s1
	v_cmp_eq_f64_e64 s1, 0, v[132:133]
	v_cmp_eq_u32_e32 vcc_lo, 0, v102
	s_and_b32 s3, s3, vcc_lo
	s_and_b32 s0, s0, s5
	v_cndmask_b32_e64 v102, v102, 6, s3
	v_cmp_eq_f64_e64 s3, 0, v[136:137]
	v_cmp_eq_f64_e64 s5, 0, v[142:143]
	v_cmp_eq_u32_e32 vcc_lo, 0, v102
	s_and_b32 s0, s0, vcc_lo
	s_and_b32 s1, s1, s2
	v_cndmask_b32_e64 v102, v102, 7, s0
	v_cmp_eq_f64_e64 s0, 0, v[140:141]
	;; [unrolled: 6-line block ×10, first 2 shown]
	v_cmp_eq_f64_e64 s5, 0, v[176:177]
	v_mov_b32_e32 v98, v214
	v_mov_b32_e32 v99, v215
	v_cmp_eq_u32_e32 vcc_lo, 0, v102
	v_mov_b32_e32 v100, v216
	v_mov_b32_e32 v101, v217
	s_and_b32 s0, s0, vcc_lo
	s_and_b32 s1, s1, s2
	v_cndmask_b32_e64 v102, v102, 16, s0
	v_cmp_eq_f64_e64 s0, 0, v[174:175]
	v_cmp_eq_f64_e64 s2, 0, v[180:181]
	v_cmp_eq_u32_e32 vcc_lo, 0, v102
	s_and_b32 s1, s1, vcc_lo
	s_and_b32 s3, s3, s4
	v_cndmask_b32_e64 v102, v102, 17, s1
	v_cmp_eq_f64_e64 s1, 0, v[178:179]
	v_cmp_eq_f64_e64 s4, 0, v[184:185]
	v_cmp_eq_u32_e32 vcc_lo, 0, v102
	;; [unrolled: 6-line block ×6, first 2 shown]
	s_and_b32 s0, s0, vcc_lo
	s_and_b32 s1, s1, s2
	v_cndmask_b32_e64 v102, v102, 22, s0
	v_cmp_eq_f64_e64 s0, 0, v[198:199]
	v_cmp_eq_u32_e32 vcc_lo, 0, v102
	s_and_b32 s1, s1, vcc_lo
	v_cndmask_b32_e64 v102, v102, 23, s1
	s_and_b32 s1, s3, s4
	v_cmp_eq_u32_e32 vcc_lo, 0, v102
	s_and_b32 s1, s1, vcc_lo
	s_and_b32 s0, s0, s5
	v_cndmask_b32_e64 v102, v102, 24, s1
	v_cmp_eq_u32_e32 vcc_lo, 0, v102
	s_and_b32 s0, s0, vcc_lo
	v_cmp_eq_u32_e32 vcc_lo, 0, v103
	v_cndmask_b32_e64 v102, v102, 25, s0
	v_cmp_ne_u32_e64 s0, 0, v102
	s_and_b32 s0, vcc_lo, s0
	s_and_b32 exec_lo, exec_lo, s0
	s_cbranch_execz .LBB49_229
; %bb.228:
	v_add_nc_u32_e32 v102, s13, v102
	global_store_dword v[0:1], v102, off
.LBB49_229:
	s_or_b32 exec_lo, exec_lo, s6
	global_store_dwordx4 v[208:209], v[98:101], off
	global_store_dwordx4 v[212:213], v[94:97], off
	;; [unrolled: 1-line block ×5, first 2 shown]
	s_clause 0x1
	buffer_load_dword v0, off, s[16:19], 0 offset:24
	buffer_load_dword v1, off, s[16:19], 0 offset:28
	s_waitcnt vmcnt(0)
	global_store_dwordx4 v[0:1], v[78:81], off
	s_clause 0x1
	buffer_load_dword v0, off, s[16:19], 0 offset:16
	buffer_load_dword v1, off, s[16:19], 0 offset:20
	s_waitcnt vmcnt(0)
	global_store_dwordx4 v[0:1], v[74:77], off
	;; [unrolled: 5-line block ×3, first 2 shown]
	global_store_dwordx4 v[220:221], v[66:69], off
	global_store_dwordx4 v[222:223], v[62:65], off
	;; [unrolled: 1-line block ×17, first 2 shown]
.LBB49_230:
	s_endpgm
	.section	.rodata,"a",@progbits
	.p2align	6, 0x0
	.amdhsa_kernel _ZN9rocsolver6v33100L23getf2_npvt_small_kernelILi25E19rocblas_complex_numIdEiiPS3_EEvT1_T3_lS5_lPT2_S5_S5_
		.amdhsa_group_segment_fixed_size 0
		.amdhsa_private_segment_fixed_size 44
		.amdhsa_kernarg_size 312
		.amdhsa_user_sgpr_count 6
		.amdhsa_user_sgpr_private_segment_buffer 1
		.amdhsa_user_sgpr_dispatch_ptr 0
		.amdhsa_user_sgpr_queue_ptr 0
		.amdhsa_user_sgpr_kernarg_segment_ptr 1
		.amdhsa_user_sgpr_dispatch_id 0
		.amdhsa_user_sgpr_flat_scratch_init 0
		.amdhsa_user_sgpr_private_segment_size 0
		.amdhsa_wavefront_size32 1
		.amdhsa_uses_dynamic_stack 0
		.amdhsa_system_sgpr_private_segment_wavefront_offset 1
		.amdhsa_system_sgpr_workgroup_id_x 1
		.amdhsa_system_sgpr_workgroup_id_y 1
		.amdhsa_system_sgpr_workgroup_id_z 0
		.amdhsa_system_sgpr_workgroup_info 0
		.amdhsa_system_vgpr_workitem_id 1
		.amdhsa_next_free_vgpr 256
		.amdhsa_next_free_sgpr 20
		.amdhsa_reserve_vcc 1
		.amdhsa_reserve_flat_scratch 0
		.amdhsa_float_round_mode_32 0
		.amdhsa_float_round_mode_16_64 0
		.amdhsa_float_denorm_mode_32 3
		.amdhsa_float_denorm_mode_16_64 3
		.amdhsa_dx10_clamp 1
		.amdhsa_ieee_mode 1
		.amdhsa_fp16_overflow 0
		.amdhsa_workgroup_processor_mode 1
		.amdhsa_memory_ordered 1
		.amdhsa_forward_progress 1
		.amdhsa_shared_vgpr_count 0
		.amdhsa_exception_fp_ieee_invalid_op 0
		.amdhsa_exception_fp_denorm_src 0
		.amdhsa_exception_fp_ieee_div_zero 0
		.amdhsa_exception_fp_ieee_overflow 0
		.amdhsa_exception_fp_ieee_underflow 0
		.amdhsa_exception_fp_ieee_inexact 0
		.amdhsa_exception_int_div_zero 0
	.end_amdhsa_kernel
	.section	.text._ZN9rocsolver6v33100L23getf2_npvt_small_kernelILi25E19rocblas_complex_numIdEiiPS3_EEvT1_T3_lS5_lPT2_S5_S5_,"axG",@progbits,_ZN9rocsolver6v33100L23getf2_npvt_small_kernelILi25E19rocblas_complex_numIdEiiPS3_EEvT1_T3_lS5_lPT2_S5_S5_,comdat
.Lfunc_end49:
	.size	_ZN9rocsolver6v33100L23getf2_npvt_small_kernelILi25E19rocblas_complex_numIdEiiPS3_EEvT1_T3_lS5_lPT2_S5_S5_, .Lfunc_end49-_ZN9rocsolver6v33100L23getf2_npvt_small_kernelILi25E19rocblas_complex_numIdEiiPS3_EEvT1_T3_lS5_lPT2_S5_S5_
                                        ; -- End function
	.set _ZN9rocsolver6v33100L23getf2_npvt_small_kernelILi25E19rocblas_complex_numIdEiiPS3_EEvT1_T3_lS5_lPT2_S5_S5_.num_vgpr, 256
	.set _ZN9rocsolver6v33100L23getf2_npvt_small_kernelILi25E19rocblas_complex_numIdEiiPS3_EEvT1_T3_lS5_lPT2_S5_S5_.num_agpr, 0
	.set _ZN9rocsolver6v33100L23getf2_npvt_small_kernelILi25E19rocblas_complex_numIdEiiPS3_EEvT1_T3_lS5_lPT2_S5_S5_.numbered_sgpr, 20
	.set _ZN9rocsolver6v33100L23getf2_npvt_small_kernelILi25E19rocblas_complex_numIdEiiPS3_EEvT1_T3_lS5_lPT2_S5_S5_.num_named_barrier, 0
	.set _ZN9rocsolver6v33100L23getf2_npvt_small_kernelILi25E19rocblas_complex_numIdEiiPS3_EEvT1_T3_lS5_lPT2_S5_S5_.private_seg_size, 44
	.set _ZN9rocsolver6v33100L23getf2_npvt_small_kernelILi25E19rocblas_complex_numIdEiiPS3_EEvT1_T3_lS5_lPT2_S5_S5_.uses_vcc, 1
	.set _ZN9rocsolver6v33100L23getf2_npvt_small_kernelILi25E19rocblas_complex_numIdEiiPS3_EEvT1_T3_lS5_lPT2_S5_S5_.uses_flat_scratch, 0
	.set _ZN9rocsolver6v33100L23getf2_npvt_small_kernelILi25E19rocblas_complex_numIdEiiPS3_EEvT1_T3_lS5_lPT2_S5_S5_.has_dyn_sized_stack, 0
	.set _ZN9rocsolver6v33100L23getf2_npvt_small_kernelILi25E19rocblas_complex_numIdEiiPS3_EEvT1_T3_lS5_lPT2_S5_S5_.has_recursion, 0
	.set _ZN9rocsolver6v33100L23getf2_npvt_small_kernelILi25E19rocblas_complex_numIdEiiPS3_EEvT1_T3_lS5_lPT2_S5_S5_.has_indirect_call, 0
	.section	.AMDGPU.csdata,"",@progbits
; Kernel info:
; codeLenInByte = 39416
; TotalNumSgprs: 22
; NumVgprs: 256
; ScratchSize: 44
; MemoryBound: 1
; FloatMode: 240
; IeeeMode: 1
; LDSByteSize: 0 bytes/workgroup (compile time only)
; SGPRBlocks: 0
; VGPRBlocks: 31
; NumSGPRsForWavesPerEU: 22
; NumVGPRsForWavesPerEU: 256
; Occupancy: 4
; WaveLimiterHint : 0
; COMPUTE_PGM_RSRC2:SCRATCH_EN: 1
; COMPUTE_PGM_RSRC2:USER_SGPR: 6
; COMPUTE_PGM_RSRC2:TRAP_HANDLER: 0
; COMPUTE_PGM_RSRC2:TGID_X_EN: 1
; COMPUTE_PGM_RSRC2:TGID_Y_EN: 1
; COMPUTE_PGM_RSRC2:TGID_Z_EN: 0
; COMPUTE_PGM_RSRC2:TIDIG_COMP_CNT: 1
	.section	.text._ZN9rocsolver6v33100L18getf2_small_kernelILi26E19rocblas_complex_numIdEiiPS3_EEvT1_T3_lS5_lPS5_llPT2_S5_S5_S7_l,"axG",@progbits,_ZN9rocsolver6v33100L18getf2_small_kernelILi26E19rocblas_complex_numIdEiiPS3_EEvT1_T3_lS5_lPS5_llPT2_S5_S5_S7_l,comdat
	.globl	_ZN9rocsolver6v33100L18getf2_small_kernelILi26E19rocblas_complex_numIdEiiPS3_EEvT1_T3_lS5_lPS5_llPT2_S5_S5_S7_l ; -- Begin function _ZN9rocsolver6v33100L18getf2_small_kernelILi26E19rocblas_complex_numIdEiiPS3_EEvT1_T3_lS5_lPS5_llPT2_S5_S5_S7_l
	.p2align	8
	.type	_ZN9rocsolver6v33100L18getf2_small_kernelILi26E19rocblas_complex_numIdEiiPS3_EEvT1_T3_lS5_lPS5_llPT2_S5_S5_S7_l,@function
_ZN9rocsolver6v33100L18getf2_small_kernelILi26E19rocblas_complex_numIdEiiPS3_EEvT1_T3_lS5_lPS5_llPT2_S5_S5_S7_l: ; @_ZN9rocsolver6v33100L18getf2_small_kernelILi26E19rocblas_complex_numIdEiiPS3_EEvT1_T3_lS5_lPS5_llPT2_S5_S5_S7_l
; %bb.0:
	s_clause 0x1
	s_load_dword s0, s[4:5], 0x6c
	s_load_dwordx2 s[16:17], s[4:5], 0x48
	s_waitcnt lgkmcnt(0)
	s_lshr_b32 s0, s0, 16
	v_mad_u64_u32 v[110:111], null, s7, s0, v[1:2]
	s_mov_b32 s0, exec_lo
	v_cmpx_gt_i32_e64 s16, v110
	s_cbranch_execz .LBB50_549
; %bb.1:
	s_load_dwordx4 s[0:3], s[4:5], 0x50
	v_mov_b32_e32 v112, 0
	v_ashrrev_i32_e32 v111, 31, v110
	v_mov_b32_e32 v113, 0
	s_waitcnt lgkmcnt(0)
	s_cmp_eq_u64 s[0:1], 0
	s_cselect_b32 s16, -1, 0
	s_and_b32 vcc_lo, exec_lo, s16
	s_cbranch_vccnz .LBB50_3
; %bb.2:
	v_mul_lo_u32 v4, s3, v110
	v_mul_lo_u32 v5, s2, v111
	v_mad_u64_u32 v[2:3], null, s2, v110, 0
	v_add3_u32 v3, v3, v5, v4
	v_lshlrev_b64 v[2:3], 2, v[2:3]
	v_add_co_u32 v112, vcc_lo, s0, v2
	v_add_co_ci_u32_e64 v113, null, s1, v3, vcc_lo
.LBB50_3:
	s_clause 0x2
	s_load_dwordx8 s[8:15], s[4:5], 0x20
	s_load_dword s6, s[4:5], 0x18
	s_load_dwordx4 s[0:3], s[4:5], 0x8
	v_lshlrev_b32_e32 v116, 4, v0
	s_waitcnt lgkmcnt(0)
	v_mul_lo_u32 v5, s9, v110
	v_mul_lo_u32 v7, s8, v111
	v_mad_u64_u32 v[2:3], null, s8, v110, 0
	v_add3_u32 v4, s6, s6, v0
	s_lshl_b64 s[2:3], s[2:3], 4
	s_ashr_i32 s7, s6, 31
	s_lshl_b64 s[8:9], s[6:7], 4
	v_add_nc_u32_e32 v6, s6, v4
	v_add3_u32 v3, v3, v7, v5
	v_ashrrev_i32_e32 v5, 31, v4
	v_add_nc_u32_e32 v8, s6, v6
	v_lshlrev_b64 v[2:3], 4, v[2:3]
	v_ashrrev_i32_e32 v7, 31, v6
	v_lshlrev_b64 v[4:5], 4, v[4:5]
	v_ashrrev_i32_e32 v9, 31, v8
	v_add_nc_u32_e32 v10, s6, v8
	v_add_co_u32 v12, vcc_lo, s0, v2
	v_add_co_ci_u32_e64 v13, null, s1, v3, vcc_lo
	v_lshlrev_b64 v[2:3], 4, v[8:9]
	v_add_nc_u32_e32 v8, s6, v10
	v_add_co_u32 v117, vcc_lo, v12, s2
	v_ashrrev_i32_e32 v11, 31, v10
	v_add_co_ci_u32_e64 v118, null, s3, v13, vcc_lo
	v_add_nc_u32_e32 v12, s6, v8
	v_lshlrev_b64 v[6:7], 4, v[6:7]
	v_ashrrev_i32_e32 v9, 31, v8
	v_add_co_u32 v14, vcc_lo, v117, v116
	v_add_nc_u32_e32 v16, s6, v12
	v_ashrrev_i32_e32 v13, 31, v12
	v_lshlrev_b64 v[10:11], 4, v[10:11]
	v_add_co_ci_u32_e64 v15, null, 0, v118, vcc_lo
	v_add_nc_u32_e32 v18, s6, v16
	v_add_co_u32 v4, vcc_lo, v117, v4
	v_ashrrev_i32_e32 v17, 31, v16
	v_add_co_ci_u32_e64 v5, null, v118, v5, vcc_lo
	v_add_nc_u32_e32 v20, s6, v18
	v_add_co_u32 v6, vcc_lo, v117, v6
	v_lshlrev_b64 v[8:9], 4, v[8:9]
	v_ashrrev_i32_e32 v19, 31, v18
	v_add_nc_u32_e32 v22, s6, v20
	v_add_co_ci_u32_e64 v7, null, v118, v7, vcc_lo
	v_add_co_u32 v2, vcc_lo, v117, v2
	v_add_nc_u32_e32 v24, s6, v22
	v_lshlrev_b64 v[12:13], 4, v[12:13]
	v_ashrrev_i32_e32 v21, 31, v20
	v_add_co_ci_u32_e64 v3, null, v118, v3, vcc_lo
	v_add_nc_u32_e32 v26, s6, v24
	v_add_co_u32 v10, vcc_lo, v117, v10
	v_lshlrev_b64 v[16:17], 4, v[16:17]
	v_ashrrev_i32_e32 v23, 31, v22
	v_add_nc_u32_e32 v28, s6, v26
	v_add_co_ci_u32_e64 v11, null, v118, v11, vcc_lo
	v_add_co_u32 v8, vcc_lo, v117, v8
	v_add_nc_u32_e32 v30, s6, v28
	v_lshlrev_b64 v[18:19], 4, v[18:19]
	v_ashrrev_i32_e32 v25, 31, v24
	v_add_co_ci_u32_e64 v9, null, v118, v9, vcc_lo
	v_add_nc_u32_e32 v32, s6, v30
	v_add_co_u32 v12, vcc_lo, v117, v12
	v_lshlrev_b64 v[20:21], 4, v[20:21]
	v_ashrrev_i32_e32 v27, 31, v26
	v_add_nc_u32_e32 v34, s6, v32
	v_add_co_ci_u32_e64 v13, null, v118, v13, vcc_lo
	v_add_co_u32 v16, vcc_lo, v117, v16
	v_lshlrev_b64 v[22:23], 4, v[22:23]
	v_ashrrev_i32_e32 v29, 31, v28
	v_add_co_ci_u32_e64 v17, null, v118, v17, vcc_lo
	v_add_co_u32 v18, vcc_lo, v117, v18
	v_lshlrev_b64 v[24:25], 4, v[24:25]
	v_add_nc_u32_e32 v36, s6, v34
	v_ashrrev_i32_e32 v31, 31, v30
	v_add_co_ci_u32_e64 v19, null, v118, v19, vcc_lo
	v_add_co_u32 v20, vcc_lo, v117, v20
	v_lshlrev_b64 v[26:27], 4, v[26:27]
	v_ashrrev_i32_e32 v33, 31, v32
	v_add_co_ci_u32_e64 v21, null, v118, v21, vcc_lo
	v_add_co_u32 v22, vcc_lo, v117, v22
	v_lshlrev_b64 v[28:29], 4, v[28:29]
	v_ashrrev_i32_e32 v35, 31, v34
	v_add_nc_u32_e32 v38, s6, v36
	v_add_co_ci_u32_e64 v23, null, v118, v23, vcc_lo
	v_add_co_u32 v24, vcc_lo, v117, v24
	v_lshlrev_b64 v[30:31], 4, v[30:31]
	v_ashrrev_i32_e32 v37, 31, v36
	v_add_co_ci_u32_e64 v25, null, v118, v25, vcc_lo
	v_add_co_u32 v26, vcc_lo, v117, v26
	v_lshlrev_b64 v[32:33], 4, v[32:33]
	v_add_co_ci_u32_e64 v27, null, v118, v27, vcc_lo
	v_add_co_u32 v28, vcc_lo, v117, v28
	v_lshlrev_b64 v[34:35], 4, v[34:35]
	v_add_nc_u32_e32 v40, s6, v38
	v_add_co_ci_u32_e64 v29, null, v118, v29, vcc_lo
	v_add_co_u32 v30, vcc_lo, v117, v30
	v_lshlrev_b64 v[36:37], 4, v[36:37]
	v_ashrrev_i32_e32 v39, 31, v38
	v_add_co_ci_u32_e64 v31, null, v118, v31, vcc_lo
	v_add_co_u32 v32, vcc_lo, v117, v32
	v_ashrrev_i32_e32 v41, 31, v40
	v_add_nc_u32_e32 v42, s6, v40
	v_add_co_ci_u32_e64 v33, null, v118, v33, vcc_lo
	v_add_co_u32 v34, vcc_lo, v117, v34
	v_lshlrev_b64 v[38:39], 4, v[38:39]
	v_add_co_ci_u32_e64 v35, null, v118, v35, vcc_lo
	v_add_co_u32 v106, vcc_lo, v117, v36
	v_add_co_ci_u32_e64 v107, null, v118, v37, vcc_lo
	v_lshlrev_b64 v[36:37], 4, v[40:41]
	v_ashrrev_i32_e32 v43, 31, v42
	v_add_nc_u32_e32 v40, s6, v42
	v_add_co_u32 v108, vcc_lo, v117, v38
	v_add_co_ci_u32_e64 v109, null, v118, v39, vcc_lo
	v_lshlrev_b64 v[38:39], 4, v[42:43]
	v_ashrrev_i32_e32 v41, 31, v40
	v_add_nc_u32_e32 v42, s6, v40
	v_add_co_u32 v114, vcc_lo, v117, v36
	v_add_co_ci_u32_e64 v115, null, v118, v37, vcc_lo
	v_lshlrev_b64 v[36:37], 4, v[40:41]
	v_add_nc_u32_e32 v40, s6, v42
	v_ashrrev_i32_e32 v43, 31, v42
	v_add_co_u32 v119, vcc_lo, v117, v38
	v_add_co_ci_u32_e64 v120, null, v118, v39, vcc_lo
	v_ashrrev_i32_e32 v41, 31, v40
	v_lshlrev_b64 v[38:39], 4, v[42:43]
	v_add_nc_u32_e32 v42, s6, v40
	v_add_co_u32 v121, vcc_lo, v117, v36
	v_add_co_ci_u32_e64 v122, null, v118, v37, vcc_lo
	v_lshlrev_b64 v[36:37], 4, v[40:41]
	v_ashrrev_i32_e32 v43, 31, v42
	v_add_co_u32 v123, vcc_lo, v117, v38
	v_add_co_ci_u32_e64 v124, null, v118, v39, vcc_lo
	v_lshlrev_b64 v[38:39], 4, v[42:43]
	v_add_co_u32 v125, vcc_lo, v117, v36
	v_add_co_ci_u32_e64 v126, null, v118, v37, vcc_lo
	v_add_co_u32 v36, vcc_lo, v14, s8
	v_add_co_ci_u32_e64 v37, null, s9, v15, vcc_lo
	;; [unrolled: 2-line block ×3, first 2 shown]
	s_clause 0x19
	global_load_dwordx4 v[102:105], v[14:15], off
	global_load_dwordx4 v[90:93], v[36:37], off
	;; [unrolled: 1-line block ×26, first 2 shown]
	s_clause 0x1
	s_load_dword s3, s[4:5], 0x0
	s_load_dwordx2 s[4:5], s[4:5], 0x40
	s_waitcnt lgkmcnt(0)
	s_max_i32 s0, s3, 26
	s_cmp_lt_i32 s3, 2
	v_mul_lo_u32 v114, s0, v1
	v_lshl_add_u32 v1, v114, 4, 0
	v_add_nc_u32_e32 v106, v1, v116
	v_lshlrev_b32_e32 v116, 4, v114
	v_mov_b32_e32 v114, 0
	s_waitcnt vmcnt(25)
	ds_write2_b64 v106, v[102:103], v[104:105] offset1:1
	s_waitcnt vmcnt(0) lgkmcnt(0)
	s_barrier
	buffer_gl0_inv
	ds_read2_b64 v[106:109], v1 offset1:1
	s_cbranch_scc1 .LBB50_6
; %bb.4:
	v_add3_u32 v115, v116, 0, 16
	v_mov_b32_e32 v114, 0
	s_mov_b32 s7, 1
	s_inst_prefetch 0x1
	.p2align	6
.LBB50_5:                               ; =>This Inner Loop Header: Depth=1
	ds_read2_b64 v[119:122], v115 offset1:1
	s_waitcnt lgkmcnt(1)
	v_cmp_gt_f64_e32 vcc_lo, 0, v[106:107]
	v_cmp_gt_f64_e64 s0, 0, v[108:109]
	v_xor_b32_e32 v124, 0x80000000, v107
	v_xor_b32_e32 v126, 0x80000000, v109
	v_mov_b32_e32 v123, v106
	v_mov_b32_e32 v125, v108
	v_add_nc_u32_e32 v115, 16, v115
	s_waitcnt lgkmcnt(0)
	v_cmp_gt_f64_e64 s1, 0, v[119:120]
	v_cmp_gt_f64_e64 s2, 0, v[121:122]
	v_xor_b32_e32 v128, 0x80000000, v120
	v_xor_b32_e32 v130, 0x80000000, v122
	v_mov_b32_e32 v127, v119
	v_mov_b32_e32 v129, v121
	v_cndmask_b32_e32 v124, v107, v124, vcc_lo
	v_cndmask_b32_e64 v126, v109, v126, s0
	v_add_f64 v[123:124], v[123:124], v[125:126]
	v_cndmask_b32_e64 v128, v120, v128, s1
	v_cndmask_b32_e64 v130, v122, v130, s2
	v_add_f64 v[125:126], v[127:128], v[129:130]
	v_cmp_lt_f64_e32 vcc_lo, v[123:124], v[125:126]
	v_cndmask_b32_e32 v107, v107, v120, vcc_lo
	v_cndmask_b32_e32 v106, v106, v119, vcc_lo
	;; [unrolled: 1-line block ×4, first 2 shown]
	v_cndmask_b32_e64 v114, v114, s7, vcc_lo
	s_add_i32 s7, s7, 1
	s_cmp_eq_u32 s3, s7
	s_cbranch_scc0 .LBB50_5
.LBB50_6:
	s_inst_prefetch 0x2
	s_waitcnt lgkmcnt(0)
	v_cmp_neq_f64_e32 vcc_lo, 0, v[106:107]
	v_cmp_neq_f64_e64 s0, 0, v[108:109]
	v_mov_b32_e32 v119, 1
	v_mov_b32_e32 v121, 1
	s_or_b32 s1, vcc_lo, s0
	s_and_saveexec_b32 s0, s1
	s_cbranch_execz .LBB50_12
; %bb.7:
	v_cmp_ngt_f64_e64 s1, |v[106:107]|, |v[108:109]|
	s_and_saveexec_b32 s2, s1
	s_xor_b32 s1, exec_lo, s2
	s_cbranch_execz .LBB50_9
; %bb.8:
	v_div_scale_f64 v[119:120], null, v[108:109], v[108:109], v[106:107]
	v_div_scale_f64 v[125:126], vcc_lo, v[106:107], v[108:109], v[106:107]
	v_rcp_f64_e32 v[121:122], v[119:120]
	v_fma_f64 v[123:124], -v[119:120], v[121:122], 1.0
	v_fma_f64 v[121:122], v[121:122], v[123:124], v[121:122]
	v_fma_f64 v[123:124], -v[119:120], v[121:122], 1.0
	v_fma_f64 v[121:122], v[121:122], v[123:124], v[121:122]
	v_mul_f64 v[123:124], v[125:126], v[121:122]
	v_fma_f64 v[119:120], -v[119:120], v[123:124], v[125:126]
	v_div_fmas_f64 v[119:120], v[119:120], v[121:122], v[123:124]
	v_div_fixup_f64 v[119:120], v[119:120], v[108:109], v[106:107]
	v_fma_f64 v[106:107], v[106:107], v[119:120], v[108:109]
	v_div_scale_f64 v[108:109], null, v[106:107], v[106:107], 1.0
	v_rcp_f64_e32 v[121:122], v[108:109]
	v_fma_f64 v[123:124], -v[108:109], v[121:122], 1.0
	v_fma_f64 v[121:122], v[121:122], v[123:124], v[121:122]
	v_fma_f64 v[123:124], -v[108:109], v[121:122], 1.0
	v_fma_f64 v[121:122], v[121:122], v[123:124], v[121:122]
	v_div_scale_f64 v[123:124], vcc_lo, 1.0, v[106:107], 1.0
	v_mul_f64 v[125:126], v[123:124], v[121:122]
	v_fma_f64 v[108:109], -v[108:109], v[125:126], v[123:124]
	v_div_fmas_f64 v[108:109], v[108:109], v[121:122], v[125:126]
	v_div_fixup_f64 v[108:109], v[108:109], v[106:107], 1.0
	v_mul_f64 v[106:107], v[119:120], v[108:109]
	v_xor_b32_e32 v109, 0x80000000, v109
.LBB50_9:
	s_andn2_saveexec_b32 s1, s1
	s_cbranch_execz .LBB50_11
; %bb.10:
	v_div_scale_f64 v[119:120], null, v[106:107], v[106:107], v[108:109]
	v_div_scale_f64 v[125:126], vcc_lo, v[108:109], v[106:107], v[108:109]
	v_rcp_f64_e32 v[121:122], v[119:120]
	v_fma_f64 v[123:124], -v[119:120], v[121:122], 1.0
	v_fma_f64 v[121:122], v[121:122], v[123:124], v[121:122]
	v_fma_f64 v[123:124], -v[119:120], v[121:122], 1.0
	v_fma_f64 v[121:122], v[121:122], v[123:124], v[121:122]
	v_mul_f64 v[123:124], v[125:126], v[121:122]
	v_fma_f64 v[119:120], -v[119:120], v[123:124], v[125:126]
	v_div_fmas_f64 v[119:120], v[119:120], v[121:122], v[123:124]
	v_div_fixup_f64 v[119:120], v[119:120], v[106:107], v[108:109]
	v_fma_f64 v[106:107], v[108:109], v[119:120], v[106:107]
	v_div_scale_f64 v[108:109], null, v[106:107], v[106:107], 1.0
	v_rcp_f64_e32 v[121:122], v[108:109]
	v_fma_f64 v[123:124], -v[108:109], v[121:122], 1.0
	v_fma_f64 v[121:122], v[121:122], v[123:124], v[121:122]
	v_fma_f64 v[123:124], -v[108:109], v[121:122], 1.0
	v_fma_f64 v[121:122], v[121:122], v[123:124], v[121:122]
	v_div_scale_f64 v[123:124], vcc_lo, 1.0, v[106:107], 1.0
	v_mul_f64 v[125:126], v[123:124], v[121:122]
	v_fma_f64 v[108:109], -v[108:109], v[125:126], v[123:124]
	v_div_fmas_f64 v[108:109], v[108:109], v[121:122], v[125:126]
	v_div_fixup_f64 v[106:107], v[108:109], v[106:107], 1.0
	v_mul_f64 v[108:109], v[119:120], -v[106:107]
.LBB50_11:
	s_or_b32 exec_lo, exec_lo, s1
	v_mov_b32_e32 v121, 0
	v_mov_b32_e32 v119, 2
.LBB50_12:
	s_or_b32 exec_lo, exec_lo, s0
	s_mov_b32 s0, exec_lo
	v_cmpx_ne_u32_e64 v0, v114
	s_xor_b32 s0, exec_lo, s0
	s_cbranch_execz .LBB50_18
; %bb.13:
	s_mov_b32 s1, exec_lo
	v_cmpx_eq_u32_e32 0, v0
	s_cbranch_execz .LBB50_17
; %bb.14:
	v_cmp_ne_u32_e32 vcc_lo, 0, v114
	s_xor_b32 s2, s16, -1
	s_and_b32 s7, s2, vcc_lo
	s_and_saveexec_b32 s2, s7
	s_cbranch_execz .LBB50_16
; %bb.15:
	v_ashrrev_i32_e32 v115, 31, v114
	v_lshlrev_b64 v[122:123], 2, v[114:115]
	v_add_co_u32 v122, vcc_lo, v112, v122
	v_add_co_ci_u32_e64 v123, null, v113, v123, vcc_lo
	s_clause 0x1
	global_load_dword v0, v[122:123], off
	global_load_dword v115, v[112:113], off
	s_waitcnt vmcnt(1)
	global_store_dword v[112:113], v0, off
	s_waitcnt vmcnt(0)
	global_store_dword v[122:123], v115, off
.LBB50_16:
	s_or_b32 exec_lo, exec_lo, s2
	v_mov_b32_e32 v0, v114
.LBB50_17:
	s_or_b32 exec_lo, exec_lo, s1
.LBB50_18:
	s_or_saveexec_b32 s0, s0
	v_mov_b32_e32 v120, v0
	s_xor_b32 exec_lo, exec_lo, s0
	s_cbranch_execz .LBB50_20
; %bb.19:
	v_mov_b32_e32 v120, 0
	ds_write2_b64 v1, v[90:91], v[92:93] offset0:2 offset1:3
	ds_write2_b64 v1, v[98:99], v[100:101] offset0:4 offset1:5
	ds_write2_b64 v1, v[94:95], v[96:97] offset0:6 offset1:7
	ds_write2_b64 v1, v[86:87], v[88:89] offset0:8 offset1:9
	ds_write2_b64 v1, v[82:83], v[84:85] offset0:10 offset1:11
	ds_write2_b64 v1, v[78:79], v[80:81] offset0:12 offset1:13
	ds_write2_b64 v1, v[74:75], v[76:77] offset0:14 offset1:15
	ds_write2_b64 v1, v[70:71], v[72:73] offset0:16 offset1:17
	ds_write2_b64 v1, v[66:67], v[68:69] offset0:18 offset1:19
	ds_write2_b64 v1, v[62:63], v[64:65] offset0:20 offset1:21
	ds_write2_b64 v1, v[58:59], v[60:61] offset0:22 offset1:23
	ds_write2_b64 v1, v[54:55], v[56:57] offset0:24 offset1:25
	ds_write2_b64 v1, v[50:51], v[52:53] offset0:26 offset1:27
	ds_write2_b64 v1, v[46:47], v[48:49] offset0:28 offset1:29
	ds_write2_b64 v1, v[42:43], v[44:45] offset0:30 offset1:31
	ds_write2_b64 v1, v[38:39], v[40:41] offset0:32 offset1:33
	ds_write2_b64 v1, v[34:35], v[36:37] offset0:34 offset1:35
	ds_write2_b64 v1, v[30:31], v[32:33] offset0:36 offset1:37
	ds_write2_b64 v1, v[26:27], v[28:29] offset0:38 offset1:39
	ds_write2_b64 v1, v[22:23], v[24:25] offset0:40 offset1:41
	ds_write2_b64 v1, v[18:19], v[20:21] offset0:42 offset1:43
	ds_write2_b64 v1, v[14:15], v[16:17] offset0:44 offset1:45
	ds_write2_b64 v1, v[10:11], v[12:13] offset0:46 offset1:47
	ds_write2_b64 v1, v[6:7], v[8:9] offset0:48 offset1:49
	ds_write2_b64 v1, v[2:3], v[4:5] offset0:50 offset1:51
.LBB50_20:
	s_or_b32 exec_lo, exec_lo, s0
	s_mov_b32 s0, exec_lo
	s_waitcnt lgkmcnt(0)
	s_waitcnt_vscnt null, 0x0
	s_barrier
	buffer_gl0_inv
	v_cmpx_lt_i32_e32 0, v120
	s_cbranch_execz .LBB50_22
; %bb.21:
	v_mul_f64 v[114:115], v[108:109], v[104:105]
	v_mul_f64 v[104:105], v[106:107], v[104:105]
	v_fma_f64 v[114:115], v[106:107], v[102:103], -v[114:115]
	v_fma_f64 v[104:105], v[108:109], v[102:103], v[104:105]
	ds_read2_b64 v[106:109], v1 offset0:2 offset1:3
	s_waitcnt lgkmcnt(0)
	v_mul_f64 v[102:103], v[108:109], v[104:105]
	v_fma_f64 v[102:103], v[106:107], v[114:115], -v[102:103]
	v_mul_f64 v[106:107], v[106:107], v[104:105]
	v_add_f64 v[90:91], v[90:91], -v[102:103]
	v_fma_f64 v[106:107], v[108:109], v[114:115], v[106:107]
	v_add_f64 v[92:93], v[92:93], -v[106:107]
	ds_read2_b64 v[106:109], v1 offset0:4 offset1:5
	s_waitcnt lgkmcnt(0)
	v_mul_f64 v[102:103], v[108:109], v[104:105]
	v_fma_f64 v[102:103], v[106:107], v[114:115], -v[102:103]
	v_mul_f64 v[106:107], v[106:107], v[104:105]
	v_add_f64 v[98:99], v[98:99], -v[102:103]
	v_fma_f64 v[106:107], v[108:109], v[114:115], v[106:107]
	v_add_f64 v[100:101], v[100:101], -v[106:107]
	;; [unrolled: 8-line block ×24, first 2 shown]
	ds_read2_b64 v[106:109], v1 offset0:50 offset1:51
	s_waitcnt lgkmcnt(0)
	v_mul_f64 v[102:103], v[108:109], v[104:105]
	v_fma_f64 v[102:103], v[106:107], v[114:115], -v[102:103]
	v_mul_f64 v[106:107], v[106:107], v[104:105]
	v_add_f64 v[2:3], v[2:3], -v[102:103]
	v_fma_f64 v[106:107], v[108:109], v[114:115], v[106:107]
	v_mov_b32_e32 v102, v114
	v_mov_b32_e32 v103, v115
	v_add_f64 v[4:5], v[4:5], -v[106:107]
.LBB50_22:
	s_or_b32 exec_lo, exec_lo, s0
	v_lshl_add_u32 v106, v120, 4, v1
	s_barrier
	buffer_gl0_inv
	v_mov_b32_e32 v114, 1
	ds_write2_b64 v106, v[90:91], v[92:93] offset1:1
	s_waitcnt lgkmcnt(0)
	s_barrier
	buffer_gl0_inv
	ds_read2_b64 v[106:109], v1 offset0:2 offset1:3
	s_cmp_lt_i32 s3, 3
	s_cbranch_scc1 .LBB50_25
; %bb.23:
	v_add3_u32 v115, v116, 0, 32
	v_mov_b32_e32 v114, 1
	s_mov_b32 s1, 2
	s_inst_prefetch 0x1
	.p2align	6
.LBB50_24:                              ; =>This Inner Loop Header: Depth=1
	s_waitcnt lgkmcnt(0)
	v_cmp_gt_f64_e32 vcc_lo, 0, v[108:109]
	v_cmp_gt_f64_e64 s0, 0, v[106:107]
	ds_read2_b64 v[122:125], v115 offset1:1
	v_xor_b32_e32 v127, 0x80000000, v107
	v_xor_b32_e32 v129, 0x80000000, v109
	v_mov_b32_e32 v126, v106
	v_mov_b32_e32 v128, v108
	v_add_nc_u32_e32 v115, 16, v115
	s_waitcnt lgkmcnt(0)
	v_xor_b32_e32 v131, 0x80000000, v125
	v_cndmask_b32_e64 v127, v107, v127, s0
	v_cndmask_b32_e32 v129, v109, v129, vcc_lo
	v_cmp_gt_f64_e32 vcc_lo, 0, v[124:125]
	v_cmp_gt_f64_e64 s0, 0, v[122:123]
	v_mov_b32_e32 v130, v124
	v_add_f64 v[126:127], v[126:127], v[128:129]
	v_xor_b32_e32 v129, 0x80000000, v123
	v_mov_b32_e32 v128, v122
	v_cndmask_b32_e32 v131, v125, v131, vcc_lo
	v_cndmask_b32_e64 v129, v123, v129, s0
	v_add_f64 v[128:129], v[128:129], v[130:131]
	v_cmp_lt_f64_e32 vcc_lo, v[126:127], v[128:129]
	v_cndmask_b32_e32 v107, v107, v123, vcc_lo
	v_cndmask_b32_e32 v106, v106, v122, vcc_lo
	v_cndmask_b32_e32 v109, v109, v125, vcc_lo
	v_cndmask_b32_e32 v108, v108, v124, vcc_lo
	v_cndmask_b32_e64 v114, v114, s1, vcc_lo
	s_add_i32 s1, s1, 1
	s_cmp_lg_u32 s3, s1
	s_cbranch_scc1 .LBB50_24
.LBB50_25:
	s_inst_prefetch 0x2
	s_waitcnt lgkmcnt(0)
	v_cmp_neq_f64_e32 vcc_lo, 0, v[106:107]
	v_cmp_neq_f64_e64 s0, 0, v[108:109]
	s_or_b32 s1, vcc_lo, s0
	s_and_saveexec_b32 s0, s1
	s_cbranch_execz .LBB50_31
; %bb.26:
	v_cmp_ngt_f64_e64 s1, |v[106:107]|, |v[108:109]|
	s_and_saveexec_b32 s2, s1
	s_xor_b32 s1, exec_lo, s2
	s_cbranch_execz .LBB50_28
; %bb.27:
	v_div_scale_f64 v[122:123], null, v[108:109], v[108:109], v[106:107]
	v_div_scale_f64 v[128:129], vcc_lo, v[106:107], v[108:109], v[106:107]
	v_rcp_f64_e32 v[124:125], v[122:123]
	v_fma_f64 v[126:127], -v[122:123], v[124:125], 1.0
	v_fma_f64 v[124:125], v[124:125], v[126:127], v[124:125]
	v_fma_f64 v[126:127], -v[122:123], v[124:125], 1.0
	v_fma_f64 v[124:125], v[124:125], v[126:127], v[124:125]
	v_mul_f64 v[126:127], v[128:129], v[124:125]
	v_fma_f64 v[122:123], -v[122:123], v[126:127], v[128:129]
	v_div_fmas_f64 v[122:123], v[122:123], v[124:125], v[126:127]
	v_div_fixup_f64 v[122:123], v[122:123], v[108:109], v[106:107]
	v_fma_f64 v[106:107], v[106:107], v[122:123], v[108:109]
	v_div_scale_f64 v[108:109], null, v[106:107], v[106:107], 1.0
	v_rcp_f64_e32 v[124:125], v[108:109]
	v_fma_f64 v[126:127], -v[108:109], v[124:125], 1.0
	v_fma_f64 v[124:125], v[124:125], v[126:127], v[124:125]
	v_fma_f64 v[126:127], -v[108:109], v[124:125], 1.0
	v_fma_f64 v[124:125], v[124:125], v[126:127], v[124:125]
	v_div_scale_f64 v[126:127], vcc_lo, 1.0, v[106:107], 1.0
	v_mul_f64 v[128:129], v[126:127], v[124:125]
	v_fma_f64 v[108:109], -v[108:109], v[128:129], v[126:127]
	v_div_fmas_f64 v[108:109], v[108:109], v[124:125], v[128:129]
	v_div_fixup_f64 v[108:109], v[108:109], v[106:107], 1.0
	v_mul_f64 v[106:107], v[122:123], v[108:109]
	v_xor_b32_e32 v109, 0x80000000, v109
.LBB50_28:
	s_andn2_saveexec_b32 s1, s1
	s_cbranch_execz .LBB50_30
; %bb.29:
	v_div_scale_f64 v[122:123], null, v[106:107], v[106:107], v[108:109]
	v_div_scale_f64 v[128:129], vcc_lo, v[108:109], v[106:107], v[108:109]
	v_rcp_f64_e32 v[124:125], v[122:123]
	v_fma_f64 v[126:127], -v[122:123], v[124:125], 1.0
	v_fma_f64 v[124:125], v[124:125], v[126:127], v[124:125]
	v_fma_f64 v[126:127], -v[122:123], v[124:125], 1.0
	v_fma_f64 v[124:125], v[124:125], v[126:127], v[124:125]
	v_mul_f64 v[126:127], v[128:129], v[124:125]
	v_fma_f64 v[122:123], -v[122:123], v[126:127], v[128:129]
	v_div_fmas_f64 v[122:123], v[122:123], v[124:125], v[126:127]
	v_div_fixup_f64 v[122:123], v[122:123], v[106:107], v[108:109]
	v_fma_f64 v[106:107], v[108:109], v[122:123], v[106:107]
	v_div_scale_f64 v[108:109], null, v[106:107], v[106:107], 1.0
	v_rcp_f64_e32 v[124:125], v[108:109]
	v_fma_f64 v[126:127], -v[108:109], v[124:125], 1.0
	v_fma_f64 v[124:125], v[124:125], v[126:127], v[124:125]
	v_fma_f64 v[126:127], -v[108:109], v[124:125], 1.0
	v_fma_f64 v[124:125], v[124:125], v[126:127], v[124:125]
	v_div_scale_f64 v[126:127], vcc_lo, 1.0, v[106:107], 1.0
	v_mul_f64 v[128:129], v[126:127], v[124:125]
	v_fma_f64 v[108:109], -v[108:109], v[128:129], v[126:127]
	v_div_fmas_f64 v[108:109], v[108:109], v[124:125], v[128:129]
	v_div_fixup_f64 v[106:107], v[108:109], v[106:107], 1.0
	v_mul_f64 v[108:109], v[122:123], -v[106:107]
.LBB50_30:
	s_or_b32 exec_lo, exec_lo, s1
	v_mov_b32_e32 v119, v121
.LBB50_31:
	s_or_b32 exec_lo, exec_lo, s0
	s_mov_b32 s0, exec_lo
	v_cmpx_ne_u32_e64 v120, v114
	s_xor_b32 s0, exec_lo, s0
	s_cbranch_execz .LBB50_37
; %bb.32:
	s_mov_b32 s1, exec_lo
	v_cmpx_eq_u32_e32 1, v120
	s_cbranch_execz .LBB50_36
; %bb.33:
	v_cmp_ne_u32_e32 vcc_lo, 1, v114
	s_xor_b32 s2, s16, -1
	s_and_b32 s7, s2, vcc_lo
	s_and_saveexec_b32 s2, s7
	s_cbranch_execz .LBB50_35
; %bb.34:
	v_ashrrev_i32_e32 v115, 31, v114
	v_lshlrev_b64 v[120:121], 2, v[114:115]
	v_add_co_u32 v120, vcc_lo, v112, v120
	v_add_co_ci_u32_e64 v121, null, v113, v121, vcc_lo
	s_clause 0x1
	global_load_dword v0, v[120:121], off
	global_load_dword v115, v[112:113], off offset:4
	s_waitcnt vmcnt(1)
	global_store_dword v[112:113], v0, off offset:4
	s_waitcnt vmcnt(0)
	global_store_dword v[120:121], v115, off
.LBB50_35:
	s_or_b32 exec_lo, exec_lo, s2
	v_mov_b32_e32 v120, v114
	v_mov_b32_e32 v0, v114
.LBB50_36:
	s_or_b32 exec_lo, exec_lo, s1
.LBB50_37:
	s_andn2_saveexec_b32 s0, s0
	s_cbranch_execz .LBB50_39
; %bb.38:
	v_mov_b32_e32 v120, 1
	ds_write2_b64 v1, v[98:99], v[100:101] offset0:4 offset1:5
	ds_write2_b64 v1, v[94:95], v[96:97] offset0:6 offset1:7
	;; [unrolled: 1-line block ×24, first 2 shown]
.LBB50_39:
	s_or_b32 exec_lo, exec_lo, s0
	s_mov_b32 s0, exec_lo
	s_waitcnt lgkmcnt(0)
	s_waitcnt_vscnt null, 0x0
	s_barrier
	buffer_gl0_inv
	v_cmpx_lt_i32_e32 1, v120
	s_cbranch_execz .LBB50_41
; %bb.40:
	v_mul_f64 v[114:115], v[108:109], v[92:93]
	v_mul_f64 v[92:93], v[106:107], v[92:93]
	v_fma_f64 v[114:115], v[106:107], v[90:91], -v[114:115]
	v_fma_f64 v[92:93], v[108:109], v[90:91], v[92:93]
	ds_read2_b64 v[106:109], v1 offset0:4 offset1:5
	s_waitcnt lgkmcnt(0)
	v_mul_f64 v[90:91], v[108:109], v[92:93]
	v_fma_f64 v[90:91], v[106:107], v[114:115], -v[90:91]
	v_mul_f64 v[106:107], v[106:107], v[92:93]
	v_add_f64 v[98:99], v[98:99], -v[90:91]
	v_fma_f64 v[106:107], v[108:109], v[114:115], v[106:107]
	v_add_f64 v[100:101], v[100:101], -v[106:107]
	ds_read2_b64 v[106:109], v1 offset0:6 offset1:7
	s_waitcnt lgkmcnt(0)
	v_mul_f64 v[90:91], v[108:109], v[92:93]
	v_fma_f64 v[90:91], v[106:107], v[114:115], -v[90:91]
	v_mul_f64 v[106:107], v[106:107], v[92:93]
	v_add_f64 v[94:95], v[94:95], -v[90:91]
	v_fma_f64 v[106:107], v[108:109], v[114:115], v[106:107]
	v_add_f64 v[96:97], v[96:97], -v[106:107]
	;; [unrolled: 8-line block ×23, first 2 shown]
	ds_read2_b64 v[106:109], v1 offset0:50 offset1:51
	s_waitcnt lgkmcnt(0)
	v_mul_f64 v[90:91], v[108:109], v[92:93]
	v_fma_f64 v[90:91], v[106:107], v[114:115], -v[90:91]
	v_mul_f64 v[106:107], v[106:107], v[92:93]
	v_add_f64 v[2:3], v[2:3], -v[90:91]
	v_fma_f64 v[106:107], v[108:109], v[114:115], v[106:107]
	v_mov_b32_e32 v90, v114
	v_mov_b32_e32 v91, v115
	v_add_f64 v[4:5], v[4:5], -v[106:107]
.LBB50_41:
	s_or_b32 exec_lo, exec_lo, s0
	v_lshl_add_u32 v106, v120, 4, v1
	s_barrier
	buffer_gl0_inv
	v_mov_b32_e32 v114, 2
	ds_write2_b64 v106, v[98:99], v[100:101] offset1:1
	s_waitcnt lgkmcnt(0)
	s_barrier
	buffer_gl0_inv
	ds_read2_b64 v[106:109], v1 offset0:4 offset1:5
	s_cmp_lt_i32 s3, 4
	s_cbranch_scc1 .LBB50_44
; %bb.42:
	v_add3_u32 v115, v116, 0, 48
	v_mov_b32_e32 v114, 2
	s_mov_b32 s1, 3
	s_inst_prefetch 0x1
	.p2align	6
.LBB50_43:                              ; =>This Inner Loop Header: Depth=1
	s_waitcnt lgkmcnt(0)
	v_cmp_gt_f64_e32 vcc_lo, 0, v[108:109]
	v_cmp_gt_f64_e64 s0, 0, v[106:107]
	ds_read2_b64 v[121:124], v115 offset1:1
	v_xor_b32_e32 v126, 0x80000000, v107
	v_xor_b32_e32 v128, 0x80000000, v109
	v_mov_b32_e32 v125, v106
	v_mov_b32_e32 v127, v108
	v_add_nc_u32_e32 v115, 16, v115
	s_waitcnt lgkmcnt(0)
	v_xor_b32_e32 v130, 0x80000000, v124
	v_cndmask_b32_e64 v126, v107, v126, s0
	v_cndmask_b32_e32 v128, v109, v128, vcc_lo
	v_cmp_gt_f64_e32 vcc_lo, 0, v[123:124]
	v_cmp_gt_f64_e64 s0, 0, v[121:122]
	v_mov_b32_e32 v129, v123
	v_add_f64 v[125:126], v[125:126], v[127:128]
	v_xor_b32_e32 v128, 0x80000000, v122
	v_mov_b32_e32 v127, v121
	v_cndmask_b32_e32 v130, v124, v130, vcc_lo
	v_cndmask_b32_e64 v128, v122, v128, s0
	v_add_f64 v[127:128], v[127:128], v[129:130]
	v_cmp_lt_f64_e32 vcc_lo, v[125:126], v[127:128]
	v_cndmask_b32_e32 v107, v107, v122, vcc_lo
	v_cndmask_b32_e32 v106, v106, v121, vcc_lo
	;; [unrolled: 1-line block ×4, first 2 shown]
	v_cndmask_b32_e64 v114, v114, s1, vcc_lo
	s_add_i32 s1, s1, 1
	s_cmp_lg_u32 s3, s1
	s_cbranch_scc1 .LBB50_43
.LBB50_44:
	s_inst_prefetch 0x2
	s_waitcnt lgkmcnt(0)
	v_cmp_eq_f64_e32 vcc_lo, 0, v[106:107]
	v_cmp_eq_f64_e64 s0, 0, v[108:109]
	s_and_b32 s0, vcc_lo, s0
	s_and_saveexec_b32 s1, s0
	s_xor_b32 s0, exec_lo, s1
; %bb.45:
	v_cmp_ne_u32_e32 vcc_lo, 0, v119
	v_cndmask_b32_e32 v119, 3, v119, vcc_lo
; %bb.46:
	s_andn2_saveexec_b32 s0, s0
	s_cbranch_execz .LBB50_52
; %bb.47:
	v_cmp_ngt_f64_e64 s1, |v[106:107]|, |v[108:109]|
	s_and_saveexec_b32 s2, s1
	s_xor_b32 s1, exec_lo, s2
	s_cbranch_execz .LBB50_49
; %bb.48:
	v_div_scale_f64 v[121:122], null, v[108:109], v[108:109], v[106:107]
	v_div_scale_f64 v[127:128], vcc_lo, v[106:107], v[108:109], v[106:107]
	v_rcp_f64_e32 v[123:124], v[121:122]
	v_fma_f64 v[125:126], -v[121:122], v[123:124], 1.0
	v_fma_f64 v[123:124], v[123:124], v[125:126], v[123:124]
	v_fma_f64 v[125:126], -v[121:122], v[123:124], 1.0
	v_fma_f64 v[123:124], v[123:124], v[125:126], v[123:124]
	v_mul_f64 v[125:126], v[127:128], v[123:124]
	v_fma_f64 v[121:122], -v[121:122], v[125:126], v[127:128]
	v_div_fmas_f64 v[121:122], v[121:122], v[123:124], v[125:126]
	v_div_fixup_f64 v[121:122], v[121:122], v[108:109], v[106:107]
	v_fma_f64 v[106:107], v[106:107], v[121:122], v[108:109]
	v_div_scale_f64 v[108:109], null, v[106:107], v[106:107], 1.0
	v_rcp_f64_e32 v[123:124], v[108:109]
	v_fma_f64 v[125:126], -v[108:109], v[123:124], 1.0
	v_fma_f64 v[123:124], v[123:124], v[125:126], v[123:124]
	v_fma_f64 v[125:126], -v[108:109], v[123:124], 1.0
	v_fma_f64 v[123:124], v[123:124], v[125:126], v[123:124]
	v_div_scale_f64 v[125:126], vcc_lo, 1.0, v[106:107], 1.0
	v_mul_f64 v[127:128], v[125:126], v[123:124]
	v_fma_f64 v[108:109], -v[108:109], v[127:128], v[125:126]
	v_div_fmas_f64 v[108:109], v[108:109], v[123:124], v[127:128]
	v_div_fixup_f64 v[108:109], v[108:109], v[106:107], 1.0
	v_mul_f64 v[106:107], v[121:122], v[108:109]
	v_xor_b32_e32 v109, 0x80000000, v109
.LBB50_49:
	s_andn2_saveexec_b32 s1, s1
	s_cbranch_execz .LBB50_51
; %bb.50:
	v_div_scale_f64 v[121:122], null, v[106:107], v[106:107], v[108:109]
	v_div_scale_f64 v[127:128], vcc_lo, v[108:109], v[106:107], v[108:109]
	v_rcp_f64_e32 v[123:124], v[121:122]
	v_fma_f64 v[125:126], -v[121:122], v[123:124], 1.0
	v_fma_f64 v[123:124], v[123:124], v[125:126], v[123:124]
	v_fma_f64 v[125:126], -v[121:122], v[123:124], 1.0
	v_fma_f64 v[123:124], v[123:124], v[125:126], v[123:124]
	v_mul_f64 v[125:126], v[127:128], v[123:124]
	v_fma_f64 v[121:122], -v[121:122], v[125:126], v[127:128]
	v_div_fmas_f64 v[121:122], v[121:122], v[123:124], v[125:126]
	v_div_fixup_f64 v[121:122], v[121:122], v[106:107], v[108:109]
	v_fma_f64 v[106:107], v[108:109], v[121:122], v[106:107]
	v_div_scale_f64 v[108:109], null, v[106:107], v[106:107], 1.0
	v_rcp_f64_e32 v[123:124], v[108:109]
	v_fma_f64 v[125:126], -v[108:109], v[123:124], 1.0
	v_fma_f64 v[123:124], v[123:124], v[125:126], v[123:124]
	v_fma_f64 v[125:126], -v[108:109], v[123:124], 1.0
	v_fma_f64 v[123:124], v[123:124], v[125:126], v[123:124]
	v_div_scale_f64 v[125:126], vcc_lo, 1.0, v[106:107], 1.0
	v_mul_f64 v[127:128], v[125:126], v[123:124]
	v_fma_f64 v[108:109], -v[108:109], v[127:128], v[125:126]
	v_div_fmas_f64 v[108:109], v[108:109], v[123:124], v[127:128]
	v_div_fixup_f64 v[106:107], v[108:109], v[106:107], 1.0
	v_mul_f64 v[108:109], v[121:122], -v[106:107]
.LBB50_51:
	s_or_b32 exec_lo, exec_lo, s1
.LBB50_52:
	s_or_b32 exec_lo, exec_lo, s0
	s_mov_b32 s0, exec_lo
	v_cmpx_ne_u32_e64 v120, v114
	s_xor_b32 s0, exec_lo, s0
	s_cbranch_execz .LBB50_58
; %bb.53:
	s_mov_b32 s1, exec_lo
	v_cmpx_eq_u32_e32 2, v120
	s_cbranch_execz .LBB50_57
; %bb.54:
	v_cmp_ne_u32_e32 vcc_lo, 2, v114
	s_xor_b32 s2, s16, -1
	s_and_b32 s7, s2, vcc_lo
	s_and_saveexec_b32 s2, s7
	s_cbranch_execz .LBB50_56
; %bb.55:
	v_ashrrev_i32_e32 v115, 31, v114
	v_lshlrev_b64 v[120:121], 2, v[114:115]
	v_add_co_u32 v120, vcc_lo, v112, v120
	v_add_co_ci_u32_e64 v121, null, v113, v121, vcc_lo
	s_clause 0x1
	global_load_dword v0, v[120:121], off
	global_load_dword v115, v[112:113], off offset:8
	s_waitcnt vmcnt(1)
	global_store_dword v[112:113], v0, off offset:8
	s_waitcnt vmcnt(0)
	global_store_dword v[120:121], v115, off
.LBB50_56:
	s_or_b32 exec_lo, exec_lo, s2
	v_mov_b32_e32 v120, v114
	v_mov_b32_e32 v0, v114
.LBB50_57:
	s_or_b32 exec_lo, exec_lo, s1
.LBB50_58:
	s_andn2_saveexec_b32 s0, s0
	s_cbranch_execz .LBB50_60
; %bb.59:
	v_mov_b32_e32 v120, 2
	ds_write2_b64 v1, v[94:95], v[96:97] offset0:6 offset1:7
	ds_write2_b64 v1, v[86:87], v[88:89] offset0:8 offset1:9
	;; [unrolled: 1-line block ×23, first 2 shown]
.LBB50_60:
	s_or_b32 exec_lo, exec_lo, s0
	s_mov_b32 s0, exec_lo
	s_waitcnt lgkmcnt(0)
	s_waitcnt_vscnt null, 0x0
	s_barrier
	buffer_gl0_inv
	v_cmpx_lt_i32_e32 2, v120
	s_cbranch_execz .LBB50_62
; %bb.61:
	v_mul_f64 v[114:115], v[108:109], v[100:101]
	v_mul_f64 v[100:101], v[106:107], v[100:101]
	v_fma_f64 v[114:115], v[106:107], v[98:99], -v[114:115]
	v_fma_f64 v[100:101], v[108:109], v[98:99], v[100:101]
	ds_read2_b64 v[106:109], v1 offset0:6 offset1:7
	s_waitcnt lgkmcnt(0)
	v_mul_f64 v[98:99], v[108:109], v[100:101]
	v_fma_f64 v[98:99], v[106:107], v[114:115], -v[98:99]
	v_mul_f64 v[106:107], v[106:107], v[100:101]
	v_add_f64 v[94:95], v[94:95], -v[98:99]
	v_fma_f64 v[106:107], v[108:109], v[114:115], v[106:107]
	v_add_f64 v[96:97], v[96:97], -v[106:107]
	ds_read2_b64 v[106:109], v1 offset0:8 offset1:9
	s_waitcnt lgkmcnt(0)
	v_mul_f64 v[98:99], v[108:109], v[100:101]
	v_fma_f64 v[98:99], v[106:107], v[114:115], -v[98:99]
	v_mul_f64 v[106:107], v[106:107], v[100:101]
	v_add_f64 v[86:87], v[86:87], -v[98:99]
	v_fma_f64 v[106:107], v[108:109], v[114:115], v[106:107]
	v_add_f64 v[88:89], v[88:89], -v[106:107]
	ds_read2_b64 v[106:109], v1 offset0:10 offset1:11
	s_waitcnt lgkmcnt(0)
	v_mul_f64 v[98:99], v[108:109], v[100:101]
	v_fma_f64 v[98:99], v[106:107], v[114:115], -v[98:99]
	v_mul_f64 v[106:107], v[106:107], v[100:101]
	v_add_f64 v[82:83], v[82:83], -v[98:99]
	v_fma_f64 v[106:107], v[108:109], v[114:115], v[106:107]
	v_add_f64 v[84:85], v[84:85], -v[106:107]
	ds_read2_b64 v[106:109], v1 offset0:12 offset1:13
	s_waitcnt lgkmcnt(0)
	v_mul_f64 v[98:99], v[108:109], v[100:101]
	v_fma_f64 v[98:99], v[106:107], v[114:115], -v[98:99]
	v_mul_f64 v[106:107], v[106:107], v[100:101]
	v_add_f64 v[78:79], v[78:79], -v[98:99]
	v_fma_f64 v[106:107], v[108:109], v[114:115], v[106:107]
	v_add_f64 v[80:81], v[80:81], -v[106:107]
	ds_read2_b64 v[106:109], v1 offset0:14 offset1:15
	s_waitcnt lgkmcnt(0)
	v_mul_f64 v[98:99], v[108:109], v[100:101]
	v_fma_f64 v[98:99], v[106:107], v[114:115], -v[98:99]
	v_mul_f64 v[106:107], v[106:107], v[100:101]
	v_add_f64 v[74:75], v[74:75], -v[98:99]
	v_fma_f64 v[106:107], v[108:109], v[114:115], v[106:107]
	v_add_f64 v[76:77], v[76:77], -v[106:107]
	ds_read2_b64 v[106:109], v1 offset0:16 offset1:17
	s_waitcnt lgkmcnt(0)
	v_mul_f64 v[98:99], v[108:109], v[100:101]
	v_fma_f64 v[98:99], v[106:107], v[114:115], -v[98:99]
	v_mul_f64 v[106:107], v[106:107], v[100:101]
	v_add_f64 v[70:71], v[70:71], -v[98:99]
	v_fma_f64 v[106:107], v[108:109], v[114:115], v[106:107]
	v_add_f64 v[72:73], v[72:73], -v[106:107]
	ds_read2_b64 v[106:109], v1 offset0:18 offset1:19
	s_waitcnt lgkmcnt(0)
	v_mul_f64 v[98:99], v[108:109], v[100:101]
	v_fma_f64 v[98:99], v[106:107], v[114:115], -v[98:99]
	v_mul_f64 v[106:107], v[106:107], v[100:101]
	v_add_f64 v[66:67], v[66:67], -v[98:99]
	v_fma_f64 v[106:107], v[108:109], v[114:115], v[106:107]
	v_add_f64 v[68:69], v[68:69], -v[106:107]
	ds_read2_b64 v[106:109], v1 offset0:20 offset1:21
	s_waitcnt lgkmcnt(0)
	v_mul_f64 v[98:99], v[108:109], v[100:101]
	v_fma_f64 v[98:99], v[106:107], v[114:115], -v[98:99]
	v_mul_f64 v[106:107], v[106:107], v[100:101]
	v_add_f64 v[62:63], v[62:63], -v[98:99]
	v_fma_f64 v[106:107], v[108:109], v[114:115], v[106:107]
	v_add_f64 v[64:65], v[64:65], -v[106:107]
	ds_read2_b64 v[106:109], v1 offset0:22 offset1:23
	s_waitcnt lgkmcnt(0)
	v_mul_f64 v[98:99], v[108:109], v[100:101]
	v_fma_f64 v[98:99], v[106:107], v[114:115], -v[98:99]
	v_mul_f64 v[106:107], v[106:107], v[100:101]
	v_add_f64 v[58:59], v[58:59], -v[98:99]
	v_fma_f64 v[106:107], v[108:109], v[114:115], v[106:107]
	v_add_f64 v[60:61], v[60:61], -v[106:107]
	ds_read2_b64 v[106:109], v1 offset0:24 offset1:25
	s_waitcnt lgkmcnt(0)
	v_mul_f64 v[98:99], v[108:109], v[100:101]
	v_fma_f64 v[98:99], v[106:107], v[114:115], -v[98:99]
	v_mul_f64 v[106:107], v[106:107], v[100:101]
	v_add_f64 v[54:55], v[54:55], -v[98:99]
	v_fma_f64 v[106:107], v[108:109], v[114:115], v[106:107]
	v_add_f64 v[56:57], v[56:57], -v[106:107]
	ds_read2_b64 v[106:109], v1 offset0:26 offset1:27
	s_waitcnt lgkmcnt(0)
	v_mul_f64 v[98:99], v[108:109], v[100:101]
	v_fma_f64 v[98:99], v[106:107], v[114:115], -v[98:99]
	v_mul_f64 v[106:107], v[106:107], v[100:101]
	v_add_f64 v[50:51], v[50:51], -v[98:99]
	v_fma_f64 v[106:107], v[108:109], v[114:115], v[106:107]
	v_add_f64 v[52:53], v[52:53], -v[106:107]
	ds_read2_b64 v[106:109], v1 offset0:28 offset1:29
	s_waitcnt lgkmcnt(0)
	v_mul_f64 v[98:99], v[108:109], v[100:101]
	v_fma_f64 v[98:99], v[106:107], v[114:115], -v[98:99]
	v_mul_f64 v[106:107], v[106:107], v[100:101]
	v_add_f64 v[46:47], v[46:47], -v[98:99]
	v_fma_f64 v[106:107], v[108:109], v[114:115], v[106:107]
	v_add_f64 v[48:49], v[48:49], -v[106:107]
	ds_read2_b64 v[106:109], v1 offset0:30 offset1:31
	s_waitcnt lgkmcnt(0)
	v_mul_f64 v[98:99], v[108:109], v[100:101]
	v_fma_f64 v[98:99], v[106:107], v[114:115], -v[98:99]
	v_mul_f64 v[106:107], v[106:107], v[100:101]
	v_add_f64 v[42:43], v[42:43], -v[98:99]
	v_fma_f64 v[106:107], v[108:109], v[114:115], v[106:107]
	v_add_f64 v[44:45], v[44:45], -v[106:107]
	ds_read2_b64 v[106:109], v1 offset0:32 offset1:33
	s_waitcnt lgkmcnt(0)
	v_mul_f64 v[98:99], v[108:109], v[100:101]
	v_fma_f64 v[98:99], v[106:107], v[114:115], -v[98:99]
	v_mul_f64 v[106:107], v[106:107], v[100:101]
	v_add_f64 v[38:39], v[38:39], -v[98:99]
	v_fma_f64 v[106:107], v[108:109], v[114:115], v[106:107]
	v_add_f64 v[40:41], v[40:41], -v[106:107]
	ds_read2_b64 v[106:109], v1 offset0:34 offset1:35
	s_waitcnt lgkmcnt(0)
	v_mul_f64 v[98:99], v[108:109], v[100:101]
	v_fma_f64 v[98:99], v[106:107], v[114:115], -v[98:99]
	v_mul_f64 v[106:107], v[106:107], v[100:101]
	v_add_f64 v[34:35], v[34:35], -v[98:99]
	v_fma_f64 v[106:107], v[108:109], v[114:115], v[106:107]
	v_add_f64 v[36:37], v[36:37], -v[106:107]
	ds_read2_b64 v[106:109], v1 offset0:36 offset1:37
	s_waitcnt lgkmcnt(0)
	v_mul_f64 v[98:99], v[108:109], v[100:101]
	v_fma_f64 v[98:99], v[106:107], v[114:115], -v[98:99]
	v_mul_f64 v[106:107], v[106:107], v[100:101]
	v_add_f64 v[30:31], v[30:31], -v[98:99]
	v_fma_f64 v[106:107], v[108:109], v[114:115], v[106:107]
	v_add_f64 v[32:33], v[32:33], -v[106:107]
	ds_read2_b64 v[106:109], v1 offset0:38 offset1:39
	s_waitcnt lgkmcnt(0)
	v_mul_f64 v[98:99], v[108:109], v[100:101]
	v_fma_f64 v[98:99], v[106:107], v[114:115], -v[98:99]
	v_mul_f64 v[106:107], v[106:107], v[100:101]
	v_add_f64 v[26:27], v[26:27], -v[98:99]
	v_fma_f64 v[106:107], v[108:109], v[114:115], v[106:107]
	v_add_f64 v[28:29], v[28:29], -v[106:107]
	ds_read2_b64 v[106:109], v1 offset0:40 offset1:41
	s_waitcnt lgkmcnt(0)
	v_mul_f64 v[98:99], v[108:109], v[100:101]
	v_fma_f64 v[98:99], v[106:107], v[114:115], -v[98:99]
	v_mul_f64 v[106:107], v[106:107], v[100:101]
	v_add_f64 v[22:23], v[22:23], -v[98:99]
	v_fma_f64 v[106:107], v[108:109], v[114:115], v[106:107]
	v_add_f64 v[24:25], v[24:25], -v[106:107]
	ds_read2_b64 v[106:109], v1 offset0:42 offset1:43
	s_waitcnt lgkmcnt(0)
	v_mul_f64 v[98:99], v[108:109], v[100:101]
	v_fma_f64 v[98:99], v[106:107], v[114:115], -v[98:99]
	v_mul_f64 v[106:107], v[106:107], v[100:101]
	v_add_f64 v[18:19], v[18:19], -v[98:99]
	v_fma_f64 v[106:107], v[108:109], v[114:115], v[106:107]
	v_add_f64 v[20:21], v[20:21], -v[106:107]
	ds_read2_b64 v[106:109], v1 offset0:44 offset1:45
	s_waitcnt lgkmcnt(0)
	v_mul_f64 v[98:99], v[108:109], v[100:101]
	v_fma_f64 v[98:99], v[106:107], v[114:115], -v[98:99]
	v_mul_f64 v[106:107], v[106:107], v[100:101]
	v_add_f64 v[14:15], v[14:15], -v[98:99]
	v_fma_f64 v[106:107], v[108:109], v[114:115], v[106:107]
	v_add_f64 v[16:17], v[16:17], -v[106:107]
	ds_read2_b64 v[106:109], v1 offset0:46 offset1:47
	s_waitcnt lgkmcnt(0)
	v_mul_f64 v[98:99], v[108:109], v[100:101]
	v_fma_f64 v[98:99], v[106:107], v[114:115], -v[98:99]
	v_mul_f64 v[106:107], v[106:107], v[100:101]
	v_add_f64 v[10:11], v[10:11], -v[98:99]
	v_fma_f64 v[106:107], v[108:109], v[114:115], v[106:107]
	v_add_f64 v[12:13], v[12:13], -v[106:107]
	ds_read2_b64 v[106:109], v1 offset0:48 offset1:49
	s_waitcnt lgkmcnt(0)
	v_mul_f64 v[98:99], v[108:109], v[100:101]
	v_fma_f64 v[98:99], v[106:107], v[114:115], -v[98:99]
	v_mul_f64 v[106:107], v[106:107], v[100:101]
	v_add_f64 v[6:7], v[6:7], -v[98:99]
	v_fma_f64 v[106:107], v[108:109], v[114:115], v[106:107]
	v_add_f64 v[8:9], v[8:9], -v[106:107]
	ds_read2_b64 v[106:109], v1 offset0:50 offset1:51
	s_waitcnt lgkmcnt(0)
	v_mul_f64 v[98:99], v[108:109], v[100:101]
	v_fma_f64 v[98:99], v[106:107], v[114:115], -v[98:99]
	v_mul_f64 v[106:107], v[106:107], v[100:101]
	v_add_f64 v[2:3], v[2:3], -v[98:99]
	v_fma_f64 v[106:107], v[108:109], v[114:115], v[106:107]
	v_mov_b32_e32 v98, v114
	v_mov_b32_e32 v99, v115
	v_add_f64 v[4:5], v[4:5], -v[106:107]
.LBB50_62:
	s_or_b32 exec_lo, exec_lo, s0
	v_lshl_add_u32 v106, v120, 4, v1
	s_barrier
	buffer_gl0_inv
	v_mov_b32_e32 v114, 3
	ds_write2_b64 v106, v[94:95], v[96:97] offset1:1
	s_waitcnt lgkmcnt(0)
	s_barrier
	buffer_gl0_inv
	ds_read2_b64 v[106:109], v1 offset0:6 offset1:7
	s_cmp_lt_i32 s3, 5
	s_mov_b32 s1, 4
	s_cbranch_scc1 .LBB50_65
; %bb.63:
	v_add3_u32 v115, v116, 0, 64
	v_mov_b32_e32 v114, 3
	s_inst_prefetch 0x1
	.p2align	6
.LBB50_64:                              ; =>This Inner Loop Header: Depth=1
	s_waitcnt lgkmcnt(0)
	v_cmp_gt_f64_e32 vcc_lo, 0, v[108:109]
	v_cmp_gt_f64_e64 s0, 0, v[106:107]
	ds_read2_b64 v[121:124], v115 offset1:1
	v_xor_b32_e32 v126, 0x80000000, v107
	v_xor_b32_e32 v128, 0x80000000, v109
	v_mov_b32_e32 v125, v106
	v_mov_b32_e32 v127, v108
	v_add_nc_u32_e32 v115, 16, v115
	s_waitcnt lgkmcnt(0)
	v_xor_b32_e32 v130, 0x80000000, v124
	v_cndmask_b32_e64 v126, v107, v126, s0
	v_cndmask_b32_e32 v128, v109, v128, vcc_lo
	v_cmp_gt_f64_e32 vcc_lo, 0, v[123:124]
	v_cmp_gt_f64_e64 s0, 0, v[121:122]
	v_mov_b32_e32 v129, v123
	v_add_f64 v[125:126], v[125:126], v[127:128]
	v_xor_b32_e32 v128, 0x80000000, v122
	v_mov_b32_e32 v127, v121
	v_cndmask_b32_e32 v130, v124, v130, vcc_lo
	v_cndmask_b32_e64 v128, v122, v128, s0
	v_add_f64 v[127:128], v[127:128], v[129:130]
	v_cmp_lt_f64_e32 vcc_lo, v[125:126], v[127:128]
	v_cndmask_b32_e32 v107, v107, v122, vcc_lo
	v_cndmask_b32_e32 v106, v106, v121, vcc_lo
	;; [unrolled: 1-line block ×4, first 2 shown]
	v_cndmask_b32_e64 v114, v114, s1, vcc_lo
	s_add_i32 s1, s1, 1
	s_cmp_lg_u32 s3, s1
	s_cbranch_scc1 .LBB50_64
.LBB50_65:
	s_inst_prefetch 0x2
	s_waitcnt lgkmcnt(0)
	v_cmp_eq_f64_e32 vcc_lo, 0, v[106:107]
	v_cmp_eq_f64_e64 s0, 0, v[108:109]
	s_and_b32 s0, vcc_lo, s0
	s_and_saveexec_b32 s1, s0
	s_xor_b32 s0, exec_lo, s1
; %bb.66:
	v_cmp_ne_u32_e32 vcc_lo, 0, v119
	v_cndmask_b32_e32 v119, 4, v119, vcc_lo
; %bb.67:
	s_andn2_saveexec_b32 s0, s0
	s_cbranch_execz .LBB50_73
; %bb.68:
	v_cmp_ngt_f64_e64 s1, |v[106:107]|, |v[108:109]|
	s_and_saveexec_b32 s2, s1
	s_xor_b32 s1, exec_lo, s2
	s_cbranch_execz .LBB50_70
; %bb.69:
	v_div_scale_f64 v[121:122], null, v[108:109], v[108:109], v[106:107]
	v_div_scale_f64 v[127:128], vcc_lo, v[106:107], v[108:109], v[106:107]
	v_rcp_f64_e32 v[123:124], v[121:122]
	v_fma_f64 v[125:126], -v[121:122], v[123:124], 1.0
	v_fma_f64 v[123:124], v[123:124], v[125:126], v[123:124]
	v_fma_f64 v[125:126], -v[121:122], v[123:124], 1.0
	v_fma_f64 v[123:124], v[123:124], v[125:126], v[123:124]
	v_mul_f64 v[125:126], v[127:128], v[123:124]
	v_fma_f64 v[121:122], -v[121:122], v[125:126], v[127:128]
	v_div_fmas_f64 v[121:122], v[121:122], v[123:124], v[125:126]
	v_div_fixup_f64 v[121:122], v[121:122], v[108:109], v[106:107]
	v_fma_f64 v[106:107], v[106:107], v[121:122], v[108:109]
	v_div_scale_f64 v[108:109], null, v[106:107], v[106:107], 1.0
	v_rcp_f64_e32 v[123:124], v[108:109]
	v_fma_f64 v[125:126], -v[108:109], v[123:124], 1.0
	v_fma_f64 v[123:124], v[123:124], v[125:126], v[123:124]
	v_fma_f64 v[125:126], -v[108:109], v[123:124], 1.0
	v_fma_f64 v[123:124], v[123:124], v[125:126], v[123:124]
	v_div_scale_f64 v[125:126], vcc_lo, 1.0, v[106:107], 1.0
	v_mul_f64 v[127:128], v[125:126], v[123:124]
	v_fma_f64 v[108:109], -v[108:109], v[127:128], v[125:126]
	v_div_fmas_f64 v[108:109], v[108:109], v[123:124], v[127:128]
	v_div_fixup_f64 v[108:109], v[108:109], v[106:107], 1.0
	v_mul_f64 v[106:107], v[121:122], v[108:109]
	v_xor_b32_e32 v109, 0x80000000, v109
.LBB50_70:
	s_andn2_saveexec_b32 s1, s1
	s_cbranch_execz .LBB50_72
; %bb.71:
	v_div_scale_f64 v[121:122], null, v[106:107], v[106:107], v[108:109]
	v_div_scale_f64 v[127:128], vcc_lo, v[108:109], v[106:107], v[108:109]
	v_rcp_f64_e32 v[123:124], v[121:122]
	v_fma_f64 v[125:126], -v[121:122], v[123:124], 1.0
	v_fma_f64 v[123:124], v[123:124], v[125:126], v[123:124]
	v_fma_f64 v[125:126], -v[121:122], v[123:124], 1.0
	v_fma_f64 v[123:124], v[123:124], v[125:126], v[123:124]
	v_mul_f64 v[125:126], v[127:128], v[123:124]
	v_fma_f64 v[121:122], -v[121:122], v[125:126], v[127:128]
	v_div_fmas_f64 v[121:122], v[121:122], v[123:124], v[125:126]
	v_div_fixup_f64 v[121:122], v[121:122], v[106:107], v[108:109]
	v_fma_f64 v[106:107], v[108:109], v[121:122], v[106:107]
	v_div_scale_f64 v[108:109], null, v[106:107], v[106:107], 1.0
	v_rcp_f64_e32 v[123:124], v[108:109]
	v_fma_f64 v[125:126], -v[108:109], v[123:124], 1.0
	v_fma_f64 v[123:124], v[123:124], v[125:126], v[123:124]
	v_fma_f64 v[125:126], -v[108:109], v[123:124], 1.0
	v_fma_f64 v[123:124], v[123:124], v[125:126], v[123:124]
	v_div_scale_f64 v[125:126], vcc_lo, 1.0, v[106:107], 1.0
	v_mul_f64 v[127:128], v[125:126], v[123:124]
	v_fma_f64 v[108:109], -v[108:109], v[127:128], v[125:126]
	v_div_fmas_f64 v[108:109], v[108:109], v[123:124], v[127:128]
	v_div_fixup_f64 v[106:107], v[108:109], v[106:107], 1.0
	v_mul_f64 v[108:109], v[121:122], -v[106:107]
.LBB50_72:
	s_or_b32 exec_lo, exec_lo, s1
.LBB50_73:
	s_or_b32 exec_lo, exec_lo, s0
	s_mov_b32 s0, exec_lo
	v_cmpx_ne_u32_e64 v120, v114
	s_xor_b32 s0, exec_lo, s0
	s_cbranch_execz .LBB50_79
; %bb.74:
	s_mov_b32 s1, exec_lo
	v_cmpx_eq_u32_e32 3, v120
	s_cbranch_execz .LBB50_78
; %bb.75:
	v_cmp_ne_u32_e32 vcc_lo, 3, v114
	s_xor_b32 s2, s16, -1
	s_and_b32 s7, s2, vcc_lo
	s_and_saveexec_b32 s2, s7
	s_cbranch_execz .LBB50_77
; %bb.76:
	v_ashrrev_i32_e32 v115, 31, v114
	v_lshlrev_b64 v[120:121], 2, v[114:115]
	v_add_co_u32 v120, vcc_lo, v112, v120
	v_add_co_ci_u32_e64 v121, null, v113, v121, vcc_lo
	s_clause 0x1
	global_load_dword v0, v[120:121], off
	global_load_dword v115, v[112:113], off offset:12
	s_waitcnt vmcnt(1)
	global_store_dword v[112:113], v0, off offset:12
	s_waitcnt vmcnt(0)
	global_store_dword v[120:121], v115, off
.LBB50_77:
	s_or_b32 exec_lo, exec_lo, s2
	v_mov_b32_e32 v120, v114
	v_mov_b32_e32 v0, v114
.LBB50_78:
	s_or_b32 exec_lo, exec_lo, s1
.LBB50_79:
	s_andn2_saveexec_b32 s0, s0
	s_cbranch_execz .LBB50_81
; %bb.80:
	v_mov_b32_e32 v120, 3
	ds_write2_b64 v1, v[86:87], v[88:89] offset0:8 offset1:9
	ds_write2_b64 v1, v[82:83], v[84:85] offset0:10 offset1:11
	;; [unrolled: 1-line block ×22, first 2 shown]
.LBB50_81:
	s_or_b32 exec_lo, exec_lo, s0
	s_mov_b32 s0, exec_lo
	s_waitcnt lgkmcnt(0)
	s_waitcnt_vscnt null, 0x0
	s_barrier
	buffer_gl0_inv
	v_cmpx_lt_i32_e32 3, v120
	s_cbranch_execz .LBB50_83
; %bb.82:
	v_mul_f64 v[114:115], v[108:109], v[96:97]
	v_mul_f64 v[96:97], v[106:107], v[96:97]
	v_fma_f64 v[114:115], v[106:107], v[94:95], -v[114:115]
	v_fma_f64 v[96:97], v[108:109], v[94:95], v[96:97]
	ds_read2_b64 v[106:109], v1 offset0:8 offset1:9
	s_waitcnt lgkmcnt(0)
	v_mul_f64 v[94:95], v[108:109], v[96:97]
	v_fma_f64 v[94:95], v[106:107], v[114:115], -v[94:95]
	v_mul_f64 v[106:107], v[106:107], v[96:97]
	v_add_f64 v[86:87], v[86:87], -v[94:95]
	v_fma_f64 v[106:107], v[108:109], v[114:115], v[106:107]
	v_add_f64 v[88:89], v[88:89], -v[106:107]
	ds_read2_b64 v[106:109], v1 offset0:10 offset1:11
	s_waitcnt lgkmcnt(0)
	v_mul_f64 v[94:95], v[108:109], v[96:97]
	v_fma_f64 v[94:95], v[106:107], v[114:115], -v[94:95]
	v_mul_f64 v[106:107], v[106:107], v[96:97]
	v_add_f64 v[82:83], v[82:83], -v[94:95]
	v_fma_f64 v[106:107], v[108:109], v[114:115], v[106:107]
	v_add_f64 v[84:85], v[84:85], -v[106:107]
	;; [unrolled: 8-line block ×21, first 2 shown]
	ds_read2_b64 v[106:109], v1 offset0:50 offset1:51
	s_waitcnt lgkmcnt(0)
	v_mul_f64 v[94:95], v[108:109], v[96:97]
	v_fma_f64 v[94:95], v[106:107], v[114:115], -v[94:95]
	v_mul_f64 v[106:107], v[106:107], v[96:97]
	v_add_f64 v[2:3], v[2:3], -v[94:95]
	v_fma_f64 v[106:107], v[108:109], v[114:115], v[106:107]
	v_mov_b32_e32 v94, v114
	v_mov_b32_e32 v95, v115
	v_add_f64 v[4:5], v[4:5], -v[106:107]
.LBB50_83:
	s_or_b32 exec_lo, exec_lo, s0
	v_lshl_add_u32 v106, v120, 4, v1
	s_barrier
	buffer_gl0_inv
	v_mov_b32_e32 v114, 4
	ds_write2_b64 v106, v[86:87], v[88:89] offset1:1
	s_waitcnt lgkmcnt(0)
	s_barrier
	buffer_gl0_inv
	ds_read2_b64 v[106:109], v1 offset0:8 offset1:9
	s_cmp_lt_i32 s3, 6
	s_cbranch_scc1 .LBB50_86
; %bb.84:
	v_mov_b32_e32 v114, 4
	v_add3_u32 v115, v116, 0, 0x50
	s_mov_b32 s1, 5
	s_inst_prefetch 0x1
	.p2align	6
.LBB50_85:                              ; =>This Inner Loop Header: Depth=1
	s_waitcnt lgkmcnt(0)
	v_cmp_gt_f64_e32 vcc_lo, 0, v[108:109]
	v_cmp_gt_f64_e64 s0, 0, v[106:107]
	ds_read2_b64 v[121:124], v115 offset1:1
	v_xor_b32_e32 v126, 0x80000000, v107
	v_xor_b32_e32 v128, 0x80000000, v109
	v_mov_b32_e32 v125, v106
	v_mov_b32_e32 v127, v108
	v_add_nc_u32_e32 v115, 16, v115
	s_waitcnt lgkmcnt(0)
	v_xor_b32_e32 v130, 0x80000000, v124
	v_cndmask_b32_e64 v126, v107, v126, s0
	v_cndmask_b32_e32 v128, v109, v128, vcc_lo
	v_cmp_gt_f64_e32 vcc_lo, 0, v[123:124]
	v_cmp_gt_f64_e64 s0, 0, v[121:122]
	v_mov_b32_e32 v129, v123
	v_add_f64 v[125:126], v[125:126], v[127:128]
	v_xor_b32_e32 v128, 0x80000000, v122
	v_mov_b32_e32 v127, v121
	v_cndmask_b32_e32 v130, v124, v130, vcc_lo
	v_cndmask_b32_e64 v128, v122, v128, s0
	v_add_f64 v[127:128], v[127:128], v[129:130]
	v_cmp_lt_f64_e32 vcc_lo, v[125:126], v[127:128]
	v_cndmask_b32_e32 v107, v107, v122, vcc_lo
	v_cndmask_b32_e32 v106, v106, v121, vcc_lo
	v_cndmask_b32_e32 v109, v109, v124, vcc_lo
	v_cndmask_b32_e32 v108, v108, v123, vcc_lo
	v_cndmask_b32_e64 v114, v114, s1, vcc_lo
	s_add_i32 s1, s1, 1
	s_cmp_lg_u32 s3, s1
	s_cbranch_scc1 .LBB50_85
.LBB50_86:
	s_inst_prefetch 0x2
	s_waitcnt lgkmcnt(0)
	v_cmp_eq_f64_e32 vcc_lo, 0, v[106:107]
	v_cmp_eq_f64_e64 s0, 0, v[108:109]
	s_and_b32 s0, vcc_lo, s0
	s_and_saveexec_b32 s1, s0
	s_xor_b32 s0, exec_lo, s1
; %bb.87:
	v_cmp_ne_u32_e32 vcc_lo, 0, v119
	v_cndmask_b32_e32 v119, 5, v119, vcc_lo
; %bb.88:
	s_andn2_saveexec_b32 s0, s0
	s_cbranch_execz .LBB50_94
; %bb.89:
	v_cmp_ngt_f64_e64 s1, |v[106:107]|, |v[108:109]|
	s_and_saveexec_b32 s2, s1
	s_xor_b32 s1, exec_lo, s2
	s_cbranch_execz .LBB50_91
; %bb.90:
	v_div_scale_f64 v[121:122], null, v[108:109], v[108:109], v[106:107]
	v_div_scale_f64 v[127:128], vcc_lo, v[106:107], v[108:109], v[106:107]
	v_rcp_f64_e32 v[123:124], v[121:122]
	v_fma_f64 v[125:126], -v[121:122], v[123:124], 1.0
	v_fma_f64 v[123:124], v[123:124], v[125:126], v[123:124]
	v_fma_f64 v[125:126], -v[121:122], v[123:124], 1.0
	v_fma_f64 v[123:124], v[123:124], v[125:126], v[123:124]
	v_mul_f64 v[125:126], v[127:128], v[123:124]
	v_fma_f64 v[121:122], -v[121:122], v[125:126], v[127:128]
	v_div_fmas_f64 v[121:122], v[121:122], v[123:124], v[125:126]
	v_div_fixup_f64 v[121:122], v[121:122], v[108:109], v[106:107]
	v_fma_f64 v[106:107], v[106:107], v[121:122], v[108:109]
	v_div_scale_f64 v[108:109], null, v[106:107], v[106:107], 1.0
	v_rcp_f64_e32 v[123:124], v[108:109]
	v_fma_f64 v[125:126], -v[108:109], v[123:124], 1.0
	v_fma_f64 v[123:124], v[123:124], v[125:126], v[123:124]
	v_fma_f64 v[125:126], -v[108:109], v[123:124], 1.0
	v_fma_f64 v[123:124], v[123:124], v[125:126], v[123:124]
	v_div_scale_f64 v[125:126], vcc_lo, 1.0, v[106:107], 1.0
	v_mul_f64 v[127:128], v[125:126], v[123:124]
	v_fma_f64 v[108:109], -v[108:109], v[127:128], v[125:126]
	v_div_fmas_f64 v[108:109], v[108:109], v[123:124], v[127:128]
	v_div_fixup_f64 v[108:109], v[108:109], v[106:107], 1.0
	v_mul_f64 v[106:107], v[121:122], v[108:109]
	v_xor_b32_e32 v109, 0x80000000, v109
.LBB50_91:
	s_andn2_saveexec_b32 s1, s1
	s_cbranch_execz .LBB50_93
; %bb.92:
	v_div_scale_f64 v[121:122], null, v[106:107], v[106:107], v[108:109]
	v_div_scale_f64 v[127:128], vcc_lo, v[108:109], v[106:107], v[108:109]
	v_rcp_f64_e32 v[123:124], v[121:122]
	v_fma_f64 v[125:126], -v[121:122], v[123:124], 1.0
	v_fma_f64 v[123:124], v[123:124], v[125:126], v[123:124]
	v_fma_f64 v[125:126], -v[121:122], v[123:124], 1.0
	v_fma_f64 v[123:124], v[123:124], v[125:126], v[123:124]
	v_mul_f64 v[125:126], v[127:128], v[123:124]
	v_fma_f64 v[121:122], -v[121:122], v[125:126], v[127:128]
	v_div_fmas_f64 v[121:122], v[121:122], v[123:124], v[125:126]
	v_div_fixup_f64 v[121:122], v[121:122], v[106:107], v[108:109]
	v_fma_f64 v[106:107], v[108:109], v[121:122], v[106:107]
	v_div_scale_f64 v[108:109], null, v[106:107], v[106:107], 1.0
	v_rcp_f64_e32 v[123:124], v[108:109]
	v_fma_f64 v[125:126], -v[108:109], v[123:124], 1.0
	v_fma_f64 v[123:124], v[123:124], v[125:126], v[123:124]
	v_fma_f64 v[125:126], -v[108:109], v[123:124], 1.0
	v_fma_f64 v[123:124], v[123:124], v[125:126], v[123:124]
	v_div_scale_f64 v[125:126], vcc_lo, 1.0, v[106:107], 1.0
	v_mul_f64 v[127:128], v[125:126], v[123:124]
	v_fma_f64 v[108:109], -v[108:109], v[127:128], v[125:126]
	v_div_fmas_f64 v[108:109], v[108:109], v[123:124], v[127:128]
	v_div_fixup_f64 v[106:107], v[108:109], v[106:107], 1.0
	v_mul_f64 v[108:109], v[121:122], -v[106:107]
.LBB50_93:
	s_or_b32 exec_lo, exec_lo, s1
.LBB50_94:
	s_or_b32 exec_lo, exec_lo, s0
	s_mov_b32 s0, exec_lo
	v_cmpx_ne_u32_e64 v120, v114
	s_xor_b32 s0, exec_lo, s0
	s_cbranch_execz .LBB50_100
; %bb.95:
	s_mov_b32 s1, exec_lo
	v_cmpx_eq_u32_e32 4, v120
	s_cbranch_execz .LBB50_99
; %bb.96:
	v_cmp_ne_u32_e32 vcc_lo, 4, v114
	s_xor_b32 s2, s16, -1
	s_and_b32 s7, s2, vcc_lo
	s_and_saveexec_b32 s2, s7
	s_cbranch_execz .LBB50_98
; %bb.97:
	v_ashrrev_i32_e32 v115, 31, v114
	v_lshlrev_b64 v[120:121], 2, v[114:115]
	v_add_co_u32 v120, vcc_lo, v112, v120
	v_add_co_ci_u32_e64 v121, null, v113, v121, vcc_lo
	s_clause 0x1
	global_load_dword v0, v[120:121], off
	global_load_dword v115, v[112:113], off offset:16
	s_waitcnt vmcnt(1)
	global_store_dword v[112:113], v0, off offset:16
	s_waitcnt vmcnt(0)
	global_store_dword v[120:121], v115, off
.LBB50_98:
	s_or_b32 exec_lo, exec_lo, s2
	v_mov_b32_e32 v120, v114
	v_mov_b32_e32 v0, v114
.LBB50_99:
	s_or_b32 exec_lo, exec_lo, s1
.LBB50_100:
	s_andn2_saveexec_b32 s0, s0
	s_cbranch_execz .LBB50_102
; %bb.101:
	v_mov_b32_e32 v120, 4
	ds_write2_b64 v1, v[82:83], v[84:85] offset0:10 offset1:11
	ds_write2_b64 v1, v[78:79], v[80:81] offset0:12 offset1:13
	;; [unrolled: 1-line block ×21, first 2 shown]
.LBB50_102:
	s_or_b32 exec_lo, exec_lo, s0
	s_mov_b32 s0, exec_lo
	s_waitcnt lgkmcnt(0)
	s_waitcnt_vscnt null, 0x0
	s_barrier
	buffer_gl0_inv
	v_cmpx_lt_i32_e32 4, v120
	s_cbranch_execz .LBB50_104
; %bb.103:
	v_mul_f64 v[114:115], v[108:109], v[88:89]
	v_mul_f64 v[88:89], v[106:107], v[88:89]
	v_fma_f64 v[114:115], v[106:107], v[86:87], -v[114:115]
	v_fma_f64 v[88:89], v[108:109], v[86:87], v[88:89]
	ds_read2_b64 v[106:109], v1 offset0:10 offset1:11
	s_waitcnt lgkmcnt(0)
	v_mul_f64 v[86:87], v[108:109], v[88:89]
	v_fma_f64 v[86:87], v[106:107], v[114:115], -v[86:87]
	v_mul_f64 v[106:107], v[106:107], v[88:89]
	v_add_f64 v[82:83], v[82:83], -v[86:87]
	v_fma_f64 v[106:107], v[108:109], v[114:115], v[106:107]
	v_add_f64 v[84:85], v[84:85], -v[106:107]
	ds_read2_b64 v[106:109], v1 offset0:12 offset1:13
	s_waitcnt lgkmcnt(0)
	v_mul_f64 v[86:87], v[108:109], v[88:89]
	v_fma_f64 v[86:87], v[106:107], v[114:115], -v[86:87]
	v_mul_f64 v[106:107], v[106:107], v[88:89]
	v_add_f64 v[78:79], v[78:79], -v[86:87]
	v_fma_f64 v[106:107], v[108:109], v[114:115], v[106:107]
	v_add_f64 v[80:81], v[80:81], -v[106:107]
	;; [unrolled: 8-line block ×20, first 2 shown]
	ds_read2_b64 v[106:109], v1 offset0:50 offset1:51
	s_waitcnt lgkmcnt(0)
	v_mul_f64 v[86:87], v[108:109], v[88:89]
	v_fma_f64 v[86:87], v[106:107], v[114:115], -v[86:87]
	v_mul_f64 v[106:107], v[106:107], v[88:89]
	v_add_f64 v[2:3], v[2:3], -v[86:87]
	v_fma_f64 v[106:107], v[108:109], v[114:115], v[106:107]
	v_mov_b32_e32 v86, v114
	v_mov_b32_e32 v87, v115
	v_add_f64 v[4:5], v[4:5], -v[106:107]
.LBB50_104:
	s_or_b32 exec_lo, exec_lo, s0
	v_lshl_add_u32 v106, v120, 4, v1
	s_barrier
	buffer_gl0_inv
	v_mov_b32_e32 v114, 5
	ds_write2_b64 v106, v[82:83], v[84:85] offset1:1
	s_waitcnt lgkmcnt(0)
	s_barrier
	buffer_gl0_inv
	ds_read2_b64 v[106:109], v1 offset0:10 offset1:11
	s_cmp_lt_i32 s3, 7
	s_cbranch_scc1 .LBB50_107
; %bb.105:
	v_add3_u32 v115, v116, 0, 0x60
	v_mov_b32_e32 v114, 5
	s_mov_b32 s1, 6
	s_inst_prefetch 0x1
	.p2align	6
.LBB50_106:                             ; =>This Inner Loop Header: Depth=1
	s_waitcnt lgkmcnt(0)
	v_cmp_gt_f64_e32 vcc_lo, 0, v[108:109]
	v_cmp_gt_f64_e64 s0, 0, v[106:107]
	ds_read2_b64 v[121:124], v115 offset1:1
	v_xor_b32_e32 v126, 0x80000000, v107
	v_xor_b32_e32 v128, 0x80000000, v109
	v_mov_b32_e32 v125, v106
	v_mov_b32_e32 v127, v108
	v_add_nc_u32_e32 v115, 16, v115
	s_waitcnt lgkmcnt(0)
	v_xor_b32_e32 v130, 0x80000000, v124
	v_cndmask_b32_e64 v126, v107, v126, s0
	v_cndmask_b32_e32 v128, v109, v128, vcc_lo
	v_cmp_gt_f64_e32 vcc_lo, 0, v[123:124]
	v_cmp_gt_f64_e64 s0, 0, v[121:122]
	v_mov_b32_e32 v129, v123
	v_add_f64 v[125:126], v[125:126], v[127:128]
	v_xor_b32_e32 v128, 0x80000000, v122
	v_mov_b32_e32 v127, v121
	v_cndmask_b32_e32 v130, v124, v130, vcc_lo
	v_cndmask_b32_e64 v128, v122, v128, s0
	v_add_f64 v[127:128], v[127:128], v[129:130]
	v_cmp_lt_f64_e32 vcc_lo, v[125:126], v[127:128]
	v_cndmask_b32_e32 v107, v107, v122, vcc_lo
	v_cndmask_b32_e32 v106, v106, v121, vcc_lo
	;; [unrolled: 1-line block ×4, first 2 shown]
	v_cndmask_b32_e64 v114, v114, s1, vcc_lo
	s_add_i32 s1, s1, 1
	s_cmp_lg_u32 s3, s1
	s_cbranch_scc1 .LBB50_106
.LBB50_107:
	s_inst_prefetch 0x2
	s_waitcnt lgkmcnt(0)
	v_cmp_eq_f64_e32 vcc_lo, 0, v[106:107]
	v_cmp_eq_f64_e64 s0, 0, v[108:109]
	s_and_b32 s0, vcc_lo, s0
	s_and_saveexec_b32 s1, s0
	s_xor_b32 s0, exec_lo, s1
; %bb.108:
	v_cmp_ne_u32_e32 vcc_lo, 0, v119
	v_cndmask_b32_e32 v119, 6, v119, vcc_lo
; %bb.109:
	s_andn2_saveexec_b32 s0, s0
	s_cbranch_execz .LBB50_115
; %bb.110:
	v_cmp_ngt_f64_e64 s1, |v[106:107]|, |v[108:109]|
	s_and_saveexec_b32 s2, s1
	s_xor_b32 s1, exec_lo, s2
	s_cbranch_execz .LBB50_112
; %bb.111:
	v_div_scale_f64 v[121:122], null, v[108:109], v[108:109], v[106:107]
	v_div_scale_f64 v[127:128], vcc_lo, v[106:107], v[108:109], v[106:107]
	v_rcp_f64_e32 v[123:124], v[121:122]
	v_fma_f64 v[125:126], -v[121:122], v[123:124], 1.0
	v_fma_f64 v[123:124], v[123:124], v[125:126], v[123:124]
	v_fma_f64 v[125:126], -v[121:122], v[123:124], 1.0
	v_fma_f64 v[123:124], v[123:124], v[125:126], v[123:124]
	v_mul_f64 v[125:126], v[127:128], v[123:124]
	v_fma_f64 v[121:122], -v[121:122], v[125:126], v[127:128]
	v_div_fmas_f64 v[121:122], v[121:122], v[123:124], v[125:126]
	v_div_fixup_f64 v[121:122], v[121:122], v[108:109], v[106:107]
	v_fma_f64 v[106:107], v[106:107], v[121:122], v[108:109]
	v_div_scale_f64 v[108:109], null, v[106:107], v[106:107], 1.0
	v_rcp_f64_e32 v[123:124], v[108:109]
	v_fma_f64 v[125:126], -v[108:109], v[123:124], 1.0
	v_fma_f64 v[123:124], v[123:124], v[125:126], v[123:124]
	v_fma_f64 v[125:126], -v[108:109], v[123:124], 1.0
	v_fma_f64 v[123:124], v[123:124], v[125:126], v[123:124]
	v_div_scale_f64 v[125:126], vcc_lo, 1.0, v[106:107], 1.0
	v_mul_f64 v[127:128], v[125:126], v[123:124]
	v_fma_f64 v[108:109], -v[108:109], v[127:128], v[125:126]
	v_div_fmas_f64 v[108:109], v[108:109], v[123:124], v[127:128]
	v_div_fixup_f64 v[108:109], v[108:109], v[106:107], 1.0
	v_mul_f64 v[106:107], v[121:122], v[108:109]
	v_xor_b32_e32 v109, 0x80000000, v109
.LBB50_112:
	s_andn2_saveexec_b32 s1, s1
	s_cbranch_execz .LBB50_114
; %bb.113:
	v_div_scale_f64 v[121:122], null, v[106:107], v[106:107], v[108:109]
	v_div_scale_f64 v[127:128], vcc_lo, v[108:109], v[106:107], v[108:109]
	v_rcp_f64_e32 v[123:124], v[121:122]
	v_fma_f64 v[125:126], -v[121:122], v[123:124], 1.0
	v_fma_f64 v[123:124], v[123:124], v[125:126], v[123:124]
	v_fma_f64 v[125:126], -v[121:122], v[123:124], 1.0
	v_fma_f64 v[123:124], v[123:124], v[125:126], v[123:124]
	v_mul_f64 v[125:126], v[127:128], v[123:124]
	v_fma_f64 v[121:122], -v[121:122], v[125:126], v[127:128]
	v_div_fmas_f64 v[121:122], v[121:122], v[123:124], v[125:126]
	v_div_fixup_f64 v[121:122], v[121:122], v[106:107], v[108:109]
	v_fma_f64 v[106:107], v[108:109], v[121:122], v[106:107]
	v_div_scale_f64 v[108:109], null, v[106:107], v[106:107], 1.0
	v_rcp_f64_e32 v[123:124], v[108:109]
	v_fma_f64 v[125:126], -v[108:109], v[123:124], 1.0
	v_fma_f64 v[123:124], v[123:124], v[125:126], v[123:124]
	v_fma_f64 v[125:126], -v[108:109], v[123:124], 1.0
	v_fma_f64 v[123:124], v[123:124], v[125:126], v[123:124]
	v_div_scale_f64 v[125:126], vcc_lo, 1.0, v[106:107], 1.0
	v_mul_f64 v[127:128], v[125:126], v[123:124]
	v_fma_f64 v[108:109], -v[108:109], v[127:128], v[125:126]
	v_div_fmas_f64 v[108:109], v[108:109], v[123:124], v[127:128]
	v_div_fixup_f64 v[106:107], v[108:109], v[106:107], 1.0
	v_mul_f64 v[108:109], v[121:122], -v[106:107]
.LBB50_114:
	s_or_b32 exec_lo, exec_lo, s1
.LBB50_115:
	s_or_b32 exec_lo, exec_lo, s0
	s_mov_b32 s0, exec_lo
	v_cmpx_ne_u32_e64 v120, v114
	s_xor_b32 s0, exec_lo, s0
	s_cbranch_execz .LBB50_121
; %bb.116:
	s_mov_b32 s1, exec_lo
	v_cmpx_eq_u32_e32 5, v120
	s_cbranch_execz .LBB50_120
; %bb.117:
	v_cmp_ne_u32_e32 vcc_lo, 5, v114
	s_xor_b32 s2, s16, -1
	s_and_b32 s7, s2, vcc_lo
	s_and_saveexec_b32 s2, s7
	s_cbranch_execz .LBB50_119
; %bb.118:
	v_ashrrev_i32_e32 v115, 31, v114
	v_lshlrev_b64 v[120:121], 2, v[114:115]
	v_add_co_u32 v120, vcc_lo, v112, v120
	v_add_co_ci_u32_e64 v121, null, v113, v121, vcc_lo
	s_clause 0x1
	global_load_dword v0, v[120:121], off
	global_load_dword v115, v[112:113], off offset:20
	s_waitcnt vmcnt(1)
	global_store_dword v[112:113], v0, off offset:20
	s_waitcnt vmcnt(0)
	global_store_dword v[120:121], v115, off
.LBB50_119:
	s_or_b32 exec_lo, exec_lo, s2
	v_mov_b32_e32 v120, v114
	v_mov_b32_e32 v0, v114
.LBB50_120:
	s_or_b32 exec_lo, exec_lo, s1
.LBB50_121:
	s_andn2_saveexec_b32 s0, s0
	s_cbranch_execz .LBB50_123
; %bb.122:
	v_mov_b32_e32 v120, 5
	ds_write2_b64 v1, v[78:79], v[80:81] offset0:12 offset1:13
	ds_write2_b64 v1, v[74:75], v[76:77] offset0:14 offset1:15
	;; [unrolled: 1-line block ×20, first 2 shown]
.LBB50_123:
	s_or_b32 exec_lo, exec_lo, s0
	s_mov_b32 s0, exec_lo
	s_waitcnt lgkmcnt(0)
	s_waitcnt_vscnt null, 0x0
	s_barrier
	buffer_gl0_inv
	v_cmpx_lt_i32_e32 5, v120
	s_cbranch_execz .LBB50_125
; %bb.124:
	v_mul_f64 v[114:115], v[108:109], v[84:85]
	v_mul_f64 v[84:85], v[106:107], v[84:85]
	v_fma_f64 v[114:115], v[106:107], v[82:83], -v[114:115]
	v_fma_f64 v[84:85], v[108:109], v[82:83], v[84:85]
	ds_read2_b64 v[106:109], v1 offset0:12 offset1:13
	s_waitcnt lgkmcnt(0)
	v_mul_f64 v[82:83], v[108:109], v[84:85]
	v_fma_f64 v[82:83], v[106:107], v[114:115], -v[82:83]
	v_mul_f64 v[106:107], v[106:107], v[84:85]
	v_add_f64 v[78:79], v[78:79], -v[82:83]
	v_fma_f64 v[106:107], v[108:109], v[114:115], v[106:107]
	v_add_f64 v[80:81], v[80:81], -v[106:107]
	ds_read2_b64 v[106:109], v1 offset0:14 offset1:15
	s_waitcnt lgkmcnt(0)
	v_mul_f64 v[82:83], v[108:109], v[84:85]
	v_fma_f64 v[82:83], v[106:107], v[114:115], -v[82:83]
	v_mul_f64 v[106:107], v[106:107], v[84:85]
	v_add_f64 v[74:75], v[74:75], -v[82:83]
	v_fma_f64 v[106:107], v[108:109], v[114:115], v[106:107]
	v_add_f64 v[76:77], v[76:77], -v[106:107]
	;; [unrolled: 8-line block ×19, first 2 shown]
	ds_read2_b64 v[106:109], v1 offset0:50 offset1:51
	s_waitcnt lgkmcnt(0)
	v_mul_f64 v[82:83], v[108:109], v[84:85]
	v_fma_f64 v[82:83], v[106:107], v[114:115], -v[82:83]
	v_mul_f64 v[106:107], v[106:107], v[84:85]
	v_add_f64 v[2:3], v[2:3], -v[82:83]
	v_fma_f64 v[106:107], v[108:109], v[114:115], v[106:107]
	v_mov_b32_e32 v82, v114
	v_mov_b32_e32 v83, v115
	v_add_f64 v[4:5], v[4:5], -v[106:107]
.LBB50_125:
	s_or_b32 exec_lo, exec_lo, s0
	v_lshl_add_u32 v106, v120, 4, v1
	s_barrier
	buffer_gl0_inv
	v_mov_b32_e32 v114, 6
	ds_write2_b64 v106, v[78:79], v[80:81] offset1:1
	s_waitcnt lgkmcnt(0)
	s_barrier
	buffer_gl0_inv
	ds_read2_b64 v[106:109], v1 offset0:12 offset1:13
	s_cmp_lt_i32 s3, 8
	s_cbranch_scc1 .LBB50_128
; %bb.126:
	v_add3_u32 v115, v116, 0, 0x70
	v_mov_b32_e32 v114, 6
	s_mov_b32 s1, 7
	s_inst_prefetch 0x1
	.p2align	6
.LBB50_127:                             ; =>This Inner Loop Header: Depth=1
	s_waitcnt lgkmcnt(0)
	v_cmp_gt_f64_e32 vcc_lo, 0, v[108:109]
	v_cmp_gt_f64_e64 s0, 0, v[106:107]
	ds_read2_b64 v[121:124], v115 offset1:1
	v_xor_b32_e32 v126, 0x80000000, v107
	v_xor_b32_e32 v128, 0x80000000, v109
	v_mov_b32_e32 v125, v106
	v_mov_b32_e32 v127, v108
	v_add_nc_u32_e32 v115, 16, v115
	s_waitcnt lgkmcnt(0)
	v_xor_b32_e32 v130, 0x80000000, v124
	v_cndmask_b32_e64 v126, v107, v126, s0
	v_cndmask_b32_e32 v128, v109, v128, vcc_lo
	v_cmp_gt_f64_e32 vcc_lo, 0, v[123:124]
	v_cmp_gt_f64_e64 s0, 0, v[121:122]
	v_mov_b32_e32 v129, v123
	v_add_f64 v[125:126], v[125:126], v[127:128]
	v_xor_b32_e32 v128, 0x80000000, v122
	v_mov_b32_e32 v127, v121
	v_cndmask_b32_e32 v130, v124, v130, vcc_lo
	v_cndmask_b32_e64 v128, v122, v128, s0
	v_add_f64 v[127:128], v[127:128], v[129:130]
	v_cmp_lt_f64_e32 vcc_lo, v[125:126], v[127:128]
	v_cndmask_b32_e32 v107, v107, v122, vcc_lo
	v_cndmask_b32_e32 v106, v106, v121, vcc_lo
	;; [unrolled: 1-line block ×4, first 2 shown]
	v_cndmask_b32_e64 v114, v114, s1, vcc_lo
	s_add_i32 s1, s1, 1
	s_cmp_lg_u32 s3, s1
	s_cbranch_scc1 .LBB50_127
.LBB50_128:
	s_inst_prefetch 0x2
	s_waitcnt lgkmcnt(0)
	v_cmp_eq_f64_e32 vcc_lo, 0, v[106:107]
	v_cmp_eq_f64_e64 s0, 0, v[108:109]
	s_and_b32 s0, vcc_lo, s0
	s_and_saveexec_b32 s1, s0
	s_xor_b32 s0, exec_lo, s1
; %bb.129:
	v_cmp_ne_u32_e32 vcc_lo, 0, v119
	v_cndmask_b32_e32 v119, 7, v119, vcc_lo
; %bb.130:
	s_andn2_saveexec_b32 s0, s0
	s_cbranch_execz .LBB50_136
; %bb.131:
	v_cmp_ngt_f64_e64 s1, |v[106:107]|, |v[108:109]|
	s_and_saveexec_b32 s2, s1
	s_xor_b32 s1, exec_lo, s2
	s_cbranch_execz .LBB50_133
; %bb.132:
	v_div_scale_f64 v[121:122], null, v[108:109], v[108:109], v[106:107]
	v_div_scale_f64 v[127:128], vcc_lo, v[106:107], v[108:109], v[106:107]
	v_rcp_f64_e32 v[123:124], v[121:122]
	v_fma_f64 v[125:126], -v[121:122], v[123:124], 1.0
	v_fma_f64 v[123:124], v[123:124], v[125:126], v[123:124]
	v_fma_f64 v[125:126], -v[121:122], v[123:124], 1.0
	v_fma_f64 v[123:124], v[123:124], v[125:126], v[123:124]
	v_mul_f64 v[125:126], v[127:128], v[123:124]
	v_fma_f64 v[121:122], -v[121:122], v[125:126], v[127:128]
	v_div_fmas_f64 v[121:122], v[121:122], v[123:124], v[125:126]
	v_div_fixup_f64 v[121:122], v[121:122], v[108:109], v[106:107]
	v_fma_f64 v[106:107], v[106:107], v[121:122], v[108:109]
	v_div_scale_f64 v[108:109], null, v[106:107], v[106:107], 1.0
	v_rcp_f64_e32 v[123:124], v[108:109]
	v_fma_f64 v[125:126], -v[108:109], v[123:124], 1.0
	v_fma_f64 v[123:124], v[123:124], v[125:126], v[123:124]
	v_fma_f64 v[125:126], -v[108:109], v[123:124], 1.0
	v_fma_f64 v[123:124], v[123:124], v[125:126], v[123:124]
	v_div_scale_f64 v[125:126], vcc_lo, 1.0, v[106:107], 1.0
	v_mul_f64 v[127:128], v[125:126], v[123:124]
	v_fma_f64 v[108:109], -v[108:109], v[127:128], v[125:126]
	v_div_fmas_f64 v[108:109], v[108:109], v[123:124], v[127:128]
	v_div_fixup_f64 v[108:109], v[108:109], v[106:107], 1.0
	v_mul_f64 v[106:107], v[121:122], v[108:109]
	v_xor_b32_e32 v109, 0x80000000, v109
.LBB50_133:
	s_andn2_saveexec_b32 s1, s1
	s_cbranch_execz .LBB50_135
; %bb.134:
	v_div_scale_f64 v[121:122], null, v[106:107], v[106:107], v[108:109]
	v_div_scale_f64 v[127:128], vcc_lo, v[108:109], v[106:107], v[108:109]
	v_rcp_f64_e32 v[123:124], v[121:122]
	v_fma_f64 v[125:126], -v[121:122], v[123:124], 1.0
	v_fma_f64 v[123:124], v[123:124], v[125:126], v[123:124]
	v_fma_f64 v[125:126], -v[121:122], v[123:124], 1.0
	v_fma_f64 v[123:124], v[123:124], v[125:126], v[123:124]
	v_mul_f64 v[125:126], v[127:128], v[123:124]
	v_fma_f64 v[121:122], -v[121:122], v[125:126], v[127:128]
	v_div_fmas_f64 v[121:122], v[121:122], v[123:124], v[125:126]
	v_div_fixup_f64 v[121:122], v[121:122], v[106:107], v[108:109]
	v_fma_f64 v[106:107], v[108:109], v[121:122], v[106:107]
	v_div_scale_f64 v[108:109], null, v[106:107], v[106:107], 1.0
	v_rcp_f64_e32 v[123:124], v[108:109]
	v_fma_f64 v[125:126], -v[108:109], v[123:124], 1.0
	v_fma_f64 v[123:124], v[123:124], v[125:126], v[123:124]
	v_fma_f64 v[125:126], -v[108:109], v[123:124], 1.0
	v_fma_f64 v[123:124], v[123:124], v[125:126], v[123:124]
	v_div_scale_f64 v[125:126], vcc_lo, 1.0, v[106:107], 1.0
	v_mul_f64 v[127:128], v[125:126], v[123:124]
	v_fma_f64 v[108:109], -v[108:109], v[127:128], v[125:126]
	v_div_fmas_f64 v[108:109], v[108:109], v[123:124], v[127:128]
	v_div_fixup_f64 v[106:107], v[108:109], v[106:107], 1.0
	v_mul_f64 v[108:109], v[121:122], -v[106:107]
.LBB50_135:
	s_or_b32 exec_lo, exec_lo, s1
.LBB50_136:
	s_or_b32 exec_lo, exec_lo, s0
	s_mov_b32 s0, exec_lo
	v_cmpx_ne_u32_e64 v120, v114
	s_xor_b32 s0, exec_lo, s0
	s_cbranch_execz .LBB50_142
; %bb.137:
	s_mov_b32 s1, exec_lo
	v_cmpx_eq_u32_e32 6, v120
	s_cbranch_execz .LBB50_141
; %bb.138:
	v_cmp_ne_u32_e32 vcc_lo, 6, v114
	s_xor_b32 s2, s16, -1
	s_and_b32 s7, s2, vcc_lo
	s_and_saveexec_b32 s2, s7
	s_cbranch_execz .LBB50_140
; %bb.139:
	v_ashrrev_i32_e32 v115, 31, v114
	v_lshlrev_b64 v[120:121], 2, v[114:115]
	v_add_co_u32 v120, vcc_lo, v112, v120
	v_add_co_ci_u32_e64 v121, null, v113, v121, vcc_lo
	s_clause 0x1
	global_load_dword v0, v[120:121], off
	global_load_dword v115, v[112:113], off offset:24
	s_waitcnt vmcnt(1)
	global_store_dword v[112:113], v0, off offset:24
	s_waitcnt vmcnt(0)
	global_store_dword v[120:121], v115, off
.LBB50_140:
	s_or_b32 exec_lo, exec_lo, s2
	v_mov_b32_e32 v120, v114
	v_mov_b32_e32 v0, v114
.LBB50_141:
	s_or_b32 exec_lo, exec_lo, s1
.LBB50_142:
	s_andn2_saveexec_b32 s0, s0
	s_cbranch_execz .LBB50_144
; %bb.143:
	v_mov_b32_e32 v120, 6
	ds_write2_b64 v1, v[74:75], v[76:77] offset0:14 offset1:15
	ds_write2_b64 v1, v[70:71], v[72:73] offset0:16 offset1:17
	;; [unrolled: 1-line block ×19, first 2 shown]
.LBB50_144:
	s_or_b32 exec_lo, exec_lo, s0
	s_mov_b32 s0, exec_lo
	s_waitcnt lgkmcnt(0)
	s_waitcnt_vscnt null, 0x0
	s_barrier
	buffer_gl0_inv
	v_cmpx_lt_i32_e32 6, v120
	s_cbranch_execz .LBB50_146
; %bb.145:
	v_mul_f64 v[114:115], v[108:109], v[80:81]
	v_mul_f64 v[80:81], v[106:107], v[80:81]
	v_fma_f64 v[114:115], v[106:107], v[78:79], -v[114:115]
	v_fma_f64 v[80:81], v[108:109], v[78:79], v[80:81]
	ds_read2_b64 v[106:109], v1 offset0:14 offset1:15
	s_waitcnt lgkmcnt(0)
	v_mul_f64 v[78:79], v[108:109], v[80:81]
	v_fma_f64 v[78:79], v[106:107], v[114:115], -v[78:79]
	v_mul_f64 v[106:107], v[106:107], v[80:81]
	v_add_f64 v[74:75], v[74:75], -v[78:79]
	v_fma_f64 v[106:107], v[108:109], v[114:115], v[106:107]
	v_add_f64 v[76:77], v[76:77], -v[106:107]
	ds_read2_b64 v[106:109], v1 offset0:16 offset1:17
	s_waitcnt lgkmcnt(0)
	v_mul_f64 v[78:79], v[108:109], v[80:81]
	v_fma_f64 v[78:79], v[106:107], v[114:115], -v[78:79]
	v_mul_f64 v[106:107], v[106:107], v[80:81]
	v_add_f64 v[70:71], v[70:71], -v[78:79]
	v_fma_f64 v[106:107], v[108:109], v[114:115], v[106:107]
	v_add_f64 v[72:73], v[72:73], -v[106:107]
	;; [unrolled: 8-line block ×18, first 2 shown]
	ds_read2_b64 v[106:109], v1 offset0:50 offset1:51
	s_waitcnt lgkmcnt(0)
	v_mul_f64 v[78:79], v[108:109], v[80:81]
	v_fma_f64 v[78:79], v[106:107], v[114:115], -v[78:79]
	v_mul_f64 v[106:107], v[106:107], v[80:81]
	v_add_f64 v[2:3], v[2:3], -v[78:79]
	v_fma_f64 v[106:107], v[108:109], v[114:115], v[106:107]
	v_mov_b32_e32 v78, v114
	v_mov_b32_e32 v79, v115
	v_add_f64 v[4:5], v[4:5], -v[106:107]
.LBB50_146:
	s_or_b32 exec_lo, exec_lo, s0
	v_lshl_add_u32 v106, v120, 4, v1
	s_barrier
	buffer_gl0_inv
	v_mov_b32_e32 v114, 7
	ds_write2_b64 v106, v[74:75], v[76:77] offset1:1
	s_waitcnt lgkmcnt(0)
	s_barrier
	buffer_gl0_inv
	ds_read2_b64 v[106:109], v1 offset0:14 offset1:15
	s_cmp_lt_i32 s3, 9
	s_cbranch_scc1 .LBB50_149
; %bb.147:
	v_add3_u32 v115, v116, 0, 0x80
	v_mov_b32_e32 v114, 7
	s_mov_b32 s1, 8
	s_inst_prefetch 0x1
	.p2align	6
.LBB50_148:                             ; =>This Inner Loop Header: Depth=1
	s_waitcnt lgkmcnt(0)
	v_cmp_gt_f64_e32 vcc_lo, 0, v[108:109]
	v_cmp_gt_f64_e64 s0, 0, v[106:107]
	ds_read2_b64 v[121:124], v115 offset1:1
	v_xor_b32_e32 v126, 0x80000000, v107
	v_xor_b32_e32 v128, 0x80000000, v109
	v_mov_b32_e32 v125, v106
	v_mov_b32_e32 v127, v108
	v_add_nc_u32_e32 v115, 16, v115
	s_waitcnt lgkmcnt(0)
	v_xor_b32_e32 v130, 0x80000000, v124
	v_cndmask_b32_e64 v126, v107, v126, s0
	v_cndmask_b32_e32 v128, v109, v128, vcc_lo
	v_cmp_gt_f64_e32 vcc_lo, 0, v[123:124]
	v_cmp_gt_f64_e64 s0, 0, v[121:122]
	v_mov_b32_e32 v129, v123
	v_add_f64 v[125:126], v[125:126], v[127:128]
	v_xor_b32_e32 v128, 0x80000000, v122
	v_mov_b32_e32 v127, v121
	v_cndmask_b32_e32 v130, v124, v130, vcc_lo
	v_cndmask_b32_e64 v128, v122, v128, s0
	v_add_f64 v[127:128], v[127:128], v[129:130]
	v_cmp_lt_f64_e32 vcc_lo, v[125:126], v[127:128]
	v_cndmask_b32_e32 v107, v107, v122, vcc_lo
	v_cndmask_b32_e32 v106, v106, v121, vcc_lo
	v_cndmask_b32_e32 v109, v109, v124, vcc_lo
	v_cndmask_b32_e32 v108, v108, v123, vcc_lo
	v_cndmask_b32_e64 v114, v114, s1, vcc_lo
	s_add_i32 s1, s1, 1
	s_cmp_lg_u32 s3, s1
	s_cbranch_scc1 .LBB50_148
.LBB50_149:
	s_inst_prefetch 0x2
	s_waitcnt lgkmcnt(0)
	v_cmp_eq_f64_e32 vcc_lo, 0, v[106:107]
	v_cmp_eq_f64_e64 s0, 0, v[108:109]
	s_and_b32 s0, vcc_lo, s0
	s_and_saveexec_b32 s1, s0
	s_xor_b32 s0, exec_lo, s1
; %bb.150:
	v_cmp_ne_u32_e32 vcc_lo, 0, v119
	v_cndmask_b32_e32 v119, 8, v119, vcc_lo
; %bb.151:
	s_andn2_saveexec_b32 s0, s0
	s_cbranch_execz .LBB50_157
; %bb.152:
	v_cmp_ngt_f64_e64 s1, |v[106:107]|, |v[108:109]|
	s_and_saveexec_b32 s2, s1
	s_xor_b32 s1, exec_lo, s2
	s_cbranch_execz .LBB50_154
; %bb.153:
	v_div_scale_f64 v[121:122], null, v[108:109], v[108:109], v[106:107]
	v_div_scale_f64 v[127:128], vcc_lo, v[106:107], v[108:109], v[106:107]
	v_rcp_f64_e32 v[123:124], v[121:122]
	v_fma_f64 v[125:126], -v[121:122], v[123:124], 1.0
	v_fma_f64 v[123:124], v[123:124], v[125:126], v[123:124]
	v_fma_f64 v[125:126], -v[121:122], v[123:124], 1.0
	v_fma_f64 v[123:124], v[123:124], v[125:126], v[123:124]
	v_mul_f64 v[125:126], v[127:128], v[123:124]
	v_fma_f64 v[121:122], -v[121:122], v[125:126], v[127:128]
	v_div_fmas_f64 v[121:122], v[121:122], v[123:124], v[125:126]
	v_div_fixup_f64 v[121:122], v[121:122], v[108:109], v[106:107]
	v_fma_f64 v[106:107], v[106:107], v[121:122], v[108:109]
	v_div_scale_f64 v[108:109], null, v[106:107], v[106:107], 1.0
	v_rcp_f64_e32 v[123:124], v[108:109]
	v_fma_f64 v[125:126], -v[108:109], v[123:124], 1.0
	v_fma_f64 v[123:124], v[123:124], v[125:126], v[123:124]
	v_fma_f64 v[125:126], -v[108:109], v[123:124], 1.0
	v_fma_f64 v[123:124], v[123:124], v[125:126], v[123:124]
	v_div_scale_f64 v[125:126], vcc_lo, 1.0, v[106:107], 1.0
	v_mul_f64 v[127:128], v[125:126], v[123:124]
	v_fma_f64 v[108:109], -v[108:109], v[127:128], v[125:126]
	v_div_fmas_f64 v[108:109], v[108:109], v[123:124], v[127:128]
	v_div_fixup_f64 v[108:109], v[108:109], v[106:107], 1.0
	v_mul_f64 v[106:107], v[121:122], v[108:109]
	v_xor_b32_e32 v109, 0x80000000, v109
.LBB50_154:
	s_andn2_saveexec_b32 s1, s1
	s_cbranch_execz .LBB50_156
; %bb.155:
	v_div_scale_f64 v[121:122], null, v[106:107], v[106:107], v[108:109]
	v_div_scale_f64 v[127:128], vcc_lo, v[108:109], v[106:107], v[108:109]
	v_rcp_f64_e32 v[123:124], v[121:122]
	v_fma_f64 v[125:126], -v[121:122], v[123:124], 1.0
	v_fma_f64 v[123:124], v[123:124], v[125:126], v[123:124]
	v_fma_f64 v[125:126], -v[121:122], v[123:124], 1.0
	v_fma_f64 v[123:124], v[123:124], v[125:126], v[123:124]
	v_mul_f64 v[125:126], v[127:128], v[123:124]
	v_fma_f64 v[121:122], -v[121:122], v[125:126], v[127:128]
	v_div_fmas_f64 v[121:122], v[121:122], v[123:124], v[125:126]
	v_div_fixup_f64 v[121:122], v[121:122], v[106:107], v[108:109]
	v_fma_f64 v[106:107], v[108:109], v[121:122], v[106:107]
	v_div_scale_f64 v[108:109], null, v[106:107], v[106:107], 1.0
	v_rcp_f64_e32 v[123:124], v[108:109]
	v_fma_f64 v[125:126], -v[108:109], v[123:124], 1.0
	v_fma_f64 v[123:124], v[123:124], v[125:126], v[123:124]
	v_fma_f64 v[125:126], -v[108:109], v[123:124], 1.0
	v_fma_f64 v[123:124], v[123:124], v[125:126], v[123:124]
	v_div_scale_f64 v[125:126], vcc_lo, 1.0, v[106:107], 1.0
	v_mul_f64 v[127:128], v[125:126], v[123:124]
	v_fma_f64 v[108:109], -v[108:109], v[127:128], v[125:126]
	v_div_fmas_f64 v[108:109], v[108:109], v[123:124], v[127:128]
	v_div_fixup_f64 v[106:107], v[108:109], v[106:107], 1.0
	v_mul_f64 v[108:109], v[121:122], -v[106:107]
.LBB50_156:
	s_or_b32 exec_lo, exec_lo, s1
.LBB50_157:
	s_or_b32 exec_lo, exec_lo, s0
	s_mov_b32 s0, exec_lo
	v_cmpx_ne_u32_e64 v120, v114
	s_xor_b32 s0, exec_lo, s0
	s_cbranch_execz .LBB50_163
; %bb.158:
	s_mov_b32 s1, exec_lo
	v_cmpx_eq_u32_e32 7, v120
	s_cbranch_execz .LBB50_162
; %bb.159:
	v_cmp_ne_u32_e32 vcc_lo, 7, v114
	s_xor_b32 s2, s16, -1
	s_and_b32 s7, s2, vcc_lo
	s_and_saveexec_b32 s2, s7
	s_cbranch_execz .LBB50_161
; %bb.160:
	v_ashrrev_i32_e32 v115, 31, v114
	v_lshlrev_b64 v[120:121], 2, v[114:115]
	v_add_co_u32 v120, vcc_lo, v112, v120
	v_add_co_ci_u32_e64 v121, null, v113, v121, vcc_lo
	s_clause 0x1
	global_load_dword v0, v[120:121], off
	global_load_dword v115, v[112:113], off offset:28
	s_waitcnt vmcnt(1)
	global_store_dword v[112:113], v0, off offset:28
	s_waitcnt vmcnt(0)
	global_store_dword v[120:121], v115, off
.LBB50_161:
	s_or_b32 exec_lo, exec_lo, s2
	v_mov_b32_e32 v120, v114
	v_mov_b32_e32 v0, v114
.LBB50_162:
	s_or_b32 exec_lo, exec_lo, s1
.LBB50_163:
	s_andn2_saveexec_b32 s0, s0
	s_cbranch_execz .LBB50_165
; %bb.164:
	v_mov_b32_e32 v120, 7
	ds_write2_b64 v1, v[70:71], v[72:73] offset0:16 offset1:17
	ds_write2_b64 v1, v[66:67], v[68:69] offset0:18 offset1:19
	;; [unrolled: 1-line block ×18, first 2 shown]
.LBB50_165:
	s_or_b32 exec_lo, exec_lo, s0
	s_mov_b32 s0, exec_lo
	s_waitcnt lgkmcnt(0)
	s_waitcnt_vscnt null, 0x0
	s_barrier
	buffer_gl0_inv
	v_cmpx_lt_i32_e32 7, v120
	s_cbranch_execz .LBB50_167
; %bb.166:
	v_mul_f64 v[114:115], v[108:109], v[76:77]
	v_mul_f64 v[76:77], v[106:107], v[76:77]
	v_fma_f64 v[114:115], v[106:107], v[74:75], -v[114:115]
	v_fma_f64 v[76:77], v[108:109], v[74:75], v[76:77]
	ds_read2_b64 v[106:109], v1 offset0:16 offset1:17
	s_waitcnt lgkmcnt(0)
	v_mul_f64 v[74:75], v[108:109], v[76:77]
	v_fma_f64 v[74:75], v[106:107], v[114:115], -v[74:75]
	v_mul_f64 v[106:107], v[106:107], v[76:77]
	v_add_f64 v[70:71], v[70:71], -v[74:75]
	v_fma_f64 v[106:107], v[108:109], v[114:115], v[106:107]
	v_add_f64 v[72:73], v[72:73], -v[106:107]
	ds_read2_b64 v[106:109], v1 offset0:18 offset1:19
	s_waitcnt lgkmcnt(0)
	v_mul_f64 v[74:75], v[108:109], v[76:77]
	v_fma_f64 v[74:75], v[106:107], v[114:115], -v[74:75]
	v_mul_f64 v[106:107], v[106:107], v[76:77]
	v_add_f64 v[66:67], v[66:67], -v[74:75]
	v_fma_f64 v[106:107], v[108:109], v[114:115], v[106:107]
	v_add_f64 v[68:69], v[68:69], -v[106:107]
	;; [unrolled: 8-line block ×17, first 2 shown]
	ds_read2_b64 v[106:109], v1 offset0:50 offset1:51
	s_waitcnt lgkmcnt(0)
	v_mul_f64 v[74:75], v[108:109], v[76:77]
	v_fma_f64 v[74:75], v[106:107], v[114:115], -v[74:75]
	v_mul_f64 v[106:107], v[106:107], v[76:77]
	v_add_f64 v[2:3], v[2:3], -v[74:75]
	v_fma_f64 v[106:107], v[108:109], v[114:115], v[106:107]
	v_mov_b32_e32 v74, v114
	v_mov_b32_e32 v75, v115
	v_add_f64 v[4:5], v[4:5], -v[106:107]
.LBB50_167:
	s_or_b32 exec_lo, exec_lo, s0
	v_lshl_add_u32 v106, v120, 4, v1
	s_barrier
	buffer_gl0_inv
	v_mov_b32_e32 v114, 8
	ds_write2_b64 v106, v[70:71], v[72:73] offset1:1
	s_waitcnt lgkmcnt(0)
	s_barrier
	buffer_gl0_inv
	ds_read2_b64 v[106:109], v1 offset0:16 offset1:17
	s_cmp_lt_i32 s3, 10
	s_cbranch_scc1 .LBB50_170
; %bb.168:
	v_add3_u32 v115, v116, 0, 0x90
	v_mov_b32_e32 v114, 8
	s_mov_b32 s1, 9
	s_inst_prefetch 0x1
	.p2align	6
.LBB50_169:                             ; =>This Inner Loop Header: Depth=1
	s_waitcnt lgkmcnt(0)
	v_cmp_gt_f64_e32 vcc_lo, 0, v[108:109]
	v_cmp_gt_f64_e64 s0, 0, v[106:107]
	ds_read2_b64 v[121:124], v115 offset1:1
	v_xor_b32_e32 v126, 0x80000000, v107
	v_xor_b32_e32 v128, 0x80000000, v109
	v_mov_b32_e32 v125, v106
	v_mov_b32_e32 v127, v108
	v_add_nc_u32_e32 v115, 16, v115
	s_waitcnt lgkmcnt(0)
	v_xor_b32_e32 v130, 0x80000000, v124
	v_cndmask_b32_e64 v126, v107, v126, s0
	v_cndmask_b32_e32 v128, v109, v128, vcc_lo
	v_cmp_gt_f64_e32 vcc_lo, 0, v[123:124]
	v_cmp_gt_f64_e64 s0, 0, v[121:122]
	v_mov_b32_e32 v129, v123
	v_add_f64 v[125:126], v[125:126], v[127:128]
	v_xor_b32_e32 v128, 0x80000000, v122
	v_mov_b32_e32 v127, v121
	v_cndmask_b32_e32 v130, v124, v130, vcc_lo
	v_cndmask_b32_e64 v128, v122, v128, s0
	v_add_f64 v[127:128], v[127:128], v[129:130]
	v_cmp_lt_f64_e32 vcc_lo, v[125:126], v[127:128]
	v_cndmask_b32_e32 v107, v107, v122, vcc_lo
	v_cndmask_b32_e32 v106, v106, v121, vcc_lo
	;; [unrolled: 1-line block ×4, first 2 shown]
	v_cndmask_b32_e64 v114, v114, s1, vcc_lo
	s_add_i32 s1, s1, 1
	s_cmp_lg_u32 s3, s1
	s_cbranch_scc1 .LBB50_169
.LBB50_170:
	s_inst_prefetch 0x2
	s_waitcnt lgkmcnt(0)
	v_cmp_eq_f64_e32 vcc_lo, 0, v[106:107]
	v_cmp_eq_f64_e64 s0, 0, v[108:109]
	s_and_b32 s0, vcc_lo, s0
	s_and_saveexec_b32 s1, s0
	s_xor_b32 s0, exec_lo, s1
; %bb.171:
	v_cmp_ne_u32_e32 vcc_lo, 0, v119
	v_cndmask_b32_e32 v119, 9, v119, vcc_lo
; %bb.172:
	s_andn2_saveexec_b32 s0, s0
	s_cbranch_execz .LBB50_178
; %bb.173:
	v_cmp_ngt_f64_e64 s1, |v[106:107]|, |v[108:109]|
	s_and_saveexec_b32 s2, s1
	s_xor_b32 s1, exec_lo, s2
	s_cbranch_execz .LBB50_175
; %bb.174:
	v_div_scale_f64 v[121:122], null, v[108:109], v[108:109], v[106:107]
	v_div_scale_f64 v[127:128], vcc_lo, v[106:107], v[108:109], v[106:107]
	v_rcp_f64_e32 v[123:124], v[121:122]
	v_fma_f64 v[125:126], -v[121:122], v[123:124], 1.0
	v_fma_f64 v[123:124], v[123:124], v[125:126], v[123:124]
	v_fma_f64 v[125:126], -v[121:122], v[123:124], 1.0
	v_fma_f64 v[123:124], v[123:124], v[125:126], v[123:124]
	v_mul_f64 v[125:126], v[127:128], v[123:124]
	v_fma_f64 v[121:122], -v[121:122], v[125:126], v[127:128]
	v_div_fmas_f64 v[121:122], v[121:122], v[123:124], v[125:126]
	v_div_fixup_f64 v[121:122], v[121:122], v[108:109], v[106:107]
	v_fma_f64 v[106:107], v[106:107], v[121:122], v[108:109]
	v_div_scale_f64 v[108:109], null, v[106:107], v[106:107], 1.0
	v_rcp_f64_e32 v[123:124], v[108:109]
	v_fma_f64 v[125:126], -v[108:109], v[123:124], 1.0
	v_fma_f64 v[123:124], v[123:124], v[125:126], v[123:124]
	v_fma_f64 v[125:126], -v[108:109], v[123:124], 1.0
	v_fma_f64 v[123:124], v[123:124], v[125:126], v[123:124]
	v_div_scale_f64 v[125:126], vcc_lo, 1.0, v[106:107], 1.0
	v_mul_f64 v[127:128], v[125:126], v[123:124]
	v_fma_f64 v[108:109], -v[108:109], v[127:128], v[125:126]
	v_div_fmas_f64 v[108:109], v[108:109], v[123:124], v[127:128]
	v_div_fixup_f64 v[108:109], v[108:109], v[106:107], 1.0
	v_mul_f64 v[106:107], v[121:122], v[108:109]
	v_xor_b32_e32 v109, 0x80000000, v109
.LBB50_175:
	s_andn2_saveexec_b32 s1, s1
	s_cbranch_execz .LBB50_177
; %bb.176:
	v_div_scale_f64 v[121:122], null, v[106:107], v[106:107], v[108:109]
	v_div_scale_f64 v[127:128], vcc_lo, v[108:109], v[106:107], v[108:109]
	v_rcp_f64_e32 v[123:124], v[121:122]
	v_fma_f64 v[125:126], -v[121:122], v[123:124], 1.0
	v_fma_f64 v[123:124], v[123:124], v[125:126], v[123:124]
	v_fma_f64 v[125:126], -v[121:122], v[123:124], 1.0
	v_fma_f64 v[123:124], v[123:124], v[125:126], v[123:124]
	v_mul_f64 v[125:126], v[127:128], v[123:124]
	v_fma_f64 v[121:122], -v[121:122], v[125:126], v[127:128]
	v_div_fmas_f64 v[121:122], v[121:122], v[123:124], v[125:126]
	v_div_fixup_f64 v[121:122], v[121:122], v[106:107], v[108:109]
	v_fma_f64 v[106:107], v[108:109], v[121:122], v[106:107]
	v_div_scale_f64 v[108:109], null, v[106:107], v[106:107], 1.0
	v_rcp_f64_e32 v[123:124], v[108:109]
	v_fma_f64 v[125:126], -v[108:109], v[123:124], 1.0
	v_fma_f64 v[123:124], v[123:124], v[125:126], v[123:124]
	v_fma_f64 v[125:126], -v[108:109], v[123:124], 1.0
	v_fma_f64 v[123:124], v[123:124], v[125:126], v[123:124]
	v_div_scale_f64 v[125:126], vcc_lo, 1.0, v[106:107], 1.0
	v_mul_f64 v[127:128], v[125:126], v[123:124]
	v_fma_f64 v[108:109], -v[108:109], v[127:128], v[125:126]
	v_div_fmas_f64 v[108:109], v[108:109], v[123:124], v[127:128]
	v_div_fixup_f64 v[106:107], v[108:109], v[106:107], 1.0
	v_mul_f64 v[108:109], v[121:122], -v[106:107]
.LBB50_177:
	s_or_b32 exec_lo, exec_lo, s1
.LBB50_178:
	s_or_b32 exec_lo, exec_lo, s0
	s_mov_b32 s0, exec_lo
	v_cmpx_ne_u32_e64 v120, v114
	s_xor_b32 s0, exec_lo, s0
	s_cbranch_execz .LBB50_184
; %bb.179:
	s_mov_b32 s1, exec_lo
	v_cmpx_eq_u32_e32 8, v120
	s_cbranch_execz .LBB50_183
; %bb.180:
	v_cmp_ne_u32_e32 vcc_lo, 8, v114
	s_xor_b32 s2, s16, -1
	s_and_b32 s7, s2, vcc_lo
	s_and_saveexec_b32 s2, s7
	s_cbranch_execz .LBB50_182
; %bb.181:
	v_ashrrev_i32_e32 v115, 31, v114
	v_lshlrev_b64 v[120:121], 2, v[114:115]
	v_add_co_u32 v120, vcc_lo, v112, v120
	v_add_co_ci_u32_e64 v121, null, v113, v121, vcc_lo
	s_clause 0x1
	global_load_dword v0, v[120:121], off
	global_load_dword v115, v[112:113], off offset:32
	s_waitcnt vmcnt(1)
	global_store_dword v[112:113], v0, off offset:32
	s_waitcnt vmcnt(0)
	global_store_dword v[120:121], v115, off
.LBB50_182:
	s_or_b32 exec_lo, exec_lo, s2
	v_mov_b32_e32 v120, v114
	v_mov_b32_e32 v0, v114
.LBB50_183:
	s_or_b32 exec_lo, exec_lo, s1
.LBB50_184:
	s_andn2_saveexec_b32 s0, s0
	s_cbranch_execz .LBB50_186
; %bb.185:
	v_mov_b32_e32 v120, 8
	ds_write2_b64 v1, v[66:67], v[68:69] offset0:18 offset1:19
	ds_write2_b64 v1, v[62:63], v[64:65] offset0:20 offset1:21
	ds_write2_b64 v1, v[58:59], v[60:61] offset0:22 offset1:23
	ds_write2_b64 v1, v[54:55], v[56:57] offset0:24 offset1:25
	ds_write2_b64 v1, v[50:51], v[52:53] offset0:26 offset1:27
	ds_write2_b64 v1, v[46:47], v[48:49] offset0:28 offset1:29
	ds_write2_b64 v1, v[42:43], v[44:45] offset0:30 offset1:31
	ds_write2_b64 v1, v[38:39], v[40:41] offset0:32 offset1:33
	ds_write2_b64 v1, v[34:35], v[36:37] offset0:34 offset1:35
	ds_write2_b64 v1, v[30:31], v[32:33] offset0:36 offset1:37
	ds_write2_b64 v1, v[26:27], v[28:29] offset0:38 offset1:39
	ds_write2_b64 v1, v[22:23], v[24:25] offset0:40 offset1:41
	ds_write2_b64 v1, v[18:19], v[20:21] offset0:42 offset1:43
	ds_write2_b64 v1, v[14:15], v[16:17] offset0:44 offset1:45
	ds_write2_b64 v1, v[10:11], v[12:13] offset0:46 offset1:47
	ds_write2_b64 v1, v[6:7], v[8:9] offset0:48 offset1:49
	ds_write2_b64 v1, v[2:3], v[4:5] offset0:50 offset1:51
.LBB50_186:
	s_or_b32 exec_lo, exec_lo, s0
	s_mov_b32 s0, exec_lo
	s_waitcnt lgkmcnt(0)
	s_waitcnt_vscnt null, 0x0
	s_barrier
	buffer_gl0_inv
	v_cmpx_lt_i32_e32 8, v120
	s_cbranch_execz .LBB50_188
; %bb.187:
	v_mul_f64 v[114:115], v[108:109], v[72:73]
	v_mul_f64 v[72:73], v[106:107], v[72:73]
	v_fma_f64 v[114:115], v[106:107], v[70:71], -v[114:115]
	v_fma_f64 v[72:73], v[108:109], v[70:71], v[72:73]
	ds_read2_b64 v[106:109], v1 offset0:18 offset1:19
	s_waitcnt lgkmcnt(0)
	v_mul_f64 v[70:71], v[108:109], v[72:73]
	v_fma_f64 v[70:71], v[106:107], v[114:115], -v[70:71]
	v_mul_f64 v[106:107], v[106:107], v[72:73]
	v_add_f64 v[66:67], v[66:67], -v[70:71]
	v_fma_f64 v[106:107], v[108:109], v[114:115], v[106:107]
	v_add_f64 v[68:69], v[68:69], -v[106:107]
	ds_read2_b64 v[106:109], v1 offset0:20 offset1:21
	s_waitcnt lgkmcnt(0)
	v_mul_f64 v[70:71], v[108:109], v[72:73]
	v_fma_f64 v[70:71], v[106:107], v[114:115], -v[70:71]
	v_mul_f64 v[106:107], v[106:107], v[72:73]
	v_add_f64 v[62:63], v[62:63], -v[70:71]
	v_fma_f64 v[106:107], v[108:109], v[114:115], v[106:107]
	v_add_f64 v[64:65], v[64:65], -v[106:107]
	;; [unrolled: 8-line block ×16, first 2 shown]
	ds_read2_b64 v[106:109], v1 offset0:50 offset1:51
	s_waitcnt lgkmcnt(0)
	v_mul_f64 v[70:71], v[108:109], v[72:73]
	v_fma_f64 v[70:71], v[106:107], v[114:115], -v[70:71]
	v_mul_f64 v[106:107], v[106:107], v[72:73]
	v_add_f64 v[2:3], v[2:3], -v[70:71]
	v_fma_f64 v[106:107], v[108:109], v[114:115], v[106:107]
	v_mov_b32_e32 v70, v114
	v_mov_b32_e32 v71, v115
	v_add_f64 v[4:5], v[4:5], -v[106:107]
.LBB50_188:
	s_or_b32 exec_lo, exec_lo, s0
	v_lshl_add_u32 v106, v120, 4, v1
	s_barrier
	buffer_gl0_inv
	v_mov_b32_e32 v114, 9
	ds_write2_b64 v106, v[66:67], v[68:69] offset1:1
	s_waitcnt lgkmcnt(0)
	s_barrier
	buffer_gl0_inv
	ds_read2_b64 v[106:109], v1 offset0:18 offset1:19
	s_cmp_lt_i32 s3, 11
	s_cbranch_scc1 .LBB50_191
; %bb.189:
	v_add3_u32 v115, v116, 0, 0xa0
	v_mov_b32_e32 v114, 9
	s_mov_b32 s1, 10
	s_inst_prefetch 0x1
	.p2align	6
.LBB50_190:                             ; =>This Inner Loop Header: Depth=1
	s_waitcnt lgkmcnt(0)
	v_cmp_gt_f64_e32 vcc_lo, 0, v[108:109]
	v_cmp_gt_f64_e64 s0, 0, v[106:107]
	ds_read2_b64 v[121:124], v115 offset1:1
	v_xor_b32_e32 v126, 0x80000000, v107
	v_xor_b32_e32 v128, 0x80000000, v109
	v_mov_b32_e32 v125, v106
	v_mov_b32_e32 v127, v108
	v_add_nc_u32_e32 v115, 16, v115
	s_waitcnt lgkmcnt(0)
	v_xor_b32_e32 v130, 0x80000000, v124
	v_cndmask_b32_e64 v126, v107, v126, s0
	v_cndmask_b32_e32 v128, v109, v128, vcc_lo
	v_cmp_gt_f64_e32 vcc_lo, 0, v[123:124]
	v_cmp_gt_f64_e64 s0, 0, v[121:122]
	v_mov_b32_e32 v129, v123
	v_add_f64 v[125:126], v[125:126], v[127:128]
	v_xor_b32_e32 v128, 0x80000000, v122
	v_mov_b32_e32 v127, v121
	v_cndmask_b32_e32 v130, v124, v130, vcc_lo
	v_cndmask_b32_e64 v128, v122, v128, s0
	v_add_f64 v[127:128], v[127:128], v[129:130]
	v_cmp_lt_f64_e32 vcc_lo, v[125:126], v[127:128]
	v_cndmask_b32_e32 v107, v107, v122, vcc_lo
	v_cndmask_b32_e32 v106, v106, v121, vcc_lo
	;; [unrolled: 1-line block ×4, first 2 shown]
	v_cndmask_b32_e64 v114, v114, s1, vcc_lo
	s_add_i32 s1, s1, 1
	s_cmp_lg_u32 s3, s1
	s_cbranch_scc1 .LBB50_190
.LBB50_191:
	s_inst_prefetch 0x2
	s_waitcnt lgkmcnt(0)
	v_cmp_eq_f64_e32 vcc_lo, 0, v[106:107]
	v_cmp_eq_f64_e64 s0, 0, v[108:109]
	s_and_b32 s0, vcc_lo, s0
	s_and_saveexec_b32 s1, s0
	s_xor_b32 s0, exec_lo, s1
; %bb.192:
	v_cmp_ne_u32_e32 vcc_lo, 0, v119
	v_cndmask_b32_e32 v119, 10, v119, vcc_lo
; %bb.193:
	s_andn2_saveexec_b32 s0, s0
	s_cbranch_execz .LBB50_199
; %bb.194:
	v_cmp_ngt_f64_e64 s1, |v[106:107]|, |v[108:109]|
	s_and_saveexec_b32 s2, s1
	s_xor_b32 s1, exec_lo, s2
	s_cbranch_execz .LBB50_196
; %bb.195:
	v_div_scale_f64 v[121:122], null, v[108:109], v[108:109], v[106:107]
	v_div_scale_f64 v[127:128], vcc_lo, v[106:107], v[108:109], v[106:107]
	v_rcp_f64_e32 v[123:124], v[121:122]
	v_fma_f64 v[125:126], -v[121:122], v[123:124], 1.0
	v_fma_f64 v[123:124], v[123:124], v[125:126], v[123:124]
	v_fma_f64 v[125:126], -v[121:122], v[123:124], 1.0
	v_fma_f64 v[123:124], v[123:124], v[125:126], v[123:124]
	v_mul_f64 v[125:126], v[127:128], v[123:124]
	v_fma_f64 v[121:122], -v[121:122], v[125:126], v[127:128]
	v_div_fmas_f64 v[121:122], v[121:122], v[123:124], v[125:126]
	v_div_fixup_f64 v[121:122], v[121:122], v[108:109], v[106:107]
	v_fma_f64 v[106:107], v[106:107], v[121:122], v[108:109]
	v_div_scale_f64 v[108:109], null, v[106:107], v[106:107], 1.0
	v_rcp_f64_e32 v[123:124], v[108:109]
	v_fma_f64 v[125:126], -v[108:109], v[123:124], 1.0
	v_fma_f64 v[123:124], v[123:124], v[125:126], v[123:124]
	v_fma_f64 v[125:126], -v[108:109], v[123:124], 1.0
	v_fma_f64 v[123:124], v[123:124], v[125:126], v[123:124]
	v_div_scale_f64 v[125:126], vcc_lo, 1.0, v[106:107], 1.0
	v_mul_f64 v[127:128], v[125:126], v[123:124]
	v_fma_f64 v[108:109], -v[108:109], v[127:128], v[125:126]
	v_div_fmas_f64 v[108:109], v[108:109], v[123:124], v[127:128]
	v_div_fixup_f64 v[108:109], v[108:109], v[106:107], 1.0
	v_mul_f64 v[106:107], v[121:122], v[108:109]
	v_xor_b32_e32 v109, 0x80000000, v109
.LBB50_196:
	s_andn2_saveexec_b32 s1, s1
	s_cbranch_execz .LBB50_198
; %bb.197:
	v_div_scale_f64 v[121:122], null, v[106:107], v[106:107], v[108:109]
	v_div_scale_f64 v[127:128], vcc_lo, v[108:109], v[106:107], v[108:109]
	v_rcp_f64_e32 v[123:124], v[121:122]
	v_fma_f64 v[125:126], -v[121:122], v[123:124], 1.0
	v_fma_f64 v[123:124], v[123:124], v[125:126], v[123:124]
	v_fma_f64 v[125:126], -v[121:122], v[123:124], 1.0
	v_fma_f64 v[123:124], v[123:124], v[125:126], v[123:124]
	v_mul_f64 v[125:126], v[127:128], v[123:124]
	v_fma_f64 v[121:122], -v[121:122], v[125:126], v[127:128]
	v_div_fmas_f64 v[121:122], v[121:122], v[123:124], v[125:126]
	v_div_fixup_f64 v[121:122], v[121:122], v[106:107], v[108:109]
	v_fma_f64 v[106:107], v[108:109], v[121:122], v[106:107]
	v_div_scale_f64 v[108:109], null, v[106:107], v[106:107], 1.0
	v_rcp_f64_e32 v[123:124], v[108:109]
	v_fma_f64 v[125:126], -v[108:109], v[123:124], 1.0
	v_fma_f64 v[123:124], v[123:124], v[125:126], v[123:124]
	v_fma_f64 v[125:126], -v[108:109], v[123:124], 1.0
	v_fma_f64 v[123:124], v[123:124], v[125:126], v[123:124]
	v_div_scale_f64 v[125:126], vcc_lo, 1.0, v[106:107], 1.0
	v_mul_f64 v[127:128], v[125:126], v[123:124]
	v_fma_f64 v[108:109], -v[108:109], v[127:128], v[125:126]
	v_div_fmas_f64 v[108:109], v[108:109], v[123:124], v[127:128]
	v_div_fixup_f64 v[106:107], v[108:109], v[106:107], 1.0
	v_mul_f64 v[108:109], v[121:122], -v[106:107]
.LBB50_198:
	s_or_b32 exec_lo, exec_lo, s1
.LBB50_199:
	s_or_b32 exec_lo, exec_lo, s0
	s_mov_b32 s0, exec_lo
	v_cmpx_ne_u32_e64 v120, v114
	s_xor_b32 s0, exec_lo, s0
	s_cbranch_execz .LBB50_205
; %bb.200:
	s_mov_b32 s1, exec_lo
	v_cmpx_eq_u32_e32 9, v120
	s_cbranch_execz .LBB50_204
; %bb.201:
	v_cmp_ne_u32_e32 vcc_lo, 9, v114
	s_xor_b32 s2, s16, -1
	s_and_b32 s7, s2, vcc_lo
	s_and_saveexec_b32 s2, s7
	s_cbranch_execz .LBB50_203
; %bb.202:
	v_ashrrev_i32_e32 v115, 31, v114
	v_lshlrev_b64 v[120:121], 2, v[114:115]
	v_add_co_u32 v120, vcc_lo, v112, v120
	v_add_co_ci_u32_e64 v121, null, v113, v121, vcc_lo
	s_clause 0x1
	global_load_dword v0, v[120:121], off
	global_load_dword v115, v[112:113], off offset:36
	s_waitcnt vmcnt(1)
	global_store_dword v[112:113], v0, off offset:36
	s_waitcnt vmcnt(0)
	global_store_dword v[120:121], v115, off
.LBB50_203:
	s_or_b32 exec_lo, exec_lo, s2
	v_mov_b32_e32 v120, v114
	v_mov_b32_e32 v0, v114
.LBB50_204:
	s_or_b32 exec_lo, exec_lo, s1
.LBB50_205:
	s_andn2_saveexec_b32 s0, s0
	s_cbranch_execz .LBB50_207
; %bb.206:
	v_mov_b32_e32 v120, 9
	ds_write2_b64 v1, v[62:63], v[64:65] offset0:20 offset1:21
	ds_write2_b64 v1, v[58:59], v[60:61] offset0:22 offset1:23
	;; [unrolled: 1-line block ×16, first 2 shown]
.LBB50_207:
	s_or_b32 exec_lo, exec_lo, s0
	s_mov_b32 s0, exec_lo
	s_waitcnt lgkmcnt(0)
	s_waitcnt_vscnt null, 0x0
	s_barrier
	buffer_gl0_inv
	v_cmpx_lt_i32_e32 9, v120
	s_cbranch_execz .LBB50_209
; %bb.208:
	v_mul_f64 v[114:115], v[106:107], v[68:69]
	v_mul_f64 v[68:69], v[108:109], v[68:69]
	v_fma_f64 v[114:115], v[108:109], v[66:67], v[114:115]
	v_fma_f64 v[66:67], v[106:107], v[66:67], -v[68:69]
	ds_read2_b64 v[106:109], v1 offset0:20 offset1:21
	s_waitcnt lgkmcnt(0)
	v_mul_f64 v[68:69], v[108:109], v[114:115]
	v_fma_f64 v[68:69], v[106:107], v[66:67], -v[68:69]
	v_mul_f64 v[106:107], v[106:107], v[114:115]
	v_add_f64 v[62:63], v[62:63], -v[68:69]
	v_fma_f64 v[106:107], v[108:109], v[66:67], v[106:107]
	v_add_f64 v[64:65], v[64:65], -v[106:107]
	ds_read2_b64 v[106:109], v1 offset0:22 offset1:23
	s_waitcnt lgkmcnt(0)
	v_mul_f64 v[68:69], v[108:109], v[114:115]
	v_fma_f64 v[68:69], v[106:107], v[66:67], -v[68:69]
	v_mul_f64 v[106:107], v[106:107], v[114:115]
	v_add_f64 v[58:59], v[58:59], -v[68:69]
	v_fma_f64 v[106:107], v[108:109], v[66:67], v[106:107]
	v_add_f64 v[60:61], v[60:61], -v[106:107]
	;; [unrolled: 8-line block ×15, first 2 shown]
	ds_read2_b64 v[106:109], v1 offset0:50 offset1:51
	s_waitcnt lgkmcnt(0)
	v_mul_f64 v[68:69], v[108:109], v[114:115]
	v_fma_f64 v[68:69], v[106:107], v[66:67], -v[68:69]
	v_mul_f64 v[106:107], v[106:107], v[114:115]
	v_add_f64 v[2:3], v[2:3], -v[68:69]
	v_fma_f64 v[106:107], v[108:109], v[66:67], v[106:107]
	v_mov_b32_e32 v68, v114
	v_mov_b32_e32 v69, v115
	v_add_f64 v[4:5], v[4:5], -v[106:107]
.LBB50_209:
	s_or_b32 exec_lo, exec_lo, s0
	v_lshl_add_u32 v106, v120, 4, v1
	s_barrier
	buffer_gl0_inv
	v_mov_b32_e32 v114, 10
	ds_write2_b64 v106, v[62:63], v[64:65] offset1:1
	s_waitcnt lgkmcnt(0)
	s_barrier
	buffer_gl0_inv
	ds_read2_b64 v[106:109], v1 offset0:20 offset1:21
	s_cmp_lt_i32 s3, 12
	s_cbranch_scc1 .LBB50_212
; %bb.210:
	v_add3_u32 v115, v116, 0, 0xb0
	v_mov_b32_e32 v114, 10
	s_mov_b32 s1, 11
	s_inst_prefetch 0x1
	.p2align	6
.LBB50_211:                             ; =>This Inner Loop Header: Depth=1
	s_waitcnt lgkmcnt(0)
	v_cmp_gt_f64_e32 vcc_lo, 0, v[108:109]
	v_cmp_gt_f64_e64 s0, 0, v[106:107]
	ds_read2_b64 v[121:124], v115 offset1:1
	v_xor_b32_e32 v126, 0x80000000, v107
	v_xor_b32_e32 v128, 0x80000000, v109
	v_mov_b32_e32 v125, v106
	v_mov_b32_e32 v127, v108
	v_add_nc_u32_e32 v115, 16, v115
	s_waitcnt lgkmcnt(0)
	v_xor_b32_e32 v130, 0x80000000, v124
	v_cndmask_b32_e64 v126, v107, v126, s0
	v_cndmask_b32_e32 v128, v109, v128, vcc_lo
	v_cmp_gt_f64_e32 vcc_lo, 0, v[123:124]
	v_cmp_gt_f64_e64 s0, 0, v[121:122]
	v_mov_b32_e32 v129, v123
	v_add_f64 v[125:126], v[125:126], v[127:128]
	v_xor_b32_e32 v128, 0x80000000, v122
	v_mov_b32_e32 v127, v121
	v_cndmask_b32_e32 v130, v124, v130, vcc_lo
	v_cndmask_b32_e64 v128, v122, v128, s0
	v_add_f64 v[127:128], v[127:128], v[129:130]
	v_cmp_lt_f64_e32 vcc_lo, v[125:126], v[127:128]
	v_cndmask_b32_e32 v107, v107, v122, vcc_lo
	v_cndmask_b32_e32 v106, v106, v121, vcc_lo
	;; [unrolled: 1-line block ×4, first 2 shown]
	v_cndmask_b32_e64 v114, v114, s1, vcc_lo
	s_add_i32 s1, s1, 1
	s_cmp_lg_u32 s3, s1
	s_cbranch_scc1 .LBB50_211
.LBB50_212:
	s_inst_prefetch 0x2
	s_waitcnt lgkmcnt(0)
	v_cmp_eq_f64_e32 vcc_lo, 0, v[106:107]
	v_cmp_eq_f64_e64 s0, 0, v[108:109]
	s_and_b32 s0, vcc_lo, s0
	s_and_saveexec_b32 s1, s0
	s_xor_b32 s0, exec_lo, s1
; %bb.213:
	v_cmp_ne_u32_e32 vcc_lo, 0, v119
	v_cndmask_b32_e32 v119, 11, v119, vcc_lo
; %bb.214:
	s_andn2_saveexec_b32 s0, s0
	s_cbranch_execz .LBB50_220
; %bb.215:
	v_cmp_ngt_f64_e64 s1, |v[106:107]|, |v[108:109]|
	s_and_saveexec_b32 s2, s1
	s_xor_b32 s1, exec_lo, s2
	s_cbranch_execz .LBB50_217
; %bb.216:
	v_div_scale_f64 v[121:122], null, v[108:109], v[108:109], v[106:107]
	v_div_scale_f64 v[127:128], vcc_lo, v[106:107], v[108:109], v[106:107]
	v_rcp_f64_e32 v[123:124], v[121:122]
	v_fma_f64 v[125:126], -v[121:122], v[123:124], 1.0
	v_fma_f64 v[123:124], v[123:124], v[125:126], v[123:124]
	v_fma_f64 v[125:126], -v[121:122], v[123:124], 1.0
	v_fma_f64 v[123:124], v[123:124], v[125:126], v[123:124]
	v_mul_f64 v[125:126], v[127:128], v[123:124]
	v_fma_f64 v[121:122], -v[121:122], v[125:126], v[127:128]
	v_div_fmas_f64 v[121:122], v[121:122], v[123:124], v[125:126]
	v_div_fixup_f64 v[121:122], v[121:122], v[108:109], v[106:107]
	v_fma_f64 v[106:107], v[106:107], v[121:122], v[108:109]
	v_div_scale_f64 v[108:109], null, v[106:107], v[106:107], 1.0
	v_rcp_f64_e32 v[123:124], v[108:109]
	v_fma_f64 v[125:126], -v[108:109], v[123:124], 1.0
	v_fma_f64 v[123:124], v[123:124], v[125:126], v[123:124]
	v_fma_f64 v[125:126], -v[108:109], v[123:124], 1.0
	v_fma_f64 v[123:124], v[123:124], v[125:126], v[123:124]
	v_div_scale_f64 v[125:126], vcc_lo, 1.0, v[106:107], 1.0
	v_mul_f64 v[127:128], v[125:126], v[123:124]
	v_fma_f64 v[108:109], -v[108:109], v[127:128], v[125:126]
	v_div_fmas_f64 v[108:109], v[108:109], v[123:124], v[127:128]
	v_div_fixup_f64 v[108:109], v[108:109], v[106:107], 1.0
	v_mul_f64 v[106:107], v[121:122], v[108:109]
	v_xor_b32_e32 v109, 0x80000000, v109
.LBB50_217:
	s_andn2_saveexec_b32 s1, s1
	s_cbranch_execz .LBB50_219
; %bb.218:
	v_div_scale_f64 v[121:122], null, v[106:107], v[106:107], v[108:109]
	v_div_scale_f64 v[127:128], vcc_lo, v[108:109], v[106:107], v[108:109]
	v_rcp_f64_e32 v[123:124], v[121:122]
	v_fma_f64 v[125:126], -v[121:122], v[123:124], 1.0
	v_fma_f64 v[123:124], v[123:124], v[125:126], v[123:124]
	v_fma_f64 v[125:126], -v[121:122], v[123:124], 1.0
	v_fma_f64 v[123:124], v[123:124], v[125:126], v[123:124]
	v_mul_f64 v[125:126], v[127:128], v[123:124]
	v_fma_f64 v[121:122], -v[121:122], v[125:126], v[127:128]
	v_div_fmas_f64 v[121:122], v[121:122], v[123:124], v[125:126]
	v_div_fixup_f64 v[121:122], v[121:122], v[106:107], v[108:109]
	v_fma_f64 v[106:107], v[108:109], v[121:122], v[106:107]
	v_div_scale_f64 v[108:109], null, v[106:107], v[106:107], 1.0
	v_rcp_f64_e32 v[123:124], v[108:109]
	v_fma_f64 v[125:126], -v[108:109], v[123:124], 1.0
	v_fma_f64 v[123:124], v[123:124], v[125:126], v[123:124]
	v_fma_f64 v[125:126], -v[108:109], v[123:124], 1.0
	v_fma_f64 v[123:124], v[123:124], v[125:126], v[123:124]
	v_div_scale_f64 v[125:126], vcc_lo, 1.0, v[106:107], 1.0
	v_mul_f64 v[127:128], v[125:126], v[123:124]
	v_fma_f64 v[108:109], -v[108:109], v[127:128], v[125:126]
	v_div_fmas_f64 v[108:109], v[108:109], v[123:124], v[127:128]
	v_div_fixup_f64 v[106:107], v[108:109], v[106:107], 1.0
	v_mul_f64 v[108:109], v[121:122], -v[106:107]
.LBB50_219:
	s_or_b32 exec_lo, exec_lo, s1
.LBB50_220:
	s_or_b32 exec_lo, exec_lo, s0
	s_mov_b32 s0, exec_lo
	v_cmpx_ne_u32_e64 v120, v114
	s_xor_b32 s0, exec_lo, s0
	s_cbranch_execz .LBB50_226
; %bb.221:
	s_mov_b32 s1, exec_lo
	v_cmpx_eq_u32_e32 10, v120
	s_cbranch_execz .LBB50_225
; %bb.222:
	v_cmp_ne_u32_e32 vcc_lo, 10, v114
	s_xor_b32 s2, s16, -1
	s_and_b32 s7, s2, vcc_lo
	s_and_saveexec_b32 s2, s7
	s_cbranch_execz .LBB50_224
; %bb.223:
	v_ashrrev_i32_e32 v115, 31, v114
	v_lshlrev_b64 v[120:121], 2, v[114:115]
	v_add_co_u32 v120, vcc_lo, v112, v120
	v_add_co_ci_u32_e64 v121, null, v113, v121, vcc_lo
	s_clause 0x1
	global_load_dword v0, v[120:121], off
	global_load_dword v115, v[112:113], off offset:40
	s_waitcnt vmcnt(1)
	global_store_dword v[112:113], v0, off offset:40
	s_waitcnt vmcnt(0)
	global_store_dword v[120:121], v115, off
.LBB50_224:
	s_or_b32 exec_lo, exec_lo, s2
	v_mov_b32_e32 v120, v114
	v_mov_b32_e32 v0, v114
.LBB50_225:
	s_or_b32 exec_lo, exec_lo, s1
.LBB50_226:
	s_andn2_saveexec_b32 s0, s0
	s_cbranch_execz .LBB50_228
; %bb.227:
	v_mov_b32_e32 v120, 10
	ds_write2_b64 v1, v[58:59], v[60:61] offset0:22 offset1:23
	ds_write2_b64 v1, v[54:55], v[56:57] offset0:24 offset1:25
	;; [unrolled: 1-line block ×15, first 2 shown]
.LBB50_228:
	s_or_b32 exec_lo, exec_lo, s0
	s_mov_b32 s0, exec_lo
	s_waitcnt lgkmcnt(0)
	s_waitcnt_vscnt null, 0x0
	s_barrier
	buffer_gl0_inv
	v_cmpx_lt_i32_e32 10, v120
	s_cbranch_execz .LBB50_230
; %bb.229:
	v_mul_f64 v[114:115], v[106:107], v[64:65]
	v_mul_f64 v[64:65], v[108:109], v[64:65]
	v_fma_f64 v[114:115], v[108:109], v[62:63], v[114:115]
	v_fma_f64 v[62:63], v[106:107], v[62:63], -v[64:65]
	ds_read2_b64 v[106:109], v1 offset0:22 offset1:23
	s_waitcnt lgkmcnt(0)
	v_mul_f64 v[64:65], v[108:109], v[114:115]
	v_fma_f64 v[64:65], v[106:107], v[62:63], -v[64:65]
	v_mul_f64 v[106:107], v[106:107], v[114:115]
	v_add_f64 v[58:59], v[58:59], -v[64:65]
	v_fma_f64 v[106:107], v[108:109], v[62:63], v[106:107]
	v_add_f64 v[60:61], v[60:61], -v[106:107]
	ds_read2_b64 v[106:109], v1 offset0:24 offset1:25
	s_waitcnt lgkmcnt(0)
	v_mul_f64 v[64:65], v[108:109], v[114:115]
	v_fma_f64 v[64:65], v[106:107], v[62:63], -v[64:65]
	v_mul_f64 v[106:107], v[106:107], v[114:115]
	v_add_f64 v[54:55], v[54:55], -v[64:65]
	v_fma_f64 v[106:107], v[108:109], v[62:63], v[106:107]
	v_add_f64 v[56:57], v[56:57], -v[106:107]
	;; [unrolled: 8-line block ×14, first 2 shown]
	ds_read2_b64 v[106:109], v1 offset0:50 offset1:51
	s_waitcnt lgkmcnt(0)
	v_mul_f64 v[64:65], v[108:109], v[114:115]
	v_fma_f64 v[64:65], v[106:107], v[62:63], -v[64:65]
	v_mul_f64 v[106:107], v[106:107], v[114:115]
	v_add_f64 v[2:3], v[2:3], -v[64:65]
	v_fma_f64 v[106:107], v[108:109], v[62:63], v[106:107]
	v_mov_b32_e32 v64, v114
	v_mov_b32_e32 v65, v115
	v_add_f64 v[4:5], v[4:5], -v[106:107]
.LBB50_230:
	s_or_b32 exec_lo, exec_lo, s0
	v_lshl_add_u32 v106, v120, 4, v1
	s_barrier
	buffer_gl0_inv
	v_mov_b32_e32 v114, 11
	ds_write2_b64 v106, v[58:59], v[60:61] offset1:1
	s_waitcnt lgkmcnt(0)
	s_barrier
	buffer_gl0_inv
	ds_read2_b64 v[106:109], v1 offset0:22 offset1:23
	s_cmp_lt_i32 s3, 13
	s_cbranch_scc1 .LBB50_233
; %bb.231:
	v_add3_u32 v115, v116, 0, 0xc0
	v_mov_b32_e32 v114, 11
	s_mov_b32 s1, 12
	s_inst_prefetch 0x1
	.p2align	6
.LBB50_232:                             ; =>This Inner Loop Header: Depth=1
	s_waitcnt lgkmcnt(0)
	v_cmp_gt_f64_e32 vcc_lo, 0, v[108:109]
	v_cmp_gt_f64_e64 s0, 0, v[106:107]
	ds_read2_b64 v[121:124], v115 offset1:1
	v_xor_b32_e32 v126, 0x80000000, v107
	v_xor_b32_e32 v128, 0x80000000, v109
	v_mov_b32_e32 v125, v106
	v_mov_b32_e32 v127, v108
	v_add_nc_u32_e32 v115, 16, v115
	s_waitcnt lgkmcnt(0)
	v_xor_b32_e32 v130, 0x80000000, v124
	v_cndmask_b32_e64 v126, v107, v126, s0
	v_cndmask_b32_e32 v128, v109, v128, vcc_lo
	v_cmp_gt_f64_e32 vcc_lo, 0, v[123:124]
	v_cmp_gt_f64_e64 s0, 0, v[121:122]
	v_mov_b32_e32 v129, v123
	v_add_f64 v[125:126], v[125:126], v[127:128]
	v_xor_b32_e32 v128, 0x80000000, v122
	v_mov_b32_e32 v127, v121
	v_cndmask_b32_e32 v130, v124, v130, vcc_lo
	v_cndmask_b32_e64 v128, v122, v128, s0
	v_add_f64 v[127:128], v[127:128], v[129:130]
	v_cmp_lt_f64_e32 vcc_lo, v[125:126], v[127:128]
	v_cndmask_b32_e32 v107, v107, v122, vcc_lo
	v_cndmask_b32_e32 v106, v106, v121, vcc_lo
	;; [unrolled: 1-line block ×4, first 2 shown]
	v_cndmask_b32_e64 v114, v114, s1, vcc_lo
	s_add_i32 s1, s1, 1
	s_cmp_lg_u32 s3, s1
	s_cbranch_scc1 .LBB50_232
.LBB50_233:
	s_inst_prefetch 0x2
	s_waitcnt lgkmcnt(0)
	v_cmp_eq_f64_e32 vcc_lo, 0, v[106:107]
	v_cmp_eq_f64_e64 s0, 0, v[108:109]
	s_and_b32 s0, vcc_lo, s0
	s_and_saveexec_b32 s1, s0
	s_xor_b32 s0, exec_lo, s1
; %bb.234:
	v_cmp_ne_u32_e32 vcc_lo, 0, v119
	v_cndmask_b32_e32 v119, 12, v119, vcc_lo
; %bb.235:
	s_andn2_saveexec_b32 s0, s0
	s_cbranch_execz .LBB50_241
; %bb.236:
	v_cmp_ngt_f64_e64 s1, |v[106:107]|, |v[108:109]|
	s_and_saveexec_b32 s2, s1
	s_xor_b32 s1, exec_lo, s2
	s_cbranch_execz .LBB50_238
; %bb.237:
	v_div_scale_f64 v[121:122], null, v[108:109], v[108:109], v[106:107]
	v_div_scale_f64 v[127:128], vcc_lo, v[106:107], v[108:109], v[106:107]
	v_rcp_f64_e32 v[123:124], v[121:122]
	v_fma_f64 v[125:126], -v[121:122], v[123:124], 1.0
	v_fma_f64 v[123:124], v[123:124], v[125:126], v[123:124]
	v_fma_f64 v[125:126], -v[121:122], v[123:124], 1.0
	v_fma_f64 v[123:124], v[123:124], v[125:126], v[123:124]
	v_mul_f64 v[125:126], v[127:128], v[123:124]
	v_fma_f64 v[121:122], -v[121:122], v[125:126], v[127:128]
	v_div_fmas_f64 v[121:122], v[121:122], v[123:124], v[125:126]
	v_div_fixup_f64 v[121:122], v[121:122], v[108:109], v[106:107]
	v_fma_f64 v[106:107], v[106:107], v[121:122], v[108:109]
	v_div_scale_f64 v[108:109], null, v[106:107], v[106:107], 1.0
	v_rcp_f64_e32 v[123:124], v[108:109]
	v_fma_f64 v[125:126], -v[108:109], v[123:124], 1.0
	v_fma_f64 v[123:124], v[123:124], v[125:126], v[123:124]
	v_fma_f64 v[125:126], -v[108:109], v[123:124], 1.0
	v_fma_f64 v[123:124], v[123:124], v[125:126], v[123:124]
	v_div_scale_f64 v[125:126], vcc_lo, 1.0, v[106:107], 1.0
	v_mul_f64 v[127:128], v[125:126], v[123:124]
	v_fma_f64 v[108:109], -v[108:109], v[127:128], v[125:126]
	v_div_fmas_f64 v[108:109], v[108:109], v[123:124], v[127:128]
	v_div_fixup_f64 v[108:109], v[108:109], v[106:107], 1.0
	v_mul_f64 v[106:107], v[121:122], v[108:109]
	v_xor_b32_e32 v109, 0x80000000, v109
.LBB50_238:
	s_andn2_saveexec_b32 s1, s1
	s_cbranch_execz .LBB50_240
; %bb.239:
	v_div_scale_f64 v[121:122], null, v[106:107], v[106:107], v[108:109]
	v_div_scale_f64 v[127:128], vcc_lo, v[108:109], v[106:107], v[108:109]
	v_rcp_f64_e32 v[123:124], v[121:122]
	v_fma_f64 v[125:126], -v[121:122], v[123:124], 1.0
	v_fma_f64 v[123:124], v[123:124], v[125:126], v[123:124]
	v_fma_f64 v[125:126], -v[121:122], v[123:124], 1.0
	v_fma_f64 v[123:124], v[123:124], v[125:126], v[123:124]
	v_mul_f64 v[125:126], v[127:128], v[123:124]
	v_fma_f64 v[121:122], -v[121:122], v[125:126], v[127:128]
	v_div_fmas_f64 v[121:122], v[121:122], v[123:124], v[125:126]
	v_div_fixup_f64 v[121:122], v[121:122], v[106:107], v[108:109]
	v_fma_f64 v[106:107], v[108:109], v[121:122], v[106:107]
	v_div_scale_f64 v[108:109], null, v[106:107], v[106:107], 1.0
	v_rcp_f64_e32 v[123:124], v[108:109]
	v_fma_f64 v[125:126], -v[108:109], v[123:124], 1.0
	v_fma_f64 v[123:124], v[123:124], v[125:126], v[123:124]
	v_fma_f64 v[125:126], -v[108:109], v[123:124], 1.0
	v_fma_f64 v[123:124], v[123:124], v[125:126], v[123:124]
	v_div_scale_f64 v[125:126], vcc_lo, 1.0, v[106:107], 1.0
	v_mul_f64 v[127:128], v[125:126], v[123:124]
	v_fma_f64 v[108:109], -v[108:109], v[127:128], v[125:126]
	v_div_fmas_f64 v[108:109], v[108:109], v[123:124], v[127:128]
	v_div_fixup_f64 v[106:107], v[108:109], v[106:107], 1.0
	v_mul_f64 v[108:109], v[121:122], -v[106:107]
.LBB50_240:
	s_or_b32 exec_lo, exec_lo, s1
.LBB50_241:
	s_or_b32 exec_lo, exec_lo, s0
	s_mov_b32 s0, exec_lo
	v_cmpx_ne_u32_e64 v120, v114
	s_xor_b32 s0, exec_lo, s0
	s_cbranch_execz .LBB50_247
; %bb.242:
	s_mov_b32 s1, exec_lo
	v_cmpx_eq_u32_e32 11, v120
	s_cbranch_execz .LBB50_246
; %bb.243:
	v_cmp_ne_u32_e32 vcc_lo, 11, v114
	s_xor_b32 s2, s16, -1
	s_and_b32 s7, s2, vcc_lo
	s_and_saveexec_b32 s2, s7
	s_cbranch_execz .LBB50_245
; %bb.244:
	v_ashrrev_i32_e32 v115, 31, v114
	v_lshlrev_b64 v[120:121], 2, v[114:115]
	v_add_co_u32 v120, vcc_lo, v112, v120
	v_add_co_ci_u32_e64 v121, null, v113, v121, vcc_lo
	s_clause 0x1
	global_load_dword v0, v[120:121], off
	global_load_dword v115, v[112:113], off offset:44
	s_waitcnt vmcnt(1)
	global_store_dword v[112:113], v0, off offset:44
	s_waitcnt vmcnt(0)
	global_store_dword v[120:121], v115, off
.LBB50_245:
	s_or_b32 exec_lo, exec_lo, s2
	v_mov_b32_e32 v120, v114
	v_mov_b32_e32 v0, v114
.LBB50_246:
	s_or_b32 exec_lo, exec_lo, s1
.LBB50_247:
	s_andn2_saveexec_b32 s0, s0
	s_cbranch_execz .LBB50_249
; %bb.248:
	v_mov_b32_e32 v120, 11
	ds_write2_b64 v1, v[54:55], v[56:57] offset0:24 offset1:25
	ds_write2_b64 v1, v[50:51], v[52:53] offset0:26 offset1:27
	;; [unrolled: 1-line block ×14, first 2 shown]
.LBB50_249:
	s_or_b32 exec_lo, exec_lo, s0
	s_mov_b32 s0, exec_lo
	s_waitcnt lgkmcnt(0)
	s_waitcnt_vscnt null, 0x0
	s_barrier
	buffer_gl0_inv
	v_cmpx_lt_i32_e32 11, v120
	s_cbranch_execz .LBB50_251
; %bb.250:
	v_mul_f64 v[114:115], v[106:107], v[60:61]
	v_mul_f64 v[60:61], v[108:109], v[60:61]
	v_fma_f64 v[114:115], v[108:109], v[58:59], v[114:115]
	v_fma_f64 v[58:59], v[106:107], v[58:59], -v[60:61]
	ds_read2_b64 v[106:109], v1 offset0:24 offset1:25
	s_waitcnt lgkmcnt(0)
	v_mul_f64 v[60:61], v[108:109], v[114:115]
	v_fma_f64 v[60:61], v[106:107], v[58:59], -v[60:61]
	v_mul_f64 v[106:107], v[106:107], v[114:115]
	v_add_f64 v[54:55], v[54:55], -v[60:61]
	v_fma_f64 v[106:107], v[108:109], v[58:59], v[106:107]
	v_add_f64 v[56:57], v[56:57], -v[106:107]
	ds_read2_b64 v[106:109], v1 offset0:26 offset1:27
	s_waitcnt lgkmcnt(0)
	v_mul_f64 v[60:61], v[108:109], v[114:115]
	v_fma_f64 v[60:61], v[106:107], v[58:59], -v[60:61]
	v_mul_f64 v[106:107], v[106:107], v[114:115]
	v_add_f64 v[50:51], v[50:51], -v[60:61]
	v_fma_f64 v[106:107], v[108:109], v[58:59], v[106:107]
	v_add_f64 v[52:53], v[52:53], -v[106:107]
	;; [unrolled: 8-line block ×13, first 2 shown]
	ds_read2_b64 v[106:109], v1 offset0:50 offset1:51
	s_waitcnt lgkmcnt(0)
	v_mul_f64 v[60:61], v[108:109], v[114:115]
	v_fma_f64 v[60:61], v[106:107], v[58:59], -v[60:61]
	v_mul_f64 v[106:107], v[106:107], v[114:115]
	v_add_f64 v[2:3], v[2:3], -v[60:61]
	v_fma_f64 v[106:107], v[108:109], v[58:59], v[106:107]
	v_mov_b32_e32 v60, v114
	v_mov_b32_e32 v61, v115
	v_add_f64 v[4:5], v[4:5], -v[106:107]
.LBB50_251:
	s_or_b32 exec_lo, exec_lo, s0
	v_lshl_add_u32 v106, v120, 4, v1
	s_barrier
	buffer_gl0_inv
	v_mov_b32_e32 v114, 12
	ds_write2_b64 v106, v[54:55], v[56:57] offset1:1
	s_waitcnt lgkmcnt(0)
	s_barrier
	buffer_gl0_inv
	ds_read2_b64 v[106:109], v1 offset0:24 offset1:25
	s_cmp_lt_i32 s3, 14
	s_cbranch_scc1 .LBB50_254
; %bb.252:
	v_add3_u32 v115, v116, 0, 0xd0
	v_mov_b32_e32 v114, 12
	s_mov_b32 s1, 13
	s_inst_prefetch 0x1
	.p2align	6
.LBB50_253:                             ; =>This Inner Loop Header: Depth=1
	s_waitcnt lgkmcnt(0)
	v_cmp_gt_f64_e32 vcc_lo, 0, v[108:109]
	v_cmp_gt_f64_e64 s0, 0, v[106:107]
	ds_read2_b64 v[121:124], v115 offset1:1
	v_xor_b32_e32 v126, 0x80000000, v107
	v_xor_b32_e32 v128, 0x80000000, v109
	v_mov_b32_e32 v125, v106
	v_mov_b32_e32 v127, v108
	v_add_nc_u32_e32 v115, 16, v115
	s_waitcnt lgkmcnt(0)
	v_xor_b32_e32 v130, 0x80000000, v124
	v_cndmask_b32_e64 v126, v107, v126, s0
	v_cndmask_b32_e32 v128, v109, v128, vcc_lo
	v_cmp_gt_f64_e32 vcc_lo, 0, v[123:124]
	v_cmp_gt_f64_e64 s0, 0, v[121:122]
	v_mov_b32_e32 v129, v123
	v_add_f64 v[125:126], v[125:126], v[127:128]
	v_xor_b32_e32 v128, 0x80000000, v122
	v_mov_b32_e32 v127, v121
	v_cndmask_b32_e32 v130, v124, v130, vcc_lo
	v_cndmask_b32_e64 v128, v122, v128, s0
	v_add_f64 v[127:128], v[127:128], v[129:130]
	v_cmp_lt_f64_e32 vcc_lo, v[125:126], v[127:128]
	v_cndmask_b32_e32 v107, v107, v122, vcc_lo
	v_cndmask_b32_e32 v106, v106, v121, vcc_lo
	;; [unrolled: 1-line block ×4, first 2 shown]
	v_cndmask_b32_e64 v114, v114, s1, vcc_lo
	s_add_i32 s1, s1, 1
	s_cmp_lg_u32 s3, s1
	s_cbranch_scc1 .LBB50_253
.LBB50_254:
	s_inst_prefetch 0x2
	s_waitcnt lgkmcnt(0)
	v_cmp_eq_f64_e32 vcc_lo, 0, v[106:107]
	v_cmp_eq_f64_e64 s0, 0, v[108:109]
	s_and_b32 s0, vcc_lo, s0
	s_and_saveexec_b32 s1, s0
	s_xor_b32 s0, exec_lo, s1
; %bb.255:
	v_cmp_ne_u32_e32 vcc_lo, 0, v119
	v_cndmask_b32_e32 v119, 13, v119, vcc_lo
; %bb.256:
	s_andn2_saveexec_b32 s0, s0
	s_cbranch_execz .LBB50_262
; %bb.257:
	v_cmp_ngt_f64_e64 s1, |v[106:107]|, |v[108:109]|
	s_and_saveexec_b32 s2, s1
	s_xor_b32 s1, exec_lo, s2
	s_cbranch_execz .LBB50_259
; %bb.258:
	v_div_scale_f64 v[121:122], null, v[108:109], v[108:109], v[106:107]
	v_div_scale_f64 v[127:128], vcc_lo, v[106:107], v[108:109], v[106:107]
	v_rcp_f64_e32 v[123:124], v[121:122]
	v_fma_f64 v[125:126], -v[121:122], v[123:124], 1.0
	v_fma_f64 v[123:124], v[123:124], v[125:126], v[123:124]
	v_fma_f64 v[125:126], -v[121:122], v[123:124], 1.0
	v_fma_f64 v[123:124], v[123:124], v[125:126], v[123:124]
	v_mul_f64 v[125:126], v[127:128], v[123:124]
	v_fma_f64 v[121:122], -v[121:122], v[125:126], v[127:128]
	v_div_fmas_f64 v[121:122], v[121:122], v[123:124], v[125:126]
	v_div_fixup_f64 v[121:122], v[121:122], v[108:109], v[106:107]
	v_fma_f64 v[106:107], v[106:107], v[121:122], v[108:109]
	v_div_scale_f64 v[108:109], null, v[106:107], v[106:107], 1.0
	v_rcp_f64_e32 v[123:124], v[108:109]
	v_fma_f64 v[125:126], -v[108:109], v[123:124], 1.0
	v_fma_f64 v[123:124], v[123:124], v[125:126], v[123:124]
	v_fma_f64 v[125:126], -v[108:109], v[123:124], 1.0
	v_fma_f64 v[123:124], v[123:124], v[125:126], v[123:124]
	v_div_scale_f64 v[125:126], vcc_lo, 1.0, v[106:107], 1.0
	v_mul_f64 v[127:128], v[125:126], v[123:124]
	v_fma_f64 v[108:109], -v[108:109], v[127:128], v[125:126]
	v_div_fmas_f64 v[108:109], v[108:109], v[123:124], v[127:128]
	v_div_fixup_f64 v[108:109], v[108:109], v[106:107], 1.0
	v_mul_f64 v[106:107], v[121:122], v[108:109]
	v_xor_b32_e32 v109, 0x80000000, v109
.LBB50_259:
	s_andn2_saveexec_b32 s1, s1
	s_cbranch_execz .LBB50_261
; %bb.260:
	v_div_scale_f64 v[121:122], null, v[106:107], v[106:107], v[108:109]
	v_div_scale_f64 v[127:128], vcc_lo, v[108:109], v[106:107], v[108:109]
	v_rcp_f64_e32 v[123:124], v[121:122]
	v_fma_f64 v[125:126], -v[121:122], v[123:124], 1.0
	v_fma_f64 v[123:124], v[123:124], v[125:126], v[123:124]
	v_fma_f64 v[125:126], -v[121:122], v[123:124], 1.0
	v_fma_f64 v[123:124], v[123:124], v[125:126], v[123:124]
	v_mul_f64 v[125:126], v[127:128], v[123:124]
	v_fma_f64 v[121:122], -v[121:122], v[125:126], v[127:128]
	v_div_fmas_f64 v[121:122], v[121:122], v[123:124], v[125:126]
	v_div_fixup_f64 v[121:122], v[121:122], v[106:107], v[108:109]
	v_fma_f64 v[106:107], v[108:109], v[121:122], v[106:107]
	v_div_scale_f64 v[108:109], null, v[106:107], v[106:107], 1.0
	v_rcp_f64_e32 v[123:124], v[108:109]
	v_fma_f64 v[125:126], -v[108:109], v[123:124], 1.0
	v_fma_f64 v[123:124], v[123:124], v[125:126], v[123:124]
	v_fma_f64 v[125:126], -v[108:109], v[123:124], 1.0
	v_fma_f64 v[123:124], v[123:124], v[125:126], v[123:124]
	v_div_scale_f64 v[125:126], vcc_lo, 1.0, v[106:107], 1.0
	v_mul_f64 v[127:128], v[125:126], v[123:124]
	v_fma_f64 v[108:109], -v[108:109], v[127:128], v[125:126]
	v_div_fmas_f64 v[108:109], v[108:109], v[123:124], v[127:128]
	v_div_fixup_f64 v[106:107], v[108:109], v[106:107], 1.0
	v_mul_f64 v[108:109], v[121:122], -v[106:107]
.LBB50_261:
	s_or_b32 exec_lo, exec_lo, s1
.LBB50_262:
	s_or_b32 exec_lo, exec_lo, s0
	s_mov_b32 s0, exec_lo
	v_cmpx_ne_u32_e64 v120, v114
	s_xor_b32 s0, exec_lo, s0
	s_cbranch_execz .LBB50_268
; %bb.263:
	s_mov_b32 s1, exec_lo
	v_cmpx_eq_u32_e32 12, v120
	s_cbranch_execz .LBB50_267
; %bb.264:
	v_cmp_ne_u32_e32 vcc_lo, 12, v114
	s_xor_b32 s2, s16, -1
	s_and_b32 s7, s2, vcc_lo
	s_and_saveexec_b32 s2, s7
	s_cbranch_execz .LBB50_266
; %bb.265:
	v_ashrrev_i32_e32 v115, 31, v114
	v_lshlrev_b64 v[120:121], 2, v[114:115]
	v_add_co_u32 v120, vcc_lo, v112, v120
	v_add_co_ci_u32_e64 v121, null, v113, v121, vcc_lo
	s_clause 0x1
	global_load_dword v0, v[120:121], off
	global_load_dword v115, v[112:113], off offset:48
	s_waitcnt vmcnt(1)
	global_store_dword v[112:113], v0, off offset:48
	s_waitcnt vmcnt(0)
	global_store_dword v[120:121], v115, off
.LBB50_266:
	s_or_b32 exec_lo, exec_lo, s2
	v_mov_b32_e32 v120, v114
	v_mov_b32_e32 v0, v114
.LBB50_267:
	s_or_b32 exec_lo, exec_lo, s1
.LBB50_268:
	s_andn2_saveexec_b32 s0, s0
	s_cbranch_execz .LBB50_270
; %bb.269:
	v_mov_b32_e32 v120, 12
	ds_write2_b64 v1, v[50:51], v[52:53] offset0:26 offset1:27
	ds_write2_b64 v1, v[46:47], v[48:49] offset0:28 offset1:29
	;; [unrolled: 1-line block ×13, first 2 shown]
.LBB50_270:
	s_or_b32 exec_lo, exec_lo, s0
	s_mov_b32 s0, exec_lo
	s_waitcnt lgkmcnt(0)
	s_waitcnt_vscnt null, 0x0
	s_barrier
	buffer_gl0_inv
	v_cmpx_lt_i32_e32 12, v120
	s_cbranch_execz .LBB50_272
; %bb.271:
	v_mul_f64 v[114:115], v[106:107], v[56:57]
	v_mul_f64 v[56:57], v[108:109], v[56:57]
	v_fma_f64 v[114:115], v[108:109], v[54:55], v[114:115]
	v_fma_f64 v[54:55], v[106:107], v[54:55], -v[56:57]
	ds_read2_b64 v[106:109], v1 offset0:26 offset1:27
	s_waitcnt lgkmcnt(0)
	v_mul_f64 v[56:57], v[108:109], v[114:115]
	v_fma_f64 v[56:57], v[106:107], v[54:55], -v[56:57]
	v_mul_f64 v[106:107], v[106:107], v[114:115]
	v_add_f64 v[50:51], v[50:51], -v[56:57]
	v_fma_f64 v[106:107], v[108:109], v[54:55], v[106:107]
	v_add_f64 v[52:53], v[52:53], -v[106:107]
	ds_read2_b64 v[106:109], v1 offset0:28 offset1:29
	s_waitcnt lgkmcnt(0)
	v_mul_f64 v[56:57], v[108:109], v[114:115]
	v_fma_f64 v[56:57], v[106:107], v[54:55], -v[56:57]
	v_mul_f64 v[106:107], v[106:107], v[114:115]
	v_add_f64 v[46:47], v[46:47], -v[56:57]
	v_fma_f64 v[106:107], v[108:109], v[54:55], v[106:107]
	v_add_f64 v[48:49], v[48:49], -v[106:107]
	;; [unrolled: 8-line block ×12, first 2 shown]
	ds_read2_b64 v[106:109], v1 offset0:50 offset1:51
	s_waitcnt lgkmcnt(0)
	v_mul_f64 v[56:57], v[108:109], v[114:115]
	v_fma_f64 v[56:57], v[106:107], v[54:55], -v[56:57]
	v_mul_f64 v[106:107], v[106:107], v[114:115]
	v_add_f64 v[2:3], v[2:3], -v[56:57]
	v_fma_f64 v[106:107], v[108:109], v[54:55], v[106:107]
	v_mov_b32_e32 v56, v114
	v_mov_b32_e32 v57, v115
	v_add_f64 v[4:5], v[4:5], -v[106:107]
.LBB50_272:
	s_or_b32 exec_lo, exec_lo, s0
	v_lshl_add_u32 v106, v120, 4, v1
	s_barrier
	buffer_gl0_inv
	v_mov_b32_e32 v114, 13
	ds_write2_b64 v106, v[50:51], v[52:53] offset1:1
	s_waitcnt lgkmcnt(0)
	s_barrier
	buffer_gl0_inv
	ds_read2_b64 v[106:109], v1 offset0:26 offset1:27
	s_cmp_lt_i32 s3, 15
	s_cbranch_scc1 .LBB50_275
; %bb.273:
	v_add3_u32 v115, v116, 0, 0xe0
	v_mov_b32_e32 v114, 13
	s_mov_b32 s1, 14
	s_inst_prefetch 0x1
	.p2align	6
.LBB50_274:                             ; =>This Inner Loop Header: Depth=1
	s_waitcnt lgkmcnt(0)
	v_cmp_gt_f64_e32 vcc_lo, 0, v[108:109]
	v_cmp_gt_f64_e64 s0, 0, v[106:107]
	ds_read2_b64 v[121:124], v115 offset1:1
	v_xor_b32_e32 v126, 0x80000000, v107
	v_xor_b32_e32 v128, 0x80000000, v109
	v_mov_b32_e32 v125, v106
	v_mov_b32_e32 v127, v108
	v_add_nc_u32_e32 v115, 16, v115
	s_waitcnt lgkmcnt(0)
	v_xor_b32_e32 v130, 0x80000000, v124
	v_cndmask_b32_e64 v126, v107, v126, s0
	v_cndmask_b32_e32 v128, v109, v128, vcc_lo
	v_cmp_gt_f64_e32 vcc_lo, 0, v[123:124]
	v_cmp_gt_f64_e64 s0, 0, v[121:122]
	v_mov_b32_e32 v129, v123
	v_add_f64 v[125:126], v[125:126], v[127:128]
	v_xor_b32_e32 v128, 0x80000000, v122
	v_mov_b32_e32 v127, v121
	v_cndmask_b32_e32 v130, v124, v130, vcc_lo
	v_cndmask_b32_e64 v128, v122, v128, s0
	v_add_f64 v[127:128], v[127:128], v[129:130]
	v_cmp_lt_f64_e32 vcc_lo, v[125:126], v[127:128]
	v_cndmask_b32_e32 v107, v107, v122, vcc_lo
	v_cndmask_b32_e32 v106, v106, v121, vcc_lo
	;; [unrolled: 1-line block ×4, first 2 shown]
	v_cndmask_b32_e64 v114, v114, s1, vcc_lo
	s_add_i32 s1, s1, 1
	s_cmp_lg_u32 s3, s1
	s_cbranch_scc1 .LBB50_274
.LBB50_275:
	s_inst_prefetch 0x2
	s_waitcnt lgkmcnt(0)
	v_cmp_eq_f64_e32 vcc_lo, 0, v[106:107]
	v_cmp_eq_f64_e64 s0, 0, v[108:109]
	s_and_b32 s0, vcc_lo, s0
	s_and_saveexec_b32 s1, s0
	s_xor_b32 s0, exec_lo, s1
; %bb.276:
	v_cmp_ne_u32_e32 vcc_lo, 0, v119
	v_cndmask_b32_e32 v119, 14, v119, vcc_lo
; %bb.277:
	s_andn2_saveexec_b32 s0, s0
	s_cbranch_execz .LBB50_283
; %bb.278:
	v_cmp_ngt_f64_e64 s1, |v[106:107]|, |v[108:109]|
	s_and_saveexec_b32 s2, s1
	s_xor_b32 s1, exec_lo, s2
	s_cbranch_execz .LBB50_280
; %bb.279:
	v_div_scale_f64 v[121:122], null, v[108:109], v[108:109], v[106:107]
	v_div_scale_f64 v[127:128], vcc_lo, v[106:107], v[108:109], v[106:107]
	v_rcp_f64_e32 v[123:124], v[121:122]
	v_fma_f64 v[125:126], -v[121:122], v[123:124], 1.0
	v_fma_f64 v[123:124], v[123:124], v[125:126], v[123:124]
	v_fma_f64 v[125:126], -v[121:122], v[123:124], 1.0
	v_fma_f64 v[123:124], v[123:124], v[125:126], v[123:124]
	v_mul_f64 v[125:126], v[127:128], v[123:124]
	v_fma_f64 v[121:122], -v[121:122], v[125:126], v[127:128]
	v_div_fmas_f64 v[121:122], v[121:122], v[123:124], v[125:126]
	v_div_fixup_f64 v[121:122], v[121:122], v[108:109], v[106:107]
	v_fma_f64 v[106:107], v[106:107], v[121:122], v[108:109]
	v_div_scale_f64 v[108:109], null, v[106:107], v[106:107], 1.0
	v_rcp_f64_e32 v[123:124], v[108:109]
	v_fma_f64 v[125:126], -v[108:109], v[123:124], 1.0
	v_fma_f64 v[123:124], v[123:124], v[125:126], v[123:124]
	v_fma_f64 v[125:126], -v[108:109], v[123:124], 1.0
	v_fma_f64 v[123:124], v[123:124], v[125:126], v[123:124]
	v_div_scale_f64 v[125:126], vcc_lo, 1.0, v[106:107], 1.0
	v_mul_f64 v[127:128], v[125:126], v[123:124]
	v_fma_f64 v[108:109], -v[108:109], v[127:128], v[125:126]
	v_div_fmas_f64 v[108:109], v[108:109], v[123:124], v[127:128]
	v_div_fixup_f64 v[108:109], v[108:109], v[106:107], 1.0
	v_mul_f64 v[106:107], v[121:122], v[108:109]
	v_xor_b32_e32 v109, 0x80000000, v109
.LBB50_280:
	s_andn2_saveexec_b32 s1, s1
	s_cbranch_execz .LBB50_282
; %bb.281:
	v_div_scale_f64 v[121:122], null, v[106:107], v[106:107], v[108:109]
	v_div_scale_f64 v[127:128], vcc_lo, v[108:109], v[106:107], v[108:109]
	v_rcp_f64_e32 v[123:124], v[121:122]
	v_fma_f64 v[125:126], -v[121:122], v[123:124], 1.0
	v_fma_f64 v[123:124], v[123:124], v[125:126], v[123:124]
	v_fma_f64 v[125:126], -v[121:122], v[123:124], 1.0
	v_fma_f64 v[123:124], v[123:124], v[125:126], v[123:124]
	v_mul_f64 v[125:126], v[127:128], v[123:124]
	v_fma_f64 v[121:122], -v[121:122], v[125:126], v[127:128]
	v_div_fmas_f64 v[121:122], v[121:122], v[123:124], v[125:126]
	v_div_fixup_f64 v[121:122], v[121:122], v[106:107], v[108:109]
	v_fma_f64 v[106:107], v[108:109], v[121:122], v[106:107]
	v_div_scale_f64 v[108:109], null, v[106:107], v[106:107], 1.0
	v_rcp_f64_e32 v[123:124], v[108:109]
	v_fma_f64 v[125:126], -v[108:109], v[123:124], 1.0
	v_fma_f64 v[123:124], v[123:124], v[125:126], v[123:124]
	v_fma_f64 v[125:126], -v[108:109], v[123:124], 1.0
	v_fma_f64 v[123:124], v[123:124], v[125:126], v[123:124]
	v_div_scale_f64 v[125:126], vcc_lo, 1.0, v[106:107], 1.0
	v_mul_f64 v[127:128], v[125:126], v[123:124]
	v_fma_f64 v[108:109], -v[108:109], v[127:128], v[125:126]
	v_div_fmas_f64 v[108:109], v[108:109], v[123:124], v[127:128]
	v_div_fixup_f64 v[106:107], v[108:109], v[106:107], 1.0
	v_mul_f64 v[108:109], v[121:122], -v[106:107]
.LBB50_282:
	s_or_b32 exec_lo, exec_lo, s1
.LBB50_283:
	s_or_b32 exec_lo, exec_lo, s0
	s_mov_b32 s0, exec_lo
	v_cmpx_ne_u32_e64 v120, v114
	s_xor_b32 s0, exec_lo, s0
	s_cbranch_execz .LBB50_289
; %bb.284:
	s_mov_b32 s1, exec_lo
	v_cmpx_eq_u32_e32 13, v120
	s_cbranch_execz .LBB50_288
; %bb.285:
	v_cmp_ne_u32_e32 vcc_lo, 13, v114
	s_xor_b32 s2, s16, -1
	s_and_b32 s7, s2, vcc_lo
	s_and_saveexec_b32 s2, s7
	s_cbranch_execz .LBB50_287
; %bb.286:
	v_ashrrev_i32_e32 v115, 31, v114
	v_lshlrev_b64 v[120:121], 2, v[114:115]
	v_add_co_u32 v120, vcc_lo, v112, v120
	v_add_co_ci_u32_e64 v121, null, v113, v121, vcc_lo
	s_clause 0x1
	global_load_dword v0, v[120:121], off
	global_load_dword v115, v[112:113], off offset:52
	s_waitcnt vmcnt(1)
	global_store_dword v[112:113], v0, off offset:52
	s_waitcnt vmcnt(0)
	global_store_dword v[120:121], v115, off
.LBB50_287:
	s_or_b32 exec_lo, exec_lo, s2
	v_mov_b32_e32 v120, v114
	v_mov_b32_e32 v0, v114
.LBB50_288:
	s_or_b32 exec_lo, exec_lo, s1
.LBB50_289:
	s_andn2_saveexec_b32 s0, s0
	s_cbranch_execz .LBB50_291
; %bb.290:
	v_mov_b32_e32 v120, 13
	ds_write2_b64 v1, v[46:47], v[48:49] offset0:28 offset1:29
	ds_write2_b64 v1, v[42:43], v[44:45] offset0:30 offset1:31
	;; [unrolled: 1-line block ×12, first 2 shown]
.LBB50_291:
	s_or_b32 exec_lo, exec_lo, s0
	s_mov_b32 s0, exec_lo
	s_waitcnt lgkmcnt(0)
	s_waitcnt_vscnt null, 0x0
	s_barrier
	buffer_gl0_inv
	v_cmpx_lt_i32_e32 13, v120
	s_cbranch_execz .LBB50_293
; %bb.292:
	v_mul_f64 v[114:115], v[106:107], v[52:53]
	v_mul_f64 v[52:53], v[108:109], v[52:53]
	v_fma_f64 v[114:115], v[108:109], v[50:51], v[114:115]
	v_fma_f64 v[50:51], v[106:107], v[50:51], -v[52:53]
	ds_read2_b64 v[106:109], v1 offset0:28 offset1:29
	s_waitcnt lgkmcnt(0)
	v_mul_f64 v[52:53], v[108:109], v[114:115]
	v_fma_f64 v[52:53], v[106:107], v[50:51], -v[52:53]
	v_mul_f64 v[106:107], v[106:107], v[114:115]
	v_add_f64 v[46:47], v[46:47], -v[52:53]
	v_fma_f64 v[106:107], v[108:109], v[50:51], v[106:107]
	v_add_f64 v[48:49], v[48:49], -v[106:107]
	ds_read2_b64 v[106:109], v1 offset0:30 offset1:31
	s_waitcnt lgkmcnt(0)
	v_mul_f64 v[52:53], v[108:109], v[114:115]
	v_fma_f64 v[52:53], v[106:107], v[50:51], -v[52:53]
	v_mul_f64 v[106:107], v[106:107], v[114:115]
	v_add_f64 v[42:43], v[42:43], -v[52:53]
	v_fma_f64 v[106:107], v[108:109], v[50:51], v[106:107]
	v_add_f64 v[44:45], v[44:45], -v[106:107]
	;; [unrolled: 8-line block ×11, first 2 shown]
	ds_read2_b64 v[106:109], v1 offset0:50 offset1:51
	s_waitcnt lgkmcnt(0)
	v_mul_f64 v[52:53], v[108:109], v[114:115]
	v_fma_f64 v[52:53], v[106:107], v[50:51], -v[52:53]
	v_mul_f64 v[106:107], v[106:107], v[114:115]
	v_add_f64 v[2:3], v[2:3], -v[52:53]
	v_fma_f64 v[106:107], v[108:109], v[50:51], v[106:107]
	v_mov_b32_e32 v52, v114
	v_mov_b32_e32 v53, v115
	v_add_f64 v[4:5], v[4:5], -v[106:107]
.LBB50_293:
	s_or_b32 exec_lo, exec_lo, s0
	v_lshl_add_u32 v106, v120, 4, v1
	s_barrier
	buffer_gl0_inv
	v_mov_b32_e32 v114, 14
	ds_write2_b64 v106, v[46:47], v[48:49] offset1:1
	s_waitcnt lgkmcnt(0)
	s_barrier
	buffer_gl0_inv
	ds_read2_b64 v[106:109], v1 offset0:28 offset1:29
	s_cmp_lt_i32 s3, 16
	s_cbranch_scc1 .LBB50_296
; %bb.294:
	v_add3_u32 v115, v116, 0, 0xf0
	v_mov_b32_e32 v114, 14
	s_mov_b32 s1, 15
	s_inst_prefetch 0x1
	.p2align	6
.LBB50_295:                             ; =>This Inner Loop Header: Depth=1
	s_waitcnt lgkmcnt(0)
	v_cmp_gt_f64_e32 vcc_lo, 0, v[108:109]
	v_cmp_gt_f64_e64 s0, 0, v[106:107]
	ds_read2_b64 v[121:124], v115 offset1:1
	v_xor_b32_e32 v126, 0x80000000, v107
	v_xor_b32_e32 v128, 0x80000000, v109
	v_mov_b32_e32 v125, v106
	v_mov_b32_e32 v127, v108
	v_add_nc_u32_e32 v115, 16, v115
	s_waitcnt lgkmcnt(0)
	v_xor_b32_e32 v130, 0x80000000, v124
	v_cndmask_b32_e64 v126, v107, v126, s0
	v_cndmask_b32_e32 v128, v109, v128, vcc_lo
	v_cmp_gt_f64_e32 vcc_lo, 0, v[123:124]
	v_cmp_gt_f64_e64 s0, 0, v[121:122]
	v_mov_b32_e32 v129, v123
	v_add_f64 v[125:126], v[125:126], v[127:128]
	v_xor_b32_e32 v128, 0x80000000, v122
	v_mov_b32_e32 v127, v121
	v_cndmask_b32_e32 v130, v124, v130, vcc_lo
	v_cndmask_b32_e64 v128, v122, v128, s0
	v_add_f64 v[127:128], v[127:128], v[129:130]
	v_cmp_lt_f64_e32 vcc_lo, v[125:126], v[127:128]
	v_cndmask_b32_e32 v107, v107, v122, vcc_lo
	v_cndmask_b32_e32 v106, v106, v121, vcc_lo
	;; [unrolled: 1-line block ×4, first 2 shown]
	v_cndmask_b32_e64 v114, v114, s1, vcc_lo
	s_add_i32 s1, s1, 1
	s_cmp_lg_u32 s3, s1
	s_cbranch_scc1 .LBB50_295
.LBB50_296:
	s_inst_prefetch 0x2
	s_waitcnt lgkmcnt(0)
	v_cmp_eq_f64_e32 vcc_lo, 0, v[106:107]
	v_cmp_eq_f64_e64 s0, 0, v[108:109]
	s_and_b32 s0, vcc_lo, s0
	s_and_saveexec_b32 s1, s0
	s_xor_b32 s0, exec_lo, s1
; %bb.297:
	v_cmp_ne_u32_e32 vcc_lo, 0, v119
	v_cndmask_b32_e32 v119, 15, v119, vcc_lo
; %bb.298:
	s_andn2_saveexec_b32 s0, s0
	s_cbranch_execz .LBB50_304
; %bb.299:
	v_cmp_ngt_f64_e64 s1, |v[106:107]|, |v[108:109]|
	s_and_saveexec_b32 s2, s1
	s_xor_b32 s1, exec_lo, s2
	s_cbranch_execz .LBB50_301
; %bb.300:
	v_div_scale_f64 v[121:122], null, v[108:109], v[108:109], v[106:107]
	v_div_scale_f64 v[127:128], vcc_lo, v[106:107], v[108:109], v[106:107]
	v_rcp_f64_e32 v[123:124], v[121:122]
	v_fma_f64 v[125:126], -v[121:122], v[123:124], 1.0
	v_fma_f64 v[123:124], v[123:124], v[125:126], v[123:124]
	v_fma_f64 v[125:126], -v[121:122], v[123:124], 1.0
	v_fma_f64 v[123:124], v[123:124], v[125:126], v[123:124]
	v_mul_f64 v[125:126], v[127:128], v[123:124]
	v_fma_f64 v[121:122], -v[121:122], v[125:126], v[127:128]
	v_div_fmas_f64 v[121:122], v[121:122], v[123:124], v[125:126]
	v_div_fixup_f64 v[121:122], v[121:122], v[108:109], v[106:107]
	v_fma_f64 v[106:107], v[106:107], v[121:122], v[108:109]
	v_div_scale_f64 v[108:109], null, v[106:107], v[106:107], 1.0
	v_rcp_f64_e32 v[123:124], v[108:109]
	v_fma_f64 v[125:126], -v[108:109], v[123:124], 1.0
	v_fma_f64 v[123:124], v[123:124], v[125:126], v[123:124]
	v_fma_f64 v[125:126], -v[108:109], v[123:124], 1.0
	v_fma_f64 v[123:124], v[123:124], v[125:126], v[123:124]
	v_div_scale_f64 v[125:126], vcc_lo, 1.0, v[106:107], 1.0
	v_mul_f64 v[127:128], v[125:126], v[123:124]
	v_fma_f64 v[108:109], -v[108:109], v[127:128], v[125:126]
	v_div_fmas_f64 v[108:109], v[108:109], v[123:124], v[127:128]
	v_div_fixup_f64 v[108:109], v[108:109], v[106:107], 1.0
	v_mul_f64 v[106:107], v[121:122], v[108:109]
	v_xor_b32_e32 v109, 0x80000000, v109
.LBB50_301:
	s_andn2_saveexec_b32 s1, s1
	s_cbranch_execz .LBB50_303
; %bb.302:
	v_div_scale_f64 v[121:122], null, v[106:107], v[106:107], v[108:109]
	v_div_scale_f64 v[127:128], vcc_lo, v[108:109], v[106:107], v[108:109]
	v_rcp_f64_e32 v[123:124], v[121:122]
	v_fma_f64 v[125:126], -v[121:122], v[123:124], 1.0
	v_fma_f64 v[123:124], v[123:124], v[125:126], v[123:124]
	v_fma_f64 v[125:126], -v[121:122], v[123:124], 1.0
	v_fma_f64 v[123:124], v[123:124], v[125:126], v[123:124]
	v_mul_f64 v[125:126], v[127:128], v[123:124]
	v_fma_f64 v[121:122], -v[121:122], v[125:126], v[127:128]
	v_div_fmas_f64 v[121:122], v[121:122], v[123:124], v[125:126]
	v_div_fixup_f64 v[121:122], v[121:122], v[106:107], v[108:109]
	v_fma_f64 v[106:107], v[108:109], v[121:122], v[106:107]
	v_div_scale_f64 v[108:109], null, v[106:107], v[106:107], 1.0
	v_rcp_f64_e32 v[123:124], v[108:109]
	v_fma_f64 v[125:126], -v[108:109], v[123:124], 1.0
	v_fma_f64 v[123:124], v[123:124], v[125:126], v[123:124]
	v_fma_f64 v[125:126], -v[108:109], v[123:124], 1.0
	v_fma_f64 v[123:124], v[123:124], v[125:126], v[123:124]
	v_div_scale_f64 v[125:126], vcc_lo, 1.0, v[106:107], 1.0
	v_mul_f64 v[127:128], v[125:126], v[123:124]
	v_fma_f64 v[108:109], -v[108:109], v[127:128], v[125:126]
	v_div_fmas_f64 v[108:109], v[108:109], v[123:124], v[127:128]
	v_div_fixup_f64 v[106:107], v[108:109], v[106:107], 1.0
	v_mul_f64 v[108:109], v[121:122], -v[106:107]
.LBB50_303:
	s_or_b32 exec_lo, exec_lo, s1
.LBB50_304:
	s_or_b32 exec_lo, exec_lo, s0
	s_mov_b32 s0, exec_lo
	v_cmpx_ne_u32_e64 v120, v114
	s_xor_b32 s0, exec_lo, s0
	s_cbranch_execz .LBB50_310
; %bb.305:
	s_mov_b32 s1, exec_lo
	v_cmpx_eq_u32_e32 14, v120
	s_cbranch_execz .LBB50_309
; %bb.306:
	v_cmp_ne_u32_e32 vcc_lo, 14, v114
	s_xor_b32 s2, s16, -1
	s_and_b32 s7, s2, vcc_lo
	s_and_saveexec_b32 s2, s7
	s_cbranch_execz .LBB50_308
; %bb.307:
	v_ashrrev_i32_e32 v115, 31, v114
	v_lshlrev_b64 v[120:121], 2, v[114:115]
	v_add_co_u32 v120, vcc_lo, v112, v120
	v_add_co_ci_u32_e64 v121, null, v113, v121, vcc_lo
	s_clause 0x1
	global_load_dword v0, v[120:121], off
	global_load_dword v115, v[112:113], off offset:56
	s_waitcnt vmcnt(1)
	global_store_dword v[112:113], v0, off offset:56
	s_waitcnt vmcnt(0)
	global_store_dword v[120:121], v115, off
.LBB50_308:
	s_or_b32 exec_lo, exec_lo, s2
	v_mov_b32_e32 v120, v114
	v_mov_b32_e32 v0, v114
.LBB50_309:
	s_or_b32 exec_lo, exec_lo, s1
.LBB50_310:
	s_andn2_saveexec_b32 s0, s0
	s_cbranch_execz .LBB50_312
; %bb.311:
	v_mov_b32_e32 v120, 14
	ds_write2_b64 v1, v[42:43], v[44:45] offset0:30 offset1:31
	ds_write2_b64 v1, v[38:39], v[40:41] offset0:32 offset1:33
	;; [unrolled: 1-line block ×11, first 2 shown]
.LBB50_312:
	s_or_b32 exec_lo, exec_lo, s0
	s_mov_b32 s0, exec_lo
	s_waitcnt lgkmcnt(0)
	s_waitcnt_vscnt null, 0x0
	s_barrier
	buffer_gl0_inv
	v_cmpx_lt_i32_e32 14, v120
	s_cbranch_execz .LBB50_314
; %bb.313:
	v_mul_f64 v[114:115], v[106:107], v[48:49]
	v_mul_f64 v[48:49], v[108:109], v[48:49]
	v_fma_f64 v[114:115], v[108:109], v[46:47], v[114:115]
	v_fma_f64 v[46:47], v[106:107], v[46:47], -v[48:49]
	ds_read2_b64 v[106:109], v1 offset0:30 offset1:31
	s_waitcnt lgkmcnt(0)
	v_mul_f64 v[48:49], v[108:109], v[114:115]
	v_fma_f64 v[48:49], v[106:107], v[46:47], -v[48:49]
	v_mul_f64 v[106:107], v[106:107], v[114:115]
	v_add_f64 v[42:43], v[42:43], -v[48:49]
	v_fma_f64 v[106:107], v[108:109], v[46:47], v[106:107]
	v_add_f64 v[44:45], v[44:45], -v[106:107]
	ds_read2_b64 v[106:109], v1 offset0:32 offset1:33
	s_waitcnt lgkmcnt(0)
	v_mul_f64 v[48:49], v[108:109], v[114:115]
	v_fma_f64 v[48:49], v[106:107], v[46:47], -v[48:49]
	v_mul_f64 v[106:107], v[106:107], v[114:115]
	v_add_f64 v[38:39], v[38:39], -v[48:49]
	v_fma_f64 v[106:107], v[108:109], v[46:47], v[106:107]
	v_add_f64 v[40:41], v[40:41], -v[106:107]
	;; [unrolled: 8-line block ×10, first 2 shown]
	ds_read2_b64 v[106:109], v1 offset0:50 offset1:51
	s_waitcnt lgkmcnt(0)
	v_mul_f64 v[48:49], v[108:109], v[114:115]
	v_fma_f64 v[48:49], v[106:107], v[46:47], -v[48:49]
	v_mul_f64 v[106:107], v[106:107], v[114:115]
	v_add_f64 v[2:3], v[2:3], -v[48:49]
	v_fma_f64 v[106:107], v[108:109], v[46:47], v[106:107]
	v_mov_b32_e32 v48, v114
	v_mov_b32_e32 v49, v115
	v_add_f64 v[4:5], v[4:5], -v[106:107]
.LBB50_314:
	s_or_b32 exec_lo, exec_lo, s0
	v_lshl_add_u32 v106, v120, 4, v1
	s_barrier
	buffer_gl0_inv
	v_mov_b32_e32 v114, 15
	ds_write2_b64 v106, v[42:43], v[44:45] offset1:1
	s_waitcnt lgkmcnt(0)
	s_barrier
	buffer_gl0_inv
	ds_read2_b64 v[106:109], v1 offset0:30 offset1:31
	s_cmp_lt_i32 s3, 17
	s_cbranch_scc1 .LBB50_317
; %bb.315:
	v_add3_u32 v115, v116, 0, 0x100
	v_mov_b32_e32 v114, 15
	s_mov_b32 s1, 16
	s_inst_prefetch 0x1
	.p2align	6
.LBB50_316:                             ; =>This Inner Loop Header: Depth=1
	s_waitcnt lgkmcnt(0)
	v_cmp_gt_f64_e32 vcc_lo, 0, v[108:109]
	v_cmp_gt_f64_e64 s0, 0, v[106:107]
	ds_read2_b64 v[121:124], v115 offset1:1
	v_xor_b32_e32 v126, 0x80000000, v107
	v_xor_b32_e32 v128, 0x80000000, v109
	v_mov_b32_e32 v125, v106
	v_mov_b32_e32 v127, v108
	v_add_nc_u32_e32 v115, 16, v115
	s_waitcnt lgkmcnt(0)
	v_xor_b32_e32 v130, 0x80000000, v124
	v_cndmask_b32_e64 v126, v107, v126, s0
	v_cndmask_b32_e32 v128, v109, v128, vcc_lo
	v_cmp_gt_f64_e32 vcc_lo, 0, v[123:124]
	v_cmp_gt_f64_e64 s0, 0, v[121:122]
	v_mov_b32_e32 v129, v123
	v_add_f64 v[125:126], v[125:126], v[127:128]
	v_xor_b32_e32 v128, 0x80000000, v122
	v_mov_b32_e32 v127, v121
	v_cndmask_b32_e32 v130, v124, v130, vcc_lo
	v_cndmask_b32_e64 v128, v122, v128, s0
	v_add_f64 v[127:128], v[127:128], v[129:130]
	v_cmp_lt_f64_e32 vcc_lo, v[125:126], v[127:128]
	v_cndmask_b32_e32 v107, v107, v122, vcc_lo
	v_cndmask_b32_e32 v106, v106, v121, vcc_lo
	;; [unrolled: 1-line block ×4, first 2 shown]
	v_cndmask_b32_e64 v114, v114, s1, vcc_lo
	s_add_i32 s1, s1, 1
	s_cmp_lg_u32 s3, s1
	s_cbranch_scc1 .LBB50_316
.LBB50_317:
	s_inst_prefetch 0x2
	s_waitcnt lgkmcnt(0)
	v_cmp_eq_f64_e32 vcc_lo, 0, v[106:107]
	v_cmp_eq_f64_e64 s0, 0, v[108:109]
	s_and_b32 s0, vcc_lo, s0
	s_and_saveexec_b32 s1, s0
	s_xor_b32 s0, exec_lo, s1
; %bb.318:
	v_cmp_ne_u32_e32 vcc_lo, 0, v119
	v_cndmask_b32_e32 v119, 16, v119, vcc_lo
; %bb.319:
	s_andn2_saveexec_b32 s0, s0
	s_cbranch_execz .LBB50_325
; %bb.320:
	v_cmp_ngt_f64_e64 s1, |v[106:107]|, |v[108:109]|
	s_and_saveexec_b32 s2, s1
	s_xor_b32 s1, exec_lo, s2
	s_cbranch_execz .LBB50_322
; %bb.321:
	v_div_scale_f64 v[121:122], null, v[108:109], v[108:109], v[106:107]
	v_div_scale_f64 v[127:128], vcc_lo, v[106:107], v[108:109], v[106:107]
	v_rcp_f64_e32 v[123:124], v[121:122]
	v_fma_f64 v[125:126], -v[121:122], v[123:124], 1.0
	v_fma_f64 v[123:124], v[123:124], v[125:126], v[123:124]
	v_fma_f64 v[125:126], -v[121:122], v[123:124], 1.0
	v_fma_f64 v[123:124], v[123:124], v[125:126], v[123:124]
	v_mul_f64 v[125:126], v[127:128], v[123:124]
	v_fma_f64 v[121:122], -v[121:122], v[125:126], v[127:128]
	v_div_fmas_f64 v[121:122], v[121:122], v[123:124], v[125:126]
	v_div_fixup_f64 v[121:122], v[121:122], v[108:109], v[106:107]
	v_fma_f64 v[106:107], v[106:107], v[121:122], v[108:109]
	v_div_scale_f64 v[108:109], null, v[106:107], v[106:107], 1.0
	v_rcp_f64_e32 v[123:124], v[108:109]
	v_fma_f64 v[125:126], -v[108:109], v[123:124], 1.0
	v_fma_f64 v[123:124], v[123:124], v[125:126], v[123:124]
	v_fma_f64 v[125:126], -v[108:109], v[123:124], 1.0
	v_fma_f64 v[123:124], v[123:124], v[125:126], v[123:124]
	v_div_scale_f64 v[125:126], vcc_lo, 1.0, v[106:107], 1.0
	v_mul_f64 v[127:128], v[125:126], v[123:124]
	v_fma_f64 v[108:109], -v[108:109], v[127:128], v[125:126]
	v_div_fmas_f64 v[108:109], v[108:109], v[123:124], v[127:128]
	v_div_fixup_f64 v[108:109], v[108:109], v[106:107], 1.0
	v_mul_f64 v[106:107], v[121:122], v[108:109]
	v_xor_b32_e32 v109, 0x80000000, v109
.LBB50_322:
	s_andn2_saveexec_b32 s1, s1
	s_cbranch_execz .LBB50_324
; %bb.323:
	v_div_scale_f64 v[121:122], null, v[106:107], v[106:107], v[108:109]
	v_div_scale_f64 v[127:128], vcc_lo, v[108:109], v[106:107], v[108:109]
	v_rcp_f64_e32 v[123:124], v[121:122]
	v_fma_f64 v[125:126], -v[121:122], v[123:124], 1.0
	v_fma_f64 v[123:124], v[123:124], v[125:126], v[123:124]
	v_fma_f64 v[125:126], -v[121:122], v[123:124], 1.0
	v_fma_f64 v[123:124], v[123:124], v[125:126], v[123:124]
	v_mul_f64 v[125:126], v[127:128], v[123:124]
	v_fma_f64 v[121:122], -v[121:122], v[125:126], v[127:128]
	v_div_fmas_f64 v[121:122], v[121:122], v[123:124], v[125:126]
	v_div_fixup_f64 v[121:122], v[121:122], v[106:107], v[108:109]
	v_fma_f64 v[106:107], v[108:109], v[121:122], v[106:107]
	v_div_scale_f64 v[108:109], null, v[106:107], v[106:107], 1.0
	v_rcp_f64_e32 v[123:124], v[108:109]
	v_fma_f64 v[125:126], -v[108:109], v[123:124], 1.0
	v_fma_f64 v[123:124], v[123:124], v[125:126], v[123:124]
	v_fma_f64 v[125:126], -v[108:109], v[123:124], 1.0
	v_fma_f64 v[123:124], v[123:124], v[125:126], v[123:124]
	v_div_scale_f64 v[125:126], vcc_lo, 1.0, v[106:107], 1.0
	v_mul_f64 v[127:128], v[125:126], v[123:124]
	v_fma_f64 v[108:109], -v[108:109], v[127:128], v[125:126]
	v_div_fmas_f64 v[108:109], v[108:109], v[123:124], v[127:128]
	v_div_fixup_f64 v[106:107], v[108:109], v[106:107], 1.0
	v_mul_f64 v[108:109], v[121:122], -v[106:107]
.LBB50_324:
	s_or_b32 exec_lo, exec_lo, s1
.LBB50_325:
	s_or_b32 exec_lo, exec_lo, s0
	s_mov_b32 s0, exec_lo
	v_cmpx_ne_u32_e64 v120, v114
	s_xor_b32 s0, exec_lo, s0
	s_cbranch_execz .LBB50_331
; %bb.326:
	s_mov_b32 s1, exec_lo
	v_cmpx_eq_u32_e32 15, v120
	s_cbranch_execz .LBB50_330
; %bb.327:
	v_cmp_ne_u32_e32 vcc_lo, 15, v114
	s_xor_b32 s2, s16, -1
	s_and_b32 s7, s2, vcc_lo
	s_and_saveexec_b32 s2, s7
	s_cbranch_execz .LBB50_329
; %bb.328:
	v_ashrrev_i32_e32 v115, 31, v114
	v_lshlrev_b64 v[120:121], 2, v[114:115]
	v_add_co_u32 v120, vcc_lo, v112, v120
	v_add_co_ci_u32_e64 v121, null, v113, v121, vcc_lo
	s_clause 0x1
	global_load_dword v0, v[120:121], off
	global_load_dword v115, v[112:113], off offset:60
	s_waitcnt vmcnt(1)
	global_store_dword v[112:113], v0, off offset:60
	s_waitcnt vmcnt(0)
	global_store_dword v[120:121], v115, off
.LBB50_329:
	s_or_b32 exec_lo, exec_lo, s2
	v_mov_b32_e32 v120, v114
	v_mov_b32_e32 v0, v114
.LBB50_330:
	s_or_b32 exec_lo, exec_lo, s1
.LBB50_331:
	s_andn2_saveexec_b32 s0, s0
	s_cbranch_execz .LBB50_333
; %bb.332:
	v_mov_b32_e32 v120, 15
	ds_write2_b64 v1, v[38:39], v[40:41] offset0:32 offset1:33
	ds_write2_b64 v1, v[34:35], v[36:37] offset0:34 offset1:35
	;; [unrolled: 1-line block ×10, first 2 shown]
.LBB50_333:
	s_or_b32 exec_lo, exec_lo, s0
	s_mov_b32 s0, exec_lo
	s_waitcnt lgkmcnt(0)
	s_waitcnt_vscnt null, 0x0
	s_barrier
	buffer_gl0_inv
	v_cmpx_lt_i32_e32 15, v120
	s_cbranch_execz .LBB50_335
; %bb.334:
	v_mul_f64 v[114:115], v[106:107], v[44:45]
	v_mul_f64 v[44:45], v[108:109], v[44:45]
	v_fma_f64 v[114:115], v[108:109], v[42:43], v[114:115]
	v_fma_f64 v[42:43], v[106:107], v[42:43], -v[44:45]
	ds_read2_b64 v[106:109], v1 offset0:32 offset1:33
	s_waitcnt lgkmcnt(0)
	v_mul_f64 v[44:45], v[108:109], v[114:115]
	v_fma_f64 v[44:45], v[106:107], v[42:43], -v[44:45]
	v_mul_f64 v[106:107], v[106:107], v[114:115]
	v_add_f64 v[38:39], v[38:39], -v[44:45]
	v_fma_f64 v[106:107], v[108:109], v[42:43], v[106:107]
	v_add_f64 v[40:41], v[40:41], -v[106:107]
	ds_read2_b64 v[106:109], v1 offset0:34 offset1:35
	s_waitcnt lgkmcnt(0)
	v_mul_f64 v[44:45], v[108:109], v[114:115]
	v_fma_f64 v[44:45], v[106:107], v[42:43], -v[44:45]
	v_mul_f64 v[106:107], v[106:107], v[114:115]
	v_add_f64 v[34:35], v[34:35], -v[44:45]
	v_fma_f64 v[106:107], v[108:109], v[42:43], v[106:107]
	v_add_f64 v[36:37], v[36:37], -v[106:107]
	ds_read2_b64 v[106:109], v1 offset0:36 offset1:37
	s_waitcnt lgkmcnt(0)
	v_mul_f64 v[44:45], v[108:109], v[114:115]
	v_fma_f64 v[44:45], v[106:107], v[42:43], -v[44:45]
	v_mul_f64 v[106:107], v[106:107], v[114:115]
	v_add_f64 v[30:31], v[30:31], -v[44:45]
	v_fma_f64 v[106:107], v[108:109], v[42:43], v[106:107]
	v_add_f64 v[32:33], v[32:33], -v[106:107]
	ds_read2_b64 v[106:109], v1 offset0:38 offset1:39
	s_waitcnt lgkmcnt(0)
	v_mul_f64 v[44:45], v[108:109], v[114:115]
	v_fma_f64 v[44:45], v[106:107], v[42:43], -v[44:45]
	v_mul_f64 v[106:107], v[106:107], v[114:115]
	v_add_f64 v[26:27], v[26:27], -v[44:45]
	v_fma_f64 v[106:107], v[108:109], v[42:43], v[106:107]
	v_add_f64 v[28:29], v[28:29], -v[106:107]
	ds_read2_b64 v[106:109], v1 offset0:40 offset1:41
	s_waitcnt lgkmcnt(0)
	v_mul_f64 v[44:45], v[108:109], v[114:115]
	v_fma_f64 v[44:45], v[106:107], v[42:43], -v[44:45]
	v_mul_f64 v[106:107], v[106:107], v[114:115]
	v_add_f64 v[22:23], v[22:23], -v[44:45]
	v_fma_f64 v[106:107], v[108:109], v[42:43], v[106:107]
	v_add_f64 v[24:25], v[24:25], -v[106:107]
	ds_read2_b64 v[106:109], v1 offset0:42 offset1:43
	s_waitcnt lgkmcnt(0)
	v_mul_f64 v[44:45], v[108:109], v[114:115]
	v_fma_f64 v[44:45], v[106:107], v[42:43], -v[44:45]
	v_mul_f64 v[106:107], v[106:107], v[114:115]
	v_add_f64 v[18:19], v[18:19], -v[44:45]
	v_fma_f64 v[106:107], v[108:109], v[42:43], v[106:107]
	v_add_f64 v[20:21], v[20:21], -v[106:107]
	ds_read2_b64 v[106:109], v1 offset0:44 offset1:45
	s_waitcnt lgkmcnt(0)
	v_mul_f64 v[44:45], v[108:109], v[114:115]
	v_fma_f64 v[44:45], v[106:107], v[42:43], -v[44:45]
	v_mul_f64 v[106:107], v[106:107], v[114:115]
	v_add_f64 v[14:15], v[14:15], -v[44:45]
	v_fma_f64 v[106:107], v[108:109], v[42:43], v[106:107]
	v_add_f64 v[16:17], v[16:17], -v[106:107]
	ds_read2_b64 v[106:109], v1 offset0:46 offset1:47
	s_waitcnt lgkmcnt(0)
	v_mul_f64 v[44:45], v[108:109], v[114:115]
	v_fma_f64 v[44:45], v[106:107], v[42:43], -v[44:45]
	v_mul_f64 v[106:107], v[106:107], v[114:115]
	v_add_f64 v[10:11], v[10:11], -v[44:45]
	v_fma_f64 v[106:107], v[108:109], v[42:43], v[106:107]
	v_add_f64 v[12:13], v[12:13], -v[106:107]
	ds_read2_b64 v[106:109], v1 offset0:48 offset1:49
	s_waitcnt lgkmcnt(0)
	v_mul_f64 v[44:45], v[108:109], v[114:115]
	v_fma_f64 v[44:45], v[106:107], v[42:43], -v[44:45]
	v_mul_f64 v[106:107], v[106:107], v[114:115]
	v_add_f64 v[6:7], v[6:7], -v[44:45]
	v_fma_f64 v[106:107], v[108:109], v[42:43], v[106:107]
	v_add_f64 v[8:9], v[8:9], -v[106:107]
	ds_read2_b64 v[106:109], v1 offset0:50 offset1:51
	s_waitcnt lgkmcnt(0)
	v_mul_f64 v[44:45], v[108:109], v[114:115]
	v_fma_f64 v[44:45], v[106:107], v[42:43], -v[44:45]
	v_mul_f64 v[106:107], v[106:107], v[114:115]
	v_add_f64 v[2:3], v[2:3], -v[44:45]
	v_fma_f64 v[106:107], v[108:109], v[42:43], v[106:107]
	v_mov_b32_e32 v44, v114
	v_mov_b32_e32 v45, v115
	v_add_f64 v[4:5], v[4:5], -v[106:107]
.LBB50_335:
	s_or_b32 exec_lo, exec_lo, s0
	v_lshl_add_u32 v106, v120, 4, v1
	s_barrier
	buffer_gl0_inv
	v_mov_b32_e32 v114, 16
	ds_write2_b64 v106, v[38:39], v[40:41] offset1:1
	s_waitcnt lgkmcnt(0)
	s_barrier
	buffer_gl0_inv
	ds_read2_b64 v[106:109], v1 offset0:32 offset1:33
	s_cmp_lt_i32 s3, 18
	s_cbranch_scc1 .LBB50_338
; %bb.336:
	v_add3_u32 v115, v116, 0, 0x110
	v_mov_b32_e32 v114, 16
	s_mov_b32 s1, 17
	s_inst_prefetch 0x1
	.p2align	6
.LBB50_337:                             ; =>This Inner Loop Header: Depth=1
	s_waitcnt lgkmcnt(0)
	v_cmp_gt_f64_e32 vcc_lo, 0, v[108:109]
	v_cmp_gt_f64_e64 s0, 0, v[106:107]
	ds_read2_b64 v[121:124], v115 offset1:1
	v_xor_b32_e32 v126, 0x80000000, v107
	v_xor_b32_e32 v128, 0x80000000, v109
	v_mov_b32_e32 v125, v106
	v_mov_b32_e32 v127, v108
	v_add_nc_u32_e32 v115, 16, v115
	s_waitcnt lgkmcnt(0)
	v_xor_b32_e32 v130, 0x80000000, v124
	v_cndmask_b32_e64 v126, v107, v126, s0
	v_cndmask_b32_e32 v128, v109, v128, vcc_lo
	v_cmp_gt_f64_e32 vcc_lo, 0, v[123:124]
	v_cmp_gt_f64_e64 s0, 0, v[121:122]
	v_mov_b32_e32 v129, v123
	v_add_f64 v[125:126], v[125:126], v[127:128]
	v_xor_b32_e32 v128, 0x80000000, v122
	v_mov_b32_e32 v127, v121
	v_cndmask_b32_e32 v130, v124, v130, vcc_lo
	v_cndmask_b32_e64 v128, v122, v128, s0
	v_add_f64 v[127:128], v[127:128], v[129:130]
	v_cmp_lt_f64_e32 vcc_lo, v[125:126], v[127:128]
	v_cndmask_b32_e32 v107, v107, v122, vcc_lo
	v_cndmask_b32_e32 v106, v106, v121, vcc_lo
	;; [unrolled: 1-line block ×4, first 2 shown]
	v_cndmask_b32_e64 v114, v114, s1, vcc_lo
	s_add_i32 s1, s1, 1
	s_cmp_lg_u32 s3, s1
	s_cbranch_scc1 .LBB50_337
.LBB50_338:
	s_inst_prefetch 0x2
	s_waitcnt lgkmcnt(0)
	v_cmp_eq_f64_e32 vcc_lo, 0, v[106:107]
	v_cmp_eq_f64_e64 s0, 0, v[108:109]
	s_and_b32 s0, vcc_lo, s0
	s_and_saveexec_b32 s1, s0
	s_xor_b32 s0, exec_lo, s1
; %bb.339:
	v_cmp_ne_u32_e32 vcc_lo, 0, v119
	v_cndmask_b32_e32 v119, 17, v119, vcc_lo
; %bb.340:
	s_andn2_saveexec_b32 s0, s0
	s_cbranch_execz .LBB50_346
; %bb.341:
	v_cmp_ngt_f64_e64 s1, |v[106:107]|, |v[108:109]|
	s_and_saveexec_b32 s2, s1
	s_xor_b32 s1, exec_lo, s2
	s_cbranch_execz .LBB50_343
; %bb.342:
	v_div_scale_f64 v[121:122], null, v[108:109], v[108:109], v[106:107]
	v_div_scale_f64 v[127:128], vcc_lo, v[106:107], v[108:109], v[106:107]
	v_rcp_f64_e32 v[123:124], v[121:122]
	v_fma_f64 v[125:126], -v[121:122], v[123:124], 1.0
	v_fma_f64 v[123:124], v[123:124], v[125:126], v[123:124]
	v_fma_f64 v[125:126], -v[121:122], v[123:124], 1.0
	v_fma_f64 v[123:124], v[123:124], v[125:126], v[123:124]
	v_mul_f64 v[125:126], v[127:128], v[123:124]
	v_fma_f64 v[121:122], -v[121:122], v[125:126], v[127:128]
	v_div_fmas_f64 v[121:122], v[121:122], v[123:124], v[125:126]
	v_div_fixup_f64 v[121:122], v[121:122], v[108:109], v[106:107]
	v_fma_f64 v[106:107], v[106:107], v[121:122], v[108:109]
	v_div_scale_f64 v[108:109], null, v[106:107], v[106:107], 1.0
	v_rcp_f64_e32 v[123:124], v[108:109]
	v_fma_f64 v[125:126], -v[108:109], v[123:124], 1.0
	v_fma_f64 v[123:124], v[123:124], v[125:126], v[123:124]
	v_fma_f64 v[125:126], -v[108:109], v[123:124], 1.0
	v_fma_f64 v[123:124], v[123:124], v[125:126], v[123:124]
	v_div_scale_f64 v[125:126], vcc_lo, 1.0, v[106:107], 1.0
	v_mul_f64 v[127:128], v[125:126], v[123:124]
	v_fma_f64 v[108:109], -v[108:109], v[127:128], v[125:126]
	v_div_fmas_f64 v[108:109], v[108:109], v[123:124], v[127:128]
	v_div_fixup_f64 v[108:109], v[108:109], v[106:107], 1.0
	v_mul_f64 v[106:107], v[121:122], v[108:109]
	v_xor_b32_e32 v109, 0x80000000, v109
.LBB50_343:
	s_andn2_saveexec_b32 s1, s1
	s_cbranch_execz .LBB50_345
; %bb.344:
	v_div_scale_f64 v[121:122], null, v[106:107], v[106:107], v[108:109]
	v_div_scale_f64 v[127:128], vcc_lo, v[108:109], v[106:107], v[108:109]
	v_rcp_f64_e32 v[123:124], v[121:122]
	v_fma_f64 v[125:126], -v[121:122], v[123:124], 1.0
	v_fma_f64 v[123:124], v[123:124], v[125:126], v[123:124]
	v_fma_f64 v[125:126], -v[121:122], v[123:124], 1.0
	v_fma_f64 v[123:124], v[123:124], v[125:126], v[123:124]
	v_mul_f64 v[125:126], v[127:128], v[123:124]
	v_fma_f64 v[121:122], -v[121:122], v[125:126], v[127:128]
	v_div_fmas_f64 v[121:122], v[121:122], v[123:124], v[125:126]
	v_div_fixup_f64 v[121:122], v[121:122], v[106:107], v[108:109]
	v_fma_f64 v[106:107], v[108:109], v[121:122], v[106:107]
	v_div_scale_f64 v[108:109], null, v[106:107], v[106:107], 1.0
	v_rcp_f64_e32 v[123:124], v[108:109]
	v_fma_f64 v[125:126], -v[108:109], v[123:124], 1.0
	v_fma_f64 v[123:124], v[123:124], v[125:126], v[123:124]
	v_fma_f64 v[125:126], -v[108:109], v[123:124], 1.0
	v_fma_f64 v[123:124], v[123:124], v[125:126], v[123:124]
	v_div_scale_f64 v[125:126], vcc_lo, 1.0, v[106:107], 1.0
	v_mul_f64 v[127:128], v[125:126], v[123:124]
	v_fma_f64 v[108:109], -v[108:109], v[127:128], v[125:126]
	v_div_fmas_f64 v[108:109], v[108:109], v[123:124], v[127:128]
	v_div_fixup_f64 v[106:107], v[108:109], v[106:107], 1.0
	v_mul_f64 v[108:109], v[121:122], -v[106:107]
.LBB50_345:
	s_or_b32 exec_lo, exec_lo, s1
.LBB50_346:
	s_or_b32 exec_lo, exec_lo, s0
	s_mov_b32 s0, exec_lo
	v_cmpx_ne_u32_e64 v120, v114
	s_xor_b32 s0, exec_lo, s0
	s_cbranch_execz .LBB50_352
; %bb.347:
	s_mov_b32 s1, exec_lo
	v_cmpx_eq_u32_e32 16, v120
	s_cbranch_execz .LBB50_351
; %bb.348:
	v_cmp_ne_u32_e32 vcc_lo, 16, v114
	s_xor_b32 s2, s16, -1
	s_and_b32 s7, s2, vcc_lo
	s_and_saveexec_b32 s2, s7
	s_cbranch_execz .LBB50_350
; %bb.349:
	v_ashrrev_i32_e32 v115, 31, v114
	v_lshlrev_b64 v[120:121], 2, v[114:115]
	v_add_co_u32 v120, vcc_lo, v112, v120
	v_add_co_ci_u32_e64 v121, null, v113, v121, vcc_lo
	s_clause 0x1
	global_load_dword v0, v[120:121], off
	global_load_dword v115, v[112:113], off offset:64
	s_waitcnt vmcnt(1)
	global_store_dword v[112:113], v0, off offset:64
	s_waitcnt vmcnt(0)
	global_store_dword v[120:121], v115, off
.LBB50_350:
	s_or_b32 exec_lo, exec_lo, s2
	v_mov_b32_e32 v120, v114
	v_mov_b32_e32 v0, v114
.LBB50_351:
	s_or_b32 exec_lo, exec_lo, s1
.LBB50_352:
	s_andn2_saveexec_b32 s0, s0
	s_cbranch_execz .LBB50_354
; %bb.353:
	v_mov_b32_e32 v120, 16
	ds_write2_b64 v1, v[34:35], v[36:37] offset0:34 offset1:35
	ds_write2_b64 v1, v[30:31], v[32:33] offset0:36 offset1:37
	;; [unrolled: 1-line block ×9, first 2 shown]
.LBB50_354:
	s_or_b32 exec_lo, exec_lo, s0
	s_mov_b32 s0, exec_lo
	s_waitcnt lgkmcnt(0)
	s_waitcnt_vscnt null, 0x0
	s_barrier
	buffer_gl0_inv
	v_cmpx_lt_i32_e32 16, v120
	s_cbranch_execz .LBB50_356
; %bb.355:
	v_mul_f64 v[114:115], v[106:107], v[40:41]
	v_mul_f64 v[40:41], v[108:109], v[40:41]
	v_fma_f64 v[114:115], v[108:109], v[38:39], v[114:115]
	v_fma_f64 v[38:39], v[106:107], v[38:39], -v[40:41]
	ds_read2_b64 v[106:109], v1 offset0:34 offset1:35
	s_waitcnt lgkmcnt(0)
	v_mul_f64 v[40:41], v[108:109], v[114:115]
	v_fma_f64 v[40:41], v[106:107], v[38:39], -v[40:41]
	v_mul_f64 v[106:107], v[106:107], v[114:115]
	v_add_f64 v[34:35], v[34:35], -v[40:41]
	v_fma_f64 v[106:107], v[108:109], v[38:39], v[106:107]
	v_add_f64 v[36:37], v[36:37], -v[106:107]
	ds_read2_b64 v[106:109], v1 offset0:36 offset1:37
	s_waitcnt lgkmcnt(0)
	v_mul_f64 v[40:41], v[108:109], v[114:115]
	v_fma_f64 v[40:41], v[106:107], v[38:39], -v[40:41]
	v_mul_f64 v[106:107], v[106:107], v[114:115]
	v_add_f64 v[30:31], v[30:31], -v[40:41]
	v_fma_f64 v[106:107], v[108:109], v[38:39], v[106:107]
	v_add_f64 v[32:33], v[32:33], -v[106:107]
	;; [unrolled: 8-line block ×8, first 2 shown]
	ds_read2_b64 v[106:109], v1 offset0:50 offset1:51
	s_waitcnt lgkmcnt(0)
	v_mul_f64 v[40:41], v[108:109], v[114:115]
	v_fma_f64 v[40:41], v[106:107], v[38:39], -v[40:41]
	v_mul_f64 v[106:107], v[106:107], v[114:115]
	v_add_f64 v[2:3], v[2:3], -v[40:41]
	v_fma_f64 v[106:107], v[108:109], v[38:39], v[106:107]
	v_mov_b32_e32 v40, v114
	v_mov_b32_e32 v41, v115
	v_add_f64 v[4:5], v[4:5], -v[106:107]
.LBB50_356:
	s_or_b32 exec_lo, exec_lo, s0
	v_lshl_add_u32 v106, v120, 4, v1
	s_barrier
	buffer_gl0_inv
	v_mov_b32_e32 v114, 17
	ds_write2_b64 v106, v[34:35], v[36:37] offset1:1
	s_waitcnt lgkmcnt(0)
	s_barrier
	buffer_gl0_inv
	ds_read2_b64 v[106:109], v1 offset0:34 offset1:35
	s_cmp_lt_i32 s3, 19
	s_cbranch_scc1 .LBB50_359
; %bb.357:
	v_add3_u32 v115, v116, 0, 0x120
	v_mov_b32_e32 v114, 17
	s_mov_b32 s1, 18
	s_inst_prefetch 0x1
	.p2align	6
.LBB50_358:                             ; =>This Inner Loop Header: Depth=1
	s_waitcnt lgkmcnt(0)
	v_cmp_gt_f64_e32 vcc_lo, 0, v[108:109]
	v_cmp_gt_f64_e64 s0, 0, v[106:107]
	ds_read2_b64 v[121:124], v115 offset1:1
	v_xor_b32_e32 v126, 0x80000000, v107
	v_xor_b32_e32 v128, 0x80000000, v109
	v_mov_b32_e32 v125, v106
	v_mov_b32_e32 v127, v108
	v_add_nc_u32_e32 v115, 16, v115
	s_waitcnt lgkmcnt(0)
	v_xor_b32_e32 v130, 0x80000000, v124
	v_cndmask_b32_e64 v126, v107, v126, s0
	v_cndmask_b32_e32 v128, v109, v128, vcc_lo
	v_cmp_gt_f64_e32 vcc_lo, 0, v[123:124]
	v_cmp_gt_f64_e64 s0, 0, v[121:122]
	v_mov_b32_e32 v129, v123
	v_add_f64 v[125:126], v[125:126], v[127:128]
	v_xor_b32_e32 v128, 0x80000000, v122
	v_mov_b32_e32 v127, v121
	v_cndmask_b32_e32 v130, v124, v130, vcc_lo
	v_cndmask_b32_e64 v128, v122, v128, s0
	v_add_f64 v[127:128], v[127:128], v[129:130]
	v_cmp_lt_f64_e32 vcc_lo, v[125:126], v[127:128]
	v_cndmask_b32_e32 v107, v107, v122, vcc_lo
	v_cndmask_b32_e32 v106, v106, v121, vcc_lo
	;; [unrolled: 1-line block ×4, first 2 shown]
	v_cndmask_b32_e64 v114, v114, s1, vcc_lo
	s_add_i32 s1, s1, 1
	s_cmp_lg_u32 s3, s1
	s_cbranch_scc1 .LBB50_358
.LBB50_359:
	s_inst_prefetch 0x2
	s_waitcnt lgkmcnt(0)
	v_cmp_eq_f64_e32 vcc_lo, 0, v[106:107]
	v_cmp_eq_f64_e64 s0, 0, v[108:109]
	s_and_b32 s0, vcc_lo, s0
	s_and_saveexec_b32 s1, s0
	s_xor_b32 s0, exec_lo, s1
; %bb.360:
	v_cmp_ne_u32_e32 vcc_lo, 0, v119
	v_cndmask_b32_e32 v119, 18, v119, vcc_lo
; %bb.361:
	s_andn2_saveexec_b32 s0, s0
	s_cbranch_execz .LBB50_367
; %bb.362:
	v_cmp_ngt_f64_e64 s1, |v[106:107]|, |v[108:109]|
	s_and_saveexec_b32 s2, s1
	s_xor_b32 s1, exec_lo, s2
	s_cbranch_execz .LBB50_364
; %bb.363:
	v_div_scale_f64 v[121:122], null, v[108:109], v[108:109], v[106:107]
	v_div_scale_f64 v[127:128], vcc_lo, v[106:107], v[108:109], v[106:107]
	v_rcp_f64_e32 v[123:124], v[121:122]
	v_fma_f64 v[125:126], -v[121:122], v[123:124], 1.0
	v_fma_f64 v[123:124], v[123:124], v[125:126], v[123:124]
	v_fma_f64 v[125:126], -v[121:122], v[123:124], 1.0
	v_fma_f64 v[123:124], v[123:124], v[125:126], v[123:124]
	v_mul_f64 v[125:126], v[127:128], v[123:124]
	v_fma_f64 v[121:122], -v[121:122], v[125:126], v[127:128]
	v_div_fmas_f64 v[121:122], v[121:122], v[123:124], v[125:126]
	v_div_fixup_f64 v[121:122], v[121:122], v[108:109], v[106:107]
	v_fma_f64 v[106:107], v[106:107], v[121:122], v[108:109]
	v_div_scale_f64 v[108:109], null, v[106:107], v[106:107], 1.0
	v_rcp_f64_e32 v[123:124], v[108:109]
	v_fma_f64 v[125:126], -v[108:109], v[123:124], 1.0
	v_fma_f64 v[123:124], v[123:124], v[125:126], v[123:124]
	v_fma_f64 v[125:126], -v[108:109], v[123:124], 1.0
	v_fma_f64 v[123:124], v[123:124], v[125:126], v[123:124]
	v_div_scale_f64 v[125:126], vcc_lo, 1.0, v[106:107], 1.0
	v_mul_f64 v[127:128], v[125:126], v[123:124]
	v_fma_f64 v[108:109], -v[108:109], v[127:128], v[125:126]
	v_div_fmas_f64 v[108:109], v[108:109], v[123:124], v[127:128]
	v_div_fixup_f64 v[108:109], v[108:109], v[106:107], 1.0
	v_mul_f64 v[106:107], v[121:122], v[108:109]
	v_xor_b32_e32 v109, 0x80000000, v109
.LBB50_364:
	s_andn2_saveexec_b32 s1, s1
	s_cbranch_execz .LBB50_366
; %bb.365:
	v_div_scale_f64 v[121:122], null, v[106:107], v[106:107], v[108:109]
	v_div_scale_f64 v[127:128], vcc_lo, v[108:109], v[106:107], v[108:109]
	v_rcp_f64_e32 v[123:124], v[121:122]
	v_fma_f64 v[125:126], -v[121:122], v[123:124], 1.0
	v_fma_f64 v[123:124], v[123:124], v[125:126], v[123:124]
	v_fma_f64 v[125:126], -v[121:122], v[123:124], 1.0
	v_fma_f64 v[123:124], v[123:124], v[125:126], v[123:124]
	v_mul_f64 v[125:126], v[127:128], v[123:124]
	v_fma_f64 v[121:122], -v[121:122], v[125:126], v[127:128]
	v_div_fmas_f64 v[121:122], v[121:122], v[123:124], v[125:126]
	v_div_fixup_f64 v[121:122], v[121:122], v[106:107], v[108:109]
	v_fma_f64 v[106:107], v[108:109], v[121:122], v[106:107]
	v_div_scale_f64 v[108:109], null, v[106:107], v[106:107], 1.0
	v_rcp_f64_e32 v[123:124], v[108:109]
	v_fma_f64 v[125:126], -v[108:109], v[123:124], 1.0
	v_fma_f64 v[123:124], v[123:124], v[125:126], v[123:124]
	v_fma_f64 v[125:126], -v[108:109], v[123:124], 1.0
	v_fma_f64 v[123:124], v[123:124], v[125:126], v[123:124]
	v_div_scale_f64 v[125:126], vcc_lo, 1.0, v[106:107], 1.0
	v_mul_f64 v[127:128], v[125:126], v[123:124]
	v_fma_f64 v[108:109], -v[108:109], v[127:128], v[125:126]
	v_div_fmas_f64 v[108:109], v[108:109], v[123:124], v[127:128]
	v_div_fixup_f64 v[106:107], v[108:109], v[106:107], 1.0
	v_mul_f64 v[108:109], v[121:122], -v[106:107]
.LBB50_366:
	s_or_b32 exec_lo, exec_lo, s1
.LBB50_367:
	s_or_b32 exec_lo, exec_lo, s0
	s_mov_b32 s0, exec_lo
	v_cmpx_ne_u32_e64 v120, v114
	s_xor_b32 s0, exec_lo, s0
	s_cbranch_execz .LBB50_373
; %bb.368:
	s_mov_b32 s1, exec_lo
	v_cmpx_eq_u32_e32 17, v120
	s_cbranch_execz .LBB50_372
; %bb.369:
	v_cmp_ne_u32_e32 vcc_lo, 17, v114
	s_xor_b32 s2, s16, -1
	s_and_b32 s7, s2, vcc_lo
	s_and_saveexec_b32 s2, s7
	s_cbranch_execz .LBB50_371
; %bb.370:
	v_ashrrev_i32_e32 v115, 31, v114
	v_lshlrev_b64 v[120:121], 2, v[114:115]
	v_add_co_u32 v120, vcc_lo, v112, v120
	v_add_co_ci_u32_e64 v121, null, v113, v121, vcc_lo
	s_clause 0x1
	global_load_dword v0, v[120:121], off
	global_load_dword v115, v[112:113], off offset:68
	s_waitcnt vmcnt(1)
	global_store_dword v[112:113], v0, off offset:68
	s_waitcnt vmcnt(0)
	global_store_dword v[120:121], v115, off
.LBB50_371:
	s_or_b32 exec_lo, exec_lo, s2
	v_mov_b32_e32 v120, v114
	v_mov_b32_e32 v0, v114
.LBB50_372:
	s_or_b32 exec_lo, exec_lo, s1
.LBB50_373:
	s_andn2_saveexec_b32 s0, s0
	s_cbranch_execz .LBB50_375
; %bb.374:
	v_mov_b32_e32 v120, 17
	ds_write2_b64 v1, v[30:31], v[32:33] offset0:36 offset1:37
	ds_write2_b64 v1, v[26:27], v[28:29] offset0:38 offset1:39
	;; [unrolled: 1-line block ×8, first 2 shown]
.LBB50_375:
	s_or_b32 exec_lo, exec_lo, s0
	s_mov_b32 s0, exec_lo
	s_waitcnt lgkmcnt(0)
	s_waitcnt_vscnt null, 0x0
	s_barrier
	buffer_gl0_inv
	v_cmpx_lt_i32_e32 17, v120
	s_cbranch_execz .LBB50_377
; %bb.376:
	v_mul_f64 v[114:115], v[106:107], v[36:37]
	v_mul_f64 v[36:37], v[108:109], v[36:37]
	v_fma_f64 v[114:115], v[108:109], v[34:35], v[114:115]
	v_fma_f64 v[34:35], v[106:107], v[34:35], -v[36:37]
	ds_read2_b64 v[106:109], v1 offset0:36 offset1:37
	s_waitcnt lgkmcnt(0)
	v_mul_f64 v[36:37], v[108:109], v[114:115]
	v_fma_f64 v[36:37], v[106:107], v[34:35], -v[36:37]
	v_mul_f64 v[106:107], v[106:107], v[114:115]
	v_add_f64 v[30:31], v[30:31], -v[36:37]
	v_fma_f64 v[106:107], v[108:109], v[34:35], v[106:107]
	v_add_f64 v[32:33], v[32:33], -v[106:107]
	ds_read2_b64 v[106:109], v1 offset0:38 offset1:39
	s_waitcnt lgkmcnt(0)
	v_mul_f64 v[36:37], v[108:109], v[114:115]
	v_fma_f64 v[36:37], v[106:107], v[34:35], -v[36:37]
	v_mul_f64 v[106:107], v[106:107], v[114:115]
	v_add_f64 v[26:27], v[26:27], -v[36:37]
	v_fma_f64 v[106:107], v[108:109], v[34:35], v[106:107]
	v_add_f64 v[28:29], v[28:29], -v[106:107]
	;; [unrolled: 8-line block ×7, first 2 shown]
	ds_read2_b64 v[106:109], v1 offset0:50 offset1:51
	s_waitcnt lgkmcnt(0)
	v_mul_f64 v[36:37], v[108:109], v[114:115]
	v_fma_f64 v[36:37], v[106:107], v[34:35], -v[36:37]
	v_mul_f64 v[106:107], v[106:107], v[114:115]
	v_add_f64 v[2:3], v[2:3], -v[36:37]
	v_fma_f64 v[106:107], v[108:109], v[34:35], v[106:107]
	v_mov_b32_e32 v36, v114
	v_mov_b32_e32 v37, v115
	v_add_f64 v[4:5], v[4:5], -v[106:107]
.LBB50_377:
	s_or_b32 exec_lo, exec_lo, s0
	v_lshl_add_u32 v106, v120, 4, v1
	s_barrier
	buffer_gl0_inv
	v_mov_b32_e32 v114, 18
	ds_write2_b64 v106, v[30:31], v[32:33] offset1:1
	s_waitcnt lgkmcnt(0)
	s_barrier
	buffer_gl0_inv
	ds_read2_b64 v[106:109], v1 offset0:36 offset1:37
	s_cmp_lt_i32 s3, 20
	s_cbranch_scc1 .LBB50_380
; %bb.378:
	v_add3_u32 v115, v116, 0, 0x130
	v_mov_b32_e32 v114, 18
	s_mov_b32 s1, 19
	s_inst_prefetch 0x1
	.p2align	6
.LBB50_379:                             ; =>This Inner Loop Header: Depth=1
	s_waitcnt lgkmcnt(0)
	v_cmp_gt_f64_e32 vcc_lo, 0, v[108:109]
	v_cmp_gt_f64_e64 s0, 0, v[106:107]
	ds_read2_b64 v[121:124], v115 offset1:1
	v_xor_b32_e32 v126, 0x80000000, v107
	v_xor_b32_e32 v128, 0x80000000, v109
	v_mov_b32_e32 v125, v106
	v_mov_b32_e32 v127, v108
	v_add_nc_u32_e32 v115, 16, v115
	s_waitcnt lgkmcnt(0)
	v_xor_b32_e32 v130, 0x80000000, v124
	v_cndmask_b32_e64 v126, v107, v126, s0
	v_cndmask_b32_e32 v128, v109, v128, vcc_lo
	v_cmp_gt_f64_e32 vcc_lo, 0, v[123:124]
	v_cmp_gt_f64_e64 s0, 0, v[121:122]
	v_mov_b32_e32 v129, v123
	v_add_f64 v[125:126], v[125:126], v[127:128]
	v_xor_b32_e32 v128, 0x80000000, v122
	v_mov_b32_e32 v127, v121
	v_cndmask_b32_e32 v130, v124, v130, vcc_lo
	v_cndmask_b32_e64 v128, v122, v128, s0
	v_add_f64 v[127:128], v[127:128], v[129:130]
	v_cmp_lt_f64_e32 vcc_lo, v[125:126], v[127:128]
	v_cndmask_b32_e32 v107, v107, v122, vcc_lo
	v_cndmask_b32_e32 v106, v106, v121, vcc_lo
	;; [unrolled: 1-line block ×4, first 2 shown]
	v_cndmask_b32_e64 v114, v114, s1, vcc_lo
	s_add_i32 s1, s1, 1
	s_cmp_lg_u32 s3, s1
	s_cbranch_scc1 .LBB50_379
.LBB50_380:
	s_inst_prefetch 0x2
	s_waitcnt lgkmcnt(0)
	v_cmp_eq_f64_e32 vcc_lo, 0, v[106:107]
	v_cmp_eq_f64_e64 s0, 0, v[108:109]
	s_and_b32 s0, vcc_lo, s0
	s_and_saveexec_b32 s1, s0
	s_xor_b32 s0, exec_lo, s1
; %bb.381:
	v_cmp_ne_u32_e32 vcc_lo, 0, v119
	v_cndmask_b32_e32 v119, 19, v119, vcc_lo
; %bb.382:
	s_andn2_saveexec_b32 s0, s0
	s_cbranch_execz .LBB50_388
; %bb.383:
	v_cmp_ngt_f64_e64 s1, |v[106:107]|, |v[108:109]|
	s_and_saveexec_b32 s2, s1
	s_xor_b32 s1, exec_lo, s2
	s_cbranch_execz .LBB50_385
; %bb.384:
	v_div_scale_f64 v[121:122], null, v[108:109], v[108:109], v[106:107]
	v_div_scale_f64 v[127:128], vcc_lo, v[106:107], v[108:109], v[106:107]
	v_rcp_f64_e32 v[123:124], v[121:122]
	v_fma_f64 v[125:126], -v[121:122], v[123:124], 1.0
	v_fma_f64 v[123:124], v[123:124], v[125:126], v[123:124]
	v_fma_f64 v[125:126], -v[121:122], v[123:124], 1.0
	v_fma_f64 v[123:124], v[123:124], v[125:126], v[123:124]
	v_mul_f64 v[125:126], v[127:128], v[123:124]
	v_fma_f64 v[121:122], -v[121:122], v[125:126], v[127:128]
	v_div_fmas_f64 v[121:122], v[121:122], v[123:124], v[125:126]
	v_div_fixup_f64 v[121:122], v[121:122], v[108:109], v[106:107]
	v_fma_f64 v[106:107], v[106:107], v[121:122], v[108:109]
	v_div_scale_f64 v[108:109], null, v[106:107], v[106:107], 1.0
	v_rcp_f64_e32 v[123:124], v[108:109]
	v_fma_f64 v[125:126], -v[108:109], v[123:124], 1.0
	v_fma_f64 v[123:124], v[123:124], v[125:126], v[123:124]
	v_fma_f64 v[125:126], -v[108:109], v[123:124], 1.0
	v_fma_f64 v[123:124], v[123:124], v[125:126], v[123:124]
	v_div_scale_f64 v[125:126], vcc_lo, 1.0, v[106:107], 1.0
	v_mul_f64 v[127:128], v[125:126], v[123:124]
	v_fma_f64 v[108:109], -v[108:109], v[127:128], v[125:126]
	v_div_fmas_f64 v[108:109], v[108:109], v[123:124], v[127:128]
	v_div_fixup_f64 v[108:109], v[108:109], v[106:107], 1.0
	v_mul_f64 v[106:107], v[121:122], v[108:109]
	v_xor_b32_e32 v109, 0x80000000, v109
.LBB50_385:
	s_andn2_saveexec_b32 s1, s1
	s_cbranch_execz .LBB50_387
; %bb.386:
	v_div_scale_f64 v[121:122], null, v[106:107], v[106:107], v[108:109]
	v_div_scale_f64 v[127:128], vcc_lo, v[108:109], v[106:107], v[108:109]
	v_rcp_f64_e32 v[123:124], v[121:122]
	v_fma_f64 v[125:126], -v[121:122], v[123:124], 1.0
	v_fma_f64 v[123:124], v[123:124], v[125:126], v[123:124]
	v_fma_f64 v[125:126], -v[121:122], v[123:124], 1.0
	v_fma_f64 v[123:124], v[123:124], v[125:126], v[123:124]
	v_mul_f64 v[125:126], v[127:128], v[123:124]
	v_fma_f64 v[121:122], -v[121:122], v[125:126], v[127:128]
	v_div_fmas_f64 v[121:122], v[121:122], v[123:124], v[125:126]
	v_div_fixup_f64 v[121:122], v[121:122], v[106:107], v[108:109]
	v_fma_f64 v[106:107], v[108:109], v[121:122], v[106:107]
	v_div_scale_f64 v[108:109], null, v[106:107], v[106:107], 1.0
	v_rcp_f64_e32 v[123:124], v[108:109]
	v_fma_f64 v[125:126], -v[108:109], v[123:124], 1.0
	v_fma_f64 v[123:124], v[123:124], v[125:126], v[123:124]
	v_fma_f64 v[125:126], -v[108:109], v[123:124], 1.0
	v_fma_f64 v[123:124], v[123:124], v[125:126], v[123:124]
	v_div_scale_f64 v[125:126], vcc_lo, 1.0, v[106:107], 1.0
	v_mul_f64 v[127:128], v[125:126], v[123:124]
	v_fma_f64 v[108:109], -v[108:109], v[127:128], v[125:126]
	v_div_fmas_f64 v[108:109], v[108:109], v[123:124], v[127:128]
	v_div_fixup_f64 v[106:107], v[108:109], v[106:107], 1.0
	v_mul_f64 v[108:109], v[121:122], -v[106:107]
.LBB50_387:
	s_or_b32 exec_lo, exec_lo, s1
.LBB50_388:
	s_or_b32 exec_lo, exec_lo, s0
	s_mov_b32 s0, exec_lo
	v_cmpx_ne_u32_e64 v120, v114
	s_xor_b32 s0, exec_lo, s0
	s_cbranch_execz .LBB50_394
; %bb.389:
	s_mov_b32 s1, exec_lo
	v_cmpx_eq_u32_e32 18, v120
	s_cbranch_execz .LBB50_393
; %bb.390:
	v_cmp_ne_u32_e32 vcc_lo, 18, v114
	s_xor_b32 s2, s16, -1
	s_and_b32 s7, s2, vcc_lo
	s_and_saveexec_b32 s2, s7
	s_cbranch_execz .LBB50_392
; %bb.391:
	v_ashrrev_i32_e32 v115, 31, v114
	v_lshlrev_b64 v[120:121], 2, v[114:115]
	v_add_co_u32 v120, vcc_lo, v112, v120
	v_add_co_ci_u32_e64 v121, null, v113, v121, vcc_lo
	s_clause 0x1
	global_load_dword v0, v[120:121], off
	global_load_dword v115, v[112:113], off offset:72
	s_waitcnt vmcnt(1)
	global_store_dword v[112:113], v0, off offset:72
	s_waitcnt vmcnt(0)
	global_store_dword v[120:121], v115, off
.LBB50_392:
	s_or_b32 exec_lo, exec_lo, s2
	v_mov_b32_e32 v120, v114
	v_mov_b32_e32 v0, v114
.LBB50_393:
	s_or_b32 exec_lo, exec_lo, s1
.LBB50_394:
	s_andn2_saveexec_b32 s0, s0
	s_cbranch_execz .LBB50_396
; %bb.395:
	v_mov_b32_e32 v120, 18
	ds_write2_b64 v1, v[26:27], v[28:29] offset0:38 offset1:39
	ds_write2_b64 v1, v[22:23], v[24:25] offset0:40 offset1:41
	;; [unrolled: 1-line block ×7, first 2 shown]
.LBB50_396:
	s_or_b32 exec_lo, exec_lo, s0
	s_mov_b32 s0, exec_lo
	s_waitcnt lgkmcnt(0)
	s_waitcnt_vscnt null, 0x0
	s_barrier
	buffer_gl0_inv
	v_cmpx_lt_i32_e32 18, v120
	s_cbranch_execz .LBB50_398
; %bb.397:
	v_mul_f64 v[114:115], v[106:107], v[32:33]
	v_mul_f64 v[32:33], v[108:109], v[32:33]
	v_fma_f64 v[114:115], v[108:109], v[30:31], v[114:115]
	v_fma_f64 v[30:31], v[106:107], v[30:31], -v[32:33]
	ds_read2_b64 v[106:109], v1 offset0:38 offset1:39
	s_waitcnt lgkmcnt(0)
	v_mul_f64 v[32:33], v[108:109], v[114:115]
	v_fma_f64 v[32:33], v[106:107], v[30:31], -v[32:33]
	v_mul_f64 v[106:107], v[106:107], v[114:115]
	v_add_f64 v[26:27], v[26:27], -v[32:33]
	v_fma_f64 v[106:107], v[108:109], v[30:31], v[106:107]
	v_add_f64 v[28:29], v[28:29], -v[106:107]
	ds_read2_b64 v[106:109], v1 offset0:40 offset1:41
	s_waitcnt lgkmcnt(0)
	v_mul_f64 v[32:33], v[108:109], v[114:115]
	v_fma_f64 v[32:33], v[106:107], v[30:31], -v[32:33]
	v_mul_f64 v[106:107], v[106:107], v[114:115]
	v_add_f64 v[22:23], v[22:23], -v[32:33]
	v_fma_f64 v[106:107], v[108:109], v[30:31], v[106:107]
	v_add_f64 v[24:25], v[24:25], -v[106:107]
	;; [unrolled: 8-line block ×6, first 2 shown]
	ds_read2_b64 v[106:109], v1 offset0:50 offset1:51
	s_waitcnt lgkmcnt(0)
	v_mul_f64 v[32:33], v[108:109], v[114:115]
	v_fma_f64 v[32:33], v[106:107], v[30:31], -v[32:33]
	v_mul_f64 v[106:107], v[106:107], v[114:115]
	v_add_f64 v[2:3], v[2:3], -v[32:33]
	v_fma_f64 v[106:107], v[108:109], v[30:31], v[106:107]
	v_mov_b32_e32 v32, v114
	v_mov_b32_e32 v33, v115
	v_add_f64 v[4:5], v[4:5], -v[106:107]
.LBB50_398:
	s_or_b32 exec_lo, exec_lo, s0
	v_lshl_add_u32 v106, v120, 4, v1
	s_barrier
	buffer_gl0_inv
	v_mov_b32_e32 v114, 19
	ds_write2_b64 v106, v[26:27], v[28:29] offset1:1
	s_waitcnt lgkmcnt(0)
	s_barrier
	buffer_gl0_inv
	ds_read2_b64 v[106:109], v1 offset0:38 offset1:39
	s_cmp_lt_i32 s3, 21
	s_cbranch_scc1 .LBB50_401
; %bb.399:
	v_add3_u32 v115, v116, 0, 0x140
	v_mov_b32_e32 v114, 19
	s_mov_b32 s1, 20
	s_inst_prefetch 0x1
	.p2align	6
.LBB50_400:                             ; =>This Inner Loop Header: Depth=1
	s_waitcnt lgkmcnt(0)
	v_cmp_gt_f64_e32 vcc_lo, 0, v[108:109]
	v_cmp_gt_f64_e64 s0, 0, v[106:107]
	ds_read2_b64 v[121:124], v115 offset1:1
	v_xor_b32_e32 v126, 0x80000000, v107
	v_xor_b32_e32 v128, 0x80000000, v109
	v_mov_b32_e32 v125, v106
	v_mov_b32_e32 v127, v108
	v_add_nc_u32_e32 v115, 16, v115
	s_waitcnt lgkmcnt(0)
	v_xor_b32_e32 v130, 0x80000000, v124
	v_cndmask_b32_e64 v126, v107, v126, s0
	v_cndmask_b32_e32 v128, v109, v128, vcc_lo
	v_cmp_gt_f64_e32 vcc_lo, 0, v[123:124]
	v_cmp_gt_f64_e64 s0, 0, v[121:122]
	v_mov_b32_e32 v129, v123
	v_add_f64 v[125:126], v[125:126], v[127:128]
	v_xor_b32_e32 v128, 0x80000000, v122
	v_mov_b32_e32 v127, v121
	v_cndmask_b32_e32 v130, v124, v130, vcc_lo
	v_cndmask_b32_e64 v128, v122, v128, s0
	v_add_f64 v[127:128], v[127:128], v[129:130]
	v_cmp_lt_f64_e32 vcc_lo, v[125:126], v[127:128]
	v_cndmask_b32_e32 v107, v107, v122, vcc_lo
	v_cndmask_b32_e32 v106, v106, v121, vcc_lo
	;; [unrolled: 1-line block ×4, first 2 shown]
	v_cndmask_b32_e64 v114, v114, s1, vcc_lo
	s_add_i32 s1, s1, 1
	s_cmp_lg_u32 s3, s1
	s_cbranch_scc1 .LBB50_400
.LBB50_401:
	s_inst_prefetch 0x2
	s_waitcnt lgkmcnt(0)
	v_cmp_eq_f64_e32 vcc_lo, 0, v[106:107]
	v_cmp_eq_f64_e64 s0, 0, v[108:109]
	s_and_b32 s0, vcc_lo, s0
	s_and_saveexec_b32 s1, s0
	s_xor_b32 s0, exec_lo, s1
; %bb.402:
	v_cmp_ne_u32_e32 vcc_lo, 0, v119
	v_cndmask_b32_e32 v119, 20, v119, vcc_lo
; %bb.403:
	s_andn2_saveexec_b32 s0, s0
	s_cbranch_execz .LBB50_409
; %bb.404:
	v_cmp_ngt_f64_e64 s1, |v[106:107]|, |v[108:109]|
	s_and_saveexec_b32 s2, s1
	s_xor_b32 s1, exec_lo, s2
	s_cbranch_execz .LBB50_406
; %bb.405:
	v_div_scale_f64 v[121:122], null, v[108:109], v[108:109], v[106:107]
	v_div_scale_f64 v[127:128], vcc_lo, v[106:107], v[108:109], v[106:107]
	v_rcp_f64_e32 v[123:124], v[121:122]
	v_fma_f64 v[125:126], -v[121:122], v[123:124], 1.0
	v_fma_f64 v[123:124], v[123:124], v[125:126], v[123:124]
	v_fma_f64 v[125:126], -v[121:122], v[123:124], 1.0
	v_fma_f64 v[123:124], v[123:124], v[125:126], v[123:124]
	v_mul_f64 v[125:126], v[127:128], v[123:124]
	v_fma_f64 v[121:122], -v[121:122], v[125:126], v[127:128]
	v_div_fmas_f64 v[121:122], v[121:122], v[123:124], v[125:126]
	v_div_fixup_f64 v[121:122], v[121:122], v[108:109], v[106:107]
	v_fma_f64 v[106:107], v[106:107], v[121:122], v[108:109]
	v_div_scale_f64 v[108:109], null, v[106:107], v[106:107], 1.0
	v_rcp_f64_e32 v[123:124], v[108:109]
	v_fma_f64 v[125:126], -v[108:109], v[123:124], 1.0
	v_fma_f64 v[123:124], v[123:124], v[125:126], v[123:124]
	v_fma_f64 v[125:126], -v[108:109], v[123:124], 1.0
	v_fma_f64 v[123:124], v[123:124], v[125:126], v[123:124]
	v_div_scale_f64 v[125:126], vcc_lo, 1.0, v[106:107], 1.0
	v_mul_f64 v[127:128], v[125:126], v[123:124]
	v_fma_f64 v[108:109], -v[108:109], v[127:128], v[125:126]
	v_div_fmas_f64 v[108:109], v[108:109], v[123:124], v[127:128]
	v_div_fixup_f64 v[108:109], v[108:109], v[106:107], 1.0
	v_mul_f64 v[106:107], v[121:122], v[108:109]
	v_xor_b32_e32 v109, 0x80000000, v109
.LBB50_406:
	s_andn2_saveexec_b32 s1, s1
	s_cbranch_execz .LBB50_408
; %bb.407:
	v_div_scale_f64 v[121:122], null, v[106:107], v[106:107], v[108:109]
	v_div_scale_f64 v[127:128], vcc_lo, v[108:109], v[106:107], v[108:109]
	v_rcp_f64_e32 v[123:124], v[121:122]
	v_fma_f64 v[125:126], -v[121:122], v[123:124], 1.0
	v_fma_f64 v[123:124], v[123:124], v[125:126], v[123:124]
	v_fma_f64 v[125:126], -v[121:122], v[123:124], 1.0
	v_fma_f64 v[123:124], v[123:124], v[125:126], v[123:124]
	v_mul_f64 v[125:126], v[127:128], v[123:124]
	v_fma_f64 v[121:122], -v[121:122], v[125:126], v[127:128]
	v_div_fmas_f64 v[121:122], v[121:122], v[123:124], v[125:126]
	v_div_fixup_f64 v[121:122], v[121:122], v[106:107], v[108:109]
	v_fma_f64 v[106:107], v[108:109], v[121:122], v[106:107]
	v_div_scale_f64 v[108:109], null, v[106:107], v[106:107], 1.0
	v_rcp_f64_e32 v[123:124], v[108:109]
	v_fma_f64 v[125:126], -v[108:109], v[123:124], 1.0
	v_fma_f64 v[123:124], v[123:124], v[125:126], v[123:124]
	v_fma_f64 v[125:126], -v[108:109], v[123:124], 1.0
	v_fma_f64 v[123:124], v[123:124], v[125:126], v[123:124]
	v_div_scale_f64 v[125:126], vcc_lo, 1.0, v[106:107], 1.0
	v_mul_f64 v[127:128], v[125:126], v[123:124]
	v_fma_f64 v[108:109], -v[108:109], v[127:128], v[125:126]
	v_div_fmas_f64 v[108:109], v[108:109], v[123:124], v[127:128]
	v_div_fixup_f64 v[106:107], v[108:109], v[106:107], 1.0
	v_mul_f64 v[108:109], v[121:122], -v[106:107]
.LBB50_408:
	s_or_b32 exec_lo, exec_lo, s1
.LBB50_409:
	s_or_b32 exec_lo, exec_lo, s0
	s_mov_b32 s0, exec_lo
	v_cmpx_ne_u32_e64 v120, v114
	s_xor_b32 s0, exec_lo, s0
	s_cbranch_execz .LBB50_415
; %bb.410:
	s_mov_b32 s1, exec_lo
	v_cmpx_eq_u32_e32 19, v120
	s_cbranch_execz .LBB50_414
; %bb.411:
	v_cmp_ne_u32_e32 vcc_lo, 19, v114
	s_xor_b32 s2, s16, -1
	s_and_b32 s7, s2, vcc_lo
	s_and_saveexec_b32 s2, s7
	s_cbranch_execz .LBB50_413
; %bb.412:
	v_ashrrev_i32_e32 v115, 31, v114
	v_lshlrev_b64 v[120:121], 2, v[114:115]
	v_add_co_u32 v120, vcc_lo, v112, v120
	v_add_co_ci_u32_e64 v121, null, v113, v121, vcc_lo
	s_clause 0x1
	global_load_dword v0, v[120:121], off
	global_load_dword v115, v[112:113], off offset:76
	s_waitcnt vmcnt(1)
	global_store_dword v[112:113], v0, off offset:76
	s_waitcnt vmcnt(0)
	global_store_dword v[120:121], v115, off
.LBB50_413:
	s_or_b32 exec_lo, exec_lo, s2
	v_mov_b32_e32 v120, v114
	v_mov_b32_e32 v0, v114
.LBB50_414:
	s_or_b32 exec_lo, exec_lo, s1
.LBB50_415:
	s_andn2_saveexec_b32 s0, s0
	s_cbranch_execz .LBB50_417
; %bb.416:
	v_mov_b32_e32 v120, 19
	ds_write2_b64 v1, v[22:23], v[24:25] offset0:40 offset1:41
	ds_write2_b64 v1, v[18:19], v[20:21] offset0:42 offset1:43
	;; [unrolled: 1-line block ×6, first 2 shown]
.LBB50_417:
	s_or_b32 exec_lo, exec_lo, s0
	s_mov_b32 s0, exec_lo
	s_waitcnt lgkmcnt(0)
	s_waitcnt_vscnt null, 0x0
	s_barrier
	buffer_gl0_inv
	v_cmpx_lt_i32_e32 19, v120
	s_cbranch_execz .LBB50_419
; %bb.418:
	v_mul_f64 v[114:115], v[106:107], v[28:29]
	v_mul_f64 v[28:29], v[108:109], v[28:29]
	v_fma_f64 v[114:115], v[108:109], v[26:27], v[114:115]
	v_fma_f64 v[26:27], v[106:107], v[26:27], -v[28:29]
	ds_read2_b64 v[106:109], v1 offset0:40 offset1:41
	s_waitcnt lgkmcnt(0)
	v_mul_f64 v[28:29], v[108:109], v[114:115]
	v_fma_f64 v[28:29], v[106:107], v[26:27], -v[28:29]
	v_mul_f64 v[106:107], v[106:107], v[114:115]
	v_add_f64 v[22:23], v[22:23], -v[28:29]
	v_fma_f64 v[106:107], v[108:109], v[26:27], v[106:107]
	v_add_f64 v[24:25], v[24:25], -v[106:107]
	ds_read2_b64 v[106:109], v1 offset0:42 offset1:43
	s_waitcnt lgkmcnt(0)
	v_mul_f64 v[28:29], v[108:109], v[114:115]
	v_fma_f64 v[28:29], v[106:107], v[26:27], -v[28:29]
	v_mul_f64 v[106:107], v[106:107], v[114:115]
	v_add_f64 v[18:19], v[18:19], -v[28:29]
	v_fma_f64 v[106:107], v[108:109], v[26:27], v[106:107]
	v_add_f64 v[20:21], v[20:21], -v[106:107]
	;; [unrolled: 8-line block ×5, first 2 shown]
	ds_read2_b64 v[106:109], v1 offset0:50 offset1:51
	s_waitcnt lgkmcnt(0)
	v_mul_f64 v[28:29], v[108:109], v[114:115]
	v_fma_f64 v[28:29], v[106:107], v[26:27], -v[28:29]
	v_mul_f64 v[106:107], v[106:107], v[114:115]
	v_add_f64 v[2:3], v[2:3], -v[28:29]
	v_fma_f64 v[106:107], v[108:109], v[26:27], v[106:107]
	v_mov_b32_e32 v28, v114
	v_mov_b32_e32 v29, v115
	v_add_f64 v[4:5], v[4:5], -v[106:107]
.LBB50_419:
	s_or_b32 exec_lo, exec_lo, s0
	v_lshl_add_u32 v106, v120, 4, v1
	s_barrier
	buffer_gl0_inv
	v_mov_b32_e32 v114, 20
	ds_write2_b64 v106, v[22:23], v[24:25] offset1:1
	s_waitcnt lgkmcnt(0)
	s_barrier
	buffer_gl0_inv
	ds_read2_b64 v[106:109], v1 offset0:40 offset1:41
	s_cmp_lt_i32 s3, 22
	s_cbranch_scc1 .LBB50_422
; %bb.420:
	v_add3_u32 v115, v116, 0, 0x150
	v_mov_b32_e32 v114, 20
	s_mov_b32 s1, 21
	s_inst_prefetch 0x1
	.p2align	6
.LBB50_421:                             ; =>This Inner Loop Header: Depth=1
	s_waitcnt lgkmcnt(0)
	v_cmp_gt_f64_e32 vcc_lo, 0, v[108:109]
	v_cmp_gt_f64_e64 s0, 0, v[106:107]
	ds_read2_b64 v[121:124], v115 offset1:1
	v_xor_b32_e32 v126, 0x80000000, v107
	v_xor_b32_e32 v128, 0x80000000, v109
	v_mov_b32_e32 v125, v106
	v_mov_b32_e32 v127, v108
	v_add_nc_u32_e32 v115, 16, v115
	s_waitcnt lgkmcnt(0)
	v_xor_b32_e32 v130, 0x80000000, v124
	v_cndmask_b32_e64 v126, v107, v126, s0
	v_cndmask_b32_e32 v128, v109, v128, vcc_lo
	v_cmp_gt_f64_e32 vcc_lo, 0, v[123:124]
	v_cmp_gt_f64_e64 s0, 0, v[121:122]
	v_mov_b32_e32 v129, v123
	v_add_f64 v[125:126], v[125:126], v[127:128]
	v_xor_b32_e32 v128, 0x80000000, v122
	v_mov_b32_e32 v127, v121
	v_cndmask_b32_e32 v130, v124, v130, vcc_lo
	v_cndmask_b32_e64 v128, v122, v128, s0
	v_add_f64 v[127:128], v[127:128], v[129:130]
	v_cmp_lt_f64_e32 vcc_lo, v[125:126], v[127:128]
	v_cndmask_b32_e32 v107, v107, v122, vcc_lo
	v_cndmask_b32_e32 v106, v106, v121, vcc_lo
	;; [unrolled: 1-line block ×4, first 2 shown]
	v_cndmask_b32_e64 v114, v114, s1, vcc_lo
	s_add_i32 s1, s1, 1
	s_cmp_lg_u32 s3, s1
	s_cbranch_scc1 .LBB50_421
.LBB50_422:
	s_inst_prefetch 0x2
	s_waitcnt lgkmcnt(0)
	v_cmp_eq_f64_e32 vcc_lo, 0, v[106:107]
	v_cmp_eq_f64_e64 s0, 0, v[108:109]
	s_and_b32 s0, vcc_lo, s0
	s_and_saveexec_b32 s1, s0
	s_xor_b32 s0, exec_lo, s1
; %bb.423:
	v_cmp_ne_u32_e32 vcc_lo, 0, v119
	v_cndmask_b32_e32 v119, 21, v119, vcc_lo
; %bb.424:
	s_andn2_saveexec_b32 s0, s0
	s_cbranch_execz .LBB50_430
; %bb.425:
	v_cmp_ngt_f64_e64 s1, |v[106:107]|, |v[108:109]|
	s_and_saveexec_b32 s2, s1
	s_xor_b32 s1, exec_lo, s2
	s_cbranch_execz .LBB50_427
; %bb.426:
	v_div_scale_f64 v[121:122], null, v[108:109], v[108:109], v[106:107]
	v_div_scale_f64 v[127:128], vcc_lo, v[106:107], v[108:109], v[106:107]
	v_rcp_f64_e32 v[123:124], v[121:122]
	v_fma_f64 v[125:126], -v[121:122], v[123:124], 1.0
	v_fma_f64 v[123:124], v[123:124], v[125:126], v[123:124]
	v_fma_f64 v[125:126], -v[121:122], v[123:124], 1.0
	v_fma_f64 v[123:124], v[123:124], v[125:126], v[123:124]
	v_mul_f64 v[125:126], v[127:128], v[123:124]
	v_fma_f64 v[121:122], -v[121:122], v[125:126], v[127:128]
	v_div_fmas_f64 v[121:122], v[121:122], v[123:124], v[125:126]
	v_div_fixup_f64 v[121:122], v[121:122], v[108:109], v[106:107]
	v_fma_f64 v[106:107], v[106:107], v[121:122], v[108:109]
	v_div_scale_f64 v[108:109], null, v[106:107], v[106:107], 1.0
	v_rcp_f64_e32 v[123:124], v[108:109]
	v_fma_f64 v[125:126], -v[108:109], v[123:124], 1.0
	v_fma_f64 v[123:124], v[123:124], v[125:126], v[123:124]
	v_fma_f64 v[125:126], -v[108:109], v[123:124], 1.0
	v_fma_f64 v[123:124], v[123:124], v[125:126], v[123:124]
	v_div_scale_f64 v[125:126], vcc_lo, 1.0, v[106:107], 1.0
	v_mul_f64 v[127:128], v[125:126], v[123:124]
	v_fma_f64 v[108:109], -v[108:109], v[127:128], v[125:126]
	v_div_fmas_f64 v[108:109], v[108:109], v[123:124], v[127:128]
	v_div_fixup_f64 v[108:109], v[108:109], v[106:107], 1.0
	v_mul_f64 v[106:107], v[121:122], v[108:109]
	v_xor_b32_e32 v109, 0x80000000, v109
.LBB50_427:
	s_andn2_saveexec_b32 s1, s1
	s_cbranch_execz .LBB50_429
; %bb.428:
	v_div_scale_f64 v[121:122], null, v[106:107], v[106:107], v[108:109]
	v_div_scale_f64 v[127:128], vcc_lo, v[108:109], v[106:107], v[108:109]
	v_rcp_f64_e32 v[123:124], v[121:122]
	v_fma_f64 v[125:126], -v[121:122], v[123:124], 1.0
	v_fma_f64 v[123:124], v[123:124], v[125:126], v[123:124]
	v_fma_f64 v[125:126], -v[121:122], v[123:124], 1.0
	v_fma_f64 v[123:124], v[123:124], v[125:126], v[123:124]
	v_mul_f64 v[125:126], v[127:128], v[123:124]
	v_fma_f64 v[121:122], -v[121:122], v[125:126], v[127:128]
	v_div_fmas_f64 v[121:122], v[121:122], v[123:124], v[125:126]
	v_div_fixup_f64 v[121:122], v[121:122], v[106:107], v[108:109]
	v_fma_f64 v[106:107], v[108:109], v[121:122], v[106:107]
	v_div_scale_f64 v[108:109], null, v[106:107], v[106:107], 1.0
	v_rcp_f64_e32 v[123:124], v[108:109]
	v_fma_f64 v[125:126], -v[108:109], v[123:124], 1.0
	v_fma_f64 v[123:124], v[123:124], v[125:126], v[123:124]
	v_fma_f64 v[125:126], -v[108:109], v[123:124], 1.0
	v_fma_f64 v[123:124], v[123:124], v[125:126], v[123:124]
	v_div_scale_f64 v[125:126], vcc_lo, 1.0, v[106:107], 1.0
	v_mul_f64 v[127:128], v[125:126], v[123:124]
	v_fma_f64 v[108:109], -v[108:109], v[127:128], v[125:126]
	v_div_fmas_f64 v[108:109], v[108:109], v[123:124], v[127:128]
	v_div_fixup_f64 v[106:107], v[108:109], v[106:107], 1.0
	v_mul_f64 v[108:109], v[121:122], -v[106:107]
.LBB50_429:
	s_or_b32 exec_lo, exec_lo, s1
.LBB50_430:
	s_or_b32 exec_lo, exec_lo, s0
	s_mov_b32 s0, exec_lo
	v_cmpx_ne_u32_e64 v120, v114
	s_xor_b32 s0, exec_lo, s0
	s_cbranch_execz .LBB50_436
; %bb.431:
	s_mov_b32 s1, exec_lo
	v_cmpx_eq_u32_e32 20, v120
	s_cbranch_execz .LBB50_435
; %bb.432:
	v_cmp_ne_u32_e32 vcc_lo, 20, v114
	s_xor_b32 s2, s16, -1
	s_and_b32 s7, s2, vcc_lo
	s_and_saveexec_b32 s2, s7
	s_cbranch_execz .LBB50_434
; %bb.433:
	v_ashrrev_i32_e32 v115, 31, v114
	v_lshlrev_b64 v[120:121], 2, v[114:115]
	v_add_co_u32 v120, vcc_lo, v112, v120
	v_add_co_ci_u32_e64 v121, null, v113, v121, vcc_lo
	s_clause 0x1
	global_load_dword v0, v[120:121], off
	global_load_dword v115, v[112:113], off offset:80
	s_waitcnt vmcnt(1)
	global_store_dword v[112:113], v0, off offset:80
	s_waitcnt vmcnt(0)
	global_store_dword v[120:121], v115, off
.LBB50_434:
	s_or_b32 exec_lo, exec_lo, s2
	v_mov_b32_e32 v120, v114
	v_mov_b32_e32 v0, v114
.LBB50_435:
	s_or_b32 exec_lo, exec_lo, s1
.LBB50_436:
	s_andn2_saveexec_b32 s0, s0
	s_cbranch_execz .LBB50_438
; %bb.437:
	v_mov_b32_e32 v120, 20
	ds_write2_b64 v1, v[18:19], v[20:21] offset0:42 offset1:43
	ds_write2_b64 v1, v[14:15], v[16:17] offset0:44 offset1:45
	;; [unrolled: 1-line block ×5, first 2 shown]
.LBB50_438:
	s_or_b32 exec_lo, exec_lo, s0
	s_mov_b32 s0, exec_lo
	s_waitcnt lgkmcnt(0)
	s_waitcnt_vscnt null, 0x0
	s_barrier
	buffer_gl0_inv
	v_cmpx_lt_i32_e32 20, v120
	s_cbranch_execz .LBB50_440
; %bb.439:
	v_mul_f64 v[114:115], v[106:107], v[24:25]
	v_mul_f64 v[24:25], v[108:109], v[24:25]
	v_fma_f64 v[114:115], v[108:109], v[22:23], v[114:115]
	v_fma_f64 v[22:23], v[106:107], v[22:23], -v[24:25]
	ds_read2_b64 v[106:109], v1 offset0:42 offset1:43
	s_waitcnt lgkmcnt(0)
	v_mul_f64 v[24:25], v[108:109], v[114:115]
	v_fma_f64 v[24:25], v[106:107], v[22:23], -v[24:25]
	v_mul_f64 v[106:107], v[106:107], v[114:115]
	v_add_f64 v[18:19], v[18:19], -v[24:25]
	v_fma_f64 v[106:107], v[108:109], v[22:23], v[106:107]
	v_add_f64 v[20:21], v[20:21], -v[106:107]
	ds_read2_b64 v[106:109], v1 offset0:44 offset1:45
	s_waitcnt lgkmcnt(0)
	v_mul_f64 v[24:25], v[108:109], v[114:115]
	v_fma_f64 v[24:25], v[106:107], v[22:23], -v[24:25]
	v_mul_f64 v[106:107], v[106:107], v[114:115]
	v_add_f64 v[14:15], v[14:15], -v[24:25]
	v_fma_f64 v[106:107], v[108:109], v[22:23], v[106:107]
	v_add_f64 v[16:17], v[16:17], -v[106:107]
	;; [unrolled: 8-line block ×4, first 2 shown]
	ds_read2_b64 v[106:109], v1 offset0:50 offset1:51
	s_waitcnt lgkmcnt(0)
	v_mul_f64 v[24:25], v[108:109], v[114:115]
	v_fma_f64 v[24:25], v[106:107], v[22:23], -v[24:25]
	v_mul_f64 v[106:107], v[106:107], v[114:115]
	v_add_f64 v[2:3], v[2:3], -v[24:25]
	v_fma_f64 v[106:107], v[108:109], v[22:23], v[106:107]
	v_mov_b32_e32 v24, v114
	v_mov_b32_e32 v25, v115
	v_add_f64 v[4:5], v[4:5], -v[106:107]
.LBB50_440:
	s_or_b32 exec_lo, exec_lo, s0
	v_lshl_add_u32 v106, v120, 4, v1
	s_barrier
	buffer_gl0_inv
	v_mov_b32_e32 v114, 21
	ds_write2_b64 v106, v[18:19], v[20:21] offset1:1
	s_waitcnt lgkmcnt(0)
	s_barrier
	buffer_gl0_inv
	ds_read2_b64 v[106:109], v1 offset0:42 offset1:43
	s_cmp_lt_i32 s3, 23
	s_cbranch_scc1 .LBB50_443
; %bb.441:
	v_add3_u32 v115, v116, 0, 0x160
	v_mov_b32_e32 v114, 21
	s_mov_b32 s1, 22
	s_inst_prefetch 0x1
	.p2align	6
.LBB50_442:                             ; =>This Inner Loop Header: Depth=1
	s_waitcnt lgkmcnt(0)
	v_cmp_gt_f64_e32 vcc_lo, 0, v[108:109]
	v_cmp_gt_f64_e64 s0, 0, v[106:107]
	ds_read2_b64 v[121:124], v115 offset1:1
	v_xor_b32_e32 v126, 0x80000000, v107
	v_xor_b32_e32 v128, 0x80000000, v109
	v_mov_b32_e32 v125, v106
	v_mov_b32_e32 v127, v108
	v_add_nc_u32_e32 v115, 16, v115
	s_waitcnt lgkmcnt(0)
	v_xor_b32_e32 v130, 0x80000000, v124
	v_cndmask_b32_e64 v126, v107, v126, s0
	v_cndmask_b32_e32 v128, v109, v128, vcc_lo
	v_cmp_gt_f64_e32 vcc_lo, 0, v[123:124]
	v_cmp_gt_f64_e64 s0, 0, v[121:122]
	v_mov_b32_e32 v129, v123
	v_add_f64 v[125:126], v[125:126], v[127:128]
	v_xor_b32_e32 v128, 0x80000000, v122
	v_mov_b32_e32 v127, v121
	v_cndmask_b32_e32 v130, v124, v130, vcc_lo
	v_cndmask_b32_e64 v128, v122, v128, s0
	v_add_f64 v[127:128], v[127:128], v[129:130]
	v_cmp_lt_f64_e32 vcc_lo, v[125:126], v[127:128]
	v_cndmask_b32_e32 v107, v107, v122, vcc_lo
	v_cndmask_b32_e32 v106, v106, v121, vcc_lo
	;; [unrolled: 1-line block ×4, first 2 shown]
	v_cndmask_b32_e64 v114, v114, s1, vcc_lo
	s_add_i32 s1, s1, 1
	s_cmp_lg_u32 s3, s1
	s_cbranch_scc1 .LBB50_442
.LBB50_443:
	s_inst_prefetch 0x2
	s_waitcnt lgkmcnt(0)
	v_cmp_eq_f64_e32 vcc_lo, 0, v[106:107]
	v_cmp_eq_f64_e64 s0, 0, v[108:109]
	s_and_b32 s0, vcc_lo, s0
	s_and_saveexec_b32 s1, s0
	s_xor_b32 s0, exec_lo, s1
; %bb.444:
	v_cmp_ne_u32_e32 vcc_lo, 0, v119
	v_cndmask_b32_e32 v119, 22, v119, vcc_lo
; %bb.445:
	s_andn2_saveexec_b32 s0, s0
	s_cbranch_execz .LBB50_451
; %bb.446:
	v_cmp_ngt_f64_e64 s1, |v[106:107]|, |v[108:109]|
	s_and_saveexec_b32 s2, s1
	s_xor_b32 s1, exec_lo, s2
	s_cbranch_execz .LBB50_448
; %bb.447:
	v_div_scale_f64 v[121:122], null, v[108:109], v[108:109], v[106:107]
	v_div_scale_f64 v[127:128], vcc_lo, v[106:107], v[108:109], v[106:107]
	v_rcp_f64_e32 v[123:124], v[121:122]
	v_fma_f64 v[125:126], -v[121:122], v[123:124], 1.0
	v_fma_f64 v[123:124], v[123:124], v[125:126], v[123:124]
	v_fma_f64 v[125:126], -v[121:122], v[123:124], 1.0
	v_fma_f64 v[123:124], v[123:124], v[125:126], v[123:124]
	v_mul_f64 v[125:126], v[127:128], v[123:124]
	v_fma_f64 v[121:122], -v[121:122], v[125:126], v[127:128]
	v_div_fmas_f64 v[121:122], v[121:122], v[123:124], v[125:126]
	v_div_fixup_f64 v[121:122], v[121:122], v[108:109], v[106:107]
	v_fma_f64 v[106:107], v[106:107], v[121:122], v[108:109]
	v_div_scale_f64 v[108:109], null, v[106:107], v[106:107], 1.0
	v_rcp_f64_e32 v[123:124], v[108:109]
	v_fma_f64 v[125:126], -v[108:109], v[123:124], 1.0
	v_fma_f64 v[123:124], v[123:124], v[125:126], v[123:124]
	v_fma_f64 v[125:126], -v[108:109], v[123:124], 1.0
	v_fma_f64 v[123:124], v[123:124], v[125:126], v[123:124]
	v_div_scale_f64 v[125:126], vcc_lo, 1.0, v[106:107], 1.0
	v_mul_f64 v[127:128], v[125:126], v[123:124]
	v_fma_f64 v[108:109], -v[108:109], v[127:128], v[125:126]
	v_div_fmas_f64 v[108:109], v[108:109], v[123:124], v[127:128]
	v_div_fixup_f64 v[108:109], v[108:109], v[106:107], 1.0
	v_mul_f64 v[106:107], v[121:122], v[108:109]
	v_xor_b32_e32 v109, 0x80000000, v109
.LBB50_448:
	s_andn2_saveexec_b32 s1, s1
	s_cbranch_execz .LBB50_450
; %bb.449:
	v_div_scale_f64 v[121:122], null, v[106:107], v[106:107], v[108:109]
	v_div_scale_f64 v[127:128], vcc_lo, v[108:109], v[106:107], v[108:109]
	v_rcp_f64_e32 v[123:124], v[121:122]
	v_fma_f64 v[125:126], -v[121:122], v[123:124], 1.0
	v_fma_f64 v[123:124], v[123:124], v[125:126], v[123:124]
	v_fma_f64 v[125:126], -v[121:122], v[123:124], 1.0
	v_fma_f64 v[123:124], v[123:124], v[125:126], v[123:124]
	v_mul_f64 v[125:126], v[127:128], v[123:124]
	v_fma_f64 v[121:122], -v[121:122], v[125:126], v[127:128]
	v_div_fmas_f64 v[121:122], v[121:122], v[123:124], v[125:126]
	v_div_fixup_f64 v[121:122], v[121:122], v[106:107], v[108:109]
	v_fma_f64 v[106:107], v[108:109], v[121:122], v[106:107]
	v_div_scale_f64 v[108:109], null, v[106:107], v[106:107], 1.0
	v_rcp_f64_e32 v[123:124], v[108:109]
	v_fma_f64 v[125:126], -v[108:109], v[123:124], 1.0
	v_fma_f64 v[123:124], v[123:124], v[125:126], v[123:124]
	v_fma_f64 v[125:126], -v[108:109], v[123:124], 1.0
	v_fma_f64 v[123:124], v[123:124], v[125:126], v[123:124]
	v_div_scale_f64 v[125:126], vcc_lo, 1.0, v[106:107], 1.0
	v_mul_f64 v[127:128], v[125:126], v[123:124]
	v_fma_f64 v[108:109], -v[108:109], v[127:128], v[125:126]
	v_div_fmas_f64 v[108:109], v[108:109], v[123:124], v[127:128]
	v_div_fixup_f64 v[106:107], v[108:109], v[106:107], 1.0
	v_mul_f64 v[108:109], v[121:122], -v[106:107]
.LBB50_450:
	s_or_b32 exec_lo, exec_lo, s1
.LBB50_451:
	s_or_b32 exec_lo, exec_lo, s0
	s_mov_b32 s0, exec_lo
	v_cmpx_ne_u32_e64 v120, v114
	s_xor_b32 s0, exec_lo, s0
	s_cbranch_execz .LBB50_457
; %bb.452:
	s_mov_b32 s1, exec_lo
	v_cmpx_eq_u32_e32 21, v120
	s_cbranch_execz .LBB50_456
; %bb.453:
	v_cmp_ne_u32_e32 vcc_lo, 21, v114
	s_xor_b32 s2, s16, -1
	s_and_b32 s7, s2, vcc_lo
	s_and_saveexec_b32 s2, s7
	s_cbranch_execz .LBB50_455
; %bb.454:
	v_ashrrev_i32_e32 v115, 31, v114
	v_lshlrev_b64 v[120:121], 2, v[114:115]
	v_add_co_u32 v120, vcc_lo, v112, v120
	v_add_co_ci_u32_e64 v121, null, v113, v121, vcc_lo
	s_clause 0x1
	global_load_dword v0, v[120:121], off
	global_load_dword v115, v[112:113], off offset:84
	s_waitcnt vmcnt(1)
	global_store_dword v[112:113], v0, off offset:84
	s_waitcnt vmcnt(0)
	global_store_dword v[120:121], v115, off
.LBB50_455:
	s_or_b32 exec_lo, exec_lo, s2
	v_mov_b32_e32 v120, v114
	v_mov_b32_e32 v0, v114
.LBB50_456:
	s_or_b32 exec_lo, exec_lo, s1
.LBB50_457:
	s_andn2_saveexec_b32 s0, s0
	s_cbranch_execz .LBB50_459
; %bb.458:
	v_mov_b32_e32 v120, 21
	ds_write2_b64 v1, v[14:15], v[16:17] offset0:44 offset1:45
	ds_write2_b64 v1, v[10:11], v[12:13] offset0:46 offset1:47
	;; [unrolled: 1-line block ×4, first 2 shown]
.LBB50_459:
	s_or_b32 exec_lo, exec_lo, s0
	s_mov_b32 s0, exec_lo
	s_waitcnt lgkmcnt(0)
	s_waitcnt_vscnt null, 0x0
	s_barrier
	buffer_gl0_inv
	v_cmpx_lt_i32_e32 21, v120
	s_cbranch_execz .LBB50_461
; %bb.460:
	v_mul_f64 v[114:115], v[106:107], v[20:21]
	v_mul_f64 v[20:21], v[108:109], v[20:21]
	v_fma_f64 v[114:115], v[108:109], v[18:19], v[114:115]
	v_fma_f64 v[18:19], v[106:107], v[18:19], -v[20:21]
	ds_read2_b64 v[106:109], v1 offset0:44 offset1:45
	s_waitcnt lgkmcnt(0)
	v_mul_f64 v[20:21], v[108:109], v[114:115]
	v_fma_f64 v[20:21], v[106:107], v[18:19], -v[20:21]
	v_mul_f64 v[106:107], v[106:107], v[114:115]
	v_add_f64 v[14:15], v[14:15], -v[20:21]
	v_fma_f64 v[106:107], v[108:109], v[18:19], v[106:107]
	v_add_f64 v[16:17], v[16:17], -v[106:107]
	ds_read2_b64 v[106:109], v1 offset0:46 offset1:47
	s_waitcnt lgkmcnt(0)
	v_mul_f64 v[20:21], v[108:109], v[114:115]
	v_fma_f64 v[20:21], v[106:107], v[18:19], -v[20:21]
	v_mul_f64 v[106:107], v[106:107], v[114:115]
	v_add_f64 v[10:11], v[10:11], -v[20:21]
	v_fma_f64 v[106:107], v[108:109], v[18:19], v[106:107]
	v_add_f64 v[12:13], v[12:13], -v[106:107]
	;; [unrolled: 8-line block ×3, first 2 shown]
	ds_read2_b64 v[106:109], v1 offset0:50 offset1:51
	s_waitcnt lgkmcnt(0)
	v_mul_f64 v[20:21], v[108:109], v[114:115]
	v_fma_f64 v[20:21], v[106:107], v[18:19], -v[20:21]
	v_mul_f64 v[106:107], v[106:107], v[114:115]
	v_add_f64 v[2:3], v[2:3], -v[20:21]
	v_fma_f64 v[106:107], v[108:109], v[18:19], v[106:107]
	v_mov_b32_e32 v20, v114
	v_mov_b32_e32 v21, v115
	v_add_f64 v[4:5], v[4:5], -v[106:107]
.LBB50_461:
	s_or_b32 exec_lo, exec_lo, s0
	v_lshl_add_u32 v106, v120, 4, v1
	s_barrier
	buffer_gl0_inv
	v_mov_b32_e32 v114, 22
	ds_write2_b64 v106, v[14:15], v[16:17] offset1:1
	s_waitcnt lgkmcnt(0)
	s_barrier
	buffer_gl0_inv
	ds_read2_b64 v[106:109], v1 offset0:44 offset1:45
	s_cmp_lt_i32 s3, 24
	s_cbranch_scc1 .LBB50_464
; %bb.462:
	v_add3_u32 v115, v116, 0, 0x170
	v_mov_b32_e32 v114, 22
	s_mov_b32 s1, 23
	s_inst_prefetch 0x1
	.p2align	6
.LBB50_463:                             ; =>This Inner Loop Header: Depth=1
	s_waitcnt lgkmcnt(0)
	v_cmp_gt_f64_e32 vcc_lo, 0, v[108:109]
	v_cmp_gt_f64_e64 s0, 0, v[106:107]
	ds_read2_b64 v[121:124], v115 offset1:1
	v_xor_b32_e32 v126, 0x80000000, v107
	v_xor_b32_e32 v128, 0x80000000, v109
	v_mov_b32_e32 v125, v106
	v_mov_b32_e32 v127, v108
	v_add_nc_u32_e32 v115, 16, v115
	s_waitcnt lgkmcnt(0)
	v_xor_b32_e32 v130, 0x80000000, v124
	v_cndmask_b32_e64 v126, v107, v126, s0
	v_cndmask_b32_e32 v128, v109, v128, vcc_lo
	v_cmp_gt_f64_e32 vcc_lo, 0, v[123:124]
	v_cmp_gt_f64_e64 s0, 0, v[121:122]
	v_mov_b32_e32 v129, v123
	v_add_f64 v[125:126], v[125:126], v[127:128]
	v_xor_b32_e32 v128, 0x80000000, v122
	v_mov_b32_e32 v127, v121
	v_cndmask_b32_e32 v130, v124, v130, vcc_lo
	v_cndmask_b32_e64 v128, v122, v128, s0
	v_add_f64 v[127:128], v[127:128], v[129:130]
	v_cmp_lt_f64_e32 vcc_lo, v[125:126], v[127:128]
	v_cndmask_b32_e32 v107, v107, v122, vcc_lo
	v_cndmask_b32_e32 v106, v106, v121, vcc_lo
	;; [unrolled: 1-line block ×4, first 2 shown]
	v_cndmask_b32_e64 v114, v114, s1, vcc_lo
	s_add_i32 s1, s1, 1
	s_cmp_lg_u32 s3, s1
	s_cbranch_scc1 .LBB50_463
.LBB50_464:
	s_inst_prefetch 0x2
	s_waitcnt lgkmcnt(0)
	v_cmp_eq_f64_e32 vcc_lo, 0, v[106:107]
	v_cmp_eq_f64_e64 s0, 0, v[108:109]
	s_and_b32 s0, vcc_lo, s0
	s_and_saveexec_b32 s1, s0
	s_xor_b32 s0, exec_lo, s1
; %bb.465:
	v_cmp_ne_u32_e32 vcc_lo, 0, v119
	v_cndmask_b32_e32 v119, 23, v119, vcc_lo
; %bb.466:
	s_andn2_saveexec_b32 s0, s0
	s_cbranch_execz .LBB50_472
; %bb.467:
	v_cmp_ngt_f64_e64 s1, |v[106:107]|, |v[108:109]|
	s_and_saveexec_b32 s2, s1
	s_xor_b32 s1, exec_lo, s2
	s_cbranch_execz .LBB50_469
; %bb.468:
	v_div_scale_f64 v[121:122], null, v[108:109], v[108:109], v[106:107]
	v_div_scale_f64 v[127:128], vcc_lo, v[106:107], v[108:109], v[106:107]
	v_rcp_f64_e32 v[123:124], v[121:122]
	v_fma_f64 v[125:126], -v[121:122], v[123:124], 1.0
	v_fma_f64 v[123:124], v[123:124], v[125:126], v[123:124]
	v_fma_f64 v[125:126], -v[121:122], v[123:124], 1.0
	v_fma_f64 v[123:124], v[123:124], v[125:126], v[123:124]
	v_mul_f64 v[125:126], v[127:128], v[123:124]
	v_fma_f64 v[121:122], -v[121:122], v[125:126], v[127:128]
	v_div_fmas_f64 v[121:122], v[121:122], v[123:124], v[125:126]
	v_div_fixup_f64 v[121:122], v[121:122], v[108:109], v[106:107]
	v_fma_f64 v[106:107], v[106:107], v[121:122], v[108:109]
	v_div_scale_f64 v[108:109], null, v[106:107], v[106:107], 1.0
	v_rcp_f64_e32 v[123:124], v[108:109]
	v_fma_f64 v[125:126], -v[108:109], v[123:124], 1.0
	v_fma_f64 v[123:124], v[123:124], v[125:126], v[123:124]
	v_fma_f64 v[125:126], -v[108:109], v[123:124], 1.0
	v_fma_f64 v[123:124], v[123:124], v[125:126], v[123:124]
	v_div_scale_f64 v[125:126], vcc_lo, 1.0, v[106:107], 1.0
	v_mul_f64 v[127:128], v[125:126], v[123:124]
	v_fma_f64 v[108:109], -v[108:109], v[127:128], v[125:126]
	v_div_fmas_f64 v[108:109], v[108:109], v[123:124], v[127:128]
	v_div_fixup_f64 v[108:109], v[108:109], v[106:107], 1.0
	v_mul_f64 v[106:107], v[121:122], v[108:109]
	v_xor_b32_e32 v109, 0x80000000, v109
.LBB50_469:
	s_andn2_saveexec_b32 s1, s1
	s_cbranch_execz .LBB50_471
; %bb.470:
	v_div_scale_f64 v[121:122], null, v[106:107], v[106:107], v[108:109]
	v_div_scale_f64 v[127:128], vcc_lo, v[108:109], v[106:107], v[108:109]
	v_rcp_f64_e32 v[123:124], v[121:122]
	v_fma_f64 v[125:126], -v[121:122], v[123:124], 1.0
	v_fma_f64 v[123:124], v[123:124], v[125:126], v[123:124]
	v_fma_f64 v[125:126], -v[121:122], v[123:124], 1.0
	v_fma_f64 v[123:124], v[123:124], v[125:126], v[123:124]
	v_mul_f64 v[125:126], v[127:128], v[123:124]
	v_fma_f64 v[121:122], -v[121:122], v[125:126], v[127:128]
	v_div_fmas_f64 v[121:122], v[121:122], v[123:124], v[125:126]
	v_div_fixup_f64 v[121:122], v[121:122], v[106:107], v[108:109]
	v_fma_f64 v[106:107], v[108:109], v[121:122], v[106:107]
	v_div_scale_f64 v[108:109], null, v[106:107], v[106:107], 1.0
	v_rcp_f64_e32 v[123:124], v[108:109]
	v_fma_f64 v[125:126], -v[108:109], v[123:124], 1.0
	v_fma_f64 v[123:124], v[123:124], v[125:126], v[123:124]
	v_fma_f64 v[125:126], -v[108:109], v[123:124], 1.0
	v_fma_f64 v[123:124], v[123:124], v[125:126], v[123:124]
	v_div_scale_f64 v[125:126], vcc_lo, 1.0, v[106:107], 1.0
	v_mul_f64 v[127:128], v[125:126], v[123:124]
	v_fma_f64 v[108:109], -v[108:109], v[127:128], v[125:126]
	v_div_fmas_f64 v[108:109], v[108:109], v[123:124], v[127:128]
	v_div_fixup_f64 v[106:107], v[108:109], v[106:107], 1.0
	v_mul_f64 v[108:109], v[121:122], -v[106:107]
.LBB50_471:
	s_or_b32 exec_lo, exec_lo, s1
.LBB50_472:
	s_or_b32 exec_lo, exec_lo, s0
	s_mov_b32 s0, exec_lo
	v_cmpx_ne_u32_e64 v120, v114
	s_xor_b32 s0, exec_lo, s0
	s_cbranch_execz .LBB50_478
; %bb.473:
	s_mov_b32 s1, exec_lo
	v_cmpx_eq_u32_e32 22, v120
	s_cbranch_execz .LBB50_477
; %bb.474:
	v_cmp_ne_u32_e32 vcc_lo, 22, v114
	s_xor_b32 s2, s16, -1
	s_and_b32 s7, s2, vcc_lo
	s_and_saveexec_b32 s2, s7
	s_cbranch_execz .LBB50_476
; %bb.475:
	v_ashrrev_i32_e32 v115, 31, v114
	v_lshlrev_b64 v[120:121], 2, v[114:115]
	v_add_co_u32 v120, vcc_lo, v112, v120
	v_add_co_ci_u32_e64 v121, null, v113, v121, vcc_lo
	s_clause 0x1
	global_load_dword v0, v[120:121], off
	global_load_dword v115, v[112:113], off offset:88
	s_waitcnt vmcnt(1)
	global_store_dword v[112:113], v0, off offset:88
	s_waitcnt vmcnt(0)
	global_store_dword v[120:121], v115, off
.LBB50_476:
	s_or_b32 exec_lo, exec_lo, s2
	v_mov_b32_e32 v120, v114
	v_mov_b32_e32 v0, v114
.LBB50_477:
	s_or_b32 exec_lo, exec_lo, s1
.LBB50_478:
	s_andn2_saveexec_b32 s0, s0
	s_cbranch_execz .LBB50_480
; %bb.479:
	v_mov_b32_e32 v120, 22
	ds_write2_b64 v1, v[10:11], v[12:13] offset0:46 offset1:47
	ds_write2_b64 v1, v[6:7], v[8:9] offset0:48 offset1:49
	;; [unrolled: 1-line block ×3, first 2 shown]
.LBB50_480:
	s_or_b32 exec_lo, exec_lo, s0
	s_mov_b32 s0, exec_lo
	s_waitcnt lgkmcnt(0)
	s_waitcnt_vscnt null, 0x0
	s_barrier
	buffer_gl0_inv
	v_cmpx_lt_i32_e32 22, v120
	s_cbranch_execz .LBB50_482
; %bb.481:
	v_mul_f64 v[114:115], v[106:107], v[16:17]
	v_mul_f64 v[16:17], v[108:109], v[16:17]
	ds_read2_b64 v[121:124], v1 offset0:46 offset1:47
	ds_read2_b64 v[125:128], v1 offset0:48 offset1:49
	;; [unrolled: 1-line block ×3, first 2 shown]
	v_fma_f64 v[108:109], v[108:109], v[14:15], v[114:115]
	v_fma_f64 v[14:15], v[106:107], v[14:15], -v[16:17]
	s_waitcnt lgkmcnt(2)
	v_mul_f64 v[16:17], v[123:124], v[108:109]
	v_mul_f64 v[106:107], v[121:122], v[108:109]
	s_waitcnt lgkmcnt(1)
	v_mul_f64 v[114:115], v[127:128], v[108:109]
	v_mul_f64 v[133:134], v[125:126], v[108:109]
	;; [unrolled: 3-line block ×3, first 2 shown]
	v_fma_f64 v[16:17], v[121:122], v[14:15], -v[16:17]
	v_fma_f64 v[106:107], v[123:124], v[14:15], v[106:107]
	v_fma_f64 v[114:115], v[125:126], v[14:15], -v[114:115]
	v_fma_f64 v[121:122], v[127:128], v[14:15], v[133:134]
	v_fma_f64 v[123:124], v[129:130], v[14:15], -v[135:136]
	v_fma_f64 v[125:126], v[131:132], v[14:15], v[137:138]
	v_add_f64 v[10:11], v[10:11], -v[16:17]
	v_add_f64 v[12:13], v[12:13], -v[106:107]
	;; [unrolled: 1-line block ×6, first 2 shown]
	v_mov_b32_e32 v16, v108
	v_mov_b32_e32 v17, v109
.LBB50_482:
	s_or_b32 exec_lo, exec_lo, s0
	v_lshl_add_u32 v106, v120, 4, v1
	s_barrier
	buffer_gl0_inv
	v_mov_b32_e32 v114, 23
	ds_write2_b64 v106, v[10:11], v[12:13] offset1:1
	s_waitcnt lgkmcnt(0)
	s_barrier
	buffer_gl0_inv
	ds_read2_b64 v[106:109], v1 offset0:46 offset1:47
	s_cmp_lt_i32 s3, 25
	s_cbranch_scc1 .LBB50_485
; %bb.483:
	v_add3_u32 v115, v116, 0, 0x180
	v_mov_b32_e32 v114, 23
	s_mov_b32 s1, 24
	s_inst_prefetch 0x1
	.p2align	6
.LBB50_484:                             ; =>This Inner Loop Header: Depth=1
	s_waitcnt lgkmcnt(0)
	v_cmp_gt_f64_e32 vcc_lo, 0, v[108:109]
	v_cmp_gt_f64_e64 s0, 0, v[106:107]
	ds_read2_b64 v[121:124], v115 offset1:1
	v_xor_b32_e32 v126, 0x80000000, v107
	v_xor_b32_e32 v128, 0x80000000, v109
	v_mov_b32_e32 v125, v106
	v_mov_b32_e32 v127, v108
	v_add_nc_u32_e32 v115, 16, v115
	s_waitcnt lgkmcnt(0)
	v_xor_b32_e32 v130, 0x80000000, v124
	v_cndmask_b32_e64 v126, v107, v126, s0
	v_cndmask_b32_e32 v128, v109, v128, vcc_lo
	v_cmp_gt_f64_e32 vcc_lo, 0, v[123:124]
	v_cmp_gt_f64_e64 s0, 0, v[121:122]
	v_mov_b32_e32 v129, v123
	v_add_f64 v[125:126], v[125:126], v[127:128]
	v_xor_b32_e32 v128, 0x80000000, v122
	v_mov_b32_e32 v127, v121
	v_cndmask_b32_e32 v130, v124, v130, vcc_lo
	v_cndmask_b32_e64 v128, v122, v128, s0
	v_add_f64 v[127:128], v[127:128], v[129:130]
	v_cmp_lt_f64_e32 vcc_lo, v[125:126], v[127:128]
	v_cndmask_b32_e32 v107, v107, v122, vcc_lo
	v_cndmask_b32_e32 v106, v106, v121, vcc_lo
	;; [unrolled: 1-line block ×4, first 2 shown]
	v_cndmask_b32_e64 v114, v114, s1, vcc_lo
	s_add_i32 s1, s1, 1
	s_cmp_lg_u32 s3, s1
	s_cbranch_scc1 .LBB50_484
.LBB50_485:
	s_inst_prefetch 0x2
	s_waitcnt lgkmcnt(0)
	v_cmp_eq_f64_e32 vcc_lo, 0, v[106:107]
	v_cmp_eq_f64_e64 s0, 0, v[108:109]
	s_and_b32 s0, vcc_lo, s0
	s_and_saveexec_b32 s1, s0
	s_xor_b32 s0, exec_lo, s1
; %bb.486:
	v_cmp_ne_u32_e32 vcc_lo, 0, v119
	v_cndmask_b32_e32 v119, 24, v119, vcc_lo
; %bb.487:
	s_andn2_saveexec_b32 s0, s0
	s_cbranch_execz .LBB50_493
; %bb.488:
	v_cmp_ngt_f64_e64 s1, |v[106:107]|, |v[108:109]|
	s_and_saveexec_b32 s2, s1
	s_xor_b32 s1, exec_lo, s2
	s_cbranch_execz .LBB50_490
; %bb.489:
	v_div_scale_f64 v[121:122], null, v[108:109], v[108:109], v[106:107]
	v_div_scale_f64 v[127:128], vcc_lo, v[106:107], v[108:109], v[106:107]
	v_rcp_f64_e32 v[123:124], v[121:122]
	v_fma_f64 v[125:126], -v[121:122], v[123:124], 1.0
	v_fma_f64 v[123:124], v[123:124], v[125:126], v[123:124]
	v_fma_f64 v[125:126], -v[121:122], v[123:124], 1.0
	v_fma_f64 v[123:124], v[123:124], v[125:126], v[123:124]
	v_mul_f64 v[125:126], v[127:128], v[123:124]
	v_fma_f64 v[121:122], -v[121:122], v[125:126], v[127:128]
	v_div_fmas_f64 v[121:122], v[121:122], v[123:124], v[125:126]
	v_div_fixup_f64 v[121:122], v[121:122], v[108:109], v[106:107]
	v_fma_f64 v[106:107], v[106:107], v[121:122], v[108:109]
	v_div_scale_f64 v[108:109], null, v[106:107], v[106:107], 1.0
	v_rcp_f64_e32 v[123:124], v[108:109]
	v_fma_f64 v[125:126], -v[108:109], v[123:124], 1.0
	v_fma_f64 v[123:124], v[123:124], v[125:126], v[123:124]
	v_fma_f64 v[125:126], -v[108:109], v[123:124], 1.0
	v_fma_f64 v[123:124], v[123:124], v[125:126], v[123:124]
	v_div_scale_f64 v[125:126], vcc_lo, 1.0, v[106:107], 1.0
	v_mul_f64 v[127:128], v[125:126], v[123:124]
	v_fma_f64 v[108:109], -v[108:109], v[127:128], v[125:126]
	v_div_fmas_f64 v[108:109], v[108:109], v[123:124], v[127:128]
	v_div_fixup_f64 v[108:109], v[108:109], v[106:107], 1.0
	v_mul_f64 v[106:107], v[121:122], v[108:109]
	v_xor_b32_e32 v109, 0x80000000, v109
.LBB50_490:
	s_andn2_saveexec_b32 s1, s1
	s_cbranch_execz .LBB50_492
; %bb.491:
	v_div_scale_f64 v[121:122], null, v[106:107], v[106:107], v[108:109]
	v_div_scale_f64 v[127:128], vcc_lo, v[108:109], v[106:107], v[108:109]
	v_rcp_f64_e32 v[123:124], v[121:122]
	v_fma_f64 v[125:126], -v[121:122], v[123:124], 1.0
	v_fma_f64 v[123:124], v[123:124], v[125:126], v[123:124]
	v_fma_f64 v[125:126], -v[121:122], v[123:124], 1.0
	v_fma_f64 v[123:124], v[123:124], v[125:126], v[123:124]
	v_mul_f64 v[125:126], v[127:128], v[123:124]
	v_fma_f64 v[121:122], -v[121:122], v[125:126], v[127:128]
	v_div_fmas_f64 v[121:122], v[121:122], v[123:124], v[125:126]
	v_div_fixup_f64 v[121:122], v[121:122], v[106:107], v[108:109]
	v_fma_f64 v[106:107], v[108:109], v[121:122], v[106:107]
	v_div_scale_f64 v[108:109], null, v[106:107], v[106:107], 1.0
	v_rcp_f64_e32 v[123:124], v[108:109]
	v_fma_f64 v[125:126], -v[108:109], v[123:124], 1.0
	v_fma_f64 v[123:124], v[123:124], v[125:126], v[123:124]
	v_fma_f64 v[125:126], -v[108:109], v[123:124], 1.0
	v_fma_f64 v[123:124], v[123:124], v[125:126], v[123:124]
	v_div_scale_f64 v[125:126], vcc_lo, 1.0, v[106:107], 1.0
	v_mul_f64 v[127:128], v[125:126], v[123:124]
	v_fma_f64 v[108:109], -v[108:109], v[127:128], v[125:126]
	v_div_fmas_f64 v[108:109], v[108:109], v[123:124], v[127:128]
	v_div_fixup_f64 v[106:107], v[108:109], v[106:107], 1.0
	v_mul_f64 v[108:109], v[121:122], -v[106:107]
.LBB50_492:
	s_or_b32 exec_lo, exec_lo, s1
.LBB50_493:
	s_or_b32 exec_lo, exec_lo, s0
	s_mov_b32 s0, exec_lo
	v_cmpx_ne_u32_e64 v120, v114
	s_xor_b32 s0, exec_lo, s0
	s_cbranch_execz .LBB50_499
; %bb.494:
	s_mov_b32 s1, exec_lo
	v_cmpx_eq_u32_e32 23, v120
	s_cbranch_execz .LBB50_498
; %bb.495:
	v_cmp_ne_u32_e32 vcc_lo, 23, v114
	s_xor_b32 s2, s16, -1
	s_and_b32 s7, s2, vcc_lo
	s_and_saveexec_b32 s2, s7
	s_cbranch_execz .LBB50_497
; %bb.496:
	v_ashrrev_i32_e32 v115, 31, v114
	v_lshlrev_b64 v[120:121], 2, v[114:115]
	v_add_co_u32 v120, vcc_lo, v112, v120
	v_add_co_ci_u32_e64 v121, null, v113, v121, vcc_lo
	s_clause 0x1
	global_load_dword v0, v[120:121], off
	global_load_dword v115, v[112:113], off offset:92
	s_waitcnt vmcnt(1)
	global_store_dword v[112:113], v0, off offset:92
	s_waitcnt vmcnt(0)
	global_store_dword v[120:121], v115, off
.LBB50_497:
	s_or_b32 exec_lo, exec_lo, s2
	v_mov_b32_e32 v120, v114
	v_mov_b32_e32 v0, v114
.LBB50_498:
	s_or_b32 exec_lo, exec_lo, s1
.LBB50_499:
	s_andn2_saveexec_b32 s0, s0
	s_cbranch_execz .LBB50_501
; %bb.500:
	v_mov_b32_e32 v120, 23
	ds_write2_b64 v1, v[6:7], v[8:9] offset0:48 offset1:49
	ds_write2_b64 v1, v[2:3], v[4:5] offset0:50 offset1:51
.LBB50_501:
	s_or_b32 exec_lo, exec_lo, s0
	s_mov_b32 s0, exec_lo
	s_waitcnt lgkmcnt(0)
	s_waitcnt_vscnt null, 0x0
	s_barrier
	buffer_gl0_inv
	v_cmpx_lt_i32_e32 23, v120
	s_cbranch_execz .LBB50_503
; %bb.502:
	v_mul_f64 v[114:115], v[106:107], v[12:13]
	v_mul_f64 v[12:13], v[108:109], v[12:13]
	ds_read2_b64 v[121:124], v1 offset0:48 offset1:49
	ds_read2_b64 v[125:128], v1 offset0:50 offset1:51
	v_fma_f64 v[108:109], v[108:109], v[10:11], v[114:115]
	v_fma_f64 v[10:11], v[106:107], v[10:11], -v[12:13]
	s_waitcnt lgkmcnt(1)
	v_mul_f64 v[12:13], v[123:124], v[108:109]
	v_mul_f64 v[106:107], v[121:122], v[108:109]
	s_waitcnt lgkmcnt(0)
	v_mul_f64 v[114:115], v[127:128], v[108:109]
	v_mul_f64 v[129:130], v[125:126], v[108:109]
	v_fma_f64 v[12:13], v[121:122], v[10:11], -v[12:13]
	v_fma_f64 v[106:107], v[123:124], v[10:11], v[106:107]
	v_fma_f64 v[114:115], v[125:126], v[10:11], -v[114:115]
	v_fma_f64 v[121:122], v[127:128], v[10:11], v[129:130]
	v_add_f64 v[6:7], v[6:7], -v[12:13]
	v_add_f64 v[8:9], v[8:9], -v[106:107]
	;; [unrolled: 1-line block ×4, first 2 shown]
	v_mov_b32_e32 v12, v108
	v_mov_b32_e32 v13, v109
.LBB50_503:
	s_or_b32 exec_lo, exec_lo, s0
	v_lshl_add_u32 v106, v120, 4, v1
	s_barrier
	buffer_gl0_inv
	v_mov_b32_e32 v114, 24
	ds_write2_b64 v106, v[6:7], v[8:9] offset1:1
	s_waitcnt lgkmcnt(0)
	s_barrier
	buffer_gl0_inv
	ds_read2_b64 v[106:109], v1 offset0:48 offset1:49
	s_cmp_lt_i32 s3, 26
	s_cbranch_scc1 .LBB50_506
; %bb.504:
	v_add3_u32 v115, v116, 0, 0x190
	v_mov_b32_e32 v114, 24
	s_mov_b32 s1, 25
	s_inst_prefetch 0x1
	.p2align	6
.LBB50_505:                             ; =>This Inner Loop Header: Depth=1
	s_waitcnt lgkmcnt(0)
	v_cmp_gt_f64_e32 vcc_lo, 0, v[108:109]
	v_cmp_gt_f64_e64 s0, 0, v[106:107]
	ds_read2_b64 v[121:124], v115 offset1:1
	v_xor_b32_e32 v126, 0x80000000, v107
	v_xor_b32_e32 v128, 0x80000000, v109
	v_mov_b32_e32 v125, v106
	v_mov_b32_e32 v127, v108
	v_add_nc_u32_e32 v115, 16, v115
	s_waitcnt lgkmcnt(0)
	v_xor_b32_e32 v130, 0x80000000, v124
	v_cndmask_b32_e64 v126, v107, v126, s0
	v_cndmask_b32_e32 v128, v109, v128, vcc_lo
	v_cmp_gt_f64_e32 vcc_lo, 0, v[123:124]
	v_cmp_gt_f64_e64 s0, 0, v[121:122]
	v_mov_b32_e32 v129, v123
	v_add_f64 v[125:126], v[125:126], v[127:128]
	v_xor_b32_e32 v128, 0x80000000, v122
	v_mov_b32_e32 v127, v121
	v_cndmask_b32_e32 v130, v124, v130, vcc_lo
	v_cndmask_b32_e64 v128, v122, v128, s0
	v_add_f64 v[127:128], v[127:128], v[129:130]
	v_cmp_lt_f64_e32 vcc_lo, v[125:126], v[127:128]
	v_cndmask_b32_e32 v107, v107, v122, vcc_lo
	v_cndmask_b32_e32 v106, v106, v121, vcc_lo
	v_cndmask_b32_e32 v109, v109, v124, vcc_lo
	v_cndmask_b32_e32 v108, v108, v123, vcc_lo
	v_cndmask_b32_e64 v114, v114, s1, vcc_lo
	s_add_i32 s1, s1, 1
	s_cmp_lg_u32 s3, s1
	s_cbranch_scc1 .LBB50_505
.LBB50_506:
	s_inst_prefetch 0x2
	s_waitcnt lgkmcnt(0)
	v_cmp_eq_f64_e32 vcc_lo, 0, v[106:107]
	v_cmp_eq_f64_e64 s0, 0, v[108:109]
	s_and_b32 s0, vcc_lo, s0
	s_and_saveexec_b32 s1, s0
	s_xor_b32 s0, exec_lo, s1
; %bb.507:
	v_cmp_ne_u32_e32 vcc_lo, 0, v119
	v_cndmask_b32_e32 v119, 25, v119, vcc_lo
; %bb.508:
	s_andn2_saveexec_b32 s0, s0
	s_cbranch_execz .LBB50_514
; %bb.509:
	v_cmp_ngt_f64_e64 s1, |v[106:107]|, |v[108:109]|
	s_and_saveexec_b32 s2, s1
	s_xor_b32 s1, exec_lo, s2
	s_cbranch_execz .LBB50_511
; %bb.510:
	v_div_scale_f64 v[121:122], null, v[108:109], v[108:109], v[106:107]
	v_div_scale_f64 v[127:128], vcc_lo, v[106:107], v[108:109], v[106:107]
	v_rcp_f64_e32 v[123:124], v[121:122]
	v_fma_f64 v[125:126], -v[121:122], v[123:124], 1.0
	v_fma_f64 v[123:124], v[123:124], v[125:126], v[123:124]
	v_fma_f64 v[125:126], -v[121:122], v[123:124], 1.0
	v_fma_f64 v[123:124], v[123:124], v[125:126], v[123:124]
	v_mul_f64 v[125:126], v[127:128], v[123:124]
	v_fma_f64 v[121:122], -v[121:122], v[125:126], v[127:128]
	v_div_fmas_f64 v[121:122], v[121:122], v[123:124], v[125:126]
	v_div_fixup_f64 v[121:122], v[121:122], v[108:109], v[106:107]
	v_fma_f64 v[106:107], v[106:107], v[121:122], v[108:109]
	v_div_scale_f64 v[108:109], null, v[106:107], v[106:107], 1.0
	v_rcp_f64_e32 v[123:124], v[108:109]
	v_fma_f64 v[125:126], -v[108:109], v[123:124], 1.0
	v_fma_f64 v[123:124], v[123:124], v[125:126], v[123:124]
	v_fma_f64 v[125:126], -v[108:109], v[123:124], 1.0
	v_fma_f64 v[123:124], v[123:124], v[125:126], v[123:124]
	v_div_scale_f64 v[125:126], vcc_lo, 1.0, v[106:107], 1.0
	v_mul_f64 v[127:128], v[125:126], v[123:124]
	v_fma_f64 v[108:109], -v[108:109], v[127:128], v[125:126]
	v_div_fmas_f64 v[108:109], v[108:109], v[123:124], v[127:128]
	v_div_fixup_f64 v[108:109], v[108:109], v[106:107], 1.0
	v_mul_f64 v[106:107], v[121:122], v[108:109]
	v_xor_b32_e32 v109, 0x80000000, v109
.LBB50_511:
	s_andn2_saveexec_b32 s1, s1
	s_cbranch_execz .LBB50_513
; %bb.512:
	v_div_scale_f64 v[121:122], null, v[106:107], v[106:107], v[108:109]
	v_div_scale_f64 v[127:128], vcc_lo, v[108:109], v[106:107], v[108:109]
	v_rcp_f64_e32 v[123:124], v[121:122]
	v_fma_f64 v[125:126], -v[121:122], v[123:124], 1.0
	v_fma_f64 v[123:124], v[123:124], v[125:126], v[123:124]
	v_fma_f64 v[125:126], -v[121:122], v[123:124], 1.0
	v_fma_f64 v[123:124], v[123:124], v[125:126], v[123:124]
	v_mul_f64 v[125:126], v[127:128], v[123:124]
	v_fma_f64 v[121:122], -v[121:122], v[125:126], v[127:128]
	v_div_fmas_f64 v[121:122], v[121:122], v[123:124], v[125:126]
	v_div_fixup_f64 v[121:122], v[121:122], v[106:107], v[108:109]
	v_fma_f64 v[106:107], v[108:109], v[121:122], v[106:107]
	v_div_scale_f64 v[108:109], null, v[106:107], v[106:107], 1.0
	v_rcp_f64_e32 v[123:124], v[108:109]
	v_fma_f64 v[125:126], -v[108:109], v[123:124], 1.0
	v_fma_f64 v[123:124], v[123:124], v[125:126], v[123:124]
	v_fma_f64 v[125:126], -v[108:109], v[123:124], 1.0
	v_fma_f64 v[123:124], v[123:124], v[125:126], v[123:124]
	v_div_scale_f64 v[125:126], vcc_lo, 1.0, v[106:107], 1.0
	v_mul_f64 v[127:128], v[125:126], v[123:124]
	v_fma_f64 v[108:109], -v[108:109], v[127:128], v[125:126]
	v_div_fmas_f64 v[108:109], v[108:109], v[123:124], v[127:128]
	v_div_fixup_f64 v[106:107], v[108:109], v[106:107], 1.0
	v_mul_f64 v[108:109], v[121:122], -v[106:107]
.LBB50_513:
	s_or_b32 exec_lo, exec_lo, s1
.LBB50_514:
	s_or_b32 exec_lo, exec_lo, s0
	s_mov_b32 s0, exec_lo
	v_cmpx_ne_u32_e64 v120, v114
	s_xor_b32 s0, exec_lo, s0
	s_cbranch_execz .LBB50_520
; %bb.515:
	s_mov_b32 s1, exec_lo
	v_cmpx_eq_u32_e32 24, v120
	s_cbranch_execz .LBB50_519
; %bb.516:
	v_cmp_ne_u32_e32 vcc_lo, 24, v114
	s_xor_b32 s2, s16, -1
	s_and_b32 s7, s2, vcc_lo
	s_and_saveexec_b32 s2, s7
	s_cbranch_execz .LBB50_518
; %bb.517:
	v_ashrrev_i32_e32 v115, 31, v114
	v_lshlrev_b64 v[120:121], 2, v[114:115]
	v_add_co_u32 v120, vcc_lo, v112, v120
	v_add_co_ci_u32_e64 v121, null, v113, v121, vcc_lo
	s_clause 0x1
	global_load_dword v0, v[120:121], off
	global_load_dword v115, v[112:113], off offset:96
	s_waitcnt vmcnt(1)
	global_store_dword v[112:113], v0, off offset:96
	s_waitcnt vmcnt(0)
	global_store_dword v[120:121], v115, off
.LBB50_518:
	s_or_b32 exec_lo, exec_lo, s2
	v_mov_b32_e32 v120, v114
	v_mov_b32_e32 v0, v114
.LBB50_519:
	s_or_b32 exec_lo, exec_lo, s1
.LBB50_520:
	s_andn2_saveexec_b32 s0, s0
; %bb.521:
	v_mov_b32_e32 v120, 24
	ds_write2_b64 v1, v[2:3], v[4:5] offset0:50 offset1:51
; %bb.522:
	s_or_b32 exec_lo, exec_lo, s0
	s_mov_b32 s0, exec_lo
	s_waitcnt lgkmcnt(0)
	s_waitcnt_vscnt null, 0x0
	s_barrier
	buffer_gl0_inv
	v_cmpx_lt_i32_e32 24, v120
	s_cbranch_execz .LBB50_524
; %bb.523:
	v_mul_f64 v[114:115], v[106:107], v[8:9]
	v_mul_f64 v[8:9], v[108:109], v[8:9]
	ds_read2_b64 v[121:124], v1 offset0:50 offset1:51
	v_fma_f64 v[108:109], v[108:109], v[6:7], v[114:115]
	v_fma_f64 v[6:7], v[106:107], v[6:7], -v[8:9]
	s_waitcnt lgkmcnt(0)
	v_mul_f64 v[8:9], v[123:124], v[108:109]
	v_mul_f64 v[106:107], v[121:122], v[108:109]
	v_fma_f64 v[8:9], v[121:122], v[6:7], -v[8:9]
	v_fma_f64 v[106:107], v[123:124], v[6:7], v[106:107]
	v_add_f64 v[2:3], v[2:3], -v[8:9]
	v_add_f64 v[4:5], v[4:5], -v[106:107]
	v_mov_b32_e32 v8, v108
	v_mov_b32_e32 v9, v109
.LBB50_524:
	s_or_b32 exec_lo, exec_lo, s0
	v_lshl_add_u32 v106, v120, 4, v1
	s_barrier
	buffer_gl0_inv
	v_mov_b32_e32 v114, 25
	ds_write2_b64 v106, v[2:3], v[4:5] offset1:1
	s_waitcnt lgkmcnt(0)
	s_barrier
	buffer_gl0_inv
	ds_read2_b64 v[106:109], v1 offset0:50 offset1:51
	s_cmp_lt_i32 s3, 27
	s_cbranch_scc1 .LBB50_527
; %bb.525:
	v_add3_u32 v1, v116, 0, 0x1a0
	v_mov_b32_e32 v114, 25
	s_mov_b32 s1, 26
	s_inst_prefetch 0x1
	.p2align	6
.LBB50_526:                             ; =>This Inner Loop Header: Depth=1
	s_waitcnt lgkmcnt(0)
	v_cmp_gt_f64_e32 vcc_lo, 0, v[108:109]
	v_cmp_gt_f64_e64 s0, 0, v[106:107]
	ds_read2_b64 v[121:124], v1 offset1:1
	v_xor_b32_e32 v116, 0x80000000, v107
	v_xor_b32_e32 v126, 0x80000000, v109
	v_mov_b32_e32 v115, v106
	v_mov_b32_e32 v125, v108
	v_add_nc_u32_e32 v1, 16, v1
	s_waitcnt lgkmcnt(0)
	v_xor_b32_e32 v128, 0x80000000, v124
	v_cndmask_b32_e64 v116, v107, v116, s0
	v_cndmask_b32_e32 v126, v109, v126, vcc_lo
	v_cmp_gt_f64_e32 vcc_lo, 0, v[123:124]
	v_cmp_gt_f64_e64 s0, 0, v[121:122]
	v_mov_b32_e32 v127, v123
	v_add_f64 v[115:116], v[115:116], v[125:126]
	v_xor_b32_e32 v126, 0x80000000, v122
	v_mov_b32_e32 v125, v121
	v_cndmask_b32_e32 v128, v124, v128, vcc_lo
	v_cndmask_b32_e64 v126, v122, v126, s0
	v_add_f64 v[125:126], v[125:126], v[127:128]
	v_cmp_lt_f64_e32 vcc_lo, v[115:116], v[125:126]
	v_cndmask_b32_e32 v107, v107, v122, vcc_lo
	v_cndmask_b32_e32 v106, v106, v121, vcc_lo
	;; [unrolled: 1-line block ×4, first 2 shown]
	v_cndmask_b32_e64 v114, v114, s1, vcc_lo
	s_add_i32 s1, s1, 1
	s_cmp_lg_u32 s3, s1
	s_cbranch_scc1 .LBB50_526
.LBB50_527:
	s_inst_prefetch 0x2
	s_waitcnt lgkmcnt(0)
	v_cmp_eq_f64_e32 vcc_lo, 0, v[106:107]
	v_cmp_eq_f64_e64 s0, 0, v[108:109]
	s_and_b32 s0, vcc_lo, s0
	s_and_saveexec_b32 s1, s0
	s_xor_b32 s0, exec_lo, s1
; %bb.528:
	v_cmp_ne_u32_e32 vcc_lo, 0, v119
	v_cndmask_b32_e32 v119, 26, v119, vcc_lo
; %bb.529:
	s_andn2_saveexec_b32 s0, s0
	s_cbranch_execz .LBB50_535
; %bb.530:
	v_cmp_ngt_f64_e64 s1, |v[106:107]|, |v[108:109]|
	s_and_saveexec_b32 s2, s1
	s_xor_b32 s1, exec_lo, s2
	s_cbranch_execz .LBB50_532
; %bb.531:
	v_div_scale_f64 v[115:116], null, v[108:109], v[108:109], v[106:107]
	v_div_scale_f64 v[125:126], vcc_lo, v[106:107], v[108:109], v[106:107]
	v_rcp_f64_e32 v[121:122], v[115:116]
	v_fma_f64 v[123:124], -v[115:116], v[121:122], 1.0
	v_fma_f64 v[121:122], v[121:122], v[123:124], v[121:122]
	v_fma_f64 v[123:124], -v[115:116], v[121:122], 1.0
	v_fma_f64 v[121:122], v[121:122], v[123:124], v[121:122]
	v_mul_f64 v[123:124], v[125:126], v[121:122]
	v_fma_f64 v[115:116], -v[115:116], v[123:124], v[125:126]
	v_div_fmas_f64 v[115:116], v[115:116], v[121:122], v[123:124]
	v_div_fixup_f64 v[115:116], v[115:116], v[108:109], v[106:107]
	v_fma_f64 v[106:107], v[106:107], v[115:116], v[108:109]
	v_div_scale_f64 v[108:109], null, v[106:107], v[106:107], 1.0
	v_rcp_f64_e32 v[121:122], v[108:109]
	v_fma_f64 v[123:124], -v[108:109], v[121:122], 1.0
	v_fma_f64 v[121:122], v[121:122], v[123:124], v[121:122]
	v_fma_f64 v[123:124], -v[108:109], v[121:122], 1.0
	v_fma_f64 v[121:122], v[121:122], v[123:124], v[121:122]
	v_div_scale_f64 v[123:124], vcc_lo, 1.0, v[106:107], 1.0
	v_mul_f64 v[125:126], v[123:124], v[121:122]
	v_fma_f64 v[108:109], -v[108:109], v[125:126], v[123:124]
	v_div_fmas_f64 v[108:109], v[108:109], v[121:122], v[125:126]
	v_div_fixup_f64 v[108:109], v[108:109], v[106:107], 1.0
	v_mul_f64 v[106:107], v[115:116], v[108:109]
	v_xor_b32_e32 v109, 0x80000000, v109
.LBB50_532:
	s_andn2_saveexec_b32 s1, s1
	s_cbranch_execz .LBB50_534
; %bb.533:
	v_div_scale_f64 v[115:116], null, v[106:107], v[106:107], v[108:109]
	v_div_scale_f64 v[125:126], vcc_lo, v[108:109], v[106:107], v[108:109]
	v_rcp_f64_e32 v[121:122], v[115:116]
	v_fma_f64 v[123:124], -v[115:116], v[121:122], 1.0
	v_fma_f64 v[121:122], v[121:122], v[123:124], v[121:122]
	v_fma_f64 v[123:124], -v[115:116], v[121:122], 1.0
	v_fma_f64 v[121:122], v[121:122], v[123:124], v[121:122]
	v_mul_f64 v[123:124], v[125:126], v[121:122]
	v_fma_f64 v[115:116], -v[115:116], v[123:124], v[125:126]
	v_div_fmas_f64 v[115:116], v[115:116], v[121:122], v[123:124]
	v_div_fixup_f64 v[115:116], v[115:116], v[106:107], v[108:109]
	v_fma_f64 v[106:107], v[108:109], v[115:116], v[106:107]
	v_div_scale_f64 v[108:109], null, v[106:107], v[106:107], 1.0
	v_rcp_f64_e32 v[121:122], v[108:109]
	v_fma_f64 v[123:124], -v[108:109], v[121:122], 1.0
	v_fma_f64 v[121:122], v[121:122], v[123:124], v[121:122]
	v_fma_f64 v[123:124], -v[108:109], v[121:122], 1.0
	v_fma_f64 v[121:122], v[121:122], v[123:124], v[121:122]
	v_div_scale_f64 v[123:124], vcc_lo, 1.0, v[106:107], 1.0
	v_mul_f64 v[125:126], v[123:124], v[121:122]
	v_fma_f64 v[108:109], -v[108:109], v[125:126], v[123:124]
	v_div_fmas_f64 v[108:109], v[108:109], v[121:122], v[125:126]
	v_div_fixup_f64 v[106:107], v[108:109], v[106:107], 1.0
	v_mul_f64 v[108:109], v[115:116], -v[106:107]
.LBB50_534:
	s_or_b32 exec_lo, exec_lo, s1
.LBB50_535:
	s_or_b32 exec_lo, exec_lo, s0
	v_mov_b32_e32 v115, 25
	s_mov_b32 s0, exec_lo
	v_cmpx_ne_u32_e64 v120, v114
	s_cbranch_execz .LBB50_541
; %bb.536:
	s_mov_b32 s1, exec_lo
	v_cmpx_eq_u32_e32 25, v120
	s_cbranch_execz .LBB50_540
; %bb.537:
	v_cmp_ne_u32_e32 vcc_lo, 25, v114
	s_xor_b32 s2, s16, -1
	s_and_b32 s3, s2, vcc_lo
	s_and_saveexec_b32 s2, s3
	s_cbranch_execz .LBB50_539
; %bb.538:
	v_ashrrev_i32_e32 v115, 31, v114
	v_lshlrev_b64 v[0:1], 2, v[114:115]
	v_add_co_u32 v0, vcc_lo, v112, v0
	v_add_co_ci_u32_e64 v1, null, v113, v1, vcc_lo
	s_clause 0x1
	global_load_dword v115, v[0:1], off
	global_load_dword v116, v[112:113], off offset:100
	s_waitcnt vmcnt(1)
	global_store_dword v[112:113], v115, off offset:100
	s_waitcnt vmcnt(0)
	global_store_dword v[0:1], v116, off
.LBB50_539:
	s_or_b32 exec_lo, exec_lo, s2
	v_mov_b32_e32 v120, v114
	v_mov_b32_e32 v0, v114
.LBB50_540:
	s_or_b32 exec_lo, exec_lo, s1
	v_mov_b32_e32 v115, v120
.LBB50_541:
	s_or_b32 exec_lo, exec_lo, s0
	s_mov_b32 s0, exec_lo
	s_waitcnt_vscnt null, 0x0
	s_barrier
	buffer_gl0_inv
	v_cmpx_lt_i32_e32 25, v115
	s_cbranch_execz .LBB50_543
; %bb.542:
	v_mul_f64 v[112:113], v[108:109], v[4:5]
	v_mul_f64 v[4:5], v[106:107], v[4:5]
	v_fma_f64 v[106:107], v[106:107], v[2:3], -v[112:113]
	v_fma_f64 v[4:5], v[108:109], v[2:3], v[4:5]
	v_mov_b32_e32 v2, v106
	v_mov_b32_e32 v3, v107
.LBB50_543:
	s_or_b32 exec_lo, exec_lo, s0
	v_ashrrev_i32_e32 v116, 31, v115
	s_mov_b32 s0, exec_lo
	s_barrier
	buffer_gl0_inv
	v_cmpx_gt_i32_e32 26, v115
	s_cbranch_execz .LBB50_545
; %bb.544:
	v_mul_lo_u32 v1, s15, v110
	v_mul_lo_u32 v108, s14, v111
	v_mad_u64_u32 v[106:107], null, s14, v110, 0
	s_lshl_b64 s[2:3], s[12:13], 2
	v_add3_u32 v0, v0, s17, 1
	v_add3_u32 v107, v107, v108, v1
	v_lshlrev_b64 v[106:107], 2, v[106:107]
	v_add_co_u32 v1, vcc_lo, s10, v106
	v_add_co_ci_u32_e64 v108, null, s11, v107, vcc_lo
	v_lshlrev_b64 v[106:107], 2, v[115:116]
	v_add_co_u32 v1, vcc_lo, v1, s2
	v_add_co_ci_u32_e64 v108, null, s3, v108, vcc_lo
	v_add_co_u32 v106, vcc_lo, v1, v106
	v_add_co_ci_u32_e64 v107, null, v108, v107, vcc_lo
	global_store_dword v[106:107], v0, off
.LBB50_545:
	s_or_b32 exec_lo, exec_lo, s0
	s_mov_b32 s1, exec_lo
	v_cmpx_eq_u32_e32 0, v115
	s_cbranch_execz .LBB50_548
; %bb.546:
	v_lshlrev_b64 v[0:1], 2, v[110:111]
	v_cmp_ne_u32_e64 s0, 0, v119
	v_add_co_u32 v0, vcc_lo, s4, v0
	v_add_co_ci_u32_e64 v1, null, s5, v1, vcc_lo
	global_load_dword v106, v[0:1], off
	s_waitcnt vmcnt(0)
	v_cmp_eq_u32_e32 vcc_lo, 0, v106
	s_and_b32 s0, vcc_lo, s0
	s_and_b32 exec_lo, exec_lo, s0
	s_cbranch_execz .LBB50_548
; %bb.547:
	v_add_nc_u32_e32 v106, s17, v119
	global_store_dword v[0:1], v106, off
.LBB50_548:
	s_or_b32 exec_lo, exec_lo, s1
	v_lshlrev_b64 v[106:107], 4, v[115:116]
	v_add3_u32 v0, s6, s6, v115
	v_add_nc_u32_e32 v108, s6, v0
	v_add_co_u32 v106, vcc_lo, v117, v106
	v_add_co_ci_u32_e64 v107, null, v118, v107, vcc_lo
	v_ashrrev_i32_e32 v1, 31, v0
	v_ashrrev_i32_e32 v109, 31, v108
	global_store_dwordx4 v[106:107], v[102:105], off
	v_add_co_u32 v102, vcc_lo, v106, s8
	v_add_nc_u32_e32 v106, s6, v108
	v_lshlrev_b64 v[0:1], 4, v[0:1]
	v_lshlrev_b64 v[104:105], 4, v[108:109]
	v_add_co_ci_u32_e64 v103, null, s9, v107, vcc_lo
	v_add_nc_u32_e32 v108, s6, v106
	v_ashrrev_i32_e32 v107, 31, v106
	v_add_co_u32 v0, vcc_lo, v117, v0
	v_add_co_ci_u32_e64 v1, null, v118, v1, vcc_lo
	v_add_co_u32 v104, vcc_lo, v117, v104
	global_store_dwordx4 v[102:103], v[90:93], off
	v_add_nc_u32_e32 v92, s6, v108
	v_add_co_ci_u32_e64 v105, null, v118, v105, vcc_lo
	v_ashrrev_i32_e32 v109, 31, v108
	v_lshlrev_b64 v[90:91], 4, v[106:107]
	global_store_dwordx4 v[0:1], v[98:101], off
	global_store_dwordx4 v[104:105], v[94:97], off
	v_add_nc_u32_e32 v94, s6, v92
	v_ashrrev_i32_e32 v93, 31, v92
	v_lshlrev_b64 v[0:1], 4, v[108:109]
	v_add_co_u32 v90, vcc_lo, v117, v90
	v_add_nc_u32_e32 v96, s6, v94
	v_add_co_ci_u32_e64 v91, null, v118, v91, vcc_lo
	v_add_co_u32 v0, vcc_lo, v117, v0
	v_ashrrev_i32_e32 v95, 31, v94
	v_add_co_ci_u32_e64 v1, null, v118, v1, vcc_lo
	v_ashrrev_i32_e32 v97, 31, v96
	v_lshlrev_b64 v[92:93], 4, v[92:93]
	global_store_dwordx4 v[90:91], v[86:89], off
	global_store_dwordx4 v[0:1], v[82:85], off
	v_lshlrev_b64 v[0:1], 4, v[94:95]
	v_add_nc_u32_e32 v86, s6, v96
	v_lshlrev_b64 v[84:85], 4, v[96:97]
	v_add_co_u32 v82, vcc_lo, v117, v92
	v_add_co_ci_u32_e64 v83, null, v118, v93, vcc_lo
	v_add_co_u32 v0, vcc_lo, v117, v0
	v_add_co_ci_u32_e64 v1, null, v118, v1, vcc_lo
	v_add_co_u32 v84, vcc_lo, v117, v84
	v_add_nc_u32_e32 v88, s6, v86
	v_add_co_ci_u32_e64 v85, null, v118, v85, vcc_lo
	v_ashrrev_i32_e32 v87, 31, v86
	global_store_dwordx4 v[82:83], v[78:81], off
	global_store_dwordx4 v[0:1], v[74:77], off
	;; [unrolled: 1-line block ×3, first 2 shown]
	v_add_nc_u32_e32 v70, s6, v88
	v_ashrrev_i32_e32 v89, 31, v88
	v_lshlrev_b64 v[78:79], 4, v[86:87]
	v_add_nc_u32_e32 v74, s6, v70
	v_lshlrev_b64 v[0:1], 4, v[88:89]
	v_ashrrev_i32_e32 v71, 31, v70
	v_add_co_u32 v72, vcc_lo, v117, v78
	v_add_nc_u32_e32 v76, s6, v74
	v_add_co_ci_u32_e64 v73, null, v118, v79, vcc_lo
	v_add_co_u32 v0, vcc_lo, v117, v0
	v_ashrrev_i32_e32 v75, 31, v74
	v_add_co_ci_u32_e64 v1, null, v118, v1, vcc_lo
	v_ashrrev_i32_e32 v77, 31, v76
	v_lshlrev_b64 v[70:71], 4, v[70:71]
	global_store_dwordx4 v[72:73], v[66:69], off
	global_store_dwordx4 v[0:1], v[62:65], off
	v_lshlrev_b64 v[0:1], 4, v[74:75]
	v_add_nc_u32_e32 v66, s6, v76
	v_lshlrev_b64 v[64:65], 4, v[76:77]
	v_add_co_u32 v62, vcc_lo, v117, v70
	v_add_co_ci_u32_e64 v63, null, v118, v71, vcc_lo
	v_add_co_u32 v0, vcc_lo, v117, v0
	v_add_co_ci_u32_e64 v1, null, v118, v1, vcc_lo
	v_add_co_u32 v64, vcc_lo, v117, v64
	v_add_nc_u32_e32 v68, s6, v66
	v_add_co_ci_u32_e64 v65, null, v118, v65, vcc_lo
	v_ashrrev_i32_e32 v67, 31, v66
	global_store_dwordx4 v[62:63], v[58:61], off
	global_store_dwordx4 v[0:1], v[54:57], off
	global_store_dwordx4 v[64:65], v[50:53], off
	v_add_nc_u32_e32 v50, s6, v68
	v_ashrrev_i32_e32 v69, 31, v68
	v_lshlrev_b64 v[58:59], 4, v[66:67]
	v_add_nc_u32_e32 v54, s6, v50
	v_lshlrev_b64 v[0:1], 4, v[68:69]
	v_ashrrev_i32_e32 v51, 31, v50
	v_add_co_u32 v52, vcc_lo, v117, v58
	v_add_nc_u32_e32 v56, s6, v54
	v_add_co_ci_u32_e64 v53, null, v118, v59, vcc_lo
	v_add_co_u32 v0, vcc_lo, v117, v0
	v_ashrrev_i32_e32 v55, 31, v54
	v_add_co_ci_u32_e64 v1, null, v118, v1, vcc_lo
	v_ashrrev_i32_e32 v57, 31, v56
	v_lshlrev_b64 v[50:51], 4, v[50:51]
	global_store_dwordx4 v[52:53], v[46:49], off
	global_store_dwordx4 v[0:1], v[42:45], off
	v_lshlrev_b64 v[0:1], 4, v[54:55]
	v_add_nc_u32_e32 v46, s6, v56
	v_lshlrev_b64 v[44:45], 4, v[56:57]
	v_add_co_u32 v42, vcc_lo, v117, v50
	v_add_co_ci_u32_e64 v43, null, v118, v51, vcc_lo
	v_add_co_u32 v0, vcc_lo, v117, v0
	v_add_nc_u32_e32 v48, s6, v46
	v_add_co_ci_u32_e64 v1, null, v118, v1, vcc_lo
	v_add_co_u32 v44, vcc_lo, v117, v44
	v_ashrrev_i32_e32 v47, 31, v46
	v_add_co_ci_u32_e64 v45, null, v118, v45, vcc_lo
	v_ashrrev_i32_e32 v49, 31, v48
	global_store_dwordx4 v[42:43], v[38:41], off
	v_lshlrev_b64 v[38:39], 4, v[46:47]
	global_store_dwordx4 v[0:1], v[34:37], off
	global_store_dwordx4 v[44:45], v[30:33], off
	v_add_nc_u32_e32 v30, s6, v48
	v_lshlrev_b64 v[0:1], 4, v[48:49]
	v_add_co_u32 v32, vcc_lo, v117, v38
	v_add_nc_u32_e32 v34, s6, v30
	v_add_co_ci_u32_e64 v33, null, v118, v39, vcc_lo
	v_add_co_u32 v0, vcc_lo, v117, v0
	v_add_co_ci_u32_e64 v1, null, v118, v1, vcc_lo
	v_add_nc_u32_e32 v36, s6, v34
	v_ashrrev_i32_e32 v31, 31, v30
	global_store_dwordx4 v[32:33], v[26:29], off
	global_store_dwordx4 v[0:1], v[22:25], off
	v_ashrrev_i32_e32 v35, 31, v34
	v_add_nc_u32_e32 v22, s6, v36
	v_lshlrev_b64 v[26:27], 4, v[30:31]
	v_ashrrev_i32_e32 v37, 31, v36
	v_lshlrev_b64 v[0:1], 4, v[34:35]
	v_add_nc_u32_e32 v28, s6, v22
	v_ashrrev_i32_e32 v23, 31, v22
	v_add_co_u32 v24, vcc_lo, v117, v26
	v_add_co_ci_u32_e64 v25, null, v118, v27, vcc_lo
	v_ashrrev_i32_e32 v29, 31, v28
	v_lshlrev_b64 v[26:27], 4, v[36:37]
	v_lshlrev_b64 v[22:23], 4, v[22:23]
	v_add_co_u32 v0, vcc_lo, v117, v0
	v_lshlrev_b64 v[28:29], 4, v[28:29]
	v_add_co_ci_u32_e64 v1, null, v118, v1, vcc_lo
	v_add_co_u32 v26, vcc_lo, v117, v26
	v_add_co_ci_u32_e64 v27, null, v118, v27, vcc_lo
	v_add_co_u32 v22, vcc_lo, v117, v22
	;; [unrolled: 2-line block ×3, first 2 shown]
	v_add_co_ci_u32_e64 v29, null, v118, v29, vcc_lo
	global_store_dwordx4 v[24:25], v[18:21], off
	global_store_dwordx4 v[0:1], v[14:17], off
	;; [unrolled: 1-line block ×5, first 2 shown]
.LBB50_549:
	s_endpgm
	.section	.rodata,"a",@progbits
	.p2align	6, 0x0
	.amdhsa_kernel _ZN9rocsolver6v33100L18getf2_small_kernelILi26E19rocblas_complex_numIdEiiPS3_EEvT1_T3_lS5_lPS5_llPT2_S5_S5_S7_l
		.amdhsa_group_segment_fixed_size 0
		.amdhsa_private_segment_fixed_size 0
		.amdhsa_kernarg_size 352
		.amdhsa_user_sgpr_count 6
		.amdhsa_user_sgpr_private_segment_buffer 1
		.amdhsa_user_sgpr_dispatch_ptr 0
		.amdhsa_user_sgpr_queue_ptr 0
		.amdhsa_user_sgpr_kernarg_segment_ptr 1
		.amdhsa_user_sgpr_dispatch_id 0
		.amdhsa_user_sgpr_flat_scratch_init 0
		.amdhsa_user_sgpr_private_segment_size 0
		.amdhsa_wavefront_size32 1
		.amdhsa_uses_dynamic_stack 0
		.amdhsa_system_sgpr_private_segment_wavefront_offset 0
		.amdhsa_system_sgpr_workgroup_id_x 1
		.amdhsa_system_sgpr_workgroup_id_y 1
		.amdhsa_system_sgpr_workgroup_id_z 0
		.amdhsa_system_sgpr_workgroup_info 0
		.amdhsa_system_vgpr_workitem_id 1
		.amdhsa_next_free_vgpr 139
		.amdhsa_next_free_sgpr 18
		.amdhsa_reserve_vcc 1
		.amdhsa_reserve_flat_scratch 0
		.amdhsa_float_round_mode_32 0
		.amdhsa_float_round_mode_16_64 0
		.amdhsa_float_denorm_mode_32 3
		.amdhsa_float_denorm_mode_16_64 3
		.amdhsa_dx10_clamp 1
		.amdhsa_ieee_mode 1
		.amdhsa_fp16_overflow 0
		.amdhsa_workgroup_processor_mode 1
		.amdhsa_memory_ordered 1
		.amdhsa_forward_progress 1
		.amdhsa_shared_vgpr_count 0
		.amdhsa_exception_fp_ieee_invalid_op 0
		.amdhsa_exception_fp_denorm_src 0
		.amdhsa_exception_fp_ieee_div_zero 0
		.amdhsa_exception_fp_ieee_overflow 0
		.amdhsa_exception_fp_ieee_underflow 0
		.amdhsa_exception_fp_ieee_inexact 0
		.amdhsa_exception_int_div_zero 0
	.end_amdhsa_kernel
	.section	.text._ZN9rocsolver6v33100L18getf2_small_kernelILi26E19rocblas_complex_numIdEiiPS3_EEvT1_T3_lS5_lPS5_llPT2_S5_S5_S7_l,"axG",@progbits,_ZN9rocsolver6v33100L18getf2_small_kernelILi26E19rocblas_complex_numIdEiiPS3_EEvT1_T3_lS5_lPS5_llPT2_S5_S5_S7_l,comdat
.Lfunc_end50:
	.size	_ZN9rocsolver6v33100L18getf2_small_kernelILi26E19rocblas_complex_numIdEiiPS3_EEvT1_T3_lS5_lPS5_llPT2_S5_S5_S7_l, .Lfunc_end50-_ZN9rocsolver6v33100L18getf2_small_kernelILi26E19rocblas_complex_numIdEiiPS3_EEvT1_T3_lS5_lPS5_llPT2_S5_S5_S7_l
                                        ; -- End function
	.set _ZN9rocsolver6v33100L18getf2_small_kernelILi26E19rocblas_complex_numIdEiiPS3_EEvT1_T3_lS5_lPS5_llPT2_S5_S5_S7_l.num_vgpr, 139
	.set _ZN9rocsolver6v33100L18getf2_small_kernelILi26E19rocblas_complex_numIdEiiPS3_EEvT1_T3_lS5_lPS5_llPT2_S5_S5_S7_l.num_agpr, 0
	.set _ZN9rocsolver6v33100L18getf2_small_kernelILi26E19rocblas_complex_numIdEiiPS3_EEvT1_T3_lS5_lPS5_llPT2_S5_S5_S7_l.numbered_sgpr, 18
	.set _ZN9rocsolver6v33100L18getf2_small_kernelILi26E19rocblas_complex_numIdEiiPS3_EEvT1_T3_lS5_lPS5_llPT2_S5_S5_S7_l.num_named_barrier, 0
	.set _ZN9rocsolver6v33100L18getf2_small_kernelILi26E19rocblas_complex_numIdEiiPS3_EEvT1_T3_lS5_lPS5_llPT2_S5_S5_S7_l.private_seg_size, 0
	.set _ZN9rocsolver6v33100L18getf2_small_kernelILi26E19rocblas_complex_numIdEiiPS3_EEvT1_T3_lS5_lPS5_llPT2_S5_S5_S7_l.uses_vcc, 1
	.set _ZN9rocsolver6v33100L18getf2_small_kernelILi26E19rocblas_complex_numIdEiiPS3_EEvT1_T3_lS5_lPS5_llPT2_S5_S5_S7_l.uses_flat_scratch, 0
	.set _ZN9rocsolver6v33100L18getf2_small_kernelILi26E19rocblas_complex_numIdEiiPS3_EEvT1_T3_lS5_lPS5_llPT2_S5_S5_S7_l.has_dyn_sized_stack, 0
	.set _ZN9rocsolver6v33100L18getf2_small_kernelILi26E19rocblas_complex_numIdEiiPS3_EEvT1_T3_lS5_lPS5_llPT2_S5_S5_S7_l.has_recursion, 0
	.set _ZN9rocsolver6v33100L18getf2_small_kernelILi26E19rocblas_complex_numIdEiiPS3_EEvT1_T3_lS5_lPS5_llPT2_S5_S5_S7_l.has_indirect_call, 0
	.section	.AMDGPU.csdata,"",@progbits
; Kernel info:
; codeLenInByte = 50240
; TotalNumSgprs: 20
; NumVgprs: 139
; ScratchSize: 0
; MemoryBound: 0
; FloatMode: 240
; IeeeMode: 1
; LDSByteSize: 0 bytes/workgroup (compile time only)
; SGPRBlocks: 0
; VGPRBlocks: 17
; NumSGPRsForWavesPerEU: 20
; NumVGPRsForWavesPerEU: 139
; Occupancy: 7
; WaveLimiterHint : 0
; COMPUTE_PGM_RSRC2:SCRATCH_EN: 0
; COMPUTE_PGM_RSRC2:USER_SGPR: 6
; COMPUTE_PGM_RSRC2:TRAP_HANDLER: 0
; COMPUTE_PGM_RSRC2:TGID_X_EN: 1
; COMPUTE_PGM_RSRC2:TGID_Y_EN: 1
; COMPUTE_PGM_RSRC2:TGID_Z_EN: 0
; COMPUTE_PGM_RSRC2:TIDIG_COMP_CNT: 1
	.section	.text._ZN9rocsolver6v33100L23getf2_npvt_small_kernelILi26E19rocblas_complex_numIdEiiPS3_EEvT1_T3_lS5_lPT2_S5_S5_,"axG",@progbits,_ZN9rocsolver6v33100L23getf2_npvt_small_kernelILi26E19rocblas_complex_numIdEiiPS3_EEvT1_T3_lS5_lPT2_S5_S5_,comdat
	.globl	_ZN9rocsolver6v33100L23getf2_npvt_small_kernelILi26E19rocblas_complex_numIdEiiPS3_EEvT1_T3_lS5_lPT2_S5_S5_ ; -- Begin function _ZN9rocsolver6v33100L23getf2_npvt_small_kernelILi26E19rocblas_complex_numIdEiiPS3_EEvT1_T3_lS5_lPT2_S5_S5_
	.p2align	8
	.type	_ZN9rocsolver6v33100L23getf2_npvt_small_kernelILi26E19rocblas_complex_numIdEiiPS3_EEvT1_T3_lS5_lPT2_S5_S5_,@function
_ZN9rocsolver6v33100L23getf2_npvt_small_kernelILi26E19rocblas_complex_numIdEiiPS3_EEvT1_T3_lS5_lPT2_S5_S5_: ; @_ZN9rocsolver6v33100L23getf2_npvt_small_kernelILi26E19rocblas_complex_numIdEiiPS3_EEvT1_T3_lS5_lPT2_S5_S5_
; %bb.0:
	s_mov_b64 s[30:31], s[2:3]
	s_mov_b64 s[28:29], s[0:1]
	s_clause 0x1
	s_load_dword s0, s[4:5], 0x44
	s_load_dwordx2 s[24:25], s[4:5], 0x30
	s_add_u32 s28, s28, s8
	s_addc_u32 s29, s29, 0
	s_waitcnt lgkmcnt(0)
	s_lshr_b32 s8, s0, 16
	s_mov_b32 s0, exec_lo
	v_mad_u64_u32 v[218:219], null, s7, s8, v[1:2]
	v_cmpx_gt_i32_e64 s24, v218
	s_cbranch_execz .LBB51_239
; %bb.1:
	s_clause 0x2
	s_load_dwordx4 s[20:23], s[4:5], 0x20
	s_load_dword s6, s[4:5], 0x18
	s_load_dwordx4 s[0:3], s[4:5], 0x8
	v_ashrrev_i32_e32 v219, 31, v218
	v_lshlrev_b32_e32 v13, 4, v0
	v_lshlrev_b32_e32 v106, 4, v1
	s_mulk_i32 s8, 0x1a0
	v_mad_u32_u24 v220, 0x1a0, v1, 0
	v_add3_u32 v1, 0, s8, v106
	s_waitcnt lgkmcnt(0)
	v_mul_lo_u32 v5, s21, v218
	v_mul_lo_u32 v7, s20, v219
	v_mad_u64_u32 v[2:3], null, s20, v218, 0
	v_add3_u32 v4, s6, s6, v0
	s_lshl_b64 s[4:5], s[2:3], 4
	s_ashr_i32 s7, s6, 31
	s_lshl_b64 s[2:3], s[6:7], 4
	v_add_nc_u32_e32 v6, s6, v4
	v_add3_u32 v3, v3, v7, v5
	v_ashrrev_i32_e32 v5, 31, v4
	v_add_nc_u32_e32 v8, s6, v6
	v_lshlrev_b64 v[2:3], 4, v[2:3]
	v_ashrrev_i32_e32 v7, 31, v6
	v_lshlrev_b64 v[4:5], 4, v[4:5]
	v_ashrrev_i32_e32 v9, 31, v8
	v_add_nc_u32_e32 v10, s6, v8
	v_add_co_u32 v12, vcc_lo, s0, v2
	v_add_co_ci_u32_e64 v14, null, s1, v3, vcc_lo
	v_lshlrev_b64 v[2:3], 4, v[8:9]
	v_add_co_u32 v15, vcc_lo, v12, s4
	v_add_nc_u32_e32 v8, s6, v10
	v_add_co_ci_u32_e64 v14, null, s5, v14, vcc_lo
	v_lshlrev_b64 v[6:7], 4, v[6:7]
	v_add_co_u32 v216, vcc_lo, v15, v13
	v_ashrrev_i32_e32 v11, 31, v10
	v_add_nc_u32_e32 v12, s6, v8
	v_add_co_ci_u32_e64 v217, null, 0, v14, vcc_lo
	v_add_co_u32 v20, vcc_lo, v15, v4
	v_ashrrev_i32_e32 v9, 31, v8
	v_add_co_ci_u32_e64 v21, null, v14, v5, vcc_lo
	v_add_co_u32 v18, vcc_lo, v15, v6
	v_lshlrev_b64 v[10:11], 4, v[10:11]
	v_add_co_ci_u32_e64 v19, null, v14, v7, vcc_lo
	v_add_co_u32 v16, vcc_lo, v15, v2
	v_add_nc_u32_e32 v4, s6, v12
	v_add_co_ci_u32_e64 v17, null, v14, v3, vcc_lo
	v_lshlrev_b64 v[2:3], 4, v[8:9]
	v_ashrrev_i32_e32 v13, 31, v12
	v_ashrrev_i32_e32 v5, 31, v4
	v_add_nc_u32_e32 v8, s6, v4
	v_add_co_u32 v10, vcc_lo, v15, v10
	v_lshlrev_b64 v[6:7], 4, v[12:13]
	v_add_co_ci_u32_e64 v11, null, v14, v11, vcc_lo
	v_add_co_u32 v12, vcc_lo, v15, v2
	v_add_co_ci_u32_e64 v13, null, v14, v3, vcc_lo
	v_lshlrev_b64 v[2:3], 4, v[4:5]
	v_ashrrev_i32_e32 v9, 31, v8
	v_add_nc_u32_e32 v4, s6, v8
	v_add_co_u32 v22, vcc_lo, v15, v6
	v_add_co_ci_u32_e64 v23, null, v14, v7, vcc_lo
	v_lshlrev_b64 v[6:7], 4, v[8:9]
	v_ashrrev_i32_e32 v5, 31, v4
	v_add_nc_u32_e32 v8, s6, v4
	;; [unrolled: 5-line block ×14, first 2 shown]
	v_add_co_u32 v250, vcc_lo, v15, v2
	v_add_co_ci_u32_e64 v251, null, v14, v3, vcc_lo
	v_lshlrev_b64 v[2:3], 4, v[4:5]
	v_add_nc_u32_e32 v4, s6, v8
	v_ashrrev_i32_e32 v9, 31, v8
	v_add_co_u32 v252, vcc_lo, v15, v6
	v_add_co_ci_u32_e64 v253, null, v14, v7, vcc_lo
	v_ashrrev_i32_e32 v5, 31, v4
	v_lshlrev_b64 v[6:7], 4, v[8:9]
	v_add_co_u32 v212, vcc_lo, v15, v2
	v_add_co_ci_u32_e64 v213, null, v14, v3, vcc_lo
	v_lshlrev_b64 v[2:3], 4, v[4:5]
	v_add_co_u32 v254, vcc_lo, v15, v6
	v_add_co_ci_u32_e64 v255, null, v14, v7, vcc_lo
	v_add_nc_u32_e32 v8, s6, v4
	v_add_co_u32 v210, vcc_lo, v15, v2
	v_add_co_ci_u32_e64 v211, null, v14, v3, vcc_lo
	v_add_co_u32 v221, vcc_lo, v216, s2
	v_add_co_ci_u32_e64 v222, null, s3, v217, vcc_lo
	s_clause 0x1
	global_load_dwordx4 v[102:105], v[216:217], off
	global_load_dwordx4 v[98:101], v[221:222], off
	buffer_store_dword v20, off, s[28:31], 0 offset:16 ; 4-byte Folded Spill
	buffer_store_dword v21, off, s[28:31], 0 offset:20 ; 4-byte Folded Spill
	v_ashrrev_i32_e32 v9, 31, v8
	v_cmp_ne_u32_e64 s1, 0, v0
	v_cmp_eq_u32_e64 s0, 0, v0
	v_lshlrev_b64 v[4:5], 4, v[8:9]
	v_add_co_u32 v214, vcc_lo, v15, v4
	v_add_co_ci_u32_e64 v215, null, v14, v5, vcc_lo
	global_load_dwordx4 v[94:97], v[20:21], off
	buffer_store_dword v18, off, s[28:31], 0 offset:8 ; 4-byte Folded Spill
	buffer_store_dword v19, off, s[28:31], 0 offset:12 ; 4-byte Folded Spill
	global_load_dwordx4 v[90:93], v[18:19], off
	buffer_store_dword v16, off, s[28:31], 0 ; 4-byte Folded Spill
	buffer_store_dword v17, off, s[28:31], 0 offset:4 ; 4-byte Folded Spill
	global_load_dwordx4 v[86:89], v[16:17], off
	buffer_store_dword v10, off, s[28:31], 0 offset:24 ; 4-byte Folded Spill
	buffer_store_dword v11, off, s[28:31], 0 offset:28 ; 4-byte Folded Spill
	global_load_dwordx4 v[82:85], v[10:11], off
	buffer_store_dword v12, off, s[28:31], 0 offset:32 ; 4-byte Folded Spill
	;; [unrolled: 3-line block ×4, first 2 shown]
	buffer_store_dword v25, off, s[28:31], 0 offset:60 ; 4-byte Folded Spill
	s_clause 0x11
	global_load_dwordx4 v[70:73], v[24:25], off
	global_load_dwordx4 v[66:69], v[228:229], off
	;; [unrolled: 1-line block ×18, first 2 shown]
	s_and_saveexec_b32 s3, s0
	s_cbranch_execz .LBB51_8
; %bb.2:
	s_waitcnt vmcnt(25)
	ds_write2_b64 v1, v[102:103], v[104:105] offset1:1
	s_waitcnt vmcnt(24)
	ds_write2_b64 v220, v[98:99], v[100:101] offset0:2 offset1:3
	s_waitcnt vmcnt(23)
	ds_write2_b64 v220, v[94:95], v[96:97] offset0:4 offset1:5
	;; [unrolled: 2-line block ×25, first 2 shown]
	ds_read2_b64 v[106:109], v1 offset1:1
	s_waitcnt lgkmcnt(0)
	v_cmp_neq_f64_e32 vcc_lo, 0, v[106:107]
	v_cmp_neq_f64_e64 s2, 0, v[108:109]
	s_or_b32 s2, vcc_lo, s2
	s_and_b32 exec_lo, exec_lo, s2
	s_cbranch_execz .LBB51_8
; %bb.3:
	v_cmp_ngt_f64_e64 s2, |v[106:107]|, |v[108:109]|
                                        ; implicit-def: $vgpr110_vgpr111
	s_and_saveexec_b32 s4, s2
	s_xor_b32 s2, exec_lo, s4
                                        ; implicit-def: $vgpr112_vgpr113
	s_cbranch_execz .LBB51_5
; %bb.4:
	v_div_scale_f64 v[110:111], null, v[108:109], v[108:109], v[106:107]
	v_div_scale_f64 v[116:117], vcc_lo, v[106:107], v[108:109], v[106:107]
	v_rcp_f64_e32 v[112:113], v[110:111]
	v_fma_f64 v[114:115], -v[110:111], v[112:113], 1.0
	v_fma_f64 v[112:113], v[112:113], v[114:115], v[112:113]
	v_fma_f64 v[114:115], -v[110:111], v[112:113], 1.0
	v_fma_f64 v[112:113], v[112:113], v[114:115], v[112:113]
	v_mul_f64 v[114:115], v[116:117], v[112:113]
	v_fma_f64 v[110:111], -v[110:111], v[114:115], v[116:117]
	v_div_fmas_f64 v[110:111], v[110:111], v[112:113], v[114:115]
	v_div_fixup_f64 v[110:111], v[110:111], v[108:109], v[106:107]
	v_fma_f64 v[106:107], v[106:107], v[110:111], v[108:109]
	v_div_scale_f64 v[108:109], null, v[106:107], v[106:107], 1.0
	v_rcp_f64_e32 v[112:113], v[108:109]
	v_fma_f64 v[114:115], -v[108:109], v[112:113], 1.0
	v_fma_f64 v[112:113], v[112:113], v[114:115], v[112:113]
	v_fma_f64 v[114:115], -v[108:109], v[112:113], 1.0
	v_fma_f64 v[112:113], v[112:113], v[114:115], v[112:113]
	v_div_scale_f64 v[114:115], vcc_lo, 1.0, v[106:107], 1.0
	v_mul_f64 v[116:117], v[114:115], v[112:113]
	v_fma_f64 v[108:109], -v[108:109], v[116:117], v[114:115]
	v_div_fmas_f64 v[108:109], v[108:109], v[112:113], v[116:117]
	v_div_fixup_f64 v[112:113], v[108:109], v[106:107], 1.0
                                        ; implicit-def: $vgpr106_vgpr107
	v_mul_f64 v[110:111], v[110:111], v[112:113]
	v_xor_b32_e32 v113, 0x80000000, v113
.LBB51_5:
	s_andn2_saveexec_b32 s2, s2
	s_cbranch_execz .LBB51_7
; %bb.6:
	v_div_scale_f64 v[110:111], null, v[106:107], v[106:107], v[108:109]
	v_div_scale_f64 v[116:117], vcc_lo, v[108:109], v[106:107], v[108:109]
	v_rcp_f64_e32 v[112:113], v[110:111]
	v_fma_f64 v[114:115], -v[110:111], v[112:113], 1.0
	v_fma_f64 v[112:113], v[112:113], v[114:115], v[112:113]
	v_fma_f64 v[114:115], -v[110:111], v[112:113], 1.0
	v_fma_f64 v[112:113], v[112:113], v[114:115], v[112:113]
	v_mul_f64 v[114:115], v[116:117], v[112:113]
	v_fma_f64 v[110:111], -v[110:111], v[114:115], v[116:117]
	v_div_fmas_f64 v[110:111], v[110:111], v[112:113], v[114:115]
	v_div_fixup_f64 v[112:113], v[110:111], v[106:107], v[108:109]
	v_fma_f64 v[106:107], v[108:109], v[112:113], v[106:107]
	v_div_scale_f64 v[108:109], null, v[106:107], v[106:107], 1.0
	v_rcp_f64_e32 v[110:111], v[108:109]
	v_fma_f64 v[114:115], -v[108:109], v[110:111], 1.0
	v_fma_f64 v[110:111], v[110:111], v[114:115], v[110:111]
	v_fma_f64 v[114:115], -v[108:109], v[110:111], 1.0
	v_fma_f64 v[110:111], v[110:111], v[114:115], v[110:111]
	v_div_scale_f64 v[114:115], vcc_lo, 1.0, v[106:107], 1.0
	v_mul_f64 v[116:117], v[114:115], v[110:111]
	v_fma_f64 v[108:109], -v[108:109], v[116:117], v[114:115]
	v_div_fmas_f64 v[108:109], v[108:109], v[110:111], v[116:117]
	v_div_fixup_f64 v[110:111], v[108:109], v[106:107], 1.0
	v_mul_f64 v[112:113], v[112:113], -v[110:111]
.LBB51_7:
	s_or_b32 exec_lo, exec_lo, s2
	ds_write2_b64 v1, v[110:111], v[112:113] offset1:1
.LBB51_8:
	s_or_b32 exec_lo, exec_lo, s3
	s_waitcnt vmcnt(0) lgkmcnt(0)
	s_waitcnt_vscnt null, 0x0
	s_barrier
	buffer_gl0_inv
	ds_read2_b64 v[106:109], v1 offset1:1
	s_waitcnt lgkmcnt(0)
	buffer_store_dword v106, off, s[28:31], 0 offset:40 ; 4-byte Folded Spill
	buffer_store_dword v107, off, s[28:31], 0 offset:44 ; 4-byte Folded Spill
	;; [unrolled: 1-line block ×4, first 2 shown]
	s_and_saveexec_b32 s2, s1
	s_cbranch_execz .LBB51_10
; %bb.9:
	s_clause 0x3
	buffer_load_dword v106, off, s[28:31], 0 offset:40
	buffer_load_dword v107, off, s[28:31], 0 offset:44
	;; [unrolled: 1-line block ×4, first 2 shown]
	s_waitcnt vmcnt(2)
	v_mul_f64 v[110:111], v[106:107], v[104:105]
	s_waitcnt vmcnt(0)
	v_mul_f64 v[138:139], v[108:109], v[104:105]
	v_fma_f64 v[104:105], v[108:109], v[102:103], v[110:111]
	ds_read2_b64 v[110:113], v220 offset0:2 offset1:3
	ds_read2_b64 v[114:117], v220 offset0:4 offset1:5
	ds_read2_b64 v[118:121], v220 offset0:6 offset1:7
	ds_read2_b64 v[122:125], v220 offset0:8 offset1:9
	ds_read2_b64 v[126:129], v220 offset0:10 offset1:11
	ds_read2_b64 v[130:133], v220 offset0:12 offset1:13
	ds_read2_b64 v[134:137], v220 offset0:14 offset1:15
	v_fma_f64 v[102:103], v[106:107], v[102:103], -v[138:139]
	ds_read2_b64 v[138:141], v220 offset0:16 offset1:17
	ds_read2_b64 v[142:145], v220 offset0:18 offset1:19
	;; [unrolled: 1-line block ×5, first 2 shown]
	s_waitcnt lgkmcnt(9)
	v_mul_f64 v[166:167], v[120:121], v[104:105]
	v_mul_f64 v[158:159], v[112:113], v[104:105]
	v_mul_f64 v[160:161], v[110:111], v[104:105]
	v_mul_f64 v[162:163], v[116:117], v[104:105]
	v_mul_f64 v[164:165], v[114:115], v[104:105]
	s_waitcnt lgkmcnt(6)
	v_mul_f64 v[178:179], v[132:133], v[104:105]
	v_mul_f64 v[168:169], v[118:119], v[104:105]
	;; [unrolled: 1-line block ×6, first 2 shown]
	s_waitcnt lgkmcnt(5)
	v_mul_f64 v[184:185], v[134:135], v[104:105]
	s_waitcnt lgkmcnt(4)
	v_mul_f64 v[186:187], v[140:141], v[104:105]
	v_mul_f64 v[180:181], v[130:131], v[104:105]
	;; [unrolled: 1-line block ×4, first 2 shown]
	v_fma_f64 v[166:167], v[118:119], v[102:103], -v[166:167]
	s_waitcnt lgkmcnt(3)
	v_mul_f64 v[118:119], v[144:145], v[104:105]
	v_fma_f64 v[158:159], v[110:111], v[102:103], -v[158:159]
	v_fma_f64 v[160:161], v[112:113], v[102:103], v[160:161]
	v_fma_f64 v[162:163], v[114:115], v[102:103], -v[162:163]
	v_fma_f64 v[164:165], v[116:117], v[102:103], v[164:165]
	ds_read2_b64 v[110:113], v220 offset0:26 offset1:27
	ds_read2_b64 v[114:117], v220 offset0:28 offset1:29
	v_fma_f64 v[130:131], v[130:131], v[102:103], -v[178:179]
	s_waitcnt lgkmcnt(2)
	v_mul_f64 v[178:179], v[156:157], v[104:105]
	v_fma_f64 v[168:169], v[120:121], v[102:103], v[168:169]
	v_fma_f64 v[170:171], v[122:123], v[102:103], -v[170:171]
	v_fma_f64 v[172:173], v[124:125], v[102:103], v[172:173]
	v_mul_f64 v[120:121], v[142:143], v[104:105]
	v_fma_f64 v[174:175], v[126:127], v[102:103], -v[174:175]
	v_fma_f64 v[176:177], v[128:129], v[102:103], v[176:177]
	v_mul_f64 v[122:123], v[148:149], v[104:105]
	v_mul_f64 v[124:125], v[146:147], v[104:105]
	;; [unrolled: 1-line block ×4, first 2 shown]
	v_fma_f64 v[136:137], v[136:137], v[102:103], v[184:185]
	v_fma_f64 v[138:139], v[138:139], v[102:103], -v[186:187]
	v_fma_f64 v[132:133], v[132:133], v[102:103], v[180:181]
	v_fma_f64 v[134:135], v[134:135], v[102:103], -v[182:183]
	v_fma_f64 v[142:143], v[142:143], v[102:103], -v[118:119]
	v_mul_f64 v[180:181], v[154:155], v[104:105]
	s_waitcnt lgkmcnt(1)
	v_mul_f64 v[184:185], v[110:111], v[104:105]
	s_waitcnt lgkmcnt(0)
	v_mul_f64 v[186:187], v[116:117], v[104:105]
	v_mul_f64 v[182:183], v[112:113], v[104:105]
	v_fma_f64 v[140:141], v[140:141], v[102:103], v[188:189]
	v_add_f64 v[98:99], v[98:99], -v[158:159]
	v_fma_f64 v[154:155], v[154:155], v[102:103], -v[178:179]
	v_mul_f64 v[178:179], v[114:115], v[104:105]
	v_add_f64 v[100:101], v[100:101], -v[160:161]
	v_add_f64 v[94:95], v[94:95], -v[162:163]
	v_fma_f64 v[144:145], v[144:145], v[102:103], v[120:121]
	v_add_f64 v[96:97], v[96:97], -v[164:165]
	v_add_f64 v[90:91], v[90:91], -v[166:167]
	v_fma_f64 v[146:147], v[146:147], v[102:103], -v[122:123]
	v_fma_f64 v[148:149], v[148:149], v[102:103], v[124:125]
	ds_read2_b64 v[118:121], v220 offset0:30 offset1:31
	ds_read2_b64 v[122:125], v220 offset0:32 offset1:33
	v_fma_f64 v[150:151], v[150:151], v[102:103], -v[126:127]
	v_fma_f64 v[152:153], v[152:153], v[102:103], v[128:129]
	ds_read2_b64 v[126:129], v220 offset0:34 offset1:35
	v_add_f64 v[70:71], v[70:71], -v[138:139]
	v_add_f64 v[92:93], v[92:93], -v[168:169]
	;; [unrolled: 1-line block ×3, first 2 shown]
	v_fma_f64 v[156:157], v[156:157], v[102:103], v[180:181]
	v_fma_f64 v[138:139], v[112:113], v[102:103], v[184:185]
	v_fma_f64 v[142:143], v[114:115], v[102:103], -v[186:187]
	v_fma_f64 v[180:181], v[110:111], v[102:103], -v[182:183]
	v_add_f64 v[86:87], v[86:87], -v[170:171]
	ds_read2_b64 v[110:113], v220 offset0:36 offset1:37
	v_add_f64 v[78:79], v[78:79], -v[130:131]
	v_fma_f64 v[158:159], v[116:117], v[102:103], v[178:179]
	v_add_f64 v[80:81], v[80:81], -v[132:133]
	v_add_f64 v[74:75], v[74:75], -v[134:135]
	;; [unrolled: 1-line block ×4, first 2 shown]
	s_waitcnt lgkmcnt(3)
	v_mul_f64 v[160:161], v[120:121], v[104:105]
	v_mul_f64 v[162:163], v[118:119], v[104:105]
	s_waitcnt lgkmcnt(2)
	v_mul_f64 v[164:165], v[124:125], v[104:105]
	v_mul_f64 v[166:167], v[122:123], v[104:105]
	s_waitcnt lgkmcnt(1)
	v_mul_f64 v[168:169], v[128:129], v[104:105]
	v_mul_f64 v[170:171], v[126:127], v[104:105]
	v_add_f64 v[68:69], v[68:69], -v[144:145]
	v_add_f64 v[62:63], v[62:63], -v[146:147]
	;; [unrolled: 1-line block ×5, first 2 shown]
	ds_read2_b64 v[114:117], v220 offset0:38 offset1:39
	ds_read2_b64 v[130:133], v220 offset0:40 offset1:41
	;; [unrolled: 1-line block ×3, first 2 shown]
	v_add_f64 v[52:53], v[52:53], -v[138:139]
	ds_read2_b64 v[138:141], v220 offset0:44 offset1:45
	v_add_f64 v[46:47], v[46:47], -v[142:143]
	ds_read2_b64 v[142:145], v220 offset0:46 offset1:47
	ds_read2_b64 v[146:149], v220 offset0:48 offset1:49
	;; [unrolled: 1-line block ×3, first 2 shown]
	v_add_f64 v[88:89], v[88:89], -v[172:173]
	v_add_f64 v[82:83], v[82:83], -v[174:175]
	;; [unrolled: 1-line block ×7, first 2 shown]
	v_fma_f64 v[118:119], v[118:119], v[102:103], -v[160:161]
	v_fma_f64 v[120:121], v[120:121], v[102:103], v[162:163]
	v_fma_f64 v[122:123], v[122:123], v[102:103], -v[164:165]
	v_fma_f64 v[124:125], v[124:125], v[102:103], v[166:167]
	;; [unrolled: 2-line block ×3, first 2 shown]
	s_waitcnt lgkmcnt(7)
	v_mul_f64 v[154:155], v[112:113], v[104:105]
	v_mul_f64 v[156:157], v[110:111], v[104:105]
	s_waitcnt lgkmcnt(6)
	v_mul_f64 v[158:159], v[116:117], v[104:105]
	v_mul_f64 v[160:161], v[114:115], v[104:105]
	;; [unrolled: 3-line block ×8, first 2 shown]
	v_add_f64 v[42:43], v[42:43], -v[118:119]
	v_add_f64 v[44:45], v[44:45], -v[120:121]
	;; [unrolled: 1-line block ×6, first 2 shown]
	v_fma_f64 v[110:111], v[110:111], v[102:103], -v[154:155]
	v_fma_f64 v[112:113], v[112:113], v[102:103], v[156:157]
	v_fma_f64 v[114:115], v[114:115], v[102:103], -v[158:159]
	v_fma_f64 v[116:117], v[116:117], v[102:103], v[160:161]
	;; [unrolled: 2-line block ×8, first 2 shown]
	v_add_f64 v[30:31], v[30:31], -v[110:111]
	v_add_f64 v[32:33], v[32:33], -v[112:113]
	;; [unrolled: 1-line block ×16, first 2 shown]
.LBB51_10:
	s_or_b32 exec_lo, exec_lo, s2
	s_mov_b32 s2, exec_lo
	s_waitcnt_vscnt null, 0x0
	s_barrier
	buffer_gl0_inv
	v_cmpx_eq_u32_e32 1, v0
	s_cbranch_execz .LBB51_17
; %bb.11:
	ds_write2_b64 v1, v[98:99], v[100:101] offset1:1
	ds_write2_b64 v220, v[94:95], v[96:97] offset0:4 offset1:5
	ds_write2_b64 v220, v[90:91], v[92:93] offset0:6 offset1:7
	;; [unrolled: 1-line block ×24, first 2 shown]
	ds_read2_b64 v[110:113], v1 offset1:1
	s_waitcnt lgkmcnt(0)
	v_cmp_neq_f64_e32 vcc_lo, 0, v[110:111]
	v_cmp_neq_f64_e64 s1, 0, v[112:113]
	s_or_b32 s1, vcc_lo, s1
	s_and_b32 exec_lo, exec_lo, s1
	s_cbranch_execz .LBB51_17
; %bb.12:
	v_cmp_ngt_f64_e64 s1, |v[110:111]|, |v[112:113]|
                                        ; implicit-def: $vgpr114_vgpr115
	s_and_saveexec_b32 s3, s1
	s_xor_b32 s1, exec_lo, s3
                                        ; implicit-def: $vgpr116_vgpr117
	s_cbranch_execz .LBB51_14
; %bb.13:
	v_div_scale_f64 v[114:115], null, v[112:113], v[112:113], v[110:111]
	v_div_scale_f64 v[120:121], vcc_lo, v[110:111], v[112:113], v[110:111]
	v_rcp_f64_e32 v[116:117], v[114:115]
	v_fma_f64 v[118:119], -v[114:115], v[116:117], 1.0
	v_fma_f64 v[116:117], v[116:117], v[118:119], v[116:117]
	v_fma_f64 v[118:119], -v[114:115], v[116:117], 1.0
	v_fma_f64 v[116:117], v[116:117], v[118:119], v[116:117]
	v_mul_f64 v[118:119], v[120:121], v[116:117]
	v_fma_f64 v[114:115], -v[114:115], v[118:119], v[120:121]
	v_div_fmas_f64 v[114:115], v[114:115], v[116:117], v[118:119]
	v_div_fixup_f64 v[114:115], v[114:115], v[112:113], v[110:111]
	v_fma_f64 v[110:111], v[110:111], v[114:115], v[112:113]
	v_div_scale_f64 v[112:113], null, v[110:111], v[110:111], 1.0
	v_rcp_f64_e32 v[116:117], v[112:113]
	v_fma_f64 v[118:119], -v[112:113], v[116:117], 1.0
	v_fma_f64 v[116:117], v[116:117], v[118:119], v[116:117]
	v_fma_f64 v[118:119], -v[112:113], v[116:117], 1.0
	v_fma_f64 v[116:117], v[116:117], v[118:119], v[116:117]
	v_div_scale_f64 v[118:119], vcc_lo, 1.0, v[110:111], 1.0
	v_mul_f64 v[120:121], v[118:119], v[116:117]
	v_fma_f64 v[112:113], -v[112:113], v[120:121], v[118:119]
	v_div_fmas_f64 v[112:113], v[112:113], v[116:117], v[120:121]
	v_div_fixup_f64 v[116:117], v[112:113], v[110:111], 1.0
                                        ; implicit-def: $vgpr110_vgpr111
	v_mul_f64 v[114:115], v[114:115], v[116:117]
	v_xor_b32_e32 v117, 0x80000000, v117
.LBB51_14:
	s_andn2_saveexec_b32 s1, s1
	s_cbranch_execz .LBB51_16
; %bb.15:
	v_div_scale_f64 v[114:115], null, v[110:111], v[110:111], v[112:113]
	v_div_scale_f64 v[120:121], vcc_lo, v[112:113], v[110:111], v[112:113]
	v_rcp_f64_e32 v[116:117], v[114:115]
	v_fma_f64 v[118:119], -v[114:115], v[116:117], 1.0
	v_fma_f64 v[116:117], v[116:117], v[118:119], v[116:117]
	v_fma_f64 v[118:119], -v[114:115], v[116:117], 1.0
	v_fma_f64 v[116:117], v[116:117], v[118:119], v[116:117]
	v_mul_f64 v[118:119], v[120:121], v[116:117]
	v_fma_f64 v[114:115], -v[114:115], v[118:119], v[120:121]
	v_div_fmas_f64 v[114:115], v[114:115], v[116:117], v[118:119]
	v_div_fixup_f64 v[116:117], v[114:115], v[110:111], v[112:113]
	v_fma_f64 v[110:111], v[112:113], v[116:117], v[110:111]
	v_div_scale_f64 v[112:113], null, v[110:111], v[110:111], 1.0
	v_rcp_f64_e32 v[114:115], v[112:113]
	v_fma_f64 v[118:119], -v[112:113], v[114:115], 1.0
	v_fma_f64 v[114:115], v[114:115], v[118:119], v[114:115]
	v_fma_f64 v[118:119], -v[112:113], v[114:115], 1.0
	v_fma_f64 v[114:115], v[114:115], v[118:119], v[114:115]
	v_div_scale_f64 v[118:119], vcc_lo, 1.0, v[110:111], 1.0
	v_mul_f64 v[120:121], v[118:119], v[114:115]
	v_fma_f64 v[112:113], -v[112:113], v[120:121], v[118:119]
	v_div_fmas_f64 v[112:113], v[112:113], v[114:115], v[120:121]
	v_div_fixup_f64 v[114:115], v[112:113], v[110:111], 1.0
	v_mul_f64 v[116:117], v[116:117], -v[114:115]
.LBB51_16:
	s_or_b32 exec_lo, exec_lo, s1
	ds_write2_b64 v1, v[114:115], v[116:117] offset1:1
.LBB51_17:
	s_or_b32 exec_lo, exec_lo, s2
	s_waitcnt lgkmcnt(0)
	s_barrier
	buffer_gl0_inv
	ds_read2_b64 v[110:113], v1 offset1:1
	s_mov_b32 s1, exec_lo
	v_cmpx_lt_u32_e32 1, v0
	s_cbranch_execz .LBB51_19
; %bb.18:
	s_waitcnt lgkmcnt(0)
	v_mul_f64 v[114:115], v[112:113], v[100:101]
	v_mul_f64 v[100:101], v[110:111], v[100:101]
	ds_read2_b64 v[116:119], v220 offset0:4 offset1:5
	v_fma_f64 v[114:115], v[110:111], v[98:99], -v[114:115]
	v_fma_f64 v[100:101], v[112:113], v[98:99], v[100:101]
	s_waitcnt lgkmcnt(0)
	v_mul_f64 v[98:99], v[118:119], v[100:101]
	v_fma_f64 v[98:99], v[116:117], v[114:115], -v[98:99]
	v_mul_f64 v[116:117], v[116:117], v[100:101]
	v_add_f64 v[94:95], v[94:95], -v[98:99]
	v_fma_f64 v[116:117], v[118:119], v[114:115], v[116:117]
	v_add_f64 v[96:97], v[96:97], -v[116:117]
	ds_read2_b64 v[116:119], v220 offset0:6 offset1:7
	s_waitcnt lgkmcnt(0)
	v_mul_f64 v[98:99], v[118:119], v[100:101]
	v_fma_f64 v[98:99], v[116:117], v[114:115], -v[98:99]
	v_mul_f64 v[116:117], v[116:117], v[100:101]
	v_add_f64 v[90:91], v[90:91], -v[98:99]
	v_fma_f64 v[116:117], v[118:119], v[114:115], v[116:117]
	v_add_f64 v[92:93], v[92:93], -v[116:117]
	ds_read2_b64 v[116:119], v220 offset0:8 offset1:9
	;; [unrolled: 8-line block ×23, first 2 shown]
	s_waitcnt lgkmcnt(0)
	v_mul_f64 v[98:99], v[118:119], v[100:101]
	v_fma_f64 v[98:99], v[116:117], v[114:115], -v[98:99]
	v_mul_f64 v[116:117], v[116:117], v[100:101]
	v_add_f64 v[2:3], v[2:3], -v[98:99]
	v_fma_f64 v[116:117], v[118:119], v[114:115], v[116:117]
	v_mov_b32_e32 v98, v114
	v_mov_b32_e32 v99, v115
	v_add_f64 v[4:5], v[4:5], -v[116:117]
.LBB51_19:
	s_or_b32 exec_lo, exec_lo, s1
	s_mov_b32 s2, exec_lo
	s_waitcnt lgkmcnt(0)
	s_barrier
	buffer_gl0_inv
	v_cmpx_eq_u32_e32 2, v0
	s_cbranch_execz .LBB51_26
; %bb.20:
	ds_write2_b64 v1, v[94:95], v[96:97] offset1:1
	ds_write2_b64 v220, v[90:91], v[92:93] offset0:6 offset1:7
	ds_write2_b64 v220, v[86:87], v[88:89] offset0:8 offset1:9
	;; [unrolled: 1-line block ×23, first 2 shown]
	ds_read2_b64 v[114:117], v1 offset1:1
	s_waitcnt lgkmcnt(0)
	v_cmp_neq_f64_e32 vcc_lo, 0, v[114:115]
	v_cmp_neq_f64_e64 s1, 0, v[116:117]
	s_or_b32 s1, vcc_lo, s1
	s_and_b32 exec_lo, exec_lo, s1
	s_cbranch_execz .LBB51_26
; %bb.21:
	v_cmp_ngt_f64_e64 s1, |v[114:115]|, |v[116:117]|
                                        ; implicit-def: $vgpr118_vgpr119
	s_and_saveexec_b32 s3, s1
	s_xor_b32 s1, exec_lo, s3
                                        ; implicit-def: $vgpr120_vgpr121
	s_cbranch_execz .LBB51_23
; %bb.22:
	v_div_scale_f64 v[118:119], null, v[116:117], v[116:117], v[114:115]
	v_div_scale_f64 v[124:125], vcc_lo, v[114:115], v[116:117], v[114:115]
	v_rcp_f64_e32 v[120:121], v[118:119]
	v_fma_f64 v[122:123], -v[118:119], v[120:121], 1.0
	v_fma_f64 v[120:121], v[120:121], v[122:123], v[120:121]
	v_fma_f64 v[122:123], -v[118:119], v[120:121], 1.0
	v_fma_f64 v[120:121], v[120:121], v[122:123], v[120:121]
	v_mul_f64 v[122:123], v[124:125], v[120:121]
	v_fma_f64 v[118:119], -v[118:119], v[122:123], v[124:125]
	v_div_fmas_f64 v[118:119], v[118:119], v[120:121], v[122:123]
	v_div_fixup_f64 v[118:119], v[118:119], v[116:117], v[114:115]
	v_fma_f64 v[114:115], v[114:115], v[118:119], v[116:117]
	v_div_scale_f64 v[116:117], null, v[114:115], v[114:115], 1.0
	v_rcp_f64_e32 v[120:121], v[116:117]
	v_fma_f64 v[122:123], -v[116:117], v[120:121], 1.0
	v_fma_f64 v[120:121], v[120:121], v[122:123], v[120:121]
	v_fma_f64 v[122:123], -v[116:117], v[120:121], 1.0
	v_fma_f64 v[120:121], v[120:121], v[122:123], v[120:121]
	v_div_scale_f64 v[122:123], vcc_lo, 1.0, v[114:115], 1.0
	v_mul_f64 v[124:125], v[122:123], v[120:121]
	v_fma_f64 v[116:117], -v[116:117], v[124:125], v[122:123]
	v_div_fmas_f64 v[116:117], v[116:117], v[120:121], v[124:125]
	v_div_fixup_f64 v[120:121], v[116:117], v[114:115], 1.0
                                        ; implicit-def: $vgpr114_vgpr115
	v_mul_f64 v[118:119], v[118:119], v[120:121]
	v_xor_b32_e32 v121, 0x80000000, v121
.LBB51_23:
	s_andn2_saveexec_b32 s1, s1
	s_cbranch_execz .LBB51_25
; %bb.24:
	v_div_scale_f64 v[118:119], null, v[114:115], v[114:115], v[116:117]
	v_div_scale_f64 v[124:125], vcc_lo, v[116:117], v[114:115], v[116:117]
	v_rcp_f64_e32 v[120:121], v[118:119]
	v_fma_f64 v[122:123], -v[118:119], v[120:121], 1.0
	v_fma_f64 v[120:121], v[120:121], v[122:123], v[120:121]
	v_fma_f64 v[122:123], -v[118:119], v[120:121], 1.0
	v_fma_f64 v[120:121], v[120:121], v[122:123], v[120:121]
	v_mul_f64 v[122:123], v[124:125], v[120:121]
	v_fma_f64 v[118:119], -v[118:119], v[122:123], v[124:125]
	v_div_fmas_f64 v[118:119], v[118:119], v[120:121], v[122:123]
	v_div_fixup_f64 v[120:121], v[118:119], v[114:115], v[116:117]
	v_fma_f64 v[114:115], v[116:117], v[120:121], v[114:115]
	v_div_scale_f64 v[116:117], null, v[114:115], v[114:115], 1.0
	v_rcp_f64_e32 v[118:119], v[116:117]
	v_fma_f64 v[122:123], -v[116:117], v[118:119], 1.0
	v_fma_f64 v[118:119], v[118:119], v[122:123], v[118:119]
	v_fma_f64 v[122:123], -v[116:117], v[118:119], 1.0
	v_fma_f64 v[118:119], v[118:119], v[122:123], v[118:119]
	v_div_scale_f64 v[122:123], vcc_lo, 1.0, v[114:115], 1.0
	v_mul_f64 v[124:125], v[122:123], v[118:119]
	v_fma_f64 v[116:117], -v[116:117], v[124:125], v[122:123]
	v_div_fmas_f64 v[116:117], v[116:117], v[118:119], v[124:125]
	v_div_fixup_f64 v[118:119], v[116:117], v[114:115], 1.0
	v_mul_f64 v[120:121], v[120:121], -v[118:119]
.LBB51_25:
	s_or_b32 exec_lo, exec_lo, s1
	ds_write2_b64 v1, v[118:119], v[120:121] offset1:1
.LBB51_26:
	s_or_b32 exec_lo, exec_lo, s2
	s_waitcnt lgkmcnt(0)
	s_barrier
	buffer_gl0_inv
	ds_read2_b64 v[114:117], v1 offset1:1
	s_mov_b32 s1, exec_lo
	v_cmpx_lt_u32_e32 2, v0
	s_cbranch_execz .LBB51_28
; %bb.27:
	s_waitcnt lgkmcnt(0)
	v_mul_f64 v[118:119], v[116:117], v[96:97]
	v_mul_f64 v[96:97], v[114:115], v[96:97]
	ds_read2_b64 v[120:123], v220 offset0:6 offset1:7
	v_fma_f64 v[118:119], v[114:115], v[94:95], -v[118:119]
	v_fma_f64 v[96:97], v[116:117], v[94:95], v[96:97]
	s_waitcnt lgkmcnt(0)
	v_mul_f64 v[94:95], v[122:123], v[96:97]
	v_fma_f64 v[94:95], v[120:121], v[118:119], -v[94:95]
	v_mul_f64 v[120:121], v[120:121], v[96:97]
	v_add_f64 v[90:91], v[90:91], -v[94:95]
	v_fma_f64 v[120:121], v[122:123], v[118:119], v[120:121]
	v_add_f64 v[92:93], v[92:93], -v[120:121]
	ds_read2_b64 v[120:123], v220 offset0:8 offset1:9
	s_waitcnt lgkmcnt(0)
	v_mul_f64 v[94:95], v[122:123], v[96:97]
	v_fma_f64 v[94:95], v[120:121], v[118:119], -v[94:95]
	v_mul_f64 v[120:121], v[120:121], v[96:97]
	v_add_f64 v[86:87], v[86:87], -v[94:95]
	v_fma_f64 v[120:121], v[122:123], v[118:119], v[120:121]
	v_add_f64 v[88:89], v[88:89], -v[120:121]
	ds_read2_b64 v[120:123], v220 offset0:10 offset1:11
	s_waitcnt lgkmcnt(0)
	v_mul_f64 v[94:95], v[122:123], v[96:97]
	v_fma_f64 v[94:95], v[120:121], v[118:119], -v[94:95]
	v_mul_f64 v[120:121], v[120:121], v[96:97]
	v_add_f64 v[82:83], v[82:83], -v[94:95]
	v_fma_f64 v[120:121], v[122:123], v[118:119], v[120:121]
	v_add_f64 v[84:85], v[84:85], -v[120:121]
	ds_read2_b64 v[120:123], v220 offset0:12 offset1:13
	s_waitcnt lgkmcnt(0)
	v_mul_f64 v[94:95], v[122:123], v[96:97]
	v_fma_f64 v[94:95], v[120:121], v[118:119], -v[94:95]
	v_mul_f64 v[120:121], v[120:121], v[96:97]
	v_add_f64 v[78:79], v[78:79], -v[94:95]
	v_fma_f64 v[120:121], v[122:123], v[118:119], v[120:121]
	v_add_f64 v[80:81], v[80:81], -v[120:121]
	ds_read2_b64 v[120:123], v220 offset0:14 offset1:15
	s_waitcnt lgkmcnt(0)
	v_mul_f64 v[94:95], v[122:123], v[96:97]
	v_fma_f64 v[94:95], v[120:121], v[118:119], -v[94:95]
	v_mul_f64 v[120:121], v[120:121], v[96:97]
	v_add_f64 v[74:75], v[74:75], -v[94:95]
	v_fma_f64 v[120:121], v[122:123], v[118:119], v[120:121]
	v_add_f64 v[76:77], v[76:77], -v[120:121]
	ds_read2_b64 v[120:123], v220 offset0:16 offset1:17
	s_waitcnt lgkmcnt(0)
	v_mul_f64 v[94:95], v[122:123], v[96:97]
	v_fma_f64 v[94:95], v[120:121], v[118:119], -v[94:95]
	v_mul_f64 v[120:121], v[120:121], v[96:97]
	v_add_f64 v[70:71], v[70:71], -v[94:95]
	v_fma_f64 v[120:121], v[122:123], v[118:119], v[120:121]
	v_add_f64 v[72:73], v[72:73], -v[120:121]
	ds_read2_b64 v[120:123], v220 offset0:18 offset1:19
	s_waitcnt lgkmcnt(0)
	v_mul_f64 v[94:95], v[122:123], v[96:97]
	v_fma_f64 v[94:95], v[120:121], v[118:119], -v[94:95]
	v_mul_f64 v[120:121], v[120:121], v[96:97]
	v_add_f64 v[66:67], v[66:67], -v[94:95]
	v_fma_f64 v[120:121], v[122:123], v[118:119], v[120:121]
	v_add_f64 v[68:69], v[68:69], -v[120:121]
	ds_read2_b64 v[120:123], v220 offset0:20 offset1:21
	s_waitcnt lgkmcnt(0)
	v_mul_f64 v[94:95], v[122:123], v[96:97]
	v_fma_f64 v[94:95], v[120:121], v[118:119], -v[94:95]
	v_mul_f64 v[120:121], v[120:121], v[96:97]
	v_add_f64 v[62:63], v[62:63], -v[94:95]
	v_fma_f64 v[120:121], v[122:123], v[118:119], v[120:121]
	v_add_f64 v[64:65], v[64:65], -v[120:121]
	ds_read2_b64 v[120:123], v220 offset0:22 offset1:23
	s_waitcnt lgkmcnt(0)
	v_mul_f64 v[94:95], v[122:123], v[96:97]
	v_fma_f64 v[94:95], v[120:121], v[118:119], -v[94:95]
	v_mul_f64 v[120:121], v[120:121], v[96:97]
	v_add_f64 v[58:59], v[58:59], -v[94:95]
	v_fma_f64 v[120:121], v[122:123], v[118:119], v[120:121]
	v_add_f64 v[60:61], v[60:61], -v[120:121]
	ds_read2_b64 v[120:123], v220 offset0:24 offset1:25
	s_waitcnt lgkmcnt(0)
	v_mul_f64 v[94:95], v[122:123], v[96:97]
	v_fma_f64 v[94:95], v[120:121], v[118:119], -v[94:95]
	v_mul_f64 v[120:121], v[120:121], v[96:97]
	v_add_f64 v[54:55], v[54:55], -v[94:95]
	v_fma_f64 v[120:121], v[122:123], v[118:119], v[120:121]
	v_add_f64 v[56:57], v[56:57], -v[120:121]
	ds_read2_b64 v[120:123], v220 offset0:26 offset1:27
	s_waitcnt lgkmcnt(0)
	v_mul_f64 v[94:95], v[122:123], v[96:97]
	v_fma_f64 v[94:95], v[120:121], v[118:119], -v[94:95]
	v_mul_f64 v[120:121], v[120:121], v[96:97]
	v_add_f64 v[50:51], v[50:51], -v[94:95]
	v_fma_f64 v[120:121], v[122:123], v[118:119], v[120:121]
	v_add_f64 v[52:53], v[52:53], -v[120:121]
	ds_read2_b64 v[120:123], v220 offset0:28 offset1:29
	s_waitcnt lgkmcnt(0)
	v_mul_f64 v[94:95], v[122:123], v[96:97]
	v_fma_f64 v[94:95], v[120:121], v[118:119], -v[94:95]
	v_mul_f64 v[120:121], v[120:121], v[96:97]
	v_add_f64 v[46:47], v[46:47], -v[94:95]
	v_fma_f64 v[120:121], v[122:123], v[118:119], v[120:121]
	v_add_f64 v[48:49], v[48:49], -v[120:121]
	ds_read2_b64 v[120:123], v220 offset0:30 offset1:31
	s_waitcnt lgkmcnt(0)
	v_mul_f64 v[94:95], v[122:123], v[96:97]
	v_fma_f64 v[94:95], v[120:121], v[118:119], -v[94:95]
	v_mul_f64 v[120:121], v[120:121], v[96:97]
	v_add_f64 v[42:43], v[42:43], -v[94:95]
	v_fma_f64 v[120:121], v[122:123], v[118:119], v[120:121]
	v_add_f64 v[44:45], v[44:45], -v[120:121]
	ds_read2_b64 v[120:123], v220 offset0:32 offset1:33
	s_waitcnt lgkmcnt(0)
	v_mul_f64 v[94:95], v[122:123], v[96:97]
	v_fma_f64 v[94:95], v[120:121], v[118:119], -v[94:95]
	v_mul_f64 v[120:121], v[120:121], v[96:97]
	v_add_f64 v[38:39], v[38:39], -v[94:95]
	v_fma_f64 v[120:121], v[122:123], v[118:119], v[120:121]
	v_add_f64 v[40:41], v[40:41], -v[120:121]
	ds_read2_b64 v[120:123], v220 offset0:34 offset1:35
	s_waitcnt lgkmcnt(0)
	v_mul_f64 v[94:95], v[122:123], v[96:97]
	v_fma_f64 v[94:95], v[120:121], v[118:119], -v[94:95]
	v_mul_f64 v[120:121], v[120:121], v[96:97]
	v_add_f64 v[34:35], v[34:35], -v[94:95]
	v_fma_f64 v[120:121], v[122:123], v[118:119], v[120:121]
	v_add_f64 v[36:37], v[36:37], -v[120:121]
	ds_read2_b64 v[120:123], v220 offset0:36 offset1:37
	s_waitcnt lgkmcnt(0)
	v_mul_f64 v[94:95], v[122:123], v[96:97]
	v_fma_f64 v[94:95], v[120:121], v[118:119], -v[94:95]
	v_mul_f64 v[120:121], v[120:121], v[96:97]
	v_add_f64 v[30:31], v[30:31], -v[94:95]
	v_fma_f64 v[120:121], v[122:123], v[118:119], v[120:121]
	v_add_f64 v[32:33], v[32:33], -v[120:121]
	ds_read2_b64 v[120:123], v220 offset0:38 offset1:39
	s_waitcnt lgkmcnt(0)
	v_mul_f64 v[94:95], v[122:123], v[96:97]
	v_fma_f64 v[94:95], v[120:121], v[118:119], -v[94:95]
	v_mul_f64 v[120:121], v[120:121], v[96:97]
	v_add_f64 v[26:27], v[26:27], -v[94:95]
	v_fma_f64 v[120:121], v[122:123], v[118:119], v[120:121]
	v_add_f64 v[28:29], v[28:29], -v[120:121]
	ds_read2_b64 v[120:123], v220 offset0:40 offset1:41
	s_waitcnt lgkmcnt(0)
	v_mul_f64 v[94:95], v[122:123], v[96:97]
	v_fma_f64 v[94:95], v[120:121], v[118:119], -v[94:95]
	v_mul_f64 v[120:121], v[120:121], v[96:97]
	v_add_f64 v[22:23], v[22:23], -v[94:95]
	v_fma_f64 v[120:121], v[122:123], v[118:119], v[120:121]
	v_add_f64 v[24:25], v[24:25], -v[120:121]
	ds_read2_b64 v[120:123], v220 offset0:42 offset1:43
	s_waitcnt lgkmcnt(0)
	v_mul_f64 v[94:95], v[122:123], v[96:97]
	v_fma_f64 v[94:95], v[120:121], v[118:119], -v[94:95]
	v_mul_f64 v[120:121], v[120:121], v[96:97]
	v_add_f64 v[18:19], v[18:19], -v[94:95]
	v_fma_f64 v[120:121], v[122:123], v[118:119], v[120:121]
	v_add_f64 v[20:21], v[20:21], -v[120:121]
	ds_read2_b64 v[120:123], v220 offset0:44 offset1:45
	s_waitcnt lgkmcnt(0)
	v_mul_f64 v[94:95], v[122:123], v[96:97]
	v_fma_f64 v[94:95], v[120:121], v[118:119], -v[94:95]
	v_mul_f64 v[120:121], v[120:121], v[96:97]
	v_add_f64 v[14:15], v[14:15], -v[94:95]
	v_fma_f64 v[120:121], v[122:123], v[118:119], v[120:121]
	v_add_f64 v[16:17], v[16:17], -v[120:121]
	ds_read2_b64 v[120:123], v220 offset0:46 offset1:47
	s_waitcnt lgkmcnt(0)
	v_mul_f64 v[94:95], v[122:123], v[96:97]
	v_fma_f64 v[94:95], v[120:121], v[118:119], -v[94:95]
	v_mul_f64 v[120:121], v[120:121], v[96:97]
	v_add_f64 v[10:11], v[10:11], -v[94:95]
	v_fma_f64 v[120:121], v[122:123], v[118:119], v[120:121]
	v_add_f64 v[12:13], v[12:13], -v[120:121]
	ds_read2_b64 v[120:123], v220 offset0:48 offset1:49
	s_waitcnt lgkmcnt(0)
	v_mul_f64 v[94:95], v[122:123], v[96:97]
	v_fma_f64 v[94:95], v[120:121], v[118:119], -v[94:95]
	v_mul_f64 v[120:121], v[120:121], v[96:97]
	v_add_f64 v[6:7], v[6:7], -v[94:95]
	v_fma_f64 v[120:121], v[122:123], v[118:119], v[120:121]
	v_add_f64 v[8:9], v[8:9], -v[120:121]
	ds_read2_b64 v[120:123], v220 offset0:50 offset1:51
	s_waitcnt lgkmcnt(0)
	v_mul_f64 v[94:95], v[122:123], v[96:97]
	v_fma_f64 v[94:95], v[120:121], v[118:119], -v[94:95]
	v_mul_f64 v[120:121], v[120:121], v[96:97]
	v_add_f64 v[2:3], v[2:3], -v[94:95]
	v_fma_f64 v[120:121], v[122:123], v[118:119], v[120:121]
	v_mov_b32_e32 v94, v118
	v_mov_b32_e32 v95, v119
	v_add_f64 v[4:5], v[4:5], -v[120:121]
.LBB51_28:
	s_or_b32 exec_lo, exec_lo, s1
	s_mov_b32 s2, exec_lo
	s_waitcnt lgkmcnt(0)
	s_barrier
	buffer_gl0_inv
	v_cmpx_eq_u32_e32 3, v0
	s_cbranch_execz .LBB51_35
; %bb.29:
	ds_write2_b64 v1, v[90:91], v[92:93] offset1:1
	ds_write2_b64 v220, v[86:87], v[88:89] offset0:8 offset1:9
	ds_write2_b64 v220, v[82:83], v[84:85] offset0:10 offset1:11
	;; [unrolled: 1-line block ×22, first 2 shown]
	ds_read2_b64 v[118:121], v1 offset1:1
	s_waitcnt lgkmcnt(0)
	v_cmp_neq_f64_e32 vcc_lo, 0, v[118:119]
	v_cmp_neq_f64_e64 s1, 0, v[120:121]
	s_or_b32 s1, vcc_lo, s1
	s_and_b32 exec_lo, exec_lo, s1
	s_cbranch_execz .LBB51_35
; %bb.30:
	v_cmp_ngt_f64_e64 s1, |v[118:119]|, |v[120:121]|
                                        ; implicit-def: $vgpr122_vgpr123
	s_and_saveexec_b32 s3, s1
	s_xor_b32 s1, exec_lo, s3
                                        ; implicit-def: $vgpr124_vgpr125
	s_cbranch_execz .LBB51_32
; %bb.31:
	v_div_scale_f64 v[122:123], null, v[120:121], v[120:121], v[118:119]
	v_div_scale_f64 v[128:129], vcc_lo, v[118:119], v[120:121], v[118:119]
	v_rcp_f64_e32 v[124:125], v[122:123]
	v_fma_f64 v[126:127], -v[122:123], v[124:125], 1.0
	v_fma_f64 v[124:125], v[124:125], v[126:127], v[124:125]
	v_fma_f64 v[126:127], -v[122:123], v[124:125], 1.0
	v_fma_f64 v[124:125], v[124:125], v[126:127], v[124:125]
	v_mul_f64 v[126:127], v[128:129], v[124:125]
	v_fma_f64 v[122:123], -v[122:123], v[126:127], v[128:129]
	v_div_fmas_f64 v[122:123], v[122:123], v[124:125], v[126:127]
	v_div_fixup_f64 v[122:123], v[122:123], v[120:121], v[118:119]
	v_fma_f64 v[118:119], v[118:119], v[122:123], v[120:121]
	v_div_scale_f64 v[120:121], null, v[118:119], v[118:119], 1.0
	v_rcp_f64_e32 v[124:125], v[120:121]
	v_fma_f64 v[126:127], -v[120:121], v[124:125], 1.0
	v_fma_f64 v[124:125], v[124:125], v[126:127], v[124:125]
	v_fma_f64 v[126:127], -v[120:121], v[124:125], 1.0
	v_fma_f64 v[124:125], v[124:125], v[126:127], v[124:125]
	v_div_scale_f64 v[126:127], vcc_lo, 1.0, v[118:119], 1.0
	v_mul_f64 v[128:129], v[126:127], v[124:125]
	v_fma_f64 v[120:121], -v[120:121], v[128:129], v[126:127]
	v_div_fmas_f64 v[120:121], v[120:121], v[124:125], v[128:129]
	v_div_fixup_f64 v[124:125], v[120:121], v[118:119], 1.0
                                        ; implicit-def: $vgpr118_vgpr119
	v_mul_f64 v[122:123], v[122:123], v[124:125]
	v_xor_b32_e32 v125, 0x80000000, v125
.LBB51_32:
	s_andn2_saveexec_b32 s1, s1
	s_cbranch_execz .LBB51_34
; %bb.33:
	v_div_scale_f64 v[122:123], null, v[118:119], v[118:119], v[120:121]
	v_div_scale_f64 v[128:129], vcc_lo, v[120:121], v[118:119], v[120:121]
	v_rcp_f64_e32 v[124:125], v[122:123]
	v_fma_f64 v[126:127], -v[122:123], v[124:125], 1.0
	v_fma_f64 v[124:125], v[124:125], v[126:127], v[124:125]
	v_fma_f64 v[126:127], -v[122:123], v[124:125], 1.0
	v_fma_f64 v[124:125], v[124:125], v[126:127], v[124:125]
	v_mul_f64 v[126:127], v[128:129], v[124:125]
	v_fma_f64 v[122:123], -v[122:123], v[126:127], v[128:129]
	v_div_fmas_f64 v[122:123], v[122:123], v[124:125], v[126:127]
	v_div_fixup_f64 v[124:125], v[122:123], v[118:119], v[120:121]
	v_fma_f64 v[118:119], v[120:121], v[124:125], v[118:119]
	v_div_scale_f64 v[120:121], null, v[118:119], v[118:119], 1.0
	v_rcp_f64_e32 v[122:123], v[120:121]
	v_fma_f64 v[126:127], -v[120:121], v[122:123], 1.0
	v_fma_f64 v[122:123], v[122:123], v[126:127], v[122:123]
	v_fma_f64 v[126:127], -v[120:121], v[122:123], 1.0
	v_fma_f64 v[122:123], v[122:123], v[126:127], v[122:123]
	v_div_scale_f64 v[126:127], vcc_lo, 1.0, v[118:119], 1.0
	v_mul_f64 v[128:129], v[126:127], v[122:123]
	v_fma_f64 v[120:121], -v[120:121], v[128:129], v[126:127]
	v_div_fmas_f64 v[120:121], v[120:121], v[122:123], v[128:129]
	v_div_fixup_f64 v[122:123], v[120:121], v[118:119], 1.0
	v_mul_f64 v[124:125], v[124:125], -v[122:123]
.LBB51_34:
	s_or_b32 exec_lo, exec_lo, s1
	ds_write2_b64 v1, v[122:123], v[124:125] offset1:1
.LBB51_35:
	s_or_b32 exec_lo, exec_lo, s2
	s_waitcnt lgkmcnt(0)
	s_barrier
	buffer_gl0_inv
	ds_read2_b64 v[118:121], v1 offset1:1
	s_mov_b32 s1, exec_lo
	v_cmpx_lt_u32_e32 3, v0
	s_cbranch_execz .LBB51_37
; %bb.36:
	s_waitcnt lgkmcnt(0)
	v_mul_f64 v[122:123], v[120:121], v[92:93]
	v_mul_f64 v[92:93], v[118:119], v[92:93]
	ds_read2_b64 v[124:127], v220 offset0:8 offset1:9
	v_fma_f64 v[122:123], v[118:119], v[90:91], -v[122:123]
	v_fma_f64 v[92:93], v[120:121], v[90:91], v[92:93]
	s_waitcnt lgkmcnt(0)
	v_mul_f64 v[90:91], v[126:127], v[92:93]
	v_fma_f64 v[90:91], v[124:125], v[122:123], -v[90:91]
	v_mul_f64 v[124:125], v[124:125], v[92:93]
	v_add_f64 v[86:87], v[86:87], -v[90:91]
	v_fma_f64 v[124:125], v[126:127], v[122:123], v[124:125]
	v_add_f64 v[88:89], v[88:89], -v[124:125]
	ds_read2_b64 v[124:127], v220 offset0:10 offset1:11
	s_waitcnt lgkmcnt(0)
	v_mul_f64 v[90:91], v[126:127], v[92:93]
	v_fma_f64 v[90:91], v[124:125], v[122:123], -v[90:91]
	v_mul_f64 v[124:125], v[124:125], v[92:93]
	v_add_f64 v[82:83], v[82:83], -v[90:91]
	v_fma_f64 v[124:125], v[126:127], v[122:123], v[124:125]
	v_add_f64 v[84:85], v[84:85], -v[124:125]
	ds_read2_b64 v[124:127], v220 offset0:12 offset1:13
	s_waitcnt lgkmcnt(0)
	v_mul_f64 v[90:91], v[126:127], v[92:93]
	v_fma_f64 v[90:91], v[124:125], v[122:123], -v[90:91]
	v_mul_f64 v[124:125], v[124:125], v[92:93]
	v_add_f64 v[78:79], v[78:79], -v[90:91]
	v_fma_f64 v[124:125], v[126:127], v[122:123], v[124:125]
	v_add_f64 v[80:81], v[80:81], -v[124:125]
	ds_read2_b64 v[124:127], v220 offset0:14 offset1:15
	s_waitcnt lgkmcnt(0)
	v_mul_f64 v[90:91], v[126:127], v[92:93]
	v_fma_f64 v[90:91], v[124:125], v[122:123], -v[90:91]
	v_mul_f64 v[124:125], v[124:125], v[92:93]
	v_add_f64 v[74:75], v[74:75], -v[90:91]
	v_fma_f64 v[124:125], v[126:127], v[122:123], v[124:125]
	v_add_f64 v[76:77], v[76:77], -v[124:125]
	ds_read2_b64 v[124:127], v220 offset0:16 offset1:17
	s_waitcnt lgkmcnt(0)
	v_mul_f64 v[90:91], v[126:127], v[92:93]
	v_fma_f64 v[90:91], v[124:125], v[122:123], -v[90:91]
	v_mul_f64 v[124:125], v[124:125], v[92:93]
	v_add_f64 v[70:71], v[70:71], -v[90:91]
	v_fma_f64 v[124:125], v[126:127], v[122:123], v[124:125]
	v_add_f64 v[72:73], v[72:73], -v[124:125]
	ds_read2_b64 v[124:127], v220 offset0:18 offset1:19
	s_waitcnt lgkmcnt(0)
	v_mul_f64 v[90:91], v[126:127], v[92:93]
	v_fma_f64 v[90:91], v[124:125], v[122:123], -v[90:91]
	v_mul_f64 v[124:125], v[124:125], v[92:93]
	v_add_f64 v[66:67], v[66:67], -v[90:91]
	v_fma_f64 v[124:125], v[126:127], v[122:123], v[124:125]
	v_add_f64 v[68:69], v[68:69], -v[124:125]
	ds_read2_b64 v[124:127], v220 offset0:20 offset1:21
	s_waitcnt lgkmcnt(0)
	v_mul_f64 v[90:91], v[126:127], v[92:93]
	v_fma_f64 v[90:91], v[124:125], v[122:123], -v[90:91]
	v_mul_f64 v[124:125], v[124:125], v[92:93]
	v_add_f64 v[62:63], v[62:63], -v[90:91]
	v_fma_f64 v[124:125], v[126:127], v[122:123], v[124:125]
	v_add_f64 v[64:65], v[64:65], -v[124:125]
	ds_read2_b64 v[124:127], v220 offset0:22 offset1:23
	s_waitcnt lgkmcnt(0)
	v_mul_f64 v[90:91], v[126:127], v[92:93]
	v_fma_f64 v[90:91], v[124:125], v[122:123], -v[90:91]
	v_mul_f64 v[124:125], v[124:125], v[92:93]
	v_add_f64 v[58:59], v[58:59], -v[90:91]
	v_fma_f64 v[124:125], v[126:127], v[122:123], v[124:125]
	v_add_f64 v[60:61], v[60:61], -v[124:125]
	ds_read2_b64 v[124:127], v220 offset0:24 offset1:25
	s_waitcnt lgkmcnt(0)
	v_mul_f64 v[90:91], v[126:127], v[92:93]
	v_fma_f64 v[90:91], v[124:125], v[122:123], -v[90:91]
	v_mul_f64 v[124:125], v[124:125], v[92:93]
	v_add_f64 v[54:55], v[54:55], -v[90:91]
	v_fma_f64 v[124:125], v[126:127], v[122:123], v[124:125]
	v_add_f64 v[56:57], v[56:57], -v[124:125]
	ds_read2_b64 v[124:127], v220 offset0:26 offset1:27
	s_waitcnt lgkmcnt(0)
	v_mul_f64 v[90:91], v[126:127], v[92:93]
	v_fma_f64 v[90:91], v[124:125], v[122:123], -v[90:91]
	v_mul_f64 v[124:125], v[124:125], v[92:93]
	v_add_f64 v[50:51], v[50:51], -v[90:91]
	v_fma_f64 v[124:125], v[126:127], v[122:123], v[124:125]
	v_add_f64 v[52:53], v[52:53], -v[124:125]
	ds_read2_b64 v[124:127], v220 offset0:28 offset1:29
	s_waitcnt lgkmcnt(0)
	v_mul_f64 v[90:91], v[126:127], v[92:93]
	v_fma_f64 v[90:91], v[124:125], v[122:123], -v[90:91]
	v_mul_f64 v[124:125], v[124:125], v[92:93]
	v_add_f64 v[46:47], v[46:47], -v[90:91]
	v_fma_f64 v[124:125], v[126:127], v[122:123], v[124:125]
	v_add_f64 v[48:49], v[48:49], -v[124:125]
	ds_read2_b64 v[124:127], v220 offset0:30 offset1:31
	s_waitcnt lgkmcnt(0)
	v_mul_f64 v[90:91], v[126:127], v[92:93]
	v_fma_f64 v[90:91], v[124:125], v[122:123], -v[90:91]
	v_mul_f64 v[124:125], v[124:125], v[92:93]
	v_add_f64 v[42:43], v[42:43], -v[90:91]
	v_fma_f64 v[124:125], v[126:127], v[122:123], v[124:125]
	v_add_f64 v[44:45], v[44:45], -v[124:125]
	ds_read2_b64 v[124:127], v220 offset0:32 offset1:33
	s_waitcnt lgkmcnt(0)
	v_mul_f64 v[90:91], v[126:127], v[92:93]
	v_fma_f64 v[90:91], v[124:125], v[122:123], -v[90:91]
	v_mul_f64 v[124:125], v[124:125], v[92:93]
	v_add_f64 v[38:39], v[38:39], -v[90:91]
	v_fma_f64 v[124:125], v[126:127], v[122:123], v[124:125]
	v_add_f64 v[40:41], v[40:41], -v[124:125]
	ds_read2_b64 v[124:127], v220 offset0:34 offset1:35
	s_waitcnt lgkmcnt(0)
	v_mul_f64 v[90:91], v[126:127], v[92:93]
	v_fma_f64 v[90:91], v[124:125], v[122:123], -v[90:91]
	v_mul_f64 v[124:125], v[124:125], v[92:93]
	v_add_f64 v[34:35], v[34:35], -v[90:91]
	v_fma_f64 v[124:125], v[126:127], v[122:123], v[124:125]
	v_add_f64 v[36:37], v[36:37], -v[124:125]
	ds_read2_b64 v[124:127], v220 offset0:36 offset1:37
	s_waitcnt lgkmcnt(0)
	v_mul_f64 v[90:91], v[126:127], v[92:93]
	v_fma_f64 v[90:91], v[124:125], v[122:123], -v[90:91]
	v_mul_f64 v[124:125], v[124:125], v[92:93]
	v_add_f64 v[30:31], v[30:31], -v[90:91]
	v_fma_f64 v[124:125], v[126:127], v[122:123], v[124:125]
	v_add_f64 v[32:33], v[32:33], -v[124:125]
	ds_read2_b64 v[124:127], v220 offset0:38 offset1:39
	s_waitcnt lgkmcnt(0)
	v_mul_f64 v[90:91], v[126:127], v[92:93]
	v_fma_f64 v[90:91], v[124:125], v[122:123], -v[90:91]
	v_mul_f64 v[124:125], v[124:125], v[92:93]
	v_add_f64 v[26:27], v[26:27], -v[90:91]
	v_fma_f64 v[124:125], v[126:127], v[122:123], v[124:125]
	v_add_f64 v[28:29], v[28:29], -v[124:125]
	ds_read2_b64 v[124:127], v220 offset0:40 offset1:41
	s_waitcnt lgkmcnt(0)
	v_mul_f64 v[90:91], v[126:127], v[92:93]
	v_fma_f64 v[90:91], v[124:125], v[122:123], -v[90:91]
	v_mul_f64 v[124:125], v[124:125], v[92:93]
	v_add_f64 v[22:23], v[22:23], -v[90:91]
	v_fma_f64 v[124:125], v[126:127], v[122:123], v[124:125]
	v_add_f64 v[24:25], v[24:25], -v[124:125]
	ds_read2_b64 v[124:127], v220 offset0:42 offset1:43
	s_waitcnt lgkmcnt(0)
	v_mul_f64 v[90:91], v[126:127], v[92:93]
	v_fma_f64 v[90:91], v[124:125], v[122:123], -v[90:91]
	v_mul_f64 v[124:125], v[124:125], v[92:93]
	v_add_f64 v[18:19], v[18:19], -v[90:91]
	v_fma_f64 v[124:125], v[126:127], v[122:123], v[124:125]
	v_add_f64 v[20:21], v[20:21], -v[124:125]
	ds_read2_b64 v[124:127], v220 offset0:44 offset1:45
	s_waitcnt lgkmcnt(0)
	v_mul_f64 v[90:91], v[126:127], v[92:93]
	v_fma_f64 v[90:91], v[124:125], v[122:123], -v[90:91]
	v_mul_f64 v[124:125], v[124:125], v[92:93]
	v_add_f64 v[14:15], v[14:15], -v[90:91]
	v_fma_f64 v[124:125], v[126:127], v[122:123], v[124:125]
	v_add_f64 v[16:17], v[16:17], -v[124:125]
	ds_read2_b64 v[124:127], v220 offset0:46 offset1:47
	s_waitcnt lgkmcnt(0)
	v_mul_f64 v[90:91], v[126:127], v[92:93]
	v_fma_f64 v[90:91], v[124:125], v[122:123], -v[90:91]
	v_mul_f64 v[124:125], v[124:125], v[92:93]
	v_add_f64 v[10:11], v[10:11], -v[90:91]
	v_fma_f64 v[124:125], v[126:127], v[122:123], v[124:125]
	v_add_f64 v[12:13], v[12:13], -v[124:125]
	ds_read2_b64 v[124:127], v220 offset0:48 offset1:49
	s_waitcnt lgkmcnt(0)
	v_mul_f64 v[90:91], v[126:127], v[92:93]
	v_fma_f64 v[90:91], v[124:125], v[122:123], -v[90:91]
	v_mul_f64 v[124:125], v[124:125], v[92:93]
	v_add_f64 v[6:7], v[6:7], -v[90:91]
	v_fma_f64 v[124:125], v[126:127], v[122:123], v[124:125]
	v_add_f64 v[8:9], v[8:9], -v[124:125]
	ds_read2_b64 v[124:127], v220 offset0:50 offset1:51
	s_waitcnt lgkmcnt(0)
	v_mul_f64 v[90:91], v[126:127], v[92:93]
	v_fma_f64 v[90:91], v[124:125], v[122:123], -v[90:91]
	v_mul_f64 v[124:125], v[124:125], v[92:93]
	v_add_f64 v[2:3], v[2:3], -v[90:91]
	v_fma_f64 v[124:125], v[126:127], v[122:123], v[124:125]
	v_mov_b32_e32 v90, v122
	v_mov_b32_e32 v91, v123
	v_add_f64 v[4:5], v[4:5], -v[124:125]
.LBB51_37:
	s_or_b32 exec_lo, exec_lo, s1
	s_mov_b32 s2, exec_lo
	s_waitcnt lgkmcnt(0)
	s_barrier
	buffer_gl0_inv
	v_cmpx_eq_u32_e32 4, v0
	s_cbranch_execz .LBB51_44
; %bb.38:
	ds_write2_b64 v1, v[86:87], v[88:89] offset1:1
	ds_write2_b64 v220, v[82:83], v[84:85] offset0:10 offset1:11
	ds_write2_b64 v220, v[78:79], v[80:81] offset0:12 offset1:13
	;; [unrolled: 1-line block ×21, first 2 shown]
	ds_read2_b64 v[122:125], v1 offset1:1
	s_waitcnt lgkmcnt(0)
	v_cmp_neq_f64_e32 vcc_lo, 0, v[122:123]
	v_cmp_neq_f64_e64 s1, 0, v[124:125]
	s_or_b32 s1, vcc_lo, s1
	s_and_b32 exec_lo, exec_lo, s1
	s_cbranch_execz .LBB51_44
; %bb.39:
	v_cmp_ngt_f64_e64 s1, |v[122:123]|, |v[124:125]|
                                        ; implicit-def: $vgpr126_vgpr127
	s_and_saveexec_b32 s3, s1
	s_xor_b32 s1, exec_lo, s3
                                        ; implicit-def: $vgpr128_vgpr129
	s_cbranch_execz .LBB51_41
; %bb.40:
	v_div_scale_f64 v[126:127], null, v[124:125], v[124:125], v[122:123]
	v_div_scale_f64 v[132:133], vcc_lo, v[122:123], v[124:125], v[122:123]
	v_rcp_f64_e32 v[128:129], v[126:127]
	v_fma_f64 v[130:131], -v[126:127], v[128:129], 1.0
	v_fma_f64 v[128:129], v[128:129], v[130:131], v[128:129]
	v_fma_f64 v[130:131], -v[126:127], v[128:129], 1.0
	v_fma_f64 v[128:129], v[128:129], v[130:131], v[128:129]
	v_mul_f64 v[130:131], v[132:133], v[128:129]
	v_fma_f64 v[126:127], -v[126:127], v[130:131], v[132:133]
	v_div_fmas_f64 v[126:127], v[126:127], v[128:129], v[130:131]
	v_div_fixup_f64 v[126:127], v[126:127], v[124:125], v[122:123]
	v_fma_f64 v[122:123], v[122:123], v[126:127], v[124:125]
	v_div_scale_f64 v[124:125], null, v[122:123], v[122:123], 1.0
	v_rcp_f64_e32 v[128:129], v[124:125]
	v_fma_f64 v[130:131], -v[124:125], v[128:129], 1.0
	v_fma_f64 v[128:129], v[128:129], v[130:131], v[128:129]
	v_fma_f64 v[130:131], -v[124:125], v[128:129], 1.0
	v_fma_f64 v[128:129], v[128:129], v[130:131], v[128:129]
	v_div_scale_f64 v[130:131], vcc_lo, 1.0, v[122:123], 1.0
	v_mul_f64 v[132:133], v[130:131], v[128:129]
	v_fma_f64 v[124:125], -v[124:125], v[132:133], v[130:131]
	v_div_fmas_f64 v[124:125], v[124:125], v[128:129], v[132:133]
	v_div_fixup_f64 v[128:129], v[124:125], v[122:123], 1.0
                                        ; implicit-def: $vgpr122_vgpr123
	v_mul_f64 v[126:127], v[126:127], v[128:129]
	v_xor_b32_e32 v129, 0x80000000, v129
.LBB51_41:
	s_andn2_saveexec_b32 s1, s1
	s_cbranch_execz .LBB51_43
; %bb.42:
	v_div_scale_f64 v[126:127], null, v[122:123], v[122:123], v[124:125]
	v_div_scale_f64 v[132:133], vcc_lo, v[124:125], v[122:123], v[124:125]
	v_rcp_f64_e32 v[128:129], v[126:127]
	v_fma_f64 v[130:131], -v[126:127], v[128:129], 1.0
	v_fma_f64 v[128:129], v[128:129], v[130:131], v[128:129]
	v_fma_f64 v[130:131], -v[126:127], v[128:129], 1.0
	v_fma_f64 v[128:129], v[128:129], v[130:131], v[128:129]
	v_mul_f64 v[130:131], v[132:133], v[128:129]
	v_fma_f64 v[126:127], -v[126:127], v[130:131], v[132:133]
	v_div_fmas_f64 v[126:127], v[126:127], v[128:129], v[130:131]
	v_div_fixup_f64 v[128:129], v[126:127], v[122:123], v[124:125]
	v_fma_f64 v[122:123], v[124:125], v[128:129], v[122:123]
	v_div_scale_f64 v[124:125], null, v[122:123], v[122:123], 1.0
	v_rcp_f64_e32 v[126:127], v[124:125]
	v_fma_f64 v[130:131], -v[124:125], v[126:127], 1.0
	v_fma_f64 v[126:127], v[126:127], v[130:131], v[126:127]
	v_fma_f64 v[130:131], -v[124:125], v[126:127], 1.0
	v_fma_f64 v[126:127], v[126:127], v[130:131], v[126:127]
	v_div_scale_f64 v[130:131], vcc_lo, 1.0, v[122:123], 1.0
	v_mul_f64 v[132:133], v[130:131], v[126:127]
	v_fma_f64 v[124:125], -v[124:125], v[132:133], v[130:131]
	v_div_fmas_f64 v[124:125], v[124:125], v[126:127], v[132:133]
	v_div_fixup_f64 v[126:127], v[124:125], v[122:123], 1.0
	v_mul_f64 v[128:129], v[128:129], -v[126:127]
.LBB51_43:
	s_or_b32 exec_lo, exec_lo, s1
	ds_write2_b64 v1, v[126:127], v[128:129] offset1:1
.LBB51_44:
	s_or_b32 exec_lo, exec_lo, s2
	s_waitcnt lgkmcnt(0)
	s_barrier
	buffer_gl0_inv
	ds_read2_b64 v[122:125], v1 offset1:1
	s_mov_b32 s1, exec_lo
	v_cmpx_lt_u32_e32 4, v0
	s_cbranch_execz .LBB51_46
; %bb.45:
	s_waitcnt lgkmcnt(0)
	v_mul_f64 v[126:127], v[124:125], v[88:89]
	v_mul_f64 v[88:89], v[122:123], v[88:89]
	ds_read2_b64 v[128:131], v220 offset0:10 offset1:11
	v_fma_f64 v[126:127], v[122:123], v[86:87], -v[126:127]
	v_fma_f64 v[88:89], v[124:125], v[86:87], v[88:89]
	s_waitcnt lgkmcnt(0)
	v_mul_f64 v[86:87], v[130:131], v[88:89]
	v_fma_f64 v[86:87], v[128:129], v[126:127], -v[86:87]
	v_mul_f64 v[128:129], v[128:129], v[88:89]
	v_add_f64 v[82:83], v[82:83], -v[86:87]
	v_fma_f64 v[128:129], v[130:131], v[126:127], v[128:129]
	v_add_f64 v[84:85], v[84:85], -v[128:129]
	ds_read2_b64 v[128:131], v220 offset0:12 offset1:13
	s_waitcnt lgkmcnt(0)
	v_mul_f64 v[86:87], v[130:131], v[88:89]
	v_fma_f64 v[86:87], v[128:129], v[126:127], -v[86:87]
	v_mul_f64 v[128:129], v[128:129], v[88:89]
	v_add_f64 v[78:79], v[78:79], -v[86:87]
	v_fma_f64 v[128:129], v[130:131], v[126:127], v[128:129]
	v_add_f64 v[80:81], v[80:81], -v[128:129]
	ds_read2_b64 v[128:131], v220 offset0:14 offset1:15
	;; [unrolled: 8-line block ×20, first 2 shown]
	s_waitcnt lgkmcnt(0)
	v_mul_f64 v[86:87], v[130:131], v[88:89]
	v_fma_f64 v[86:87], v[128:129], v[126:127], -v[86:87]
	v_mul_f64 v[128:129], v[128:129], v[88:89]
	v_add_f64 v[2:3], v[2:3], -v[86:87]
	v_fma_f64 v[128:129], v[130:131], v[126:127], v[128:129]
	v_mov_b32_e32 v86, v126
	v_mov_b32_e32 v87, v127
	v_add_f64 v[4:5], v[4:5], -v[128:129]
.LBB51_46:
	s_or_b32 exec_lo, exec_lo, s1
	s_mov_b32 s2, exec_lo
	s_waitcnt lgkmcnt(0)
	s_barrier
	buffer_gl0_inv
	v_cmpx_eq_u32_e32 5, v0
	s_cbranch_execz .LBB51_53
; %bb.47:
	ds_write2_b64 v1, v[82:83], v[84:85] offset1:1
	ds_write2_b64 v220, v[78:79], v[80:81] offset0:12 offset1:13
	ds_write2_b64 v220, v[74:75], v[76:77] offset0:14 offset1:15
	;; [unrolled: 1-line block ×20, first 2 shown]
	ds_read2_b64 v[126:129], v1 offset1:1
	s_waitcnt lgkmcnt(0)
	v_cmp_neq_f64_e32 vcc_lo, 0, v[126:127]
	v_cmp_neq_f64_e64 s1, 0, v[128:129]
	s_or_b32 s1, vcc_lo, s1
	s_and_b32 exec_lo, exec_lo, s1
	s_cbranch_execz .LBB51_53
; %bb.48:
	v_cmp_ngt_f64_e64 s1, |v[126:127]|, |v[128:129]|
                                        ; implicit-def: $vgpr130_vgpr131
	s_and_saveexec_b32 s3, s1
	s_xor_b32 s1, exec_lo, s3
                                        ; implicit-def: $vgpr132_vgpr133
	s_cbranch_execz .LBB51_50
; %bb.49:
	v_div_scale_f64 v[130:131], null, v[128:129], v[128:129], v[126:127]
	v_div_scale_f64 v[136:137], vcc_lo, v[126:127], v[128:129], v[126:127]
	v_rcp_f64_e32 v[132:133], v[130:131]
	v_fma_f64 v[134:135], -v[130:131], v[132:133], 1.0
	v_fma_f64 v[132:133], v[132:133], v[134:135], v[132:133]
	v_fma_f64 v[134:135], -v[130:131], v[132:133], 1.0
	v_fma_f64 v[132:133], v[132:133], v[134:135], v[132:133]
	v_mul_f64 v[134:135], v[136:137], v[132:133]
	v_fma_f64 v[130:131], -v[130:131], v[134:135], v[136:137]
	v_div_fmas_f64 v[130:131], v[130:131], v[132:133], v[134:135]
	v_div_fixup_f64 v[130:131], v[130:131], v[128:129], v[126:127]
	v_fma_f64 v[126:127], v[126:127], v[130:131], v[128:129]
	v_div_scale_f64 v[128:129], null, v[126:127], v[126:127], 1.0
	v_rcp_f64_e32 v[132:133], v[128:129]
	v_fma_f64 v[134:135], -v[128:129], v[132:133], 1.0
	v_fma_f64 v[132:133], v[132:133], v[134:135], v[132:133]
	v_fma_f64 v[134:135], -v[128:129], v[132:133], 1.0
	v_fma_f64 v[132:133], v[132:133], v[134:135], v[132:133]
	v_div_scale_f64 v[134:135], vcc_lo, 1.0, v[126:127], 1.0
	v_mul_f64 v[136:137], v[134:135], v[132:133]
	v_fma_f64 v[128:129], -v[128:129], v[136:137], v[134:135]
	v_div_fmas_f64 v[128:129], v[128:129], v[132:133], v[136:137]
	v_div_fixup_f64 v[132:133], v[128:129], v[126:127], 1.0
                                        ; implicit-def: $vgpr126_vgpr127
	v_mul_f64 v[130:131], v[130:131], v[132:133]
	v_xor_b32_e32 v133, 0x80000000, v133
.LBB51_50:
	s_andn2_saveexec_b32 s1, s1
	s_cbranch_execz .LBB51_52
; %bb.51:
	v_div_scale_f64 v[130:131], null, v[126:127], v[126:127], v[128:129]
	v_div_scale_f64 v[136:137], vcc_lo, v[128:129], v[126:127], v[128:129]
	v_rcp_f64_e32 v[132:133], v[130:131]
	v_fma_f64 v[134:135], -v[130:131], v[132:133], 1.0
	v_fma_f64 v[132:133], v[132:133], v[134:135], v[132:133]
	v_fma_f64 v[134:135], -v[130:131], v[132:133], 1.0
	v_fma_f64 v[132:133], v[132:133], v[134:135], v[132:133]
	v_mul_f64 v[134:135], v[136:137], v[132:133]
	v_fma_f64 v[130:131], -v[130:131], v[134:135], v[136:137]
	v_div_fmas_f64 v[130:131], v[130:131], v[132:133], v[134:135]
	v_div_fixup_f64 v[132:133], v[130:131], v[126:127], v[128:129]
	v_fma_f64 v[126:127], v[128:129], v[132:133], v[126:127]
	v_div_scale_f64 v[128:129], null, v[126:127], v[126:127], 1.0
	v_rcp_f64_e32 v[130:131], v[128:129]
	v_fma_f64 v[134:135], -v[128:129], v[130:131], 1.0
	v_fma_f64 v[130:131], v[130:131], v[134:135], v[130:131]
	v_fma_f64 v[134:135], -v[128:129], v[130:131], 1.0
	v_fma_f64 v[130:131], v[130:131], v[134:135], v[130:131]
	v_div_scale_f64 v[134:135], vcc_lo, 1.0, v[126:127], 1.0
	v_mul_f64 v[136:137], v[134:135], v[130:131]
	v_fma_f64 v[128:129], -v[128:129], v[136:137], v[134:135]
	v_div_fmas_f64 v[128:129], v[128:129], v[130:131], v[136:137]
	v_div_fixup_f64 v[130:131], v[128:129], v[126:127], 1.0
	v_mul_f64 v[132:133], v[132:133], -v[130:131]
.LBB51_52:
	s_or_b32 exec_lo, exec_lo, s1
	ds_write2_b64 v1, v[130:131], v[132:133] offset1:1
.LBB51_53:
	s_or_b32 exec_lo, exec_lo, s2
	s_waitcnt lgkmcnt(0)
	s_barrier
	buffer_gl0_inv
	ds_read2_b64 v[126:129], v1 offset1:1
	s_mov_b32 s1, exec_lo
	v_cmpx_lt_u32_e32 5, v0
	s_cbranch_execz .LBB51_55
; %bb.54:
	s_waitcnt lgkmcnt(0)
	v_mul_f64 v[130:131], v[128:129], v[84:85]
	v_mul_f64 v[84:85], v[126:127], v[84:85]
	ds_read2_b64 v[132:135], v220 offset0:12 offset1:13
	v_fma_f64 v[130:131], v[126:127], v[82:83], -v[130:131]
	v_fma_f64 v[84:85], v[128:129], v[82:83], v[84:85]
	s_waitcnt lgkmcnt(0)
	v_mul_f64 v[82:83], v[134:135], v[84:85]
	v_fma_f64 v[82:83], v[132:133], v[130:131], -v[82:83]
	v_mul_f64 v[132:133], v[132:133], v[84:85]
	v_add_f64 v[78:79], v[78:79], -v[82:83]
	v_fma_f64 v[132:133], v[134:135], v[130:131], v[132:133]
	v_add_f64 v[80:81], v[80:81], -v[132:133]
	ds_read2_b64 v[132:135], v220 offset0:14 offset1:15
	s_waitcnt lgkmcnt(0)
	v_mul_f64 v[82:83], v[134:135], v[84:85]
	v_fma_f64 v[82:83], v[132:133], v[130:131], -v[82:83]
	v_mul_f64 v[132:133], v[132:133], v[84:85]
	v_add_f64 v[74:75], v[74:75], -v[82:83]
	v_fma_f64 v[132:133], v[134:135], v[130:131], v[132:133]
	v_add_f64 v[76:77], v[76:77], -v[132:133]
	ds_read2_b64 v[132:135], v220 offset0:16 offset1:17
	;; [unrolled: 8-line block ×19, first 2 shown]
	s_waitcnt lgkmcnt(0)
	v_mul_f64 v[82:83], v[134:135], v[84:85]
	v_fma_f64 v[82:83], v[132:133], v[130:131], -v[82:83]
	v_mul_f64 v[132:133], v[132:133], v[84:85]
	v_add_f64 v[2:3], v[2:3], -v[82:83]
	v_fma_f64 v[132:133], v[134:135], v[130:131], v[132:133]
	v_mov_b32_e32 v82, v130
	v_mov_b32_e32 v83, v131
	v_add_f64 v[4:5], v[4:5], -v[132:133]
.LBB51_55:
	s_or_b32 exec_lo, exec_lo, s1
	s_mov_b32 s2, exec_lo
	s_waitcnt lgkmcnt(0)
	s_barrier
	buffer_gl0_inv
	v_cmpx_eq_u32_e32 6, v0
	s_cbranch_execz .LBB51_62
; %bb.56:
	ds_write2_b64 v1, v[78:79], v[80:81] offset1:1
	ds_write2_b64 v220, v[74:75], v[76:77] offset0:14 offset1:15
	ds_write2_b64 v220, v[70:71], v[72:73] offset0:16 offset1:17
	ds_write2_b64 v220, v[66:67], v[68:69] offset0:18 offset1:19
	ds_write2_b64 v220, v[62:63], v[64:65] offset0:20 offset1:21
	ds_write2_b64 v220, v[58:59], v[60:61] offset0:22 offset1:23
	ds_write2_b64 v220, v[54:55], v[56:57] offset0:24 offset1:25
	ds_write2_b64 v220, v[50:51], v[52:53] offset0:26 offset1:27
	ds_write2_b64 v220, v[46:47], v[48:49] offset0:28 offset1:29
	ds_write2_b64 v220, v[42:43], v[44:45] offset0:30 offset1:31
	ds_write2_b64 v220, v[38:39], v[40:41] offset0:32 offset1:33
	ds_write2_b64 v220, v[34:35], v[36:37] offset0:34 offset1:35
	ds_write2_b64 v220, v[30:31], v[32:33] offset0:36 offset1:37
	ds_write2_b64 v220, v[26:27], v[28:29] offset0:38 offset1:39
	ds_write2_b64 v220, v[22:23], v[24:25] offset0:40 offset1:41
	ds_write2_b64 v220, v[18:19], v[20:21] offset0:42 offset1:43
	ds_write2_b64 v220, v[14:15], v[16:17] offset0:44 offset1:45
	ds_write2_b64 v220, v[10:11], v[12:13] offset0:46 offset1:47
	ds_write2_b64 v220, v[6:7], v[8:9] offset0:48 offset1:49
	ds_write2_b64 v220, v[2:3], v[4:5] offset0:50 offset1:51
	ds_read2_b64 v[130:133], v1 offset1:1
	s_waitcnt lgkmcnt(0)
	v_cmp_neq_f64_e32 vcc_lo, 0, v[130:131]
	v_cmp_neq_f64_e64 s1, 0, v[132:133]
	s_or_b32 s1, vcc_lo, s1
	s_and_b32 exec_lo, exec_lo, s1
	s_cbranch_execz .LBB51_62
; %bb.57:
	v_cmp_ngt_f64_e64 s1, |v[130:131]|, |v[132:133]|
                                        ; implicit-def: $vgpr134_vgpr135
	s_and_saveexec_b32 s3, s1
	s_xor_b32 s1, exec_lo, s3
                                        ; implicit-def: $vgpr136_vgpr137
	s_cbranch_execz .LBB51_59
; %bb.58:
	v_div_scale_f64 v[134:135], null, v[132:133], v[132:133], v[130:131]
	v_div_scale_f64 v[140:141], vcc_lo, v[130:131], v[132:133], v[130:131]
	v_rcp_f64_e32 v[136:137], v[134:135]
	v_fma_f64 v[138:139], -v[134:135], v[136:137], 1.0
	v_fma_f64 v[136:137], v[136:137], v[138:139], v[136:137]
	v_fma_f64 v[138:139], -v[134:135], v[136:137], 1.0
	v_fma_f64 v[136:137], v[136:137], v[138:139], v[136:137]
	v_mul_f64 v[138:139], v[140:141], v[136:137]
	v_fma_f64 v[134:135], -v[134:135], v[138:139], v[140:141]
	v_div_fmas_f64 v[134:135], v[134:135], v[136:137], v[138:139]
	v_div_fixup_f64 v[134:135], v[134:135], v[132:133], v[130:131]
	v_fma_f64 v[130:131], v[130:131], v[134:135], v[132:133]
	v_div_scale_f64 v[132:133], null, v[130:131], v[130:131], 1.0
	v_rcp_f64_e32 v[136:137], v[132:133]
	v_fma_f64 v[138:139], -v[132:133], v[136:137], 1.0
	v_fma_f64 v[136:137], v[136:137], v[138:139], v[136:137]
	v_fma_f64 v[138:139], -v[132:133], v[136:137], 1.0
	v_fma_f64 v[136:137], v[136:137], v[138:139], v[136:137]
	v_div_scale_f64 v[138:139], vcc_lo, 1.0, v[130:131], 1.0
	v_mul_f64 v[140:141], v[138:139], v[136:137]
	v_fma_f64 v[132:133], -v[132:133], v[140:141], v[138:139]
	v_div_fmas_f64 v[132:133], v[132:133], v[136:137], v[140:141]
	v_div_fixup_f64 v[136:137], v[132:133], v[130:131], 1.0
                                        ; implicit-def: $vgpr130_vgpr131
	v_mul_f64 v[134:135], v[134:135], v[136:137]
	v_xor_b32_e32 v137, 0x80000000, v137
.LBB51_59:
	s_andn2_saveexec_b32 s1, s1
	s_cbranch_execz .LBB51_61
; %bb.60:
	v_div_scale_f64 v[134:135], null, v[130:131], v[130:131], v[132:133]
	v_div_scale_f64 v[140:141], vcc_lo, v[132:133], v[130:131], v[132:133]
	v_rcp_f64_e32 v[136:137], v[134:135]
	v_fma_f64 v[138:139], -v[134:135], v[136:137], 1.0
	v_fma_f64 v[136:137], v[136:137], v[138:139], v[136:137]
	v_fma_f64 v[138:139], -v[134:135], v[136:137], 1.0
	v_fma_f64 v[136:137], v[136:137], v[138:139], v[136:137]
	v_mul_f64 v[138:139], v[140:141], v[136:137]
	v_fma_f64 v[134:135], -v[134:135], v[138:139], v[140:141]
	v_div_fmas_f64 v[134:135], v[134:135], v[136:137], v[138:139]
	v_div_fixup_f64 v[136:137], v[134:135], v[130:131], v[132:133]
	v_fma_f64 v[130:131], v[132:133], v[136:137], v[130:131]
	v_div_scale_f64 v[132:133], null, v[130:131], v[130:131], 1.0
	v_rcp_f64_e32 v[134:135], v[132:133]
	v_fma_f64 v[138:139], -v[132:133], v[134:135], 1.0
	v_fma_f64 v[134:135], v[134:135], v[138:139], v[134:135]
	v_fma_f64 v[138:139], -v[132:133], v[134:135], 1.0
	v_fma_f64 v[134:135], v[134:135], v[138:139], v[134:135]
	v_div_scale_f64 v[138:139], vcc_lo, 1.0, v[130:131], 1.0
	v_mul_f64 v[140:141], v[138:139], v[134:135]
	v_fma_f64 v[132:133], -v[132:133], v[140:141], v[138:139]
	v_div_fmas_f64 v[132:133], v[132:133], v[134:135], v[140:141]
	v_div_fixup_f64 v[134:135], v[132:133], v[130:131], 1.0
	v_mul_f64 v[136:137], v[136:137], -v[134:135]
.LBB51_61:
	s_or_b32 exec_lo, exec_lo, s1
	ds_write2_b64 v1, v[134:135], v[136:137] offset1:1
.LBB51_62:
	s_or_b32 exec_lo, exec_lo, s2
	s_waitcnt lgkmcnt(0)
	s_barrier
	buffer_gl0_inv
	ds_read2_b64 v[130:133], v1 offset1:1
	s_mov_b32 s1, exec_lo
	v_cmpx_lt_u32_e32 6, v0
	s_cbranch_execz .LBB51_64
; %bb.63:
	s_waitcnt lgkmcnt(0)
	v_mul_f64 v[134:135], v[132:133], v[80:81]
	v_mul_f64 v[80:81], v[130:131], v[80:81]
	ds_read2_b64 v[136:139], v220 offset0:14 offset1:15
	v_fma_f64 v[134:135], v[130:131], v[78:79], -v[134:135]
	v_fma_f64 v[80:81], v[132:133], v[78:79], v[80:81]
	s_waitcnt lgkmcnt(0)
	v_mul_f64 v[78:79], v[138:139], v[80:81]
	v_fma_f64 v[78:79], v[136:137], v[134:135], -v[78:79]
	v_mul_f64 v[136:137], v[136:137], v[80:81]
	v_add_f64 v[74:75], v[74:75], -v[78:79]
	v_fma_f64 v[136:137], v[138:139], v[134:135], v[136:137]
	v_add_f64 v[76:77], v[76:77], -v[136:137]
	ds_read2_b64 v[136:139], v220 offset0:16 offset1:17
	s_waitcnt lgkmcnt(0)
	v_mul_f64 v[78:79], v[138:139], v[80:81]
	v_fma_f64 v[78:79], v[136:137], v[134:135], -v[78:79]
	v_mul_f64 v[136:137], v[136:137], v[80:81]
	v_add_f64 v[70:71], v[70:71], -v[78:79]
	v_fma_f64 v[136:137], v[138:139], v[134:135], v[136:137]
	v_add_f64 v[72:73], v[72:73], -v[136:137]
	ds_read2_b64 v[136:139], v220 offset0:18 offset1:19
	;; [unrolled: 8-line block ×18, first 2 shown]
	s_waitcnt lgkmcnt(0)
	v_mul_f64 v[78:79], v[138:139], v[80:81]
	v_fma_f64 v[78:79], v[136:137], v[134:135], -v[78:79]
	v_mul_f64 v[136:137], v[136:137], v[80:81]
	v_add_f64 v[2:3], v[2:3], -v[78:79]
	v_fma_f64 v[136:137], v[138:139], v[134:135], v[136:137]
	v_mov_b32_e32 v78, v134
	v_mov_b32_e32 v79, v135
	v_add_f64 v[4:5], v[4:5], -v[136:137]
.LBB51_64:
	s_or_b32 exec_lo, exec_lo, s1
	s_mov_b32 s2, exec_lo
	s_waitcnt lgkmcnt(0)
	s_barrier
	buffer_gl0_inv
	v_cmpx_eq_u32_e32 7, v0
	s_cbranch_execz .LBB51_71
; %bb.65:
	ds_write2_b64 v1, v[74:75], v[76:77] offset1:1
	ds_write2_b64 v220, v[70:71], v[72:73] offset0:16 offset1:17
	ds_write2_b64 v220, v[66:67], v[68:69] offset0:18 offset1:19
	;; [unrolled: 1-line block ×18, first 2 shown]
	ds_read2_b64 v[134:137], v1 offset1:1
	s_waitcnt lgkmcnt(0)
	v_cmp_neq_f64_e32 vcc_lo, 0, v[134:135]
	v_cmp_neq_f64_e64 s1, 0, v[136:137]
	s_or_b32 s1, vcc_lo, s1
	s_and_b32 exec_lo, exec_lo, s1
	s_cbranch_execz .LBB51_71
; %bb.66:
	v_cmp_ngt_f64_e64 s1, |v[134:135]|, |v[136:137]|
                                        ; implicit-def: $vgpr138_vgpr139
	s_and_saveexec_b32 s3, s1
	s_xor_b32 s1, exec_lo, s3
                                        ; implicit-def: $vgpr140_vgpr141
	s_cbranch_execz .LBB51_68
; %bb.67:
	v_div_scale_f64 v[138:139], null, v[136:137], v[136:137], v[134:135]
	v_div_scale_f64 v[144:145], vcc_lo, v[134:135], v[136:137], v[134:135]
	v_rcp_f64_e32 v[140:141], v[138:139]
	v_fma_f64 v[142:143], -v[138:139], v[140:141], 1.0
	v_fma_f64 v[140:141], v[140:141], v[142:143], v[140:141]
	v_fma_f64 v[142:143], -v[138:139], v[140:141], 1.0
	v_fma_f64 v[140:141], v[140:141], v[142:143], v[140:141]
	v_mul_f64 v[142:143], v[144:145], v[140:141]
	v_fma_f64 v[138:139], -v[138:139], v[142:143], v[144:145]
	v_div_fmas_f64 v[138:139], v[138:139], v[140:141], v[142:143]
	v_div_fixup_f64 v[138:139], v[138:139], v[136:137], v[134:135]
	v_fma_f64 v[134:135], v[134:135], v[138:139], v[136:137]
	v_div_scale_f64 v[136:137], null, v[134:135], v[134:135], 1.0
	v_rcp_f64_e32 v[140:141], v[136:137]
	v_fma_f64 v[142:143], -v[136:137], v[140:141], 1.0
	v_fma_f64 v[140:141], v[140:141], v[142:143], v[140:141]
	v_fma_f64 v[142:143], -v[136:137], v[140:141], 1.0
	v_fma_f64 v[140:141], v[140:141], v[142:143], v[140:141]
	v_div_scale_f64 v[142:143], vcc_lo, 1.0, v[134:135], 1.0
	v_mul_f64 v[144:145], v[142:143], v[140:141]
	v_fma_f64 v[136:137], -v[136:137], v[144:145], v[142:143]
	v_div_fmas_f64 v[136:137], v[136:137], v[140:141], v[144:145]
	v_div_fixup_f64 v[140:141], v[136:137], v[134:135], 1.0
                                        ; implicit-def: $vgpr134_vgpr135
	v_mul_f64 v[138:139], v[138:139], v[140:141]
	v_xor_b32_e32 v141, 0x80000000, v141
.LBB51_68:
	s_andn2_saveexec_b32 s1, s1
	s_cbranch_execz .LBB51_70
; %bb.69:
	v_div_scale_f64 v[138:139], null, v[134:135], v[134:135], v[136:137]
	v_div_scale_f64 v[144:145], vcc_lo, v[136:137], v[134:135], v[136:137]
	v_rcp_f64_e32 v[140:141], v[138:139]
	v_fma_f64 v[142:143], -v[138:139], v[140:141], 1.0
	v_fma_f64 v[140:141], v[140:141], v[142:143], v[140:141]
	v_fma_f64 v[142:143], -v[138:139], v[140:141], 1.0
	v_fma_f64 v[140:141], v[140:141], v[142:143], v[140:141]
	v_mul_f64 v[142:143], v[144:145], v[140:141]
	v_fma_f64 v[138:139], -v[138:139], v[142:143], v[144:145]
	v_div_fmas_f64 v[138:139], v[138:139], v[140:141], v[142:143]
	v_div_fixup_f64 v[140:141], v[138:139], v[134:135], v[136:137]
	v_fma_f64 v[134:135], v[136:137], v[140:141], v[134:135]
	v_div_scale_f64 v[136:137], null, v[134:135], v[134:135], 1.0
	v_rcp_f64_e32 v[138:139], v[136:137]
	v_fma_f64 v[142:143], -v[136:137], v[138:139], 1.0
	v_fma_f64 v[138:139], v[138:139], v[142:143], v[138:139]
	v_fma_f64 v[142:143], -v[136:137], v[138:139], 1.0
	v_fma_f64 v[138:139], v[138:139], v[142:143], v[138:139]
	v_div_scale_f64 v[142:143], vcc_lo, 1.0, v[134:135], 1.0
	v_mul_f64 v[144:145], v[142:143], v[138:139]
	v_fma_f64 v[136:137], -v[136:137], v[144:145], v[142:143]
	v_div_fmas_f64 v[136:137], v[136:137], v[138:139], v[144:145]
	v_div_fixup_f64 v[138:139], v[136:137], v[134:135], 1.0
	v_mul_f64 v[140:141], v[140:141], -v[138:139]
.LBB51_70:
	s_or_b32 exec_lo, exec_lo, s1
	ds_write2_b64 v1, v[138:139], v[140:141] offset1:1
.LBB51_71:
	s_or_b32 exec_lo, exec_lo, s2
	s_waitcnt lgkmcnt(0)
	s_barrier
	buffer_gl0_inv
	ds_read2_b64 v[134:137], v1 offset1:1
	s_mov_b32 s1, exec_lo
	v_cmpx_lt_u32_e32 7, v0
	s_cbranch_execz .LBB51_73
; %bb.72:
	s_waitcnt lgkmcnt(0)
	v_mul_f64 v[138:139], v[136:137], v[76:77]
	v_mul_f64 v[76:77], v[134:135], v[76:77]
	ds_read2_b64 v[140:143], v220 offset0:16 offset1:17
	v_fma_f64 v[138:139], v[134:135], v[74:75], -v[138:139]
	v_fma_f64 v[76:77], v[136:137], v[74:75], v[76:77]
	s_waitcnt lgkmcnt(0)
	v_mul_f64 v[74:75], v[142:143], v[76:77]
	v_fma_f64 v[74:75], v[140:141], v[138:139], -v[74:75]
	v_mul_f64 v[140:141], v[140:141], v[76:77]
	v_add_f64 v[70:71], v[70:71], -v[74:75]
	v_fma_f64 v[140:141], v[142:143], v[138:139], v[140:141]
	v_add_f64 v[72:73], v[72:73], -v[140:141]
	ds_read2_b64 v[140:143], v220 offset0:18 offset1:19
	s_waitcnt lgkmcnt(0)
	v_mul_f64 v[74:75], v[142:143], v[76:77]
	v_fma_f64 v[74:75], v[140:141], v[138:139], -v[74:75]
	v_mul_f64 v[140:141], v[140:141], v[76:77]
	v_add_f64 v[66:67], v[66:67], -v[74:75]
	v_fma_f64 v[140:141], v[142:143], v[138:139], v[140:141]
	v_add_f64 v[68:69], v[68:69], -v[140:141]
	ds_read2_b64 v[140:143], v220 offset0:20 offset1:21
	;; [unrolled: 8-line block ×17, first 2 shown]
	s_waitcnt lgkmcnt(0)
	v_mul_f64 v[74:75], v[142:143], v[76:77]
	v_fma_f64 v[74:75], v[140:141], v[138:139], -v[74:75]
	v_mul_f64 v[140:141], v[140:141], v[76:77]
	v_add_f64 v[2:3], v[2:3], -v[74:75]
	v_fma_f64 v[140:141], v[142:143], v[138:139], v[140:141]
	v_mov_b32_e32 v74, v138
	v_mov_b32_e32 v75, v139
	v_add_f64 v[4:5], v[4:5], -v[140:141]
.LBB51_73:
	s_or_b32 exec_lo, exec_lo, s1
	s_mov_b32 s2, exec_lo
	s_waitcnt lgkmcnt(0)
	s_barrier
	buffer_gl0_inv
	v_cmpx_eq_u32_e32 8, v0
	s_cbranch_execz .LBB51_80
; %bb.74:
	ds_write2_b64 v1, v[70:71], v[72:73] offset1:1
	ds_write2_b64 v220, v[66:67], v[68:69] offset0:18 offset1:19
	ds_write2_b64 v220, v[62:63], v[64:65] offset0:20 offset1:21
	;; [unrolled: 1-line block ×17, first 2 shown]
	ds_read2_b64 v[138:141], v1 offset1:1
	s_waitcnt lgkmcnt(0)
	v_cmp_neq_f64_e32 vcc_lo, 0, v[138:139]
	v_cmp_neq_f64_e64 s1, 0, v[140:141]
	s_or_b32 s1, vcc_lo, s1
	s_and_b32 exec_lo, exec_lo, s1
	s_cbranch_execz .LBB51_80
; %bb.75:
	v_cmp_ngt_f64_e64 s1, |v[138:139]|, |v[140:141]|
                                        ; implicit-def: $vgpr142_vgpr143
	s_and_saveexec_b32 s3, s1
	s_xor_b32 s1, exec_lo, s3
                                        ; implicit-def: $vgpr144_vgpr145
	s_cbranch_execz .LBB51_77
; %bb.76:
	v_div_scale_f64 v[142:143], null, v[140:141], v[140:141], v[138:139]
	v_div_scale_f64 v[148:149], vcc_lo, v[138:139], v[140:141], v[138:139]
	v_rcp_f64_e32 v[144:145], v[142:143]
	v_fma_f64 v[146:147], -v[142:143], v[144:145], 1.0
	v_fma_f64 v[144:145], v[144:145], v[146:147], v[144:145]
	v_fma_f64 v[146:147], -v[142:143], v[144:145], 1.0
	v_fma_f64 v[144:145], v[144:145], v[146:147], v[144:145]
	v_mul_f64 v[146:147], v[148:149], v[144:145]
	v_fma_f64 v[142:143], -v[142:143], v[146:147], v[148:149]
	v_div_fmas_f64 v[142:143], v[142:143], v[144:145], v[146:147]
	v_div_fixup_f64 v[142:143], v[142:143], v[140:141], v[138:139]
	v_fma_f64 v[138:139], v[138:139], v[142:143], v[140:141]
	v_div_scale_f64 v[140:141], null, v[138:139], v[138:139], 1.0
	v_rcp_f64_e32 v[144:145], v[140:141]
	v_fma_f64 v[146:147], -v[140:141], v[144:145], 1.0
	v_fma_f64 v[144:145], v[144:145], v[146:147], v[144:145]
	v_fma_f64 v[146:147], -v[140:141], v[144:145], 1.0
	v_fma_f64 v[144:145], v[144:145], v[146:147], v[144:145]
	v_div_scale_f64 v[146:147], vcc_lo, 1.0, v[138:139], 1.0
	v_mul_f64 v[148:149], v[146:147], v[144:145]
	v_fma_f64 v[140:141], -v[140:141], v[148:149], v[146:147]
	v_div_fmas_f64 v[140:141], v[140:141], v[144:145], v[148:149]
	v_div_fixup_f64 v[144:145], v[140:141], v[138:139], 1.0
                                        ; implicit-def: $vgpr138_vgpr139
	v_mul_f64 v[142:143], v[142:143], v[144:145]
	v_xor_b32_e32 v145, 0x80000000, v145
.LBB51_77:
	s_andn2_saveexec_b32 s1, s1
	s_cbranch_execz .LBB51_79
; %bb.78:
	v_div_scale_f64 v[142:143], null, v[138:139], v[138:139], v[140:141]
	v_div_scale_f64 v[148:149], vcc_lo, v[140:141], v[138:139], v[140:141]
	v_rcp_f64_e32 v[144:145], v[142:143]
	v_fma_f64 v[146:147], -v[142:143], v[144:145], 1.0
	v_fma_f64 v[144:145], v[144:145], v[146:147], v[144:145]
	v_fma_f64 v[146:147], -v[142:143], v[144:145], 1.0
	v_fma_f64 v[144:145], v[144:145], v[146:147], v[144:145]
	v_mul_f64 v[146:147], v[148:149], v[144:145]
	v_fma_f64 v[142:143], -v[142:143], v[146:147], v[148:149]
	v_div_fmas_f64 v[142:143], v[142:143], v[144:145], v[146:147]
	v_div_fixup_f64 v[144:145], v[142:143], v[138:139], v[140:141]
	v_fma_f64 v[138:139], v[140:141], v[144:145], v[138:139]
	v_div_scale_f64 v[140:141], null, v[138:139], v[138:139], 1.0
	v_rcp_f64_e32 v[142:143], v[140:141]
	v_fma_f64 v[146:147], -v[140:141], v[142:143], 1.0
	v_fma_f64 v[142:143], v[142:143], v[146:147], v[142:143]
	v_fma_f64 v[146:147], -v[140:141], v[142:143], 1.0
	v_fma_f64 v[142:143], v[142:143], v[146:147], v[142:143]
	v_div_scale_f64 v[146:147], vcc_lo, 1.0, v[138:139], 1.0
	v_mul_f64 v[148:149], v[146:147], v[142:143]
	v_fma_f64 v[140:141], -v[140:141], v[148:149], v[146:147]
	v_div_fmas_f64 v[140:141], v[140:141], v[142:143], v[148:149]
	v_div_fixup_f64 v[142:143], v[140:141], v[138:139], 1.0
	v_mul_f64 v[144:145], v[144:145], -v[142:143]
.LBB51_79:
	s_or_b32 exec_lo, exec_lo, s1
	ds_write2_b64 v1, v[142:143], v[144:145] offset1:1
.LBB51_80:
	s_or_b32 exec_lo, exec_lo, s2
	s_waitcnt lgkmcnt(0)
	s_barrier
	buffer_gl0_inv
	ds_read2_b64 v[138:141], v1 offset1:1
	s_mov_b32 s1, exec_lo
	v_cmpx_lt_u32_e32 8, v0
	s_cbranch_execz .LBB51_82
; %bb.81:
	s_waitcnt lgkmcnt(0)
	v_mul_f64 v[142:143], v[140:141], v[72:73]
	v_mul_f64 v[72:73], v[138:139], v[72:73]
	ds_read2_b64 v[144:147], v220 offset0:18 offset1:19
	v_fma_f64 v[142:143], v[138:139], v[70:71], -v[142:143]
	v_fma_f64 v[72:73], v[140:141], v[70:71], v[72:73]
	s_waitcnt lgkmcnt(0)
	v_mul_f64 v[70:71], v[146:147], v[72:73]
	v_fma_f64 v[70:71], v[144:145], v[142:143], -v[70:71]
	v_mul_f64 v[144:145], v[144:145], v[72:73]
	v_add_f64 v[66:67], v[66:67], -v[70:71]
	v_fma_f64 v[144:145], v[146:147], v[142:143], v[144:145]
	v_add_f64 v[68:69], v[68:69], -v[144:145]
	ds_read2_b64 v[144:147], v220 offset0:20 offset1:21
	s_waitcnt lgkmcnt(0)
	v_mul_f64 v[70:71], v[146:147], v[72:73]
	v_fma_f64 v[70:71], v[144:145], v[142:143], -v[70:71]
	v_mul_f64 v[144:145], v[144:145], v[72:73]
	v_add_f64 v[62:63], v[62:63], -v[70:71]
	v_fma_f64 v[144:145], v[146:147], v[142:143], v[144:145]
	v_add_f64 v[64:65], v[64:65], -v[144:145]
	ds_read2_b64 v[144:147], v220 offset0:22 offset1:23
	;; [unrolled: 8-line block ×16, first 2 shown]
	s_waitcnt lgkmcnt(0)
	v_mul_f64 v[70:71], v[146:147], v[72:73]
	v_fma_f64 v[70:71], v[144:145], v[142:143], -v[70:71]
	v_mul_f64 v[144:145], v[144:145], v[72:73]
	v_add_f64 v[2:3], v[2:3], -v[70:71]
	v_fma_f64 v[144:145], v[146:147], v[142:143], v[144:145]
	v_mov_b32_e32 v70, v142
	v_mov_b32_e32 v71, v143
	v_add_f64 v[4:5], v[4:5], -v[144:145]
.LBB51_82:
	s_or_b32 exec_lo, exec_lo, s1
	s_mov_b32 s2, exec_lo
	s_waitcnt lgkmcnt(0)
	s_barrier
	buffer_gl0_inv
	v_cmpx_eq_u32_e32 9, v0
	s_cbranch_execz .LBB51_89
; %bb.83:
	ds_write2_b64 v1, v[66:67], v[68:69] offset1:1
	ds_write2_b64 v220, v[62:63], v[64:65] offset0:20 offset1:21
	ds_write2_b64 v220, v[58:59], v[60:61] offset0:22 offset1:23
	;; [unrolled: 1-line block ×16, first 2 shown]
	ds_read2_b64 v[142:145], v1 offset1:1
	s_waitcnt lgkmcnt(0)
	v_cmp_neq_f64_e32 vcc_lo, 0, v[142:143]
	v_cmp_neq_f64_e64 s1, 0, v[144:145]
	s_or_b32 s1, vcc_lo, s1
	s_and_b32 exec_lo, exec_lo, s1
	s_cbranch_execz .LBB51_89
; %bb.84:
	v_cmp_ngt_f64_e64 s1, |v[142:143]|, |v[144:145]|
                                        ; implicit-def: $vgpr146_vgpr147
	s_and_saveexec_b32 s3, s1
	s_xor_b32 s1, exec_lo, s3
                                        ; implicit-def: $vgpr148_vgpr149
	s_cbranch_execz .LBB51_86
; %bb.85:
	v_div_scale_f64 v[146:147], null, v[144:145], v[144:145], v[142:143]
	v_div_scale_f64 v[152:153], vcc_lo, v[142:143], v[144:145], v[142:143]
	v_rcp_f64_e32 v[148:149], v[146:147]
	v_fma_f64 v[150:151], -v[146:147], v[148:149], 1.0
	v_fma_f64 v[148:149], v[148:149], v[150:151], v[148:149]
	v_fma_f64 v[150:151], -v[146:147], v[148:149], 1.0
	v_fma_f64 v[148:149], v[148:149], v[150:151], v[148:149]
	v_mul_f64 v[150:151], v[152:153], v[148:149]
	v_fma_f64 v[146:147], -v[146:147], v[150:151], v[152:153]
	v_div_fmas_f64 v[146:147], v[146:147], v[148:149], v[150:151]
	v_div_fixup_f64 v[146:147], v[146:147], v[144:145], v[142:143]
	v_fma_f64 v[142:143], v[142:143], v[146:147], v[144:145]
	v_div_scale_f64 v[144:145], null, v[142:143], v[142:143], 1.0
	v_rcp_f64_e32 v[148:149], v[144:145]
	v_fma_f64 v[150:151], -v[144:145], v[148:149], 1.0
	v_fma_f64 v[148:149], v[148:149], v[150:151], v[148:149]
	v_fma_f64 v[150:151], -v[144:145], v[148:149], 1.0
	v_fma_f64 v[148:149], v[148:149], v[150:151], v[148:149]
	v_div_scale_f64 v[150:151], vcc_lo, 1.0, v[142:143], 1.0
	v_mul_f64 v[152:153], v[150:151], v[148:149]
	v_fma_f64 v[144:145], -v[144:145], v[152:153], v[150:151]
	v_div_fmas_f64 v[144:145], v[144:145], v[148:149], v[152:153]
	v_div_fixup_f64 v[148:149], v[144:145], v[142:143], 1.0
                                        ; implicit-def: $vgpr142_vgpr143
	v_mul_f64 v[146:147], v[146:147], v[148:149]
	v_xor_b32_e32 v149, 0x80000000, v149
.LBB51_86:
	s_andn2_saveexec_b32 s1, s1
	s_cbranch_execz .LBB51_88
; %bb.87:
	v_div_scale_f64 v[146:147], null, v[142:143], v[142:143], v[144:145]
	v_div_scale_f64 v[152:153], vcc_lo, v[144:145], v[142:143], v[144:145]
	v_rcp_f64_e32 v[148:149], v[146:147]
	v_fma_f64 v[150:151], -v[146:147], v[148:149], 1.0
	v_fma_f64 v[148:149], v[148:149], v[150:151], v[148:149]
	v_fma_f64 v[150:151], -v[146:147], v[148:149], 1.0
	v_fma_f64 v[148:149], v[148:149], v[150:151], v[148:149]
	v_mul_f64 v[150:151], v[152:153], v[148:149]
	v_fma_f64 v[146:147], -v[146:147], v[150:151], v[152:153]
	v_div_fmas_f64 v[146:147], v[146:147], v[148:149], v[150:151]
	v_div_fixup_f64 v[148:149], v[146:147], v[142:143], v[144:145]
	v_fma_f64 v[142:143], v[144:145], v[148:149], v[142:143]
	v_div_scale_f64 v[144:145], null, v[142:143], v[142:143], 1.0
	v_rcp_f64_e32 v[146:147], v[144:145]
	v_fma_f64 v[150:151], -v[144:145], v[146:147], 1.0
	v_fma_f64 v[146:147], v[146:147], v[150:151], v[146:147]
	v_fma_f64 v[150:151], -v[144:145], v[146:147], 1.0
	v_fma_f64 v[146:147], v[146:147], v[150:151], v[146:147]
	v_div_scale_f64 v[150:151], vcc_lo, 1.0, v[142:143], 1.0
	v_mul_f64 v[152:153], v[150:151], v[146:147]
	v_fma_f64 v[144:145], -v[144:145], v[152:153], v[150:151]
	v_div_fmas_f64 v[144:145], v[144:145], v[146:147], v[152:153]
	v_div_fixup_f64 v[146:147], v[144:145], v[142:143], 1.0
	v_mul_f64 v[148:149], v[148:149], -v[146:147]
.LBB51_88:
	s_or_b32 exec_lo, exec_lo, s1
	ds_write2_b64 v1, v[146:147], v[148:149] offset1:1
.LBB51_89:
	s_or_b32 exec_lo, exec_lo, s2
	s_waitcnt lgkmcnt(0)
	s_barrier
	buffer_gl0_inv
	ds_read2_b64 v[142:145], v1 offset1:1
	s_mov_b32 s1, exec_lo
	v_cmpx_lt_u32_e32 9, v0
	s_cbranch_execz .LBB51_91
; %bb.90:
	s_waitcnt lgkmcnt(0)
	v_mul_f64 v[146:147], v[142:143], v[68:69]
	v_mul_f64 v[68:69], v[144:145], v[68:69]
	ds_read2_b64 v[148:151], v220 offset0:20 offset1:21
	v_fma_f64 v[146:147], v[144:145], v[66:67], v[146:147]
	v_fma_f64 v[66:67], v[142:143], v[66:67], -v[68:69]
	s_waitcnt lgkmcnt(0)
	v_mul_f64 v[68:69], v[150:151], v[146:147]
	v_fma_f64 v[68:69], v[148:149], v[66:67], -v[68:69]
	v_mul_f64 v[148:149], v[148:149], v[146:147]
	v_add_f64 v[62:63], v[62:63], -v[68:69]
	v_fma_f64 v[148:149], v[150:151], v[66:67], v[148:149]
	v_add_f64 v[64:65], v[64:65], -v[148:149]
	ds_read2_b64 v[148:151], v220 offset0:22 offset1:23
	s_waitcnt lgkmcnt(0)
	v_mul_f64 v[68:69], v[150:151], v[146:147]
	v_fma_f64 v[68:69], v[148:149], v[66:67], -v[68:69]
	v_mul_f64 v[148:149], v[148:149], v[146:147]
	v_add_f64 v[58:59], v[58:59], -v[68:69]
	v_fma_f64 v[148:149], v[150:151], v[66:67], v[148:149]
	v_add_f64 v[60:61], v[60:61], -v[148:149]
	ds_read2_b64 v[148:151], v220 offset0:24 offset1:25
	;; [unrolled: 8-line block ×15, first 2 shown]
	s_waitcnt lgkmcnt(0)
	v_mul_f64 v[68:69], v[150:151], v[146:147]
	v_fma_f64 v[68:69], v[148:149], v[66:67], -v[68:69]
	v_mul_f64 v[148:149], v[148:149], v[146:147]
	v_add_f64 v[2:3], v[2:3], -v[68:69]
	v_fma_f64 v[148:149], v[150:151], v[66:67], v[148:149]
	v_mov_b32_e32 v68, v146
	v_mov_b32_e32 v69, v147
	v_add_f64 v[4:5], v[4:5], -v[148:149]
.LBB51_91:
	s_or_b32 exec_lo, exec_lo, s1
	s_mov_b32 s2, exec_lo
	s_waitcnt lgkmcnt(0)
	s_barrier
	buffer_gl0_inv
	v_cmpx_eq_u32_e32 10, v0
	s_cbranch_execz .LBB51_98
; %bb.92:
	ds_write2_b64 v1, v[62:63], v[64:65] offset1:1
	ds_write2_b64 v220, v[58:59], v[60:61] offset0:22 offset1:23
	ds_write2_b64 v220, v[54:55], v[56:57] offset0:24 offset1:25
	;; [unrolled: 1-line block ×15, first 2 shown]
	ds_read2_b64 v[146:149], v1 offset1:1
	s_waitcnt lgkmcnt(0)
	v_cmp_neq_f64_e32 vcc_lo, 0, v[146:147]
	v_cmp_neq_f64_e64 s1, 0, v[148:149]
	s_or_b32 s1, vcc_lo, s1
	s_and_b32 exec_lo, exec_lo, s1
	s_cbranch_execz .LBB51_98
; %bb.93:
	v_cmp_ngt_f64_e64 s1, |v[146:147]|, |v[148:149]|
                                        ; implicit-def: $vgpr150_vgpr151
	s_and_saveexec_b32 s3, s1
	s_xor_b32 s1, exec_lo, s3
                                        ; implicit-def: $vgpr152_vgpr153
	s_cbranch_execz .LBB51_95
; %bb.94:
	v_div_scale_f64 v[150:151], null, v[148:149], v[148:149], v[146:147]
	v_div_scale_f64 v[156:157], vcc_lo, v[146:147], v[148:149], v[146:147]
	v_rcp_f64_e32 v[152:153], v[150:151]
	v_fma_f64 v[154:155], -v[150:151], v[152:153], 1.0
	v_fma_f64 v[152:153], v[152:153], v[154:155], v[152:153]
	v_fma_f64 v[154:155], -v[150:151], v[152:153], 1.0
	v_fma_f64 v[152:153], v[152:153], v[154:155], v[152:153]
	v_mul_f64 v[154:155], v[156:157], v[152:153]
	v_fma_f64 v[150:151], -v[150:151], v[154:155], v[156:157]
	v_div_fmas_f64 v[150:151], v[150:151], v[152:153], v[154:155]
	v_div_fixup_f64 v[150:151], v[150:151], v[148:149], v[146:147]
	v_fma_f64 v[146:147], v[146:147], v[150:151], v[148:149]
	v_div_scale_f64 v[148:149], null, v[146:147], v[146:147], 1.0
	v_rcp_f64_e32 v[152:153], v[148:149]
	v_fma_f64 v[154:155], -v[148:149], v[152:153], 1.0
	v_fma_f64 v[152:153], v[152:153], v[154:155], v[152:153]
	v_fma_f64 v[154:155], -v[148:149], v[152:153], 1.0
	v_fma_f64 v[152:153], v[152:153], v[154:155], v[152:153]
	v_div_scale_f64 v[154:155], vcc_lo, 1.0, v[146:147], 1.0
	v_mul_f64 v[156:157], v[154:155], v[152:153]
	v_fma_f64 v[148:149], -v[148:149], v[156:157], v[154:155]
	v_div_fmas_f64 v[148:149], v[148:149], v[152:153], v[156:157]
	v_div_fixup_f64 v[152:153], v[148:149], v[146:147], 1.0
                                        ; implicit-def: $vgpr146_vgpr147
	v_mul_f64 v[150:151], v[150:151], v[152:153]
	v_xor_b32_e32 v153, 0x80000000, v153
.LBB51_95:
	s_andn2_saveexec_b32 s1, s1
	s_cbranch_execz .LBB51_97
; %bb.96:
	v_div_scale_f64 v[150:151], null, v[146:147], v[146:147], v[148:149]
	v_div_scale_f64 v[156:157], vcc_lo, v[148:149], v[146:147], v[148:149]
	v_rcp_f64_e32 v[152:153], v[150:151]
	v_fma_f64 v[154:155], -v[150:151], v[152:153], 1.0
	v_fma_f64 v[152:153], v[152:153], v[154:155], v[152:153]
	v_fma_f64 v[154:155], -v[150:151], v[152:153], 1.0
	v_fma_f64 v[152:153], v[152:153], v[154:155], v[152:153]
	v_mul_f64 v[154:155], v[156:157], v[152:153]
	v_fma_f64 v[150:151], -v[150:151], v[154:155], v[156:157]
	v_div_fmas_f64 v[150:151], v[150:151], v[152:153], v[154:155]
	v_div_fixup_f64 v[152:153], v[150:151], v[146:147], v[148:149]
	v_fma_f64 v[146:147], v[148:149], v[152:153], v[146:147]
	v_div_scale_f64 v[148:149], null, v[146:147], v[146:147], 1.0
	v_rcp_f64_e32 v[150:151], v[148:149]
	v_fma_f64 v[154:155], -v[148:149], v[150:151], 1.0
	v_fma_f64 v[150:151], v[150:151], v[154:155], v[150:151]
	v_fma_f64 v[154:155], -v[148:149], v[150:151], 1.0
	v_fma_f64 v[150:151], v[150:151], v[154:155], v[150:151]
	v_div_scale_f64 v[154:155], vcc_lo, 1.0, v[146:147], 1.0
	v_mul_f64 v[156:157], v[154:155], v[150:151]
	v_fma_f64 v[148:149], -v[148:149], v[156:157], v[154:155]
	v_div_fmas_f64 v[148:149], v[148:149], v[150:151], v[156:157]
	v_div_fixup_f64 v[150:151], v[148:149], v[146:147], 1.0
	v_mul_f64 v[152:153], v[152:153], -v[150:151]
.LBB51_97:
	s_or_b32 exec_lo, exec_lo, s1
	ds_write2_b64 v1, v[150:151], v[152:153] offset1:1
.LBB51_98:
	s_or_b32 exec_lo, exec_lo, s2
	s_waitcnt lgkmcnt(0)
	s_barrier
	buffer_gl0_inv
	ds_read2_b64 v[146:149], v1 offset1:1
	s_mov_b32 s1, exec_lo
	v_cmpx_lt_u32_e32 10, v0
	s_cbranch_execz .LBB51_100
; %bb.99:
	s_waitcnt lgkmcnt(0)
	v_mul_f64 v[150:151], v[146:147], v[64:65]
	v_mul_f64 v[64:65], v[148:149], v[64:65]
	ds_read2_b64 v[152:155], v220 offset0:22 offset1:23
	v_fma_f64 v[150:151], v[148:149], v[62:63], v[150:151]
	v_fma_f64 v[62:63], v[146:147], v[62:63], -v[64:65]
	s_waitcnt lgkmcnt(0)
	v_mul_f64 v[64:65], v[154:155], v[150:151]
	v_fma_f64 v[64:65], v[152:153], v[62:63], -v[64:65]
	v_mul_f64 v[152:153], v[152:153], v[150:151]
	v_add_f64 v[58:59], v[58:59], -v[64:65]
	v_fma_f64 v[152:153], v[154:155], v[62:63], v[152:153]
	v_add_f64 v[60:61], v[60:61], -v[152:153]
	ds_read2_b64 v[152:155], v220 offset0:24 offset1:25
	s_waitcnt lgkmcnt(0)
	v_mul_f64 v[64:65], v[154:155], v[150:151]
	v_fma_f64 v[64:65], v[152:153], v[62:63], -v[64:65]
	v_mul_f64 v[152:153], v[152:153], v[150:151]
	v_add_f64 v[54:55], v[54:55], -v[64:65]
	v_fma_f64 v[152:153], v[154:155], v[62:63], v[152:153]
	v_add_f64 v[56:57], v[56:57], -v[152:153]
	ds_read2_b64 v[152:155], v220 offset0:26 offset1:27
	;; [unrolled: 8-line block ×14, first 2 shown]
	s_waitcnt lgkmcnt(0)
	v_mul_f64 v[64:65], v[154:155], v[150:151]
	v_fma_f64 v[64:65], v[152:153], v[62:63], -v[64:65]
	v_mul_f64 v[152:153], v[152:153], v[150:151]
	v_add_f64 v[2:3], v[2:3], -v[64:65]
	v_fma_f64 v[152:153], v[154:155], v[62:63], v[152:153]
	v_mov_b32_e32 v64, v150
	v_mov_b32_e32 v65, v151
	v_add_f64 v[4:5], v[4:5], -v[152:153]
.LBB51_100:
	s_or_b32 exec_lo, exec_lo, s1
	s_mov_b32 s2, exec_lo
	s_waitcnt lgkmcnt(0)
	s_barrier
	buffer_gl0_inv
	v_cmpx_eq_u32_e32 11, v0
	s_cbranch_execz .LBB51_107
; %bb.101:
	ds_write2_b64 v1, v[58:59], v[60:61] offset1:1
	ds_write2_b64 v220, v[54:55], v[56:57] offset0:24 offset1:25
	ds_write2_b64 v220, v[50:51], v[52:53] offset0:26 offset1:27
	;; [unrolled: 1-line block ×14, first 2 shown]
	ds_read2_b64 v[150:153], v1 offset1:1
	s_waitcnt lgkmcnt(0)
	v_cmp_neq_f64_e32 vcc_lo, 0, v[150:151]
	v_cmp_neq_f64_e64 s1, 0, v[152:153]
	s_or_b32 s1, vcc_lo, s1
	s_and_b32 exec_lo, exec_lo, s1
	s_cbranch_execz .LBB51_107
; %bb.102:
	v_cmp_ngt_f64_e64 s1, |v[150:151]|, |v[152:153]|
                                        ; implicit-def: $vgpr154_vgpr155
	s_and_saveexec_b32 s3, s1
	s_xor_b32 s1, exec_lo, s3
                                        ; implicit-def: $vgpr156_vgpr157
	s_cbranch_execz .LBB51_104
; %bb.103:
	v_div_scale_f64 v[154:155], null, v[152:153], v[152:153], v[150:151]
	v_div_scale_f64 v[160:161], vcc_lo, v[150:151], v[152:153], v[150:151]
	v_rcp_f64_e32 v[156:157], v[154:155]
	v_fma_f64 v[158:159], -v[154:155], v[156:157], 1.0
	v_fma_f64 v[156:157], v[156:157], v[158:159], v[156:157]
	v_fma_f64 v[158:159], -v[154:155], v[156:157], 1.0
	v_fma_f64 v[156:157], v[156:157], v[158:159], v[156:157]
	v_mul_f64 v[158:159], v[160:161], v[156:157]
	v_fma_f64 v[154:155], -v[154:155], v[158:159], v[160:161]
	v_div_fmas_f64 v[154:155], v[154:155], v[156:157], v[158:159]
	v_div_fixup_f64 v[154:155], v[154:155], v[152:153], v[150:151]
	v_fma_f64 v[150:151], v[150:151], v[154:155], v[152:153]
	v_div_scale_f64 v[152:153], null, v[150:151], v[150:151], 1.0
	v_rcp_f64_e32 v[156:157], v[152:153]
	v_fma_f64 v[158:159], -v[152:153], v[156:157], 1.0
	v_fma_f64 v[156:157], v[156:157], v[158:159], v[156:157]
	v_fma_f64 v[158:159], -v[152:153], v[156:157], 1.0
	v_fma_f64 v[156:157], v[156:157], v[158:159], v[156:157]
	v_div_scale_f64 v[158:159], vcc_lo, 1.0, v[150:151], 1.0
	v_mul_f64 v[160:161], v[158:159], v[156:157]
	v_fma_f64 v[152:153], -v[152:153], v[160:161], v[158:159]
	v_div_fmas_f64 v[152:153], v[152:153], v[156:157], v[160:161]
	v_div_fixup_f64 v[156:157], v[152:153], v[150:151], 1.0
                                        ; implicit-def: $vgpr150_vgpr151
	v_mul_f64 v[154:155], v[154:155], v[156:157]
	v_xor_b32_e32 v157, 0x80000000, v157
.LBB51_104:
	s_andn2_saveexec_b32 s1, s1
	s_cbranch_execz .LBB51_106
; %bb.105:
	v_div_scale_f64 v[154:155], null, v[150:151], v[150:151], v[152:153]
	v_div_scale_f64 v[160:161], vcc_lo, v[152:153], v[150:151], v[152:153]
	v_rcp_f64_e32 v[156:157], v[154:155]
	v_fma_f64 v[158:159], -v[154:155], v[156:157], 1.0
	v_fma_f64 v[156:157], v[156:157], v[158:159], v[156:157]
	v_fma_f64 v[158:159], -v[154:155], v[156:157], 1.0
	v_fma_f64 v[156:157], v[156:157], v[158:159], v[156:157]
	v_mul_f64 v[158:159], v[160:161], v[156:157]
	v_fma_f64 v[154:155], -v[154:155], v[158:159], v[160:161]
	v_div_fmas_f64 v[154:155], v[154:155], v[156:157], v[158:159]
	v_div_fixup_f64 v[156:157], v[154:155], v[150:151], v[152:153]
	v_fma_f64 v[150:151], v[152:153], v[156:157], v[150:151]
	v_div_scale_f64 v[152:153], null, v[150:151], v[150:151], 1.0
	v_rcp_f64_e32 v[154:155], v[152:153]
	v_fma_f64 v[158:159], -v[152:153], v[154:155], 1.0
	v_fma_f64 v[154:155], v[154:155], v[158:159], v[154:155]
	v_fma_f64 v[158:159], -v[152:153], v[154:155], 1.0
	v_fma_f64 v[154:155], v[154:155], v[158:159], v[154:155]
	v_div_scale_f64 v[158:159], vcc_lo, 1.0, v[150:151], 1.0
	v_mul_f64 v[160:161], v[158:159], v[154:155]
	v_fma_f64 v[152:153], -v[152:153], v[160:161], v[158:159]
	v_div_fmas_f64 v[152:153], v[152:153], v[154:155], v[160:161]
	v_div_fixup_f64 v[154:155], v[152:153], v[150:151], 1.0
	v_mul_f64 v[156:157], v[156:157], -v[154:155]
.LBB51_106:
	s_or_b32 exec_lo, exec_lo, s1
	ds_write2_b64 v1, v[154:155], v[156:157] offset1:1
.LBB51_107:
	s_or_b32 exec_lo, exec_lo, s2
	s_waitcnt lgkmcnt(0)
	s_barrier
	buffer_gl0_inv
	ds_read2_b64 v[150:153], v1 offset1:1
	s_mov_b32 s1, exec_lo
	v_cmpx_lt_u32_e32 11, v0
	s_cbranch_execz .LBB51_109
; %bb.108:
	s_waitcnt lgkmcnt(0)
	v_mul_f64 v[154:155], v[150:151], v[60:61]
	v_mul_f64 v[60:61], v[152:153], v[60:61]
	ds_read2_b64 v[156:159], v220 offset0:24 offset1:25
	v_fma_f64 v[154:155], v[152:153], v[58:59], v[154:155]
	v_fma_f64 v[58:59], v[150:151], v[58:59], -v[60:61]
	s_waitcnt lgkmcnt(0)
	v_mul_f64 v[60:61], v[158:159], v[154:155]
	v_fma_f64 v[60:61], v[156:157], v[58:59], -v[60:61]
	v_mul_f64 v[156:157], v[156:157], v[154:155]
	v_add_f64 v[54:55], v[54:55], -v[60:61]
	v_fma_f64 v[156:157], v[158:159], v[58:59], v[156:157]
	v_add_f64 v[56:57], v[56:57], -v[156:157]
	ds_read2_b64 v[156:159], v220 offset0:26 offset1:27
	s_waitcnt lgkmcnt(0)
	v_mul_f64 v[60:61], v[158:159], v[154:155]
	v_fma_f64 v[60:61], v[156:157], v[58:59], -v[60:61]
	v_mul_f64 v[156:157], v[156:157], v[154:155]
	v_add_f64 v[50:51], v[50:51], -v[60:61]
	v_fma_f64 v[156:157], v[158:159], v[58:59], v[156:157]
	v_add_f64 v[52:53], v[52:53], -v[156:157]
	ds_read2_b64 v[156:159], v220 offset0:28 offset1:29
	;; [unrolled: 8-line block ×13, first 2 shown]
	s_waitcnt lgkmcnt(0)
	v_mul_f64 v[60:61], v[158:159], v[154:155]
	v_fma_f64 v[60:61], v[156:157], v[58:59], -v[60:61]
	v_mul_f64 v[156:157], v[156:157], v[154:155]
	v_add_f64 v[2:3], v[2:3], -v[60:61]
	v_fma_f64 v[156:157], v[158:159], v[58:59], v[156:157]
	v_mov_b32_e32 v60, v154
	v_mov_b32_e32 v61, v155
	v_add_f64 v[4:5], v[4:5], -v[156:157]
.LBB51_109:
	s_or_b32 exec_lo, exec_lo, s1
	s_mov_b32 s2, exec_lo
	s_waitcnt lgkmcnt(0)
	s_barrier
	buffer_gl0_inv
	v_cmpx_eq_u32_e32 12, v0
	s_cbranch_execz .LBB51_116
; %bb.110:
	ds_write2_b64 v1, v[54:55], v[56:57] offset1:1
	ds_write2_b64 v220, v[50:51], v[52:53] offset0:26 offset1:27
	ds_write2_b64 v220, v[46:47], v[48:49] offset0:28 offset1:29
	;; [unrolled: 1-line block ×13, first 2 shown]
	ds_read2_b64 v[154:157], v1 offset1:1
	s_waitcnt lgkmcnt(0)
	v_cmp_neq_f64_e32 vcc_lo, 0, v[154:155]
	v_cmp_neq_f64_e64 s1, 0, v[156:157]
	s_or_b32 s1, vcc_lo, s1
	s_and_b32 exec_lo, exec_lo, s1
	s_cbranch_execz .LBB51_116
; %bb.111:
	v_cmp_ngt_f64_e64 s1, |v[154:155]|, |v[156:157]|
                                        ; implicit-def: $vgpr158_vgpr159
	s_and_saveexec_b32 s3, s1
	s_xor_b32 s1, exec_lo, s3
                                        ; implicit-def: $vgpr160_vgpr161
	s_cbranch_execz .LBB51_113
; %bb.112:
	v_div_scale_f64 v[158:159], null, v[156:157], v[156:157], v[154:155]
	v_div_scale_f64 v[164:165], vcc_lo, v[154:155], v[156:157], v[154:155]
	v_rcp_f64_e32 v[160:161], v[158:159]
	v_fma_f64 v[162:163], -v[158:159], v[160:161], 1.0
	v_fma_f64 v[160:161], v[160:161], v[162:163], v[160:161]
	v_fma_f64 v[162:163], -v[158:159], v[160:161], 1.0
	v_fma_f64 v[160:161], v[160:161], v[162:163], v[160:161]
	v_mul_f64 v[162:163], v[164:165], v[160:161]
	v_fma_f64 v[158:159], -v[158:159], v[162:163], v[164:165]
	v_div_fmas_f64 v[158:159], v[158:159], v[160:161], v[162:163]
	v_div_fixup_f64 v[158:159], v[158:159], v[156:157], v[154:155]
	v_fma_f64 v[154:155], v[154:155], v[158:159], v[156:157]
	v_div_scale_f64 v[156:157], null, v[154:155], v[154:155], 1.0
	v_rcp_f64_e32 v[160:161], v[156:157]
	v_fma_f64 v[162:163], -v[156:157], v[160:161], 1.0
	v_fma_f64 v[160:161], v[160:161], v[162:163], v[160:161]
	v_fma_f64 v[162:163], -v[156:157], v[160:161], 1.0
	v_fma_f64 v[160:161], v[160:161], v[162:163], v[160:161]
	v_div_scale_f64 v[162:163], vcc_lo, 1.0, v[154:155], 1.0
	v_mul_f64 v[164:165], v[162:163], v[160:161]
	v_fma_f64 v[156:157], -v[156:157], v[164:165], v[162:163]
	v_div_fmas_f64 v[156:157], v[156:157], v[160:161], v[164:165]
	v_div_fixup_f64 v[160:161], v[156:157], v[154:155], 1.0
                                        ; implicit-def: $vgpr154_vgpr155
	v_mul_f64 v[158:159], v[158:159], v[160:161]
	v_xor_b32_e32 v161, 0x80000000, v161
.LBB51_113:
	s_andn2_saveexec_b32 s1, s1
	s_cbranch_execz .LBB51_115
; %bb.114:
	v_div_scale_f64 v[158:159], null, v[154:155], v[154:155], v[156:157]
	v_div_scale_f64 v[164:165], vcc_lo, v[156:157], v[154:155], v[156:157]
	v_rcp_f64_e32 v[160:161], v[158:159]
	v_fma_f64 v[162:163], -v[158:159], v[160:161], 1.0
	v_fma_f64 v[160:161], v[160:161], v[162:163], v[160:161]
	v_fma_f64 v[162:163], -v[158:159], v[160:161], 1.0
	v_fma_f64 v[160:161], v[160:161], v[162:163], v[160:161]
	v_mul_f64 v[162:163], v[164:165], v[160:161]
	v_fma_f64 v[158:159], -v[158:159], v[162:163], v[164:165]
	v_div_fmas_f64 v[158:159], v[158:159], v[160:161], v[162:163]
	v_div_fixup_f64 v[160:161], v[158:159], v[154:155], v[156:157]
	v_fma_f64 v[154:155], v[156:157], v[160:161], v[154:155]
	v_div_scale_f64 v[156:157], null, v[154:155], v[154:155], 1.0
	v_rcp_f64_e32 v[158:159], v[156:157]
	v_fma_f64 v[162:163], -v[156:157], v[158:159], 1.0
	v_fma_f64 v[158:159], v[158:159], v[162:163], v[158:159]
	v_fma_f64 v[162:163], -v[156:157], v[158:159], 1.0
	v_fma_f64 v[158:159], v[158:159], v[162:163], v[158:159]
	v_div_scale_f64 v[162:163], vcc_lo, 1.0, v[154:155], 1.0
	v_mul_f64 v[164:165], v[162:163], v[158:159]
	v_fma_f64 v[156:157], -v[156:157], v[164:165], v[162:163]
	v_div_fmas_f64 v[156:157], v[156:157], v[158:159], v[164:165]
	v_div_fixup_f64 v[158:159], v[156:157], v[154:155], 1.0
	v_mul_f64 v[160:161], v[160:161], -v[158:159]
.LBB51_115:
	s_or_b32 exec_lo, exec_lo, s1
	ds_write2_b64 v1, v[158:159], v[160:161] offset1:1
.LBB51_116:
	s_or_b32 exec_lo, exec_lo, s2
	s_waitcnt lgkmcnt(0)
	s_barrier
	buffer_gl0_inv
	ds_read2_b64 v[154:157], v1 offset1:1
	s_mov_b32 s1, exec_lo
	v_cmpx_lt_u32_e32 12, v0
	s_cbranch_execz .LBB51_118
; %bb.117:
	s_waitcnt lgkmcnt(0)
	v_mul_f64 v[158:159], v[154:155], v[56:57]
	v_mul_f64 v[56:57], v[156:157], v[56:57]
	v_fma_f64 v[162:163], v[156:157], v[54:55], v[158:159]
	ds_read2_b64 v[158:161], v220 offset0:26 offset1:27
	v_fma_f64 v[54:55], v[154:155], v[54:55], -v[56:57]
	s_waitcnt lgkmcnt(0)
	v_mul_f64 v[56:57], v[160:161], v[162:163]
	v_fma_f64 v[56:57], v[158:159], v[54:55], -v[56:57]
	v_mul_f64 v[158:159], v[158:159], v[162:163]
	v_add_f64 v[50:51], v[50:51], -v[56:57]
	v_fma_f64 v[158:159], v[160:161], v[54:55], v[158:159]
	v_add_f64 v[52:53], v[52:53], -v[158:159]
	ds_read2_b64 v[158:161], v220 offset0:28 offset1:29
	s_waitcnt lgkmcnt(0)
	v_mul_f64 v[56:57], v[160:161], v[162:163]
	v_fma_f64 v[56:57], v[158:159], v[54:55], -v[56:57]
	v_mul_f64 v[158:159], v[158:159], v[162:163]
	v_add_f64 v[46:47], v[46:47], -v[56:57]
	v_fma_f64 v[158:159], v[160:161], v[54:55], v[158:159]
	v_add_f64 v[48:49], v[48:49], -v[158:159]
	ds_read2_b64 v[158:161], v220 offset0:30 offset1:31
	;; [unrolled: 8-line block ×12, first 2 shown]
	s_waitcnt lgkmcnt(0)
	v_mul_f64 v[56:57], v[160:161], v[162:163]
	v_fma_f64 v[56:57], v[158:159], v[54:55], -v[56:57]
	v_mul_f64 v[158:159], v[158:159], v[162:163]
	v_add_f64 v[2:3], v[2:3], -v[56:57]
	v_fma_f64 v[158:159], v[160:161], v[54:55], v[158:159]
	v_mov_b32_e32 v56, v162
	v_mov_b32_e32 v57, v163
	v_add_f64 v[4:5], v[4:5], -v[158:159]
.LBB51_118:
	s_or_b32 exec_lo, exec_lo, s1
	s_mov_b32 s2, exec_lo
	s_waitcnt lgkmcnt(0)
	s_barrier
	buffer_gl0_inv
	v_cmpx_eq_u32_e32 13, v0
	s_cbranch_execz .LBB51_125
; %bb.119:
	ds_write2_b64 v1, v[50:51], v[52:53] offset1:1
	ds_write2_b64 v220, v[46:47], v[48:49] offset0:28 offset1:29
	ds_write2_b64 v220, v[42:43], v[44:45] offset0:30 offset1:31
	;; [unrolled: 1-line block ×12, first 2 shown]
	ds_read2_b64 v[158:161], v1 offset1:1
	s_waitcnt lgkmcnt(0)
	v_cmp_neq_f64_e32 vcc_lo, 0, v[158:159]
	v_cmp_neq_f64_e64 s1, 0, v[160:161]
	s_or_b32 s1, vcc_lo, s1
	s_and_b32 exec_lo, exec_lo, s1
	s_cbranch_execz .LBB51_125
; %bb.120:
	v_cmp_ngt_f64_e64 s1, |v[158:159]|, |v[160:161]|
                                        ; implicit-def: $vgpr162_vgpr163
	s_and_saveexec_b32 s3, s1
	s_xor_b32 s1, exec_lo, s3
                                        ; implicit-def: $vgpr164_vgpr165
	s_cbranch_execz .LBB51_122
; %bb.121:
	v_div_scale_f64 v[162:163], null, v[160:161], v[160:161], v[158:159]
	v_div_scale_f64 v[168:169], vcc_lo, v[158:159], v[160:161], v[158:159]
	v_rcp_f64_e32 v[164:165], v[162:163]
	v_fma_f64 v[166:167], -v[162:163], v[164:165], 1.0
	v_fma_f64 v[164:165], v[164:165], v[166:167], v[164:165]
	v_fma_f64 v[166:167], -v[162:163], v[164:165], 1.0
	v_fma_f64 v[164:165], v[164:165], v[166:167], v[164:165]
	v_mul_f64 v[166:167], v[168:169], v[164:165]
	v_fma_f64 v[162:163], -v[162:163], v[166:167], v[168:169]
	v_div_fmas_f64 v[162:163], v[162:163], v[164:165], v[166:167]
	v_div_fixup_f64 v[162:163], v[162:163], v[160:161], v[158:159]
	v_fma_f64 v[158:159], v[158:159], v[162:163], v[160:161]
	v_div_scale_f64 v[160:161], null, v[158:159], v[158:159], 1.0
	v_rcp_f64_e32 v[164:165], v[160:161]
	v_fma_f64 v[166:167], -v[160:161], v[164:165], 1.0
	v_fma_f64 v[164:165], v[164:165], v[166:167], v[164:165]
	v_fma_f64 v[166:167], -v[160:161], v[164:165], 1.0
	v_fma_f64 v[164:165], v[164:165], v[166:167], v[164:165]
	v_div_scale_f64 v[166:167], vcc_lo, 1.0, v[158:159], 1.0
	v_mul_f64 v[168:169], v[166:167], v[164:165]
	v_fma_f64 v[160:161], -v[160:161], v[168:169], v[166:167]
	v_div_fmas_f64 v[160:161], v[160:161], v[164:165], v[168:169]
	v_div_fixup_f64 v[164:165], v[160:161], v[158:159], 1.0
                                        ; implicit-def: $vgpr158_vgpr159
	v_mul_f64 v[162:163], v[162:163], v[164:165]
	v_xor_b32_e32 v165, 0x80000000, v165
.LBB51_122:
	s_andn2_saveexec_b32 s1, s1
	s_cbranch_execz .LBB51_124
; %bb.123:
	v_div_scale_f64 v[162:163], null, v[158:159], v[158:159], v[160:161]
	v_div_scale_f64 v[168:169], vcc_lo, v[160:161], v[158:159], v[160:161]
	v_rcp_f64_e32 v[164:165], v[162:163]
	v_fma_f64 v[166:167], -v[162:163], v[164:165], 1.0
	v_fma_f64 v[164:165], v[164:165], v[166:167], v[164:165]
	v_fma_f64 v[166:167], -v[162:163], v[164:165], 1.0
	v_fma_f64 v[164:165], v[164:165], v[166:167], v[164:165]
	v_mul_f64 v[166:167], v[168:169], v[164:165]
	v_fma_f64 v[162:163], -v[162:163], v[166:167], v[168:169]
	v_div_fmas_f64 v[162:163], v[162:163], v[164:165], v[166:167]
	v_div_fixup_f64 v[164:165], v[162:163], v[158:159], v[160:161]
	v_fma_f64 v[158:159], v[160:161], v[164:165], v[158:159]
	v_div_scale_f64 v[160:161], null, v[158:159], v[158:159], 1.0
	v_rcp_f64_e32 v[162:163], v[160:161]
	v_fma_f64 v[166:167], -v[160:161], v[162:163], 1.0
	v_fma_f64 v[162:163], v[162:163], v[166:167], v[162:163]
	v_fma_f64 v[166:167], -v[160:161], v[162:163], 1.0
	v_fma_f64 v[162:163], v[162:163], v[166:167], v[162:163]
	v_div_scale_f64 v[166:167], vcc_lo, 1.0, v[158:159], 1.0
	v_mul_f64 v[168:169], v[166:167], v[162:163]
	v_fma_f64 v[160:161], -v[160:161], v[168:169], v[166:167]
	v_div_fmas_f64 v[160:161], v[160:161], v[162:163], v[168:169]
	v_div_fixup_f64 v[162:163], v[160:161], v[158:159], 1.0
	v_mul_f64 v[164:165], v[164:165], -v[162:163]
.LBB51_124:
	s_or_b32 exec_lo, exec_lo, s1
	ds_write2_b64 v1, v[162:163], v[164:165] offset1:1
.LBB51_125:
	s_or_b32 exec_lo, exec_lo, s2
	s_waitcnt lgkmcnt(0)
	s_barrier
	buffer_gl0_inv
	ds_read2_b64 v[158:161], v1 offset1:1
	s_mov_b32 s1, exec_lo
	v_cmpx_lt_u32_e32 13, v0
	s_cbranch_execz .LBB51_127
; %bb.126:
	s_waitcnt lgkmcnt(0)
	v_mul_f64 v[162:163], v[158:159], v[52:53]
	v_mul_f64 v[52:53], v[160:161], v[52:53]
	v_fma_f64 v[166:167], v[160:161], v[50:51], v[162:163]
	ds_read2_b64 v[162:165], v220 offset0:28 offset1:29
	v_fma_f64 v[50:51], v[158:159], v[50:51], -v[52:53]
	s_waitcnt lgkmcnt(0)
	v_mul_f64 v[52:53], v[164:165], v[166:167]
	v_fma_f64 v[52:53], v[162:163], v[50:51], -v[52:53]
	v_mul_f64 v[162:163], v[162:163], v[166:167]
	v_add_f64 v[46:47], v[46:47], -v[52:53]
	v_fma_f64 v[162:163], v[164:165], v[50:51], v[162:163]
	v_add_f64 v[48:49], v[48:49], -v[162:163]
	ds_read2_b64 v[162:165], v220 offset0:30 offset1:31
	s_waitcnt lgkmcnt(0)
	v_mul_f64 v[52:53], v[164:165], v[166:167]
	v_fma_f64 v[52:53], v[162:163], v[50:51], -v[52:53]
	v_mul_f64 v[162:163], v[162:163], v[166:167]
	v_add_f64 v[42:43], v[42:43], -v[52:53]
	v_fma_f64 v[162:163], v[164:165], v[50:51], v[162:163]
	v_add_f64 v[44:45], v[44:45], -v[162:163]
	ds_read2_b64 v[162:165], v220 offset0:32 offset1:33
	;; [unrolled: 8-line block ×11, first 2 shown]
	s_waitcnt lgkmcnt(0)
	v_mul_f64 v[52:53], v[164:165], v[166:167]
	v_fma_f64 v[52:53], v[162:163], v[50:51], -v[52:53]
	v_mul_f64 v[162:163], v[162:163], v[166:167]
	v_add_f64 v[2:3], v[2:3], -v[52:53]
	v_fma_f64 v[162:163], v[164:165], v[50:51], v[162:163]
	v_mov_b32_e32 v52, v166
	v_mov_b32_e32 v53, v167
	v_add_f64 v[4:5], v[4:5], -v[162:163]
.LBB51_127:
	s_or_b32 exec_lo, exec_lo, s1
	s_mov_b32 s2, exec_lo
	s_waitcnt lgkmcnt(0)
	s_barrier
	buffer_gl0_inv
	v_cmpx_eq_u32_e32 14, v0
	s_cbranch_execz .LBB51_134
; %bb.128:
	ds_write2_b64 v1, v[46:47], v[48:49] offset1:1
	ds_write2_b64 v220, v[42:43], v[44:45] offset0:30 offset1:31
	ds_write2_b64 v220, v[38:39], v[40:41] offset0:32 offset1:33
	;; [unrolled: 1-line block ×11, first 2 shown]
	ds_read2_b64 v[162:165], v1 offset1:1
	s_waitcnt lgkmcnt(0)
	v_cmp_neq_f64_e32 vcc_lo, 0, v[162:163]
	v_cmp_neq_f64_e64 s1, 0, v[164:165]
	s_or_b32 s1, vcc_lo, s1
	s_and_b32 exec_lo, exec_lo, s1
	s_cbranch_execz .LBB51_134
; %bb.129:
	v_cmp_ngt_f64_e64 s1, |v[162:163]|, |v[164:165]|
                                        ; implicit-def: $vgpr166_vgpr167
	s_and_saveexec_b32 s3, s1
	s_xor_b32 s1, exec_lo, s3
                                        ; implicit-def: $vgpr168_vgpr169
	s_cbranch_execz .LBB51_131
; %bb.130:
	v_div_scale_f64 v[166:167], null, v[164:165], v[164:165], v[162:163]
	v_div_scale_f64 v[172:173], vcc_lo, v[162:163], v[164:165], v[162:163]
	v_rcp_f64_e32 v[168:169], v[166:167]
	v_fma_f64 v[170:171], -v[166:167], v[168:169], 1.0
	v_fma_f64 v[168:169], v[168:169], v[170:171], v[168:169]
	v_fma_f64 v[170:171], -v[166:167], v[168:169], 1.0
	v_fma_f64 v[168:169], v[168:169], v[170:171], v[168:169]
	v_mul_f64 v[170:171], v[172:173], v[168:169]
	v_fma_f64 v[166:167], -v[166:167], v[170:171], v[172:173]
	v_div_fmas_f64 v[166:167], v[166:167], v[168:169], v[170:171]
	v_div_fixup_f64 v[166:167], v[166:167], v[164:165], v[162:163]
	v_fma_f64 v[162:163], v[162:163], v[166:167], v[164:165]
	v_div_scale_f64 v[164:165], null, v[162:163], v[162:163], 1.0
	v_rcp_f64_e32 v[168:169], v[164:165]
	v_fma_f64 v[170:171], -v[164:165], v[168:169], 1.0
	v_fma_f64 v[168:169], v[168:169], v[170:171], v[168:169]
	v_fma_f64 v[170:171], -v[164:165], v[168:169], 1.0
	v_fma_f64 v[168:169], v[168:169], v[170:171], v[168:169]
	v_div_scale_f64 v[170:171], vcc_lo, 1.0, v[162:163], 1.0
	v_mul_f64 v[172:173], v[170:171], v[168:169]
	v_fma_f64 v[164:165], -v[164:165], v[172:173], v[170:171]
	v_div_fmas_f64 v[164:165], v[164:165], v[168:169], v[172:173]
	v_div_fixup_f64 v[168:169], v[164:165], v[162:163], 1.0
                                        ; implicit-def: $vgpr162_vgpr163
	v_mul_f64 v[166:167], v[166:167], v[168:169]
	v_xor_b32_e32 v169, 0x80000000, v169
.LBB51_131:
	s_andn2_saveexec_b32 s1, s1
	s_cbranch_execz .LBB51_133
; %bb.132:
	v_div_scale_f64 v[166:167], null, v[162:163], v[162:163], v[164:165]
	v_div_scale_f64 v[172:173], vcc_lo, v[164:165], v[162:163], v[164:165]
	v_rcp_f64_e32 v[168:169], v[166:167]
	v_fma_f64 v[170:171], -v[166:167], v[168:169], 1.0
	v_fma_f64 v[168:169], v[168:169], v[170:171], v[168:169]
	v_fma_f64 v[170:171], -v[166:167], v[168:169], 1.0
	v_fma_f64 v[168:169], v[168:169], v[170:171], v[168:169]
	v_mul_f64 v[170:171], v[172:173], v[168:169]
	v_fma_f64 v[166:167], -v[166:167], v[170:171], v[172:173]
	v_div_fmas_f64 v[166:167], v[166:167], v[168:169], v[170:171]
	v_div_fixup_f64 v[168:169], v[166:167], v[162:163], v[164:165]
	v_fma_f64 v[162:163], v[164:165], v[168:169], v[162:163]
	v_div_scale_f64 v[164:165], null, v[162:163], v[162:163], 1.0
	v_rcp_f64_e32 v[166:167], v[164:165]
	v_fma_f64 v[170:171], -v[164:165], v[166:167], 1.0
	v_fma_f64 v[166:167], v[166:167], v[170:171], v[166:167]
	v_fma_f64 v[170:171], -v[164:165], v[166:167], 1.0
	v_fma_f64 v[166:167], v[166:167], v[170:171], v[166:167]
	v_div_scale_f64 v[170:171], vcc_lo, 1.0, v[162:163], 1.0
	v_mul_f64 v[172:173], v[170:171], v[166:167]
	v_fma_f64 v[164:165], -v[164:165], v[172:173], v[170:171]
	v_div_fmas_f64 v[164:165], v[164:165], v[166:167], v[172:173]
	v_div_fixup_f64 v[166:167], v[164:165], v[162:163], 1.0
	v_mul_f64 v[168:169], v[168:169], -v[166:167]
.LBB51_133:
	s_or_b32 exec_lo, exec_lo, s1
	ds_write2_b64 v1, v[166:167], v[168:169] offset1:1
.LBB51_134:
	s_or_b32 exec_lo, exec_lo, s2
	s_waitcnt lgkmcnt(0)
	s_barrier
	buffer_gl0_inv
	ds_read2_b64 v[162:165], v1 offset1:1
	s_mov_b32 s1, exec_lo
	v_cmpx_lt_u32_e32 14, v0
	s_cbranch_execz .LBB51_136
; %bb.135:
	s_waitcnt lgkmcnt(0)
	v_mul_f64 v[166:167], v[162:163], v[48:49]
	v_mul_f64 v[48:49], v[164:165], v[48:49]
	v_fma_f64 v[170:171], v[164:165], v[46:47], v[166:167]
	ds_read2_b64 v[166:169], v220 offset0:30 offset1:31
	v_fma_f64 v[46:47], v[162:163], v[46:47], -v[48:49]
	s_waitcnt lgkmcnt(0)
	v_mul_f64 v[48:49], v[168:169], v[170:171]
	v_fma_f64 v[48:49], v[166:167], v[46:47], -v[48:49]
	v_mul_f64 v[166:167], v[166:167], v[170:171]
	v_add_f64 v[42:43], v[42:43], -v[48:49]
	v_fma_f64 v[166:167], v[168:169], v[46:47], v[166:167]
	v_add_f64 v[44:45], v[44:45], -v[166:167]
	ds_read2_b64 v[166:169], v220 offset0:32 offset1:33
	s_waitcnt lgkmcnt(0)
	v_mul_f64 v[48:49], v[168:169], v[170:171]
	v_fma_f64 v[48:49], v[166:167], v[46:47], -v[48:49]
	v_mul_f64 v[166:167], v[166:167], v[170:171]
	v_add_f64 v[38:39], v[38:39], -v[48:49]
	v_fma_f64 v[166:167], v[168:169], v[46:47], v[166:167]
	v_add_f64 v[40:41], v[40:41], -v[166:167]
	ds_read2_b64 v[166:169], v220 offset0:34 offset1:35
	;; [unrolled: 8-line block ×10, first 2 shown]
	s_waitcnt lgkmcnt(0)
	v_mul_f64 v[48:49], v[168:169], v[170:171]
	v_fma_f64 v[48:49], v[166:167], v[46:47], -v[48:49]
	v_mul_f64 v[166:167], v[166:167], v[170:171]
	v_add_f64 v[2:3], v[2:3], -v[48:49]
	v_fma_f64 v[166:167], v[168:169], v[46:47], v[166:167]
	v_mov_b32_e32 v48, v170
	v_mov_b32_e32 v49, v171
	v_add_f64 v[4:5], v[4:5], -v[166:167]
.LBB51_136:
	s_or_b32 exec_lo, exec_lo, s1
	s_mov_b32 s2, exec_lo
	s_waitcnt lgkmcnt(0)
	s_barrier
	buffer_gl0_inv
	v_cmpx_eq_u32_e32 15, v0
	s_cbranch_execz .LBB51_143
; %bb.137:
	ds_write2_b64 v1, v[42:43], v[44:45] offset1:1
	ds_write2_b64 v220, v[38:39], v[40:41] offset0:32 offset1:33
	ds_write2_b64 v220, v[34:35], v[36:37] offset0:34 offset1:35
	;; [unrolled: 1-line block ×10, first 2 shown]
	ds_read2_b64 v[166:169], v1 offset1:1
	s_waitcnt lgkmcnt(0)
	v_cmp_neq_f64_e32 vcc_lo, 0, v[166:167]
	v_cmp_neq_f64_e64 s1, 0, v[168:169]
	s_or_b32 s1, vcc_lo, s1
	s_and_b32 exec_lo, exec_lo, s1
	s_cbranch_execz .LBB51_143
; %bb.138:
	v_cmp_ngt_f64_e64 s1, |v[166:167]|, |v[168:169]|
                                        ; implicit-def: $vgpr170_vgpr171
	s_and_saveexec_b32 s3, s1
	s_xor_b32 s1, exec_lo, s3
                                        ; implicit-def: $vgpr172_vgpr173
	s_cbranch_execz .LBB51_140
; %bb.139:
	v_div_scale_f64 v[170:171], null, v[168:169], v[168:169], v[166:167]
	v_div_scale_f64 v[176:177], vcc_lo, v[166:167], v[168:169], v[166:167]
	v_rcp_f64_e32 v[172:173], v[170:171]
	v_fma_f64 v[174:175], -v[170:171], v[172:173], 1.0
	v_fma_f64 v[172:173], v[172:173], v[174:175], v[172:173]
	v_fma_f64 v[174:175], -v[170:171], v[172:173], 1.0
	v_fma_f64 v[172:173], v[172:173], v[174:175], v[172:173]
	v_mul_f64 v[174:175], v[176:177], v[172:173]
	v_fma_f64 v[170:171], -v[170:171], v[174:175], v[176:177]
	v_div_fmas_f64 v[170:171], v[170:171], v[172:173], v[174:175]
	v_div_fixup_f64 v[170:171], v[170:171], v[168:169], v[166:167]
	v_fma_f64 v[166:167], v[166:167], v[170:171], v[168:169]
	v_div_scale_f64 v[168:169], null, v[166:167], v[166:167], 1.0
	v_rcp_f64_e32 v[172:173], v[168:169]
	v_fma_f64 v[174:175], -v[168:169], v[172:173], 1.0
	v_fma_f64 v[172:173], v[172:173], v[174:175], v[172:173]
	v_fma_f64 v[174:175], -v[168:169], v[172:173], 1.0
	v_fma_f64 v[172:173], v[172:173], v[174:175], v[172:173]
	v_div_scale_f64 v[174:175], vcc_lo, 1.0, v[166:167], 1.0
	v_mul_f64 v[176:177], v[174:175], v[172:173]
	v_fma_f64 v[168:169], -v[168:169], v[176:177], v[174:175]
	v_div_fmas_f64 v[168:169], v[168:169], v[172:173], v[176:177]
	v_div_fixup_f64 v[172:173], v[168:169], v[166:167], 1.0
                                        ; implicit-def: $vgpr166_vgpr167
	v_mul_f64 v[170:171], v[170:171], v[172:173]
	v_xor_b32_e32 v173, 0x80000000, v173
.LBB51_140:
	s_andn2_saveexec_b32 s1, s1
	s_cbranch_execz .LBB51_142
; %bb.141:
	v_div_scale_f64 v[170:171], null, v[166:167], v[166:167], v[168:169]
	v_div_scale_f64 v[176:177], vcc_lo, v[168:169], v[166:167], v[168:169]
	v_rcp_f64_e32 v[172:173], v[170:171]
	v_fma_f64 v[174:175], -v[170:171], v[172:173], 1.0
	v_fma_f64 v[172:173], v[172:173], v[174:175], v[172:173]
	v_fma_f64 v[174:175], -v[170:171], v[172:173], 1.0
	v_fma_f64 v[172:173], v[172:173], v[174:175], v[172:173]
	v_mul_f64 v[174:175], v[176:177], v[172:173]
	v_fma_f64 v[170:171], -v[170:171], v[174:175], v[176:177]
	v_div_fmas_f64 v[170:171], v[170:171], v[172:173], v[174:175]
	v_div_fixup_f64 v[172:173], v[170:171], v[166:167], v[168:169]
	v_fma_f64 v[166:167], v[168:169], v[172:173], v[166:167]
	v_div_scale_f64 v[168:169], null, v[166:167], v[166:167], 1.0
	v_rcp_f64_e32 v[170:171], v[168:169]
	v_fma_f64 v[174:175], -v[168:169], v[170:171], 1.0
	v_fma_f64 v[170:171], v[170:171], v[174:175], v[170:171]
	v_fma_f64 v[174:175], -v[168:169], v[170:171], 1.0
	v_fma_f64 v[170:171], v[170:171], v[174:175], v[170:171]
	v_div_scale_f64 v[174:175], vcc_lo, 1.0, v[166:167], 1.0
	v_mul_f64 v[176:177], v[174:175], v[170:171]
	v_fma_f64 v[168:169], -v[168:169], v[176:177], v[174:175]
	v_div_fmas_f64 v[168:169], v[168:169], v[170:171], v[176:177]
	v_div_fixup_f64 v[170:171], v[168:169], v[166:167], 1.0
	v_mul_f64 v[172:173], v[172:173], -v[170:171]
.LBB51_142:
	s_or_b32 exec_lo, exec_lo, s1
	ds_write2_b64 v1, v[170:171], v[172:173] offset1:1
.LBB51_143:
	s_or_b32 exec_lo, exec_lo, s2
	s_waitcnt lgkmcnt(0)
	s_barrier
	buffer_gl0_inv
	ds_read2_b64 v[166:169], v1 offset1:1
	s_mov_b32 s1, exec_lo
	v_cmpx_lt_u32_e32 15, v0
	s_cbranch_execz .LBB51_145
; %bb.144:
	s_waitcnt lgkmcnt(0)
	v_mul_f64 v[170:171], v[166:167], v[44:45]
	v_mul_f64 v[44:45], v[168:169], v[44:45]
	v_fma_f64 v[174:175], v[168:169], v[42:43], v[170:171]
	ds_read2_b64 v[170:173], v220 offset0:32 offset1:33
	v_fma_f64 v[42:43], v[166:167], v[42:43], -v[44:45]
	s_waitcnt lgkmcnt(0)
	v_mul_f64 v[44:45], v[172:173], v[174:175]
	v_fma_f64 v[44:45], v[170:171], v[42:43], -v[44:45]
	v_mul_f64 v[170:171], v[170:171], v[174:175]
	v_add_f64 v[38:39], v[38:39], -v[44:45]
	v_fma_f64 v[170:171], v[172:173], v[42:43], v[170:171]
	v_add_f64 v[40:41], v[40:41], -v[170:171]
	ds_read2_b64 v[170:173], v220 offset0:34 offset1:35
	s_waitcnt lgkmcnt(0)
	v_mul_f64 v[44:45], v[172:173], v[174:175]
	v_fma_f64 v[44:45], v[170:171], v[42:43], -v[44:45]
	v_mul_f64 v[170:171], v[170:171], v[174:175]
	v_add_f64 v[34:35], v[34:35], -v[44:45]
	v_fma_f64 v[170:171], v[172:173], v[42:43], v[170:171]
	v_add_f64 v[36:37], v[36:37], -v[170:171]
	ds_read2_b64 v[170:173], v220 offset0:36 offset1:37
	;; [unrolled: 8-line block ×9, first 2 shown]
	s_waitcnt lgkmcnt(0)
	v_mul_f64 v[44:45], v[172:173], v[174:175]
	v_fma_f64 v[44:45], v[170:171], v[42:43], -v[44:45]
	v_mul_f64 v[170:171], v[170:171], v[174:175]
	v_add_f64 v[2:3], v[2:3], -v[44:45]
	v_fma_f64 v[170:171], v[172:173], v[42:43], v[170:171]
	v_mov_b32_e32 v44, v174
	v_mov_b32_e32 v45, v175
	v_add_f64 v[4:5], v[4:5], -v[170:171]
.LBB51_145:
	s_or_b32 exec_lo, exec_lo, s1
	s_mov_b32 s2, exec_lo
	s_waitcnt lgkmcnt(0)
	s_barrier
	buffer_gl0_inv
	v_cmpx_eq_u32_e32 16, v0
	s_cbranch_execz .LBB51_152
; %bb.146:
	ds_write2_b64 v1, v[38:39], v[40:41] offset1:1
	ds_write2_b64 v220, v[34:35], v[36:37] offset0:34 offset1:35
	ds_write2_b64 v220, v[30:31], v[32:33] offset0:36 offset1:37
	;; [unrolled: 1-line block ×9, first 2 shown]
	ds_read2_b64 v[170:173], v1 offset1:1
	s_waitcnt lgkmcnt(0)
	v_cmp_neq_f64_e32 vcc_lo, 0, v[170:171]
	v_cmp_neq_f64_e64 s1, 0, v[172:173]
	s_or_b32 s1, vcc_lo, s1
	s_and_b32 exec_lo, exec_lo, s1
	s_cbranch_execz .LBB51_152
; %bb.147:
	v_cmp_ngt_f64_e64 s1, |v[170:171]|, |v[172:173]|
                                        ; implicit-def: $vgpr174_vgpr175
	s_and_saveexec_b32 s3, s1
	s_xor_b32 s1, exec_lo, s3
                                        ; implicit-def: $vgpr176_vgpr177
	s_cbranch_execz .LBB51_149
; %bb.148:
	v_div_scale_f64 v[174:175], null, v[172:173], v[172:173], v[170:171]
	v_div_scale_f64 v[180:181], vcc_lo, v[170:171], v[172:173], v[170:171]
	v_rcp_f64_e32 v[176:177], v[174:175]
	v_fma_f64 v[178:179], -v[174:175], v[176:177], 1.0
	v_fma_f64 v[176:177], v[176:177], v[178:179], v[176:177]
	v_fma_f64 v[178:179], -v[174:175], v[176:177], 1.0
	v_fma_f64 v[176:177], v[176:177], v[178:179], v[176:177]
	v_mul_f64 v[178:179], v[180:181], v[176:177]
	v_fma_f64 v[174:175], -v[174:175], v[178:179], v[180:181]
	v_div_fmas_f64 v[174:175], v[174:175], v[176:177], v[178:179]
	v_div_fixup_f64 v[174:175], v[174:175], v[172:173], v[170:171]
	v_fma_f64 v[170:171], v[170:171], v[174:175], v[172:173]
	v_div_scale_f64 v[172:173], null, v[170:171], v[170:171], 1.0
	v_rcp_f64_e32 v[176:177], v[172:173]
	v_fma_f64 v[178:179], -v[172:173], v[176:177], 1.0
	v_fma_f64 v[176:177], v[176:177], v[178:179], v[176:177]
	v_fma_f64 v[178:179], -v[172:173], v[176:177], 1.0
	v_fma_f64 v[176:177], v[176:177], v[178:179], v[176:177]
	v_div_scale_f64 v[178:179], vcc_lo, 1.0, v[170:171], 1.0
	v_mul_f64 v[180:181], v[178:179], v[176:177]
	v_fma_f64 v[172:173], -v[172:173], v[180:181], v[178:179]
	v_div_fmas_f64 v[172:173], v[172:173], v[176:177], v[180:181]
	v_div_fixup_f64 v[176:177], v[172:173], v[170:171], 1.0
                                        ; implicit-def: $vgpr170_vgpr171
	v_mul_f64 v[174:175], v[174:175], v[176:177]
	v_xor_b32_e32 v177, 0x80000000, v177
.LBB51_149:
	s_andn2_saveexec_b32 s1, s1
	s_cbranch_execz .LBB51_151
; %bb.150:
	v_div_scale_f64 v[174:175], null, v[170:171], v[170:171], v[172:173]
	v_div_scale_f64 v[180:181], vcc_lo, v[172:173], v[170:171], v[172:173]
	v_rcp_f64_e32 v[176:177], v[174:175]
	v_fma_f64 v[178:179], -v[174:175], v[176:177], 1.0
	v_fma_f64 v[176:177], v[176:177], v[178:179], v[176:177]
	v_fma_f64 v[178:179], -v[174:175], v[176:177], 1.0
	v_fma_f64 v[176:177], v[176:177], v[178:179], v[176:177]
	v_mul_f64 v[178:179], v[180:181], v[176:177]
	v_fma_f64 v[174:175], -v[174:175], v[178:179], v[180:181]
	v_div_fmas_f64 v[174:175], v[174:175], v[176:177], v[178:179]
	v_div_fixup_f64 v[176:177], v[174:175], v[170:171], v[172:173]
	v_fma_f64 v[170:171], v[172:173], v[176:177], v[170:171]
	v_div_scale_f64 v[172:173], null, v[170:171], v[170:171], 1.0
	v_rcp_f64_e32 v[174:175], v[172:173]
	v_fma_f64 v[178:179], -v[172:173], v[174:175], 1.0
	v_fma_f64 v[174:175], v[174:175], v[178:179], v[174:175]
	v_fma_f64 v[178:179], -v[172:173], v[174:175], 1.0
	v_fma_f64 v[174:175], v[174:175], v[178:179], v[174:175]
	v_div_scale_f64 v[178:179], vcc_lo, 1.0, v[170:171], 1.0
	v_mul_f64 v[180:181], v[178:179], v[174:175]
	v_fma_f64 v[172:173], -v[172:173], v[180:181], v[178:179]
	v_div_fmas_f64 v[172:173], v[172:173], v[174:175], v[180:181]
	v_div_fixup_f64 v[174:175], v[172:173], v[170:171], 1.0
	v_mul_f64 v[176:177], v[176:177], -v[174:175]
.LBB51_151:
	s_or_b32 exec_lo, exec_lo, s1
	ds_write2_b64 v1, v[174:175], v[176:177] offset1:1
.LBB51_152:
	s_or_b32 exec_lo, exec_lo, s2
	s_waitcnt lgkmcnt(0)
	s_barrier
	buffer_gl0_inv
	ds_read2_b64 v[170:173], v1 offset1:1
	s_mov_b32 s1, exec_lo
	v_cmpx_lt_u32_e32 16, v0
	s_cbranch_execz .LBB51_154
; %bb.153:
	s_waitcnt lgkmcnt(0)
	v_mul_f64 v[174:175], v[170:171], v[40:41]
	v_mul_f64 v[40:41], v[172:173], v[40:41]
	v_fma_f64 v[178:179], v[172:173], v[38:39], v[174:175]
	ds_read2_b64 v[174:177], v220 offset0:34 offset1:35
	v_fma_f64 v[38:39], v[170:171], v[38:39], -v[40:41]
	s_waitcnt lgkmcnt(0)
	v_mul_f64 v[40:41], v[176:177], v[178:179]
	v_fma_f64 v[40:41], v[174:175], v[38:39], -v[40:41]
	v_mul_f64 v[174:175], v[174:175], v[178:179]
	v_add_f64 v[34:35], v[34:35], -v[40:41]
	v_fma_f64 v[174:175], v[176:177], v[38:39], v[174:175]
	v_add_f64 v[36:37], v[36:37], -v[174:175]
	ds_read2_b64 v[174:177], v220 offset0:36 offset1:37
	s_waitcnt lgkmcnt(0)
	v_mul_f64 v[40:41], v[176:177], v[178:179]
	v_fma_f64 v[40:41], v[174:175], v[38:39], -v[40:41]
	v_mul_f64 v[174:175], v[174:175], v[178:179]
	v_add_f64 v[30:31], v[30:31], -v[40:41]
	v_fma_f64 v[174:175], v[176:177], v[38:39], v[174:175]
	v_add_f64 v[32:33], v[32:33], -v[174:175]
	ds_read2_b64 v[174:177], v220 offset0:38 offset1:39
	;; [unrolled: 8-line block ×8, first 2 shown]
	s_waitcnt lgkmcnt(0)
	v_mul_f64 v[40:41], v[176:177], v[178:179]
	v_fma_f64 v[40:41], v[174:175], v[38:39], -v[40:41]
	v_mul_f64 v[174:175], v[174:175], v[178:179]
	v_add_f64 v[2:3], v[2:3], -v[40:41]
	v_fma_f64 v[174:175], v[176:177], v[38:39], v[174:175]
	v_mov_b32_e32 v40, v178
	v_mov_b32_e32 v41, v179
	v_add_f64 v[4:5], v[4:5], -v[174:175]
.LBB51_154:
	s_or_b32 exec_lo, exec_lo, s1
	s_mov_b32 s2, exec_lo
	s_waitcnt lgkmcnt(0)
	s_barrier
	buffer_gl0_inv
	v_cmpx_eq_u32_e32 17, v0
	s_cbranch_execz .LBB51_161
; %bb.155:
	ds_write2_b64 v1, v[34:35], v[36:37] offset1:1
	ds_write2_b64 v220, v[30:31], v[32:33] offset0:36 offset1:37
	ds_write2_b64 v220, v[26:27], v[28:29] offset0:38 offset1:39
	;; [unrolled: 1-line block ×8, first 2 shown]
	ds_read2_b64 v[174:177], v1 offset1:1
	s_waitcnt lgkmcnt(0)
	v_cmp_neq_f64_e32 vcc_lo, 0, v[174:175]
	v_cmp_neq_f64_e64 s1, 0, v[176:177]
	s_or_b32 s1, vcc_lo, s1
	s_and_b32 exec_lo, exec_lo, s1
	s_cbranch_execz .LBB51_161
; %bb.156:
	v_cmp_ngt_f64_e64 s1, |v[174:175]|, |v[176:177]|
                                        ; implicit-def: $vgpr178_vgpr179
	s_and_saveexec_b32 s3, s1
	s_xor_b32 s1, exec_lo, s3
                                        ; implicit-def: $vgpr180_vgpr181
	s_cbranch_execz .LBB51_158
; %bb.157:
	v_div_scale_f64 v[178:179], null, v[176:177], v[176:177], v[174:175]
	v_div_scale_f64 v[184:185], vcc_lo, v[174:175], v[176:177], v[174:175]
	v_rcp_f64_e32 v[180:181], v[178:179]
	v_fma_f64 v[182:183], -v[178:179], v[180:181], 1.0
	v_fma_f64 v[180:181], v[180:181], v[182:183], v[180:181]
	v_fma_f64 v[182:183], -v[178:179], v[180:181], 1.0
	v_fma_f64 v[180:181], v[180:181], v[182:183], v[180:181]
	v_mul_f64 v[182:183], v[184:185], v[180:181]
	v_fma_f64 v[178:179], -v[178:179], v[182:183], v[184:185]
	v_div_fmas_f64 v[178:179], v[178:179], v[180:181], v[182:183]
	v_div_fixup_f64 v[178:179], v[178:179], v[176:177], v[174:175]
	v_fma_f64 v[174:175], v[174:175], v[178:179], v[176:177]
	v_div_scale_f64 v[176:177], null, v[174:175], v[174:175], 1.0
	v_rcp_f64_e32 v[180:181], v[176:177]
	v_fma_f64 v[182:183], -v[176:177], v[180:181], 1.0
	v_fma_f64 v[180:181], v[180:181], v[182:183], v[180:181]
	v_fma_f64 v[182:183], -v[176:177], v[180:181], 1.0
	v_fma_f64 v[180:181], v[180:181], v[182:183], v[180:181]
	v_div_scale_f64 v[182:183], vcc_lo, 1.0, v[174:175], 1.0
	v_mul_f64 v[184:185], v[182:183], v[180:181]
	v_fma_f64 v[176:177], -v[176:177], v[184:185], v[182:183]
	v_div_fmas_f64 v[176:177], v[176:177], v[180:181], v[184:185]
	v_div_fixup_f64 v[180:181], v[176:177], v[174:175], 1.0
                                        ; implicit-def: $vgpr174_vgpr175
	v_mul_f64 v[178:179], v[178:179], v[180:181]
	v_xor_b32_e32 v181, 0x80000000, v181
.LBB51_158:
	s_andn2_saveexec_b32 s1, s1
	s_cbranch_execz .LBB51_160
; %bb.159:
	v_div_scale_f64 v[178:179], null, v[174:175], v[174:175], v[176:177]
	v_div_scale_f64 v[184:185], vcc_lo, v[176:177], v[174:175], v[176:177]
	v_rcp_f64_e32 v[180:181], v[178:179]
	v_fma_f64 v[182:183], -v[178:179], v[180:181], 1.0
	v_fma_f64 v[180:181], v[180:181], v[182:183], v[180:181]
	v_fma_f64 v[182:183], -v[178:179], v[180:181], 1.0
	v_fma_f64 v[180:181], v[180:181], v[182:183], v[180:181]
	v_mul_f64 v[182:183], v[184:185], v[180:181]
	v_fma_f64 v[178:179], -v[178:179], v[182:183], v[184:185]
	v_div_fmas_f64 v[178:179], v[178:179], v[180:181], v[182:183]
	v_div_fixup_f64 v[180:181], v[178:179], v[174:175], v[176:177]
	v_fma_f64 v[174:175], v[176:177], v[180:181], v[174:175]
	v_div_scale_f64 v[176:177], null, v[174:175], v[174:175], 1.0
	v_rcp_f64_e32 v[178:179], v[176:177]
	v_fma_f64 v[182:183], -v[176:177], v[178:179], 1.0
	v_fma_f64 v[178:179], v[178:179], v[182:183], v[178:179]
	v_fma_f64 v[182:183], -v[176:177], v[178:179], 1.0
	v_fma_f64 v[178:179], v[178:179], v[182:183], v[178:179]
	v_div_scale_f64 v[182:183], vcc_lo, 1.0, v[174:175], 1.0
	v_mul_f64 v[184:185], v[182:183], v[178:179]
	v_fma_f64 v[176:177], -v[176:177], v[184:185], v[182:183]
	v_div_fmas_f64 v[176:177], v[176:177], v[178:179], v[184:185]
	v_div_fixup_f64 v[178:179], v[176:177], v[174:175], 1.0
	v_mul_f64 v[180:181], v[180:181], -v[178:179]
.LBB51_160:
	s_or_b32 exec_lo, exec_lo, s1
	ds_write2_b64 v1, v[178:179], v[180:181] offset1:1
.LBB51_161:
	s_or_b32 exec_lo, exec_lo, s2
	s_waitcnt lgkmcnt(0)
	s_barrier
	buffer_gl0_inv
	ds_read2_b64 v[174:177], v1 offset1:1
	s_mov_b32 s1, exec_lo
	v_cmpx_lt_u32_e32 17, v0
	s_cbranch_execz .LBB51_163
; %bb.162:
	s_waitcnt lgkmcnt(0)
	v_mul_f64 v[178:179], v[174:175], v[36:37]
	v_mul_f64 v[36:37], v[176:177], v[36:37]
	v_fma_f64 v[182:183], v[176:177], v[34:35], v[178:179]
	ds_read2_b64 v[178:181], v220 offset0:36 offset1:37
	v_fma_f64 v[34:35], v[174:175], v[34:35], -v[36:37]
	s_waitcnt lgkmcnt(0)
	v_mul_f64 v[36:37], v[180:181], v[182:183]
	v_fma_f64 v[36:37], v[178:179], v[34:35], -v[36:37]
	v_mul_f64 v[178:179], v[178:179], v[182:183]
	v_add_f64 v[30:31], v[30:31], -v[36:37]
	v_fma_f64 v[178:179], v[180:181], v[34:35], v[178:179]
	v_add_f64 v[32:33], v[32:33], -v[178:179]
	ds_read2_b64 v[178:181], v220 offset0:38 offset1:39
	s_waitcnt lgkmcnt(0)
	v_mul_f64 v[36:37], v[180:181], v[182:183]
	v_fma_f64 v[36:37], v[178:179], v[34:35], -v[36:37]
	v_mul_f64 v[178:179], v[178:179], v[182:183]
	v_add_f64 v[26:27], v[26:27], -v[36:37]
	v_fma_f64 v[178:179], v[180:181], v[34:35], v[178:179]
	v_add_f64 v[28:29], v[28:29], -v[178:179]
	ds_read2_b64 v[178:181], v220 offset0:40 offset1:41
	;; [unrolled: 8-line block ×7, first 2 shown]
	s_waitcnt lgkmcnt(0)
	v_mul_f64 v[36:37], v[180:181], v[182:183]
	v_fma_f64 v[36:37], v[178:179], v[34:35], -v[36:37]
	v_mul_f64 v[178:179], v[178:179], v[182:183]
	v_add_f64 v[2:3], v[2:3], -v[36:37]
	v_fma_f64 v[178:179], v[180:181], v[34:35], v[178:179]
	v_mov_b32_e32 v36, v182
	v_mov_b32_e32 v37, v183
	v_add_f64 v[4:5], v[4:5], -v[178:179]
.LBB51_163:
	s_or_b32 exec_lo, exec_lo, s1
	s_mov_b32 s2, exec_lo
	s_waitcnt lgkmcnt(0)
	s_barrier
	buffer_gl0_inv
	v_cmpx_eq_u32_e32 18, v0
	s_cbranch_execz .LBB51_170
; %bb.164:
	ds_write2_b64 v1, v[30:31], v[32:33] offset1:1
	ds_write2_b64 v220, v[26:27], v[28:29] offset0:38 offset1:39
	ds_write2_b64 v220, v[22:23], v[24:25] offset0:40 offset1:41
	;; [unrolled: 1-line block ×7, first 2 shown]
	ds_read2_b64 v[178:181], v1 offset1:1
	s_waitcnt lgkmcnt(0)
	v_cmp_neq_f64_e32 vcc_lo, 0, v[178:179]
	v_cmp_neq_f64_e64 s1, 0, v[180:181]
	s_or_b32 s1, vcc_lo, s1
	s_and_b32 exec_lo, exec_lo, s1
	s_cbranch_execz .LBB51_170
; %bb.165:
	v_cmp_ngt_f64_e64 s1, |v[178:179]|, |v[180:181]|
                                        ; implicit-def: $vgpr182_vgpr183
	s_and_saveexec_b32 s3, s1
	s_xor_b32 s1, exec_lo, s3
                                        ; implicit-def: $vgpr184_vgpr185
	s_cbranch_execz .LBB51_167
; %bb.166:
	v_div_scale_f64 v[182:183], null, v[180:181], v[180:181], v[178:179]
	v_div_scale_f64 v[188:189], vcc_lo, v[178:179], v[180:181], v[178:179]
	v_rcp_f64_e32 v[184:185], v[182:183]
	v_fma_f64 v[186:187], -v[182:183], v[184:185], 1.0
	v_fma_f64 v[184:185], v[184:185], v[186:187], v[184:185]
	v_fma_f64 v[186:187], -v[182:183], v[184:185], 1.0
	v_fma_f64 v[184:185], v[184:185], v[186:187], v[184:185]
	v_mul_f64 v[186:187], v[188:189], v[184:185]
	v_fma_f64 v[182:183], -v[182:183], v[186:187], v[188:189]
	v_div_fmas_f64 v[182:183], v[182:183], v[184:185], v[186:187]
	v_div_fixup_f64 v[182:183], v[182:183], v[180:181], v[178:179]
	v_fma_f64 v[178:179], v[178:179], v[182:183], v[180:181]
	v_div_scale_f64 v[180:181], null, v[178:179], v[178:179], 1.0
	v_rcp_f64_e32 v[184:185], v[180:181]
	v_fma_f64 v[186:187], -v[180:181], v[184:185], 1.0
	v_fma_f64 v[184:185], v[184:185], v[186:187], v[184:185]
	v_fma_f64 v[186:187], -v[180:181], v[184:185], 1.0
	v_fma_f64 v[184:185], v[184:185], v[186:187], v[184:185]
	v_div_scale_f64 v[186:187], vcc_lo, 1.0, v[178:179], 1.0
	v_mul_f64 v[188:189], v[186:187], v[184:185]
	v_fma_f64 v[180:181], -v[180:181], v[188:189], v[186:187]
	v_div_fmas_f64 v[180:181], v[180:181], v[184:185], v[188:189]
	v_div_fixup_f64 v[184:185], v[180:181], v[178:179], 1.0
                                        ; implicit-def: $vgpr178_vgpr179
	v_mul_f64 v[182:183], v[182:183], v[184:185]
	v_xor_b32_e32 v185, 0x80000000, v185
.LBB51_167:
	s_andn2_saveexec_b32 s1, s1
	s_cbranch_execz .LBB51_169
; %bb.168:
	v_div_scale_f64 v[182:183], null, v[178:179], v[178:179], v[180:181]
	v_div_scale_f64 v[188:189], vcc_lo, v[180:181], v[178:179], v[180:181]
	v_rcp_f64_e32 v[184:185], v[182:183]
	v_fma_f64 v[186:187], -v[182:183], v[184:185], 1.0
	v_fma_f64 v[184:185], v[184:185], v[186:187], v[184:185]
	v_fma_f64 v[186:187], -v[182:183], v[184:185], 1.0
	v_fma_f64 v[184:185], v[184:185], v[186:187], v[184:185]
	v_mul_f64 v[186:187], v[188:189], v[184:185]
	v_fma_f64 v[182:183], -v[182:183], v[186:187], v[188:189]
	v_div_fmas_f64 v[182:183], v[182:183], v[184:185], v[186:187]
	v_div_fixup_f64 v[184:185], v[182:183], v[178:179], v[180:181]
	v_fma_f64 v[178:179], v[180:181], v[184:185], v[178:179]
	v_div_scale_f64 v[180:181], null, v[178:179], v[178:179], 1.0
	v_rcp_f64_e32 v[182:183], v[180:181]
	v_fma_f64 v[186:187], -v[180:181], v[182:183], 1.0
	v_fma_f64 v[182:183], v[182:183], v[186:187], v[182:183]
	v_fma_f64 v[186:187], -v[180:181], v[182:183], 1.0
	v_fma_f64 v[182:183], v[182:183], v[186:187], v[182:183]
	v_div_scale_f64 v[186:187], vcc_lo, 1.0, v[178:179], 1.0
	v_mul_f64 v[188:189], v[186:187], v[182:183]
	v_fma_f64 v[180:181], -v[180:181], v[188:189], v[186:187]
	v_div_fmas_f64 v[180:181], v[180:181], v[182:183], v[188:189]
	v_div_fixup_f64 v[182:183], v[180:181], v[178:179], 1.0
	v_mul_f64 v[184:185], v[184:185], -v[182:183]
.LBB51_169:
	s_or_b32 exec_lo, exec_lo, s1
	ds_write2_b64 v1, v[182:183], v[184:185] offset1:1
.LBB51_170:
	s_or_b32 exec_lo, exec_lo, s2
	s_waitcnt lgkmcnt(0)
	s_barrier
	buffer_gl0_inv
	ds_read2_b64 v[178:181], v1 offset1:1
	s_mov_b32 s1, exec_lo
	v_cmpx_lt_u32_e32 18, v0
	s_cbranch_execz .LBB51_172
; %bb.171:
	s_waitcnt lgkmcnt(0)
	v_mul_f64 v[182:183], v[178:179], v[32:33]
	v_mul_f64 v[32:33], v[180:181], v[32:33]
	v_fma_f64 v[186:187], v[180:181], v[30:31], v[182:183]
	ds_read2_b64 v[182:185], v220 offset0:38 offset1:39
	v_fma_f64 v[30:31], v[178:179], v[30:31], -v[32:33]
	s_waitcnt lgkmcnt(0)
	v_mul_f64 v[32:33], v[184:185], v[186:187]
	v_fma_f64 v[32:33], v[182:183], v[30:31], -v[32:33]
	v_mul_f64 v[182:183], v[182:183], v[186:187]
	v_add_f64 v[26:27], v[26:27], -v[32:33]
	v_fma_f64 v[182:183], v[184:185], v[30:31], v[182:183]
	v_add_f64 v[28:29], v[28:29], -v[182:183]
	ds_read2_b64 v[182:185], v220 offset0:40 offset1:41
	s_waitcnt lgkmcnt(0)
	v_mul_f64 v[32:33], v[184:185], v[186:187]
	v_fma_f64 v[32:33], v[182:183], v[30:31], -v[32:33]
	v_mul_f64 v[182:183], v[182:183], v[186:187]
	v_add_f64 v[22:23], v[22:23], -v[32:33]
	v_fma_f64 v[182:183], v[184:185], v[30:31], v[182:183]
	v_add_f64 v[24:25], v[24:25], -v[182:183]
	ds_read2_b64 v[182:185], v220 offset0:42 offset1:43
	;; [unrolled: 8-line block ×6, first 2 shown]
	s_waitcnt lgkmcnt(0)
	v_mul_f64 v[32:33], v[184:185], v[186:187]
	v_fma_f64 v[32:33], v[182:183], v[30:31], -v[32:33]
	v_mul_f64 v[182:183], v[182:183], v[186:187]
	v_add_f64 v[2:3], v[2:3], -v[32:33]
	v_fma_f64 v[182:183], v[184:185], v[30:31], v[182:183]
	v_mov_b32_e32 v32, v186
	v_mov_b32_e32 v33, v187
	v_add_f64 v[4:5], v[4:5], -v[182:183]
.LBB51_172:
	s_or_b32 exec_lo, exec_lo, s1
	s_mov_b32 s2, exec_lo
	s_waitcnt lgkmcnt(0)
	s_barrier
	buffer_gl0_inv
	v_cmpx_eq_u32_e32 19, v0
	s_cbranch_execz .LBB51_179
; %bb.173:
	ds_write2_b64 v1, v[26:27], v[28:29] offset1:1
	ds_write2_b64 v220, v[22:23], v[24:25] offset0:40 offset1:41
	ds_write2_b64 v220, v[18:19], v[20:21] offset0:42 offset1:43
	;; [unrolled: 1-line block ×6, first 2 shown]
	ds_read2_b64 v[182:185], v1 offset1:1
	s_waitcnt lgkmcnt(0)
	v_cmp_neq_f64_e32 vcc_lo, 0, v[182:183]
	v_cmp_neq_f64_e64 s1, 0, v[184:185]
	s_or_b32 s1, vcc_lo, s1
	s_and_b32 exec_lo, exec_lo, s1
	s_cbranch_execz .LBB51_179
; %bb.174:
	v_cmp_ngt_f64_e64 s1, |v[182:183]|, |v[184:185]|
                                        ; implicit-def: $vgpr186_vgpr187
	s_and_saveexec_b32 s3, s1
	s_xor_b32 s1, exec_lo, s3
                                        ; implicit-def: $vgpr188_vgpr189
	s_cbranch_execz .LBB51_176
; %bb.175:
	v_div_scale_f64 v[186:187], null, v[184:185], v[184:185], v[182:183]
	v_div_scale_f64 v[192:193], vcc_lo, v[182:183], v[184:185], v[182:183]
	v_rcp_f64_e32 v[188:189], v[186:187]
	v_fma_f64 v[190:191], -v[186:187], v[188:189], 1.0
	v_fma_f64 v[188:189], v[188:189], v[190:191], v[188:189]
	v_fma_f64 v[190:191], -v[186:187], v[188:189], 1.0
	v_fma_f64 v[188:189], v[188:189], v[190:191], v[188:189]
	v_mul_f64 v[190:191], v[192:193], v[188:189]
	v_fma_f64 v[186:187], -v[186:187], v[190:191], v[192:193]
	v_div_fmas_f64 v[186:187], v[186:187], v[188:189], v[190:191]
	v_div_fixup_f64 v[186:187], v[186:187], v[184:185], v[182:183]
	v_fma_f64 v[182:183], v[182:183], v[186:187], v[184:185]
	v_div_scale_f64 v[184:185], null, v[182:183], v[182:183], 1.0
	v_rcp_f64_e32 v[188:189], v[184:185]
	v_fma_f64 v[190:191], -v[184:185], v[188:189], 1.0
	v_fma_f64 v[188:189], v[188:189], v[190:191], v[188:189]
	v_fma_f64 v[190:191], -v[184:185], v[188:189], 1.0
	v_fma_f64 v[188:189], v[188:189], v[190:191], v[188:189]
	v_div_scale_f64 v[190:191], vcc_lo, 1.0, v[182:183], 1.0
	v_mul_f64 v[192:193], v[190:191], v[188:189]
	v_fma_f64 v[184:185], -v[184:185], v[192:193], v[190:191]
	v_div_fmas_f64 v[184:185], v[184:185], v[188:189], v[192:193]
	v_div_fixup_f64 v[188:189], v[184:185], v[182:183], 1.0
                                        ; implicit-def: $vgpr182_vgpr183
	v_mul_f64 v[186:187], v[186:187], v[188:189]
	v_xor_b32_e32 v189, 0x80000000, v189
.LBB51_176:
	s_andn2_saveexec_b32 s1, s1
	s_cbranch_execz .LBB51_178
; %bb.177:
	v_div_scale_f64 v[186:187], null, v[182:183], v[182:183], v[184:185]
	v_div_scale_f64 v[192:193], vcc_lo, v[184:185], v[182:183], v[184:185]
	v_rcp_f64_e32 v[188:189], v[186:187]
	v_fma_f64 v[190:191], -v[186:187], v[188:189], 1.0
	v_fma_f64 v[188:189], v[188:189], v[190:191], v[188:189]
	v_fma_f64 v[190:191], -v[186:187], v[188:189], 1.0
	v_fma_f64 v[188:189], v[188:189], v[190:191], v[188:189]
	v_mul_f64 v[190:191], v[192:193], v[188:189]
	v_fma_f64 v[186:187], -v[186:187], v[190:191], v[192:193]
	v_div_fmas_f64 v[186:187], v[186:187], v[188:189], v[190:191]
	v_div_fixup_f64 v[188:189], v[186:187], v[182:183], v[184:185]
	v_fma_f64 v[182:183], v[184:185], v[188:189], v[182:183]
	v_div_scale_f64 v[184:185], null, v[182:183], v[182:183], 1.0
	v_rcp_f64_e32 v[186:187], v[184:185]
	v_fma_f64 v[190:191], -v[184:185], v[186:187], 1.0
	v_fma_f64 v[186:187], v[186:187], v[190:191], v[186:187]
	v_fma_f64 v[190:191], -v[184:185], v[186:187], 1.0
	v_fma_f64 v[186:187], v[186:187], v[190:191], v[186:187]
	v_div_scale_f64 v[190:191], vcc_lo, 1.0, v[182:183], 1.0
	v_mul_f64 v[192:193], v[190:191], v[186:187]
	v_fma_f64 v[184:185], -v[184:185], v[192:193], v[190:191]
	v_div_fmas_f64 v[184:185], v[184:185], v[186:187], v[192:193]
	v_div_fixup_f64 v[186:187], v[184:185], v[182:183], 1.0
	v_mul_f64 v[188:189], v[188:189], -v[186:187]
.LBB51_178:
	s_or_b32 exec_lo, exec_lo, s1
	ds_write2_b64 v1, v[186:187], v[188:189] offset1:1
.LBB51_179:
	s_or_b32 exec_lo, exec_lo, s2
	s_waitcnt lgkmcnt(0)
	s_barrier
	buffer_gl0_inv
	ds_read2_b64 v[182:185], v1 offset1:1
	s_mov_b32 s1, exec_lo
	v_cmpx_lt_u32_e32 19, v0
	s_cbranch_execz .LBB51_181
; %bb.180:
	s_waitcnt lgkmcnt(0)
	v_mul_f64 v[186:187], v[182:183], v[28:29]
	v_mul_f64 v[28:29], v[184:185], v[28:29]
	v_fma_f64 v[190:191], v[184:185], v[26:27], v[186:187]
	ds_read2_b64 v[186:189], v220 offset0:40 offset1:41
	v_fma_f64 v[26:27], v[182:183], v[26:27], -v[28:29]
	s_waitcnt lgkmcnt(0)
	v_mul_f64 v[28:29], v[188:189], v[190:191]
	v_fma_f64 v[28:29], v[186:187], v[26:27], -v[28:29]
	v_mul_f64 v[186:187], v[186:187], v[190:191]
	v_add_f64 v[22:23], v[22:23], -v[28:29]
	v_fma_f64 v[186:187], v[188:189], v[26:27], v[186:187]
	v_add_f64 v[24:25], v[24:25], -v[186:187]
	ds_read2_b64 v[186:189], v220 offset0:42 offset1:43
	s_waitcnt lgkmcnt(0)
	v_mul_f64 v[28:29], v[188:189], v[190:191]
	v_fma_f64 v[28:29], v[186:187], v[26:27], -v[28:29]
	v_mul_f64 v[186:187], v[186:187], v[190:191]
	v_add_f64 v[18:19], v[18:19], -v[28:29]
	v_fma_f64 v[186:187], v[188:189], v[26:27], v[186:187]
	v_add_f64 v[20:21], v[20:21], -v[186:187]
	ds_read2_b64 v[186:189], v220 offset0:44 offset1:45
	;; [unrolled: 8-line block ×5, first 2 shown]
	s_waitcnt lgkmcnt(0)
	v_mul_f64 v[28:29], v[188:189], v[190:191]
	v_fma_f64 v[28:29], v[186:187], v[26:27], -v[28:29]
	v_mul_f64 v[186:187], v[186:187], v[190:191]
	v_add_f64 v[2:3], v[2:3], -v[28:29]
	v_fma_f64 v[186:187], v[188:189], v[26:27], v[186:187]
	v_mov_b32_e32 v28, v190
	v_mov_b32_e32 v29, v191
	v_add_f64 v[4:5], v[4:5], -v[186:187]
.LBB51_181:
	s_or_b32 exec_lo, exec_lo, s1
	s_mov_b32 s2, exec_lo
	s_waitcnt lgkmcnt(0)
	s_barrier
	buffer_gl0_inv
	v_cmpx_eq_u32_e32 20, v0
	s_cbranch_execz .LBB51_188
; %bb.182:
	ds_write2_b64 v1, v[22:23], v[24:25] offset1:1
	ds_write2_b64 v220, v[18:19], v[20:21] offset0:42 offset1:43
	ds_write2_b64 v220, v[14:15], v[16:17] offset0:44 offset1:45
	;; [unrolled: 1-line block ×5, first 2 shown]
	ds_read2_b64 v[186:189], v1 offset1:1
	s_waitcnt lgkmcnt(0)
	v_cmp_neq_f64_e32 vcc_lo, 0, v[186:187]
	v_cmp_neq_f64_e64 s1, 0, v[188:189]
	s_or_b32 s1, vcc_lo, s1
	s_and_b32 exec_lo, exec_lo, s1
	s_cbranch_execz .LBB51_188
; %bb.183:
	v_cmp_ngt_f64_e64 s1, |v[186:187]|, |v[188:189]|
                                        ; implicit-def: $vgpr190_vgpr191
	s_and_saveexec_b32 s3, s1
	s_xor_b32 s1, exec_lo, s3
                                        ; implicit-def: $vgpr192_vgpr193
	s_cbranch_execz .LBB51_185
; %bb.184:
	v_div_scale_f64 v[190:191], null, v[188:189], v[188:189], v[186:187]
	v_div_scale_f64 v[196:197], vcc_lo, v[186:187], v[188:189], v[186:187]
	v_rcp_f64_e32 v[192:193], v[190:191]
	v_fma_f64 v[194:195], -v[190:191], v[192:193], 1.0
	v_fma_f64 v[192:193], v[192:193], v[194:195], v[192:193]
	v_fma_f64 v[194:195], -v[190:191], v[192:193], 1.0
	v_fma_f64 v[192:193], v[192:193], v[194:195], v[192:193]
	v_mul_f64 v[194:195], v[196:197], v[192:193]
	v_fma_f64 v[190:191], -v[190:191], v[194:195], v[196:197]
	v_div_fmas_f64 v[190:191], v[190:191], v[192:193], v[194:195]
	v_div_fixup_f64 v[190:191], v[190:191], v[188:189], v[186:187]
	v_fma_f64 v[186:187], v[186:187], v[190:191], v[188:189]
	v_div_scale_f64 v[188:189], null, v[186:187], v[186:187], 1.0
	v_rcp_f64_e32 v[192:193], v[188:189]
	v_fma_f64 v[194:195], -v[188:189], v[192:193], 1.0
	v_fma_f64 v[192:193], v[192:193], v[194:195], v[192:193]
	v_fma_f64 v[194:195], -v[188:189], v[192:193], 1.0
	v_fma_f64 v[192:193], v[192:193], v[194:195], v[192:193]
	v_div_scale_f64 v[194:195], vcc_lo, 1.0, v[186:187], 1.0
	v_mul_f64 v[196:197], v[194:195], v[192:193]
	v_fma_f64 v[188:189], -v[188:189], v[196:197], v[194:195]
	v_div_fmas_f64 v[188:189], v[188:189], v[192:193], v[196:197]
	v_div_fixup_f64 v[192:193], v[188:189], v[186:187], 1.0
                                        ; implicit-def: $vgpr186_vgpr187
	v_mul_f64 v[190:191], v[190:191], v[192:193]
	v_xor_b32_e32 v193, 0x80000000, v193
.LBB51_185:
	s_andn2_saveexec_b32 s1, s1
	s_cbranch_execz .LBB51_187
; %bb.186:
	v_div_scale_f64 v[190:191], null, v[186:187], v[186:187], v[188:189]
	v_div_scale_f64 v[196:197], vcc_lo, v[188:189], v[186:187], v[188:189]
	v_rcp_f64_e32 v[192:193], v[190:191]
	v_fma_f64 v[194:195], -v[190:191], v[192:193], 1.0
	v_fma_f64 v[192:193], v[192:193], v[194:195], v[192:193]
	v_fma_f64 v[194:195], -v[190:191], v[192:193], 1.0
	v_fma_f64 v[192:193], v[192:193], v[194:195], v[192:193]
	v_mul_f64 v[194:195], v[196:197], v[192:193]
	v_fma_f64 v[190:191], -v[190:191], v[194:195], v[196:197]
	v_div_fmas_f64 v[190:191], v[190:191], v[192:193], v[194:195]
	v_div_fixup_f64 v[192:193], v[190:191], v[186:187], v[188:189]
	v_fma_f64 v[186:187], v[188:189], v[192:193], v[186:187]
	v_div_scale_f64 v[188:189], null, v[186:187], v[186:187], 1.0
	v_rcp_f64_e32 v[190:191], v[188:189]
	v_fma_f64 v[194:195], -v[188:189], v[190:191], 1.0
	v_fma_f64 v[190:191], v[190:191], v[194:195], v[190:191]
	v_fma_f64 v[194:195], -v[188:189], v[190:191], 1.0
	v_fma_f64 v[190:191], v[190:191], v[194:195], v[190:191]
	v_div_scale_f64 v[194:195], vcc_lo, 1.0, v[186:187], 1.0
	v_mul_f64 v[196:197], v[194:195], v[190:191]
	v_fma_f64 v[188:189], -v[188:189], v[196:197], v[194:195]
	v_div_fmas_f64 v[188:189], v[188:189], v[190:191], v[196:197]
	v_div_fixup_f64 v[190:191], v[188:189], v[186:187], 1.0
	v_mul_f64 v[192:193], v[192:193], -v[190:191]
.LBB51_187:
	s_or_b32 exec_lo, exec_lo, s1
	ds_write2_b64 v1, v[190:191], v[192:193] offset1:1
.LBB51_188:
	s_or_b32 exec_lo, exec_lo, s2
	s_waitcnt lgkmcnt(0)
	s_barrier
	buffer_gl0_inv
	ds_read2_b64 v[186:189], v1 offset1:1
	s_mov_b32 s1, exec_lo
	v_cmpx_lt_u32_e32 20, v0
	s_cbranch_execz .LBB51_190
; %bb.189:
	s_waitcnt lgkmcnt(0)
	v_mul_f64 v[190:191], v[186:187], v[24:25]
	v_mul_f64 v[24:25], v[188:189], v[24:25]
	v_fma_f64 v[194:195], v[188:189], v[22:23], v[190:191]
	ds_read2_b64 v[190:193], v220 offset0:42 offset1:43
	v_fma_f64 v[22:23], v[186:187], v[22:23], -v[24:25]
	s_waitcnt lgkmcnt(0)
	v_mul_f64 v[24:25], v[192:193], v[194:195]
	v_fma_f64 v[24:25], v[190:191], v[22:23], -v[24:25]
	v_mul_f64 v[190:191], v[190:191], v[194:195]
	v_add_f64 v[18:19], v[18:19], -v[24:25]
	v_fma_f64 v[190:191], v[192:193], v[22:23], v[190:191]
	v_add_f64 v[20:21], v[20:21], -v[190:191]
	ds_read2_b64 v[190:193], v220 offset0:44 offset1:45
	s_waitcnt lgkmcnt(0)
	v_mul_f64 v[24:25], v[192:193], v[194:195]
	v_fma_f64 v[24:25], v[190:191], v[22:23], -v[24:25]
	v_mul_f64 v[190:191], v[190:191], v[194:195]
	v_add_f64 v[14:15], v[14:15], -v[24:25]
	v_fma_f64 v[190:191], v[192:193], v[22:23], v[190:191]
	v_add_f64 v[16:17], v[16:17], -v[190:191]
	ds_read2_b64 v[190:193], v220 offset0:46 offset1:47
	;; [unrolled: 8-line block ×4, first 2 shown]
	s_waitcnt lgkmcnt(0)
	v_mul_f64 v[24:25], v[192:193], v[194:195]
	v_fma_f64 v[24:25], v[190:191], v[22:23], -v[24:25]
	v_mul_f64 v[190:191], v[190:191], v[194:195]
	v_add_f64 v[2:3], v[2:3], -v[24:25]
	v_fma_f64 v[190:191], v[192:193], v[22:23], v[190:191]
	v_mov_b32_e32 v24, v194
	v_mov_b32_e32 v25, v195
	v_add_f64 v[4:5], v[4:5], -v[190:191]
.LBB51_190:
	s_or_b32 exec_lo, exec_lo, s1
	s_mov_b32 s2, exec_lo
	s_waitcnt lgkmcnt(0)
	s_barrier
	buffer_gl0_inv
	v_cmpx_eq_u32_e32 21, v0
	s_cbranch_execz .LBB51_197
; %bb.191:
	ds_write2_b64 v1, v[18:19], v[20:21] offset1:1
	ds_write2_b64 v220, v[14:15], v[16:17] offset0:44 offset1:45
	ds_write2_b64 v220, v[10:11], v[12:13] offset0:46 offset1:47
	;; [unrolled: 1-line block ×4, first 2 shown]
	ds_read2_b64 v[190:193], v1 offset1:1
	s_waitcnt lgkmcnt(0)
	v_cmp_neq_f64_e32 vcc_lo, 0, v[190:191]
	v_cmp_neq_f64_e64 s1, 0, v[192:193]
	s_or_b32 s1, vcc_lo, s1
	s_and_b32 exec_lo, exec_lo, s1
	s_cbranch_execz .LBB51_197
; %bb.192:
	v_cmp_ngt_f64_e64 s1, |v[190:191]|, |v[192:193]|
                                        ; implicit-def: $vgpr194_vgpr195
	s_and_saveexec_b32 s3, s1
	s_xor_b32 s1, exec_lo, s3
                                        ; implicit-def: $vgpr196_vgpr197
	s_cbranch_execz .LBB51_194
; %bb.193:
	v_div_scale_f64 v[194:195], null, v[192:193], v[192:193], v[190:191]
	v_div_scale_f64 v[200:201], vcc_lo, v[190:191], v[192:193], v[190:191]
	v_rcp_f64_e32 v[196:197], v[194:195]
	v_fma_f64 v[198:199], -v[194:195], v[196:197], 1.0
	v_fma_f64 v[196:197], v[196:197], v[198:199], v[196:197]
	v_fma_f64 v[198:199], -v[194:195], v[196:197], 1.0
	v_fma_f64 v[196:197], v[196:197], v[198:199], v[196:197]
	v_mul_f64 v[198:199], v[200:201], v[196:197]
	v_fma_f64 v[194:195], -v[194:195], v[198:199], v[200:201]
	v_div_fmas_f64 v[194:195], v[194:195], v[196:197], v[198:199]
	v_div_fixup_f64 v[194:195], v[194:195], v[192:193], v[190:191]
	v_fma_f64 v[190:191], v[190:191], v[194:195], v[192:193]
	v_div_scale_f64 v[192:193], null, v[190:191], v[190:191], 1.0
	v_rcp_f64_e32 v[196:197], v[192:193]
	v_fma_f64 v[198:199], -v[192:193], v[196:197], 1.0
	v_fma_f64 v[196:197], v[196:197], v[198:199], v[196:197]
	v_fma_f64 v[198:199], -v[192:193], v[196:197], 1.0
	v_fma_f64 v[196:197], v[196:197], v[198:199], v[196:197]
	v_div_scale_f64 v[198:199], vcc_lo, 1.0, v[190:191], 1.0
	v_mul_f64 v[200:201], v[198:199], v[196:197]
	v_fma_f64 v[192:193], -v[192:193], v[200:201], v[198:199]
	v_div_fmas_f64 v[192:193], v[192:193], v[196:197], v[200:201]
	v_div_fixup_f64 v[196:197], v[192:193], v[190:191], 1.0
                                        ; implicit-def: $vgpr190_vgpr191
	v_mul_f64 v[194:195], v[194:195], v[196:197]
	v_xor_b32_e32 v197, 0x80000000, v197
.LBB51_194:
	s_andn2_saveexec_b32 s1, s1
	s_cbranch_execz .LBB51_196
; %bb.195:
	v_div_scale_f64 v[194:195], null, v[190:191], v[190:191], v[192:193]
	v_div_scale_f64 v[200:201], vcc_lo, v[192:193], v[190:191], v[192:193]
	v_rcp_f64_e32 v[196:197], v[194:195]
	v_fma_f64 v[198:199], -v[194:195], v[196:197], 1.0
	v_fma_f64 v[196:197], v[196:197], v[198:199], v[196:197]
	v_fma_f64 v[198:199], -v[194:195], v[196:197], 1.0
	v_fma_f64 v[196:197], v[196:197], v[198:199], v[196:197]
	v_mul_f64 v[198:199], v[200:201], v[196:197]
	v_fma_f64 v[194:195], -v[194:195], v[198:199], v[200:201]
	v_div_fmas_f64 v[194:195], v[194:195], v[196:197], v[198:199]
	v_div_fixup_f64 v[196:197], v[194:195], v[190:191], v[192:193]
	v_fma_f64 v[190:191], v[192:193], v[196:197], v[190:191]
	v_div_scale_f64 v[192:193], null, v[190:191], v[190:191], 1.0
	v_rcp_f64_e32 v[194:195], v[192:193]
	v_fma_f64 v[198:199], -v[192:193], v[194:195], 1.0
	v_fma_f64 v[194:195], v[194:195], v[198:199], v[194:195]
	v_fma_f64 v[198:199], -v[192:193], v[194:195], 1.0
	v_fma_f64 v[194:195], v[194:195], v[198:199], v[194:195]
	v_div_scale_f64 v[198:199], vcc_lo, 1.0, v[190:191], 1.0
	v_mul_f64 v[200:201], v[198:199], v[194:195]
	v_fma_f64 v[192:193], -v[192:193], v[200:201], v[198:199]
	v_div_fmas_f64 v[192:193], v[192:193], v[194:195], v[200:201]
	v_div_fixup_f64 v[194:195], v[192:193], v[190:191], 1.0
	v_mul_f64 v[196:197], v[196:197], -v[194:195]
.LBB51_196:
	s_or_b32 exec_lo, exec_lo, s1
	ds_write2_b64 v1, v[194:195], v[196:197] offset1:1
.LBB51_197:
	s_or_b32 exec_lo, exec_lo, s2
	s_waitcnt lgkmcnt(0)
	s_barrier
	buffer_gl0_inv
	ds_read2_b64 v[190:193], v1 offset1:1
	s_mov_b32 s1, exec_lo
	v_cmpx_lt_u32_e32 21, v0
	s_cbranch_execz .LBB51_199
; %bb.198:
	s_waitcnt lgkmcnt(0)
	v_mul_f64 v[194:195], v[190:191], v[20:21]
	v_mul_f64 v[20:21], v[192:193], v[20:21]
	v_fma_f64 v[198:199], v[192:193], v[18:19], v[194:195]
	ds_read2_b64 v[194:197], v220 offset0:44 offset1:45
	v_fma_f64 v[18:19], v[190:191], v[18:19], -v[20:21]
	s_waitcnt lgkmcnt(0)
	v_mul_f64 v[20:21], v[196:197], v[198:199]
	v_fma_f64 v[20:21], v[194:195], v[18:19], -v[20:21]
	v_mul_f64 v[194:195], v[194:195], v[198:199]
	v_add_f64 v[14:15], v[14:15], -v[20:21]
	v_fma_f64 v[194:195], v[196:197], v[18:19], v[194:195]
	v_add_f64 v[16:17], v[16:17], -v[194:195]
	ds_read2_b64 v[194:197], v220 offset0:46 offset1:47
	s_waitcnt lgkmcnt(0)
	v_mul_f64 v[20:21], v[196:197], v[198:199]
	v_fma_f64 v[20:21], v[194:195], v[18:19], -v[20:21]
	v_mul_f64 v[194:195], v[194:195], v[198:199]
	v_add_f64 v[10:11], v[10:11], -v[20:21]
	v_fma_f64 v[194:195], v[196:197], v[18:19], v[194:195]
	v_add_f64 v[12:13], v[12:13], -v[194:195]
	ds_read2_b64 v[194:197], v220 offset0:48 offset1:49
	;; [unrolled: 8-line block ×3, first 2 shown]
	s_waitcnt lgkmcnt(0)
	v_mul_f64 v[20:21], v[196:197], v[198:199]
	v_fma_f64 v[20:21], v[194:195], v[18:19], -v[20:21]
	v_mul_f64 v[194:195], v[194:195], v[198:199]
	v_add_f64 v[2:3], v[2:3], -v[20:21]
	v_fma_f64 v[194:195], v[196:197], v[18:19], v[194:195]
	v_mov_b32_e32 v20, v198
	v_mov_b32_e32 v21, v199
	v_add_f64 v[4:5], v[4:5], -v[194:195]
.LBB51_199:
	s_or_b32 exec_lo, exec_lo, s1
	s_mov_b32 s2, exec_lo
	s_waitcnt lgkmcnt(0)
	s_barrier
	buffer_gl0_inv
	v_cmpx_eq_u32_e32 22, v0
	s_cbranch_execz .LBB51_206
; %bb.200:
	ds_write2_b64 v1, v[14:15], v[16:17] offset1:1
	ds_write2_b64 v220, v[10:11], v[12:13] offset0:46 offset1:47
	ds_write2_b64 v220, v[6:7], v[8:9] offset0:48 offset1:49
	;; [unrolled: 1-line block ×3, first 2 shown]
	ds_read2_b64 v[194:197], v1 offset1:1
	s_waitcnt lgkmcnt(0)
	v_cmp_neq_f64_e32 vcc_lo, 0, v[194:195]
	v_cmp_neq_f64_e64 s1, 0, v[196:197]
	s_or_b32 s1, vcc_lo, s1
	s_and_b32 exec_lo, exec_lo, s1
	s_cbranch_execz .LBB51_206
; %bb.201:
	v_cmp_ngt_f64_e64 s1, |v[194:195]|, |v[196:197]|
                                        ; implicit-def: $vgpr198_vgpr199
	s_and_saveexec_b32 s3, s1
	s_xor_b32 s1, exec_lo, s3
                                        ; implicit-def: $vgpr200_vgpr201
	s_cbranch_execz .LBB51_203
; %bb.202:
	v_div_scale_f64 v[198:199], null, v[196:197], v[196:197], v[194:195]
	v_div_scale_f64 v[204:205], vcc_lo, v[194:195], v[196:197], v[194:195]
	v_rcp_f64_e32 v[200:201], v[198:199]
	v_fma_f64 v[202:203], -v[198:199], v[200:201], 1.0
	v_fma_f64 v[200:201], v[200:201], v[202:203], v[200:201]
	v_fma_f64 v[202:203], -v[198:199], v[200:201], 1.0
	v_fma_f64 v[200:201], v[200:201], v[202:203], v[200:201]
	v_mul_f64 v[202:203], v[204:205], v[200:201]
	v_fma_f64 v[198:199], -v[198:199], v[202:203], v[204:205]
	v_div_fmas_f64 v[198:199], v[198:199], v[200:201], v[202:203]
	v_div_fixup_f64 v[198:199], v[198:199], v[196:197], v[194:195]
	v_fma_f64 v[194:195], v[194:195], v[198:199], v[196:197]
	v_div_scale_f64 v[196:197], null, v[194:195], v[194:195], 1.0
	v_rcp_f64_e32 v[200:201], v[196:197]
	v_fma_f64 v[202:203], -v[196:197], v[200:201], 1.0
	v_fma_f64 v[200:201], v[200:201], v[202:203], v[200:201]
	v_fma_f64 v[202:203], -v[196:197], v[200:201], 1.0
	v_fma_f64 v[200:201], v[200:201], v[202:203], v[200:201]
	v_div_scale_f64 v[202:203], vcc_lo, 1.0, v[194:195], 1.0
	v_mul_f64 v[204:205], v[202:203], v[200:201]
	v_fma_f64 v[196:197], -v[196:197], v[204:205], v[202:203]
	v_div_fmas_f64 v[196:197], v[196:197], v[200:201], v[204:205]
	v_div_fixup_f64 v[200:201], v[196:197], v[194:195], 1.0
                                        ; implicit-def: $vgpr194_vgpr195
	v_mul_f64 v[198:199], v[198:199], v[200:201]
	v_xor_b32_e32 v201, 0x80000000, v201
.LBB51_203:
	s_andn2_saveexec_b32 s1, s1
	s_cbranch_execz .LBB51_205
; %bb.204:
	v_div_scale_f64 v[198:199], null, v[194:195], v[194:195], v[196:197]
	v_div_scale_f64 v[204:205], vcc_lo, v[196:197], v[194:195], v[196:197]
	v_rcp_f64_e32 v[200:201], v[198:199]
	v_fma_f64 v[202:203], -v[198:199], v[200:201], 1.0
	v_fma_f64 v[200:201], v[200:201], v[202:203], v[200:201]
	v_fma_f64 v[202:203], -v[198:199], v[200:201], 1.0
	v_fma_f64 v[200:201], v[200:201], v[202:203], v[200:201]
	v_mul_f64 v[202:203], v[204:205], v[200:201]
	v_fma_f64 v[198:199], -v[198:199], v[202:203], v[204:205]
	v_div_fmas_f64 v[198:199], v[198:199], v[200:201], v[202:203]
	v_div_fixup_f64 v[200:201], v[198:199], v[194:195], v[196:197]
	v_fma_f64 v[194:195], v[196:197], v[200:201], v[194:195]
	v_div_scale_f64 v[196:197], null, v[194:195], v[194:195], 1.0
	v_rcp_f64_e32 v[198:199], v[196:197]
	v_fma_f64 v[202:203], -v[196:197], v[198:199], 1.0
	v_fma_f64 v[198:199], v[198:199], v[202:203], v[198:199]
	v_fma_f64 v[202:203], -v[196:197], v[198:199], 1.0
	v_fma_f64 v[198:199], v[198:199], v[202:203], v[198:199]
	v_div_scale_f64 v[202:203], vcc_lo, 1.0, v[194:195], 1.0
	v_mul_f64 v[204:205], v[202:203], v[198:199]
	v_fma_f64 v[196:197], -v[196:197], v[204:205], v[202:203]
	v_div_fmas_f64 v[196:197], v[196:197], v[198:199], v[204:205]
	v_div_fixup_f64 v[198:199], v[196:197], v[194:195], 1.0
	v_mul_f64 v[200:201], v[200:201], -v[198:199]
.LBB51_205:
	s_or_b32 exec_lo, exec_lo, s1
	ds_write2_b64 v1, v[198:199], v[200:201] offset1:1
.LBB51_206:
	s_or_b32 exec_lo, exec_lo, s2
	s_waitcnt lgkmcnt(0)
	s_barrier
	buffer_gl0_inv
	ds_read2_b64 v[194:197], v1 offset1:1
	s_mov_b32 s1, exec_lo
	v_cmpx_lt_u32_e32 22, v0
	s_cbranch_execz .LBB51_208
; %bb.207:
	s_waitcnt lgkmcnt(0)
	v_mul_f64 v[198:199], v[194:195], v[16:17]
	v_mul_f64 v[16:17], v[196:197], v[16:17]
	v_fma_f64 v[202:203], v[196:197], v[14:15], v[198:199]
	ds_read2_b64 v[198:201], v220 offset0:46 offset1:47
	v_fma_f64 v[14:15], v[194:195], v[14:15], -v[16:17]
	s_waitcnt lgkmcnt(0)
	v_mul_f64 v[16:17], v[200:201], v[202:203]
	v_fma_f64 v[16:17], v[198:199], v[14:15], -v[16:17]
	v_mul_f64 v[198:199], v[198:199], v[202:203]
	v_add_f64 v[10:11], v[10:11], -v[16:17]
	v_fma_f64 v[198:199], v[200:201], v[14:15], v[198:199]
	v_add_f64 v[12:13], v[12:13], -v[198:199]
	ds_read2_b64 v[198:201], v220 offset0:48 offset1:49
	s_waitcnt lgkmcnt(0)
	v_mul_f64 v[16:17], v[200:201], v[202:203]
	v_fma_f64 v[16:17], v[198:199], v[14:15], -v[16:17]
	v_mul_f64 v[198:199], v[198:199], v[202:203]
	v_add_f64 v[6:7], v[6:7], -v[16:17]
	v_fma_f64 v[198:199], v[200:201], v[14:15], v[198:199]
	v_add_f64 v[8:9], v[8:9], -v[198:199]
	ds_read2_b64 v[198:201], v220 offset0:50 offset1:51
	s_waitcnt lgkmcnt(0)
	v_mul_f64 v[16:17], v[200:201], v[202:203]
	v_fma_f64 v[16:17], v[198:199], v[14:15], -v[16:17]
	v_mul_f64 v[198:199], v[198:199], v[202:203]
	v_add_f64 v[2:3], v[2:3], -v[16:17]
	v_fma_f64 v[198:199], v[200:201], v[14:15], v[198:199]
	v_mov_b32_e32 v16, v202
	v_mov_b32_e32 v17, v203
	v_add_f64 v[4:5], v[4:5], -v[198:199]
.LBB51_208:
	s_or_b32 exec_lo, exec_lo, s1
	s_mov_b32 s2, exec_lo
	s_waitcnt lgkmcnt(0)
	s_barrier
	buffer_gl0_inv
	v_cmpx_eq_u32_e32 23, v0
	s_cbranch_execz .LBB51_215
; %bb.209:
	ds_write2_b64 v1, v[10:11], v[12:13] offset1:1
	ds_write2_b64 v220, v[6:7], v[8:9] offset0:48 offset1:49
	ds_write2_b64 v220, v[2:3], v[4:5] offset0:50 offset1:51
	ds_read2_b64 v[198:201], v1 offset1:1
	s_waitcnt lgkmcnt(0)
	v_cmp_neq_f64_e32 vcc_lo, 0, v[198:199]
	v_cmp_neq_f64_e64 s1, 0, v[200:201]
	s_or_b32 s1, vcc_lo, s1
	s_and_b32 exec_lo, exec_lo, s1
	s_cbranch_execz .LBB51_215
; %bb.210:
	v_cmp_ngt_f64_e64 s1, |v[198:199]|, |v[200:201]|
                                        ; implicit-def: $vgpr202_vgpr203
	s_and_saveexec_b32 s3, s1
	s_xor_b32 s1, exec_lo, s3
                                        ; implicit-def: $vgpr204_vgpr205
	s_cbranch_execz .LBB51_212
; %bb.211:
	v_div_scale_f64 v[202:203], null, v[200:201], v[200:201], v[198:199]
	v_div_scale_f64 v[208:209], vcc_lo, v[198:199], v[200:201], v[198:199]
	v_rcp_f64_e32 v[204:205], v[202:203]
	v_fma_f64 v[206:207], -v[202:203], v[204:205], 1.0
	v_fma_f64 v[204:205], v[204:205], v[206:207], v[204:205]
	v_fma_f64 v[206:207], -v[202:203], v[204:205], 1.0
	v_fma_f64 v[204:205], v[204:205], v[206:207], v[204:205]
	v_mul_f64 v[206:207], v[208:209], v[204:205]
	v_fma_f64 v[202:203], -v[202:203], v[206:207], v[208:209]
	v_div_fmas_f64 v[202:203], v[202:203], v[204:205], v[206:207]
	v_div_fixup_f64 v[202:203], v[202:203], v[200:201], v[198:199]
	v_fma_f64 v[198:199], v[198:199], v[202:203], v[200:201]
	v_div_scale_f64 v[200:201], null, v[198:199], v[198:199], 1.0
	v_rcp_f64_e32 v[204:205], v[200:201]
	v_fma_f64 v[206:207], -v[200:201], v[204:205], 1.0
	v_fma_f64 v[204:205], v[204:205], v[206:207], v[204:205]
	v_fma_f64 v[206:207], -v[200:201], v[204:205], 1.0
	v_fma_f64 v[204:205], v[204:205], v[206:207], v[204:205]
	v_div_scale_f64 v[206:207], vcc_lo, 1.0, v[198:199], 1.0
	v_mul_f64 v[208:209], v[206:207], v[204:205]
	v_fma_f64 v[200:201], -v[200:201], v[208:209], v[206:207]
	v_div_fmas_f64 v[200:201], v[200:201], v[204:205], v[208:209]
	v_div_fixup_f64 v[204:205], v[200:201], v[198:199], 1.0
                                        ; implicit-def: $vgpr198_vgpr199
	v_mul_f64 v[202:203], v[202:203], v[204:205]
	v_xor_b32_e32 v205, 0x80000000, v205
.LBB51_212:
	s_andn2_saveexec_b32 s1, s1
	s_cbranch_execz .LBB51_214
; %bb.213:
	v_div_scale_f64 v[202:203], null, v[198:199], v[198:199], v[200:201]
	v_div_scale_f64 v[208:209], vcc_lo, v[200:201], v[198:199], v[200:201]
	v_rcp_f64_e32 v[204:205], v[202:203]
	v_fma_f64 v[206:207], -v[202:203], v[204:205], 1.0
	v_fma_f64 v[204:205], v[204:205], v[206:207], v[204:205]
	v_fma_f64 v[206:207], -v[202:203], v[204:205], 1.0
	v_fma_f64 v[204:205], v[204:205], v[206:207], v[204:205]
	v_mul_f64 v[206:207], v[208:209], v[204:205]
	v_fma_f64 v[202:203], -v[202:203], v[206:207], v[208:209]
	v_div_fmas_f64 v[202:203], v[202:203], v[204:205], v[206:207]
	v_div_fixup_f64 v[204:205], v[202:203], v[198:199], v[200:201]
	v_fma_f64 v[198:199], v[200:201], v[204:205], v[198:199]
	v_div_scale_f64 v[200:201], null, v[198:199], v[198:199], 1.0
	v_rcp_f64_e32 v[202:203], v[200:201]
	v_fma_f64 v[206:207], -v[200:201], v[202:203], 1.0
	v_fma_f64 v[202:203], v[202:203], v[206:207], v[202:203]
	v_fma_f64 v[206:207], -v[200:201], v[202:203], 1.0
	v_fma_f64 v[202:203], v[202:203], v[206:207], v[202:203]
	v_div_scale_f64 v[206:207], vcc_lo, 1.0, v[198:199], 1.0
	v_mul_f64 v[208:209], v[206:207], v[202:203]
	v_fma_f64 v[200:201], -v[200:201], v[208:209], v[206:207]
	v_div_fmas_f64 v[200:201], v[200:201], v[202:203], v[208:209]
	v_div_fixup_f64 v[202:203], v[200:201], v[198:199], 1.0
	v_mul_f64 v[204:205], v[204:205], -v[202:203]
.LBB51_214:
	s_or_b32 exec_lo, exec_lo, s1
	ds_write2_b64 v1, v[202:203], v[204:205] offset1:1
.LBB51_215:
	s_or_b32 exec_lo, exec_lo, s2
	s_waitcnt lgkmcnt(0)
	s_barrier
	buffer_gl0_inv
	ds_read2_b64 v[198:201], v1 offset1:1
	s_mov_b32 s1, exec_lo
	v_cmpx_lt_u32_e32 23, v0
	s_cbranch_execz .LBB51_217
; %bb.216:
	s_waitcnt lgkmcnt(0)
	v_mul_f64 v[202:203], v[198:199], v[12:13]
	v_mul_f64 v[12:13], v[200:201], v[12:13]
	v_fma_f64 v[206:207], v[200:201], v[10:11], v[202:203]
	ds_read2_b64 v[202:205], v220 offset0:48 offset1:49
	v_fma_f64 v[10:11], v[198:199], v[10:11], -v[12:13]
	s_waitcnt lgkmcnt(0)
	v_mul_f64 v[12:13], v[204:205], v[206:207]
	v_fma_f64 v[12:13], v[202:203], v[10:11], -v[12:13]
	v_mul_f64 v[202:203], v[202:203], v[206:207]
	v_add_f64 v[6:7], v[6:7], -v[12:13]
	v_fma_f64 v[202:203], v[204:205], v[10:11], v[202:203]
	v_add_f64 v[8:9], v[8:9], -v[202:203]
	ds_read2_b64 v[202:205], v220 offset0:50 offset1:51
	s_waitcnt lgkmcnt(0)
	v_mul_f64 v[12:13], v[204:205], v[206:207]
	v_fma_f64 v[12:13], v[202:203], v[10:11], -v[12:13]
	v_mul_f64 v[202:203], v[202:203], v[206:207]
	v_add_f64 v[2:3], v[2:3], -v[12:13]
	v_fma_f64 v[202:203], v[204:205], v[10:11], v[202:203]
	v_mov_b32_e32 v12, v206
	v_mov_b32_e32 v13, v207
	v_add_f64 v[4:5], v[4:5], -v[202:203]
.LBB51_217:
	s_or_b32 exec_lo, exec_lo, s1
	s_mov_b32 s2, exec_lo
	s_waitcnt lgkmcnt(0)
	s_barrier
	buffer_gl0_inv
	v_cmpx_eq_u32_e32 24, v0
	s_cbranch_execz .LBB51_224
; %bb.218:
	ds_write2_b64 v1, v[6:7], v[8:9] offset1:1
	ds_write2_b64 v220, v[2:3], v[4:5] offset0:50 offset1:51
	ds_read2_b64 v[202:205], v1 offset1:1
	s_waitcnt lgkmcnt(0)
	v_cmp_neq_f64_e32 vcc_lo, 0, v[202:203]
	v_cmp_neq_f64_e64 s1, 0, v[204:205]
	s_or_b32 s1, vcc_lo, s1
	s_and_b32 exec_lo, exec_lo, s1
	s_cbranch_execz .LBB51_224
; %bb.219:
	v_cmp_ngt_f64_e64 s1, |v[202:203]|, |v[204:205]|
                                        ; implicit-def: $vgpr206_vgpr207
	s_and_saveexec_b32 s3, s1
	s_xor_b32 s1, exec_lo, s3
                                        ; implicit-def: $vgpr208_vgpr209
	s_cbranch_execz .LBB51_221
; %bb.220:
	v_div_scale_f64 v[206:207], null, v[204:205], v[204:205], v[202:203]
	v_rcp_f64_e32 v[208:209], v[206:207]
	v_fma_f64 v[106:107], -v[206:207], v[208:209], 1.0
	v_fma_f64 v[106:107], v[208:209], v[106:107], v[208:209]
	v_div_scale_f64 v[208:209], vcc_lo, v[202:203], v[204:205], v[202:203]
	v_fma_f64 v[108:109], -v[206:207], v[106:107], 1.0
	v_fma_f64 v[106:107], v[106:107], v[108:109], v[106:107]
	v_mul_f64 v[108:109], v[208:209], v[106:107]
	v_fma_f64 v[206:207], -v[206:207], v[108:109], v[208:209]
	v_div_fmas_f64 v[106:107], v[206:207], v[106:107], v[108:109]
	v_div_fixup_f64 v[106:107], v[106:107], v[204:205], v[202:203]
	v_fma_f64 v[108:109], v[202:203], v[106:107], v[204:205]
	v_div_scale_f64 v[202:203], null, v[108:109], v[108:109], 1.0
	v_rcp_f64_e32 v[204:205], v[202:203]
	v_fma_f64 v[206:207], -v[202:203], v[204:205], 1.0
	v_fma_f64 v[204:205], v[204:205], v[206:207], v[204:205]
	v_fma_f64 v[206:207], -v[202:203], v[204:205], 1.0
	v_fma_f64 v[204:205], v[204:205], v[206:207], v[204:205]
	v_div_scale_f64 v[206:207], vcc_lo, 1.0, v[108:109], 1.0
	v_mul_f64 v[208:209], v[206:207], v[204:205]
	v_fma_f64 v[202:203], -v[202:203], v[208:209], v[206:207]
	v_div_fmas_f64 v[202:203], v[202:203], v[204:205], v[208:209]
	v_div_fixup_f64 v[208:209], v[202:203], v[108:109], 1.0
                                        ; implicit-def: $vgpr202_vgpr203
	v_mul_f64 v[206:207], v[106:107], v[208:209]
	v_xor_b32_e32 v209, 0x80000000, v209
.LBB51_221:
	s_andn2_saveexec_b32 s1, s1
	s_cbranch_execz .LBB51_223
; %bb.222:
	v_div_scale_f64 v[106:107], null, v[202:203], v[202:203], v[204:205]
	v_div_scale_f64 v[208:209], vcc_lo, v[204:205], v[202:203], v[204:205]
	v_rcp_f64_e32 v[108:109], v[106:107]
	v_fma_f64 v[206:207], -v[106:107], v[108:109], 1.0
	v_fma_f64 v[108:109], v[108:109], v[206:207], v[108:109]
	v_fma_f64 v[206:207], -v[106:107], v[108:109], 1.0
	v_fma_f64 v[108:109], v[108:109], v[206:207], v[108:109]
	v_mul_f64 v[206:207], v[208:209], v[108:109]
	v_fma_f64 v[106:107], -v[106:107], v[206:207], v[208:209]
	v_div_fmas_f64 v[106:107], v[106:107], v[108:109], v[206:207]
	v_div_fixup_f64 v[106:107], v[106:107], v[202:203], v[204:205]
	v_fma_f64 v[108:109], v[204:205], v[106:107], v[202:203]
	v_div_scale_f64 v[202:203], null, v[108:109], v[108:109], 1.0
	v_rcp_f64_e32 v[204:205], v[202:203]
	v_fma_f64 v[206:207], -v[202:203], v[204:205], 1.0
	v_fma_f64 v[204:205], v[204:205], v[206:207], v[204:205]
	v_fma_f64 v[206:207], -v[202:203], v[204:205], 1.0
	v_fma_f64 v[204:205], v[204:205], v[206:207], v[204:205]
	v_div_scale_f64 v[206:207], vcc_lo, 1.0, v[108:109], 1.0
	v_mul_f64 v[208:209], v[206:207], v[204:205]
	v_fma_f64 v[202:203], -v[202:203], v[208:209], v[206:207]
	v_div_fmas_f64 v[202:203], v[202:203], v[204:205], v[208:209]
	v_div_fixup_f64 v[206:207], v[202:203], v[108:109], 1.0
	v_mul_f64 v[208:209], v[106:107], -v[206:207]
.LBB51_223:
	s_or_b32 exec_lo, exec_lo, s1
	ds_write2_b64 v1, v[206:207], v[208:209] offset1:1
.LBB51_224:
	s_or_b32 exec_lo, exec_lo, s2
	s_waitcnt lgkmcnt(0)
	s_barrier
	buffer_gl0_inv
	ds_read2_b64 v[202:205], v1 offset1:1
	s_mov_b32 s1, exec_lo
	v_cmpx_lt_u32_e32 24, v0
	s_cbranch_execz .LBB51_226
; %bb.225:
	s_waitcnt lgkmcnt(0)
	v_mul_f64 v[106:107], v[202:203], v[8:9]
	v_mul_f64 v[8:9], v[204:205], v[8:9]
	ds_read2_b64 v[206:209], v220 offset0:50 offset1:51
	v_fma_f64 v[106:107], v[204:205], v[6:7], v[106:107]
	v_fma_f64 v[6:7], v[202:203], v[6:7], -v[8:9]
	s_waitcnt lgkmcnt(0)
	v_mul_f64 v[8:9], v[208:209], v[106:107]
	v_mul_f64 v[108:109], v[206:207], v[106:107]
	v_fma_f64 v[8:9], v[206:207], v[6:7], -v[8:9]
	v_fma_f64 v[108:109], v[208:209], v[6:7], v[108:109]
	v_add_f64 v[2:3], v[2:3], -v[8:9]
	v_add_f64 v[4:5], v[4:5], -v[108:109]
	v_mov_b32_e32 v8, v106
	v_mov_b32_e32 v9, v107
.LBB51_226:
	s_or_b32 exec_lo, exec_lo, s1
	s_mov_b32 s2, exec_lo
	s_waitcnt lgkmcnt(0)
	s_barrier
	buffer_gl0_inv
	v_cmpx_eq_u32_e32 25, v0
	s_cbranch_execz .LBB51_233
; %bb.227:
	v_cmp_neq_f64_e32 vcc_lo, 0, v[2:3]
	v_cmp_neq_f64_e64 s1, 0, v[4:5]
	ds_write2_b64 v1, v[2:3], v[4:5] offset1:1
	s_or_b32 s1, vcc_lo, s1
	s_and_b32 exec_lo, exec_lo, s1
	s_cbranch_execz .LBB51_233
; %bb.228:
	v_cmp_ngt_f64_e64 s1, |v[2:3]|, |v[4:5]|
                                        ; implicit-def: $vgpr206_vgpr207
	s_and_saveexec_b32 s3, s1
	s_xor_b32 s1, exec_lo, s3
                                        ; implicit-def: $vgpr208_vgpr209
	s_cbranch_execz .LBB51_230
; %bb.229:
	v_div_scale_f64 v[106:107], null, v[4:5], v[4:5], v[2:3]
	v_div_scale_f64 v[208:209], vcc_lo, v[2:3], v[4:5], v[2:3]
	buffer_store_dword v38, off, s[28:31], 0 offset:72 ; 4-byte Folded Spill
	buffer_store_dword v39, off, s[28:31], 0 offset:76 ; 4-byte Folded Spill
	;; [unrolled: 1-line block ×4, first 2 shown]
	v_mov_b32_e32 v38, v42
	v_mov_b32_e32 v39, v43
	;; [unrolled: 1-line block ×17, first 2 shown]
	v_rcp_f64_e32 v[108:109], v[106:107]
	v_mov_b32_e32 v55, v191
	v_mov_b32_e32 v56, v192
	;; [unrolled: 1-line block ×23, first 2 shown]
	v_fma_f64 v[206:207], -v[106:107], v[108:109], 1.0
	v_mov_b32_e32 v74, v78
	v_mov_b32_e32 v75, v79
	;; [unrolled: 1-line block ×21, first 2 shown]
	v_fma_f64 v[108:109], v[108:109], v[206:207], v[108:109]
	v_mov_b32_e32 v91, v95
	v_mov_b32_e32 v92, v96
	;; [unrolled: 1-line block ×21, first 2 shown]
	v_fma_f64 v[206:207], -v[106:107], v[108:109], 1.0
	v_mov_b32_e32 v179, v175
	v_mov_b32_e32 v178, v174
	;; [unrolled: 1-line block ×21, first 2 shown]
	v_fma_f64 v[108:109], v[108:109], v[206:207], v[108:109]
	v_mov_b32_e32 v158, v154
	v_mov_b32_e32 v157, v153
	;; [unrolled: 1-line block ×21, first 2 shown]
	v_mul_f64 v[206:207], v[208:209], v[108:109]
	v_mov_b32_e32 v141, v137
	v_mov_b32_e32 v140, v136
	;; [unrolled: 1-line block ×21, first 2 shown]
	v_fma_f64 v[106:107], -v[106:107], v[206:207], v[208:209]
	v_mov_b32_e32 v121, v222
	v_mov_b32_e32 v225, v117
	;; [unrolled: 1-line block ×21, first 2 shown]
	v_div_fmas_f64 v[106:107], v[106:107], v[108:109], v[206:207]
	v_mov_b32_e32 v251, v249
	v_mov_b32_e32 v250, v248
	;; [unrolled: 1-line block ×18, first 2 shown]
	v_div_fixup_f64 v[106:107], v[106:107], v[4:5], v[2:3]
	v_mov_b32_e32 v232, v234
	v_mov_b32_e32 v233, v235
	;; [unrolled: 1-line block ×21, first 2 shown]
	v_fma_f64 v[108:109], v[2:3], v[106:107], v[4:5]
	v_mov_b32_e32 v253, v255
	v_mov_b32_e32 v255, v211
	;; [unrolled: 1-line block ×9, first 2 shown]
	v_div_scale_f64 v[206:207], null, v[108:109], v[108:109], 1.0
	v_rcp_f64_e32 v[208:209], v[206:207]
	v_fma_f64 v[220:221], -v[206:207], v[208:209], 1.0
	v_fma_f64 v[208:209], v[208:209], v[220:221], v[208:209]
	v_fma_f64 v[220:221], -v[206:207], v[208:209], 1.0
	v_fma_f64 v[208:209], v[208:209], v[220:221], v[208:209]
	v_div_scale_f64 v[220:221], vcc_lo, 1.0, v[108:109], 1.0
	v_mul_f64 v[110:111], v[220:221], v[208:209]
	v_fma_f64 v[112:113], -v[206:207], v[110:111], v[220:221]
	v_div_fmas_f64 v[110:111], v[112:113], v[208:209], v[110:111]
	v_div_fixup_f64 v[208:209], v[110:111], v[108:109], 1.0
	v_mov_b32_e32 v110, v114
	v_mov_b32_e32 v111, v115
	v_mov_b32_e32 v112, v116
	v_mov_b32_e32 v113, v117
	v_mov_b32_e32 v114, v222
	v_mov_b32_e32 v115, v223
	v_mov_b32_e32 v116, v224
	v_mov_b32_e32 v117, v225
	v_mov_b32_e32 v222, v121
	v_mov_b32_e32 v221, v120
	v_mov_b32_e32 v118, v122
	v_mov_b32_e32 v119, v123
	v_mov_b32_e32 v120, v124
	v_mov_b32_e32 v121, v125
	v_mov_b32_e32 v122, v126
	v_mov_b32_e32 v123, v127
	v_mov_b32_e32 v124, v128
	v_mov_b32_e32 v125, v129
	v_mov_b32_e32 v126, v130
	v_mov_b32_e32 v127, v131
	v_mov_b32_e32 v128, v132
	v_mov_b32_e32 v129, v133
	v_mov_b32_e32 v130, v134
	v_mov_b32_e32 v131, v135
	v_mov_b32_e32 v132, v136
	v_mov_b32_e32 v133, v137
	v_mov_b32_e32 v134, v138
	v_mov_b32_e32 v135, v139
	v_mov_b32_e32 v136, v140
	v_mov_b32_e32 v137, v141
	v_mov_b32_e32 v138, v142
	v_mov_b32_e32 v139, v143
	v_mov_b32_e32 v140, v144
	v_mov_b32_e32 v141, v145
	v_mov_b32_e32 v142, v146
	v_mov_b32_e32 v143, v147
	v_mov_b32_e32 v144, v148
	v_mov_b32_e32 v145, v149
	v_mov_b32_e32 v146, v216
	v_mov_b32_e32 v147, v217
	v_mov_b32_e32 v148, v218
	v_mov_b32_e32 v149, v219
	v_mov_b32_e32 v219, v153
	v_mov_b32_e32 v217, v151
	v_mov_b32_e32 v218, v152
	v_mov_b32_e32 v216, v150
	v_mov_b32_e32 v150, v154
	v_mov_b32_e32 v151, v155
	v_mov_b32_e32 v152, v156
	v_mov_b32_e32 v153, v157
	v_mov_b32_e32 v154, v158
	v_mov_b32_e32 v155, v159
	v_mov_b32_e32 v156, v160
	v_mov_b32_e32 v157, v161
	v_mov_b32_e32 v158, v162
	v_mov_b32_e32 v159, v163
	v_mov_b32_e32 v160, v164
	v_mov_b32_e32 v161, v165
	v_mov_b32_e32 v162, v166
	v_mov_b32_e32 v163, v167
	v_mov_b32_e32 v164, v168
	v_mov_b32_e32 v165, v169
	v_mov_b32_e32 v166, v170
	v_mov_b32_e32 v167, v171
	v_mov_b32_e32 v168, v172
	v_mov_b32_e32 v169, v173
	v_mov_b32_e32 v170, v174
	v_mov_b32_e32 v171, v175
	v_mov_b32_e32 v172, v176
	v_mov_b32_e32 v173, v177
	v_mov_b32_e32 v174, v178
	v_mov_b32_e32 v175, v179
	v_mov_b32_e32 v176, v180
	v_mov_b32_e32 v177, v181
	v_mov_b32_e32 v181, v105
	v_mov_b32_e32 v180, v104
	v_mov_b32_e32 v179, v103
	v_mov_b32_e32 v178, v102
	v_mov_b32_e32 v102, v182
	v_mov_b32_e32 v103, v183
	v_mov_b32_e32 v104, v184
	v_mov_b32_e32 v105, v185
	v_mov_b32_e32 v185, v101
	v_mov_b32_e32 v184, v100
	v_mov_b32_e32 v183, v99
	v_mov_b32_e32 v182, v98
	v_mov_b32_e32 v101, v97
	v_mov_b32_e32 v100, v96
	v_mov_b32_e32 v99, v95
	v_mov_b32_e32 v98, v94
	v_mov_b32_e32 v97, v93
	v_mov_b32_e32 v96, v92
	v_mov_b32_e32 v95, v91
	v_mov_b32_e32 v94, v90
	v_mov_b32_e32 v93, v89
	v_mov_b32_e32 v92, v88
	v_mov_b32_e32 v91, v87
	v_mov_b32_e32 v90, v86
	v_mov_b32_e32 v86, v186
	v_mov_b32_e32 v87, v187
	v_mov_b32_e32 v88, v188
	v_mov_b32_e32 v89, v189
	v_mov_b32_e32 v189, v85
	v_mov_b32_e32 v188, v84
	v_mov_b32_e32 v187, v83
	v_mov_b32_e32 v186, v82
	v_mov_b32_e32 v85, v81
	v_mov_b32_e32 v84, v80
	v_mov_b32_e32 v83, v79
	v_mov_b32_e32 v82, v78
	v_mov_b32_e32 v81, v77
	v_mov_b32_e32 v80, v76
	v_mov_b32_e32 v79, v75
	v_mov_b32_e32 v78, v74
	v_mov_b32_e32 v77, v73
	v_mov_b32_e32 v76, v72
	v_mov_b32_e32 v75, v71
	v_mov_b32_e32 v74, v70
	v_mov_b32_e32 v73, v69
	v_mov_b32_e32 v72, v68
	v_mov_b32_e32 v71, v67
	v_mov_b32_e32 v70, v66
	v_mov_b32_e32 v69, v65
	v_mov_b32_e32 v68, v64
	v_mov_b32_e32 v67, v63
	v_mov_b32_e32 v66, v62
	v_mov_b32_e32 v65, v61
	v_mov_b32_e32 v64, v60
	v_mov_b32_e32 v63, v59
	v_mov_b32_e32 v62, v58
	v_mov_b32_e32 v58, v190
	v_mov_b32_e32 v59, v191
	v_mov_b32_e32 v60, v192
	v_mov_b32_e32 v61, v193
	v_mov_b32_e32 v193, v57
	v_mov_b32_e32 v192, v56
	v_mov_b32_e32 v191, v55
	v_mov_b32_e32 v190, v54
	v_mov_b32_e32 v57, v53
	v_mov_b32_e32 v56, v52
	v_mov_b32_e32 v55, v51
	v_mov_b32_e32 v54, v50
	v_mov_b32_e32 v53, v49
	v_mov_b32_e32 v52, v48
	v_mov_b32_e32 v51, v47
	v_mov_b32_e32 v50, v46
	v_mov_b32_e32 v49, v45
	v_mov_b32_e32 v48, v44
	v_mov_b32_e32 v47, v43
	v_mov_b32_e32 v46, v42
	v_mov_b32_e32 v45, v41
	v_mov_b32_e32 v44, v40
	v_mov_b32_e32 v43, v39
	v_mov_b32_e32 v42, v38
	s_clause 0x3
	buffer_load_dword v38, off, s[28:31], 0 offset:72
	buffer_load_dword v39, off, s[28:31], 0 offset:76
	;; [unrolled: 1-line block ×4, first 2 shown]
	v_mul_f64 v[206:207], v[106:107], v[208:209]
	v_xor_b32_e32 v209, 0x80000000, v209
.LBB51_230:
	s_andn2_saveexec_b32 s1, s1
	s_cbranch_execz .LBB51_232
; %bb.231:
	v_div_scale_f64 v[106:107], null, v[2:3], v[2:3], v[4:5]
	s_waitcnt vmcnt(0)
	v_mov_b32_e32 v227, v41
	v_mov_b32_e32 v226, v40
	;; [unrolled: 1-line block ×61, first 2 shown]
	v_rcp_f64_e32 v[108:109], v[106:107]
	v_mov_b32_e32 v87, v91
	v_mov_b32_e32 v88, v92
	;; [unrolled: 1-line block ×97, first 2 shown]
	v_fma_f64 v[110:111], -v[106:107], v[108:109], 1.0
	v_div_scale_f64 v[112:113], vcc_lo, v[4:5], v[2:3], v[4:5]
	v_fma_f64 v[108:109], v[108:109], v[110:111], v[108:109]
	v_fma_f64 v[110:111], -v[106:107], v[108:109], 1.0
	v_fma_f64 v[108:109], v[108:109], v[110:111], v[108:109]
	v_mul_f64 v[110:111], v[112:113], v[108:109]
	v_fma_f64 v[106:107], -v[106:107], v[110:111], v[112:113]
	v_div_fmas_f64 v[106:107], v[106:107], v[108:109], v[110:111]
	v_div_fixup_f64 v[106:107], v[106:107], v[2:3], v[4:5]
	v_fma_f64 v[108:109], v[4:5], v[106:107], v[2:3]
	v_div_scale_f64 v[110:111], null, v[108:109], v[108:109], 1.0
	v_rcp_f64_e32 v[112:113], v[110:111]
	v_fma_f64 v[206:207], -v[110:111], v[112:113], 1.0
	v_fma_f64 v[112:113], v[112:113], v[206:207], v[112:113]
	v_fma_f64 v[206:207], -v[110:111], v[112:113], 1.0
	v_fma_f64 v[112:113], v[112:113], v[206:207], v[112:113]
	v_div_scale_f64 v[206:207], vcc_lo, 1.0, v[108:109], 1.0
	v_mul_f64 v[208:209], v[206:207], v[112:113]
	v_fma_f64 v[110:111], -v[110:111], v[208:209], v[206:207]
	v_div_fmas_f64 v[110:111], v[110:111], v[112:113], v[208:209]
	v_div_fixup_f64 v[206:207], v[110:111], v[108:109], 1.0
	v_mov_b32_e32 v110, v114
	v_mov_b32_e32 v111, v115
	;; [unrolled: 1-line block ×91, first 2 shown]
	v_mul_f64 v[208:209], v[106:107], -v[206:207]
	v_mov_b32_e32 v96, v92
	v_mov_b32_e32 v95, v91
	;; [unrolled: 1-line block ×67, first 2 shown]
.LBB51_232:
	s_or_b32 exec_lo, exec_lo, s1
	ds_write2_b64 v1, v[206:207], v[208:209] offset1:1
.LBB51_233:
	s_or_b32 exec_lo, exec_lo, s2
	s_waitcnt vmcnt(0) lgkmcnt(0)
	s_waitcnt_vscnt null, 0x0
	s_barrier
	buffer_gl0_inv
	ds_read2_b64 v[206:209], v1 offset1:1
	s_mov_b32 s1, exec_lo
	v_cmpx_lt_u32_e32 25, v0
	s_cbranch_execz .LBB51_235
; %bb.234:
	s_waitcnt lgkmcnt(0)
	v_mul_f64 v[0:1], v[208:209], v[4:5]
	v_mul_f64 v[4:5], v[206:207], v[4:5]
	v_fma_f64 v[0:1], v[206:207], v[2:3], -v[0:1]
	v_fma_f64 v[4:5], v[208:209], v[2:3], v[4:5]
	v_mov_b32_e32 v3, v1
	v_mov_b32_e32 v2, v0
.LBB51_235:
	s_or_b32 exec_lo, exec_lo, s1
	s_waitcnt lgkmcnt(0)
	s_barrier
	buffer_gl0_inv
	s_and_saveexec_b32 s20, s0
	s_cbranch_execz .LBB51_238
; %bb.236:
	s_clause 0x3
	buffer_load_dword v106, off, s[28:31], 0 offset:40
	buffer_load_dword v107, off, s[28:31], 0 offset:44
	;; [unrolled: 1-line block ×4, first 2 shown]
	v_lshlrev_b64 v[0:1], 2, v[218:219]
	v_cmp_neq_f64_e64 s3, 0, v[110:111]
	v_cmp_neq_f64_e64 s4, 0, v[112:113]
	v_cmp_eq_f64_e64 s5, 0, v[114:115]
	v_cmp_eq_f64_e64 s6, 0, v[116:117]
	;; [unrolled: 1-line block ×3, first 2 shown]
	v_add_co_u32 v0, s19, s22, v0
	v_add_co_ci_u32_e64 v1, null, s23, v1, s19
	v_cmp_eq_f64_e64 s8, 0, v[120:121]
	v_cmp_eq_f64_e64 s10, 0, v[122:123]
	v_cmp_eq_f64_e64 s12, 0, v[124:125]
	v_cmp_eq_f64_e64 s13, 0, v[126:127]
	v_cmp_eq_f64_e64 s16, 0, v[128:129]
	v_cmp_eq_f64_e64 s14, 0, v[130:131]
	v_cmp_eq_f64_e64 s17, 0, v[132:133]
	v_cmp_eq_f64_e64 s15, 0, v[134:135]
	v_cmp_eq_f64_e64 s18, 0, v[136:137]
	v_cmp_eq_f64_e64 s9, 0, v[138:139]
	v_cmp_eq_f64_e64 s11, 0, v[140:141]
	v_cmp_eq_f64_e64 s0, 0, v[142:143]
	v_cmp_eq_f64_e64 s2, 0, v[144:145]
	s_or_b32 s3, s3, s4
	s_and_b32 s4, s9, s11
	s_and_b32 s2, s0, s2
	v_cmp_eq_f64_e64 s0, 0, v[152:153]
	s_waitcnt vmcnt(2)
	v_cmp_eq_f64_e32 vcc_lo, 0, v[106:107]
	global_load_dword v107, v[0:1], off
	s_waitcnt vmcnt(1)
	v_cmp_eq_f64_e64 s1, 0, v[108:109]
	s_and_b32 s1, vcc_lo, s1
	v_cndmask_b32_e64 v106, 0, 1, s1
	s_or_b32 vcc_lo, s3, s1
	s_and_b32 s1, s5, s6
	v_cmp_eq_f64_e64 s3, 0, v[148:149]
	v_cndmask_b32_e32 v106, 2, v106, vcc_lo
	v_cmp_eq_u32_e32 vcc_lo, 0, v106
	s_and_b32 s1, s1, vcc_lo
	v_cndmask_b32_e64 v106, v106, 3, s1
	s_and_b32 s1, s7, s8
	v_cmp_eq_u32_e32 vcc_lo, 0, v106
	s_and_b32 s1, s1, vcc_lo
	v_cndmask_b32_e64 v106, v106, 4, s1
	s_and_b32 s1, s10, s12
	;; [unrolled: 4-line block ×5, first 2 shown]
	v_cmp_eq_u32_e32 vcc_lo, 0, v106
	s_and_b32 s1, s1, vcc_lo
	v_cndmask_b32_e64 v106, v106, 8, s1
	v_cmp_eq_f64_e64 s1, 0, v[146:147]
	v_cmp_eq_u32_e32 vcc_lo, 0, v106
	s_and_b32 s4, s4, vcc_lo
	v_cndmask_b32_e64 v106, v106, 9, s4
	v_cmp_eq_f64_e64 s4, 0, v[150:151]
	v_cmp_eq_u32_e32 vcc_lo, 0, v106
	s_and_b32 s2, s2, vcc_lo
	s_and_b32 s3, s1, s3
	v_cndmask_b32_e64 v106, v106, 10, s2
	v_cmp_eq_f64_e64 s2, 0, v[154:155]
	v_cmp_eq_f64_e64 s1, 0, v[156:157]
	v_cmp_eq_u32_e32 vcc_lo, 0, v106
	s_and_b32 s3, s3, vcc_lo
	s_and_b32 s4, s4, s0
	v_cndmask_b32_e64 v106, v106, 11, s3
	v_cmp_eq_f64_e64 s3, 0, v[158:159]
	;; [unrolled: 6-line block ×4, first 2 shown]
	v_cmp_eq_f64_e64 s0, 0, v[168:169]
	v_cmp_eq_u32_e32 vcc_lo, 0, v106
	s_and_b32 s3, s3, vcc_lo
	v_cndmask_b32_e64 v106, v106, 14, s3
	s_and_b32 s4, s4, s1
	v_cmp_eq_f64_e64 s3, 0, v[170:171]
	v_cmp_eq_f64_e64 s1, 0, v[172:173]
	v_cmp_eq_u32_e32 vcc_lo, 0, v106
	s_and_b32 s4, s4, vcc_lo
	v_cndmask_b32_e64 v106, v106, 15, s4
	s_and_b32 s2, s2, s0
	v_cmp_eq_f64_e64 s4, 0, v[174:175]
	;; [unrolled: 6-line block ×10, first 2 shown]
	v_cmp_eq_f64_e64 s0, 0, v[208:209]
	v_cmp_eq_u32_e32 vcc_lo, 0, v106
	s_and_b32 s4, s4, vcc_lo
	v_cndmask_b32_e64 v106, v106, 24, s4
	s_and_b32 s1, s2, s1
	v_cmp_eq_u32_e32 vcc_lo, 0, v106
	s_and_b32 s1, s1, vcc_lo
	v_cndmask_b32_e64 v106, v106, 25, s1
	s_and_b32 s0, s3, s0
	v_cmp_eq_u32_e32 vcc_lo, 0, v106
	s_and_b32 s0, s0, vcc_lo
	v_cndmask_b32_e64 v106, v106, 26, s0
	s_waitcnt vmcnt(0)
	v_cmp_eq_u32_e32 vcc_lo, 0, v107
	v_cmp_ne_u32_e64 s0, 0, v106
	s_and_b32 s0, vcc_lo, s0
	s_and_b32 exec_lo, exec_lo, s0
	s_cbranch_execz .LBB51_238
; %bb.237:
	v_add_nc_u32_e32 v106, s25, v106
	global_store_dword v[0:1], v106, off
.LBB51_238:
	s_or_b32 exec_lo, exec_lo, s20
	global_store_dwordx4 v[216:217], v[102:105], off
	global_store_dwordx4 v[221:222], v[98:101], off
	s_clause 0x1
	buffer_load_dword v0, off, s[28:31], 0 offset:16
	buffer_load_dword v1, off, s[28:31], 0 offset:20
	s_waitcnt vmcnt(0)
	global_store_dwordx4 v[0:1], v[94:97], off
	s_clause 0x1
	buffer_load_dword v0, off, s[28:31], 0 offset:8
	buffer_load_dword v1, off, s[28:31], 0 offset:12
	s_waitcnt vmcnt(0)
	global_store_dwordx4 v[0:1], v[90:93], off
	s_clause 0x1
	buffer_load_dword v0, off, s[28:31], 0
	buffer_load_dword v1, off, s[28:31], 0 offset:4
	s_waitcnt vmcnt(0)
	global_store_dwordx4 v[0:1], v[86:89], off
	s_clause 0x1
	buffer_load_dword v0, off, s[28:31], 0 offset:24
	buffer_load_dword v1, off, s[28:31], 0 offset:28
	s_waitcnt vmcnt(0)
	global_store_dwordx4 v[0:1], v[82:85], off
	s_clause 0x1
	buffer_load_dword v0, off, s[28:31], 0 offset:32
	;; [unrolled: 5-line block ×4, first 2 shown]
	buffer_load_dword v1, off, s[28:31], 0 offset:60
	s_waitcnt vmcnt(0)
	global_store_dwordx4 v[0:1], v[70:73], off
	global_store_dwordx4 v[228:229], v[66:69], off
	;; [unrolled: 1-line block ×18, first 2 shown]
.LBB51_239:
	s_endpgm
	.section	.rodata,"a",@progbits
	.p2align	6, 0x0
	.amdhsa_kernel _ZN9rocsolver6v33100L23getf2_npvt_small_kernelILi26E19rocblas_complex_numIdEiiPS3_EEvT1_T3_lS5_lPT2_S5_S5_
		.amdhsa_group_segment_fixed_size 0
		.amdhsa_private_segment_fixed_size 92
		.amdhsa_kernarg_size 312
		.amdhsa_user_sgpr_count 6
		.amdhsa_user_sgpr_private_segment_buffer 1
		.amdhsa_user_sgpr_dispatch_ptr 0
		.amdhsa_user_sgpr_queue_ptr 0
		.amdhsa_user_sgpr_kernarg_segment_ptr 1
		.amdhsa_user_sgpr_dispatch_id 0
		.amdhsa_user_sgpr_flat_scratch_init 0
		.amdhsa_user_sgpr_private_segment_size 0
		.amdhsa_wavefront_size32 1
		.amdhsa_uses_dynamic_stack 0
		.amdhsa_system_sgpr_private_segment_wavefront_offset 1
		.amdhsa_system_sgpr_workgroup_id_x 1
		.amdhsa_system_sgpr_workgroup_id_y 1
		.amdhsa_system_sgpr_workgroup_id_z 0
		.amdhsa_system_sgpr_workgroup_info 0
		.amdhsa_system_vgpr_workitem_id 1
		.amdhsa_next_free_vgpr 256
		.amdhsa_next_free_sgpr 32
		.amdhsa_reserve_vcc 1
		.amdhsa_reserve_flat_scratch 0
		.amdhsa_float_round_mode_32 0
		.amdhsa_float_round_mode_16_64 0
		.amdhsa_float_denorm_mode_32 3
		.amdhsa_float_denorm_mode_16_64 3
		.amdhsa_dx10_clamp 1
		.amdhsa_ieee_mode 1
		.amdhsa_fp16_overflow 0
		.amdhsa_workgroup_processor_mode 1
		.amdhsa_memory_ordered 1
		.amdhsa_forward_progress 1
		.amdhsa_shared_vgpr_count 0
		.amdhsa_exception_fp_ieee_invalid_op 0
		.amdhsa_exception_fp_denorm_src 0
		.amdhsa_exception_fp_ieee_div_zero 0
		.amdhsa_exception_fp_ieee_overflow 0
		.amdhsa_exception_fp_ieee_underflow 0
		.amdhsa_exception_fp_ieee_inexact 0
		.amdhsa_exception_int_div_zero 0
	.end_amdhsa_kernel
	.section	.text._ZN9rocsolver6v33100L23getf2_npvt_small_kernelILi26E19rocblas_complex_numIdEiiPS3_EEvT1_T3_lS5_lPT2_S5_S5_,"axG",@progbits,_ZN9rocsolver6v33100L23getf2_npvt_small_kernelILi26E19rocblas_complex_numIdEiiPS3_EEvT1_T3_lS5_lPT2_S5_S5_,comdat
.Lfunc_end51:
	.size	_ZN9rocsolver6v33100L23getf2_npvt_small_kernelILi26E19rocblas_complex_numIdEiiPS3_EEvT1_T3_lS5_lPT2_S5_S5_, .Lfunc_end51-_ZN9rocsolver6v33100L23getf2_npvt_small_kernelILi26E19rocblas_complex_numIdEiiPS3_EEvT1_T3_lS5_lPT2_S5_S5_
                                        ; -- End function
	.set _ZN9rocsolver6v33100L23getf2_npvt_small_kernelILi26E19rocblas_complex_numIdEiiPS3_EEvT1_T3_lS5_lPT2_S5_S5_.num_vgpr, 256
	.set _ZN9rocsolver6v33100L23getf2_npvt_small_kernelILi26E19rocblas_complex_numIdEiiPS3_EEvT1_T3_lS5_lPT2_S5_S5_.num_agpr, 0
	.set _ZN9rocsolver6v33100L23getf2_npvt_small_kernelILi26E19rocblas_complex_numIdEiiPS3_EEvT1_T3_lS5_lPT2_S5_S5_.numbered_sgpr, 32
	.set _ZN9rocsolver6v33100L23getf2_npvt_small_kernelILi26E19rocblas_complex_numIdEiiPS3_EEvT1_T3_lS5_lPT2_S5_S5_.num_named_barrier, 0
	.set _ZN9rocsolver6v33100L23getf2_npvt_small_kernelILi26E19rocblas_complex_numIdEiiPS3_EEvT1_T3_lS5_lPT2_S5_S5_.private_seg_size, 92
	.set _ZN9rocsolver6v33100L23getf2_npvt_small_kernelILi26E19rocblas_complex_numIdEiiPS3_EEvT1_T3_lS5_lPT2_S5_S5_.uses_vcc, 1
	.set _ZN9rocsolver6v33100L23getf2_npvt_small_kernelILi26E19rocblas_complex_numIdEiiPS3_EEvT1_T3_lS5_lPT2_S5_S5_.uses_flat_scratch, 0
	.set _ZN9rocsolver6v33100L23getf2_npvt_small_kernelILi26E19rocblas_complex_numIdEiiPS3_EEvT1_T3_lS5_lPT2_S5_S5_.has_dyn_sized_stack, 0
	.set _ZN9rocsolver6v33100L23getf2_npvt_small_kernelILi26E19rocblas_complex_numIdEiiPS3_EEvT1_T3_lS5_lPT2_S5_S5_.has_recursion, 0
	.set _ZN9rocsolver6v33100L23getf2_npvt_small_kernelILi26E19rocblas_complex_numIdEiiPS3_EEvT1_T3_lS5_lPT2_S5_S5_.has_indirect_call, 0
	.section	.AMDGPU.csdata,"",@progbits
; Kernel info:
; codeLenInByte = 42812
; TotalNumSgprs: 34
; NumVgprs: 256
; ScratchSize: 92
; MemoryBound: 1
; FloatMode: 240
; IeeeMode: 1
; LDSByteSize: 0 bytes/workgroup (compile time only)
; SGPRBlocks: 0
; VGPRBlocks: 31
; NumSGPRsForWavesPerEU: 34
; NumVGPRsForWavesPerEU: 256
; Occupancy: 4
; WaveLimiterHint : 0
; COMPUTE_PGM_RSRC2:SCRATCH_EN: 1
; COMPUTE_PGM_RSRC2:USER_SGPR: 6
; COMPUTE_PGM_RSRC2:TRAP_HANDLER: 0
; COMPUTE_PGM_RSRC2:TGID_X_EN: 1
; COMPUTE_PGM_RSRC2:TGID_Y_EN: 1
; COMPUTE_PGM_RSRC2:TGID_Z_EN: 0
; COMPUTE_PGM_RSRC2:TIDIG_COMP_CNT: 1
	.section	.text._ZN9rocsolver6v33100L18getf2_small_kernelILi27E19rocblas_complex_numIdEiiPS3_EEvT1_T3_lS5_lPS5_llPT2_S5_S5_S7_l,"axG",@progbits,_ZN9rocsolver6v33100L18getf2_small_kernelILi27E19rocblas_complex_numIdEiiPS3_EEvT1_T3_lS5_lPS5_llPT2_S5_S5_S7_l,comdat
	.globl	_ZN9rocsolver6v33100L18getf2_small_kernelILi27E19rocblas_complex_numIdEiiPS3_EEvT1_T3_lS5_lPS5_llPT2_S5_S5_S7_l ; -- Begin function _ZN9rocsolver6v33100L18getf2_small_kernelILi27E19rocblas_complex_numIdEiiPS3_EEvT1_T3_lS5_lPS5_llPT2_S5_S5_S7_l
	.p2align	8
	.type	_ZN9rocsolver6v33100L18getf2_small_kernelILi27E19rocblas_complex_numIdEiiPS3_EEvT1_T3_lS5_lPS5_llPT2_S5_S5_S7_l,@function
_ZN9rocsolver6v33100L18getf2_small_kernelILi27E19rocblas_complex_numIdEiiPS3_EEvT1_T3_lS5_lPS5_llPT2_S5_S5_S7_l: ; @_ZN9rocsolver6v33100L18getf2_small_kernelILi27E19rocblas_complex_numIdEiiPS3_EEvT1_T3_lS5_lPS5_llPT2_S5_S5_S7_l
; %bb.0:
	s_clause 0x1
	s_load_dword s0, s[4:5], 0x6c
	s_load_dwordx2 s[16:17], s[4:5], 0x48
	s_waitcnt lgkmcnt(0)
	s_lshr_b32 s0, s0, 16
	v_mad_u64_u32 v[114:115], null, s7, s0, v[1:2]
	s_mov_b32 s0, exec_lo
	v_cmpx_gt_i32_e64 s16, v114
	s_cbranch_execz .LBB52_570
; %bb.1:
	s_load_dwordx4 s[0:3], s[4:5], 0x50
	v_mov_b32_e32 v116, 0
	v_ashrrev_i32_e32 v115, 31, v114
	v_mov_b32_e32 v117, 0
	s_waitcnt lgkmcnt(0)
	s_cmp_eq_u64 s[0:1], 0
	s_cselect_b32 s16, -1, 0
	s_and_b32 vcc_lo, exec_lo, s16
	s_cbranch_vccnz .LBB52_3
; %bb.2:
	v_mul_lo_u32 v4, s3, v114
	v_mul_lo_u32 v5, s2, v115
	v_mad_u64_u32 v[2:3], null, s2, v114, 0
	v_add3_u32 v3, v3, v5, v4
	v_lshlrev_b64 v[2:3], 2, v[2:3]
	v_add_co_u32 v116, vcc_lo, s0, v2
	v_add_co_ci_u32_e64 v117, null, s1, v3, vcc_lo
.LBB52_3:
	s_clause 0x2
	s_load_dwordx8 s[8:15], s[4:5], 0x20
	s_load_dword s6, s[4:5], 0x18
	s_load_dwordx4 s[0:3], s[4:5], 0x8
	v_lshlrev_b32_e32 v120, 4, v0
	s_clause 0x1
	s_load_dword s18, s[4:5], 0x0
	s_load_dwordx2 s[4:5], s[4:5], 0x40
	s_waitcnt lgkmcnt(0)
	v_mul_lo_u32 v5, s9, v114
	v_mul_lo_u32 v7, s8, v115
	v_mad_u64_u32 v[2:3], null, s8, v114, 0
	v_add3_u32 v4, s6, s6, v0
	s_lshl_b64 s[2:3], s[2:3], 4
	s_ashr_i32 s7, s6, 31
	s_lshl_b64 s[8:9], s[6:7], 4
	v_add_nc_u32_e32 v6, s6, v4
	v_add3_u32 v3, v3, v7, v5
	v_ashrrev_i32_e32 v5, 31, v4
	v_add_nc_u32_e32 v8, s6, v6
	v_lshlrev_b64 v[2:3], 4, v[2:3]
	v_ashrrev_i32_e32 v7, 31, v6
	v_lshlrev_b64 v[4:5], 4, v[4:5]
	v_ashrrev_i32_e32 v9, 31, v8
	v_add_nc_u32_e32 v10, s6, v8
	v_add_co_u32 v12, vcc_lo, s0, v2
	v_add_co_ci_u32_e64 v13, null, s1, v3, vcc_lo
	v_lshlrev_b64 v[2:3], 4, v[8:9]
	v_add_nc_u32_e32 v8, s6, v10
	v_add_co_u32 v121, vcc_lo, v12, s2
	v_ashrrev_i32_e32 v11, 31, v10
	v_lshlrev_b64 v[6:7], 4, v[6:7]
	v_add_nc_u32_e32 v12, s6, v8
	v_add_co_ci_u32_e64 v122, null, s3, v13, vcc_lo
	v_ashrrev_i32_e32 v9, 31, v8
	v_lshlrev_b64 v[10:11], 4, v[10:11]
	v_add_nc_u32_e32 v14, s6, v12
	v_ashrrev_i32_e32 v13, 31, v12
	v_add_co_u32 v4, vcc_lo, v121, v4
	v_add_co_ci_u32_e64 v5, null, v122, v5, vcc_lo
	v_add_nc_u32_e32 v16, s6, v14
	v_ashrrev_i32_e32 v15, 31, v14
	v_add_co_u32 v6, vcc_lo, v121, v6
	v_lshlrev_b64 v[8:9], 4, v[8:9]
	v_add_nc_u32_e32 v18, s6, v16
	v_ashrrev_i32_e32 v17, 31, v16
	v_add_co_ci_u32_e64 v7, null, v122, v7, vcc_lo
	v_add_co_u32 v2, vcc_lo, v121, v2
	v_add_nc_u32_e32 v20, s6, v18
	v_lshlrev_b64 v[12:13], 4, v[12:13]
	v_ashrrev_i32_e32 v19, 31, v18
	v_add_co_ci_u32_e64 v3, null, v122, v3, vcc_lo
	v_add_nc_u32_e32 v22, s6, v20
	v_add_co_u32 v10, vcc_lo, v121, v10
	v_lshlrev_b64 v[14:15], 4, v[14:15]
	v_ashrrev_i32_e32 v21, 31, v20
	v_add_nc_u32_e32 v24, s6, v22
	v_add_co_ci_u32_e64 v11, null, v122, v11, vcc_lo
	v_add_co_u32 v8, vcc_lo, v121, v8
	v_add_nc_u32_e32 v26, s6, v24
	v_lshlrev_b64 v[16:17], 4, v[16:17]
	v_ashrrev_i32_e32 v23, 31, v22
	v_add_co_ci_u32_e64 v9, null, v122, v9, vcc_lo
	v_add_nc_u32_e32 v28, s6, v26
	v_add_co_u32 v12, vcc_lo, v121, v12
	v_lshlrev_b64 v[18:19], 4, v[18:19]
	v_ashrrev_i32_e32 v25, 31, v24
	v_add_nc_u32_e32 v30, s6, v28
	v_add_co_ci_u32_e64 v13, null, v122, v13, vcc_lo
	v_add_co_u32 v14, vcc_lo, v121, v14
	v_add_nc_u32_e32 v32, s6, v30
	v_lshlrev_b64 v[20:21], 4, v[20:21]
	v_ashrrev_i32_e32 v27, 31, v26
	v_add_co_ci_u32_e64 v15, null, v122, v15, vcc_lo
	v_add_nc_u32_e32 v34, s6, v32
	v_add_co_u32 v16, vcc_lo, v121, v16
	v_lshlrev_b64 v[22:23], 4, v[22:23]
	v_ashrrev_i32_e32 v29, 31, v28
	v_add_co_ci_u32_e64 v17, null, v122, v17, vcc_lo
	v_add_co_u32 v18, vcc_lo, v121, v18
	v_lshlrev_b64 v[24:25], 4, v[24:25]
	v_add_nc_u32_e32 v36, s6, v34
	v_ashrrev_i32_e32 v31, 31, v30
	v_add_co_ci_u32_e64 v19, null, v122, v19, vcc_lo
	v_add_co_u32 v20, vcc_lo, v121, v20
	v_lshlrev_b64 v[26:27], 4, v[26:27]
	v_ashrrev_i32_e32 v33, 31, v32
	v_add_co_ci_u32_e64 v21, null, v122, v21, vcc_lo
	v_add_co_u32 v22, vcc_lo, v121, v22
	v_lshlrev_b64 v[28:29], 4, v[28:29]
	v_ashrrev_i32_e32 v35, 31, v34
	v_add_nc_u32_e32 v38, s6, v36
	v_add_co_ci_u32_e64 v23, null, v122, v23, vcc_lo
	v_add_co_u32 v24, vcc_lo, v121, v24
	v_lshlrev_b64 v[30:31], 4, v[30:31]
	v_ashrrev_i32_e32 v37, 31, v36
	v_add_co_ci_u32_e64 v25, null, v122, v25, vcc_lo
	v_add_co_u32 v26, vcc_lo, v121, v26
	v_lshlrev_b64 v[32:33], 4, v[32:33]
	v_add_co_ci_u32_e64 v27, null, v122, v27, vcc_lo
	v_add_co_u32 v28, vcc_lo, v121, v28
	v_lshlrev_b64 v[34:35], 4, v[34:35]
	v_add_nc_u32_e32 v40, s6, v38
	v_add_co_ci_u32_e64 v29, null, v122, v29, vcc_lo
	v_add_co_u32 v30, vcc_lo, v121, v30
	v_lshlrev_b64 v[36:37], 4, v[36:37]
	v_ashrrev_i32_e32 v39, 31, v38
	v_add_co_ci_u32_e64 v31, null, v122, v31, vcc_lo
	v_add_co_u32 v32, vcc_lo, v121, v32
	v_ashrrev_i32_e32 v41, 31, v40
	v_add_nc_u32_e32 v42, s6, v40
	v_add_co_ci_u32_e64 v33, null, v122, v33, vcc_lo
	v_add_co_u32 v34, vcc_lo, v121, v34
	v_lshlrev_b64 v[38:39], 4, v[38:39]
	v_add_co_ci_u32_e64 v35, null, v122, v35, vcc_lo
	v_add_co_u32 v110, vcc_lo, v121, v36
	v_add_co_ci_u32_e64 v111, null, v122, v37, vcc_lo
	v_lshlrev_b64 v[36:37], 4, v[40:41]
	v_ashrrev_i32_e32 v43, 31, v42
	v_add_nc_u32_e32 v40, s6, v42
	v_add_co_u32 v112, vcc_lo, v121, v38
	v_add_co_ci_u32_e64 v113, null, v122, v39, vcc_lo
	v_lshlrev_b64 v[38:39], 4, v[42:43]
	v_ashrrev_i32_e32 v41, 31, v40
	v_add_nc_u32_e32 v42, s6, v40
	v_add_co_u32 v118, vcc_lo, v121, v36
	v_add_co_ci_u32_e64 v119, null, v122, v37, vcc_lo
	v_lshlrev_b64 v[36:37], 4, v[40:41]
	v_add_nc_u32_e32 v40, s6, v42
	v_ashrrev_i32_e32 v43, 31, v42
	v_add_co_u32 v123, vcc_lo, v121, v38
	v_add_co_ci_u32_e64 v124, null, v122, v39, vcc_lo
	v_ashrrev_i32_e32 v41, 31, v40
	v_lshlrev_b64 v[38:39], 4, v[42:43]
	v_add_co_u32 v125, vcc_lo, v121, v36
	v_add_co_ci_u32_e64 v126, null, v122, v37, vcc_lo
	v_lshlrev_b64 v[36:37], 4, v[40:41]
	v_add_nc_u32_e32 v42, s6, v40
	v_add_co_u32 v127, vcc_lo, v121, v38
	v_add_co_ci_u32_e64 v128, null, v122, v39, vcc_lo
	v_ashrrev_i32_e32 v43, 31, v42
	v_add_co_u32 v129, vcc_lo, v121, v36
	v_add_co_ci_u32_e64 v130, null, v122, v37, vcc_lo
	v_add_co_u32 v36, vcc_lo, v121, v120
	v_add_co_ci_u32_e64 v37, null, 0, v122, vcc_lo
	v_lshlrev_b64 v[38:39], 4, v[42:43]
	v_add_co_u32 v40, vcc_lo, v36, s8
	v_add_co_ci_u32_e64 v41, null, s9, v37, vcc_lo
	s_max_i32 s0, s18, 27
	v_add_co_u32 v131, vcc_lo, v121, v38
	v_add_co_ci_u32_e64 v132, null, v122, v39, vcc_lo
	s_clause 0x1a
	global_load_dwordx4 v[102:105], v[36:37], off
	global_load_dwordx4 v[106:109], v[40:41], off
	;; [unrolled: 1-line block ×27, first 2 shown]
	v_mul_lo_u32 v118, s0, v1
	s_cmp_lt_i32 s18, 2
	v_lshl_add_u32 v1, v118, 4, 0
	v_add_nc_u32_e32 v110, v1, v120
	v_lshlrev_b32_e32 v120, 4, v118
	v_mov_b32_e32 v118, 0
	s_waitcnt vmcnt(26)
	ds_write2_b64 v110, v[102:103], v[104:105] offset1:1
	s_waitcnt vmcnt(0) lgkmcnt(0)
	s_barrier
	buffer_gl0_inv
	ds_read2_b64 v[110:113], v1 offset1:1
	s_cbranch_scc1 .LBB52_6
; %bb.4:
	v_add3_u32 v119, v120, 0, 16
	v_mov_b32_e32 v118, 0
	s_mov_b32 s3, 1
	s_inst_prefetch 0x1
	.p2align	6
.LBB52_5:                               ; =>This Inner Loop Header: Depth=1
	ds_read2_b64 v[123:126], v119 offset1:1
	s_waitcnt lgkmcnt(1)
	v_cmp_gt_f64_e32 vcc_lo, 0, v[110:111]
	v_cmp_gt_f64_e64 s0, 0, v[112:113]
	v_xor_b32_e32 v128, 0x80000000, v111
	v_xor_b32_e32 v130, 0x80000000, v113
	v_mov_b32_e32 v127, v110
	v_mov_b32_e32 v129, v112
	v_add_nc_u32_e32 v119, 16, v119
	s_waitcnt lgkmcnt(0)
	v_cmp_gt_f64_e64 s1, 0, v[123:124]
	v_cmp_gt_f64_e64 s2, 0, v[125:126]
	v_xor_b32_e32 v132, 0x80000000, v124
	v_xor_b32_e32 v134, 0x80000000, v126
	v_mov_b32_e32 v131, v123
	v_mov_b32_e32 v133, v125
	v_cndmask_b32_e32 v128, v111, v128, vcc_lo
	v_cndmask_b32_e64 v130, v113, v130, s0
	v_add_f64 v[127:128], v[127:128], v[129:130]
	v_cndmask_b32_e64 v132, v124, v132, s1
	v_cndmask_b32_e64 v134, v126, v134, s2
	v_add_f64 v[129:130], v[131:132], v[133:134]
	v_cmp_lt_f64_e32 vcc_lo, v[127:128], v[129:130]
	v_cndmask_b32_e32 v111, v111, v124, vcc_lo
	v_cndmask_b32_e32 v110, v110, v123, vcc_lo
	;; [unrolled: 1-line block ×4, first 2 shown]
	v_cndmask_b32_e64 v118, v118, s3, vcc_lo
	s_add_i32 s3, s3, 1
	s_cmp_eq_u32 s18, s3
	s_cbranch_scc0 .LBB52_5
.LBB52_6:
	s_inst_prefetch 0x2
	s_waitcnt lgkmcnt(0)
	v_cmp_neq_f64_e32 vcc_lo, 0, v[110:111]
	v_cmp_neq_f64_e64 s0, 0, v[112:113]
	v_mov_b32_e32 v123, 1
	v_mov_b32_e32 v125, 1
	s_or_b32 s1, vcc_lo, s0
	s_and_saveexec_b32 s0, s1
	s_cbranch_execz .LBB52_12
; %bb.7:
	v_cmp_ngt_f64_e64 s1, |v[110:111]|, |v[112:113]|
	s_and_saveexec_b32 s2, s1
	s_xor_b32 s1, exec_lo, s2
	s_cbranch_execz .LBB52_9
; %bb.8:
	v_div_scale_f64 v[123:124], null, v[112:113], v[112:113], v[110:111]
	v_div_scale_f64 v[129:130], vcc_lo, v[110:111], v[112:113], v[110:111]
	v_rcp_f64_e32 v[125:126], v[123:124]
	v_fma_f64 v[127:128], -v[123:124], v[125:126], 1.0
	v_fma_f64 v[125:126], v[125:126], v[127:128], v[125:126]
	v_fma_f64 v[127:128], -v[123:124], v[125:126], 1.0
	v_fma_f64 v[125:126], v[125:126], v[127:128], v[125:126]
	v_mul_f64 v[127:128], v[129:130], v[125:126]
	v_fma_f64 v[123:124], -v[123:124], v[127:128], v[129:130]
	v_div_fmas_f64 v[123:124], v[123:124], v[125:126], v[127:128]
	v_div_fixup_f64 v[123:124], v[123:124], v[112:113], v[110:111]
	v_fma_f64 v[110:111], v[110:111], v[123:124], v[112:113]
	v_div_scale_f64 v[112:113], null, v[110:111], v[110:111], 1.0
	v_rcp_f64_e32 v[125:126], v[112:113]
	v_fma_f64 v[127:128], -v[112:113], v[125:126], 1.0
	v_fma_f64 v[125:126], v[125:126], v[127:128], v[125:126]
	v_fma_f64 v[127:128], -v[112:113], v[125:126], 1.0
	v_fma_f64 v[125:126], v[125:126], v[127:128], v[125:126]
	v_div_scale_f64 v[127:128], vcc_lo, 1.0, v[110:111], 1.0
	v_mul_f64 v[129:130], v[127:128], v[125:126]
	v_fma_f64 v[112:113], -v[112:113], v[129:130], v[127:128]
	v_div_fmas_f64 v[112:113], v[112:113], v[125:126], v[129:130]
	v_div_fixup_f64 v[112:113], v[112:113], v[110:111], 1.0
	v_mul_f64 v[110:111], v[123:124], v[112:113]
	v_xor_b32_e32 v113, 0x80000000, v113
.LBB52_9:
	s_andn2_saveexec_b32 s1, s1
	s_cbranch_execz .LBB52_11
; %bb.10:
	v_div_scale_f64 v[123:124], null, v[110:111], v[110:111], v[112:113]
	v_div_scale_f64 v[129:130], vcc_lo, v[112:113], v[110:111], v[112:113]
	v_rcp_f64_e32 v[125:126], v[123:124]
	v_fma_f64 v[127:128], -v[123:124], v[125:126], 1.0
	v_fma_f64 v[125:126], v[125:126], v[127:128], v[125:126]
	v_fma_f64 v[127:128], -v[123:124], v[125:126], 1.0
	v_fma_f64 v[125:126], v[125:126], v[127:128], v[125:126]
	v_mul_f64 v[127:128], v[129:130], v[125:126]
	v_fma_f64 v[123:124], -v[123:124], v[127:128], v[129:130]
	v_div_fmas_f64 v[123:124], v[123:124], v[125:126], v[127:128]
	v_div_fixup_f64 v[123:124], v[123:124], v[110:111], v[112:113]
	v_fma_f64 v[110:111], v[112:113], v[123:124], v[110:111]
	v_div_scale_f64 v[112:113], null, v[110:111], v[110:111], 1.0
	v_rcp_f64_e32 v[125:126], v[112:113]
	v_fma_f64 v[127:128], -v[112:113], v[125:126], 1.0
	v_fma_f64 v[125:126], v[125:126], v[127:128], v[125:126]
	v_fma_f64 v[127:128], -v[112:113], v[125:126], 1.0
	v_fma_f64 v[125:126], v[125:126], v[127:128], v[125:126]
	v_div_scale_f64 v[127:128], vcc_lo, 1.0, v[110:111], 1.0
	v_mul_f64 v[129:130], v[127:128], v[125:126]
	v_fma_f64 v[112:113], -v[112:113], v[129:130], v[127:128]
	v_div_fmas_f64 v[112:113], v[112:113], v[125:126], v[129:130]
	v_div_fixup_f64 v[110:111], v[112:113], v[110:111], 1.0
	v_mul_f64 v[112:113], v[123:124], -v[110:111]
.LBB52_11:
	s_or_b32 exec_lo, exec_lo, s1
	v_mov_b32_e32 v125, 0
	v_mov_b32_e32 v123, 2
.LBB52_12:
	s_or_b32 exec_lo, exec_lo, s0
	s_mov_b32 s0, exec_lo
	v_cmpx_ne_u32_e64 v0, v118
	s_xor_b32 s0, exec_lo, s0
	s_cbranch_execz .LBB52_18
; %bb.13:
	s_mov_b32 s1, exec_lo
	v_cmpx_eq_u32_e32 0, v0
	s_cbranch_execz .LBB52_17
; %bb.14:
	v_cmp_ne_u32_e32 vcc_lo, 0, v118
	s_xor_b32 s2, s16, -1
	s_and_b32 s3, s2, vcc_lo
	s_and_saveexec_b32 s2, s3
	s_cbranch_execz .LBB52_16
; %bb.15:
	v_ashrrev_i32_e32 v119, 31, v118
	v_lshlrev_b64 v[126:127], 2, v[118:119]
	v_add_co_u32 v126, vcc_lo, v116, v126
	v_add_co_ci_u32_e64 v127, null, v117, v127, vcc_lo
	s_clause 0x1
	global_load_dword v0, v[126:127], off
	global_load_dword v119, v[116:117], off
	s_waitcnt vmcnt(1)
	global_store_dword v[116:117], v0, off
	s_waitcnt vmcnt(0)
	global_store_dword v[126:127], v119, off
.LBB52_16:
	s_or_b32 exec_lo, exec_lo, s2
	v_mov_b32_e32 v0, v118
.LBB52_17:
	s_or_b32 exec_lo, exec_lo, s1
.LBB52_18:
	s_or_saveexec_b32 s0, s0
	v_mov_b32_e32 v124, v0
	s_xor_b32 exec_lo, exec_lo, s0
	s_cbranch_execz .LBB52_20
; %bb.19:
	v_mov_b32_e32 v124, 0
	ds_write2_b64 v1, v[106:107], v[108:109] offset0:2 offset1:3
	ds_write2_b64 v1, v[98:99], v[100:101] offset0:4 offset1:5
	;; [unrolled: 1-line block ×26, first 2 shown]
.LBB52_20:
	s_or_b32 exec_lo, exec_lo, s0
	s_mov_b32 s0, exec_lo
	s_waitcnt lgkmcnt(0)
	s_waitcnt_vscnt null, 0x0
	s_barrier
	buffer_gl0_inv
	v_cmpx_lt_i32_e32 0, v124
	s_cbranch_execz .LBB52_22
; %bb.21:
	v_mul_f64 v[118:119], v[112:113], v[104:105]
	v_mul_f64 v[104:105], v[110:111], v[104:105]
	v_fma_f64 v[118:119], v[110:111], v[102:103], -v[118:119]
	v_fma_f64 v[104:105], v[112:113], v[102:103], v[104:105]
	ds_read2_b64 v[110:113], v1 offset0:2 offset1:3
	s_waitcnt lgkmcnt(0)
	v_mul_f64 v[102:103], v[112:113], v[104:105]
	v_fma_f64 v[102:103], v[110:111], v[118:119], -v[102:103]
	v_mul_f64 v[110:111], v[110:111], v[104:105]
	v_add_f64 v[106:107], v[106:107], -v[102:103]
	v_fma_f64 v[110:111], v[112:113], v[118:119], v[110:111]
	v_add_f64 v[108:109], v[108:109], -v[110:111]
	ds_read2_b64 v[110:113], v1 offset0:4 offset1:5
	s_waitcnt lgkmcnt(0)
	v_mul_f64 v[102:103], v[112:113], v[104:105]
	v_fma_f64 v[102:103], v[110:111], v[118:119], -v[102:103]
	v_mul_f64 v[110:111], v[110:111], v[104:105]
	v_add_f64 v[98:99], v[98:99], -v[102:103]
	v_fma_f64 v[110:111], v[112:113], v[118:119], v[110:111]
	v_add_f64 v[100:101], v[100:101], -v[110:111]
	;; [unrolled: 8-line block ×25, first 2 shown]
	ds_read2_b64 v[110:113], v1 offset0:52 offset1:53
	s_waitcnt lgkmcnt(0)
	v_mul_f64 v[102:103], v[112:113], v[104:105]
	v_fma_f64 v[102:103], v[110:111], v[118:119], -v[102:103]
	v_mul_f64 v[110:111], v[110:111], v[104:105]
	v_add_f64 v[2:3], v[2:3], -v[102:103]
	v_fma_f64 v[110:111], v[112:113], v[118:119], v[110:111]
	v_mov_b32_e32 v102, v118
	v_mov_b32_e32 v103, v119
	v_add_f64 v[4:5], v[4:5], -v[110:111]
.LBB52_22:
	s_or_b32 exec_lo, exec_lo, s0
	v_lshl_add_u32 v110, v124, 4, v1
	s_barrier
	buffer_gl0_inv
	v_mov_b32_e32 v118, 1
	ds_write2_b64 v110, v[106:107], v[108:109] offset1:1
	s_waitcnt lgkmcnt(0)
	s_barrier
	buffer_gl0_inv
	ds_read2_b64 v[110:113], v1 offset0:2 offset1:3
	s_cmp_lt_i32 s18, 3
	s_cbranch_scc1 .LBB52_25
; %bb.23:
	v_add3_u32 v119, v120, 0, 32
	v_mov_b32_e32 v118, 1
	s_mov_b32 s1, 2
	s_inst_prefetch 0x1
	.p2align	6
.LBB52_24:                              ; =>This Inner Loop Header: Depth=1
	s_waitcnt lgkmcnt(0)
	v_cmp_gt_f64_e32 vcc_lo, 0, v[112:113]
	v_cmp_gt_f64_e64 s0, 0, v[110:111]
	ds_read2_b64 v[126:129], v119 offset1:1
	v_xor_b32_e32 v131, 0x80000000, v111
	v_xor_b32_e32 v133, 0x80000000, v113
	v_mov_b32_e32 v130, v110
	v_mov_b32_e32 v132, v112
	v_add_nc_u32_e32 v119, 16, v119
	s_waitcnt lgkmcnt(0)
	v_xor_b32_e32 v135, 0x80000000, v129
	v_cndmask_b32_e64 v131, v111, v131, s0
	v_cndmask_b32_e32 v133, v113, v133, vcc_lo
	v_cmp_gt_f64_e32 vcc_lo, 0, v[128:129]
	v_cmp_gt_f64_e64 s0, 0, v[126:127]
	v_mov_b32_e32 v134, v128
	v_add_f64 v[130:131], v[130:131], v[132:133]
	v_xor_b32_e32 v133, 0x80000000, v127
	v_mov_b32_e32 v132, v126
	v_cndmask_b32_e32 v135, v129, v135, vcc_lo
	v_cndmask_b32_e64 v133, v127, v133, s0
	v_add_f64 v[132:133], v[132:133], v[134:135]
	v_cmp_lt_f64_e32 vcc_lo, v[130:131], v[132:133]
	v_cndmask_b32_e32 v111, v111, v127, vcc_lo
	v_cndmask_b32_e32 v110, v110, v126, vcc_lo
	;; [unrolled: 1-line block ×4, first 2 shown]
	v_cndmask_b32_e64 v118, v118, s1, vcc_lo
	s_add_i32 s1, s1, 1
	s_cmp_lg_u32 s18, s1
	s_cbranch_scc1 .LBB52_24
.LBB52_25:
	s_inst_prefetch 0x2
	s_waitcnt lgkmcnt(0)
	v_cmp_neq_f64_e32 vcc_lo, 0, v[110:111]
	v_cmp_neq_f64_e64 s0, 0, v[112:113]
	s_or_b32 s1, vcc_lo, s0
	s_and_saveexec_b32 s0, s1
	s_cbranch_execz .LBB52_31
; %bb.26:
	v_cmp_ngt_f64_e64 s1, |v[110:111]|, |v[112:113]|
	s_and_saveexec_b32 s2, s1
	s_xor_b32 s1, exec_lo, s2
	s_cbranch_execz .LBB52_28
; %bb.27:
	v_div_scale_f64 v[126:127], null, v[112:113], v[112:113], v[110:111]
	v_div_scale_f64 v[132:133], vcc_lo, v[110:111], v[112:113], v[110:111]
	v_rcp_f64_e32 v[128:129], v[126:127]
	v_fma_f64 v[130:131], -v[126:127], v[128:129], 1.0
	v_fma_f64 v[128:129], v[128:129], v[130:131], v[128:129]
	v_fma_f64 v[130:131], -v[126:127], v[128:129], 1.0
	v_fma_f64 v[128:129], v[128:129], v[130:131], v[128:129]
	v_mul_f64 v[130:131], v[132:133], v[128:129]
	v_fma_f64 v[126:127], -v[126:127], v[130:131], v[132:133]
	v_div_fmas_f64 v[126:127], v[126:127], v[128:129], v[130:131]
	v_div_fixup_f64 v[126:127], v[126:127], v[112:113], v[110:111]
	v_fma_f64 v[110:111], v[110:111], v[126:127], v[112:113]
	v_div_scale_f64 v[112:113], null, v[110:111], v[110:111], 1.0
	v_rcp_f64_e32 v[128:129], v[112:113]
	v_fma_f64 v[130:131], -v[112:113], v[128:129], 1.0
	v_fma_f64 v[128:129], v[128:129], v[130:131], v[128:129]
	v_fma_f64 v[130:131], -v[112:113], v[128:129], 1.0
	v_fma_f64 v[128:129], v[128:129], v[130:131], v[128:129]
	v_div_scale_f64 v[130:131], vcc_lo, 1.0, v[110:111], 1.0
	v_mul_f64 v[132:133], v[130:131], v[128:129]
	v_fma_f64 v[112:113], -v[112:113], v[132:133], v[130:131]
	v_div_fmas_f64 v[112:113], v[112:113], v[128:129], v[132:133]
	v_div_fixup_f64 v[112:113], v[112:113], v[110:111], 1.0
	v_mul_f64 v[110:111], v[126:127], v[112:113]
	v_xor_b32_e32 v113, 0x80000000, v113
.LBB52_28:
	s_andn2_saveexec_b32 s1, s1
	s_cbranch_execz .LBB52_30
; %bb.29:
	v_div_scale_f64 v[126:127], null, v[110:111], v[110:111], v[112:113]
	v_div_scale_f64 v[132:133], vcc_lo, v[112:113], v[110:111], v[112:113]
	v_rcp_f64_e32 v[128:129], v[126:127]
	v_fma_f64 v[130:131], -v[126:127], v[128:129], 1.0
	v_fma_f64 v[128:129], v[128:129], v[130:131], v[128:129]
	v_fma_f64 v[130:131], -v[126:127], v[128:129], 1.0
	v_fma_f64 v[128:129], v[128:129], v[130:131], v[128:129]
	v_mul_f64 v[130:131], v[132:133], v[128:129]
	v_fma_f64 v[126:127], -v[126:127], v[130:131], v[132:133]
	v_div_fmas_f64 v[126:127], v[126:127], v[128:129], v[130:131]
	v_div_fixup_f64 v[126:127], v[126:127], v[110:111], v[112:113]
	v_fma_f64 v[110:111], v[112:113], v[126:127], v[110:111]
	v_div_scale_f64 v[112:113], null, v[110:111], v[110:111], 1.0
	v_rcp_f64_e32 v[128:129], v[112:113]
	v_fma_f64 v[130:131], -v[112:113], v[128:129], 1.0
	v_fma_f64 v[128:129], v[128:129], v[130:131], v[128:129]
	v_fma_f64 v[130:131], -v[112:113], v[128:129], 1.0
	v_fma_f64 v[128:129], v[128:129], v[130:131], v[128:129]
	v_div_scale_f64 v[130:131], vcc_lo, 1.0, v[110:111], 1.0
	v_mul_f64 v[132:133], v[130:131], v[128:129]
	v_fma_f64 v[112:113], -v[112:113], v[132:133], v[130:131]
	v_div_fmas_f64 v[112:113], v[112:113], v[128:129], v[132:133]
	v_div_fixup_f64 v[110:111], v[112:113], v[110:111], 1.0
	v_mul_f64 v[112:113], v[126:127], -v[110:111]
.LBB52_30:
	s_or_b32 exec_lo, exec_lo, s1
	v_mov_b32_e32 v123, v125
.LBB52_31:
	s_or_b32 exec_lo, exec_lo, s0
	s_mov_b32 s0, exec_lo
	v_cmpx_ne_u32_e64 v124, v118
	s_xor_b32 s0, exec_lo, s0
	s_cbranch_execz .LBB52_37
; %bb.32:
	s_mov_b32 s1, exec_lo
	v_cmpx_eq_u32_e32 1, v124
	s_cbranch_execz .LBB52_36
; %bb.33:
	v_cmp_ne_u32_e32 vcc_lo, 1, v118
	s_xor_b32 s2, s16, -1
	s_and_b32 s3, s2, vcc_lo
	s_and_saveexec_b32 s2, s3
	s_cbranch_execz .LBB52_35
; %bb.34:
	v_ashrrev_i32_e32 v119, 31, v118
	v_lshlrev_b64 v[124:125], 2, v[118:119]
	v_add_co_u32 v124, vcc_lo, v116, v124
	v_add_co_ci_u32_e64 v125, null, v117, v125, vcc_lo
	s_clause 0x1
	global_load_dword v0, v[124:125], off
	global_load_dword v119, v[116:117], off offset:4
	s_waitcnt vmcnt(1)
	global_store_dword v[116:117], v0, off offset:4
	s_waitcnt vmcnt(0)
	global_store_dword v[124:125], v119, off
.LBB52_35:
	s_or_b32 exec_lo, exec_lo, s2
	v_mov_b32_e32 v124, v118
	v_mov_b32_e32 v0, v118
.LBB52_36:
	s_or_b32 exec_lo, exec_lo, s1
.LBB52_37:
	s_andn2_saveexec_b32 s0, s0
	s_cbranch_execz .LBB52_39
; %bb.38:
	v_mov_b32_e32 v124, 1
	ds_write2_b64 v1, v[98:99], v[100:101] offset0:4 offset1:5
	ds_write2_b64 v1, v[94:95], v[96:97] offset0:6 offset1:7
	;; [unrolled: 1-line block ×25, first 2 shown]
.LBB52_39:
	s_or_b32 exec_lo, exec_lo, s0
	s_mov_b32 s0, exec_lo
	s_waitcnt lgkmcnt(0)
	s_waitcnt_vscnt null, 0x0
	s_barrier
	buffer_gl0_inv
	v_cmpx_lt_i32_e32 1, v124
	s_cbranch_execz .LBB52_41
; %bb.40:
	v_mul_f64 v[118:119], v[112:113], v[108:109]
	v_mul_f64 v[108:109], v[110:111], v[108:109]
	v_fma_f64 v[118:119], v[110:111], v[106:107], -v[118:119]
	v_fma_f64 v[108:109], v[112:113], v[106:107], v[108:109]
	ds_read2_b64 v[110:113], v1 offset0:4 offset1:5
	s_waitcnt lgkmcnt(0)
	v_mul_f64 v[106:107], v[112:113], v[108:109]
	v_fma_f64 v[106:107], v[110:111], v[118:119], -v[106:107]
	v_mul_f64 v[110:111], v[110:111], v[108:109]
	v_add_f64 v[98:99], v[98:99], -v[106:107]
	v_fma_f64 v[110:111], v[112:113], v[118:119], v[110:111]
	v_add_f64 v[100:101], v[100:101], -v[110:111]
	ds_read2_b64 v[110:113], v1 offset0:6 offset1:7
	s_waitcnt lgkmcnt(0)
	v_mul_f64 v[106:107], v[112:113], v[108:109]
	v_fma_f64 v[106:107], v[110:111], v[118:119], -v[106:107]
	v_mul_f64 v[110:111], v[110:111], v[108:109]
	v_add_f64 v[94:95], v[94:95], -v[106:107]
	v_fma_f64 v[110:111], v[112:113], v[118:119], v[110:111]
	v_add_f64 v[96:97], v[96:97], -v[110:111]
	;; [unrolled: 8-line block ×24, first 2 shown]
	ds_read2_b64 v[110:113], v1 offset0:52 offset1:53
	s_waitcnt lgkmcnt(0)
	v_mul_f64 v[106:107], v[112:113], v[108:109]
	v_fma_f64 v[106:107], v[110:111], v[118:119], -v[106:107]
	v_mul_f64 v[110:111], v[110:111], v[108:109]
	v_add_f64 v[2:3], v[2:3], -v[106:107]
	v_fma_f64 v[110:111], v[112:113], v[118:119], v[110:111]
	v_mov_b32_e32 v106, v118
	v_mov_b32_e32 v107, v119
	v_add_f64 v[4:5], v[4:5], -v[110:111]
.LBB52_41:
	s_or_b32 exec_lo, exec_lo, s0
	v_lshl_add_u32 v110, v124, 4, v1
	s_barrier
	buffer_gl0_inv
	v_mov_b32_e32 v118, 2
	ds_write2_b64 v110, v[98:99], v[100:101] offset1:1
	s_waitcnt lgkmcnt(0)
	s_barrier
	buffer_gl0_inv
	ds_read2_b64 v[110:113], v1 offset0:4 offset1:5
	s_cmp_lt_i32 s18, 4
	s_cbranch_scc1 .LBB52_44
; %bb.42:
	v_add3_u32 v119, v120, 0, 48
	v_mov_b32_e32 v118, 2
	s_mov_b32 s1, 3
	s_inst_prefetch 0x1
	.p2align	6
.LBB52_43:                              ; =>This Inner Loop Header: Depth=1
	s_waitcnt lgkmcnt(0)
	v_cmp_gt_f64_e32 vcc_lo, 0, v[112:113]
	v_cmp_gt_f64_e64 s0, 0, v[110:111]
	ds_read2_b64 v[125:128], v119 offset1:1
	v_xor_b32_e32 v130, 0x80000000, v111
	v_xor_b32_e32 v132, 0x80000000, v113
	v_mov_b32_e32 v129, v110
	v_mov_b32_e32 v131, v112
	v_add_nc_u32_e32 v119, 16, v119
	s_waitcnt lgkmcnt(0)
	v_xor_b32_e32 v134, 0x80000000, v128
	v_cndmask_b32_e64 v130, v111, v130, s0
	v_cndmask_b32_e32 v132, v113, v132, vcc_lo
	v_cmp_gt_f64_e32 vcc_lo, 0, v[127:128]
	v_cmp_gt_f64_e64 s0, 0, v[125:126]
	v_mov_b32_e32 v133, v127
	v_add_f64 v[129:130], v[129:130], v[131:132]
	v_xor_b32_e32 v132, 0x80000000, v126
	v_mov_b32_e32 v131, v125
	v_cndmask_b32_e32 v134, v128, v134, vcc_lo
	v_cndmask_b32_e64 v132, v126, v132, s0
	v_add_f64 v[131:132], v[131:132], v[133:134]
	v_cmp_lt_f64_e32 vcc_lo, v[129:130], v[131:132]
	v_cndmask_b32_e32 v111, v111, v126, vcc_lo
	v_cndmask_b32_e32 v110, v110, v125, vcc_lo
	;; [unrolled: 1-line block ×4, first 2 shown]
	v_cndmask_b32_e64 v118, v118, s1, vcc_lo
	s_add_i32 s1, s1, 1
	s_cmp_lg_u32 s18, s1
	s_cbranch_scc1 .LBB52_43
.LBB52_44:
	s_inst_prefetch 0x2
	s_waitcnt lgkmcnt(0)
	v_cmp_eq_f64_e32 vcc_lo, 0, v[110:111]
	v_cmp_eq_f64_e64 s0, 0, v[112:113]
	s_and_b32 s0, vcc_lo, s0
	s_and_saveexec_b32 s1, s0
	s_xor_b32 s0, exec_lo, s1
; %bb.45:
	v_cmp_ne_u32_e32 vcc_lo, 0, v123
	v_cndmask_b32_e32 v123, 3, v123, vcc_lo
; %bb.46:
	s_andn2_saveexec_b32 s0, s0
	s_cbranch_execz .LBB52_52
; %bb.47:
	v_cmp_ngt_f64_e64 s1, |v[110:111]|, |v[112:113]|
	s_and_saveexec_b32 s2, s1
	s_xor_b32 s1, exec_lo, s2
	s_cbranch_execz .LBB52_49
; %bb.48:
	v_div_scale_f64 v[125:126], null, v[112:113], v[112:113], v[110:111]
	v_div_scale_f64 v[131:132], vcc_lo, v[110:111], v[112:113], v[110:111]
	v_rcp_f64_e32 v[127:128], v[125:126]
	v_fma_f64 v[129:130], -v[125:126], v[127:128], 1.0
	v_fma_f64 v[127:128], v[127:128], v[129:130], v[127:128]
	v_fma_f64 v[129:130], -v[125:126], v[127:128], 1.0
	v_fma_f64 v[127:128], v[127:128], v[129:130], v[127:128]
	v_mul_f64 v[129:130], v[131:132], v[127:128]
	v_fma_f64 v[125:126], -v[125:126], v[129:130], v[131:132]
	v_div_fmas_f64 v[125:126], v[125:126], v[127:128], v[129:130]
	v_div_fixup_f64 v[125:126], v[125:126], v[112:113], v[110:111]
	v_fma_f64 v[110:111], v[110:111], v[125:126], v[112:113]
	v_div_scale_f64 v[112:113], null, v[110:111], v[110:111], 1.0
	v_rcp_f64_e32 v[127:128], v[112:113]
	v_fma_f64 v[129:130], -v[112:113], v[127:128], 1.0
	v_fma_f64 v[127:128], v[127:128], v[129:130], v[127:128]
	v_fma_f64 v[129:130], -v[112:113], v[127:128], 1.0
	v_fma_f64 v[127:128], v[127:128], v[129:130], v[127:128]
	v_div_scale_f64 v[129:130], vcc_lo, 1.0, v[110:111], 1.0
	v_mul_f64 v[131:132], v[129:130], v[127:128]
	v_fma_f64 v[112:113], -v[112:113], v[131:132], v[129:130]
	v_div_fmas_f64 v[112:113], v[112:113], v[127:128], v[131:132]
	v_div_fixup_f64 v[112:113], v[112:113], v[110:111], 1.0
	v_mul_f64 v[110:111], v[125:126], v[112:113]
	v_xor_b32_e32 v113, 0x80000000, v113
.LBB52_49:
	s_andn2_saveexec_b32 s1, s1
	s_cbranch_execz .LBB52_51
; %bb.50:
	v_div_scale_f64 v[125:126], null, v[110:111], v[110:111], v[112:113]
	v_div_scale_f64 v[131:132], vcc_lo, v[112:113], v[110:111], v[112:113]
	v_rcp_f64_e32 v[127:128], v[125:126]
	v_fma_f64 v[129:130], -v[125:126], v[127:128], 1.0
	v_fma_f64 v[127:128], v[127:128], v[129:130], v[127:128]
	v_fma_f64 v[129:130], -v[125:126], v[127:128], 1.0
	v_fma_f64 v[127:128], v[127:128], v[129:130], v[127:128]
	v_mul_f64 v[129:130], v[131:132], v[127:128]
	v_fma_f64 v[125:126], -v[125:126], v[129:130], v[131:132]
	v_div_fmas_f64 v[125:126], v[125:126], v[127:128], v[129:130]
	v_div_fixup_f64 v[125:126], v[125:126], v[110:111], v[112:113]
	v_fma_f64 v[110:111], v[112:113], v[125:126], v[110:111]
	v_div_scale_f64 v[112:113], null, v[110:111], v[110:111], 1.0
	v_rcp_f64_e32 v[127:128], v[112:113]
	v_fma_f64 v[129:130], -v[112:113], v[127:128], 1.0
	v_fma_f64 v[127:128], v[127:128], v[129:130], v[127:128]
	v_fma_f64 v[129:130], -v[112:113], v[127:128], 1.0
	v_fma_f64 v[127:128], v[127:128], v[129:130], v[127:128]
	v_div_scale_f64 v[129:130], vcc_lo, 1.0, v[110:111], 1.0
	v_mul_f64 v[131:132], v[129:130], v[127:128]
	v_fma_f64 v[112:113], -v[112:113], v[131:132], v[129:130]
	v_div_fmas_f64 v[112:113], v[112:113], v[127:128], v[131:132]
	v_div_fixup_f64 v[110:111], v[112:113], v[110:111], 1.0
	v_mul_f64 v[112:113], v[125:126], -v[110:111]
.LBB52_51:
	s_or_b32 exec_lo, exec_lo, s1
.LBB52_52:
	s_or_b32 exec_lo, exec_lo, s0
	s_mov_b32 s0, exec_lo
	v_cmpx_ne_u32_e64 v124, v118
	s_xor_b32 s0, exec_lo, s0
	s_cbranch_execz .LBB52_58
; %bb.53:
	s_mov_b32 s1, exec_lo
	v_cmpx_eq_u32_e32 2, v124
	s_cbranch_execz .LBB52_57
; %bb.54:
	v_cmp_ne_u32_e32 vcc_lo, 2, v118
	s_xor_b32 s2, s16, -1
	s_and_b32 s3, s2, vcc_lo
	s_and_saveexec_b32 s2, s3
	s_cbranch_execz .LBB52_56
; %bb.55:
	v_ashrrev_i32_e32 v119, 31, v118
	v_lshlrev_b64 v[124:125], 2, v[118:119]
	v_add_co_u32 v124, vcc_lo, v116, v124
	v_add_co_ci_u32_e64 v125, null, v117, v125, vcc_lo
	s_clause 0x1
	global_load_dword v0, v[124:125], off
	global_load_dword v119, v[116:117], off offset:8
	s_waitcnt vmcnt(1)
	global_store_dword v[116:117], v0, off offset:8
	s_waitcnt vmcnt(0)
	global_store_dword v[124:125], v119, off
.LBB52_56:
	s_or_b32 exec_lo, exec_lo, s2
	v_mov_b32_e32 v124, v118
	v_mov_b32_e32 v0, v118
.LBB52_57:
	s_or_b32 exec_lo, exec_lo, s1
.LBB52_58:
	s_andn2_saveexec_b32 s0, s0
	s_cbranch_execz .LBB52_60
; %bb.59:
	v_mov_b32_e32 v124, 2
	ds_write2_b64 v1, v[94:95], v[96:97] offset0:6 offset1:7
	ds_write2_b64 v1, v[90:91], v[92:93] offset0:8 offset1:9
	;; [unrolled: 1-line block ×24, first 2 shown]
.LBB52_60:
	s_or_b32 exec_lo, exec_lo, s0
	s_mov_b32 s0, exec_lo
	s_waitcnt lgkmcnt(0)
	s_waitcnt_vscnt null, 0x0
	s_barrier
	buffer_gl0_inv
	v_cmpx_lt_i32_e32 2, v124
	s_cbranch_execz .LBB52_62
; %bb.61:
	v_mul_f64 v[118:119], v[112:113], v[100:101]
	v_mul_f64 v[100:101], v[110:111], v[100:101]
	v_fma_f64 v[118:119], v[110:111], v[98:99], -v[118:119]
	v_fma_f64 v[100:101], v[112:113], v[98:99], v[100:101]
	ds_read2_b64 v[110:113], v1 offset0:6 offset1:7
	s_waitcnt lgkmcnt(0)
	v_mul_f64 v[98:99], v[112:113], v[100:101]
	v_fma_f64 v[98:99], v[110:111], v[118:119], -v[98:99]
	v_mul_f64 v[110:111], v[110:111], v[100:101]
	v_add_f64 v[94:95], v[94:95], -v[98:99]
	v_fma_f64 v[110:111], v[112:113], v[118:119], v[110:111]
	v_add_f64 v[96:97], v[96:97], -v[110:111]
	ds_read2_b64 v[110:113], v1 offset0:8 offset1:9
	s_waitcnt lgkmcnt(0)
	v_mul_f64 v[98:99], v[112:113], v[100:101]
	v_fma_f64 v[98:99], v[110:111], v[118:119], -v[98:99]
	v_mul_f64 v[110:111], v[110:111], v[100:101]
	v_add_f64 v[90:91], v[90:91], -v[98:99]
	v_fma_f64 v[110:111], v[112:113], v[118:119], v[110:111]
	v_add_f64 v[92:93], v[92:93], -v[110:111]
	;; [unrolled: 8-line block ×23, first 2 shown]
	ds_read2_b64 v[110:113], v1 offset0:52 offset1:53
	s_waitcnt lgkmcnt(0)
	v_mul_f64 v[98:99], v[112:113], v[100:101]
	v_fma_f64 v[98:99], v[110:111], v[118:119], -v[98:99]
	v_mul_f64 v[110:111], v[110:111], v[100:101]
	v_add_f64 v[2:3], v[2:3], -v[98:99]
	v_fma_f64 v[110:111], v[112:113], v[118:119], v[110:111]
	v_mov_b32_e32 v98, v118
	v_mov_b32_e32 v99, v119
	v_add_f64 v[4:5], v[4:5], -v[110:111]
.LBB52_62:
	s_or_b32 exec_lo, exec_lo, s0
	v_lshl_add_u32 v110, v124, 4, v1
	s_barrier
	buffer_gl0_inv
	v_mov_b32_e32 v118, 3
	ds_write2_b64 v110, v[94:95], v[96:97] offset1:1
	s_waitcnt lgkmcnt(0)
	s_barrier
	buffer_gl0_inv
	ds_read2_b64 v[110:113], v1 offset0:6 offset1:7
	s_cmp_lt_i32 s18, 5
	s_mov_b32 s1, 4
	s_cbranch_scc1 .LBB52_65
; %bb.63:
	v_add3_u32 v119, v120, 0, 64
	v_mov_b32_e32 v118, 3
	s_inst_prefetch 0x1
	.p2align	6
.LBB52_64:                              ; =>This Inner Loop Header: Depth=1
	s_waitcnt lgkmcnt(0)
	v_cmp_gt_f64_e32 vcc_lo, 0, v[112:113]
	v_cmp_gt_f64_e64 s0, 0, v[110:111]
	ds_read2_b64 v[125:128], v119 offset1:1
	v_xor_b32_e32 v130, 0x80000000, v111
	v_xor_b32_e32 v132, 0x80000000, v113
	v_mov_b32_e32 v129, v110
	v_mov_b32_e32 v131, v112
	v_add_nc_u32_e32 v119, 16, v119
	s_waitcnt lgkmcnt(0)
	v_xor_b32_e32 v134, 0x80000000, v128
	v_cndmask_b32_e64 v130, v111, v130, s0
	v_cndmask_b32_e32 v132, v113, v132, vcc_lo
	v_cmp_gt_f64_e32 vcc_lo, 0, v[127:128]
	v_cmp_gt_f64_e64 s0, 0, v[125:126]
	v_mov_b32_e32 v133, v127
	v_add_f64 v[129:130], v[129:130], v[131:132]
	v_xor_b32_e32 v132, 0x80000000, v126
	v_mov_b32_e32 v131, v125
	v_cndmask_b32_e32 v134, v128, v134, vcc_lo
	v_cndmask_b32_e64 v132, v126, v132, s0
	v_add_f64 v[131:132], v[131:132], v[133:134]
	v_cmp_lt_f64_e32 vcc_lo, v[129:130], v[131:132]
	v_cndmask_b32_e32 v111, v111, v126, vcc_lo
	v_cndmask_b32_e32 v110, v110, v125, vcc_lo
	;; [unrolled: 1-line block ×4, first 2 shown]
	v_cndmask_b32_e64 v118, v118, s1, vcc_lo
	s_add_i32 s1, s1, 1
	s_cmp_lg_u32 s18, s1
	s_cbranch_scc1 .LBB52_64
.LBB52_65:
	s_inst_prefetch 0x2
	s_waitcnt lgkmcnt(0)
	v_cmp_eq_f64_e32 vcc_lo, 0, v[110:111]
	v_cmp_eq_f64_e64 s0, 0, v[112:113]
	s_and_b32 s0, vcc_lo, s0
	s_and_saveexec_b32 s1, s0
	s_xor_b32 s0, exec_lo, s1
; %bb.66:
	v_cmp_ne_u32_e32 vcc_lo, 0, v123
	v_cndmask_b32_e32 v123, 4, v123, vcc_lo
; %bb.67:
	s_andn2_saveexec_b32 s0, s0
	s_cbranch_execz .LBB52_73
; %bb.68:
	v_cmp_ngt_f64_e64 s1, |v[110:111]|, |v[112:113]|
	s_and_saveexec_b32 s2, s1
	s_xor_b32 s1, exec_lo, s2
	s_cbranch_execz .LBB52_70
; %bb.69:
	v_div_scale_f64 v[125:126], null, v[112:113], v[112:113], v[110:111]
	v_div_scale_f64 v[131:132], vcc_lo, v[110:111], v[112:113], v[110:111]
	v_rcp_f64_e32 v[127:128], v[125:126]
	v_fma_f64 v[129:130], -v[125:126], v[127:128], 1.0
	v_fma_f64 v[127:128], v[127:128], v[129:130], v[127:128]
	v_fma_f64 v[129:130], -v[125:126], v[127:128], 1.0
	v_fma_f64 v[127:128], v[127:128], v[129:130], v[127:128]
	v_mul_f64 v[129:130], v[131:132], v[127:128]
	v_fma_f64 v[125:126], -v[125:126], v[129:130], v[131:132]
	v_div_fmas_f64 v[125:126], v[125:126], v[127:128], v[129:130]
	v_div_fixup_f64 v[125:126], v[125:126], v[112:113], v[110:111]
	v_fma_f64 v[110:111], v[110:111], v[125:126], v[112:113]
	v_div_scale_f64 v[112:113], null, v[110:111], v[110:111], 1.0
	v_rcp_f64_e32 v[127:128], v[112:113]
	v_fma_f64 v[129:130], -v[112:113], v[127:128], 1.0
	v_fma_f64 v[127:128], v[127:128], v[129:130], v[127:128]
	v_fma_f64 v[129:130], -v[112:113], v[127:128], 1.0
	v_fma_f64 v[127:128], v[127:128], v[129:130], v[127:128]
	v_div_scale_f64 v[129:130], vcc_lo, 1.0, v[110:111], 1.0
	v_mul_f64 v[131:132], v[129:130], v[127:128]
	v_fma_f64 v[112:113], -v[112:113], v[131:132], v[129:130]
	v_div_fmas_f64 v[112:113], v[112:113], v[127:128], v[131:132]
	v_div_fixup_f64 v[112:113], v[112:113], v[110:111], 1.0
	v_mul_f64 v[110:111], v[125:126], v[112:113]
	v_xor_b32_e32 v113, 0x80000000, v113
.LBB52_70:
	s_andn2_saveexec_b32 s1, s1
	s_cbranch_execz .LBB52_72
; %bb.71:
	v_div_scale_f64 v[125:126], null, v[110:111], v[110:111], v[112:113]
	v_div_scale_f64 v[131:132], vcc_lo, v[112:113], v[110:111], v[112:113]
	v_rcp_f64_e32 v[127:128], v[125:126]
	v_fma_f64 v[129:130], -v[125:126], v[127:128], 1.0
	v_fma_f64 v[127:128], v[127:128], v[129:130], v[127:128]
	v_fma_f64 v[129:130], -v[125:126], v[127:128], 1.0
	v_fma_f64 v[127:128], v[127:128], v[129:130], v[127:128]
	v_mul_f64 v[129:130], v[131:132], v[127:128]
	v_fma_f64 v[125:126], -v[125:126], v[129:130], v[131:132]
	v_div_fmas_f64 v[125:126], v[125:126], v[127:128], v[129:130]
	v_div_fixup_f64 v[125:126], v[125:126], v[110:111], v[112:113]
	v_fma_f64 v[110:111], v[112:113], v[125:126], v[110:111]
	v_div_scale_f64 v[112:113], null, v[110:111], v[110:111], 1.0
	v_rcp_f64_e32 v[127:128], v[112:113]
	v_fma_f64 v[129:130], -v[112:113], v[127:128], 1.0
	v_fma_f64 v[127:128], v[127:128], v[129:130], v[127:128]
	v_fma_f64 v[129:130], -v[112:113], v[127:128], 1.0
	v_fma_f64 v[127:128], v[127:128], v[129:130], v[127:128]
	v_div_scale_f64 v[129:130], vcc_lo, 1.0, v[110:111], 1.0
	v_mul_f64 v[131:132], v[129:130], v[127:128]
	v_fma_f64 v[112:113], -v[112:113], v[131:132], v[129:130]
	v_div_fmas_f64 v[112:113], v[112:113], v[127:128], v[131:132]
	v_div_fixup_f64 v[110:111], v[112:113], v[110:111], 1.0
	v_mul_f64 v[112:113], v[125:126], -v[110:111]
.LBB52_72:
	s_or_b32 exec_lo, exec_lo, s1
.LBB52_73:
	s_or_b32 exec_lo, exec_lo, s0
	s_mov_b32 s0, exec_lo
	v_cmpx_ne_u32_e64 v124, v118
	s_xor_b32 s0, exec_lo, s0
	s_cbranch_execz .LBB52_79
; %bb.74:
	s_mov_b32 s1, exec_lo
	v_cmpx_eq_u32_e32 3, v124
	s_cbranch_execz .LBB52_78
; %bb.75:
	v_cmp_ne_u32_e32 vcc_lo, 3, v118
	s_xor_b32 s2, s16, -1
	s_and_b32 s3, s2, vcc_lo
	s_and_saveexec_b32 s2, s3
	s_cbranch_execz .LBB52_77
; %bb.76:
	v_ashrrev_i32_e32 v119, 31, v118
	v_lshlrev_b64 v[124:125], 2, v[118:119]
	v_add_co_u32 v124, vcc_lo, v116, v124
	v_add_co_ci_u32_e64 v125, null, v117, v125, vcc_lo
	s_clause 0x1
	global_load_dword v0, v[124:125], off
	global_load_dword v119, v[116:117], off offset:12
	s_waitcnt vmcnt(1)
	global_store_dword v[116:117], v0, off offset:12
	s_waitcnt vmcnt(0)
	global_store_dword v[124:125], v119, off
.LBB52_77:
	s_or_b32 exec_lo, exec_lo, s2
	v_mov_b32_e32 v124, v118
	v_mov_b32_e32 v0, v118
.LBB52_78:
	s_or_b32 exec_lo, exec_lo, s1
.LBB52_79:
	s_andn2_saveexec_b32 s0, s0
	s_cbranch_execz .LBB52_81
; %bb.80:
	v_mov_b32_e32 v124, 3
	ds_write2_b64 v1, v[90:91], v[92:93] offset0:8 offset1:9
	ds_write2_b64 v1, v[86:87], v[88:89] offset0:10 offset1:11
	;; [unrolled: 1-line block ×23, first 2 shown]
.LBB52_81:
	s_or_b32 exec_lo, exec_lo, s0
	s_mov_b32 s0, exec_lo
	s_waitcnt lgkmcnt(0)
	s_waitcnt_vscnt null, 0x0
	s_barrier
	buffer_gl0_inv
	v_cmpx_lt_i32_e32 3, v124
	s_cbranch_execz .LBB52_83
; %bb.82:
	v_mul_f64 v[118:119], v[112:113], v[96:97]
	v_mul_f64 v[96:97], v[110:111], v[96:97]
	v_fma_f64 v[118:119], v[110:111], v[94:95], -v[118:119]
	v_fma_f64 v[96:97], v[112:113], v[94:95], v[96:97]
	ds_read2_b64 v[110:113], v1 offset0:8 offset1:9
	s_waitcnt lgkmcnt(0)
	v_mul_f64 v[94:95], v[112:113], v[96:97]
	v_fma_f64 v[94:95], v[110:111], v[118:119], -v[94:95]
	v_mul_f64 v[110:111], v[110:111], v[96:97]
	v_add_f64 v[90:91], v[90:91], -v[94:95]
	v_fma_f64 v[110:111], v[112:113], v[118:119], v[110:111]
	v_add_f64 v[92:93], v[92:93], -v[110:111]
	ds_read2_b64 v[110:113], v1 offset0:10 offset1:11
	s_waitcnt lgkmcnt(0)
	v_mul_f64 v[94:95], v[112:113], v[96:97]
	v_fma_f64 v[94:95], v[110:111], v[118:119], -v[94:95]
	v_mul_f64 v[110:111], v[110:111], v[96:97]
	v_add_f64 v[86:87], v[86:87], -v[94:95]
	v_fma_f64 v[110:111], v[112:113], v[118:119], v[110:111]
	v_add_f64 v[88:89], v[88:89], -v[110:111]
	;; [unrolled: 8-line block ×22, first 2 shown]
	ds_read2_b64 v[110:113], v1 offset0:52 offset1:53
	s_waitcnt lgkmcnt(0)
	v_mul_f64 v[94:95], v[112:113], v[96:97]
	v_fma_f64 v[94:95], v[110:111], v[118:119], -v[94:95]
	v_mul_f64 v[110:111], v[110:111], v[96:97]
	v_add_f64 v[2:3], v[2:3], -v[94:95]
	v_fma_f64 v[110:111], v[112:113], v[118:119], v[110:111]
	v_mov_b32_e32 v94, v118
	v_mov_b32_e32 v95, v119
	v_add_f64 v[4:5], v[4:5], -v[110:111]
.LBB52_83:
	s_or_b32 exec_lo, exec_lo, s0
	v_lshl_add_u32 v110, v124, 4, v1
	s_barrier
	buffer_gl0_inv
	v_mov_b32_e32 v118, 4
	ds_write2_b64 v110, v[90:91], v[92:93] offset1:1
	s_waitcnt lgkmcnt(0)
	s_barrier
	buffer_gl0_inv
	ds_read2_b64 v[110:113], v1 offset0:8 offset1:9
	s_cmp_lt_i32 s18, 6
	s_cbranch_scc1 .LBB52_86
; %bb.84:
	v_mov_b32_e32 v118, 4
	v_add3_u32 v119, v120, 0, 0x50
	s_mov_b32 s1, 5
	s_inst_prefetch 0x1
	.p2align	6
.LBB52_85:                              ; =>This Inner Loop Header: Depth=1
	s_waitcnt lgkmcnt(0)
	v_cmp_gt_f64_e32 vcc_lo, 0, v[112:113]
	v_cmp_gt_f64_e64 s0, 0, v[110:111]
	ds_read2_b64 v[125:128], v119 offset1:1
	v_xor_b32_e32 v130, 0x80000000, v111
	v_xor_b32_e32 v132, 0x80000000, v113
	v_mov_b32_e32 v129, v110
	v_mov_b32_e32 v131, v112
	v_add_nc_u32_e32 v119, 16, v119
	s_waitcnt lgkmcnt(0)
	v_xor_b32_e32 v134, 0x80000000, v128
	v_cndmask_b32_e64 v130, v111, v130, s0
	v_cndmask_b32_e32 v132, v113, v132, vcc_lo
	v_cmp_gt_f64_e32 vcc_lo, 0, v[127:128]
	v_cmp_gt_f64_e64 s0, 0, v[125:126]
	v_mov_b32_e32 v133, v127
	v_add_f64 v[129:130], v[129:130], v[131:132]
	v_xor_b32_e32 v132, 0x80000000, v126
	v_mov_b32_e32 v131, v125
	v_cndmask_b32_e32 v134, v128, v134, vcc_lo
	v_cndmask_b32_e64 v132, v126, v132, s0
	v_add_f64 v[131:132], v[131:132], v[133:134]
	v_cmp_lt_f64_e32 vcc_lo, v[129:130], v[131:132]
	v_cndmask_b32_e32 v111, v111, v126, vcc_lo
	v_cndmask_b32_e32 v110, v110, v125, vcc_lo
	;; [unrolled: 1-line block ×4, first 2 shown]
	v_cndmask_b32_e64 v118, v118, s1, vcc_lo
	s_add_i32 s1, s1, 1
	s_cmp_lg_u32 s18, s1
	s_cbranch_scc1 .LBB52_85
.LBB52_86:
	s_inst_prefetch 0x2
	s_waitcnt lgkmcnt(0)
	v_cmp_eq_f64_e32 vcc_lo, 0, v[110:111]
	v_cmp_eq_f64_e64 s0, 0, v[112:113]
	s_and_b32 s0, vcc_lo, s0
	s_and_saveexec_b32 s1, s0
	s_xor_b32 s0, exec_lo, s1
; %bb.87:
	v_cmp_ne_u32_e32 vcc_lo, 0, v123
	v_cndmask_b32_e32 v123, 5, v123, vcc_lo
; %bb.88:
	s_andn2_saveexec_b32 s0, s0
	s_cbranch_execz .LBB52_94
; %bb.89:
	v_cmp_ngt_f64_e64 s1, |v[110:111]|, |v[112:113]|
	s_and_saveexec_b32 s2, s1
	s_xor_b32 s1, exec_lo, s2
	s_cbranch_execz .LBB52_91
; %bb.90:
	v_div_scale_f64 v[125:126], null, v[112:113], v[112:113], v[110:111]
	v_div_scale_f64 v[131:132], vcc_lo, v[110:111], v[112:113], v[110:111]
	v_rcp_f64_e32 v[127:128], v[125:126]
	v_fma_f64 v[129:130], -v[125:126], v[127:128], 1.0
	v_fma_f64 v[127:128], v[127:128], v[129:130], v[127:128]
	v_fma_f64 v[129:130], -v[125:126], v[127:128], 1.0
	v_fma_f64 v[127:128], v[127:128], v[129:130], v[127:128]
	v_mul_f64 v[129:130], v[131:132], v[127:128]
	v_fma_f64 v[125:126], -v[125:126], v[129:130], v[131:132]
	v_div_fmas_f64 v[125:126], v[125:126], v[127:128], v[129:130]
	v_div_fixup_f64 v[125:126], v[125:126], v[112:113], v[110:111]
	v_fma_f64 v[110:111], v[110:111], v[125:126], v[112:113]
	v_div_scale_f64 v[112:113], null, v[110:111], v[110:111], 1.0
	v_rcp_f64_e32 v[127:128], v[112:113]
	v_fma_f64 v[129:130], -v[112:113], v[127:128], 1.0
	v_fma_f64 v[127:128], v[127:128], v[129:130], v[127:128]
	v_fma_f64 v[129:130], -v[112:113], v[127:128], 1.0
	v_fma_f64 v[127:128], v[127:128], v[129:130], v[127:128]
	v_div_scale_f64 v[129:130], vcc_lo, 1.0, v[110:111], 1.0
	v_mul_f64 v[131:132], v[129:130], v[127:128]
	v_fma_f64 v[112:113], -v[112:113], v[131:132], v[129:130]
	v_div_fmas_f64 v[112:113], v[112:113], v[127:128], v[131:132]
	v_div_fixup_f64 v[112:113], v[112:113], v[110:111], 1.0
	v_mul_f64 v[110:111], v[125:126], v[112:113]
	v_xor_b32_e32 v113, 0x80000000, v113
.LBB52_91:
	s_andn2_saveexec_b32 s1, s1
	s_cbranch_execz .LBB52_93
; %bb.92:
	v_div_scale_f64 v[125:126], null, v[110:111], v[110:111], v[112:113]
	v_div_scale_f64 v[131:132], vcc_lo, v[112:113], v[110:111], v[112:113]
	v_rcp_f64_e32 v[127:128], v[125:126]
	v_fma_f64 v[129:130], -v[125:126], v[127:128], 1.0
	v_fma_f64 v[127:128], v[127:128], v[129:130], v[127:128]
	v_fma_f64 v[129:130], -v[125:126], v[127:128], 1.0
	v_fma_f64 v[127:128], v[127:128], v[129:130], v[127:128]
	v_mul_f64 v[129:130], v[131:132], v[127:128]
	v_fma_f64 v[125:126], -v[125:126], v[129:130], v[131:132]
	v_div_fmas_f64 v[125:126], v[125:126], v[127:128], v[129:130]
	v_div_fixup_f64 v[125:126], v[125:126], v[110:111], v[112:113]
	v_fma_f64 v[110:111], v[112:113], v[125:126], v[110:111]
	v_div_scale_f64 v[112:113], null, v[110:111], v[110:111], 1.0
	v_rcp_f64_e32 v[127:128], v[112:113]
	v_fma_f64 v[129:130], -v[112:113], v[127:128], 1.0
	v_fma_f64 v[127:128], v[127:128], v[129:130], v[127:128]
	v_fma_f64 v[129:130], -v[112:113], v[127:128], 1.0
	v_fma_f64 v[127:128], v[127:128], v[129:130], v[127:128]
	v_div_scale_f64 v[129:130], vcc_lo, 1.0, v[110:111], 1.0
	v_mul_f64 v[131:132], v[129:130], v[127:128]
	v_fma_f64 v[112:113], -v[112:113], v[131:132], v[129:130]
	v_div_fmas_f64 v[112:113], v[112:113], v[127:128], v[131:132]
	v_div_fixup_f64 v[110:111], v[112:113], v[110:111], 1.0
	v_mul_f64 v[112:113], v[125:126], -v[110:111]
.LBB52_93:
	s_or_b32 exec_lo, exec_lo, s1
.LBB52_94:
	s_or_b32 exec_lo, exec_lo, s0
	s_mov_b32 s0, exec_lo
	v_cmpx_ne_u32_e64 v124, v118
	s_xor_b32 s0, exec_lo, s0
	s_cbranch_execz .LBB52_100
; %bb.95:
	s_mov_b32 s1, exec_lo
	v_cmpx_eq_u32_e32 4, v124
	s_cbranch_execz .LBB52_99
; %bb.96:
	v_cmp_ne_u32_e32 vcc_lo, 4, v118
	s_xor_b32 s2, s16, -1
	s_and_b32 s3, s2, vcc_lo
	s_and_saveexec_b32 s2, s3
	s_cbranch_execz .LBB52_98
; %bb.97:
	v_ashrrev_i32_e32 v119, 31, v118
	v_lshlrev_b64 v[124:125], 2, v[118:119]
	v_add_co_u32 v124, vcc_lo, v116, v124
	v_add_co_ci_u32_e64 v125, null, v117, v125, vcc_lo
	s_clause 0x1
	global_load_dword v0, v[124:125], off
	global_load_dword v119, v[116:117], off offset:16
	s_waitcnt vmcnt(1)
	global_store_dword v[116:117], v0, off offset:16
	s_waitcnt vmcnt(0)
	global_store_dword v[124:125], v119, off
.LBB52_98:
	s_or_b32 exec_lo, exec_lo, s2
	v_mov_b32_e32 v124, v118
	v_mov_b32_e32 v0, v118
.LBB52_99:
	s_or_b32 exec_lo, exec_lo, s1
.LBB52_100:
	s_andn2_saveexec_b32 s0, s0
	s_cbranch_execz .LBB52_102
; %bb.101:
	v_mov_b32_e32 v124, 4
	ds_write2_b64 v1, v[86:87], v[88:89] offset0:10 offset1:11
	ds_write2_b64 v1, v[82:83], v[84:85] offset0:12 offset1:13
	;; [unrolled: 1-line block ×22, first 2 shown]
.LBB52_102:
	s_or_b32 exec_lo, exec_lo, s0
	s_mov_b32 s0, exec_lo
	s_waitcnt lgkmcnt(0)
	s_waitcnt_vscnt null, 0x0
	s_barrier
	buffer_gl0_inv
	v_cmpx_lt_i32_e32 4, v124
	s_cbranch_execz .LBB52_104
; %bb.103:
	v_mul_f64 v[118:119], v[112:113], v[92:93]
	v_mul_f64 v[92:93], v[110:111], v[92:93]
	v_fma_f64 v[118:119], v[110:111], v[90:91], -v[118:119]
	v_fma_f64 v[92:93], v[112:113], v[90:91], v[92:93]
	ds_read2_b64 v[110:113], v1 offset0:10 offset1:11
	s_waitcnt lgkmcnt(0)
	v_mul_f64 v[90:91], v[112:113], v[92:93]
	v_fma_f64 v[90:91], v[110:111], v[118:119], -v[90:91]
	v_mul_f64 v[110:111], v[110:111], v[92:93]
	v_add_f64 v[86:87], v[86:87], -v[90:91]
	v_fma_f64 v[110:111], v[112:113], v[118:119], v[110:111]
	v_add_f64 v[88:89], v[88:89], -v[110:111]
	ds_read2_b64 v[110:113], v1 offset0:12 offset1:13
	s_waitcnt lgkmcnt(0)
	v_mul_f64 v[90:91], v[112:113], v[92:93]
	v_fma_f64 v[90:91], v[110:111], v[118:119], -v[90:91]
	v_mul_f64 v[110:111], v[110:111], v[92:93]
	v_add_f64 v[82:83], v[82:83], -v[90:91]
	v_fma_f64 v[110:111], v[112:113], v[118:119], v[110:111]
	v_add_f64 v[84:85], v[84:85], -v[110:111]
	ds_read2_b64 v[110:113], v1 offset0:14 offset1:15
	s_waitcnt lgkmcnt(0)
	v_mul_f64 v[90:91], v[112:113], v[92:93]
	v_fma_f64 v[90:91], v[110:111], v[118:119], -v[90:91]
	v_mul_f64 v[110:111], v[110:111], v[92:93]
	v_add_f64 v[78:79], v[78:79], -v[90:91]
	v_fma_f64 v[110:111], v[112:113], v[118:119], v[110:111]
	v_add_f64 v[80:81], v[80:81], -v[110:111]
	ds_read2_b64 v[110:113], v1 offset0:16 offset1:17
	s_waitcnt lgkmcnt(0)
	v_mul_f64 v[90:91], v[112:113], v[92:93]
	v_fma_f64 v[90:91], v[110:111], v[118:119], -v[90:91]
	v_mul_f64 v[110:111], v[110:111], v[92:93]
	v_add_f64 v[74:75], v[74:75], -v[90:91]
	v_fma_f64 v[110:111], v[112:113], v[118:119], v[110:111]
	v_add_f64 v[76:77], v[76:77], -v[110:111]
	ds_read2_b64 v[110:113], v1 offset0:18 offset1:19
	s_waitcnt lgkmcnt(0)
	v_mul_f64 v[90:91], v[112:113], v[92:93]
	v_fma_f64 v[90:91], v[110:111], v[118:119], -v[90:91]
	v_mul_f64 v[110:111], v[110:111], v[92:93]
	v_add_f64 v[70:71], v[70:71], -v[90:91]
	v_fma_f64 v[110:111], v[112:113], v[118:119], v[110:111]
	v_add_f64 v[72:73], v[72:73], -v[110:111]
	ds_read2_b64 v[110:113], v1 offset0:20 offset1:21
	s_waitcnt lgkmcnt(0)
	v_mul_f64 v[90:91], v[112:113], v[92:93]
	v_fma_f64 v[90:91], v[110:111], v[118:119], -v[90:91]
	v_mul_f64 v[110:111], v[110:111], v[92:93]
	v_add_f64 v[66:67], v[66:67], -v[90:91]
	v_fma_f64 v[110:111], v[112:113], v[118:119], v[110:111]
	v_add_f64 v[68:69], v[68:69], -v[110:111]
	ds_read2_b64 v[110:113], v1 offset0:22 offset1:23
	s_waitcnt lgkmcnt(0)
	v_mul_f64 v[90:91], v[112:113], v[92:93]
	v_fma_f64 v[90:91], v[110:111], v[118:119], -v[90:91]
	v_mul_f64 v[110:111], v[110:111], v[92:93]
	v_add_f64 v[62:63], v[62:63], -v[90:91]
	v_fma_f64 v[110:111], v[112:113], v[118:119], v[110:111]
	v_add_f64 v[64:65], v[64:65], -v[110:111]
	ds_read2_b64 v[110:113], v1 offset0:24 offset1:25
	s_waitcnt lgkmcnt(0)
	v_mul_f64 v[90:91], v[112:113], v[92:93]
	v_fma_f64 v[90:91], v[110:111], v[118:119], -v[90:91]
	v_mul_f64 v[110:111], v[110:111], v[92:93]
	v_add_f64 v[58:59], v[58:59], -v[90:91]
	v_fma_f64 v[110:111], v[112:113], v[118:119], v[110:111]
	v_add_f64 v[60:61], v[60:61], -v[110:111]
	ds_read2_b64 v[110:113], v1 offset0:26 offset1:27
	s_waitcnt lgkmcnt(0)
	v_mul_f64 v[90:91], v[112:113], v[92:93]
	v_fma_f64 v[90:91], v[110:111], v[118:119], -v[90:91]
	v_mul_f64 v[110:111], v[110:111], v[92:93]
	v_add_f64 v[54:55], v[54:55], -v[90:91]
	v_fma_f64 v[110:111], v[112:113], v[118:119], v[110:111]
	v_add_f64 v[56:57], v[56:57], -v[110:111]
	ds_read2_b64 v[110:113], v1 offset0:28 offset1:29
	s_waitcnt lgkmcnt(0)
	v_mul_f64 v[90:91], v[112:113], v[92:93]
	v_fma_f64 v[90:91], v[110:111], v[118:119], -v[90:91]
	v_mul_f64 v[110:111], v[110:111], v[92:93]
	v_add_f64 v[50:51], v[50:51], -v[90:91]
	v_fma_f64 v[110:111], v[112:113], v[118:119], v[110:111]
	v_add_f64 v[52:53], v[52:53], -v[110:111]
	ds_read2_b64 v[110:113], v1 offset0:30 offset1:31
	s_waitcnt lgkmcnt(0)
	v_mul_f64 v[90:91], v[112:113], v[92:93]
	v_fma_f64 v[90:91], v[110:111], v[118:119], -v[90:91]
	v_mul_f64 v[110:111], v[110:111], v[92:93]
	v_add_f64 v[46:47], v[46:47], -v[90:91]
	v_fma_f64 v[110:111], v[112:113], v[118:119], v[110:111]
	v_add_f64 v[48:49], v[48:49], -v[110:111]
	ds_read2_b64 v[110:113], v1 offset0:32 offset1:33
	s_waitcnt lgkmcnt(0)
	v_mul_f64 v[90:91], v[112:113], v[92:93]
	v_fma_f64 v[90:91], v[110:111], v[118:119], -v[90:91]
	v_mul_f64 v[110:111], v[110:111], v[92:93]
	v_add_f64 v[42:43], v[42:43], -v[90:91]
	v_fma_f64 v[110:111], v[112:113], v[118:119], v[110:111]
	v_add_f64 v[44:45], v[44:45], -v[110:111]
	ds_read2_b64 v[110:113], v1 offset0:34 offset1:35
	s_waitcnt lgkmcnt(0)
	v_mul_f64 v[90:91], v[112:113], v[92:93]
	v_fma_f64 v[90:91], v[110:111], v[118:119], -v[90:91]
	v_mul_f64 v[110:111], v[110:111], v[92:93]
	v_add_f64 v[38:39], v[38:39], -v[90:91]
	v_fma_f64 v[110:111], v[112:113], v[118:119], v[110:111]
	v_add_f64 v[40:41], v[40:41], -v[110:111]
	ds_read2_b64 v[110:113], v1 offset0:36 offset1:37
	s_waitcnt lgkmcnt(0)
	v_mul_f64 v[90:91], v[112:113], v[92:93]
	v_fma_f64 v[90:91], v[110:111], v[118:119], -v[90:91]
	v_mul_f64 v[110:111], v[110:111], v[92:93]
	v_add_f64 v[34:35], v[34:35], -v[90:91]
	v_fma_f64 v[110:111], v[112:113], v[118:119], v[110:111]
	v_add_f64 v[36:37], v[36:37], -v[110:111]
	ds_read2_b64 v[110:113], v1 offset0:38 offset1:39
	s_waitcnt lgkmcnt(0)
	v_mul_f64 v[90:91], v[112:113], v[92:93]
	v_fma_f64 v[90:91], v[110:111], v[118:119], -v[90:91]
	v_mul_f64 v[110:111], v[110:111], v[92:93]
	v_add_f64 v[30:31], v[30:31], -v[90:91]
	v_fma_f64 v[110:111], v[112:113], v[118:119], v[110:111]
	v_add_f64 v[32:33], v[32:33], -v[110:111]
	ds_read2_b64 v[110:113], v1 offset0:40 offset1:41
	s_waitcnt lgkmcnt(0)
	v_mul_f64 v[90:91], v[112:113], v[92:93]
	v_fma_f64 v[90:91], v[110:111], v[118:119], -v[90:91]
	v_mul_f64 v[110:111], v[110:111], v[92:93]
	v_add_f64 v[26:27], v[26:27], -v[90:91]
	v_fma_f64 v[110:111], v[112:113], v[118:119], v[110:111]
	v_add_f64 v[28:29], v[28:29], -v[110:111]
	ds_read2_b64 v[110:113], v1 offset0:42 offset1:43
	s_waitcnt lgkmcnt(0)
	v_mul_f64 v[90:91], v[112:113], v[92:93]
	v_fma_f64 v[90:91], v[110:111], v[118:119], -v[90:91]
	v_mul_f64 v[110:111], v[110:111], v[92:93]
	v_add_f64 v[22:23], v[22:23], -v[90:91]
	v_fma_f64 v[110:111], v[112:113], v[118:119], v[110:111]
	v_add_f64 v[24:25], v[24:25], -v[110:111]
	ds_read2_b64 v[110:113], v1 offset0:44 offset1:45
	s_waitcnt lgkmcnt(0)
	v_mul_f64 v[90:91], v[112:113], v[92:93]
	v_fma_f64 v[90:91], v[110:111], v[118:119], -v[90:91]
	v_mul_f64 v[110:111], v[110:111], v[92:93]
	v_add_f64 v[18:19], v[18:19], -v[90:91]
	v_fma_f64 v[110:111], v[112:113], v[118:119], v[110:111]
	v_add_f64 v[20:21], v[20:21], -v[110:111]
	ds_read2_b64 v[110:113], v1 offset0:46 offset1:47
	s_waitcnt lgkmcnt(0)
	v_mul_f64 v[90:91], v[112:113], v[92:93]
	v_fma_f64 v[90:91], v[110:111], v[118:119], -v[90:91]
	v_mul_f64 v[110:111], v[110:111], v[92:93]
	v_add_f64 v[14:15], v[14:15], -v[90:91]
	v_fma_f64 v[110:111], v[112:113], v[118:119], v[110:111]
	v_add_f64 v[16:17], v[16:17], -v[110:111]
	ds_read2_b64 v[110:113], v1 offset0:48 offset1:49
	s_waitcnt lgkmcnt(0)
	v_mul_f64 v[90:91], v[112:113], v[92:93]
	v_fma_f64 v[90:91], v[110:111], v[118:119], -v[90:91]
	v_mul_f64 v[110:111], v[110:111], v[92:93]
	v_add_f64 v[10:11], v[10:11], -v[90:91]
	v_fma_f64 v[110:111], v[112:113], v[118:119], v[110:111]
	v_add_f64 v[12:13], v[12:13], -v[110:111]
	ds_read2_b64 v[110:113], v1 offset0:50 offset1:51
	s_waitcnt lgkmcnt(0)
	v_mul_f64 v[90:91], v[112:113], v[92:93]
	v_fma_f64 v[90:91], v[110:111], v[118:119], -v[90:91]
	v_mul_f64 v[110:111], v[110:111], v[92:93]
	v_add_f64 v[6:7], v[6:7], -v[90:91]
	v_fma_f64 v[110:111], v[112:113], v[118:119], v[110:111]
	v_add_f64 v[8:9], v[8:9], -v[110:111]
	ds_read2_b64 v[110:113], v1 offset0:52 offset1:53
	s_waitcnt lgkmcnt(0)
	v_mul_f64 v[90:91], v[112:113], v[92:93]
	v_fma_f64 v[90:91], v[110:111], v[118:119], -v[90:91]
	v_mul_f64 v[110:111], v[110:111], v[92:93]
	v_add_f64 v[2:3], v[2:3], -v[90:91]
	v_fma_f64 v[110:111], v[112:113], v[118:119], v[110:111]
	v_mov_b32_e32 v90, v118
	v_mov_b32_e32 v91, v119
	v_add_f64 v[4:5], v[4:5], -v[110:111]
.LBB52_104:
	s_or_b32 exec_lo, exec_lo, s0
	v_lshl_add_u32 v110, v124, 4, v1
	s_barrier
	buffer_gl0_inv
	v_mov_b32_e32 v118, 5
	ds_write2_b64 v110, v[86:87], v[88:89] offset1:1
	s_waitcnt lgkmcnt(0)
	s_barrier
	buffer_gl0_inv
	ds_read2_b64 v[110:113], v1 offset0:10 offset1:11
	s_cmp_lt_i32 s18, 7
	s_cbranch_scc1 .LBB52_107
; %bb.105:
	v_add3_u32 v119, v120, 0, 0x60
	v_mov_b32_e32 v118, 5
	s_mov_b32 s1, 6
	s_inst_prefetch 0x1
	.p2align	6
.LBB52_106:                             ; =>This Inner Loop Header: Depth=1
	s_waitcnt lgkmcnt(0)
	v_cmp_gt_f64_e32 vcc_lo, 0, v[112:113]
	v_cmp_gt_f64_e64 s0, 0, v[110:111]
	ds_read2_b64 v[125:128], v119 offset1:1
	v_xor_b32_e32 v130, 0x80000000, v111
	v_xor_b32_e32 v132, 0x80000000, v113
	v_mov_b32_e32 v129, v110
	v_mov_b32_e32 v131, v112
	v_add_nc_u32_e32 v119, 16, v119
	s_waitcnt lgkmcnt(0)
	v_xor_b32_e32 v134, 0x80000000, v128
	v_cndmask_b32_e64 v130, v111, v130, s0
	v_cndmask_b32_e32 v132, v113, v132, vcc_lo
	v_cmp_gt_f64_e32 vcc_lo, 0, v[127:128]
	v_cmp_gt_f64_e64 s0, 0, v[125:126]
	v_mov_b32_e32 v133, v127
	v_add_f64 v[129:130], v[129:130], v[131:132]
	v_xor_b32_e32 v132, 0x80000000, v126
	v_mov_b32_e32 v131, v125
	v_cndmask_b32_e32 v134, v128, v134, vcc_lo
	v_cndmask_b32_e64 v132, v126, v132, s0
	v_add_f64 v[131:132], v[131:132], v[133:134]
	v_cmp_lt_f64_e32 vcc_lo, v[129:130], v[131:132]
	v_cndmask_b32_e32 v111, v111, v126, vcc_lo
	v_cndmask_b32_e32 v110, v110, v125, vcc_lo
	;; [unrolled: 1-line block ×4, first 2 shown]
	v_cndmask_b32_e64 v118, v118, s1, vcc_lo
	s_add_i32 s1, s1, 1
	s_cmp_lg_u32 s18, s1
	s_cbranch_scc1 .LBB52_106
.LBB52_107:
	s_inst_prefetch 0x2
	s_waitcnt lgkmcnt(0)
	v_cmp_eq_f64_e32 vcc_lo, 0, v[110:111]
	v_cmp_eq_f64_e64 s0, 0, v[112:113]
	s_and_b32 s0, vcc_lo, s0
	s_and_saveexec_b32 s1, s0
	s_xor_b32 s0, exec_lo, s1
; %bb.108:
	v_cmp_ne_u32_e32 vcc_lo, 0, v123
	v_cndmask_b32_e32 v123, 6, v123, vcc_lo
; %bb.109:
	s_andn2_saveexec_b32 s0, s0
	s_cbranch_execz .LBB52_115
; %bb.110:
	v_cmp_ngt_f64_e64 s1, |v[110:111]|, |v[112:113]|
	s_and_saveexec_b32 s2, s1
	s_xor_b32 s1, exec_lo, s2
	s_cbranch_execz .LBB52_112
; %bb.111:
	v_div_scale_f64 v[125:126], null, v[112:113], v[112:113], v[110:111]
	v_div_scale_f64 v[131:132], vcc_lo, v[110:111], v[112:113], v[110:111]
	v_rcp_f64_e32 v[127:128], v[125:126]
	v_fma_f64 v[129:130], -v[125:126], v[127:128], 1.0
	v_fma_f64 v[127:128], v[127:128], v[129:130], v[127:128]
	v_fma_f64 v[129:130], -v[125:126], v[127:128], 1.0
	v_fma_f64 v[127:128], v[127:128], v[129:130], v[127:128]
	v_mul_f64 v[129:130], v[131:132], v[127:128]
	v_fma_f64 v[125:126], -v[125:126], v[129:130], v[131:132]
	v_div_fmas_f64 v[125:126], v[125:126], v[127:128], v[129:130]
	v_div_fixup_f64 v[125:126], v[125:126], v[112:113], v[110:111]
	v_fma_f64 v[110:111], v[110:111], v[125:126], v[112:113]
	v_div_scale_f64 v[112:113], null, v[110:111], v[110:111], 1.0
	v_rcp_f64_e32 v[127:128], v[112:113]
	v_fma_f64 v[129:130], -v[112:113], v[127:128], 1.0
	v_fma_f64 v[127:128], v[127:128], v[129:130], v[127:128]
	v_fma_f64 v[129:130], -v[112:113], v[127:128], 1.0
	v_fma_f64 v[127:128], v[127:128], v[129:130], v[127:128]
	v_div_scale_f64 v[129:130], vcc_lo, 1.0, v[110:111], 1.0
	v_mul_f64 v[131:132], v[129:130], v[127:128]
	v_fma_f64 v[112:113], -v[112:113], v[131:132], v[129:130]
	v_div_fmas_f64 v[112:113], v[112:113], v[127:128], v[131:132]
	v_div_fixup_f64 v[112:113], v[112:113], v[110:111], 1.0
	v_mul_f64 v[110:111], v[125:126], v[112:113]
	v_xor_b32_e32 v113, 0x80000000, v113
.LBB52_112:
	s_andn2_saveexec_b32 s1, s1
	s_cbranch_execz .LBB52_114
; %bb.113:
	v_div_scale_f64 v[125:126], null, v[110:111], v[110:111], v[112:113]
	v_div_scale_f64 v[131:132], vcc_lo, v[112:113], v[110:111], v[112:113]
	v_rcp_f64_e32 v[127:128], v[125:126]
	v_fma_f64 v[129:130], -v[125:126], v[127:128], 1.0
	v_fma_f64 v[127:128], v[127:128], v[129:130], v[127:128]
	v_fma_f64 v[129:130], -v[125:126], v[127:128], 1.0
	v_fma_f64 v[127:128], v[127:128], v[129:130], v[127:128]
	v_mul_f64 v[129:130], v[131:132], v[127:128]
	v_fma_f64 v[125:126], -v[125:126], v[129:130], v[131:132]
	v_div_fmas_f64 v[125:126], v[125:126], v[127:128], v[129:130]
	v_div_fixup_f64 v[125:126], v[125:126], v[110:111], v[112:113]
	v_fma_f64 v[110:111], v[112:113], v[125:126], v[110:111]
	v_div_scale_f64 v[112:113], null, v[110:111], v[110:111], 1.0
	v_rcp_f64_e32 v[127:128], v[112:113]
	v_fma_f64 v[129:130], -v[112:113], v[127:128], 1.0
	v_fma_f64 v[127:128], v[127:128], v[129:130], v[127:128]
	v_fma_f64 v[129:130], -v[112:113], v[127:128], 1.0
	v_fma_f64 v[127:128], v[127:128], v[129:130], v[127:128]
	v_div_scale_f64 v[129:130], vcc_lo, 1.0, v[110:111], 1.0
	v_mul_f64 v[131:132], v[129:130], v[127:128]
	v_fma_f64 v[112:113], -v[112:113], v[131:132], v[129:130]
	v_div_fmas_f64 v[112:113], v[112:113], v[127:128], v[131:132]
	v_div_fixup_f64 v[110:111], v[112:113], v[110:111], 1.0
	v_mul_f64 v[112:113], v[125:126], -v[110:111]
.LBB52_114:
	s_or_b32 exec_lo, exec_lo, s1
.LBB52_115:
	s_or_b32 exec_lo, exec_lo, s0
	s_mov_b32 s0, exec_lo
	v_cmpx_ne_u32_e64 v124, v118
	s_xor_b32 s0, exec_lo, s0
	s_cbranch_execz .LBB52_121
; %bb.116:
	s_mov_b32 s1, exec_lo
	v_cmpx_eq_u32_e32 5, v124
	s_cbranch_execz .LBB52_120
; %bb.117:
	v_cmp_ne_u32_e32 vcc_lo, 5, v118
	s_xor_b32 s2, s16, -1
	s_and_b32 s3, s2, vcc_lo
	s_and_saveexec_b32 s2, s3
	s_cbranch_execz .LBB52_119
; %bb.118:
	v_ashrrev_i32_e32 v119, 31, v118
	v_lshlrev_b64 v[124:125], 2, v[118:119]
	v_add_co_u32 v124, vcc_lo, v116, v124
	v_add_co_ci_u32_e64 v125, null, v117, v125, vcc_lo
	s_clause 0x1
	global_load_dword v0, v[124:125], off
	global_load_dword v119, v[116:117], off offset:20
	s_waitcnt vmcnt(1)
	global_store_dword v[116:117], v0, off offset:20
	s_waitcnt vmcnt(0)
	global_store_dword v[124:125], v119, off
.LBB52_119:
	s_or_b32 exec_lo, exec_lo, s2
	v_mov_b32_e32 v124, v118
	v_mov_b32_e32 v0, v118
.LBB52_120:
	s_or_b32 exec_lo, exec_lo, s1
.LBB52_121:
	s_andn2_saveexec_b32 s0, s0
	s_cbranch_execz .LBB52_123
; %bb.122:
	v_mov_b32_e32 v124, 5
	ds_write2_b64 v1, v[82:83], v[84:85] offset0:12 offset1:13
	ds_write2_b64 v1, v[78:79], v[80:81] offset0:14 offset1:15
	ds_write2_b64 v1, v[74:75], v[76:77] offset0:16 offset1:17
	ds_write2_b64 v1, v[70:71], v[72:73] offset0:18 offset1:19
	ds_write2_b64 v1, v[66:67], v[68:69] offset0:20 offset1:21
	ds_write2_b64 v1, v[62:63], v[64:65] offset0:22 offset1:23
	ds_write2_b64 v1, v[58:59], v[60:61] offset0:24 offset1:25
	ds_write2_b64 v1, v[54:55], v[56:57] offset0:26 offset1:27
	ds_write2_b64 v1, v[50:51], v[52:53] offset0:28 offset1:29
	ds_write2_b64 v1, v[46:47], v[48:49] offset0:30 offset1:31
	ds_write2_b64 v1, v[42:43], v[44:45] offset0:32 offset1:33
	ds_write2_b64 v1, v[38:39], v[40:41] offset0:34 offset1:35
	ds_write2_b64 v1, v[34:35], v[36:37] offset0:36 offset1:37
	ds_write2_b64 v1, v[30:31], v[32:33] offset0:38 offset1:39
	ds_write2_b64 v1, v[26:27], v[28:29] offset0:40 offset1:41
	ds_write2_b64 v1, v[22:23], v[24:25] offset0:42 offset1:43
	ds_write2_b64 v1, v[18:19], v[20:21] offset0:44 offset1:45
	ds_write2_b64 v1, v[14:15], v[16:17] offset0:46 offset1:47
	ds_write2_b64 v1, v[10:11], v[12:13] offset0:48 offset1:49
	ds_write2_b64 v1, v[6:7], v[8:9] offset0:50 offset1:51
	ds_write2_b64 v1, v[2:3], v[4:5] offset0:52 offset1:53
.LBB52_123:
	s_or_b32 exec_lo, exec_lo, s0
	s_mov_b32 s0, exec_lo
	s_waitcnt lgkmcnt(0)
	s_waitcnt_vscnt null, 0x0
	s_barrier
	buffer_gl0_inv
	v_cmpx_lt_i32_e32 5, v124
	s_cbranch_execz .LBB52_125
; %bb.124:
	v_mul_f64 v[118:119], v[112:113], v[88:89]
	v_mul_f64 v[88:89], v[110:111], v[88:89]
	v_fma_f64 v[118:119], v[110:111], v[86:87], -v[118:119]
	v_fma_f64 v[88:89], v[112:113], v[86:87], v[88:89]
	ds_read2_b64 v[110:113], v1 offset0:12 offset1:13
	s_waitcnt lgkmcnt(0)
	v_mul_f64 v[86:87], v[112:113], v[88:89]
	v_fma_f64 v[86:87], v[110:111], v[118:119], -v[86:87]
	v_mul_f64 v[110:111], v[110:111], v[88:89]
	v_add_f64 v[82:83], v[82:83], -v[86:87]
	v_fma_f64 v[110:111], v[112:113], v[118:119], v[110:111]
	v_add_f64 v[84:85], v[84:85], -v[110:111]
	ds_read2_b64 v[110:113], v1 offset0:14 offset1:15
	s_waitcnt lgkmcnt(0)
	v_mul_f64 v[86:87], v[112:113], v[88:89]
	v_fma_f64 v[86:87], v[110:111], v[118:119], -v[86:87]
	v_mul_f64 v[110:111], v[110:111], v[88:89]
	v_add_f64 v[78:79], v[78:79], -v[86:87]
	v_fma_f64 v[110:111], v[112:113], v[118:119], v[110:111]
	v_add_f64 v[80:81], v[80:81], -v[110:111]
	;; [unrolled: 8-line block ×20, first 2 shown]
	ds_read2_b64 v[110:113], v1 offset0:52 offset1:53
	s_waitcnt lgkmcnt(0)
	v_mul_f64 v[86:87], v[112:113], v[88:89]
	v_fma_f64 v[86:87], v[110:111], v[118:119], -v[86:87]
	v_mul_f64 v[110:111], v[110:111], v[88:89]
	v_add_f64 v[2:3], v[2:3], -v[86:87]
	v_fma_f64 v[110:111], v[112:113], v[118:119], v[110:111]
	v_mov_b32_e32 v86, v118
	v_mov_b32_e32 v87, v119
	v_add_f64 v[4:5], v[4:5], -v[110:111]
.LBB52_125:
	s_or_b32 exec_lo, exec_lo, s0
	v_lshl_add_u32 v110, v124, 4, v1
	s_barrier
	buffer_gl0_inv
	v_mov_b32_e32 v118, 6
	ds_write2_b64 v110, v[82:83], v[84:85] offset1:1
	s_waitcnt lgkmcnt(0)
	s_barrier
	buffer_gl0_inv
	ds_read2_b64 v[110:113], v1 offset0:12 offset1:13
	s_cmp_lt_i32 s18, 8
	s_cbranch_scc1 .LBB52_128
; %bb.126:
	v_add3_u32 v119, v120, 0, 0x70
	v_mov_b32_e32 v118, 6
	s_mov_b32 s1, 7
	s_inst_prefetch 0x1
	.p2align	6
.LBB52_127:                             ; =>This Inner Loop Header: Depth=1
	s_waitcnt lgkmcnt(0)
	v_cmp_gt_f64_e32 vcc_lo, 0, v[112:113]
	v_cmp_gt_f64_e64 s0, 0, v[110:111]
	ds_read2_b64 v[125:128], v119 offset1:1
	v_xor_b32_e32 v130, 0x80000000, v111
	v_xor_b32_e32 v132, 0x80000000, v113
	v_mov_b32_e32 v129, v110
	v_mov_b32_e32 v131, v112
	v_add_nc_u32_e32 v119, 16, v119
	s_waitcnt lgkmcnt(0)
	v_xor_b32_e32 v134, 0x80000000, v128
	v_cndmask_b32_e64 v130, v111, v130, s0
	v_cndmask_b32_e32 v132, v113, v132, vcc_lo
	v_cmp_gt_f64_e32 vcc_lo, 0, v[127:128]
	v_cmp_gt_f64_e64 s0, 0, v[125:126]
	v_mov_b32_e32 v133, v127
	v_add_f64 v[129:130], v[129:130], v[131:132]
	v_xor_b32_e32 v132, 0x80000000, v126
	v_mov_b32_e32 v131, v125
	v_cndmask_b32_e32 v134, v128, v134, vcc_lo
	v_cndmask_b32_e64 v132, v126, v132, s0
	v_add_f64 v[131:132], v[131:132], v[133:134]
	v_cmp_lt_f64_e32 vcc_lo, v[129:130], v[131:132]
	v_cndmask_b32_e32 v111, v111, v126, vcc_lo
	v_cndmask_b32_e32 v110, v110, v125, vcc_lo
	;; [unrolled: 1-line block ×4, first 2 shown]
	v_cndmask_b32_e64 v118, v118, s1, vcc_lo
	s_add_i32 s1, s1, 1
	s_cmp_lg_u32 s18, s1
	s_cbranch_scc1 .LBB52_127
.LBB52_128:
	s_inst_prefetch 0x2
	s_waitcnt lgkmcnt(0)
	v_cmp_eq_f64_e32 vcc_lo, 0, v[110:111]
	v_cmp_eq_f64_e64 s0, 0, v[112:113]
	s_and_b32 s0, vcc_lo, s0
	s_and_saveexec_b32 s1, s0
	s_xor_b32 s0, exec_lo, s1
; %bb.129:
	v_cmp_ne_u32_e32 vcc_lo, 0, v123
	v_cndmask_b32_e32 v123, 7, v123, vcc_lo
; %bb.130:
	s_andn2_saveexec_b32 s0, s0
	s_cbranch_execz .LBB52_136
; %bb.131:
	v_cmp_ngt_f64_e64 s1, |v[110:111]|, |v[112:113]|
	s_and_saveexec_b32 s2, s1
	s_xor_b32 s1, exec_lo, s2
	s_cbranch_execz .LBB52_133
; %bb.132:
	v_div_scale_f64 v[125:126], null, v[112:113], v[112:113], v[110:111]
	v_div_scale_f64 v[131:132], vcc_lo, v[110:111], v[112:113], v[110:111]
	v_rcp_f64_e32 v[127:128], v[125:126]
	v_fma_f64 v[129:130], -v[125:126], v[127:128], 1.0
	v_fma_f64 v[127:128], v[127:128], v[129:130], v[127:128]
	v_fma_f64 v[129:130], -v[125:126], v[127:128], 1.0
	v_fma_f64 v[127:128], v[127:128], v[129:130], v[127:128]
	v_mul_f64 v[129:130], v[131:132], v[127:128]
	v_fma_f64 v[125:126], -v[125:126], v[129:130], v[131:132]
	v_div_fmas_f64 v[125:126], v[125:126], v[127:128], v[129:130]
	v_div_fixup_f64 v[125:126], v[125:126], v[112:113], v[110:111]
	v_fma_f64 v[110:111], v[110:111], v[125:126], v[112:113]
	v_div_scale_f64 v[112:113], null, v[110:111], v[110:111], 1.0
	v_rcp_f64_e32 v[127:128], v[112:113]
	v_fma_f64 v[129:130], -v[112:113], v[127:128], 1.0
	v_fma_f64 v[127:128], v[127:128], v[129:130], v[127:128]
	v_fma_f64 v[129:130], -v[112:113], v[127:128], 1.0
	v_fma_f64 v[127:128], v[127:128], v[129:130], v[127:128]
	v_div_scale_f64 v[129:130], vcc_lo, 1.0, v[110:111], 1.0
	v_mul_f64 v[131:132], v[129:130], v[127:128]
	v_fma_f64 v[112:113], -v[112:113], v[131:132], v[129:130]
	v_div_fmas_f64 v[112:113], v[112:113], v[127:128], v[131:132]
	v_div_fixup_f64 v[112:113], v[112:113], v[110:111], 1.0
	v_mul_f64 v[110:111], v[125:126], v[112:113]
	v_xor_b32_e32 v113, 0x80000000, v113
.LBB52_133:
	s_andn2_saveexec_b32 s1, s1
	s_cbranch_execz .LBB52_135
; %bb.134:
	v_div_scale_f64 v[125:126], null, v[110:111], v[110:111], v[112:113]
	v_div_scale_f64 v[131:132], vcc_lo, v[112:113], v[110:111], v[112:113]
	v_rcp_f64_e32 v[127:128], v[125:126]
	v_fma_f64 v[129:130], -v[125:126], v[127:128], 1.0
	v_fma_f64 v[127:128], v[127:128], v[129:130], v[127:128]
	v_fma_f64 v[129:130], -v[125:126], v[127:128], 1.0
	v_fma_f64 v[127:128], v[127:128], v[129:130], v[127:128]
	v_mul_f64 v[129:130], v[131:132], v[127:128]
	v_fma_f64 v[125:126], -v[125:126], v[129:130], v[131:132]
	v_div_fmas_f64 v[125:126], v[125:126], v[127:128], v[129:130]
	v_div_fixup_f64 v[125:126], v[125:126], v[110:111], v[112:113]
	v_fma_f64 v[110:111], v[112:113], v[125:126], v[110:111]
	v_div_scale_f64 v[112:113], null, v[110:111], v[110:111], 1.0
	v_rcp_f64_e32 v[127:128], v[112:113]
	v_fma_f64 v[129:130], -v[112:113], v[127:128], 1.0
	v_fma_f64 v[127:128], v[127:128], v[129:130], v[127:128]
	v_fma_f64 v[129:130], -v[112:113], v[127:128], 1.0
	v_fma_f64 v[127:128], v[127:128], v[129:130], v[127:128]
	v_div_scale_f64 v[129:130], vcc_lo, 1.0, v[110:111], 1.0
	v_mul_f64 v[131:132], v[129:130], v[127:128]
	v_fma_f64 v[112:113], -v[112:113], v[131:132], v[129:130]
	v_div_fmas_f64 v[112:113], v[112:113], v[127:128], v[131:132]
	v_div_fixup_f64 v[110:111], v[112:113], v[110:111], 1.0
	v_mul_f64 v[112:113], v[125:126], -v[110:111]
.LBB52_135:
	s_or_b32 exec_lo, exec_lo, s1
.LBB52_136:
	s_or_b32 exec_lo, exec_lo, s0
	s_mov_b32 s0, exec_lo
	v_cmpx_ne_u32_e64 v124, v118
	s_xor_b32 s0, exec_lo, s0
	s_cbranch_execz .LBB52_142
; %bb.137:
	s_mov_b32 s1, exec_lo
	v_cmpx_eq_u32_e32 6, v124
	s_cbranch_execz .LBB52_141
; %bb.138:
	v_cmp_ne_u32_e32 vcc_lo, 6, v118
	s_xor_b32 s2, s16, -1
	s_and_b32 s3, s2, vcc_lo
	s_and_saveexec_b32 s2, s3
	s_cbranch_execz .LBB52_140
; %bb.139:
	v_ashrrev_i32_e32 v119, 31, v118
	v_lshlrev_b64 v[124:125], 2, v[118:119]
	v_add_co_u32 v124, vcc_lo, v116, v124
	v_add_co_ci_u32_e64 v125, null, v117, v125, vcc_lo
	s_clause 0x1
	global_load_dword v0, v[124:125], off
	global_load_dword v119, v[116:117], off offset:24
	s_waitcnt vmcnt(1)
	global_store_dword v[116:117], v0, off offset:24
	s_waitcnt vmcnt(0)
	global_store_dword v[124:125], v119, off
.LBB52_140:
	s_or_b32 exec_lo, exec_lo, s2
	v_mov_b32_e32 v124, v118
	v_mov_b32_e32 v0, v118
.LBB52_141:
	s_or_b32 exec_lo, exec_lo, s1
.LBB52_142:
	s_andn2_saveexec_b32 s0, s0
	s_cbranch_execz .LBB52_144
; %bb.143:
	v_mov_b32_e32 v124, 6
	ds_write2_b64 v1, v[78:79], v[80:81] offset0:14 offset1:15
	ds_write2_b64 v1, v[74:75], v[76:77] offset0:16 offset1:17
	ds_write2_b64 v1, v[70:71], v[72:73] offset0:18 offset1:19
	ds_write2_b64 v1, v[66:67], v[68:69] offset0:20 offset1:21
	ds_write2_b64 v1, v[62:63], v[64:65] offset0:22 offset1:23
	ds_write2_b64 v1, v[58:59], v[60:61] offset0:24 offset1:25
	ds_write2_b64 v1, v[54:55], v[56:57] offset0:26 offset1:27
	ds_write2_b64 v1, v[50:51], v[52:53] offset0:28 offset1:29
	ds_write2_b64 v1, v[46:47], v[48:49] offset0:30 offset1:31
	ds_write2_b64 v1, v[42:43], v[44:45] offset0:32 offset1:33
	ds_write2_b64 v1, v[38:39], v[40:41] offset0:34 offset1:35
	ds_write2_b64 v1, v[34:35], v[36:37] offset0:36 offset1:37
	ds_write2_b64 v1, v[30:31], v[32:33] offset0:38 offset1:39
	ds_write2_b64 v1, v[26:27], v[28:29] offset0:40 offset1:41
	ds_write2_b64 v1, v[22:23], v[24:25] offset0:42 offset1:43
	ds_write2_b64 v1, v[18:19], v[20:21] offset0:44 offset1:45
	ds_write2_b64 v1, v[14:15], v[16:17] offset0:46 offset1:47
	ds_write2_b64 v1, v[10:11], v[12:13] offset0:48 offset1:49
	ds_write2_b64 v1, v[6:7], v[8:9] offset0:50 offset1:51
	ds_write2_b64 v1, v[2:3], v[4:5] offset0:52 offset1:53
.LBB52_144:
	s_or_b32 exec_lo, exec_lo, s0
	s_mov_b32 s0, exec_lo
	s_waitcnt lgkmcnt(0)
	s_waitcnt_vscnt null, 0x0
	s_barrier
	buffer_gl0_inv
	v_cmpx_lt_i32_e32 6, v124
	s_cbranch_execz .LBB52_146
; %bb.145:
	v_mul_f64 v[118:119], v[112:113], v[84:85]
	v_mul_f64 v[84:85], v[110:111], v[84:85]
	v_fma_f64 v[118:119], v[110:111], v[82:83], -v[118:119]
	v_fma_f64 v[84:85], v[112:113], v[82:83], v[84:85]
	ds_read2_b64 v[110:113], v1 offset0:14 offset1:15
	s_waitcnt lgkmcnt(0)
	v_mul_f64 v[82:83], v[112:113], v[84:85]
	v_fma_f64 v[82:83], v[110:111], v[118:119], -v[82:83]
	v_mul_f64 v[110:111], v[110:111], v[84:85]
	v_add_f64 v[78:79], v[78:79], -v[82:83]
	v_fma_f64 v[110:111], v[112:113], v[118:119], v[110:111]
	v_add_f64 v[80:81], v[80:81], -v[110:111]
	ds_read2_b64 v[110:113], v1 offset0:16 offset1:17
	s_waitcnt lgkmcnt(0)
	v_mul_f64 v[82:83], v[112:113], v[84:85]
	v_fma_f64 v[82:83], v[110:111], v[118:119], -v[82:83]
	v_mul_f64 v[110:111], v[110:111], v[84:85]
	v_add_f64 v[74:75], v[74:75], -v[82:83]
	v_fma_f64 v[110:111], v[112:113], v[118:119], v[110:111]
	v_add_f64 v[76:77], v[76:77], -v[110:111]
	;; [unrolled: 8-line block ×19, first 2 shown]
	ds_read2_b64 v[110:113], v1 offset0:52 offset1:53
	s_waitcnt lgkmcnt(0)
	v_mul_f64 v[82:83], v[112:113], v[84:85]
	v_fma_f64 v[82:83], v[110:111], v[118:119], -v[82:83]
	v_mul_f64 v[110:111], v[110:111], v[84:85]
	v_add_f64 v[2:3], v[2:3], -v[82:83]
	v_fma_f64 v[110:111], v[112:113], v[118:119], v[110:111]
	v_mov_b32_e32 v82, v118
	v_mov_b32_e32 v83, v119
	v_add_f64 v[4:5], v[4:5], -v[110:111]
.LBB52_146:
	s_or_b32 exec_lo, exec_lo, s0
	v_lshl_add_u32 v110, v124, 4, v1
	s_barrier
	buffer_gl0_inv
	v_mov_b32_e32 v118, 7
	ds_write2_b64 v110, v[78:79], v[80:81] offset1:1
	s_waitcnt lgkmcnt(0)
	s_barrier
	buffer_gl0_inv
	ds_read2_b64 v[110:113], v1 offset0:14 offset1:15
	s_cmp_lt_i32 s18, 9
	s_cbranch_scc1 .LBB52_149
; %bb.147:
	v_add3_u32 v119, v120, 0, 0x80
	v_mov_b32_e32 v118, 7
	s_mov_b32 s1, 8
	s_inst_prefetch 0x1
	.p2align	6
.LBB52_148:                             ; =>This Inner Loop Header: Depth=1
	s_waitcnt lgkmcnt(0)
	v_cmp_gt_f64_e32 vcc_lo, 0, v[112:113]
	v_cmp_gt_f64_e64 s0, 0, v[110:111]
	ds_read2_b64 v[125:128], v119 offset1:1
	v_xor_b32_e32 v130, 0x80000000, v111
	v_xor_b32_e32 v132, 0x80000000, v113
	v_mov_b32_e32 v129, v110
	v_mov_b32_e32 v131, v112
	v_add_nc_u32_e32 v119, 16, v119
	s_waitcnt lgkmcnt(0)
	v_xor_b32_e32 v134, 0x80000000, v128
	v_cndmask_b32_e64 v130, v111, v130, s0
	v_cndmask_b32_e32 v132, v113, v132, vcc_lo
	v_cmp_gt_f64_e32 vcc_lo, 0, v[127:128]
	v_cmp_gt_f64_e64 s0, 0, v[125:126]
	v_mov_b32_e32 v133, v127
	v_add_f64 v[129:130], v[129:130], v[131:132]
	v_xor_b32_e32 v132, 0x80000000, v126
	v_mov_b32_e32 v131, v125
	v_cndmask_b32_e32 v134, v128, v134, vcc_lo
	v_cndmask_b32_e64 v132, v126, v132, s0
	v_add_f64 v[131:132], v[131:132], v[133:134]
	v_cmp_lt_f64_e32 vcc_lo, v[129:130], v[131:132]
	v_cndmask_b32_e32 v111, v111, v126, vcc_lo
	v_cndmask_b32_e32 v110, v110, v125, vcc_lo
	;; [unrolled: 1-line block ×4, first 2 shown]
	v_cndmask_b32_e64 v118, v118, s1, vcc_lo
	s_add_i32 s1, s1, 1
	s_cmp_lg_u32 s18, s1
	s_cbranch_scc1 .LBB52_148
.LBB52_149:
	s_inst_prefetch 0x2
	s_waitcnt lgkmcnt(0)
	v_cmp_eq_f64_e32 vcc_lo, 0, v[110:111]
	v_cmp_eq_f64_e64 s0, 0, v[112:113]
	s_and_b32 s0, vcc_lo, s0
	s_and_saveexec_b32 s1, s0
	s_xor_b32 s0, exec_lo, s1
; %bb.150:
	v_cmp_ne_u32_e32 vcc_lo, 0, v123
	v_cndmask_b32_e32 v123, 8, v123, vcc_lo
; %bb.151:
	s_andn2_saveexec_b32 s0, s0
	s_cbranch_execz .LBB52_157
; %bb.152:
	v_cmp_ngt_f64_e64 s1, |v[110:111]|, |v[112:113]|
	s_and_saveexec_b32 s2, s1
	s_xor_b32 s1, exec_lo, s2
	s_cbranch_execz .LBB52_154
; %bb.153:
	v_div_scale_f64 v[125:126], null, v[112:113], v[112:113], v[110:111]
	v_div_scale_f64 v[131:132], vcc_lo, v[110:111], v[112:113], v[110:111]
	v_rcp_f64_e32 v[127:128], v[125:126]
	v_fma_f64 v[129:130], -v[125:126], v[127:128], 1.0
	v_fma_f64 v[127:128], v[127:128], v[129:130], v[127:128]
	v_fma_f64 v[129:130], -v[125:126], v[127:128], 1.0
	v_fma_f64 v[127:128], v[127:128], v[129:130], v[127:128]
	v_mul_f64 v[129:130], v[131:132], v[127:128]
	v_fma_f64 v[125:126], -v[125:126], v[129:130], v[131:132]
	v_div_fmas_f64 v[125:126], v[125:126], v[127:128], v[129:130]
	v_div_fixup_f64 v[125:126], v[125:126], v[112:113], v[110:111]
	v_fma_f64 v[110:111], v[110:111], v[125:126], v[112:113]
	v_div_scale_f64 v[112:113], null, v[110:111], v[110:111], 1.0
	v_rcp_f64_e32 v[127:128], v[112:113]
	v_fma_f64 v[129:130], -v[112:113], v[127:128], 1.0
	v_fma_f64 v[127:128], v[127:128], v[129:130], v[127:128]
	v_fma_f64 v[129:130], -v[112:113], v[127:128], 1.0
	v_fma_f64 v[127:128], v[127:128], v[129:130], v[127:128]
	v_div_scale_f64 v[129:130], vcc_lo, 1.0, v[110:111], 1.0
	v_mul_f64 v[131:132], v[129:130], v[127:128]
	v_fma_f64 v[112:113], -v[112:113], v[131:132], v[129:130]
	v_div_fmas_f64 v[112:113], v[112:113], v[127:128], v[131:132]
	v_div_fixup_f64 v[112:113], v[112:113], v[110:111], 1.0
	v_mul_f64 v[110:111], v[125:126], v[112:113]
	v_xor_b32_e32 v113, 0x80000000, v113
.LBB52_154:
	s_andn2_saveexec_b32 s1, s1
	s_cbranch_execz .LBB52_156
; %bb.155:
	v_div_scale_f64 v[125:126], null, v[110:111], v[110:111], v[112:113]
	v_div_scale_f64 v[131:132], vcc_lo, v[112:113], v[110:111], v[112:113]
	v_rcp_f64_e32 v[127:128], v[125:126]
	v_fma_f64 v[129:130], -v[125:126], v[127:128], 1.0
	v_fma_f64 v[127:128], v[127:128], v[129:130], v[127:128]
	v_fma_f64 v[129:130], -v[125:126], v[127:128], 1.0
	v_fma_f64 v[127:128], v[127:128], v[129:130], v[127:128]
	v_mul_f64 v[129:130], v[131:132], v[127:128]
	v_fma_f64 v[125:126], -v[125:126], v[129:130], v[131:132]
	v_div_fmas_f64 v[125:126], v[125:126], v[127:128], v[129:130]
	v_div_fixup_f64 v[125:126], v[125:126], v[110:111], v[112:113]
	v_fma_f64 v[110:111], v[112:113], v[125:126], v[110:111]
	v_div_scale_f64 v[112:113], null, v[110:111], v[110:111], 1.0
	v_rcp_f64_e32 v[127:128], v[112:113]
	v_fma_f64 v[129:130], -v[112:113], v[127:128], 1.0
	v_fma_f64 v[127:128], v[127:128], v[129:130], v[127:128]
	v_fma_f64 v[129:130], -v[112:113], v[127:128], 1.0
	v_fma_f64 v[127:128], v[127:128], v[129:130], v[127:128]
	v_div_scale_f64 v[129:130], vcc_lo, 1.0, v[110:111], 1.0
	v_mul_f64 v[131:132], v[129:130], v[127:128]
	v_fma_f64 v[112:113], -v[112:113], v[131:132], v[129:130]
	v_div_fmas_f64 v[112:113], v[112:113], v[127:128], v[131:132]
	v_div_fixup_f64 v[110:111], v[112:113], v[110:111], 1.0
	v_mul_f64 v[112:113], v[125:126], -v[110:111]
.LBB52_156:
	s_or_b32 exec_lo, exec_lo, s1
.LBB52_157:
	s_or_b32 exec_lo, exec_lo, s0
	s_mov_b32 s0, exec_lo
	v_cmpx_ne_u32_e64 v124, v118
	s_xor_b32 s0, exec_lo, s0
	s_cbranch_execz .LBB52_163
; %bb.158:
	s_mov_b32 s1, exec_lo
	v_cmpx_eq_u32_e32 7, v124
	s_cbranch_execz .LBB52_162
; %bb.159:
	v_cmp_ne_u32_e32 vcc_lo, 7, v118
	s_xor_b32 s2, s16, -1
	s_and_b32 s3, s2, vcc_lo
	s_and_saveexec_b32 s2, s3
	s_cbranch_execz .LBB52_161
; %bb.160:
	v_ashrrev_i32_e32 v119, 31, v118
	v_lshlrev_b64 v[124:125], 2, v[118:119]
	v_add_co_u32 v124, vcc_lo, v116, v124
	v_add_co_ci_u32_e64 v125, null, v117, v125, vcc_lo
	s_clause 0x1
	global_load_dword v0, v[124:125], off
	global_load_dword v119, v[116:117], off offset:28
	s_waitcnt vmcnt(1)
	global_store_dword v[116:117], v0, off offset:28
	s_waitcnt vmcnt(0)
	global_store_dword v[124:125], v119, off
.LBB52_161:
	s_or_b32 exec_lo, exec_lo, s2
	v_mov_b32_e32 v124, v118
	v_mov_b32_e32 v0, v118
.LBB52_162:
	s_or_b32 exec_lo, exec_lo, s1
.LBB52_163:
	s_andn2_saveexec_b32 s0, s0
	s_cbranch_execz .LBB52_165
; %bb.164:
	v_mov_b32_e32 v124, 7
	ds_write2_b64 v1, v[74:75], v[76:77] offset0:16 offset1:17
	ds_write2_b64 v1, v[70:71], v[72:73] offset0:18 offset1:19
	;; [unrolled: 1-line block ×19, first 2 shown]
.LBB52_165:
	s_or_b32 exec_lo, exec_lo, s0
	s_mov_b32 s0, exec_lo
	s_waitcnt lgkmcnt(0)
	s_waitcnt_vscnt null, 0x0
	s_barrier
	buffer_gl0_inv
	v_cmpx_lt_i32_e32 7, v124
	s_cbranch_execz .LBB52_167
; %bb.166:
	v_mul_f64 v[118:119], v[112:113], v[80:81]
	v_mul_f64 v[80:81], v[110:111], v[80:81]
	v_fma_f64 v[118:119], v[110:111], v[78:79], -v[118:119]
	v_fma_f64 v[80:81], v[112:113], v[78:79], v[80:81]
	ds_read2_b64 v[110:113], v1 offset0:16 offset1:17
	s_waitcnt lgkmcnt(0)
	v_mul_f64 v[78:79], v[112:113], v[80:81]
	v_fma_f64 v[78:79], v[110:111], v[118:119], -v[78:79]
	v_mul_f64 v[110:111], v[110:111], v[80:81]
	v_add_f64 v[74:75], v[74:75], -v[78:79]
	v_fma_f64 v[110:111], v[112:113], v[118:119], v[110:111]
	v_add_f64 v[76:77], v[76:77], -v[110:111]
	ds_read2_b64 v[110:113], v1 offset0:18 offset1:19
	s_waitcnt lgkmcnt(0)
	v_mul_f64 v[78:79], v[112:113], v[80:81]
	v_fma_f64 v[78:79], v[110:111], v[118:119], -v[78:79]
	v_mul_f64 v[110:111], v[110:111], v[80:81]
	v_add_f64 v[70:71], v[70:71], -v[78:79]
	v_fma_f64 v[110:111], v[112:113], v[118:119], v[110:111]
	v_add_f64 v[72:73], v[72:73], -v[110:111]
	;; [unrolled: 8-line block ×18, first 2 shown]
	ds_read2_b64 v[110:113], v1 offset0:52 offset1:53
	s_waitcnt lgkmcnt(0)
	v_mul_f64 v[78:79], v[112:113], v[80:81]
	v_fma_f64 v[78:79], v[110:111], v[118:119], -v[78:79]
	v_mul_f64 v[110:111], v[110:111], v[80:81]
	v_add_f64 v[2:3], v[2:3], -v[78:79]
	v_fma_f64 v[110:111], v[112:113], v[118:119], v[110:111]
	v_mov_b32_e32 v78, v118
	v_mov_b32_e32 v79, v119
	v_add_f64 v[4:5], v[4:5], -v[110:111]
.LBB52_167:
	s_or_b32 exec_lo, exec_lo, s0
	v_lshl_add_u32 v110, v124, 4, v1
	s_barrier
	buffer_gl0_inv
	v_mov_b32_e32 v118, 8
	ds_write2_b64 v110, v[74:75], v[76:77] offset1:1
	s_waitcnt lgkmcnt(0)
	s_barrier
	buffer_gl0_inv
	ds_read2_b64 v[110:113], v1 offset0:16 offset1:17
	s_cmp_lt_i32 s18, 10
	s_cbranch_scc1 .LBB52_170
; %bb.168:
	v_add3_u32 v119, v120, 0, 0x90
	v_mov_b32_e32 v118, 8
	s_mov_b32 s1, 9
	s_inst_prefetch 0x1
	.p2align	6
.LBB52_169:                             ; =>This Inner Loop Header: Depth=1
	s_waitcnt lgkmcnt(0)
	v_cmp_gt_f64_e32 vcc_lo, 0, v[112:113]
	v_cmp_gt_f64_e64 s0, 0, v[110:111]
	ds_read2_b64 v[125:128], v119 offset1:1
	v_xor_b32_e32 v130, 0x80000000, v111
	v_xor_b32_e32 v132, 0x80000000, v113
	v_mov_b32_e32 v129, v110
	v_mov_b32_e32 v131, v112
	v_add_nc_u32_e32 v119, 16, v119
	s_waitcnt lgkmcnt(0)
	v_xor_b32_e32 v134, 0x80000000, v128
	v_cndmask_b32_e64 v130, v111, v130, s0
	v_cndmask_b32_e32 v132, v113, v132, vcc_lo
	v_cmp_gt_f64_e32 vcc_lo, 0, v[127:128]
	v_cmp_gt_f64_e64 s0, 0, v[125:126]
	v_mov_b32_e32 v133, v127
	v_add_f64 v[129:130], v[129:130], v[131:132]
	v_xor_b32_e32 v132, 0x80000000, v126
	v_mov_b32_e32 v131, v125
	v_cndmask_b32_e32 v134, v128, v134, vcc_lo
	v_cndmask_b32_e64 v132, v126, v132, s0
	v_add_f64 v[131:132], v[131:132], v[133:134]
	v_cmp_lt_f64_e32 vcc_lo, v[129:130], v[131:132]
	v_cndmask_b32_e32 v111, v111, v126, vcc_lo
	v_cndmask_b32_e32 v110, v110, v125, vcc_lo
	;; [unrolled: 1-line block ×4, first 2 shown]
	v_cndmask_b32_e64 v118, v118, s1, vcc_lo
	s_add_i32 s1, s1, 1
	s_cmp_lg_u32 s18, s1
	s_cbranch_scc1 .LBB52_169
.LBB52_170:
	s_inst_prefetch 0x2
	s_waitcnt lgkmcnt(0)
	v_cmp_eq_f64_e32 vcc_lo, 0, v[110:111]
	v_cmp_eq_f64_e64 s0, 0, v[112:113]
	s_and_b32 s0, vcc_lo, s0
	s_and_saveexec_b32 s1, s0
	s_xor_b32 s0, exec_lo, s1
; %bb.171:
	v_cmp_ne_u32_e32 vcc_lo, 0, v123
	v_cndmask_b32_e32 v123, 9, v123, vcc_lo
; %bb.172:
	s_andn2_saveexec_b32 s0, s0
	s_cbranch_execz .LBB52_178
; %bb.173:
	v_cmp_ngt_f64_e64 s1, |v[110:111]|, |v[112:113]|
	s_and_saveexec_b32 s2, s1
	s_xor_b32 s1, exec_lo, s2
	s_cbranch_execz .LBB52_175
; %bb.174:
	v_div_scale_f64 v[125:126], null, v[112:113], v[112:113], v[110:111]
	v_div_scale_f64 v[131:132], vcc_lo, v[110:111], v[112:113], v[110:111]
	v_rcp_f64_e32 v[127:128], v[125:126]
	v_fma_f64 v[129:130], -v[125:126], v[127:128], 1.0
	v_fma_f64 v[127:128], v[127:128], v[129:130], v[127:128]
	v_fma_f64 v[129:130], -v[125:126], v[127:128], 1.0
	v_fma_f64 v[127:128], v[127:128], v[129:130], v[127:128]
	v_mul_f64 v[129:130], v[131:132], v[127:128]
	v_fma_f64 v[125:126], -v[125:126], v[129:130], v[131:132]
	v_div_fmas_f64 v[125:126], v[125:126], v[127:128], v[129:130]
	v_div_fixup_f64 v[125:126], v[125:126], v[112:113], v[110:111]
	v_fma_f64 v[110:111], v[110:111], v[125:126], v[112:113]
	v_div_scale_f64 v[112:113], null, v[110:111], v[110:111], 1.0
	v_rcp_f64_e32 v[127:128], v[112:113]
	v_fma_f64 v[129:130], -v[112:113], v[127:128], 1.0
	v_fma_f64 v[127:128], v[127:128], v[129:130], v[127:128]
	v_fma_f64 v[129:130], -v[112:113], v[127:128], 1.0
	v_fma_f64 v[127:128], v[127:128], v[129:130], v[127:128]
	v_div_scale_f64 v[129:130], vcc_lo, 1.0, v[110:111], 1.0
	v_mul_f64 v[131:132], v[129:130], v[127:128]
	v_fma_f64 v[112:113], -v[112:113], v[131:132], v[129:130]
	v_div_fmas_f64 v[112:113], v[112:113], v[127:128], v[131:132]
	v_div_fixup_f64 v[112:113], v[112:113], v[110:111], 1.0
	v_mul_f64 v[110:111], v[125:126], v[112:113]
	v_xor_b32_e32 v113, 0x80000000, v113
.LBB52_175:
	s_andn2_saveexec_b32 s1, s1
	s_cbranch_execz .LBB52_177
; %bb.176:
	v_div_scale_f64 v[125:126], null, v[110:111], v[110:111], v[112:113]
	v_div_scale_f64 v[131:132], vcc_lo, v[112:113], v[110:111], v[112:113]
	v_rcp_f64_e32 v[127:128], v[125:126]
	v_fma_f64 v[129:130], -v[125:126], v[127:128], 1.0
	v_fma_f64 v[127:128], v[127:128], v[129:130], v[127:128]
	v_fma_f64 v[129:130], -v[125:126], v[127:128], 1.0
	v_fma_f64 v[127:128], v[127:128], v[129:130], v[127:128]
	v_mul_f64 v[129:130], v[131:132], v[127:128]
	v_fma_f64 v[125:126], -v[125:126], v[129:130], v[131:132]
	v_div_fmas_f64 v[125:126], v[125:126], v[127:128], v[129:130]
	v_div_fixup_f64 v[125:126], v[125:126], v[110:111], v[112:113]
	v_fma_f64 v[110:111], v[112:113], v[125:126], v[110:111]
	v_div_scale_f64 v[112:113], null, v[110:111], v[110:111], 1.0
	v_rcp_f64_e32 v[127:128], v[112:113]
	v_fma_f64 v[129:130], -v[112:113], v[127:128], 1.0
	v_fma_f64 v[127:128], v[127:128], v[129:130], v[127:128]
	v_fma_f64 v[129:130], -v[112:113], v[127:128], 1.0
	v_fma_f64 v[127:128], v[127:128], v[129:130], v[127:128]
	v_div_scale_f64 v[129:130], vcc_lo, 1.0, v[110:111], 1.0
	v_mul_f64 v[131:132], v[129:130], v[127:128]
	v_fma_f64 v[112:113], -v[112:113], v[131:132], v[129:130]
	v_div_fmas_f64 v[112:113], v[112:113], v[127:128], v[131:132]
	v_div_fixup_f64 v[110:111], v[112:113], v[110:111], 1.0
	v_mul_f64 v[112:113], v[125:126], -v[110:111]
.LBB52_177:
	s_or_b32 exec_lo, exec_lo, s1
.LBB52_178:
	s_or_b32 exec_lo, exec_lo, s0
	s_mov_b32 s0, exec_lo
	v_cmpx_ne_u32_e64 v124, v118
	s_xor_b32 s0, exec_lo, s0
	s_cbranch_execz .LBB52_184
; %bb.179:
	s_mov_b32 s1, exec_lo
	v_cmpx_eq_u32_e32 8, v124
	s_cbranch_execz .LBB52_183
; %bb.180:
	v_cmp_ne_u32_e32 vcc_lo, 8, v118
	s_xor_b32 s2, s16, -1
	s_and_b32 s3, s2, vcc_lo
	s_and_saveexec_b32 s2, s3
	s_cbranch_execz .LBB52_182
; %bb.181:
	v_ashrrev_i32_e32 v119, 31, v118
	v_lshlrev_b64 v[124:125], 2, v[118:119]
	v_add_co_u32 v124, vcc_lo, v116, v124
	v_add_co_ci_u32_e64 v125, null, v117, v125, vcc_lo
	s_clause 0x1
	global_load_dword v0, v[124:125], off
	global_load_dword v119, v[116:117], off offset:32
	s_waitcnt vmcnt(1)
	global_store_dword v[116:117], v0, off offset:32
	s_waitcnt vmcnt(0)
	global_store_dword v[124:125], v119, off
.LBB52_182:
	s_or_b32 exec_lo, exec_lo, s2
	v_mov_b32_e32 v124, v118
	v_mov_b32_e32 v0, v118
.LBB52_183:
	s_or_b32 exec_lo, exec_lo, s1
.LBB52_184:
	s_andn2_saveexec_b32 s0, s0
	s_cbranch_execz .LBB52_186
; %bb.185:
	v_mov_b32_e32 v124, 8
	ds_write2_b64 v1, v[70:71], v[72:73] offset0:18 offset1:19
	ds_write2_b64 v1, v[66:67], v[68:69] offset0:20 offset1:21
	;; [unrolled: 1-line block ×18, first 2 shown]
.LBB52_186:
	s_or_b32 exec_lo, exec_lo, s0
	s_mov_b32 s0, exec_lo
	s_waitcnt lgkmcnt(0)
	s_waitcnt_vscnt null, 0x0
	s_barrier
	buffer_gl0_inv
	v_cmpx_lt_i32_e32 8, v124
	s_cbranch_execz .LBB52_188
; %bb.187:
	v_mul_f64 v[118:119], v[112:113], v[76:77]
	v_mul_f64 v[76:77], v[110:111], v[76:77]
	v_fma_f64 v[118:119], v[110:111], v[74:75], -v[118:119]
	v_fma_f64 v[76:77], v[112:113], v[74:75], v[76:77]
	ds_read2_b64 v[110:113], v1 offset0:18 offset1:19
	s_waitcnt lgkmcnt(0)
	v_mul_f64 v[74:75], v[112:113], v[76:77]
	v_fma_f64 v[74:75], v[110:111], v[118:119], -v[74:75]
	v_mul_f64 v[110:111], v[110:111], v[76:77]
	v_add_f64 v[70:71], v[70:71], -v[74:75]
	v_fma_f64 v[110:111], v[112:113], v[118:119], v[110:111]
	v_add_f64 v[72:73], v[72:73], -v[110:111]
	ds_read2_b64 v[110:113], v1 offset0:20 offset1:21
	s_waitcnt lgkmcnt(0)
	v_mul_f64 v[74:75], v[112:113], v[76:77]
	v_fma_f64 v[74:75], v[110:111], v[118:119], -v[74:75]
	v_mul_f64 v[110:111], v[110:111], v[76:77]
	v_add_f64 v[66:67], v[66:67], -v[74:75]
	v_fma_f64 v[110:111], v[112:113], v[118:119], v[110:111]
	v_add_f64 v[68:69], v[68:69], -v[110:111]
	;; [unrolled: 8-line block ×17, first 2 shown]
	ds_read2_b64 v[110:113], v1 offset0:52 offset1:53
	s_waitcnt lgkmcnt(0)
	v_mul_f64 v[74:75], v[112:113], v[76:77]
	v_fma_f64 v[74:75], v[110:111], v[118:119], -v[74:75]
	v_mul_f64 v[110:111], v[110:111], v[76:77]
	v_add_f64 v[2:3], v[2:3], -v[74:75]
	v_fma_f64 v[110:111], v[112:113], v[118:119], v[110:111]
	v_mov_b32_e32 v74, v118
	v_mov_b32_e32 v75, v119
	v_add_f64 v[4:5], v[4:5], -v[110:111]
.LBB52_188:
	s_or_b32 exec_lo, exec_lo, s0
	v_lshl_add_u32 v110, v124, 4, v1
	s_barrier
	buffer_gl0_inv
	v_mov_b32_e32 v118, 9
	ds_write2_b64 v110, v[70:71], v[72:73] offset1:1
	s_waitcnt lgkmcnt(0)
	s_barrier
	buffer_gl0_inv
	ds_read2_b64 v[110:113], v1 offset0:18 offset1:19
	s_cmp_lt_i32 s18, 11
	s_cbranch_scc1 .LBB52_191
; %bb.189:
	v_add3_u32 v119, v120, 0, 0xa0
	v_mov_b32_e32 v118, 9
	s_mov_b32 s1, 10
	s_inst_prefetch 0x1
	.p2align	6
.LBB52_190:                             ; =>This Inner Loop Header: Depth=1
	s_waitcnt lgkmcnt(0)
	v_cmp_gt_f64_e32 vcc_lo, 0, v[112:113]
	v_cmp_gt_f64_e64 s0, 0, v[110:111]
	ds_read2_b64 v[125:128], v119 offset1:1
	v_xor_b32_e32 v130, 0x80000000, v111
	v_xor_b32_e32 v132, 0x80000000, v113
	v_mov_b32_e32 v129, v110
	v_mov_b32_e32 v131, v112
	v_add_nc_u32_e32 v119, 16, v119
	s_waitcnt lgkmcnt(0)
	v_xor_b32_e32 v134, 0x80000000, v128
	v_cndmask_b32_e64 v130, v111, v130, s0
	v_cndmask_b32_e32 v132, v113, v132, vcc_lo
	v_cmp_gt_f64_e32 vcc_lo, 0, v[127:128]
	v_cmp_gt_f64_e64 s0, 0, v[125:126]
	v_mov_b32_e32 v133, v127
	v_add_f64 v[129:130], v[129:130], v[131:132]
	v_xor_b32_e32 v132, 0x80000000, v126
	v_mov_b32_e32 v131, v125
	v_cndmask_b32_e32 v134, v128, v134, vcc_lo
	v_cndmask_b32_e64 v132, v126, v132, s0
	v_add_f64 v[131:132], v[131:132], v[133:134]
	v_cmp_lt_f64_e32 vcc_lo, v[129:130], v[131:132]
	v_cndmask_b32_e32 v111, v111, v126, vcc_lo
	v_cndmask_b32_e32 v110, v110, v125, vcc_lo
	;; [unrolled: 1-line block ×4, first 2 shown]
	v_cndmask_b32_e64 v118, v118, s1, vcc_lo
	s_add_i32 s1, s1, 1
	s_cmp_lg_u32 s18, s1
	s_cbranch_scc1 .LBB52_190
.LBB52_191:
	s_inst_prefetch 0x2
	s_waitcnt lgkmcnt(0)
	v_cmp_eq_f64_e32 vcc_lo, 0, v[110:111]
	v_cmp_eq_f64_e64 s0, 0, v[112:113]
	s_and_b32 s0, vcc_lo, s0
	s_and_saveexec_b32 s1, s0
	s_xor_b32 s0, exec_lo, s1
; %bb.192:
	v_cmp_ne_u32_e32 vcc_lo, 0, v123
	v_cndmask_b32_e32 v123, 10, v123, vcc_lo
; %bb.193:
	s_andn2_saveexec_b32 s0, s0
	s_cbranch_execz .LBB52_199
; %bb.194:
	v_cmp_ngt_f64_e64 s1, |v[110:111]|, |v[112:113]|
	s_and_saveexec_b32 s2, s1
	s_xor_b32 s1, exec_lo, s2
	s_cbranch_execz .LBB52_196
; %bb.195:
	v_div_scale_f64 v[125:126], null, v[112:113], v[112:113], v[110:111]
	v_div_scale_f64 v[131:132], vcc_lo, v[110:111], v[112:113], v[110:111]
	v_rcp_f64_e32 v[127:128], v[125:126]
	v_fma_f64 v[129:130], -v[125:126], v[127:128], 1.0
	v_fma_f64 v[127:128], v[127:128], v[129:130], v[127:128]
	v_fma_f64 v[129:130], -v[125:126], v[127:128], 1.0
	v_fma_f64 v[127:128], v[127:128], v[129:130], v[127:128]
	v_mul_f64 v[129:130], v[131:132], v[127:128]
	v_fma_f64 v[125:126], -v[125:126], v[129:130], v[131:132]
	v_div_fmas_f64 v[125:126], v[125:126], v[127:128], v[129:130]
	v_div_fixup_f64 v[125:126], v[125:126], v[112:113], v[110:111]
	v_fma_f64 v[110:111], v[110:111], v[125:126], v[112:113]
	v_div_scale_f64 v[112:113], null, v[110:111], v[110:111], 1.0
	v_rcp_f64_e32 v[127:128], v[112:113]
	v_fma_f64 v[129:130], -v[112:113], v[127:128], 1.0
	v_fma_f64 v[127:128], v[127:128], v[129:130], v[127:128]
	v_fma_f64 v[129:130], -v[112:113], v[127:128], 1.0
	v_fma_f64 v[127:128], v[127:128], v[129:130], v[127:128]
	v_div_scale_f64 v[129:130], vcc_lo, 1.0, v[110:111], 1.0
	v_mul_f64 v[131:132], v[129:130], v[127:128]
	v_fma_f64 v[112:113], -v[112:113], v[131:132], v[129:130]
	v_div_fmas_f64 v[112:113], v[112:113], v[127:128], v[131:132]
	v_div_fixup_f64 v[112:113], v[112:113], v[110:111], 1.0
	v_mul_f64 v[110:111], v[125:126], v[112:113]
	v_xor_b32_e32 v113, 0x80000000, v113
.LBB52_196:
	s_andn2_saveexec_b32 s1, s1
	s_cbranch_execz .LBB52_198
; %bb.197:
	v_div_scale_f64 v[125:126], null, v[110:111], v[110:111], v[112:113]
	v_div_scale_f64 v[131:132], vcc_lo, v[112:113], v[110:111], v[112:113]
	v_rcp_f64_e32 v[127:128], v[125:126]
	v_fma_f64 v[129:130], -v[125:126], v[127:128], 1.0
	v_fma_f64 v[127:128], v[127:128], v[129:130], v[127:128]
	v_fma_f64 v[129:130], -v[125:126], v[127:128], 1.0
	v_fma_f64 v[127:128], v[127:128], v[129:130], v[127:128]
	v_mul_f64 v[129:130], v[131:132], v[127:128]
	v_fma_f64 v[125:126], -v[125:126], v[129:130], v[131:132]
	v_div_fmas_f64 v[125:126], v[125:126], v[127:128], v[129:130]
	v_div_fixup_f64 v[125:126], v[125:126], v[110:111], v[112:113]
	v_fma_f64 v[110:111], v[112:113], v[125:126], v[110:111]
	v_div_scale_f64 v[112:113], null, v[110:111], v[110:111], 1.0
	v_rcp_f64_e32 v[127:128], v[112:113]
	v_fma_f64 v[129:130], -v[112:113], v[127:128], 1.0
	v_fma_f64 v[127:128], v[127:128], v[129:130], v[127:128]
	v_fma_f64 v[129:130], -v[112:113], v[127:128], 1.0
	v_fma_f64 v[127:128], v[127:128], v[129:130], v[127:128]
	v_div_scale_f64 v[129:130], vcc_lo, 1.0, v[110:111], 1.0
	v_mul_f64 v[131:132], v[129:130], v[127:128]
	v_fma_f64 v[112:113], -v[112:113], v[131:132], v[129:130]
	v_div_fmas_f64 v[112:113], v[112:113], v[127:128], v[131:132]
	v_div_fixup_f64 v[110:111], v[112:113], v[110:111], 1.0
	v_mul_f64 v[112:113], v[125:126], -v[110:111]
.LBB52_198:
	s_or_b32 exec_lo, exec_lo, s1
.LBB52_199:
	s_or_b32 exec_lo, exec_lo, s0
	s_mov_b32 s0, exec_lo
	v_cmpx_ne_u32_e64 v124, v118
	s_xor_b32 s0, exec_lo, s0
	s_cbranch_execz .LBB52_205
; %bb.200:
	s_mov_b32 s1, exec_lo
	v_cmpx_eq_u32_e32 9, v124
	s_cbranch_execz .LBB52_204
; %bb.201:
	v_cmp_ne_u32_e32 vcc_lo, 9, v118
	s_xor_b32 s2, s16, -1
	s_and_b32 s3, s2, vcc_lo
	s_and_saveexec_b32 s2, s3
	s_cbranch_execz .LBB52_203
; %bb.202:
	v_ashrrev_i32_e32 v119, 31, v118
	v_lshlrev_b64 v[124:125], 2, v[118:119]
	v_add_co_u32 v124, vcc_lo, v116, v124
	v_add_co_ci_u32_e64 v125, null, v117, v125, vcc_lo
	s_clause 0x1
	global_load_dword v0, v[124:125], off
	global_load_dword v119, v[116:117], off offset:36
	s_waitcnt vmcnt(1)
	global_store_dword v[116:117], v0, off offset:36
	s_waitcnt vmcnt(0)
	global_store_dword v[124:125], v119, off
.LBB52_203:
	s_or_b32 exec_lo, exec_lo, s2
	v_mov_b32_e32 v124, v118
	v_mov_b32_e32 v0, v118
.LBB52_204:
	s_or_b32 exec_lo, exec_lo, s1
.LBB52_205:
	s_andn2_saveexec_b32 s0, s0
	s_cbranch_execz .LBB52_207
; %bb.206:
	v_mov_b32_e32 v124, 9
	ds_write2_b64 v1, v[66:67], v[68:69] offset0:20 offset1:21
	ds_write2_b64 v1, v[62:63], v[64:65] offset0:22 offset1:23
	;; [unrolled: 1-line block ×17, first 2 shown]
.LBB52_207:
	s_or_b32 exec_lo, exec_lo, s0
	s_mov_b32 s0, exec_lo
	s_waitcnt lgkmcnt(0)
	s_waitcnt_vscnt null, 0x0
	s_barrier
	buffer_gl0_inv
	v_cmpx_lt_i32_e32 9, v124
	s_cbranch_execz .LBB52_209
; %bb.208:
	v_mul_f64 v[118:119], v[112:113], v[72:73]
	v_mul_f64 v[72:73], v[110:111], v[72:73]
	v_fma_f64 v[118:119], v[110:111], v[70:71], -v[118:119]
	v_fma_f64 v[72:73], v[112:113], v[70:71], v[72:73]
	ds_read2_b64 v[110:113], v1 offset0:20 offset1:21
	s_waitcnt lgkmcnt(0)
	v_mul_f64 v[70:71], v[112:113], v[72:73]
	v_fma_f64 v[70:71], v[110:111], v[118:119], -v[70:71]
	v_mul_f64 v[110:111], v[110:111], v[72:73]
	v_add_f64 v[66:67], v[66:67], -v[70:71]
	v_fma_f64 v[110:111], v[112:113], v[118:119], v[110:111]
	v_add_f64 v[68:69], v[68:69], -v[110:111]
	ds_read2_b64 v[110:113], v1 offset0:22 offset1:23
	s_waitcnt lgkmcnt(0)
	v_mul_f64 v[70:71], v[112:113], v[72:73]
	v_fma_f64 v[70:71], v[110:111], v[118:119], -v[70:71]
	v_mul_f64 v[110:111], v[110:111], v[72:73]
	v_add_f64 v[62:63], v[62:63], -v[70:71]
	v_fma_f64 v[110:111], v[112:113], v[118:119], v[110:111]
	v_add_f64 v[64:65], v[64:65], -v[110:111]
	;; [unrolled: 8-line block ×16, first 2 shown]
	ds_read2_b64 v[110:113], v1 offset0:52 offset1:53
	s_waitcnt lgkmcnt(0)
	v_mul_f64 v[70:71], v[112:113], v[72:73]
	v_fma_f64 v[70:71], v[110:111], v[118:119], -v[70:71]
	v_mul_f64 v[110:111], v[110:111], v[72:73]
	v_add_f64 v[2:3], v[2:3], -v[70:71]
	v_fma_f64 v[110:111], v[112:113], v[118:119], v[110:111]
	v_mov_b32_e32 v70, v118
	v_mov_b32_e32 v71, v119
	v_add_f64 v[4:5], v[4:5], -v[110:111]
.LBB52_209:
	s_or_b32 exec_lo, exec_lo, s0
	v_lshl_add_u32 v110, v124, 4, v1
	s_barrier
	buffer_gl0_inv
	v_mov_b32_e32 v118, 10
	ds_write2_b64 v110, v[66:67], v[68:69] offset1:1
	s_waitcnt lgkmcnt(0)
	s_barrier
	buffer_gl0_inv
	ds_read2_b64 v[110:113], v1 offset0:20 offset1:21
	s_cmp_lt_i32 s18, 12
	s_cbranch_scc1 .LBB52_212
; %bb.210:
	v_add3_u32 v119, v120, 0, 0xb0
	v_mov_b32_e32 v118, 10
	s_mov_b32 s1, 11
	s_inst_prefetch 0x1
	.p2align	6
.LBB52_211:                             ; =>This Inner Loop Header: Depth=1
	s_waitcnt lgkmcnt(0)
	v_cmp_gt_f64_e32 vcc_lo, 0, v[112:113]
	v_cmp_gt_f64_e64 s0, 0, v[110:111]
	ds_read2_b64 v[125:128], v119 offset1:1
	v_xor_b32_e32 v130, 0x80000000, v111
	v_xor_b32_e32 v132, 0x80000000, v113
	v_mov_b32_e32 v129, v110
	v_mov_b32_e32 v131, v112
	v_add_nc_u32_e32 v119, 16, v119
	s_waitcnt lgkmcnt(0)
	v_xor_b32_e32 v134, 0x80000000, v128
	v_cndmask_b32_e64 v130, v111, v130, s0
	v_cndmask_b32_e32 v132, v113, v132, vcc_lo
	v_cmp_gt_f64_e32 vcc_lo, 0, v[127:128]
	v_cmp_gt_f64_e64 s0, 0, v[125:126]
	v_mov_b32_e32 v133, v127
	v_add_f64 v[129:130], v[129:130], v[131:132]
	v_xor_b32_e32 v132, 0x80000000, v126
	v_mov_b32_e32 v131, v125
	v_cndmask_b32_e32 v134, v128, v134, vcc_lo
	v_cndmask_b32_e64 v132, v126, v132, s0
	v_add_f64 v[131:132], v[131:132], v[133:134]
	v_cmp_lt_f64_e32 vcc_lo, v[129:130], v[131:132]
	v_cndmask_b32_e32 v111, v111, v126, vcc_lo
	v_cndmask_b32_e32 v110, v110, v125, vcc_lo
	;; [unrolled: 1-line block ×4, first 2 shown]
	v_cndmask_b32_e64 v118, v118, s1, vcc_lo
	s_add_i32 s1, s1, 1
	s_cmp_lg_u32 s18, s1
	s_cbranch_scc1 .LBB52_211
.LBB52_212:
	s_inst_prefetch 0x2
	s_waitcnt lgkmcnt(0)
	v_cmp_eq_f64_e32 vcc_lo, 0, v[110:111]
	v_cmp_eq_f64_e64 s0, 0, v[112:113]
	s_and_b32 s0, vcc_lo, s0
	s_and_saveexec_b32 s1, s0
	s_xor_b32 s0, exec_lo, s1
; %bb.213:
	v_cmp_ne_u32_e32 vcc_lo, 0, v123
	v_cndmask_b32_e32 v123, 11, v123, vcc_lo
; %bb.214:
	s_andn2_saveexec_b32 s0, s0
	s_cbranch_execz .LBB52_220
; %bb.215:
	v_cmp_ngt_f64_e64 s1, |v[110:111]|, |v[112:113]|
	s_and_saveexec_b32 s2, s1
	s_xor_b32 s1, exec_lo, s2
	s_cbranch_execz .LBB52_217
; %bb.216:
	v_div_scale_f64 v[125:126], null, v[112:113], v[112:113], v[110:111]
	v_div_scale_f64 v[131:132], vcc_lo, v[110:111], v[112:113], v[110:111]
	v_rcp_f64_e32 v[127:128], v[125:126]
	v_fma_f64 v[129:130], -v[125:126], v[127:128], 1.0
	v_fma_f64 v[127:128], v[127:128], v[129:130], v[127:128]
	v_fma_f64 v[129:130], -v[125:126], v[127:128], 1.0
	v_fma_f64 v[127:128], v[127:128], v[129:130], v[127:128]
	v_mul_f64 v[129:130], v[131:132], v[127:128]
	v_fma_f64 v[125:126], -v[125:126], v[129:130], v[131:132]
	v_div_fmas_f64 v[125:126], v[125:126], v[127:128], v[129:130]
	v_div_fixup_f64 v[125:126], v[125:126], v[112:113], v[110:111]
	v_fma_f64 v[110:111], v[110:111], v[125:126], v[112:113]
	v_div_scale_f64 v[112:113], null, v[110:111], v[110:111], 1.0
	v_rcp_f64_e32 v[127:128], v[112:113]
	v_fma_f64 v[129:130], -v[112:113], v[127:128], 1.0
	v_fma_f64 v[127:128], v[127:128], v[129:130], v[127:128]
	v_fma_f64 v[129:130], -v[112:113], v[127:128], 1.0
	v_fma_f64 v[127:128], v[127:128], v[129:130], v[127:128]
	v_div_scale_f64 v[129:130], vcc_lo, 1.0, v[110:111], 1.0
	v_mul_f64 v[131:132], v[129:130], v[127:128]
	v_fma_f64 v[112:113], -v[112:113], v[131:132], v[129:130]
	v_div_fmas_f64 v[112:113], v[112:113], v[127:128], v[131:132]
	v_div_fixup_f64 v[112:113], v[112:113], v[110:111], 1.0
	v_mul_f64 v[110:111], v[125:126], v[112:113]
	v_xor_b32_e32 v113, 0x80000000, v113
.LBB52_217:
	s_andn2_saveexec_b32 s1, s1
	s_cbranch_execz .LBB52_219
; %bb.218:
	v_div_scale_f64 v[125:126], null, v[110:111], v[110:111], v[112:113]
	v_div_scale_f64 v[131:132], vcc_lo, v[112:113], v[110:111], v[112:113]
	v_rcp_f64_e32 v[127:128], v[125:126]
	v_fma_f64 v[129:130], -v[125:126], v[127:128], 1.0
	v_fma_f64 v[127:128], v[127:128], v[129:130], v[127:128]
	v_fma_f64 v[129:130], -v[125:126], v[127:128], 1.0
	v_fma_f64 v[127:128], v[127:128], v[129:130], v[127:128]
	v_mul_f64 v[129:130], v[131:132], v[127:128]
	v_fma_f64 v[125:126], -v[125:126], v[129:130], v[131:132]
	v_div_fmas_f64 v[125:126], v[125:126], v[127:128], v[129:130]
	v_div_fixup_f64 v[125:126], v[125:126], v[110:111], v[112:113]
	v_fma_f64 v[110:111], v[112:113], v[125:126], v[110:111]
	v_div_scale_f64 v[112:113], null, v[110:111], v[110:111], 1.0
	v_rcp_f64_e32 v[127:128], v[112:113]
	v_fma_f64 v[129:130], -v[112:113], v[127:128], 1.0
	v_fma_f64 v[127:128], v[127:128], v[129:130], v[127:128]
	v_fma_f64 v[129:130], -v[112:113], v[127:128], 1.0
	v_fma_f64 v[127:128], v[127:128], v[129:130], v[127:128]
	v_div_scale_f64 v[129:130], vcc_lo, 1.0, v[110:111], 1.0
	v_mul_f64 v[131:132], v[129:130], v[127:128]
	v_fma_f64 v[112:113], -v[112:113], v[131:132], v[129:130]
	v_div_fmas_f64 v[112:113], v[112:113], v[127:128], v[131:132]
	v_div_fixup_f64 v[110:111], v[112:113], v[110:111], 1.0
	v_mul_f64 v[112:113], v[125:126], -v[110:111]
.LBB52_219:
	s_or_b32 exec_lo, exec_lo, s1
.LBB52_220:
	s_or_b32 exec_lo, exec_lo, s0
	s_mov_b32 s0, exec_lo
	v_cmpx_ne_u32_e64 v124, v118
	s_xor_b32 s0, exec_lo, s0
	s_cbranch_execz .LBB52_226
; %bb.221:
	s_mov_b32 s1, exec_lo
	v_cmpx_eq_u32_e32 10, v124
	s_cbranch_execz .LBB52_225
; %bb.222:
	v_cmp_ne_u32_e32 vcc_lo, 10, v118
	s_xor_b32 s2, s16, -1
	s_and_b32 s3, s2, vcc_lo
	s_and_saveexec_b32 s2, s3
	s_cbranch_execz .LBB52_224
; %bb.223:
	v_ashrrev_i32_e32 v119, 31, v118
	v_lshlrev_b64 v[124:125], 2, v[118:119]
	v_add_co_u32 v124, vcc_lo, v116, v124
	v_add_co_ci_u32_e64 v125, null, v117, v125, vcc_lo
	s_clause 0x1
	global_load_dword v0, v[124:125], off
	global_load_dword v119, v[116:117], off offset:40
	s_waitcnt vmcnt(1)
	global_store_dword v[116:117], v0, off offset:40
	s_waitcnt vmcnt(0)
	global_store_dword v[124:125], v119, off
.LBB52_224:
	s_or_b32 exec_lo, exec_lo, s2
	v_mov_b32_e32 v124, v118
	v_mov_b32_e32 v0, v118
.LBB52_225:
	s_or_b32 exec_lo, exec_lo, s1
.LBB52_226:
	s_andn2_saveexec_b32 s0, s0
	s_cbranch_execz .LBB52_228
; %bb.227:
	v_mov_b32_e32 v124, 10
	ds_write2_b64 v1, v[62:63], v[64:65] offset0:22 offset1:23
	ds_write2_b64 v1, v[58:59], v[60:61] offset0:24 offset1:25
	;; [unrolled: 1-line block ×16, first 2 shown]
.LBB52_228:
	s_or_b32 exec_lo, exec_lo, s0
	s_mov_b32 s0, exec_lo
	s_waitcnt lgkmcnt(0)
	s_waitcnt_vscnt null, 0x0
	s_barrier
	buffer_gl0_inv
	v_cmpx_lt_i32_e32 10, v124
	s_cbranch_execz .LBB52_230
; %bb.229:
	v_mul_f64 v[118:119], v[110:111], v[68:69]
	v_mul_f64 v[68:69], v[112:113], v[68:69]
	v_fma_f64 v[118:119], v[112:113], v[66:67], v[118:119]
	v_fma_f64 v[66:67], v[110:111], v[66:67], -v[68:69]
	ds_read2_b64 v[110:113], v1 offset0:22 offset1:23
	s_waitcnt lgkmcnt(0)
	v_mul_f64 v[68:69], v[112:113], v[118:119]
	v_fma_f64 v[68:69], v[110:111], v[66:67], -v[68:69]
	v_mul_f64 v[110:111], v[110:111], v[118:119]
	v_add_f64 v[62:63], v[62:63], -v[68:69]
	v_fma_f64 v[110:111], v[112:113], v[66:67], v[110:111]
	v_add_f64 v[64:65], v[64:65], -v[110:111]
	ds_read2_b64 v[110:113], v1 offset0:24 offset1:25
	s_waitcnt lgkmcnt(0)
	v_mul_f64 v[68:69], v[112:113], v[118:119]
	v_fma_f64 v[68:69], v[110:111], v[66:67], -v[68:69]
	v_mul_f64 v[110:111], v[110:111], v[118:119]
	v_add_f64 v[58:59], v[58:59], -v[68:69]
	v_fma_f64 v[110:111], v[112:113], v[66:67], v[110:111]
	v_add_f64 v[60:61], v[60:61], -v[110:111]
	;; [unrolled: 8-line block ×15, first 2 shown]
	ds_read2_b64 v[110:113], v1 offset0:52 offset1:53
	s_waitcnt lgkmcnt(0)
	v_mul_f64 v[68:69], v[112:113], v[118:119]
	v_fma_f64 v[68:69], v[110:111], v[66:67], -v[68:69]
	v_mul_f64 v[110:111], v[110:111], v[118:119]
	v_add_f64 v[2:3], v[2:3], -v[68:69]
	v_fma_f64 v[110:111], v[112:113], v[66:67], v[110:111]
	v_mov_b32_e32 v68, v118
	v_mov_b32_e32 v69, v119
	v_add_f64 v[4:5], v[4:5], -v[110:111]
.LBB52_230:
	s_or_b32 exec_lo, exec_lo, s0
	v_lshl_add_u32 v110, v124, 4, v1
	s_barrier
	buffer_gl0_inv
	v_mov_b32_e32 v118, 11
	ds_write2_b64 v110, v[62:63], v[64:65] offset1:1
	s_waitcnt lgkmcnt(0)
	s_barrier
	buffer_gl0_inv
	ds_read2_b64 v[110:113], v1 offset0:22 offset1:23
	s_cmp_lt_i32 s18, 13
	s_cbranch_scc1 .LBB52_233
; %bb.231:
	v_add3_u32 v119, v120, 0, 0xc0
	v_mov_b32_e32 v118, 11
	s_mov_b32 s1, 12
	s_inst_prefetch 0x1
	.p2align	6
.LBB52_232:                             ; =>This Inner Loop Header: Depth=1
	s_waitcnt lgkmcnt(0)
	v_cmp_gt_f64_e32 vcc_lo, 0, v[112:113]
	v_cmp_gt_f64_e64 s0, 0, v[110:111]
	ds_read2_b64 v[125:128], v119 offset1:1
	v_xor_b32_e32 v130, 0x80000000, v111
	v_xor_b32_e32 v132, 0x80000000, v113
	v_mov_b32_e32 v129, v110
	v_mov_b32_e32 v131, v112
	v_add_nc_u32_e32 v119, 16, v119
	s_waitcnt lgkmcnt(0)
	v_xor_b32_e32 v134, 0x80000000, v128
	v_cndmask_b32_e64 v130, v111, v130, s0
	v_cndmask_b32_e32 v132, v113, v132, vcc_lo
	v_cmp_gt_f64_e32 vcc_lo, 0, v[127:128]
	v_cmp_gt_f64_e64 s0, 0, v[125:126]
	v_mov_b32_e32 v133, v127
	v_add_f64 v[129:130], v[129:130], v[131:132]
	v_xor_b32_e32 v132, 0x80000000, v126
	v_mov_b32_e32 v131, v125
	v_cndmask_b32_e32 v134, v128, v134, vcc_lo
	v_cndmask_b32_e64 v132, v126, v132, s0
	v_add_f64 v[131:132], v[131:132], v[133:134]
	v_cmp_lt_f64_e32 vcc_lo, v[129:130], v[131:132]
	v_cndmask_b32_e32 v111, v111, v126, vcc_lo
	v_cndmask_b32_e32 v110, v110, v125, vcc_lo
	;; [unrolled: 1-line block ×4, first 2 shown]
	v_cndmask_b32_e64 v118, v118, s1, vcc_lo
	s_add_i32 s1, s1, 1
	s_cmp_lg_u32 s18, s1
	s_cbranch_scc1 .LBB52_232
.LBB52_233:
	s_inst_prefetch 0x2
	s_waitcnt lgkmcnt(0)
	v_cmp_eq_f64_e32 vcc_lo, 0, v[110:111]
	v_cmp_eq_f64_e64 s0, 0, v[112:113]
	s_and_b32 s0, vcc_lo, s0
	s_and_saveexec_b32 s1, s0
	s_xor_b32 s0, exec_lo, s1
; %bb.234:
	v_cmp_ne_u32_e32 vcc_lo, 0, v123
	v_cndmask_b32_e32 v123, 12, v123, vcc_lo
; %bb.235:
	s_andn2_saveexec_b32 s0, s0
	s_cbranch_execz .LBB52_241
; %bb.236:
	v_cmp_ngt_f64_e64 s1, |v[110:111]|, |v[112:113]|
	s_and_saveexec_b32 s2, s1
	s_xor_b32 s1, exec_lo, s2
	s_cbranch_execz .LBB52_238
; %bb.237:
	v_div_scale_f64 v[125:126], null, v[112:113], v[112:113], v[110:111]
	v_div_scale_f64 v[131:132], vcc_lo, v[110:111], v[112:113], v[110:111]
	v_rcp_f64_e32 v[127:128], v[125:126]
	v_fma_f64 v[129:130], -v[125:126], v[127:128], 1.0
	v_fma_f64 v[127:128], v[127:128], v[129:130], v[127:128]
	v_fma_f64 v[129:130], -v[125:126], v[127:128], 1.0
	v_fma_f64 v[127:128], v[127:128], v[129:130], v[127:128]
	v_mul_f64 v[129:130], v[131:132], v[127:128]
	v_fma_f64 v[125:126], -v[125:126], v[129:130], v[131:132]
	v_div_fmas_f64 v[125:126], v[125:126], v[127:128], v[129:130]
	v_div_fixup_f64 v[125:126], v[125:126], v[112:113], v[110:111]
	v_fma_f64 v[110:111], v[110:111], v[125:126], v[112:113]
	v_div_scale_f64 v[112:113], null, v[110:111], v[110:111], 1.0
	v_rcp_f64_e32 v[127:128], v[112:113]
	v_fma_f64 v[129:130], -v[112:113], v[127:128], 1.0
	v_fma_f64 v[127:128], v[127:128], v[129:130], v[127:128]
	v_fma_f64 v[129:130], -v[112:113], v[127:128], 1.0
	v_fma_f64 v[127:128], v[127:128], v[129:130], v[127:128]
	v_div_scale_f64 v[129:130], vcc_lo, 1.0, v[110:111], 1.0
	v_mul_f64 v[131:132], v[129:130], v[127:128]
	v_fma_f64 v[112:113], -v[112:113], v[131:132], v[129:130]
	v_div_fmas_f64 v[112:113], v[112:113], v[127:128], v[131:132]
	v_div_fixup_f64 v[112:113], v[112:113], v[110:111], 1.0
	v_mul_f64 v[110:111], v[125:126], v[112:113]
	v_xor_b32_e32 v113, 0x80000000, v113
.LBB52_238:
	s_andn2_saveexec_b32 s1, s1
	s_cbranch_execz .LBB52_240
; %bb.239:
	v_div_scale_f64 v[125:126], null, v[110:111], v[110:111], v[112:113]
	v_div_scale_f64 v[131:132], vcc_lo, v[112:113], v[110:111], v[112:113]
	v_rcp_f64_e32 v[127:128], v[125:126]
	v_fma_f64 v[129:130], -v[125:126], v[127:128], 1.0
	v_fma_f64 v[127:128], v[127:128], v[129:130], v[127:128]
	v_fma_f64 v[129:130], -v[125:126], v[127:128], 1.0
	v_fma_f64 v[127:128], v[127:128], v[129:130], v[127:128]
	v_mul_f64 v[129:130], v[131:132], v[127:128]
	v_fma_f64 v[125:126], -v[125:126], v[129:130], v[131:132]
	v_div_fmas_f64 v[125:126], v[125:126], v[127:128], v[129:130]
	v_div_fixup_f64 v[125:126], v[125:126], v[110:111], v[112:113]
	v_fma_f64 v[110:111], v[112:113], v[125:126], v[110:111]
	v_div_scale_f64 v[112:113], null, v[110:111], v[110:111], 1.0
	v_rcp_f64_e32 v[127:128], v[112:113]
	v_fma_f64 v[129:130], -v[112:113], v[127:128], 1.0
	v_fma_f64 v[127:128], v[127:128], v[129:130], v[127:128]
	v_fma_f64 v[129:130], -v[112:113], v[127:128], 1.0
	v_fma_f64 v[127:128], v[127:128], v[129:130], v[127:128]
	v_div_scale_f64 v[129:130], vcc_lo, 1.0, v[110:111], 1.0
	v_mul_f64 v[131:132], v[129:130], v[127:128]
	v_fma_f64 v[112:113], -v[112:113], v[131:132], v[129:130]
	v_div_fmas_f64 v[112:113], v[112:113], v[127:128], v[131:132]
	v_div_fixup_f64 v[110:111], v[112:113], v[110:111], 1.0
	v_mul_f64 v[112:113], v[125:126], -v[110:111]
.LBB52_240:
	s_or_b32 exec_lo, exec_lo, s1
.LBB52_241:
	s_or_b32 exec_lo, exec_lo, s0
	s_mov_b32 s0, exec_lo
	v_cmpx_ne_u32_e64 v124, v118
	s_xor_b32 s0, exec_lo, s0
	s_cbranch_execz .LBB52_247
; %bb.242:
	s_mov_b32 s1, exec_lo
	v_cmpx_eq_u32_e32 11, v124
	s_cbranch_execz .LBB52_246
; %bb.243:
	v_cmp_ne_u32_e32 vcc_lo, 11, v118
	s_xor_b32 s2, s16, -1
	s_and_b32 s3, s2, vcc_lo
	s_and_saveexec_b32 s2, s3
	s_cbranch_execz .LBB52_245
; %bb.244:
	v_ashrrev_i32_e32 v119, 31, v118
	v_lshlrev_b64 v[124:125], 2, v[118:119]
	v_add_co_u32 v124, vcc_lo, v116, v124
	v_add_co_ci_u32_e64 v125, null, v117, v125, vcc_lo
	s_clause 0x1
	global_load_dword v0, v[124:125], off
	global_load_dword v119, v[116:117], off offset:44
	s_waitcnt vmcnt(1)
	global_store_dword v[116:117], v0, off offset:44
	s_waitcnt vmcnt(0)
	global_store_dword v[124:125], v119, off
.LBB52_245:
	s_or_b32 exec_lo, exec_lo, s2
	v_mov_b32_e32 v124, v118
	v_mov_b32_e32 v0, v118
.LBB52_246:
	s_or_b32 exec_lo, exec_lo, s1
.LBB52_247:
	s_andn2_saveexec_b32 s0, s0
	s_cbranch_execz .LBB52_249
; %bb.248:
	v_mov_b32_e32 v124, 11
	ds_write2_b64 v1, v[58:59], v[60:61] offset0:24 offset1:25
	ds_write2_b64 v1, v[54:55], v[56:57] offset0:26 offset1:27
	;; [unrolled: 1-line block ×15, first 2 shown]
.LBB52_249:
	s_or_b32 exec_lo, exec_lo, s0
	s_mov_b32 s0, exec_lo
	s_waitcnt lgkmcnt(0)
	s_waitcnt_vscnt null, 0x0
	s_barrier
	buffer_gl0_inv
	v_cmpx_lt_i32_e32 11, v124
	s_cbranch_execz .LBB52_251
; %bb.250:
	v_mul_f64 v[118:119], v[110:111], v[64:65]
	v_mul_f64 v[64:65], v[112:113], v[64:65]
	v_fma_f64 v[118:119], v[112:113], v[62:63], v[118:119]
	v_fma_f64 v[62:63], v[110:111], v[62:63], -v[64:65]
	ds_read2_b64 v[110:113], v1 offset0:24 offset1:25
	s_waitcnt lgkmcnt(0)
	v_mul_f64 v[64:65], v[112:113], v[118:119]
	v_fma_f64 v[64:65], v[110:111], v[62:63], -v[64:65]
	v_mul_f64 v[110:111], v[110:111], v[118:119]
	v_add_f64 v[58:59], v[58:59], -v[64:65]
	v_fma_f64 v[110:111], v[112:113], v[62:63], v[110:111]
	v_add_f64 v[60:61], v[60:61], -v[110:111]
	ds_read2_b64 v[110:113], v1 offset0:26 offset1:27
	s_waitcnt lgkmcnt(0)
	v_mul_f64 v[64:65], v[112:113], v[118:119]
	v_fma_f64 v[64:65], v[110:111], v[62:63], -v[64:65]
	v_mul_f64 v[110:111], v[110:111], v[118:119]
	v_add_f64 v[54:55], v[54:55], -v[64:65]
	v_fma_f64 v[110:111], v[112:113], v[62:63], v[110:111]
	v_add_f64 v[56:57], v[56:57], -v[110:111]
	;; [unrolled: 8-line block ×14, first 2 shown]
	ds_read2_b64 v[110:113], v1 offset0:52 offset1:53
	s_waitcnt lgkmcnt(0)
	v_mul_f64 v[64:65], v[112:113], v[118:119]
	v_fma_f64 v[64:65], v[110:111], v[62:63], -v[64:65]
	v_mul_f64 v[110:111], v[110:111], v[118:119]
	v_add_f64 v[2:3], v[2:3], -v[64:65]
	v_fma_f64 v[110:111], v[112:113], v[62:63], v[110:111]
	v_mov_b32_e32 v64, v118
	v_mov_b32_e32 v65, v119
	v_add_f64 v[4:5], v[4:5], -v[110:111]
.LBB52_251:
	s_or_b32 exec_lo, exec_lo, s0
	v_lshl_add_u32 v110, v124, 4, v1
	s_barrier
	buffer_gl0_inv
	v_mov_b32_e32 v118, 12
	ds_write2_b64 v110, v[58:59], v[60:61] offset1:1
	s_waitcnt lgkmcnt(0)
	s_barrier
	buffer_gl0_inv
	ds_read2_b64 v[110:113], v1 offset0:24 offset1:25
	s_cmp_lt_i32 s18, 14
	s_cbranch_scc1 .LBB52_254
; %bb.252:
	v_add3_u32 v119, v120, 0, 0xd0
	v_mov_b32_e32 v118, 12
	s_mov_b32 s1, 13
	s_inst_prefetch 0x1
	.p2align	6
.LBB52_253:                             ; =>This Inner Loop Header: Depth=1
	s_waitcnt lgkmcnt(0)
	v_cmp_gt_f64_e32 vcc_lo, 0, v[112:113]
	v_cmp_gt_f64_e64 s0, 0, v[110:111]
	ds_read2_b64 v[125:128], v119 offset1:1
	v_xor_b32_e32 v130, 0x80000000, v111
	v_xor_b32_e32 v132, 0x80000000, v113
	v_mov_b32_e32 v129, v110
	v_mov_b32_e32 v131, v112
	v_add_nc_u32_e32 v119, 16, v119
	s_waitcnt lgkmcnt(0)
	v_xor_b32_e32 v134, 0x80000000, v128
	v_cndmask_b32_e64 v130, v111, v130, s0
	v_cndmask_b32_e32 v132, v113, v132, vcc_lo
	v_cmp_gt_f64_e32 vcc_lo, 0, v[127:128]
	v_cmp_gt_f64_e64 s0, 0, v[125:126]
	v_mov_b32_e32 v133, v127
	v_add_f64 v[129:130], v[129:130], v[131:132]
	v_xor_b32_e32 v132, 0x80000000, v126
	v_mov_b32_e32 v131, v125
	v_cndmask_b32_e32 v134, v128, v134, vcc_lo
	v_cndmask_b32_e64 v132, v126, v132, s0
	v_add_f64 v[131:132], v[131:132], v[133:134]
	v_cmp_lt_f64_e32 vcc_lo, v[129:130], v[131:132]
	v_cndmask_b32_e32 v111, v111, v126, vcc_lo
	v_cndmask_b32_e32 v110, v110, v125, vcc_lo
	;; [unrolled: 1-line block ×4, first 2 shown]
	v_cndmask_b32_e64 v118, v118, s1, vcc_lo
	s_add_i32 s1, s1, 1
	s_cmp_lg_u32 s18, s1
	s_cbranch_scc1 .LBB52_253
.LBB52_254:
	s_inst_prefetch 0x2
	s_waitcnt lgkmcnt(0)
	v_cmp_eq_f64_e32 vcc_lo, 0, v[110:111]
	v_cmp_eq_f64_e64 s0, 0, v[112:113]
	s_and_b32 s0, vcc_lo, s0
	s_and_saveexec_b32 s1, s0
	s_xor_b32 s0, exec_lo, s1
; %bb.255:
	v_cmp_ne_u32_e32 vcc_lo, 0, v123
	v_cndmask_b32_e32 v123, 13, v123, vcc_lo
; %bb.256:
	s_andn2_saveexec_b32 s0, s0
	s_cbranch_execz .LBB52_262
; %bb.257:
	v_cmp_ngt_f64_e64 s1, |v[110:111]|, |v[112:113]|
	s_and_saveexec_b32 s2, s1
	s_xor_b32 s1, exec_lo, s2
	s_cbranch_execz .LBB52_259
; %bb.258:
	v_div_scale_f64 v[125:126], null, v[112:113], v[112:113], v[110:111]
	v_div_scale_f64 v[131:132], vcc_lo, v[110:111], v[112:113], v[110:111]
	v_rcp_f64_e32 v[127:128], v[125:126]
	v_fma_f64 v[129:130], -v[125:126], v[127:128], 1.0
	v_fma_f64 v[127:128], v[127:128], v[129:130], v[127:128]
	v_fma_f64 v[129:130], -v[125:126], v[127:128], 1.0
	v_fma_f64 v[127:128], v[127:128], v[129:130], v[127:128]
	v_mul_f64 v[129:130], v[131:132], v[127:128]
	v_fma_f64 v[125:126], -v[125:126], v[129:130], v[131:132]
	v_div_fmas_f64 v[125:126], v[125:126], v[127:128], v[129:130]
	v_div_fixup_f64 v[125:126], v[125:126], v[112:113], v[110:111]
	v_fma_f64 v[110:111], v[110:111], v[125:126], v[112:113]
	v_div_scale_f64 v[112:113], null, v[110:111], v[110:111], 1.0
	v_rcp_f64_e32 v[127:128], v[112:113]
	v_fma_f64 v[129:130], -v[112:113], v[127:128], 1.0
	v_fma_f64 v[127:128], v[127:128], v[129:130], v[127:128]
	v_fma_f64 v[129:130], -v[112:113], v[127:128], 1.0
	v_fma_f64 v[127:128], v[127:128], v[129:130], v[127:128]
	v_div_scale_f64 v[129:130], vcc_lo, 1.0, v[110:111], 1.0
	v_mul_f64 v[131:132], v[129:130], v[127:128]
	v_fma_f64 v[112:113], -v[112:113], v[131:132], v[129:130]
	v_div_fmas_f64 v[112:113], v[112:113], v[127:128], v[131:132]
	v_div_fixup_f64 v[112:113], v[112:113], v[110:111], 1.0
	v_mul_f64 v[110:111], v[125:126], v[112:113]
	v_xor_b32_e32 v113, 0x80000000, v113
.LBB52_259:
	s_andn2_saveexec_b32 s1, s1
	s_cbranch_execz .LBB52_261
; %bb.260:
	v_div_scale_f64 v[125:126], null, v[110:111], v[110:111], v[112:113]
	v_div_scale_f64 v[131:132], vcc_lo, v[112:113], v[110:111], v[112:113]
	v_rcp_f64_e32 v[127:128], v[125:126]
	v_fma_f64 v[129:130], -v[125:126], v[127:128], 1.0
	v_fma_f64 v[127:128], v[127:128], v[129:130], v[127:128]
	v_fma_f64 v[129:130], -v[125:126], v[127:128], 1.0
	v_fma_f64 v[127:128], v[127:128], v[129:130], v[127:128]
	v_mul_f64 v[129:130], v[131:132], v[127:128]
	v_fma_f64 v[125:126], -v[125:126], v[129:130], v[131:132]
	v_div_fmas_f64 v[125:126], v[125:126], v[127:128], v[129:130]
	v_div_fixup_f64 v[125:126], v[125:126], v[110:111], v[112:113]
	v_fma_f64 v[110:111], v[112:113], v[125:126], v[110:111]
	v_div_scale_f64 v[112:113], null, v[110:111], v[110:111], 1.0
	v_rcp_f64_e32 v[127:128], v[112:113]
	v_fma_f64 v[129:130], -v[112:113], v[127:128], 1.0
	v_fma_f64 v[127:128], v[127:128], v[129:130], v[127:128]
	v_fma_f64 v[129:130], -v[112:113], v[127:128], 1.0
	v_fma_f64 v[127:128], v[127:128], v[129:130], v[127:128]
	v_div_scale_f64 v[129:130], vcc_lo, 1.0, v[110:111], 1.0
	v_mul_f64 v[131:132], v[129:130], v[127:128]
	v_fma_f64 v[112:113], -v[112:113], v[131:132], v[129:130]
	v_div_fmas_f64 v[112:113], v[112:113], v[127:128], v[131:132]
	v_div_fixup_f64 v[110:111], v[112:113], v[110:111], 1.0
	v_mul_f64 v[112:113], v[125:126], -v[110:111]
.LBB52_261:
	s_or_b32 exec_lo, exec_lo, s1
.LBB52_262:
	s_or_b32 exec_lo, exec_lo, s0
	s_mov_b32 s0, exec_lo
	v_cmpx_ne_u32_e64 v124, v118
	s_xor_b32 s0, exec_lo, s0
	s_cbranch_execz .LBB52_268
; %bb.263:
	s_mov_b32 s1, exec_lo
	v_cmpx_eq_u32_e32 12, v124
	s_cbranch_execz .LBB52_267
; %bb.264:
	v_cmp_ne_u32_e32 vcc_lo, 12, v118
	s_xor_b32 s2, s16, -1
	s_and_b32 s3, s2, vcc_lo
	s_and_saveexec_b32 s2, s3
	s_cbranch_execz .LBB52_266
; %bb.265:
	v_ashrrev_i32_e32 v119, 31, v118
	v_lshlrev_b64 v[124:125], 2, v[118:119]
	v_add_co_u32 v124, vcc_lo, v116, v124
	v_add_co_ci_u32_e64 v125, null, v117, v125, vcc_lo
	s_clause 0x1
	global_load_dword v0, v[124:125], off
	global_load_dword v119, v[116:117], off offset:48
	s_waitcnt vmcnt(1)
	global_store_dword v[116:117], v0, off offset:48
	s_waitcnt vmcnt(0)
	global_store_dword v[124:125], v119, off
.LBB52_266:
	s_or_b32 exec_lo, exec_lo, s2
	v_mov_b32_e32 v124, v118
	v_mov_b32_e32 v0, v118
.LBB52_267:
	s_or_b32 exec_lo, exec_lo, s1
.LBB52_268:
	s_andn2_saveexec_b32 s0, s0
	s_cbranch_execz .LBB52_270
; %bb.269:
	v_mov_b32_e32 v124, 12
	ds_write2_b64 v1, v[54:55], v[56:57] offset0:26 offset1:27
	ds_write2_b64 v1, v[50:51], v[52:53] offset0:28 offset1:29
	;; [unrolled: 1-line block ×14, first 2 shown]
.LBB52_270:
	s_or_b32 exec_lo, exec_lo, s0
	s_mov_b32 s0, exec_lo
	s_waitcnt lgkmcnt(0)
	s_waitcnt_vscnt null, 0x0
	s_barrier
	buffer_gl0_inv
	v_cmpx_lt_i32_e32 12, v124
	s_cbranch_execz .LBB52_272
; %bb.271:
	v_mul_f64 v[118:119], v[110:111], v[60:61]
	v_mul_f64 v[60:61], v[112:113], v[60:61]
	v_fma_f64 v[118:119], v[112:113], v[58:59], v[118:119]
	v_fma_f64 v[58:59], v[110:111], v[58:59], -v[60:61]
	ds_read2_b64 v[110:113], v1 offset0:26 offset1:27
	s_waitcnt lgkmcnt(0)
	v_mul_f64 v[60:61], v[112:113], v[118:119]
	v_fma_f64 v[60:61], v[110:111], v[58:59], -v[60:61]
	v_mul_f64 v[110:111], v[110:111], v[118:119]
	v_add_f64 v[54:55], v[54:55], -v[60:61]
	v_fma_f64 v[110:111], v[112:113], v[58:59], v[110:111]
	v_add_f64 v[56:57], v[56:57], -v[110:111]
	ds_read2_b64 v[110:113], v1 offset0:28 offset1:29
	s_waitcnt lgkmcnt(0)
	v_mul_f64 v[60:61], v[112:113], v[118:119]
	v_fma_f64 v[60:61], v[110:111], v[58:59], -v[60:61]
	v_mul_f64 v[110:111], v[110:111], v[118:119]
	v_add_f64 v[50:51], v[50:51], -v[60:61]
	v_fma_f64 v[110:111], v[112:113], v[58:59], v[110:111]
	v_add_f64 v[52:53], v[52:53], -v[110:111]
	;; [unrolled: 8-line block ×13, first 2 shown]
	ds_read2_b64 v[110:113], v1 offset0:52 offset1:53
	s_waitcnt lgkmcnt(0)
	v_mul_f64 v[60:61], v[112:113], v[118:119]
	v_fma_f64 v[60:61], v[110:111], v[58:59], -v[60:61]
	v_mul_f64 v[110:111], v[110:111], v[118:119]
	v_add_f64 v[2:3], v[2:3], -v[60:61]
	v_fma_f64 v[110:111], v[112:113], v[58:59], v[110:111]
	v_mov_b32_e32 v60, v118
	v_mov_b32_e32 v61, v119
	v_add_f64 v[4:5], v[4:5], -v[110:111]
.LBB52_272:
	s_or_b32 exec_lo, exec_lo, s0
	v_lshl_add_u32 v110, v124, 4, v1
	s_barrier
	buffer_gl0_inv
	v_mov_b32_e32 v118, 13
	ds_write2_b64 v110, v[54:55], v[56:57] offset1:1
	s_waitcnt lgkmcnt(0)
	s_barrier
	buffer_gl0_inv
	ds_read2_b64 v[110:113], v1 offset0:26 offset1:27
	s_cmp_lt_i32 s18, 15
	s_cbranch_scc1 .LBB52_275
; %bb.273:
	v_add3_u32 v119, v120, 0, 0xe0
	v_mov_b32_e32 v118, 13
	s_mov_b32 s1, 14
	s_inst_prefetch 0x1
	.p2align	6
.LBB52_274:                             ; =>This Inner Loop Header: Depth=1
	s_waitcnt lgkmcnt(0)
	v_cmp_gt_f64_e32 vcc_lo, 0, v[112:113]
	v_cmp_gt_f64_e64 s0, 0, v[110:111]
	ds_read2_b64 v[125:128], v119 offset1:1
	v_xor_b32_e32 v130, 0x80000000, v111
	v_xor_b32_e32 v132, 0x80000000, v113
	v_mov_b32_e32 v129, v110
	v_mov_b32_e32 v131, v112
	v_add_nc_u32_e32 v119, 16, v119
	s_waitcnt lgkmcnt(0)
	v_xor_b32_e32 v134, 0x80000000, v128
	v_cndmask_b32_e64 v130, v111, v130, s0
	v_cndmask_b32_e32 v132, v113, v132, vcc_lo
	v_cmp_gt_f64_e32 vcc_lo, 0, v[127:128]
	v_cmp_gt_f64_e64 s0, 0, v[125:126]
	v_mov_b32_e32 v133, v127
	v_add_f64 v[129:130], v[129:130], v[131:132]
	v_xor_b32_e32 v132, 0x80000000, v126
	v_mov_b32_e32 v131, v125
	v_cndmask_b32_e32 v134, v128, v134, vcc_lo
	v_cndmask_b32_e64 v132, v126, v132, s0
	v_add_f64 v[131:132], v[131:132], v[133:134]
	v_cmp_lt_f64_e32 vcc_lo, v[129:130], v[131:132]
	v_cndmask_b32_e32 v111, v111, v126, vcc_lo
	v_cndmask_b32_e32 v110, v110, v125, vcc_lo
	;; [unrolled: 1-line block ×4, first 2 shown]
	v_cndmask_b32_e64 v118, v118, s1, vcc_lo
	s_add_i32 s1, s1, 1
	s_cmp_lg_u32 s18, s1
	s_cbranch_scc1 .LBB52_274
.LBB52_275:
	s_inst_prefetch 0x2
	s_waitcnt lgkmcnt(0)
	v_cmp_eq_f64_e32 vcc_lo, 0, v[110:111]
	v_cmp_eq_f64_e64 s0, 0, v[112:113]
	s_and_b32 s0, vcc_lo, s0
	s_and_saveexec_b32 s1, s0
	s_xor_b32 s0, exec_lo, s1
; %bb.276:
	v_cmp_ne_u32_e32 vcc_lo, 0, v123
	v_cndmask_b32_e32 v123, 14, v123, vcc_lo
; %bb.277:
	s_andn2_saveexec_b32 s0, s0
	s_cbranch_execz .LBB52_283
; %bb.278:
	v_cmp_ngt_f64_e64 s1, |v[110:111]|, |v[112:113]|
	s_and_saveexec_b32 s2, s1
	s_xor_b32 s1, exec_lo, s2
	s_cbranch_execz .LBB52_280
; %bb.279:
	v_div_scale_f64 v[125:126], null, v[112:113], v[112:113], v[110:111]
	v_div_scale_f64 v[131:132], vcc_lo, v[110:111], v[112:113], v[110:111]
	v_rcp_f64_e32 v[127:128], v[125:126]
	v_fma_f64 v[129:130], -v[125:126], v[127:128], 1.0
	v_fma_f64 v[127:128], v[127:128], v[129:130], v[127:128]
	v_fma_f64 v[129:130], -v[125:126], v[127:128], 1.0
	v_fma_f64 v[127:128], v[127:128], v[129:130], v[127:128]
	v_mul_f64 v[129:130], v[131:132], v[127:128]
	v_fma_f64 v[125:126], -v[125:126], v[129:130], v[131:132]
	v_div_fmas_f64 v[125:126], v[125:126], v[127:128], v[129:130]
	v_div_fixup_f64 v[125:126], v[125:126], v[112:113], v[110:111]
	v_fma_f64 v[110:111], v[110:111], v[125:126], v[112:113]
	v_div_scale_f64 v[112:113], null, v[110:111], v[110:111], 1.0
	v_rcp_f64_e32 v[127:128], v[112:113]
	v_fma_f64 v[129:130], -v[112:113], v[127:128], 1.0
	v_fma_f64 v[127:128], v[127:128], v[129:130], v[127:128]
	v_fma_f64 v[129:130], -v[112:113], v[127:128], 1.0
	v_fma_f64 v[127:128], v[127:128], v[129:130], v[127:128]
	v_div_scale_f64 v[129:130], vcc_lo, 1.0, v[110:111], 1.0
	v_mul_f64 v[131:132], v[129:130], v[127:128]
	v_fma_f64 v[112:113], -v[112:113], v[131:132], v[129:130]
	v_div_fmas_f64 v[112:113], v[112:113], v[127:128], v[131:132]
	v_div_fixup_f64 v[112:113], v[112:113], v[110:111], 1.0
	v_mul_f64 v[110:111], v[125:126], v[112:113]
	v_xor_b32_e32 v113, 0x80000000, v113
.LBB52_280:
	s_andn2_saveexec_b32 s1, s1
	s_cbranch_execz .LBB52_282
; %bb.281:
	v_div_scale_f64 v[125:126], null, v[110:111], v[110:111], v[112:113]
	v_div_scale_f64 v[131:132], vcc_lo, v[112:113], v[110:111], v[112:113]
	v_rcp_f64_e32 v[127:128], v[125:126]
	v_fma_f64 v[129:130], -v[125:126], v[127:128], 1.0
	v_fma_f64 v[127:128], v[127:128], v[129:130], v[127:128]
	v_fma_f64 v[129:130], -v[125:126], v[127:128], 1.0
	v_fma_f64 v[127:128], v[127:128], v[129:130], v[127:128]
	v_mul_f64 v[129:130], v[131:132], v[127:128]
	v_fma_f64 v[125:126], -v[125:126], v[129:130], v[131:132]
	v_div_fmas_f64 v[125:126], v[125:126], v[127:128], v[129:130]
	v_div_fixup_f64 v[125:126], v[125:126], v[110:111], v[112:113]
	v_fma_f64 v[110:111], v[112:113], v[125:126], v[110:111]
	v_div_scale_f64 v[112:113], null, v[110:111], v[110:111], 1.0
	v_rcp_f64_e32 v[127:128], v[112:113]
	v_fma_f64 v[129:130], -v[112:113], v[127:128], 1.0
	v_fma_f64 v[127:128], v[127:128], v[129:130], v[127:128]
	v_fma_f64 v[129:130], -v[112:113], v[127:128], 1.0
	v_fma_f64 v[127:128], v[127:128], v[129:130], v[127:128]
	v_div_scale_f64 v[129:130], vcc_lo, 1.0, v[110:111], 1.0
	v_mul_f64 v[131:132], v[129:130], v[127:128]
	v_fma_f64 v[112:113], -v[112:113], v[131:132], v[129:130]
	v_div_fmas_f64 v[112:113], v[112:113], v[127:128], v[131:132]
	v_div_fixup_f64 v[110:111], v[112:113], v[110:111], 1.0
	v_mul_f64 v[112:113], v[125:126], -v[110:111]
.LBB52_282:
	s_or_b32 exec_lo, exec_lo, s1
.LBB52_283:
	s_or_b32 exec_lo, exec_lo, s0
	s_mov_b32 s0, exec_lo
	v_cmpx_ne_u32_e64 v124, v118
	s_xor_b32 s0, exec_lo, s0
	s_cbranch_execz .LBB52_289
; %bb.284:
	s_mov_b32 s1, exec_lo
	v_cmpx_eq_u32_e32 13, v124
	s_cbranch_execz .LBB52_288
; %bb.285:
	v_cmp_ne_u32_e32 vcc_lo, 13, v118
	s_xor_b32 s2, s16, -1
	s_and_b32 s3, s2, vcc_lo
	s_and_saveexec_b32 s2, s3
	s_cbranch_execz .LBB52_287
; %bb.286:
	v_ashrrev_i32_e32 v119, 31, v118
	v_lshlrev_b64 v[124:125], 2, v[118:119]
	v_add_co_u32 v124, vcc_lo, v116, v124
	v_add_co_ci_u32_e64 v125, null, v117, v125, vcc_lo
	s_clause 0x1
	global_load_dword v0, v[124:125], off
	global_load_dword v119, v[116:117], off offset:52
	s_waitcnt vmcnt(1)
	global_store_dword v[116:117], v0, off offset:52
	s_waitcnt vmcnt(0)
	global_store_dword v[124:125], v119, off
.LBB52_287:
	s_or_b32 exec_lo, exec_lo, s2
	v_mov_b32_e32 v124, v118
	v_mov_b32_e32 v0, v118
.LBB52_288:
	s_or_b32 exec_lo, exec_lo, s1
.LBB52_289:
	s_andn2_saveexec_b32 s0, s0
	s_cbranch_execz .LBB52_291
; %bb.290:
	v_mov_b32_e32 v124, 13
	ds_write2_b64 v1, v[50:51], v[52:53] offset0:28 offset1:29
	ds_write2_b64 v1, v[46:47], v[48:49] offset0:30 offset1:31
	;; [unrolled: 1-line block ×13, first 2 shown]
.LBB52_291:
	s_or_b32 exec_lo, exec_lo, s0
	s_mov_b32 s0, exec_lo
	s_waitcnt lgkmcnt(0)
	s_waitcnt_vscnt null, 0x0
	s_barrier
	buffer_gl0_inv
	v_cmpx_lt_i32_e32 13, v124
	s_cbranch_execz .LBB52_293
; %bb.292:
	v_mul_f64 v[118:119], v[110:111], v[56:57]
	v_mul_f64 v[56:57], v[112:113], v[56:57]
	v_fma_f64 v[118:119], v[112:113], v[54:55], v[118:119]
	v_fma_f64 v[54:55], v[110:111], v[54:55], -v[56:57]
	ds_read2_b64 v[110:113], v1 offset0:28 offset1:29
	s_waitcnt lgkmcnt(0)
	v_mul_f64 v[56:57], v[112:113], v[118:119]
	v_fma_f64 v[56:57], v[110:111], v[54:55], -v[56:57]
	v_mul_f64 v[110:111], v[110:111], v[118:119]
	v_add_f64 v[50:51], v[50:51], -v[56:57]
	v_fma_f64 v[110:111], v[112:113], v[54:55], v[110:111]
	v_add_f64 v[52:53], v[52:53], -v[110:111]
	ds_read2_b64 v[110:113], v1 offset0:30 offset1:31
	s_waitcnt lgkmcnt(0)
	v_mul_f64 v[56:57], v[112:113], v[118:119]
	v_fma_f64 v[56:57], v[110:111], v[54:55], -v[56:57]
	v_mul_f64 v[110:111], v[110:111], v[118:119]
	v_add_f64 v[46:47], v[46:47], -v[56:57]
	v_fma_f64 v[110:111], v[112:113], v[54:55], v[110:111]
	v_add_f64 v[48:49], v[48:49], -v[110:111]
	;; [unrolled: 8-line block ×12, first 2 shown]
	ds_read2_b64 v[110:113], v1 offset0:52 offset1:53
	s_waitcnt lgkmcnt(0)
	v_mul_f64 v[56:57], v[112:113], v[118:119]
	v_fma_f64 v[56:57], v[110:111], v[54:55], -v[56:57]
	v_mul_f64 v[110:111], v[110:111], v[118:119]
	v_add_f64 v[2:3], v[2:3], -v[56:57]
	v_fma_f64 v[110:111], v[112:113], v[54:55], v[110:111]
	v_mov_b32_e32 v56, v118
	v_mov_b32_e32 v57, v119
	v_add_f64 v[4:5], v[4:5], -v[110:111]
.LBB52_293:
	s_or_b32 exec_lo, exec_lo, s0
	v_lshl_add_u32 v110, v124, 4, v1
	s_barrier
	buffer_gl0_inv
	v_mov_b32_e32 v118, 14
	ds_write2_b64 v110, v[50:51], v[52:53] offset1:1
	s_waitcnt lgkmcnt(0)
	s_barrier
	buffer_gl0_inv
	ds_read2_b64 v[110:113], v1 offset0:28 offset1:29
	s_cmp_lt_i32 s18, 16
	s_cbranch_scc1 .LBB52_296
; %bb.294:
	v_add3_u32 v119, v120, 0, 0xf0
	v_mov_b32_e32 v118, 14
	s_mov_b32 s1, 15
	s_inst_prefetch 0x1
	.p2align	6
.LBB52_295:                             ; =>This Inner Loop Header: Depth=1
	s_waitcnt lgkmcnt(0)
	v_cmp_gt_f64_e32 vcc_lo, 0, v[112:113]
	v_cmp_gt_f64_e64 s0, 0, v[110:111]
	ds_read2_b64 v[125:128], v119 offset1:1
	v_xor_b32_e32 v130, 0x80000000, v111
	v_xor_b32_e32 v132, 0x80000000, v113
	v_mov_b32_e32 v129, v110
	v_mov_b32_e32 v131, v112
	v_add_nc_u32_e32 v119, 16, v119
	s_waitcnt lgkmcnt(0)
	v_xor_b32_e32 v134, 0x80000000, v128
	v_cndmask_b32_e64 v130, v111, v130, s0
	v_cndmask_b32_e32 v132, v113, v132, vcc_lo
	v_cmp_gt_f64_e32 vcc_lo, 0, v[127:128]
	v_cmp_gt_f64_e64 s0, 0, v[125:126]
	v_mov_b32_e32 v133, v127
	v_add_f64 v[129:130], v[129:130], v[131:132]
	v_xor_b32_e32 v132, 0x80000000, v126
	v_mov_b32_e32 v131, v125
	v_cndmask_b32_e32 v134, v128, v134, vcc_lo
	v_cndmask_b32_e64 v132, v126, v132, s0
	v_add_f64 v[131:132], v[131:132], v[133:134]
	v_cmp_lt_f64_e32 vcc_lo, v[129:130], v[131:132]
	v_cndmask_b32_e32 v111, v111, v126, vcc_lo
	v_cndmask_b32_e32 v110, v110, v125, vcc_lo
	;; [unrolled: 1-line block ×4, first 2 shown]
	v_cndmask_b32_e64 v118, v118, s1, vcc_lo
	s_add_i32 s1, s1, 1
	s_cmp_lg_u32 s18, s1
	s_cbranch_scc1 .LBB52_295
.LBB52_296:
	s_inst_prefetch 0x2
	s_waitcnt lgkmcnt(0)
	v_cmp_eq_f64_e32 vcc_lo, 0, v[110:111]
	v_cmp_eq_f64_e64 s0, 0, v[112:113]
	s_and_b32 s0, vcc_lo, s0
	s_and_saveexec_b32 s1, s0
	s_xor_b32 s0, exec_lo, s1
; %bb.297:
	v_cmp_ne_u32_e32 vcc_lo, 0, v123
	v_cndmask_b32_e32 v123, 15, v123, vcc_lo
; %bb.298:
	s_andn2_saveexec_b32 s0, s0
	s_cbranch_execz .LBB52_304
; %bb.299:
	v_cmp_ngt_f64_e64 s1, |v[110:111]|, |v[112:113]|
	s_and_saveexec_b32 s2, s1
	s_xor_b32 s1, exec_lo, s2
	s_cbranch_execz .LBB52_301
; %bb.300:
	v_div_scale_f64 v[125:126], null, v[112:113], v[112:113], v[110:111]
	v_div_scale_f64 v[131:132], vcc_lo, v[110:111], v[112:113], v[110:111]
	v_rcp_f64_e32 v[127:128], v[125:126]
	v_fma_f64 v[129:130], -v[125:126], v[127:128], 1.0
	v_fma_f64 v[127:128], v[127:128], v[129:130], v[127:128]
	v_fma_f64 v[129:130], -v[125:126], v[127:128], 1.0
	v_fma_f64 v[127:128], v[127:128], v[129:130], v[127:128]
	v_mul_f64 v[129:130], v[131:132], v[127:128]
	v_fma_f64 v[125:126], -v[125:126], v[129:130], v[131:132]
	v_div_fmas_f64 v[125:126], v[125:126], v[127:128], v[129:130]
	v_div_fixup_f64 v[125:126], v[125:126], v[112:113], v[110:111]
	v_fma_f64 v[110:111], v[110:111], v[125:126], v[112:113]
	v_div_scale_f64 v[112:113], null, v[110:111], v[110:111], 1.0
	v_rcp_f64_e32 v[127:128], v[112:113]
	v_fma_f64 v[129:130], -v[112:113], v[127:128], 1.0
	v_fma_f64 v[127:128], v[127:128], v[129:130], v[127:128]
	v_fma_f64 v[129:130], -v[112:113], v[127:128], 1.0
	v_fma_f64 v[127:128], v[127:128], v[129:130], v[127:128]
	v_div_scale_f64 v[129:130], vcc_lo, 1.0, v[110:111], 1.0
	v_mul_f64 v[131:132], v[129:130], v[127:128]
	v_fma_f64 v[112:113], -v[112:113], v[131:132], v[129:130]
	v_div_fmas_f64 v[112:113], v[112:113], v[127:128], v[131:132]
	v_div_fixup_f64 v[112:113], v[112:113], v[110:111], 1.0
	v_mul_f64 v[110:111], v[125:126], v[112:113]
	v_xor_b32_e32 v113, 0x80000000, v113
.LBB52_301:
	s_andn2_saveexec_b32 s1, s1
	s_cbranch_execz .LBB52_303
; %bb.302:
	v_div_scale_f64 v[125:126], null, v[110:111], v[110:111], v[112:113]
	v_div_scale_f64 v[131:132], vcc_lo, v[112:113], v[110:111], v[112:113]
	v_rcp_f64_e32 v[127:128], v[125:126]
	v_fma_f64 v[129:130], -v[125:126], v[127:128], 1.0
	v_fma_f64 v[127:128], v[127:128], v[129:130], v[127:128]
	v_fma_f64 v[129:130], -v[125:126], v[127:128], 1.0
	v_fma_f64 v[127:128], v[127:128], v[129:130], v[127:128]
	v_mul_f64 v[129:130], v[131:132], v[127:128]
	v_fma_f64 v[125:126], -v[125:126], v[129:130], v[131:132]
	v_div_fmas_f64 v[125:126], v[125:126], v[127:128], v[129:130]
	v_div_fixup_f64 v[125:126], v[125:126], v[110:111], v[112:113]
	v_fma_f64 v[110:111], v[112:113], v[125:126], v[110:111]
	v_div_scale_f64 v[112:113], null, v[110:111], v[110:111], 1.0
	v_rcp_f64_e32 v[127:128], v[112:113]
	v_fma_f64 v[129:130], -v[112:113], v[127:128], 1.0
	v_fma_f64 v[127:128], v[127:128], v[129:130], v[127:128]
	v_fma_f64 v[129:130], -v[112:113], v[127:128], 1.0
	v_fma_f64 v[127:128], v[127:128], v[129:130], v[127:128]
	v_div_scale_f64 v[129:130], vcc_lo, 1.0, v[110:111], 1.0
	v_mul_f64 v[131:132], v[129:130], v[127:128]
	v_fma_f64 v[112:113], -v[112:113], v[131:132], v[129:130]
	v_div_fmas_f64 v[112:113], v[112:113], v[127:128], v[131:132]
	v_div_fixup_f64 v[110:111], v[112:113], v[110:111], 1.0
	v_mul_f64 v[112:113], v[125:126], -v[110:111]
.LBB52_303:
	s_or_b32 exec_lo, exec_lo, s1
.LBB52_304:
	s_or_b32 exec_lo, exec_lo, s0
	s_mov_b32 s0, exec_lo
	v_cmpx_ne_u32_e64 v124, v118
	s_xor_b32 s0, exec_lo, s0
	s_cbranch_execz .LBB52_310
; %bb.305:
	s_mov_b32 s1, exec_lo
	v_cmpx_eq_u32_e32 14, v124
	s_cbranch_execz .LBB52_309
; %bb.306:
	v_cmp_ne_u32_e32 vcc_lo, 14, v118
	s_xor_b32 s2, s16, -1
	s_and_b32 s3, s2, vcc_lo
	s_and_saveexec_b32 s2, s3
	s_cbranch_execz .LBB52_308
; %bb.307:
	v_ashrrev_i32_e32 v119, 31, v118
	v_lshlrev_b64 v[124:125], 2, v[118:119]
	v_add_co_u32 v124, vcc_lo, v116, v124
	v_add_co_ci_u32_e64 v125, null, v117, v125, vcc_lo
	s_clause 0x1
	global_load_dword v0, v[124:125], off
	global_load_dword v119, v[116:117], off offset:56
	s_waitcnt vmcnt(1)
	global_store_dword v[116:117], v0, off offset:56
	s_waitcnt vmcnt(0)
	global_store_dword v[124:125], v119, off
.LBB52_308:
	s_or_b32 exec_lo, exec_lo, s2
	v_mov_b32_e32 v124, v118
	v_mov_b32_e32 v0, v118
.LBB52_309:
	s_or_b32 exec_lo, exec_lo, s1
.LBB52_310:
	s_andn2_saveexec_b32 s0, s0
	s_cbranch_execz .LBB52_312
; %bb.311:
	v_mov_b32_e32 v124, 14
	ds_write2_b64 v1, v[46:47], v[48:49] offset0:30 offset1:31
	ds_write2_b64 v1, v[42:43], v[44:45] offset0:32 offset1:33
	;; [unrolled: 1-line block ×12, first 2 shown]
.LBB52_312:
	s_or_b32 exec_lo, exec_lo, s0
	s_mov_b32 s0, exec_lo
	s_waitcnt lgkmcnt(0)
	s_waitcnt_vscnt null, 0x0
	s_barrier
	buffer_gl0_inv
	v_cmpx_lt_i32_e32 14, v124
	s_cbranch_execz .LBB52_314
; %bb.313:
	v_mul_f64 v[118:119], v[110:111], v[52:53]
	v_mul_f64 v[52:53], v[112:113], v[52:53]
	v_fma_f64 v[118:119], v[112:113], v[50:51], v[118:119]
	v_fma_f64 v[50:51], v[110:111], v[50:51], -v[52:53]
	ds_read2_b64 v[110:113], v1 offset0:30 offset1:31
	s_waitcnt lgkmcnt(0)
	v_mul_f64 v[52:53], v[112:113], v[118:119]
	v_fma_f64 v[52:53], v[110:111], v[50:51], -v[52:53]
	v_mul_f64 v[110:111], v[110:111], v[118:119]
	v_add_f64 v[46:47], v[46:47], -v[52:53]
	v_fma_f64 v[110:111], v[112:113], v[50:51], v[110:111]
	v_add_f64 v[48:49], v[48:49], -v[110:111]
	ds_read2_b64 v[110:113], v1 offset0:32 offset1:33
	s_waitcnt lgkmcnt(0)
	v_mul_f64 v[52:53], v[112:113], v[118:119]
	v_fma_f64 v[52:53], v[110:111], v[50:51], -v[52:53]
	v_mul_f64 v[110:111], v[110:111], v[118:119]
	v_add_f64 v[42:43], v[42:43], -v[52:53]
	v_fma_f64 v[110:111], v[112:113], v[50:51], v[110:111]
	v_add_f64 v[44:45], v[44:45], -v[110:111]
	;; [unrolled: 8-line block ×11, first 2 shown]
	ds_read2_b64 v[110:113], v1 offset0:52 offset1:53
	s_waitcnt lgkmcnt(0)
	v_mul_f64 v[52:53], v[112:113], v[118:119]
	v_fma_f64 v[52:53], v[110:111], v[50:51], -v[52:53]
	v_mul_f64 v[110:111], v[110:111], v[118:119]
	v_add_f64 v[2:3], v[2:3], -v[52:53]
	v_fma_f64 v[110:111], v[112:113], v[50:51], v[110:111]
	v_mov_b32_e32 v52, v118
	v_mov_b32_e32 v53, v119
	v_add_f64 v[4:5], v[4:5], -v[110:111]
.LBB52_314:
	s_or_b32 exec_lo, exec_lo, s0
	v_lshl_add_u32 v110, v124, 4, v1
	s_barrier
	buffer_gl0_inv
	v_mov_b32_e32 v118, 15
	ds_write2_b64 v110, v[46:47], v[48:49] offset1:1
	s_waitcnt lgkmcnt(0)
	s_barrier
	buffer_gl0_inv
	ds_read2_b64 v[110:113], v1 offset0:30 offset1:31
	s_cmp_lt_i32 s18, 17
	s_cbranch_scc1 .LBB52_317
; %bb.315:
	v_add3_u32 v119, v120, 0, 0x100
	v_mov_b32_e32 v118, 15
	s_mov_b32 s1, 16
	s_inst_prefetch 0x1
	.p2align	6
.LBB52_316:                             ; =>This Inner Loop Header: Depth=1
	s_waitcnt lgkmcnt(0)
	v_cmp_gt_f64_e32 vcc_lo, 0, v[112:113]
	v_cmp_gt_f64_e64 s0, 0, v[110:111]
	ds_read2_b64 v[125:128], v119 offset1:1
	v_xor_b32_e32 v130, 0x80000000, v111
	v_xor_b32_e32 v132, 0x80000000, v113
	v_mov_b32_e32 v129, v110
	v_mov_b32_e32 v131, v112
	v_add_nc_u32_e32 v119, 16, v119
	s_waitcnt lgkmcnt(0)
	v_xor_b32_e32 v134, 0x80000000, v128
	v_cndmask_b32_e64 v130, v111, v130, s0
	v_cndmask_b32_e32 v132, v113, v132, vcc_lo
	v_cmp_gt_f64_e32 vcc_lo, 0, v[127:128]
	v_cmp_gt_f64_e64 s0, 0, v[125:126]
	v_mov_b32_e32 v133, v127
	v_add_f64 v[129:130], v[129:130], v[131:132]
	v_xor_b32_e32 v132, 0x80000000, v126
	v_mov_b32_e32 v131, v125
	v_cndmask_b32_e32 v134, v128, v134, vcc_lo
	v_cndmask_b32_e64 v132, v126, v132, s0
	v_add_f64 v[131:132], v[131:132], v[133:134]
	v_cmp_lt_f64_e32 vcc_lo, v[129:130], v[131:132]
	v_cndmask_b32_e32 v111, v111, v126, vcc_lo
	v_cndmask_b32_e32 v110, v110, v125, vcc_lo
	;; [unrolled: 1-line block ×4, first 2 shown]
	v_cndmask_b32_e64 v118, v118, s1, vcc_lo
	s_add_i32 s1, s1, 1
	s_cmp_lg_u32 s18, s1
	s_cbranch_scc1 .LBB52_316
.LBB52_317:
	s_inst_prefetch 0x2
	s_waitcnt lgkmcnt(0)
	v_cmp_eq_f64_e32 vcc_lo, 0, v[110:111]
	v_cmp_eq_f64_e64 s0, 0, v[112:113]
	s_and_b32 s0, vcc_lo, s0
	s_and_saveexec_b32 s1, s0
	s_xor_b32 s0, exec_lo, s1
; %bb.318:
	v_cmp_ne_u32_e32 vcc_lo, 0, v123
	v_cndmask_b32_e32 v123, 16, v123, vcc_lo
; %bb.319:
	s_andn2_saveexec_b32 s0, s0
	s_cbranch_execz .LBB52_325
; %bb.320:
	v_cmp_ngt_f64_e64 s1, |v[110:111]|, |v[112:113]|
	s_and_saveexec_b32 s2, s1
	s_xor_b32 s1, exec_lo, s2
	s_cbranch_execz .LBB52_322
; %bb.321:
	v_div_scale_f64 v[125:126], null, v[112:113], v[112:113], v[110:111]
	v_div_scale_f64 v[131:132], vcc_lo, v[110:111], v[112:113], v[110:111]
	v_rcp_f64_e32 v[127:128], v[125:126]
	v_fma_f64 v[129:130], -v[125:126], v[127:128], 1.0
	v_fma_f64 v[127:128], v[127:128], v[129:130], v[127:128]
	v_fma_f64 v[129:130], -v[125:126], v[127:128], 1.0
	v_fma_f64 v[127:128], v[127:128], v[129:130], v[127:128]
	v_mul_f64 v[129:130], v[131:132], v[127:128]
	v_fma_f64 v[125:126], -v[125:126], v[129:130], v[131:132]
	v_div_fmas_f64 v[125:126], v[125:126], v[127:128], v[129:130]
	v_div_fixup_f64 v[125:126], v[125:126], v[112:113], v[110:111]
	v_fma_f64 v[110:111], v[110:111], v[125:126], v[112:113]
	v_div_scale_f64 v[112:113], null, v[110:111], v[110:111], 1.0
	v_rcp_f64_e32 v[127:128], v[112:113]
	v_fma_f64 v[129:130], -v[112:113], v[127:128], 1.0
	v_fma_f64 v[127:128], v[127:128], v[129:130], v[127:128]
	v_fma_f64 v[129:130], -v[112:113], v[127:128], 1.0
	v_fma_f64 v[127:128], v[127:128], v[129:130], v[127:128]
	v_div_scale_f64 v[129:130], vcc_lo, 1.0, v[110:111], 1.0
	v_mul_f64 v[131:132], v[129:130], v[127:128]
	v_fma_f64 v[112:113], -v[112:113], v[131:132], v[129:130]
	v_div_fmas_f64 v[112:113], v[112:113], v[127:128], v[131:132]
	v_div_fixup_f64 v[112:113], v[112:113], v[110:111], 1.0
	v_mul_f64 v[110:111], v[125:126], v[112:113]
	v_xor_b32_e32 v113, 0x80000000, v113
.LBB52_322:
	s_andn2_saveexec_b32 s1, s1
	s_cbranch_execz .LBB52_324
; %bb.323:
	v_div_scale_f64 v[125:126], null, v[110:111], v[110:111], v[112:113]
	v_div_scale_f64 v[131:132], vcc_lo, v[112:113], v[110:111], v[112:113]
	v_rcp_f64_e32 v[127:128], v[125:126]
	v_fma_f64 v[129:130], -v[125:126], v[127:128], 1.0
	v_fma_f64 v[127:128], v[127:128], v[129:130], v[127:128]
	v_fma_f64 v[129:130], -v[125:126], v[127:128], 1.0
	v_fma_f64 v[127:128], v[127:128], v[129:130], v[127:128]
	v_mul_f64 v[129:130], v[131:132], v[127:128]
	v_fma_f64 v[125:126], -v[125:126], v[129:130], v[131:132]
	v_div_fmas_f64 v[125:126], v[125:126], v[127:128], v[129:130]
	v_div_fixup_f64 v[125:126], v[125:126], v[110:111], v[112:113]
	v_fma_f64 v[110:111], v[112:113], v[125:126], v[110:111]
	v_div_scale_f64 v[112:113], null, v[110:111], v[110:111], 1.0
	v_rcp_f64_e32 v[127:128], v[112:113]
	v_fma_f64 v[129:130], -v[112:113], v[127:128], 1.0
	v_fma_f64 v[127:128], v[127:128], v[129:130], v[127:128]
	v_fma_f64 v[129:130], -v[112:113], v[127:128], 1.0
	v_fma_f64 v[127:128], v[127:128], v[129:130], v[127:128]
	v_div_scale_f64 v[129:130], vcc_lo, 1.0, v[110:111], 1.0
	v_mul_f64 v[131:132], v[129:130], v[127:128]
	v_fma_f64 v[112:113], -v[112:113], v[131:132], v[129:130]
	v_div_fmas_f64 v[112:113], v[112:113], v[127:128], v[131:132]
	v_div_fixup_f64 v[110:111], v[112:113], v[110:111], 1.0
	v_mul_f64 v[112:113], v[125:126], -v[110:111]
.LBB52_324:
	s_or_b32 exec_lo, exec_lo, s1
.LBB52_325:
	s_or_b32 exec_lo, exec_lo, s0
	s_mov_b32 s0, exec_lo
	v_cmpx_ne_u32_e64 v124, v118
	s_xor_b32 s0, exec_lo, s0
	s_cbranch_execz .LBB52_331
; %bb.326:
	s_mov_b32 s1, exec_lo
	v_cmpx_eq_u32_e32 15, v124
	s_cbranch_execz .LBB52_330
; %bb.327:
	v_cmp_ne_u32_e32 vcc_lo, 15, v118
	s_xor_b32 s2, s16, -1
	s_and_b32 s3, s2, vcc_lo
	s_and_saveexec_b32 s2, s3
	s_cbranch_execz .LBB52_329
; %bb.328:
	v_ashrrev_i32_e32 v119, 31, v118
	v_lshlrev_b64 v[124:125], 2, v[118:119]
	v_add_co_u32 v124, vcc_lo, v116, v124
	v_add_co_ci_u32_e64 v125, null, v117, v125, vcc_lo
	s_clause 0x1
	global_load_dword v0, v[124:125], off
	global_load_dword v119, v[116:117], off offset:60
	s_waitcnt vmcnt(1)
	global_store_dword v[116:117], v0, off offset:60
	s_waitcnt vmcnt(0)
	global_store_dword v[124:125], v119, off
.LBB52_329:
	s_or_b32 exec_lo, exec_lo, s2
	v_mov_b32_e32 v124, v118
	v_mov_b32_e32 v0, v118
.LBB52_330:
	s_or_b32 exec_lo, exec_lo, s1
.LBB52_331:
	s_andn2_saveexec_b32 s0, s0
	s_cbranch_execz .LBB52_333
; %bb.332:
	v_mov_b32_e32 v124, 15
	ds_write2_b64 v1, v[42:43], v[44:45] offset0:32 offset1:33
	ds_write2_b64 v1, v[38:39], v[40:41] offset0:34 offset1:35
	ds_write2_b64 v1, v[34:35], v[36:37] offset0:36 offset1:37
	ds_write2_b64 v1, v[30:31], v[32:33] offset0:38 offset1:39
	ds_write2_b64 v1, v[26:27], v[28:29] offset0:40 offset1:41
	ds_write2_b64 v1, v[22:23], v[24:25] offset0:42 offset1:43
	ds_write2_b64 v1, v[18:19], v[20:21] offset0:44 offset1:45
	ds_write2_b64 v1, v[14:15], v[16:17] offset0:46 offset1:47
	ds_write2_b64 v1, v[10:11], v[12:13] offset0:48 offset1:49
	ds_write2_b64 v1, v[6:7], v[8:9] offset0:50 offset1:51
	ds_write2_b64 v1, v[2:3], v[4:5] offset0:52 offset1:53
.LBB52_333:
	s_or_b32 exec_lo, exec_lo, s0
	s_mov_b32 s0, exec_lo
	s_waitcnt lgkmcnt(0)
	s_waitcnt_vscnt null, 0x0
	s_barrier
	buffer_gl0_inv
	v_cmpx_lt_i32_e32 15, v124
	s_cbranch_execz .LBB52_335
; %bb.334:
	v_mul_f64 v[118:119], v[110:111], v[48:49]
	v_mul_f64 v[48:49], v[112:113], v[48:49]
	v_fma_f64 v[118:119], v[112:113], v[46:47], v[118:119]
	v_fma_f64 v[46:47], v[110:111], v[46:47], -v[48:49]
	ds_read2_b64 v[110:113], v1 offset0:32 offset1:33
	s_waitcnt lgkmcnt(0)
	v_mul_f64 v[48:49], v[112:113], v[118:119]
	v_fma_f64 v[48:49], v[110:111], v[46:47], -v[48:49]
	v_mul_f64 v[110:111], v[110:111], v[118:119]
	v_add_f64 v[42:43], v[42:43], -v[48:49]
	v_fma_f64 v[110:111], v[112:113], v[46:47], v[110:111]
	v_add_f64 v[44:45], v[44:45], -v[110:111]
	ds_read2_b64 v[110:113], v1 offset0:34 offset1:35
	s_waitcnt lgkmcnt(0)
	v_mul_f64 v[48:49], v[112:113], v[118:119]
	v_fma_f64 v[48:49], v[110:111], v[46:47], -v[48:49]
	v_mul_f64 v[110:111], v[110:111], v[118:119]
	v_add_f64 v[38:39], v[38:39], -v[48:49]
	v_fma_f64 v[110:111], v[112:113], v[46:47], v[110:111]
	v_add_f64 v[40:41], v[40:41], -v[110:111]
	;; [unrolled: 8-line block ×10, first 2 shown]
	ds_read2_b64 v[110:113], v1 offset0:52 offset1:53
	s_waitcnt lgkmcnt(0)
	v_mul_f64 v[48:49], v[112:113], v[118:119]
	v_fma_f64 v[48:49], v[110:111], v[46:47], -v[48:49]
	v_mul_f64 v[110:111], v[110:111], v[118:119]
	v_add_f64 v[2:3], v[2:3], -v[48:49]
	v_fma_f64 v[110:111], v[112:113], v[46:47], v[110:111]
	v_mov_b32_e32 v48, v118
	v_mov_b32_e32 v49, v119
	v_add_f64 v[4:5], v[4:5], -v[110:111]
.LBB52_335:
	s_or_b32 exec_lo, exec_lo, s0
	v_lshl_add_u32 v110, v124, 4, v1
	s_barrier
	buffer_gl0_inv
	v_mov_b32_e32 v118, 16
	ds_write2_b64 v110, v[42:43], v[44:45] offset1:1
	s_waitcnt lgkmcnt(0)
	s_barrier
	buffer_gl0_inv
	ds_read2_b64 v[110:113], v1 offset0:32 offset1:33
	s_cmp_lt_i32 s18, 18
	s_cbranch_scc1 .LBB52_338
; %bb.336:
	v_add3_u32 v119, v120, 0, 0x110
	v_mov_b32_e32 v118, 16
	s_mov_b32 s1, 17
	s_inst_prefetch 0x1
	.p2align	6
.LBB52_337:                             ; =>This Inner Loop Header: Depth=1
	s_waitcnt lgkmcnt(0)
	v_cmp_gt_f64_e32 vcc_lo, 0, v[112:113]
	v_cmp_gt_f64_e64 s0, 0, v[110:111]
	ds_read2_b64 v[125:128], v119 offset1:1
	v_xor_b32_e32 v130, 0x80000000, v111
	v_xor_b32_e32 v132, 0x80000000, v113
	v_mov_b32_e32 v129, v110
	v_mov_b32_e32 v131, v112
	v_add_nc_u32_e32 v119, 16, v119
	s_waitcnt lgkmcnt(0)
	v_xor_b32_e32 v134, 0x80000000, v128
	v_cndmask_b32_e64 v130, v111, v130, s0
	v_cndmask_b32_e32 v132, v113, v132, vcc_lo
	v_cmp_gt_f64_e32 vcc_lo, 0, v[127:128]
	v_cmp_gt_f64_e64 s0, 0, v[125:126]
	v_mov_b32_e32 v133, v127
	v_add_f64 v[129:130], v[129:130], v[131:132]
	v_xor_b32_e32 v132, 0x80000000, v126
	v_mov_b32_e32 v131, v125
	v_cndmask_b32_e32 v134, v128, v134, vcc_lo
	v_cndmask_b32_e64 v132, v126, v132, s0
	v_add_f64 v[131:132], v[131:132], v[133:134]
	v_cmp_lt_f64_e32 vcc_lo, v[129:130], v[131:132]
	v_cndmask_b32_e32 v111, v111, v126, vcc_lo
	v_cndmask_b32_e32 v110, v110, v125, vcc_lo
	;; [unrolled: 1-line block ×4, first 2 shown]
	v_cndmask_b32_e64 v118, v118, s1, vcc_lo
	s_add_i32 s1, s1, 1
	s_cmp_lg_u32 s18, s1
	s_cbranch_scc1 .LBB52_337
.LBB52_338:
	s_inst_prefetch 0x2
	s_waitcnt lgkmcnt(0)
	v_cmp_eq_f64_e32 vcc_lo, 0, v[110:111]
	v_cmp_eq_f64_e64 s0, 0, v[112:113]
	s_and_b32 s0, vcc_lo, s0
	s_and_saveexec_b32 s1, s0
	s_xor_b32 s0, exec_lo, s1
; %bb.339:
	v_cmp_ne_u32_e32 vcc_lo, 0, v123
	v_cndmask_b32_e32 v123, 17, v123, vcc_lo
; %bb.340:
	s_andn2_saveexec_b32 s0, s0
	s_cbranch_execz .LBB52_346
; %bb.341:
	v_cmp_ngt_f64_e64 s1, |v[110:111]|, |v[112:113]|
	s_and_saveexec_b32 s2, s1
	s_xor_b32 s1, exec_lo, s2
	s_cbranch_execz .LBB52_343
; %bb.342:
	v_div_scale_f64 v[125:126], null, v[112:113], v[112:113], v[110:111]
	v_div_scale_f64 v[131:132], vcc_lo, v[110:111], v[112:113], v[110:111]
	v_rcp_f64_e32 v[127:128], v[125:126]
	v_fma_f64 v[129:130], -v[125:126], v[127:128], 1.0
	v_fma_f64 v[127:128], v[127:128], v[129:130], v[127:128]
	v_fma_f64 v[129:130], -v[125:126], v[127:128], 1.0
	v_fma_f64 v[127:128], v[127:128], v[129:130], v[127:128]
	v_mul_f64 v[129:130], v[131:132], v[127:128]
	v_fma_f64 v[125:126], -v[125:126], v[129:130], v[131:132]
	v_div_fmas_f64 v[125:126], v[125:126], v[127:128], v[129:130]
	v_div_fixup_f64 v[125:126], v[125:126], v[112:113], v[110:111]
	v_fma_f64 v[110:111], v[110:111], v[125:126], v[112:113]
	v_div_scale_f64 v[112:113], null, v[110:111], v[110:111], 1.0
	v_rcp_f64_e32 v[127:128], v[112:113]
	v_fma_f64 v[129:130], -v[112:113], v[127:128], 1.0
	v_fma_f64 v[127:128], v[127:128], v[129:130], v[127:128]
	v_fma_f64 v[129:130], -v[112:113], v[127:128], 1.0
	v_fma_f64 v[127:128], v[127:128], v[129:130], v[127:128]
	v_div_scale_f64 v[129:130], vcc_lo, 1.0, v[110:111], 1.0
	v_mul_f64 v[131:132], v[129:130], v[127:128]
	v_fma_f64 v[112:113], -v[112:113], v[131:132], v[129:130]
	v_div_fmas_f64 v[112:113], v[112:113], v[127:128], v[131:132]
	v_div_fixup_f64 v[112:113], v[112:113], v[110:111], 1.0
	v_mul_f64 v[110:111], v[125:126], v[112:113]
	v_xor_b32_e32 v113, 0x80000000, v113
.LBB52_343:
	s_andn2_saveexec_b32 s1, s1
	s_cbranch_execz .LBB52_345
; %bb.344:
	v_div_scale_f64 v[125:126], null, v[110:111], v[110:111], v[112:113]
	v_div_scale_f64 v[131:132], vcc_lo, v[112:113], v[110:111], v[112:113]
	v_rcp_f64_e32 v[127:128], v[125:126]
	v_fma_f64 v[129:130], -v[125:126], v[127:128], 1.0
	v_fma_f64 v[127:128], v[127:128], v[129:130], v[127:128]
	v_fma_f64 v[129:130], -v[125:126], v[127:128], 1.0
	v_fma_f64 v[127:128], v[127:128], v[129:130], v[127:128]
	v_mul_f64 v[129:130], v[131:132], v[127:128]
	v_fma_f64 v[125:126], -v[125:126], v[129:130], v[131:132]
	v_div_fmas_f64 v[125:126], v[125:126], v[127:128], v[129:130]
	v_div_fixup_f64 v[125:126], v[125:126], v[110:111], v[112:113]
	v_fma_f64 v[110:111], v[112:113], v[125:126], v[110:111]
	v_div_scale_f64 v[112:113], null, v[110:111], v[110:111], 1.0
	v_rcp_f64_e32 v[127:128], v[112:113]
	v_fma_f64 v[129:130], -v[112:113], v[127:128], 1.0
	v_fma_f64 v[127:128], v[127:128], v[129:130], v[127:128]
	v_fma_f64 v[129:130], -v[112:113], v[127:128], 1.0
	v_fma_f64 v[127:128], v[127:128], v[129:130], v[127:128]
	v_div_scale_f64 v[129:130], vcc_lo, 1.0, v[110:111], 1.0
	v_mul_f64 v[131:132], v[129:130], v[127:128]
	v_fma_f64 v[112:113], -v[112:113], v[131:132], v[129:130]
	v_div_fmas_f64 v[112:113], v[112:113], v[127:128], v[131:132]
	v_div_fixup_f64 v[110:111], v[112:113], v[110:111], 1.0
	v_mul_f64 v[112:113], v[125:126], -v[110:111]
.LBB52_345:
	s_or_b32 exec_lo, exec_lo, s1
.LBB52_346:
	s_or_b32 exec_lo, exec_lo, s0
	s_mov_b32 s0, exec_lo
	v_cmpx_ne_u32_e64 v124, v118
	s_xor_b32 s0, exec_lo, s0
	s_cbranch_execz .LBB52_352
; %bb.347:
	s_mov_b32 s1, exec_lo
	v_cmpx_eq_u32_e32 16, v124
	s_cbranch_execz .LBB52_351
; %bb.348:
	v_cmp_ne_u32_e32 vcc_lo, 16, v118
	s_xor_b32 s2, s16, -1
	s_and_b32 s3, s2, vcc_lo
	s_and_saveexec_b32 s2, s3
	s_cbranch_execz .LBB52_350
; %bb.349:
	v_ashrrev_i32_e32 v119, 31, v118
	v_lshlrev_b64 v[124:125], 2, v[118:119]
	v_add_co_u32 v124, vcc_lo, v116, v124
	v_add_co_ci_u32_e64 v125, null, v117, v125, vcc_lo
	s_clause 0x1
	global_load_dword v0, v[124:125], off
	global_load_dword v119, v[116:117], off offset:64
	s_waitcnt vmcnt(1)
	global_store_dword v[116:117], v0, off offset:64
	s_waitcnt vmcnt(0)
	global_store_dword v[124:125], v119, off
.LBB52_350:
	s_or_b32 exec_lo, exec_lo, s2
	v_mov_b32_e32 v124, v118
	v_mov_b32_e32 v0, v118
.LBB52_351:
	s_or_b32 exec_lo, exec_lo, s1
.LBB52_352:
	s_andn2_saveexec_b32 s0, s0
	s_cbranch_execz .LBB52_354
; %bb.353:
	v_mov_b32_e32 v124, 16
	ds_write2_b64 v1, v[38:39], v[40:41] offset0:34 offset1:35
	ds_write2_b64 v1, v[34:35], v[36:37] offset0:36 offset1:37
	;; [unrolled: 1-line block ×10, first 2 shown]
.LBB52_354:
	s_or_b32 exec_lo, exec_lo, s0
	s_mov_b32 s0, exec_lo
	s_waitcnt lgkmcnt(0)
	s_waitcnt_vscnt null, 0x0
	s_barrier
	buffer_gl0_inv
	v_cmpx_lt_i32_e32 16, v124
	s_cbranch_execz .LBB52_356
; %bb.355:
	v_mul_f64 v[118:119], v[110:111], v[44:45]
	v_mul_f64 v[44:45], v[112:113], v[44:45]
	v_fma_f64 v[118:119], v[112:113], v[42:43], v[118:119]
	v_fma_f64 v[42:43], v[110:111], v[42:43], -v[44:45]
	ds_read2_b64 v[110:113], v1 offset0:34 offset1:35
	s_waitcnt lgkmcnt(0)
	v_mul_f64 v[44:45], v[112:113], v[118:119]
	v_fma_f64 v[44:45], v[110:111], v[42:43], -v[44:45]
	v_mul_f64 v[110:111], v[110:111], v[118:119]
	v_add_f64 v[38:39], v[38:39], -v[44:45]
	v_fma_f64 v[110:111], v[112:113], v[42:43], v[110:111]
	v_add_f64 v[40:41], v[40:41], -v[110:111]
	ds_read2_b64 v[110:113], v1 offset0:36 offset1:37
	s_waitcnt lgkmcnt(0)
	v_mul_f64 v[44:45], v[112:113], v[118:119]
	v_fma_f64 v[44:45], v[110:111], v[42:43], -v[44:45]
	v_mul_f64 v[110:111], v[110:111], v[118:119]
	v_add_f64 v[34:35], v[34:35], -v[44:45]
	v_fma_f64 v[110:111], v[112:113], v[42:43], v[110:111]
	v_add_f64 v[36:37], v[36:37], -v[110:111]
	;; [unrolled: 8-line block ×9, first 2 shown]
	ds_read2_b64 v[110:113], v1 offset0:52 offset1:53
	s_waitcnt lgkmcnt(0)
	v_mul_f64 v[44:45], v[112:113], v[118:119]
	v_fma_f64 v[44:45], v[110:111], v[42:43], -v[44:45]
	v_mul_f64 v[110:111], v[110:111], v[118:119]
	v_add_f64 v[2:3], v[2:3], -v[44:45]
	v_fma_f64 v[110:111], v[112:113], v[42:43], v[110:111]
	v_mov_b32_e32 v44, v118
	v_mov_b32_e32 v45, v119
	v_add_f64 v[4:5], v[4:5], -v[110:111]
.LBB52_356:
	s_or_b32 exec_lo, exec_lo, s0
	v_lshl_add_u32 v110, v124, 4, v1
	s_barrier
	buffer_gl0_inv
	v_mov_b32_e32 v118, 17
	ds_write2_b64 v110, v[38:39], v[40:41] offset1:1
	s_waitcnt lgkmcnt(0)
	s_barrier
	buffer_gl0_inv
	ds_read2_b64 v[110:113], v1 offset0:34 offset1:35
	s_cmp_lt_i32 s18, 19
	s_cbranch_scc1 .LBB52_359
; %bb.357:
	v_add3_u32 v119, v120, 0, 0x120
	v_mov_b32_e32 v118, 17
	s_mov_b32 s1, 18
	s_inst_prefetch 0x1
	.p2align	6
.LBB52_358:                             ; =>This Inner Loop Header: Depth=1
	s_waitcnt lgkmcnt(0)
	v_cmp_gt_f64_e32 vcc_lo, 0, v[112:113]
	v_cmp_gt_f64_e64 s0, 0, v[110:111]
	ds_read2_b64 v[125:128], v119 offset1:1
	v_xor_b32_e32 v130, 0x80000000, v111
	v_xor_b32_e32 v132, 0x80000000, v113
	v_mov_b32_e32 v129, v110
	v_mov_b32_e32 v131, v112
	v_add_nc_u32_e32 v119, 16, v119
	s_waitcnt lgkmcnt(0)
	v_xor_b32_e32 v134, 0x80000000, v128
	v_cndmask_b32_e64 v130, v111, v130, s0
	v_cndmask_b32_e32 v132, v113, v132, vcc_lo
	v_cmp_gt_f64_e32 vcc_lo, 0, v[127:128]
	v_cmp_gt_f64_e64 s0, 0, v[125:126]
	v_mov_b32_e32 v133, v127
	v_add_f64 v[129:130], v[129:130], v[131:132]
	v_xor_b32_e32 v132, 0x80000000, v126
	v_mov_b32_e32 v131, v125
	v_cndmask_b32_e32 v134, v128, v134, vcc_lo
	v_cndmask_b32_e64 v132, v126, v132, s0
	v_add_f64 v[131:132], v[131:132], v[133:134]
	v_cmp_lt_f64_e32 vcc_lo, v[129:130], v[131:132]
	v_cndmask_b32_e32 v111, v111, v126, vcc_lo
	v_cndmask_b32_e32 v110, v110, v125, vcc_lo
	;; [unrolled: 1-line block ×4, first 2 shown]
	v_cndmask_b32_e64 v118, v118, s1, vcc_lo
	s_add_i32 s1, s1, 1
	s_cmp_lg_u32 s18, s1
	s_cbranch_scc1 .LBB52_358
.LBB52_359:
	s_inst_prefetch 0x2
	s_waitcnt lgkmcnt(0)
	v_cmp_eq_f64_e32 vcc_lo, 0, v[110:111]
	v_cmp_eq_f64_e64 s0, 0, v[112:113]
	s_and_b32 s0, vcc_lo, s0
	s_and_saveexec_b32 s1, s0
	s_xor_b32 s0, exec_lo, s1
; %bb.360:
	v_cmp_ne_u32_e32 vcc_lo, 0, v123
	v_cndmask_b32_e32 v123, 18, v123, vcc_lo
; %bb.361:
	s_andn2_saveexec_b32 s0, s0
	s_cbranch_execz .LBB52_367
; %bb.362:
	v_cmp_ngt_f64_e64 s1, |v[110:111]|, |v[112:113]|
	s_and_saveexec_b32 s2, s1
	s_xor_b32 s1, exec_lo, s2
	s_cbranch_execz .LBB52_364
; %bb.363:
	v_div_scale_f64 v[125:126], null, v[112:113], v[112:113], v[110:111]
	v_div_scale_f64 v[131:132], vcc_lo, v[110:111], v[112:113], v[110:111]
	v_rcp_f64_e32 v[127:128], v[125:126]
	v_fma_f64 v[129:130], -v[125:126], v[127:128], 1.0
	v_fma_f64 v[127:128], v[127:128], v[129:130], v[127:128]
	v_fma_f64 v[129:130], -v[125:126], v[127:128], 1.0
	v_fma_f64 v[127:128], v[127:128], v[129:130], v[127:128]
	v_mul_f64 v[129:130], v[131:132], v[127:128]
	v_fma_f64 v[125:126], -v[125:126], v[129:130], v[131:132]
	v_div_fmas_f64 v[125:126], v[125:126], v[127:128], v[129:130]
	v_div_fixup_f64 v[125:126], v[125:126], v[112:113], v[110:111]
	v_fma_f64 v[110:111], v[110:111], v[125:126], v[112:113]
	v_div_scale_f64 v[112:113], null, v[110:111], v[110:111], 1.0
	v_rcp_f64_e32 v[127:128], v[112:113]
	v_fma_f64 v[129:130], -v[112:113], v[127:128], 1.0
	v_fma_f64 v[127:128], v[127:128], v[129:130], v[127:128]
	v_fma_f64 v[129:130], -v[112:113], v[127:128], 1.0
	v_fma_f64 v[127:128], v[127:128], v[129:130], v[127:128]
	v_div_scale_f64 v[129:130], vcc_lo, 1.0, v[110:111], 1.0
	v_mul_f64 v[131:132], v[129:130], v[127:128]
	v_fma_f64 v[112:113], -v[112:113], v[131:132], v[129:130]
	v_div_fmas_f64 v[112:113], v[112:113], v[127:128], v[131:132]
	v_div_fixup_f64 v[112:113], v[112:113], v[110:111], 1.0
	v_mul_f64 v[110:111], v[125:126], v[112:113]
	v_xor_b32_e32 v113, 0x80000000, v113
.LBB52_364:
	s_andn2_saveexec_b32 s1, s1
	s_cbranch_execz .LBB52_366
; %bb.365:
	v_div_scale_f64 v[125:126], null, v[110:111], v[110:111], v[112:113]
	v_div_scale_f64 v[131:132], vcc_lo, v[112:113], v[110:111], v[112:113]
	v_rcp_f64_e32 v[127:128], v[125:126]
	v_fma_f64 v[129:130], -v[125:126], v[127:128], 1.0
	v_fma_f64 v[127:128], v[127:128], v[129:130], v[127:128]
	v_fma_f64 v[129:130], -v[125:126], v[127:128], 1.0
	v_fma_f64 v[127:128], v[127:128], v[129:130], v[127:128]
	v_mul_f64 v[129:130], v[131:132], v[127:128]
	v_fma_f64 v[125:126], -v[125:126], v[129:130], v[131:132]
	v_div_fmas_f64 v[125:126], v[125:126], v[127:128], v[129:130]
	v_div_fixup_f64 v[125:126], v[125:126], v[110:111], v[112:113]
	v_fma_f64 v[110:111], v[112:113], v[125:126], v[110:111]
	v_div_scale_f64 v[112:113], null, v[110:111], v[110:111], 1.0
	v_rcp_f64_e32 v[127:128], v[112:113]
	v_fma_f64 v[129:130], -v[112:113], v[127:128], 1.0
	v_fma_f64 v[127:128], v[127:128], v[129:130], v[127:128]
	v_fma_f64 v[129:130], -v[112:113], v[127:128], 1.0
	v_fma_f64 v[127:128], v[127:128], v[129:130], v[127:128]
	v_div_scale_f64 v[129:130], vcc_lo, 1.0, v[110:111], 1.0
	v_mul_f64 v[131:132], v[129:130], v[127:128]
	v_fma_f64 v[112:113], -v[112:113], v[131:132], v[129:130]
	v_div_fmas_f64 v[112:113], v[112:113], v[127:128], v[131:132]
	v_div_fixup_f64 v[110:111], v[112:113], v[110:111], 1.0
	v_mul_f64 v[112:113], v[125:126], -v[110:111]
.LBB52_366:
	s_or_b32 exec_lo, exec_lo, s1
.LBB52_367:
	s_or_b32 exec_lo, exec_lo, s0
	s_mov_b32 s0, exec_lo
	v_cmpx_ne_u32_e64 v124, v118
	s_xor_b32 s0, exec_lo, s0
	s_cbranch_execz .LBB52_373
; %bb.368:
	s_mov_b32 s1, exec_lo
	v_cmpx_eq_u32_e32 17, v124
	s_cbranch_execz .LBB52_372
; %bb.369:
	v_cmp_ne_u32_e32 vcc_lo, 17, v118
	s_xor_b32 s2, s16, -1
	s_and_b32 s3, s2, vcc_lo
	s_and_saveexec_b32 s2, s3
	s_cbranch_execz .LBB52_371
; %bb.370:
	v_ashrrev_i32_e32 v119, 31, v118
	v_lshlrev_b64 v[124:125], 2, v[118:119]
	v_add_co_u32 v124, vcc_lo, v116, v124
	v_add_co_ci_u32_e64 v125, null, v117, v125, vcc_lo
	s_clause 0x1
	global_load_dword v0, v[124:125], off
	global_load_dword v119, v[116:117], off offset:68
	s_waitcnt vmcnt(1)
	global_store_dword v[116:117], v0, off offset:68
	s_waitcnt vmcnt(0)
	global_store_dword v[124:125], v119, off
.LBB52_371:
	s_or_b32 exec_lo, exec_lo, s2
	v_mov_b32_e32 v124, v118
	v_mov_b32_e32 v0, v118
.LBB52_372:
	s_or_b32 exec_lo, exec_lo, s1
.LBB52_373:
	s_andn2_saveexec_b32 s0, s0
	s_cbranch_execz .LBB52_375
; %bb.374:
	v_mov_b32_e32 v124, 17
	ds_write2_b64 v1, v[34:35], v[36:37] offset0:36 offset1:37
	ds_write2_b64 v1, v[30:31], v[32:33] offset0:38 offset1:39
	;; [unrolled: 1-line block ×9, first 2 shown]
.LBB52_375:
	s_or_b32 exec_lo, exec_lo, s0
	s_mov_b32 s0, exec_lo
	s_waitcnt lgkmcnt(0)
	s_waitcnt_vscnt null, 0x0
	s_barrier
	buffer_gl0_inv
	v_cmpx_lt_i32_e32 17, v124
	s_cbranch_execz .LBB52_377
; %bb.376:
	v_mul_f64 v[118:119], v[110:111], v[40:41]
	v_mul_f64 v[40:41], v[112:113], v[40:41]
	v_fma_f64 v[118:119], v[112:113], v[38:39], v[118:119]
	v_fma_f64 v[38:39], v[110:111], v[38:39], -v[40:41]
	ds_read2_b64 v[110:113], v1 offset0:36 offset1:37
	s_waitcnt lgkmcnt(0)
	v_mul_f64 v[40:41], v[112:113], v[118:119]
	v_fma_f64 v[40:41], v[110:111], v[38:39], -v[40:41]
	v_mul_f64 v[110:111], v[110:111], v[118:119]
	v_add_f64 v[34:35], v[34:35], -v[40:41]
	v_fma_f64 v[110:111], v[112:113], v[38:39], v[110:111]
	v_add_f64 v[36:37], v[36:37], -v[110:111]
	ds_read2_b64 v[110:113], v1 offset0:38 offset1:39
	s_waitcnt lgkmcnt(0)
	v_mul_f64 v[40:41], v[112:113], v[118:119]
	v_fma_f64 v[40:41], v[110:111], v[38:39], -v[40:41]
	v_mul_f64 v[110:111], v[110:111], v[118:119]
	v_add_f64 v[30:31], v[30:31], -v[40:41]
	v_fma_f64 v[110:111], v[112:113], v[38:39], v[110:111]
	v_add_f64 v[32:33], v[32:33], -v[110:111]
	;; [unrolled: 8-line block ×8, first 2 shown]
	ds_read2_b64 v[110:113], v1 offset0:52 offset1:53
	s_waitcnt lgkmcnt(0)
	v_mul_f64 v[40:41], v[112:113], v[118:119]
	v_fma_f64 v[40:41], v[110:111], v[38:39], -v[40:41]
	v_mul_f64 v[110:111], v[110:111], v[118:119]
	v_add_f64 v[2:3], v[2:3], -v[40:41]
	v_fma_f64 v[110:111], v[112:113], v[38:39], v[110:111]
	v_mov_b32_e32 v40, v118
	v_mov_b32_e32 v41, v119
	v_add_f64 v[4:5], v[4:5], -v[110:111]
.LBB52_377:
	s_or_b32 exec_lo, exec_lo, s0
	v_lshl_add_u32 v110, v124, 4, v1
	s_barrier
	buffer_gl0_inv
	v_mov_b32_e32 v118, 18
	ds_write2_b64 v110, v[34:35], v[36:37] offset1:1
	s_waitcnt lgkmcnt(0)
	s_barrier
	buffer_gl0_inv
	ds_read2_b64 v[110:113], v1 offset0:36 offset1:37
	s_cmp_lt_i32 s18, 20
	s_cbranch_scc1 .LBB52_380
; %bb.378:
	v_add3_u32 v119, v120, 0, 0x130
	v_mov_b32_e32 v118, 18
	s_mov_b32 s1, 19
	s_inst_prefetch 0x1
	.p2align	6
.LBB52_379:                             ; =>This Inner Loop Header: Depth=1
	s_waitcnt lgkmcnt(0)
	v_cmp_gt_f64_e32 vcc_lo, 0, v[112:113]
	v_cmp_gt_f64_e64 s0, 0, v[110:111]
	ds_read2_b64 v[125:128], v119 offset1:1
	v_xor_b32_e32 v130, 0x80000000, v111
	v_xor_b32_e32 v132, 0x80000000, v113
	v_mov_b32_e32 v129, v110
	v_mov_b32_e32 v131, v112
	v_add_nc_u32_e32 v119, 16, v119
	s_waitcnt lgkmcnt(0)
	v_xor_b32_e32 v134, 0x80000000, v128
	v_cndmask_b32_e64 v130, v111, v130, s0
	v_cndmask_b32_e32 v132, v113, v132, vcc_lo
	v_cmp_gt_f64_e32 vcc_lo, 0, v[127:128]
	v_cmp_gt_f64_e64 s0, 0, v[125:126]
	v_mov_b32_e32 v133, v127
	v_add_f64 v[129:130], v[129:130], v[131:132]
	v_xor_b32_e32 v132, 0x80000000, v126
	v_mov_b32_e32 v131, v125
	v_cndmask_b32_e32 v134, v128, v134, vcc_lo
	v_cndmask_b32_e64 v132, v126, v132, s0
	v_add_f64 v[131:132], v[131:132], v[133:134]
	v_cmp_lt_f64_e32 vcc_lo, v[129:130], v[131:132]
	v_cndmask_b32_e32 v111, v111, v126, vcc_lo
	v_cndmask_b32_e32 v110, v110, v125, vcc_lo
	;; [unrolled: 1-line block ×4, first 2 shown]
	v_cndmask_b32_e64 v118, v118, s1, vcc_lo
	s_add_i32 s1, s1, 1
	s_cmp_lg_u32 s18, s1
	s_cbranch_scc1 .LBB52_379
.LBB52_380:
	s_inst_prefetch 0x2
	s_waitcnt lgkmcnt(0)
	v_cmp_eq_f64_e32 vcc_lo, 0, v[110:111]
	v_cmp_eq_f64_e64 s0, 0, v[112:113]
	s_and_b32 s0, vcc_lo, s0
	s_and_saveexec_b32 s1, s0
	s_xor_b32 s0, exec_lo, s1
; %bb.381:
	v_cmp_ne_u32_e32 vcc_lo, 0, v123
	v_cndmask_b32_e32 v123, 19, v123, vcc_lo
; %bb.382:
	s_andn2_saveexec_b32 s0, s0
	s_cbranch_execz .LBB52_388
; %bb.383:
	v_cmp_ngt_f64_e64 s1, |v[110:111]|, |v[112:113]|
	s_and_saveexec_b32 s2, s1
	s_xor_b32 s1, exec_lo, s2
	s_cbranch_execz .LBB52_385
; %bb.384:
	v_div_scale_f64 v[125:126], null, v[112:113], v[112:113], v[110:111]
	v_div_scale_f64 v[131:132], vcc_lo, v[110:111], v[112:113], v[110:111]
	v_rcp_f64_e32 v[127:128], v[125:126]
	v_fma_f64 v[129:130], -v[125:126], v[127:128], 1.0
	v_fma_f64 v[127:128], v[127:128], v[129:130], v[127:128]
	v_fma_f64 v[129:130], -v[125:126], v[127:128], 1.0
	v_fma_f64 v[127:128], v[127:128], v[129:130], v[127:128]
	v_mul_f64 v[129:130], v[131:132], v[127:128]
	v_fma_f64 v[125:126], -v[125:126], v[129:130], v[131:132]
	v_div_fmas_f64 v[125:126], v[125:126], v[127:128], v[129:130]
	v_div_fixup_f64 v[125:126], v[125:126], v[112:113], v[110:111]
	v_fma_f64 v[110:111], v[110:111], v[125:126], v[112:113]
	v_div_scale_f64 v[112:113], null, v[110:111], v[110:111], 1.0
	v_rcp_f64_e32 v[127:128], v[112:113]
	v_fma_f64 v[129:130], -v[112:113], v[127:128], 1.0
	v_fma_f64 v[127:128], v[127:128], v[129:130], v[127:128]
	v_fma_f64 v[129:130], -v[112:113], v[127:128], 1.0
	v_fma_f64 v[127:128], v[127:128], v[129:130], v[127:128]
	v_div_scale_f64 v[129:130], vcc_lo, 1.0, v[110:111], 1.0
	v_mul_f64 v[131:132], v[129:130], v[127:128]
	v_fma_f64 v[112:113], -v[112:113], v[131:132], v[129:130]
	v_div_fmas_f64 v[112:113], v[112:113], v[127:128], v[131:132]
	v_div_fixup_f64 v[112:113], v[112:113], v[110:111], 1.0
	v_mul_f64 v[110:111], v[125:126], v[112:113]
	v_xor_b32_e32 v113, 0x80000000, v113
.LBB52_385:
	s_andn2_saveexec_b32 s1, s1
	s_cbranch_execz .LBB52_387
; %bb.386:
	v_div_scale_f64 v[125:126], null, v[110:111], v[110:111], v[112:113]
	v_div_scale_f64 v[131:132], vcc_lo, v[112:113], v[110:111], v[112:113]
	v_rcp_f64_e32 v[127:128], v[125:126]
	v_fma_f64 v[129:130], -v[125:126], v[127:128], 1.0
	v_fma_f64 v[127:128], v[127:128], v[129:130], v[127:128]
	v_fma_f64 v[129:130], -v[125:126], v[127:128], 1.0
	v_fma_f64 v[127:128], v[127:128], v[129:130], v[127:128]
	v_mul_f64 v[129:130], v[131:132], v[127:128]
	v_fma_f64 v[125:126], -v[125:126], v[129:130], v[131:132]
	v_div_fmas_f64 v[125:126], v[125:126], v[127:128], v[129:130]
	v_div_fixup_f64 v[125:126], v[125:126], v[110:111], v[112:113]
	v_fma_f64 v[110:111], v[112:113], v[125:126], v[110:111]
	v_div_scale_f64 v[112:113], null, v[110:111], v[110:111], 1.0
	v_rcp_f64_e32 v[127:128], v[112:113]
	v_fma_f64 v[129:130], -v[112:113], v[127:128], 1.0
	v_fma_f64 v[127:128], v[127:128], v[129:130], v[127:128]
	v_fma_f64 v[129:130], -v[112:113], v[127:128], 1.0
	v_fma_f64 v[127:128], v[127:128], v[129:130], v[127:128]
	v_div_scale_f64 v[129:130], vcc_lo, 1.0, v[110:111], 1.0
	v_mul_f64 v[131:132], v[129:130], v[127:128]
	v_fma_f64 v[112:113], -v[112:113], v[131:132], v[129:130]
	v_div_fmas_f64 v[112:113], v[112:113], v[127:128], v[131:132]
	v_div_fixup_f64 v[110:111], v[112:113], v[110:111], 1.0
	v_mul_f64 v[112:113], v[125:126], -v[110:111]
.LBB52_387:
	s_or_b32 exec_lo, exec_lo, s1
.LBB52_388:
	s_or_b32 exec_lo, exec_lo, s0
	s_mov_b32 s0, exec_lo
	v_cmpx_ne_u32_e64 v124, v118
	s_xor_b32 s0, exec_lo, s0
	s_cbranch_execz .LBB52_394
; %bb.389:
	s_mov_b32 s1, exec_lo
	v_cmpx_eq_u32_e32 18, v124
	s_cbranch_execz .LBB52_393
; %bb.390:
	v_cmp_ne_u32_e32 vcc_lo, 18, v118
	s_xor_b32 s2, s16, -1
	s_and_b32 s3, s2, vcc_lo
	s_and_saveexec_b32 s2, s3
	s_cbranch_execz .LBB52_392
; %bb.391:
	v_ashrrev_i32_e32 v119, 31, v118
	v_lshlrev_b64 v[124:125], 2, v[118:119]
	v_add_co_u32 v124, vcc_lo, v116, v124
	v_add_co_ci_u32_e64 v125, null, v117, v125, vcc_lo
	s_clause 0x1
	global_load_dword v0, v[124:125], off
	global_load_dword v119, v[116:117], off offset:72
	s_waitcnt vmcnt(1)
	global_store_dword v[116:117], v0, off offset:72
	s_waitcnt vmcnt(0)
	global_store_dword v[124:125], v119, off
.LBB52_392:
	s_or_b32 exec_lo, exec_lo, s2
	v_mov_b32_e32 v124, v118
	v_mov_b32_e32 v0, v118
.LBB52_393:
	s_or_b32 exec_lo, exec_lo, s1
.LBB52_394:
	s_andn2_saveexec_b32 s0, s0
	s_cbranch_execz .LBB52_396
; %bb.395:
	v_mov_b32_e32 v124, 18
	ds_write2_b64 v1, v[30:31], v[32:33] offset0:38 offset1:39
	ds_write2_b64 v1, v[26:27], v[28:29] offset0:40 offset1:41
	;; [unrolled: 1-line block ×8, first 2 shown]
.LBB52_396:
	s_or_b32 exec_lo, exec_lo, s0
	s_mov_b32 s0, exec_lo
	s_waitcnt lgkmcnt(0)
	s_waitcnt_vscnt null, 0x0
	s_barrier
	buffer_gl0_inv
	v_cmpx_lt_i32_e32 18, v124
	s_cbranch_execz .LBB52_398
; %bb.397:
	v_mul_f64 v[118:119], v[110:111], v[36:37]
	v_mul_f64 v[36:37], v[112:113], v[36:37]
	v_fma_f64 v[118:119], v[112:113], v[34:35], v[118:119]
	v_fma_f64 v[34:35], v[110:111], v[34:35], -v[36:37]
	ds_read2_b64 v[110:113], v1 offset0:38 offset1:39
	s_waitcnt lgkmcnt(0)
	v_mul_f64 v[36:37], v[112:113], v[118:119]
	v_fma_f64 v[36:37], v[110:111], v[34:35], -v[36:37]
	v_mul_f64 v[110:111], v[110:111], v[118:119]
	v_add_f64 v[30:31], v[30:31], -v[36:37]
	v_fma_f64 v[110:111], v[112:113], v[34:35], v[110:111]
	v_add_f64 v[32:33], v[32:33], -v[110:111]
	ds_read2_b64 v[110:113], v1 offset0:40 offset1:41
	s_waitcnt lgkmcnt(0)
	v_mul_f64 v[36:37], v[112:113], v[118:119]
	v_fma_f64 v[36:37], v[110:111], v[34:35], -v[36:37]
	v_mul_f64 v[110:111], v[110:111], v[118:119]
	v_add_f64 v[26:27], v[26:27], -v[36:37]
	v_fma_f64 v[110:111], v[112:113], v[34:35], v[110:111]
	v_add_f64 v[28:29], v[28:29], -v[110:111]
	;; [unrolled: 8-line block ×7, first 2 shown]
	ds_read2_b64 v[110:113], v1 offset0:52 offset1:53
	s_waitcnt lgkmcnt(0)
	v_mul_f64 v[36:37], v[112:113], v[118:119]
	v_fma_f64 v[36:37], v[110:111], v[34:35], -v[36:37]
	v_mul_f64 v[110:111], v[110:111], v[118:119]
	v_add_f64 v[2:3], v[2:3], -v[36:37]
	v_fma_f64 v[110:111], v[112:113], v[34:35], v[110:111]
	v_mov_b32_e32 v36, v118
	v_mov_b32_e32 v37, v119
	v_add_f64 v[4:5], v[4:5], -v[110:111]
.LBB52_398:
	s_or_b32 exec_lo, exec_lo, s0
	v_lshl_add_u32 v110, v124, 4, v1
	s_barrier
	buffer_gl0_inv
	v_mov_b32_e32 v118, 19
	ds_write2_b64 v110, v[30:31], v[32:33] offset1:1
	s_waitcnt lgkmcnt(0)
	s_barrier
	buffer_gl0_inv
	ds_read2_b64 v[110:113], v1 offset0:38 offset1:39
	s_cmp_lt_i32 s18, 21
	s_cbranch_scc1 .LBB52_401
; %bb.399:
	v_add3_u32 v119, v120, 0, 0x140
	v_mov_b32_e32 v118, 19
	s_mov_b32 s1, 20
	s_inst_prefetch 0x1
	.p2align	6
.LBB52_400:                             ; =>This Inner Loop Header: Depth=1
	s_waitcnt lgkmcnt(0)
	v_cmp_gt_f64_e32 vcc_lo, 0, v[112:113]
	v_cmp_gt_f64_e64 s0, 0, v[110:111]
	ds_read2_b64 v[125:128], v119 offset1:1
	v_xor_b32_e32 v130, 0x80000000, v111
	v_xor_b32_e32 v132, 0x80000000, v113
	v_mov_b32_e32 v129, v110
	v_mov_b32_e32 v131, v112
	v_add_nc_u32_e32 v119, 16, v119
	s_waitcnt lgkmcnt(0)
	v_xor_b32_e32 v134, 0x80000000, v128
	v_cndmask_b32_e64 v130, v111, v130, s0
	v_cndmask_b32_e32 v132, v113, v132, vcc_lo
	v_cmp_gt_f64_e32 vcc_lo, 0, v[127:128]
	v_cmp_gt_f64_e64 s0, 0, v[125:126]
	v_mov_b32_e32 v133, v127
	v_add_f64 v[129:130], v[129:130], v[131:132]
	v_xor_b32_e32 v132, 0x80000000, v126
	v_mov_b32_e32 v131, v125
	v_cndmask_b32_e32 v134, v128, v134, vcc_lo
	v_cndmask_b32_e64 v132, v126, v132, s0
	v_add_f64 v[131:132], v[131:132], v[133:134]
	v_cmp_lt_f64_e32 vcc_lo, v[129:130], v[131:132]
	v_cndmask_b32_e32 v111, v111, v126, vcc_lo
	v_cndmask_b32_e32 v110, v110, v125, vcc_lo
	;; [unrolled: 1-line block ×4, first 2 shown]
	v_cndmask_b32_e64 v118, v118, s1, vcc_lo
	s_add_i32 s1, s1, 1
	s_cmp_lg_u32 s18, s1
	s_cbranch_scc1 .LBB52_400
.LBB52_401:
	s_inst_prefetch 0x2
	s_waitcnt lgkmcnt(0)
	v_cmp_eq_f64_e32 vcc_lo, 0, v[110:111]
	v_cmp_eq_f64_e64 s0, 0, v[112:113]
	s_and_b32 s0, vcc_lo, s0
	s_and_saveexec_b32 s1, s0
	s_xor_b32 s0, exec_lo, s1
; %bb.402:
	v_cmp_ne_u32_e32 vcc_lo, 0, v123
	v_cndmask_b32_e32 v123, 20, v123, vcc_lo
; %bb.403:
	s_andn2_saveexec_b32 s0, s0
	s_cbranch_execz .LBB52_409
; %bb.404:
	v_cmp_ngt_f64_e64 s1, |v[110:111]|, |v[112:113]|
	s_and_saveexec_b32 s2, s1
	s_xor_b32 s1, exec_lo, s2
	s_cbranch_execz .LBB52_406
; %bb.405:
	v_div_scale_f64 v[125:126], null, v[112:113], v[112:113], v[110:111]
	v_div_scale_f64 v[131:132], vcc_lo, v[110:111], v[112:113], v[110:111]
	v_rcp_f64_e32 v[127:128], v[125:126]
	v_fma_f64 v[129:130], -v[125:126], v[127:128], 1.0
	v_fma_f64 v[127:128], v[127:128], v[129:130], v[127:128]
	v_fma_f64 v[129:130], -v[125:126], v[127:128], 1.0
	v_fma_f64 v[127:128], v[127:128], v[129:130], v[127:128]
	v_mul_f64 v[129:130], v[131:132], v[127:128]
	v_fma_f64 v[125:126], -v[125:126], v[129:130], v[131:132]
	v_div_fmas_f64 v[125:126], v[125:126], v[127:128], v[129:130]
	v_div_fixup_f64 v[125:126], v[125:126], v[112:113], v[110:111]
	v_fma_f64 v[110:111], v[110:111], v[125:126], v[112:113]
	v_div_scale_f64 v[112:113], null, v[110:111], v[110:111], 1.0
	v_rcp_f64_e32 v[127:128], v[112:113]
	v_fma_f64 v[129:130], -v[112:113], v[127:128], 1.0
	v_fma_f64 v[127:128], v[127:128], v[129:130], v[127:128]
	v_fma_f64 v[129:130], -v[112:113], v[127:128], 1.0
	v_fma_f64 v[127:128], v[127:128], v[129:130], v[127:128]
	v_div_scale_f64 v[129:130], vcc_lo, 1.0, v[110:111], 1.0
	v_mul_f64 v[131:132], v[129:130], v[127:128]
	v_fma_f64 v[112:113], -v[112:113], v[131:132], v[129:130]
	v_div_fmas_f64 v[112:113], v[112:113], v[127:128], v[131:132]
	v_div_fixup_f64 v[112:113], v[112:113], v[110:111], 1.0
	v_mul_f64 v[110:111], v[125:126], v[112:113]
	v_xor_b32_e32 v113, 0x80000000, v113
.LBB52_406:
	s_andn2_saveexec_b32 s1, s1
	s_cbranch_execz .LBB52_408
; %bb.407:
	v_div_scale_f64 v[125:126], null, v[110:111], v[110:111], v[112:113]
	v_div_scale_f64 v[131:132], vcc_lo, v[112:113], v[110:111], v[112:113]
	v_rcp_f64_e32 v[127:128], v[125:126]
	v_fma_f64 v[129:130], -v[125:126], v[127:128], 1.0
	v_fma_f64 v[127:128], v[127:128], v[129:130], v[127:128]
	v_fma_f64 v[129:130], -v[125:126], v[127:128], 1.0
	v_fma_f64 v[127:128], v[127:128], v[129:130], v[127:128]
	v_mul_f64 v[129:130], v[131:132], v[127:128]
	v_fma_f64 v[125:126], -v[125:126], v[129:130], v[131:132]
	v_div_fmas_f64 v[125:126], v[125:126], v[127:128], v[129:130]
	v_div_fixup_f64 v[125:126], v[125:126], v[110:111], v[112:113]
	v_fma_f64 v[110:111], v[112:113], v[125:126], v[110:111]
	v_div_scale_f64 v[112:113], null, v[110:111], v[110:111], 1.0
	v_rcp_f64_e32 v[127:128], v[112:113]
	v_fma_f64 v[129:130], -v[112:113], v[127:128], 1.0
	v_fma_f64 v[127:128], v[127:128], v[129:130], v[127:128]
	v_fma_f64 v[129:130], -v[112:113], v[127:128], 1.0
	v_fma_f64 v[127:128], v[127:128], v[129:130], v[127:128]
	v_div_scale_f64 v[129:130], vcc_lo, 1.0, v[110:111], 1.0
	v_mul_f64 v[131:132], v[129:130], v[127:128]
	v_fma_f64 v[112:113], -v[112:113], v[131:132], v[129:130]
	v_div_fmas_f64 v[112:113], v[112:113], v[127:128], v[131:132]
	v_div_fixup_f64 v[110:111], v[112:113], v[110:111], 1.0
	v_mul_f64 v[112:113], v[125:126], -v[110:111]
.LBB52_408:
	s_or_b32 exec_lo, exec_lo, s1
.LBB52_409:
	s_or_b32 exec_lo, exec_lo, s0
	s_mov_b32 s0, exec_lo
	v_cmpx_ne_u32_e64 v124, v118
	s_xor_b32 s0, exec_lo, s0
	s_cbranch_execz .LBB52_415
; %bb.410:
	s_mov_b32 s1, exec_lo
	v_cmpx_eq_u32_e32 19, v124
	s_cbranch_execz .LBB52_414
; %bb.411:
	v_cmp_ne_u32_e32 vcc_lo, 19, v118
	s_xor_b32 s2, s16, -1
	s_and_b32 s3, s2, vcc_lo
	s_and_saveexec_b32 s2, s3
	s_cbranch_execz .LBB52_413
; %bb.412:
	v_ashrrev_i32_e32 v119, 31, v118
	v_lshlrev_b64 v[124:125], 2, v[118:119]
	v_add_co_u32 v124, vcc_lo, v116, v124
	v_add_co_ci_u32_e64 v125, null, v117, v125, vcc_lo
	s_clause 0x1
	global_load_dword v0, v[124:125], off
	global_load_dword v119, v[116:117], off offset:76
	s_waitcnt vmcnt(1)
	global_store_dword v[116:117], v0, off offset:76
	s_waitcnt vmcnt(0)
	global_store_dword v[124:125], v119, off
.LBB52_413:
	s_or_b32 exec_lo, exec_lo, s2
	v_mov_b32_e32 v124, v118
	v_mov_b32_e32 v0, v118
.LBB52_414:
	s_or_b32 exec_lo, exec_lo, s1
.LBB52_415:
	s_andn2_saveexec_b32 s0, s0
	s_cbranch_execz .LBB52_417
; %bb.416:
	v_mov_b32_e32 v124, 19
	ds_write2_b64 v1, v[26:27], v[28:29] offset0:40 offset1:41
	ds_write2_b64 v1, v[22:23], v[24:25] offset0:42 offset1:43
	;; [unrolled: 1-line block ×7, first 2 shown]
.LBB52_417:
	s_or_b32 exec_lo, exec_lo, s0
	s_mov_b32 s0, exec_lo
	s_waitcnt lgkmcnt(0)
	s_waitcnt_vscnt null, 0x0
	s_barrier
	buffer_gl0_inv
	v_cmpx_lt_i32_e32 19, v124
	s_cbranch_execz .LBB52_419
; %bb.418:
	v_mul_f64 v[118:119], v[110:111], v[32:33]
	v_mul_f64 v[32:33], v[112:113], v[32:33]
	v_fma_f64 v[118:119], v[112:113], v[30:31], v[118:119]
	v_fma_f64 v[30:31], v[110:111], v[30:31], -v[32:33]
	ds_read2_b64 v[110:113], v1 offset0:40 offset1:41
	s_waitcnt lgkmcnt(0)
	v_mul_f64 v[32:33], v[112:113], v[118:119]
	v_fma_f64 v[32:33], v[110:111], v[30:31], -v[32:33]
	v_mul_f64 v[110:111], v[110:111], v[118:119]
	v_add_f64 v[26:27], v[26:27], -v[32:33]
	v_fma_f64 v[110:111], v[112:113], v[30:31], v[110:111]
	v_add_f64 v[28:29], v[28:29], -v[110:111]
	ds_read2_b64 v[110:113], v1 offset0:42 offset1:43
	s_waitcnt lgkmcnt(0)
	v_mul_f64 v[32:33], v[112:113], v[118:119]
	v_fma_f64 v[32:33], v[110:111], v[30:31], -v[32:33]
	v_mul_f64 v[110:111], v[110:111], v[118:119]
	v_add_f64 v[22:23], v[22:23], -v[32:33]
	v_fma_f64 v[110:111], v[112:113], v[30:31], v[110:111]
	v_add_f64 v[24:25], v[24:25], -v[110:111]
	;; [unrolled: 8-line block ×6, first 2 shown]
	ds_read2_b64 v[110:113], v1 offset0:52 offset1:53
	s_waitcnt lgkmcnt(0)
	v_mul_f64 v[32:33], v[112:113], v[118:119]
	v_fma_f64 v[32:33], v[110:111], v[30:31], -v[32:33]
	v_mul_f64 v[110:111], v[110:111], v[118:119]
	v_add_f64 v[2:3], v[2:3], -v[32:33]
	v_fma_f64 v[110:111], v[112:113], v[30:31], v[110:111]
	v_mov_b32_e32 v32, v118
	v_mov_b32_e32 v33, v119
	v_add_f64 v[4:5], v[4:5], -v[110:111]
.LBB52_419:
	s_or_b32 exec_lo, exec_lo, s0
	v_lshl_add_u32 v110, v124, 4, v1
	s_barrier
	buffer_gl0_inv
	v_mov_b32_e32 v118, 20
	ds_write2_b64 v110, v[26:27], v[28:29] offset1:1
	s_waitcnt lgkmcnt(0)
	s_barrier
	buffer_gl0_inv
	ds_read2_b64 v[110:113], v1 offset0:40 offset1:41
	s_cmp_lt_i32 s18, 22
	s_cbranch_scc1 .LBB52_422
; %bb.420:
	v_add3_u32 v119, v120, 0, 0x150
	v_mov_b32_e32 v118, 20
	s_mov_b32 s1, 21
	s_inst_prefetch 0x1
	.p2align	6
.LBB52_421:                             ; =>This Inner Loop Header: Depth=1
	s_waitcnt lgkmcnt(0)
	v_cmp_gt_f64_e32 vcc_lo, 0, v[112:113]
	v_cmp_gt_f64_e64 s0, 0, v[110:111]
	ds_read2_b64 v[125:128], v119 offset1:1
	v_xor_b32_e32 v130, 0x80000000, v111
	v_xor_b32_e32 v132, 0x80000000, v113
	v_mov_b32_e32 v129, v110
	v_mov_b32_e32 v131, v112
	v_add_nc_u32_e32 v119, 16, v119
	s_waitcnt lgkmcnt(0)
	v_xor_b32_e32 v134, 0x80000000, v128
	v_cndmask_b32_e64 v130, v111, v130, s0
	v_cndmask_b32_e32 v132, v113, v132, vcc_lo
	v_cmp_gt_f64_e32 vcc_lo, 0, v[127:128]
	v_cmp_gt_f64_e64 s0, 0, v[125:126]
	v_mov_b32_e32 v133, v127
	v_add_f64 v[129:130], v[129:130], v[131:132]
	v_xor_b32_e32 v132, 0x80000000, v126
	v_mov_b32_e32 v131, v125
	v_cndmask_b32_e32 v134, v128, v134, vcc_lo
	v_cndmask_b32_e64 v132, v126, v132, s0
	v_add_f64 v[131:132], v[131:132], v[133:134]
	v_cmp_lt_f64_e32 vcc_lo, v[129:130], v[131:132]
	v_cndmask_b32_e32 v111, v111, v126, vcc_lo
	v_cndmask_b32_e32 v110, v110, v125, vcc_lo
	;; [unrolled: 1-line block ×4, first 2 shown]
	v_cndmask_b32_e64 v118, v118, s1, vcc_lo
	s_add_i32 s1, s1, 1
	s_cmp_lg_u32 s18, s1
	s_cbranch_scc1 .LBB52_421
.LBB52_422:
	s_inst_prefetch 0x2
	s_waitcnt lgkmcnt(0)
	v_cmp_eq_f64_e32 vcc_lo, 0, v[110:111]
	v_cmp_eq_f64_e64 s0, 0, v[112:113]
	s_and_b32 s0, vcc_lo, s0
	s_and_saveexec_b32 s1, s0
	s_xor_b32 s0, exec_lo, s1
; %bb.423:
	v_cmp_ne_u32_e32 vcc_lo, 0, v123
	v_cndmask_b32_e32 v123, 21, v123, vcc_lo
; %bb.424:
	s_andn2_saveexec_b32 s0, s0
	s_cbranch_execz .LBB52_430
; %bb.425:
	v_cmp_ngt_f64_e64 s1, |v[110:111]|, |v[112:113]|
	s_and_saveexec_b32 s2, s1
	s_xor_b32 s1, exec_lo, s2
	s_cbranch_execz .LBB52_427
; %bb.426:
	v_div_scale_f64 v[125:126], null, v[112:113], v[112:113], v[110:111]
	v_div_scale_f64 v[131:132], vcc_lo, v[110:111], v[112:113], v[110:111]
	v_rcp_f64_e32 v[127:128], v[125:126]
	v_fma_f64 v[129:130], -v[125:126], v[127:128], 1.0
	v_fma_f64 v[127:128], v[127:128], v[129:130], v[127:128]
	v_fma_f64 v[129:130], -v[125:126], v[127:128], 1.0
	v_fma_f64 v[127:128], v[127:128], v[129:130], v[127:128]
	v_mul_f64 v[129:130], v[131:132], v[127:128]
	v_fma_f64 v[125:126], -v[125:126], v[129:130], v[131:132]
	v_div_fmas_f64 v[125:126], v[125:126], v[127:128], v[129:130]
	v_div_fixup_f64 v[125:126], v[125:126], v[112:113], v[110:111]
	v_fma_f64 v[110:111], v[110:111], v[125:126], v[112:113]
	v_div_scale_f64 v[112:113], null, v[110:111], v[110:111], 1.0
	v_rcp_f64_e32 v[127:128], v[112:113]
	v_fma_f64 v[129:130], -v[112:113], v[127:128], 1.0
	v_fma_f64 v[127:128], v[127:128], v[129:130], v[127:128]
	v_fma_f64 v[129:130], -v[112:113], v[127:128], 1.0
	v_fma_f64 v[127:128], v[127:128], v[129:130], v[127:128]
	v_div_scale_f64 v[129:130], vcc_lo, 1.0, v[110:111], 1.0
	v_mul_f64 v[131:132], v[129:130], v[127:128]
	v_fma_f64 v[112:113], -v[112:113], v[131:132], v[129:130]
	v_div_fmas_f64 v[112:113], v[112:113], v[127:128], v[131:132]
	v_div_fixup_f64 v[112:113], v[112:113], v[110:111], 1.0
	v_mul_f64 v[110:111], v[125:126], v[112:113]
	v_xor_b32_e32 v113, 0x80000000, v113
.LBB52_427:
	s_andn2_saveexec_b32 s1, s1
	s_cbranch_execz .LBB52_429
; %bb.428:
	v_div_scale_f64 v[125:126], null, v[110:111], v[110:111], v[112:113]
	v_div_scale_f64 v[131:132], vcc_lo, v[112:113], v[110:111], v[112:113]
	v_rcp_f64_e32 v[127:128], v[125:126]
	v_fma_f64 v[129:130], -v[125:126], v[127:128], 1.0
	v_fma_f64 v[127:128], v[127:128], v[129:130], v[127:128]
	v_fma_f64 v[129:130], -v[125:126], v[127:128], 1.0
	v_fma_f64 v[127:128], v[127:128], v[129:130], v[127:128]
	v_mul_f64 v[129:130], v[131:132], v[127:128]
	v_fma_f64 v[125:126], -v[125:126], v[129:130], v[131:132]
	v_div_fmas_f64 v[125:126], v[125:126], v[127:128], v[129:130]
	v_div_fixup_f64 v[125:126], v[125:126], v[110:111], v[112:113]
	v_fma_f64 v[110:111], v[112:113], v[125:126], v[110:111]
	v_div_scale_f64 v[112:113], null, v[110:111], v[110:111], 1.0
	v_rcp_f64_e32 v[127:128], v[112:113]
	v_fma_f64 v[129:130], -v[112:113], v[127:128], 1.0
	v_fma_f64 v[127:128], v[127:128], v[129:130], v[127:128]
	v_fma_f64 v[129:130], -v[112:113], v[127:128], 1.0
	v_fma_f64 v[127:128], v[127:128], v[129:130], v[127:128]
	v_div_scale_f64 v[129:130], vcc_lo, 1.0, v[110:111], 1.0
	v_mul_f64 v[131:132], v[129:130], v[127:128]
	v_fma_f64 v[112:113], -v[112:113], v[131:132], v[129:130]
	v_div_fmas_f64 v[112:113], v[112:113], v[127:128], v[131:132]
	v_div_fixup_f64 v[110:111], v[112:113], v[110:111], 1.0
	v_mul_f64 v[112:113], v[125:126], -v[110:111]
.LBB52_429:
	s_or_b32 exec_lo, exec_lo, s1
.LBB52_430:
	s_or_b32 exec_lo, exec_lo, s0
	s_mov_b32 s0, exec_lo
	v_cmpx_ne_u32_e64 v124, v118
	s_xor_b32 s0, exec_lo, s0
	s_cbranch_execz .LBB52_436
; %bb.431:
	s_mov_b32 s1, exec_lo
	v_cmpx_eq_u32_e32 20, v124
	s_cbranch_execz .LBB52_435
; %bb.432:
	v_cmp_ne_u32_e32 vcc_lo, 20, v118
	s_xor_b32 s2, s16, -1
	s_and_b32 s3, s2, vcc_lo
	s_and_saveexec_b32 s2, s3
	s_cbranch_execz .LBB52_434
; %bb.433:
	v_ashrrev_i32_e32 v119, 31, v118
	v_lshlrev_b64 v[124:125], 2, v[118:119]
	v_add_co_u32 v124, vcc_lo, v116, v124
	v_add_co_ci_u32_e64 v125, null, v117, v125, vcc_lo
	s_clause 0x1
	global_load_dword v0, v[124:125], off
	global_load_dword v119, v[116:117], off offset:80
	s_waitcnt vmcnt(1)
	global_store_dword v[116:117], v0, off offset:80
	s_waitcnt vmcnt(0)
	global_store_dword v[124:125], v119, off
.LBB52_434:
	s_or_b32 exec_lo, exec_lo, s2
	v_mov_b32_e32 v124, v118
	v_mov_b32_e32 v0, v118
.LBB52_435:
	s_or_b32 exec_lo, exec_lo, s1
.LBB52_436:
	s_andn2_saveexec_b32 s0, s0
	s_cbranch_execz .LBB52_438
; %bb.437:
	v_mov_b32_e32 v124, 20
	ds_write2_b64 v1, v[22:23], v[24:25] offset0:42 offset1:43
	ds_write2_b64 v1, v[18:19], v[20:21] offset0:44 offset1:45
	;; [unrolled: 1-line block ×6, first 2 shown]
.LBB52_438:
	s_or_b32 exec_lo, exec_lo, s0
	s_mov_b32 s0, exec_lo
	s_waitcnt lgkmcnt(0)
	s_waitcnt_vscnt null, 0x0
	s_barrier
	buffer_gl0_inv
	v_cmpx_lt_i32_e32 20, v124
	s_cbranch_execz .LBB52_440
; %bb.439:
	v_mul_f64 v[118:119], v[110:111], v[28:29]
	v_mul_f64 v[28:29], v[112:113], v[28:29]
	v_fma_f64 v[118:119], v[112:113], v[26:27], v[118:119]
	v_fma_f64 v[26:27], v[110:111], v[26:27], -v[28:29]
	ds_read2_b64 v[110:113], v1 offset0:42 offset1:43
	s_waitcnt lgkmcnt(0)
	v_mul_f64 v[28:29], v[112:113], v[118:119]
	v_fma_f64 v[28:29], v[110:111], v[26:27], -v[28:29]
	v_mul_f64 v[110:111], v[110:111], v[118:119]
	v_add_f64 v[22:23], v[22:23], -v[28:29]
	v_fma_f64 v[110:111], v[112:113], v[26:27], v[110:111]
	v_add_f64 v[24:25], v[24:25], -v[110:111]
	ds_read2_b64 v[110:113], v1 offset0:44 offset1:45
	s_waitcnt lgkmcnt(0)
	v_mul_f64 v[28:29], v[112:113], v[118:119]
	v_fma_f64 v[28:29], v[110:111], v[26:27], -v[28:29]
	v_mul_f64 v[110:111], v[110:111], v[118:119]
	v_add_f64 v[18:19], v[18:19], -v[28:29]
	v_fma_f64 v[110:111], v[112:113], v[26:27], v[110:111]
	v_add_f64 v[20:21], v[20:21], -v[110:111]
	;; [unrolled: 8-line block ×5, first 2 shown]
	ds_read2_b64 v[110:113], v1 offset0:52 offset1:53
	s_waitcnt lgkmcnt(0)
	v_mul_f64 v[28:29], v[112:113], v[118:119]
	v_fma_f64 v[28:29], v[110:111], v[26:27], -v[28:29]
	v_mul_f64 v[110:111], v[110:111], v[118:119]
	v_add_f64 v[2:3], v[2:3], -v[28:29]
	v_fma_f64 v[110:111], v[112:113], v[26:27], v[110:111]
	v_mov_b32_e32 v28, v118
	v_mov_b32_e32 v29, v119
	v_add_f64 v[4:5], v[4:5], -v[110:111]
.LBB52_440:
	s_or_b32 exec_lo, exec_lo, s0
	v_lshl_add_u32 v110, v124, 4, v1
	s_barrier
	buffer_gl0_inv
	v_mov_b32_e32 v118, 21
	ds_write2_b64 v110, v[22:23], v[24:25] offset1:1
	s_waitcnt lgkmcnt(0)
	s_barrier
	buffer_gl0_inv
	ds_read2_b64 v[110:113], v1 offset0:42 offset1:43
	s_cmp_lt_i32 s18, 23
	s_cbranch_scc1 .LBB52_443
; %bb.441:
	v_add3_u32 v119, v120, 0, 0x160
	v_mov_b32_e32 v118, 21
	s_mov_b32 s1, 22
	s_inst_prefetch 0x1
	.p2align	6
.LBB52_442:                             ; =>This Inner Loop Header: Depth=1
	s_waitcnt lgkmcnt(0)
	v_cmp_gt_f64_e32 vcc_lo, 0, v[112:113]
	v_cmp_gt_f64_e64 s0, 0, v[110:111]
	ds_read2_b64 v[125:128], v119 offset1:1
	v_xor_b32_e32 v130, 0x80000000, v111
	v_xor_b32_e32 v132, 0x80000000, v113
	v_mov_b32_e32 v129, v110
	v_mov_b32_e32 v131, v112
	v_add_nc_u32_e32 v119, 16, v119
	s_waitcnt lgkmcnt(0)
	v_xor_b32_e32 v134, 0x80000000, v128
	v_cndmask_b32_e64 v130, v111, v130, s0
	v_cndmask_b32_e32 v132, v113, v132, vcc_lo
	v_cmp_gt_f64_e32 vcc_lo, 0, v[127:128]
	v_cmp_gt_f64_e64 s0, 0, v[125:126]
	v_mov_b32_e32 v133, v127
	v_add_f64 v[129:130], v[129:130], v[131:132]
	v_xor_b32_e32 v132, 0x80000000, v126
	v_mov_b32_e32 v131, v125
	v_cndmask_b32_e32 v134, v128, v134, vcc_lo
	v_cndmask_b32_e64 v132, v126, v132, s0
	v_add_f64 v[131:132], v[131:132], v[133:134]
	v_cmp_lt_f64_e32 vcc_lo, v[129:130], v[131:132]
	v_cndmask_b32_e32 v111, v111, v126, vcc_lo
	v_cndmask_b32_e32 v110, v110, v125, vcc_lo
	;; [unrolled: 1-line block ×4, first 2 shown]
	v_cndmask_b32_e64 v118, v118, s1, vcc_lo
	s_add_i32 s1, s1, 1
	s_cmp_lg_u32 s18, s1
	s_cbranch_scc1 .LBB52_442
.LBB52_443:
	s_inst_prefetch 0x2
	s_waitcnt lgkmcnt(0)
	v_cmp_eq_f64_e32 vcc_lo, 0, v[110:111]
	v_cmp_eq_f64_e64 s0, 0, v[112:113]
	s_and_b32 s0, vcc_lo, s0
	s_and_saveexec_b32 s1, s0
	s_xor_b32 s0, exec_lo, s1
; %bb.444:
	v_cmp_ne_u32_e32 vcc_lo, 0, v123
	v_cndmask_b32_e32 v123, 22, v123, vcc_lo
; %bb.445:
	s_andn2_saveexec_b32 s0, s0
	s_cbranch_execz .LBB52_451
; %bb.446:
	v_cmp_ngt_f64_e64 s1, |v[110:111]|, |v[112:113]|
	s_and_saveexec_b32 s2, s1
	s_xor_b32 s1, exec_lo, s2
	s_cbranch_execz .LBB52_448
; %bb.447:
	v_div_scale_f64 v[125:126], null, v[112:113], v[112:113], v[110:111]
	v_div_scale_f64 v[131:132], vcc_lo, v[110:111], v[112:113], v[110:111]
	v_rcp_f64_e32 v[127:128], v[125:126]
	v_fma_f64 v[129:130], -v[125:126], v[127:128], 1.0
	v_fma_f64 v[127:128], v[127:128], v[129:130], v[127:128]
	v_fma_f64 v[129:130], -v[125:126], v[127:128], 1.0
	v_fma_f64 v[127:128], v[127:128], v[129:130], v[127:128]
	v_mul_f64 v[129:130], v[131:132], v[127:128]
	v_fma_f64 v[125:126], -v[125:126], v[129:130], v[131:132]
	v_div_fmas_f64 v[125:126], v[125:126], v[127:128], v[129:130]
	v_div_fixup_f64 v[125:126], v[125:126], v[112:113], v[110:111]
	v_fma_f64 v[110:111], v[110:111], v[125:126], v[112:113]
	v_div_scale_f64 v[112:113], null, v[110:111], v[110:111], 1.0
	v_rcp_f64_e32 v[127:128], v[112:113]
	v_fma_f64 v[129:130], -v[112:113], v[127:128], 1.0
	v_fma_f64 v[127:128], v[127:128], v[129:130], v[127:128]
	v_fma_f64 v[129:130], -v[112:113], v[127:128], 1.0
	v_fma_f64 v[127:128], v[127:128], v[129:130], v[127:128]
	v_div_scale_f64 v[129:130], vcc_lo, 1.0, v[110:111], 1.0
	v_mul_f64 v[131:132], v[129:130], v[127:128]
	v_fma_f64 v[112:113], -v[112:113], v[131:132], v[129:130]
	v_div_fmas_f64 v[112:113], v[112:113], v[127:128], v[131:132]
	v_div_fixup_f64 v[112:113], v[112:113], v[110:111], 1.0
	v_mul_f64 v[110:111], v[125:126], v[112:113]
	v_xor_b32_e32 v113, 0x80000000, v113
.LBB52_448:
	s_andn2_saveexec_b32 s1, s1
	s_cbranch_execz .LBB52_450
; %bb.449:
	v_div_scale_f64 v[125:126], null, v[110:111], v[110:111], v[112:113]
	v_div_scale_f64 v[131:132], vcc_lo, v[112:113], v[110:111], v[112:113]
	v_rcp_f64_e32 v[127:128], v[125:126]
	v_fma_f64 v[129:130], -v[125:126], v[127:128], 1.0
	v_fma_f64 v[127:128], v[127:128], v[129:130], v[127:128]
	v_fma_f64 v[129:130], -v[125:126], v[127:128], 1.0
	v_fma_f64 v[127:128], v[127:128], v[129:130], v[127:128]
	v_mul_f64 v[129:130], v[131:132], v[127:128]
	v_fma_f64 v[125:126], -v[125:126], v[129:130], v[131:132]
	v_div_fmas_f64 v[125:126], v[125:126], v[127:128], v[129:130]
	v_div_fixup_f64 v[125:126], v[125:126], v[110:111], v[112:113]
	v_fma_f64 v[110:111], v[112:113], v[125:126], v[110:111]
	v_div_scale_f64 v[112:113], null, v[110:111], v[110:111], 1.0
	v_rcp_f64_e32 v[127:128], v[112:113]
	v_fma_f64 v[129:130], -v[112:113], v[127:128], 1.0
	v_fma_f64 v[127:128], v[127:128], v[129:130], v[127:128]
	v_fma_f64 v[129:130], -v[112:113], v[127:128], 1.0
	v_fma_f64 v[127:128], v[127:128], v[129:130], v[127:128]
	v_div_scale_f64 v[129:130], vcc_lo, 1.0, v[110:111], 1.0
	v_mul_f64 v[131:132], v[129:130], v[127:128]
	v_fma_f64 v[112:113], -v[112:113], v[131:132], v[129:130]
	v_div_fmas_f64 v[112:113], v[112:113], v[127:128], v[131:132]
	v_div_fixup_f64 v[110:111], v[112:113], v[110:111], 1.0
	v_mul_f64 v[112:113], v[125:126], -v[110:111]
.LBB52_450:
	s_or_b32 exec_lo, exec_lo, s1
.LBB52_451:
	s_or_b32 exec_lo, exec_lo, s0
	s_mov_b32 s0, exec_lo
	v_cmpx_ne_u32_e64 v124, v118
	s_xor_b32 s0, exec_lo, s0
	s_cbranch_execz .LBB52_457
; %bb.452:
	s_mov_b32 s1, exec_lo
	v_cmpx_eq_u32_e32 21, v124
	s_cbranch_execz .LBB52_456
; %bb.453:
	v_cmp_ne_u32_e32 vcc_lo, 21, v118
	s_xor_b32 s2, s16, -1
	s_and_b32 s3, s2, vcc_lo
	s_and_saveexec_b32 s2, s3
	s_cbranch_execz .LBB52_455
; %bb.454:
	v_ashrrev_i32_e32 v119, 31, v118
	v_lshlrev_b64 v[124:125], 2, v[118:119]
	v_add_co_u32 v124, vcc_lo, v116, v124
	v_add_co_ci_u32_e64 v125, null, v117, v125, vcc_lo
	s_clause 0x1
	global_load_dword v0, v[124:125], off
	global_load_dword v119, v[116:117], off offset:84
	s_waitcnt vmcnt(1)
	global_store_dword v[116:117], v0, off offset:84
	s_waitcnt vmcnt(0)
	global_store_dword v[124:125], v119, off
.LBB52_455:
	s_or_b32 exec_lo, exec_lo, s2
	v_mov_b32_e32 v124, v118
	v_mov_b32_e32 v0, v118
.LBB52_456:
	s_or_b32 exec_lo, exec_lo, s1
.LBB52_457:
	s_andn2_saveexec_b32 s0, s0
	s_cbranch_execz .LBB52_459
; %bb.458:
	v_mov_b32_e32 v124, 21
	ds_write2_b64 v1, v[18:19], v[20:21] offset0:44 offset1:45
	ds_write2_b64 v1, v[14:15], v[16:17] offset0:46 offset1:47
	;; [unrolled: 1-line block ×5, first 2 shown]
.LBB52_459:
	s_or_b32 exec_lo, exec_lo, s0
	s_mov_b32 s0, exec_lo
	s_waitcnt lgkmcnt(0)
	s_waitcnt_vscnt null, 0x0
	s_barrier
	buffer_gl0_inv
	v_cmpx_lt_i32_e32 21, v124
	s_cbranch_execz .LBB52_461
; %bb.460:
	v_mul_f64 v[118:119], v[110:111], v[24:25]
	v_mul_f64 v[24:25], v[112:113], v[24:25]
	v_fma_f64 v[118:119], v[112:113], v[22:23], v[118:119]
	v_fma_f64 v[22:23], v[110:111], v[22:23], -v[24:25]
	ds_read2_b64 v[110:113], v1 offset0:44 offset1:45
	s_waitcnt lgkmcnt(0)
	v_mul_f64 v[24:25], v[112:113], v[118:119]
	v_fma_f64 v[24:25], v[110:111], v[22:23], -v[24:25]
	v_mul_f64 v[110:111], v[110:111], v[118:119]
	v_add_f64 v[18:19], v[18:19], -v[24:25]
	v_fma_f64 v[110:111], v[112:113], v[22:23], v[110:111]
	v_add_f64 v[20:21], v[20:21], -v[110:111]
	ds_read2_b64 v[110:113], v1 offset0:46 offset1:47
	s_waitcnt lgkmcnt(0)
	v_mul_f64 v[24:25], v[112:113], v[118:119]
	v_fma_f64 v[24:25], v[110:111], v[22:23], -v[24:25]
	v_mul_f64 v[110:111], v[110:111], v[118:119]
	v_add_f64 v[14:15], v[14:15], -v[24:25]
	v_fma_f64 v[110:111], v[112:113], v[22:23], v[110:111]
	v_add_f64 v[16:17], v[16:17], -v[110:111]
	;; [unrolled: 8-line block ×4, first 2 shown]
	ds_read2_b64 v[110:113], v1 offset0:52 offset1:53
	s_waitcnt lgkmcnt(0)
	v_mul_f64 v[24:25], v[112:113], v[118:119]
	v_fma_f64 v[24:25], v[110:111], v[22:23], -v[24:25]
	v_mul_f64 v[110:111], v[110:111], v[118:119]
	v_add_f64 v[2:3], v[2:3], -v[24:25]
	v_fma_f64 v[110:111], v[112:113], v[22:23], v[110:111]
	v_mov_b32_e32 v24, v118
	v_mov_b32_e32 v25, v119
	v_add_f64 v[4:5], v[4:5], -v[110:111]
.LBB52_461:
	s_or_b32 exec_lo, exec_lo, s0
	v_lshl_add_u32 v110, v124, 4, v1
	s_barrier
	buffer_gl0_inv
	v_mov_b32_e32 v118, 22
	ds_write2_b64 v110, v[18:19], v[20:21] offset1:1
	s_waitcnt lgkmcnt(0)
	s_barrier
	buffer_gl0_inv
	ds_read2_b64 v[110:113], v1 offset0:44 offset1:45
	s_cmp_lt_i32 s18, 24
	s_cbranch_scc1 .LBB52_464
; %bb.462:
	v_add3_u32 v119, v120, 0, 0x170
	v_mov_b32_e32 v118, 22
	s_mov_b32 s1, 23
	s_inst_prefetch 0x1
	.p2align	6
.LBB52_463:                             ; =>This Inner Loop Header: Depth=1
	s_waitcnt lgkmcnt(0)
	v_cmp_gt_f64_e32 vcc_lo, 0, v[112:113]
	v_cmp_gt_f64_e64 s0, 0, v[110:111]
	ds_read2_b64 v[125:128], v119 offset1:1
	v_xor_b32_e32 v130, 0x80000000, v111
	v_xor_b32_e32 v132, 0x80000000, v113
	v_mov_b32_e32 v129, v110
	v_mov_b32_e32 v131, v112
	v_add_nc_u32_e32 v119, 16, v119
	s_waitcnt lgkmcnt(0)
	v_xor_b32_e32 v134, 0x80000000, v128
	v_cndmask_b32_e64 v130, v111, v130, s0
	v_cndmask_b32_e32 v132, v113, v132, vcc_lo
	v_cmp_gt_f64_e32 vcc_lo, 0, v[127:128]
	v_cmp_gt_f64_e64 s0, 0, v[125:126]
	v_mov_b32_e32 v133, v127
	v_add_f64 v[129:130], v[129:130], v[131:132]
	v_xor_b32_e32 v132, 0x80000000, v126
	v_mov_b32_e32 v131, v125
	v_cndmask_b32_e32 v134, v128, v134, vcc_lo
	v_cndmask_b32_e64 v132, v126, v132, s0
	v_add_f64 v[131:132], v[131:132], v[133:134]
	v_cmp_lt_f64_e32 vcc_lo, v[129:130], v[131:132]
	v_cndmask_b32_e32 v111, v111, v126, vcc_lo
	v_cndmask_b32_e32 v110, v110, v125, vcc_lo
	;; [unrolled: 1-line block ×4, first 2 shown]
	v_cndmask_b32_e64 v118, v118, s1, vcc_lo
	s_add_i32 s1, s1, 1
	s_cmp_lg_u32 s18, s1
	s_cbranch_scc1 .LBB52_463
.LBB52_464:
	s_inst_prefetch 0x2
	s_waitcnt lgkmcnt(0)
	v_cmp_eq_f64_e32 vcc_lo, 0, v[110:111]
	v_cmp_eq_f64_e64 s0, 0, v[112:113]
	s_and_b32 s0, vcc_lo, s0
	s_and_saveexec_b32 s1, s0
	s_xor_b32 s0, exec_lo, s1
; %bb.465:
	v_cmp_ne_u32_e32 vcc_lo, 0, v123
	v_cndmask_b32_e32 v123, 23, v123, vcc_lo
; %bb.466:
	s_andn2_saveexec_b32 s0, s0
	s_cbranch_execz .LBB52_472
; %bb.467:
	v_cmp_ngt_f64_e64 s1, |v[110:111]|, |v[112:113]|
	s_and_saveexec_b32 s2, s1
	s_xor_b32 s1, exec_lo, s2
	s_cbranch_execz .LBB52_469
; %bb.468:
	v_div_scale_f64 v[125:126], null, v[112:113], v[112:113], v[110:111]
	v_div_scale_f64 v[131:132], vcc_lo, v[110:111], v[112:113], v[110:111]
	v_rcp_f64_e32 v[127:128], v[125:126]
	v_fma_f64 v[129:130], -v[125:126], v[127:128], 1.0
	v_fma_f64 v[127:128], v[127:128], v[129:130], v[127:128]
	v_fma_f64 v[129:130], -v[125:126], v[127:128], 1.0
	v_fma_f64 v[127:128], v[127:128], v[129:130], v[127:128]
	v_mul_f64 v[129:130], v[131:132], v[127:128]
	v_fma_f64 v[125:126], -v[125:126], v[129:130], v[131:132]
	v_div_fmas_f64 v[125:126], v[125:126], v[127:128], v[129:130]
	v_div_fixup_f64 v[125:126], v[125:126], v[112:113], v[110:111]
	v_fma_f64 v[110:111], v[110:111], v[125:126], v[112:113]
	v_div_scale_f64 v[112:113], null, v[110:111], v[110:111], 1.0
	v_rcp_f64_e32 v[127:128], v[112:113]
	v_fma_f64 v[129:130], -v[112:113], v[127:128], 1.0
	v_fma_f64 v[127:128], v[127:128], v[129:130], v[127:128]
	v_fma_f64 v[129:130], -v[112:113], v[127:128], 1.0
	v_fma_f64 v[127:128], v[127:128], v[129:130], v[127:128]
	v_div_scale_f64 v[129:130], vcc_lo, 1.0, v[110:111], 1.0
	v_mul_f64 v[131:132], v[129:130], v[127:128]
	v_fma_f64 v[112:113], -v[112:113], v[131:132], v[129:130]
	v_div_fmas_f64 v[112:113], v[112:113], v[127:128], v[131:132]
	v_div_fixup_f64 v[112:113], v[112:113], v[110:111], 1.0
	v_mul_f64 v[110:111], v[125:126], v[112:113]
	v_xor_b32_e32 v113, 0x80000000, v113
.LBB52_469:
	s_andn2_saveexec_b32 s1, s1
	s_cbranch_execz .LBB52_471
; %bb.470:
	v_div_scale_f64 v[125:126], null, v[110:111], v[110:111], v[112:113]
	v_div_scale_f64 v[131:132], vcc_lo, v[112:113], v[110:111], v[112:113]
	v_rcp_f64_e32 v[127:128], v[125:126]
	v_fma_f64 v[129:130], -v[125:126], v[127:128], 1.0
	v_fma_f64 v[127:128], v[127:128], v[129:130], v[127:128]
	v_fma_f64 v[129:130], -v[125:126], v[127:128], 1.0
	v_fma_f64 v[127:128], v[127:128], v[129:130], v[127:128]
	v_mul_f64 v[129:130], v[131:132], v[127:128]
	v_fma_f64 v[125:126], -v[125:126], v[129:130], v[131:132]
	v_div_fmas_f64 v[125:126], v[125:126], v[127:128], v[129:130]
	v_div_fixup_f64 v[125:126], v[125:126], v[110:111], v[112:113]
	v_fma_f64 v[110:111], v[112:113], v[125:126], v[110:111]
	v_div_scale_f64 v[112:113], null, v[110:111], v[110:111], 1.0
	v_rcp_f64_e32 v[127:128], v[112:113]
	v_fma_f64 v[129:130], -v[112:113], v[127:128], 1.0
	v_fma_f64 v[127:128], v[127:128], v[129:130], v[127:128]
	v_fma_f64 v[129:130], -v[112:113], v[127:128], 1.0
	v_fma_f64 v[127:128], v[127:128], v[129:130], v[127:128]
	v_div_scale_f64 v[129:130], vcc_lo, 1.0, v[110:111], 1.0
	v_mul_f64 v[131:132], v[129:130], v[127:128]
	v_fma_f64 v[112:113], -v[112:113], v[131:132], v[129:130]
	v_div_fmas_f64 v[112:113], v[112:113], v[127:128], v[131:132]
	v_div_fixup_f64 v[110:111], v[112:113], v[110:111], 1.0
	v_mul_f64 v[112:113], v[125:126], -v[110:111]
.LBB52_471:
	s_or_b32 exec_lo, exec_lo, s1
.LBB52_472:
	s_or_b32 exec_lo, exec_lo, s0
	s_mov_b32 s0, exec_lo
	v_cmpx_ne_u32_e64 v124, v118
	s_xor_b32 s0, exec_lo, s0
	s_cbranch_execz .LBB52_478
; %bb.473:
	s_mov_b32 s1, exec_lo
	v_cmpx_eq_u32_e32 22, v124
	s_cbranch_execz .LBB52_477
; %bb.474:
	v_cmp_ne_u32_e32 vcc_lo, 22, v118
	s_xor_b32 s2, s16, -1
	s_and_b32 s3, s2, vcc_lo
	s_and_saveexec_b32 s2, s3
	s_cbranch_execz .LBB52_476
; %bb.475:
	v_ashrrev_i32_e32 v119, 31, v118
	v_lshlrev_b64 v[124:125], 2, v[118:119]
	v_add_co_u32 v124, vcc_lo, v116, v124
	v_add_co_ci_u32_e64 v125, null, v117, v125, vcc_lo
	s_clause 0x1
	global_load_dword v0, v[124:125], off
	global_load_dword v119, v[116:117], off offset:88
	s_waitcnt vmcnt(1)
	global_store_dword v[116:117], v0, off offset:88
	s_waitcnt vmcnt(0)
	global_store_dword v[124:125], v119, off
.LBB52_476:
	s_or_b32 exec_lo, exec_lo, s2
	v_mov_b32_e32 v124, v118
	v_mov_b32_e32 v0, v118
.LBB52_477:
	s_or_b32 exec_lo, exec_lo, s1
.LBB52_478:
	s_andn2_saveexec_b32 s0, s0
	s_cbranch_execz .LBB52_480
; %bb.479:
	v_mov_b32_e32 v124, 22
	ds_write2_b64 v1, v[14:15], v[16:17] offset0:46 offset1:47
	ds_write2_b64 v1, v[10:11], v[12:13] offset0:48 offset1:49
	;; [unrolled: 1-line block ×4, first 2 shown]
.LBB52_480:
	s_or_b32 exec_lo, exec_lo, s0
	s_mov_b32 s0, exec_lo
	s_waitcnt lgkmcnt(0)
	s_waitcnt_vscnt null, 0x0
	s_barrier
	buffer_gl0_inv
	v_cmpx_lt_i32_e32 22, v124
	s_cbranch_execz .LBB52_482
; %bb.481:
	v_mul_f64 v[118:119], v[110:111], v[20:21]
	v_mul_f64 v[20:21], v[112:113], v[20:21]
	v_fma_f64 v[118:119], v[112:113], v[18:19], v[118:119]
	v_fma_f64 v[18:19], v[110:111], v[18:19], -v[20:21]
	ds_read2_b64 v[110:113], v1 offset0:46 offset1:47
	s_waitcnt lgkmcnt(0)
	v_mul_f64 v[20:21], v[112:113], v[118:119]
	v_fma_f64 v[20:21], v[110:111], v[18:19], -v[20:21]
	v_mul_f64 v[110:111], v[110:111], v[118:119]
	v_add_f64 v[14:15], v[14:15], -v[20:21]
	v_fma_f64 v[110:111], v[112:113], v[18:19], v[110:111]
	v_add_f64 v[16:17], v[16:17], -v[110:111]
	ds_read2_b64 v[110:113], v1 offset0:48 offset1:49
	s_waitcnt lgkmcnt(0)
	v_mul_f64 v[20:21], v[112:113], v[118:119]
	v_fma_f64 v[20:21], v[110:111], v[18:19], -v[20:21]
	v_mul_f64 v[110:111], v[110:111], v[118:119]
	v_add_f64 v[10:11], v[10:11], -v[20:21]
	v_fma_f64 v[110:111], v[112:113], v[18:19], v[110:111]
	v_add_f64 v[12:13], v[12:13], -v[110:111]
	;; [unrolled: 8-line block ×3, first 2 shown]
	ds_read2_b64 v[110:113], v1 offset0:52 offset1:53
	s_waitcnt lgkmcnt(0)
	v_mul_f64 v[20:21], v[112:113], v[118:119]
	v_fma_f64 v[20:21], v[110:111], v[18:19], -v[20:21]
	v_mul_f64 v[110:111], v[110:111], v[118:119]
	v_add_f64 v[2:3], v[2:3], -v[20:21]
	v_fma_f64 v[110:111], v[112:113], v[18:19], v[110:111]
	v_mov_b32_e32 v20, v118
	v_mov_b32_e32 v21, v119
	v_add_f64 v[4:5], v[4:5], -v[110:111]
.LBB52_482:
	s_or_b32 exec_lo, exec_lo, s0
	v_lshl_add_u32 v110, v124, 4, v1
	s_barrier
	buffer_gl0_inv
	v_mov_b32_e32 v118, 23
	ds_write2_b64 v110, v[14:15], v[16:17] offset1:1
	s_waitcnt lgkmcnt(0)
	s_barrier
	buffer_gl0_inv
	ds_read2_b64 v[110:113], v1 offset0:46 offset1:47
	s_cmp_lt_i32 s18, 25
	s_cbranch_scc1 .LBB52_485
; %bb.483:
	v_add3_u32 v119, v120, 0, 0x180
	v_mov_b32_e32 v118, 23
	s_mov_b32 s1, 24
	s_inst_prefetch 0x1
	.p2align	6
.LBB52_484:                             ; =>This Inner Loop Header: Depth=1
	s_waitcnt lgkmcnt(0)
	v_cmp_gt_f64_e32 vcc_lo, 0, v[112:113]
	v_cmp_gt_f64_e64 s0, 0, v[110:111]
	ds_read2_b64 v[125:128], v119 offset1:1
	v_xor_b32_e32 v130, 0x80000000, v111
	v_xor_b32_e32 v132, 0x80000000, v113
	v_mov_b32_e32 v129, v110
	v_mov_b32_e32 v131, v112
	v_add_nc_u32_e32 v119, 16, v119
	s_waitcnt lgkmcnt(0)
	v_xor_b32_e32 v134, 0x80000000, v128
	v_cndmask_b32_e64 v130, v111, v130, s0
	v_cndmask_b32_e32 v132, v113, v132, vcc_lo
	v_cmp_gt_f64_e32 vcc_lo, 0, v[127:128]
	v_cmp_gt_f64_e64 s0, 0, v[125:126]
	v_mov_b32_e32 v133, v127
	v_add_f64 v[129:130], v[129:130], v[131:132]
	v_xor_b32_e32 v132, 0x80000000, v126
	v_mov_b32_e32 v131, v125
	v_cndmask_b32_e32 v134, v128, v134, vcc_lo
	v_cndmask_b32_e64 v132, v126, v132, s0
	v_add_f64 v[131:132], v[131:132], v[133:134]
	v_cmp_lt_f64_e32 vcc_lo, v[129:130], v[131:132]
	v_cndmask_b32_e32 v111, v111, v126, vcc_lo
	v_cndmask_b32_e32 v110, v110, v125, vcc_lo
	;; [unrolled: 1-line block ×4, first 2 shown]
	v_cndmask_b32_e64 v118, v118, s1, vcc_lo
	s_add_i32 s1, s1, 1
	s_cmp_lg_u32 s18, s1
	s_cbranch_scc1 .LBB52_484
.LBB52_485:
	s_inst_prefetch 0x2
	s_waitcnt lgkmcnt(0)
	v_cmp_eq_f64_e32 vcc_lo, 0, v[110:111]
	v_cmp_eq_f64_e64 s0, 0, v[112:113]
	s_and_b32 s0, vcc_lo, s0
	s_and_saveexec_b32 s1, s0
	s_xor_b32 s0, exec_lo, s1
; %bb.486:
	v_cmp_ne_u32_e32 vcc_lo, 0, v123
	v_cndmask_b32_e32 v123, 24, v123, vcc_lo
; %bb.487:
	s_andn2_saveexec_b32 s0, s0
	s_cbranch_execz .LBB52_493
; %bb.488:
	v_cmp_ngt_f64_e64 s1, |v[110:111]|, |v[112:113]|
	s_and_saveexec_b32 s2, s1
	s_xor_b32 s1, exec_lo, s2
	s_cbranch_execz .LBB52_490
; %bb.489:
	v_div_scale_f64 v[125:126], null, v[112:113], v[112:113], v[110:111]
	v_div_scale_f64 v[131:132], vcc_lo, v[110:111], v[112:113], v[110:111]
	v_rcp_f64_e32 v[127:128], v[125:126]
	v_fma_f64 v[129:130], -v[125:126], v[127:128], 1.0
	v_fma_f64 v[127:128], v[127:128], v[129:130], v[127:128]
	v_fma_f64 v[129:130], -v[125:126], v[127:128], 1.0
	v_fma_f64 v[127:128], v[127:128], v[129:130], v[127:128]
	v_mul_f64 v[129:130], v[131:132], v[127:128]
	v_fma_f64 v[125:126], -v[125:126], v[129:130], v[131:132]
	v_div_fmas_f64 v[125:126], v[125:126], v[127:128], v[129:130]
	v_div_fixup_f64 v[125:126], v[125:126], v[112:113], v[110:111]
	v_fma_f64 v[110:111], v[110:111], v[125:126], v[112:113]
	v_div_scale_f64 v[112:113], null, v[110:111], v[110:111], 1.0
	v_rcp_f64_e32 v[127:128], v[112:113]
	v_fma_f64 v[129:130], -v[112:113], v[127:128], 1.0
	v_fma_f64 v[127:128], v[127:128], v[129:130], v[127:128]
	v_fma_f64 v[129:130], -v[112:113], v[127:128], 1.0
	v_fma_f64 v[127:128], v[127:128], v[129:130], v[127:128]
	v_div_scale_f64 v[129:130], vcc_lo, 1.0, v[110:111], 1.0
	v_mul_f64 v[131:132], v[129:130], v[127:128]
	v_fma_f64 v[112:113], -v[112:113], v[131:132], v[129:130]
	v_div_fmas_f64 v[112:113], v[112:113], v[127:128], v[131:132]
	v_div_fixup_f64 v[112:113], v[112:113], v[110:111], 1.0
	v_mul_f64 v[110:111], v[125:126], v[112:113]
	v_xor_b32_e32 v113, 0x80000000, v113
.LBB52_490:
	s_andn2_saveexec_b32 s1, s1
	s_cbranch_execz .LBB52_492
; %bb.491:
	v_div_scale_f64 v[125:126], null, v[110:111], v[110:111], v[112:113]
	v_div_scale_f64 v[131:132], vcc_lo, v[112:113], v[110:111], v[112:113]
	v_rcp_f64_e32 v[127:128], v[125:126]
	v_fma_f64 v[129:130], -v[125:126], v[127:128], 1.0
	v_fma_f64 v[127:128], v[127:128], v[129:130], v[127:128]
	v_fma_f64 v[129:130], -v[125:126], v[127:128], 1.0
	v_fma_f64 v[127:128], v[127:128], v[129:130], v[127:128]
	v_mul_f64 v[129:130], v[131:132], v[127:128]
	v_fma_f64 v[125:126], -v[125:126], v[129:130], v[131:132]
	v_div_fmas_f64 v[125:126], v[125:126], v[127:128], v[129:130]
	v_div_fixup_f64 v[125:126], v[125:126], v[110:111], v[112:113]
	v_fma_f64 v[110:111], v[112:113], v[125:126], v[110:111]
	v_div_scale_f64 v[112:113], null, v[110:111], v[110:111], 1.0
	v_rcp_f64_e32 v[127:128], v[112:113]
	v_fma_f64 v[129:130], -v[112:113], v[127:128], 1.0
	v_fma_f64 v[127:128], v[127:128], v[129:130], v[127:128]
	v_fma_f64 v[129:130], -v[112:113], v[127:128], 1.0
	v_fma_f64 v[127:128], v[127:128], v[129:130], v[127:128]
	v_div_scale_f64 v[129:130], vcc_lo, 1.0, v[110:111], 1.0
	v_mul_f64 v[131:132], v[129:130], v[127:128]
	v_fma_f64 v[112:113], -v[112:113], v[131:132], v[129:130]
	v_div_fmas_f64 v[112:113], v[112:113], v[127:128], v[131:132]
	v_div_fixup_f64 v[110:111], v[112:113], v[110:111], 1.0
	v_mul_f64 v[112:113], v[125:126], -v[110:111]
.LBB52_492:
	s_or_b32 exec_lo, exec_lo, s1
.LBB52_493:
	s_or_b32 exec_lo, exec_lo, s0
	s_mov_b32 s0, exec_lo
	v_cmpx_ne_u32_e64 v124, v118
	s_xor_b32 s0, exec_lo, s0
	s_cbranch_execz .LBB52_499
; %bb.494:
	s_mov_b32 s1, exec_lo
	v_cmpx_eq_u32_e32 23, v124
	s_cbranch_execz .LBB52_498
; %bb.495:
	v_cmp_ne_u32_e32 vcc_lo, 23, v118
	s_xor_b32 s2, s16, -1
	s_and_b32 s3, s2, vcc_lo
	s_and_saveexec_b32 s2, s3
	s_cbranch_execz .LBB52_497
; %bb.496:
	v_ashrrev_i32_e32 v119, 31, v118
	v_lshlrev_b64 v[124:125], 2, v[118:119]
	v_add_co_u32 v124, vcc_lo, v116, v124
	v_add_co_ci_u32_e64 v125, null, v117, v125, vcc_lo
	s_clause 0x1
	global_load_dword v0, v[124:125], off
	global_load_dword v119, v[116:117], off offset:92
	s_waitcnt vmcnt(1)
	global_store_dword v[116:117], v0, off offset:92
	s_waitcnt vmcnt(0)
	global_store_dword v[124:125], v119, off
.LBB52_497:
	s_or_b32 exec_lo, exec_lo, s2
	v_mov_b32_e32 v124, v118
	v_mov_b32_e32 v0, v118
.LBB52_498:
	s_or_b32 exec_lo, exec_lo, s1
.LBB52_499:
	s_andn2_saveexec_b32 s0, s0
	s_cbranch_execz .LBB52_501
; %bb.500:
	v_mov_b32_e32 v124, 23
	ds_write2_b64 v1, v[10:11], v[12:13] offset0:48 offset1:49
	ds_write2_b64 v1, v[6:7], v[8:9] offset0:50 offset1:51
	;; [unrolled: 1-line block ×3, first 2 shown]
.LBB52_501:
	s_or_b32 exec_lo, exec_lo, s0
	s_mov_b32 s0, exec_lo
	s_waitcnt lgkmcnt(0)
	s_waitcnt_vscnt null, 0x0
	s_barrier
	buffer_gl0_inv
	v_cmpx_lt_i32_e32 23, v124
	s_cbranch_execz .LBB52_503
; %bb.502:
	v_mul_f64 v[118:119], v[110:111], v[16:17]
	v_mul_f64 v[16:17], v[112:113], v[16:17]
	v_fma_f64 v[118:119], v[112:113], v[14:15], v[118:119]
	v_fma_f64 v[14:15], v[110:111], v[14:15], -v[16:17]
	ds_read2_b64 v[110:113], v1 offset0:48 offset1:49
	s_waitcnt lgkmcnt(0)
	v_mul_f64 v[16:17], v[112:113], v[118:119]
	v_fma_f64 v[16:17], v[110:111], v[14:15], -v[16:17]
	v_mul_f64 v[110:111], v[110:111], v[118:119]
	v_add_f64 v[10:11], v[10:11], -v[16:17]
	v_fma_f64 v[110:111], v[112:113], v[14:15], v[110:111]
	v_add_f64 v[12:13], v[12:13], -v[110:111]
	ds_read2_b64 v[110:113], v1 offset0:50 offset1:51
	s_waitcnt lgkmcnt(0)
	v_mul_f64 v[16:17], v[112:113], v[118:119]
	v_fma_f64 v[16:17], v[110:111], v[14:15], -v[16:17]
	v_mul_f64 v[110:111], v[110:111], v[118:119]
	v_add_f64 v[6:7], v[6:7], -v[16:17]
	v_fma_f64 v[110:111], v[112:113], v[14:15], v[110:111]
	v_add_f64 v[8:9], v[8:9], -v[110:111]
	ds_read2_b64 v[110:113], v1 offset0:52 offset1:53
	s_waitcnt lgkmcnt(0)
	v_mul_f64 v[16:17], v[112:113], v[118:119]
	v_fma_f64 v[16:17], v[110:111], v[14:15], -v[16:17]
	v_mul_f64 v[110:111], v[110:111], v[118:119]
	v_add_f64 v[2:3], v[2:3], -v[16:17]
	v_fma_f64 v[110:111], v[112:113], v[14:15], v[110:111]
	v_mov_b32_e32 v16, v118
	v_mov_b32_e32 v17, v119
	v_add_f64 v[4:5], v[4:5], -v[110:111]
.LBB52_503:
	s_or_b32 exec_lo, exec_lo, s0
	v_lshl_add_u32 v110, v124, 4, v1
	s_barrier
	buffer_gl0_inv
	v_mov_b32_e32 v118, 24
	ds_write2_b64 v110, v[10:11], v[12:13] offset1:1
	s_waitcnt lgkmcnt(0)
	s_barrier
	buffer_gl0_inv
	ds_read2_b64 v[110:113], v1 offset0:48 offset1:49
	s_cmp_lt_i32 s18, 26
	s_cbranch_scc1 .LBB52_506
; %bb.504:
	v_add3_u32 v119, v120, 0, 0x190
	v_mov_b32_e32 v118, 24
	s_mov_b32 s1, 25
	s_inst_prefetch 0x1
	.p2align	6
.LBB52_505:                             ; =>This Inner Loop Header: Depth=1
	s_waitcnt lgkmcnt(0)
	v_cmp_gt_f64_e32 vcc_lo, 0, v[112:113]
	v_cmp_gt_f64_e64 s0, 0, v[110:111]
	ds_read2_b64 v[125:128], v119 offset1:1
	v_xor_b32_e32 v130, 0x80000000, v111
	v_xor_b32_e32 v132, 0x80000000, v113
	v_mov_b32_e32 v129, v110
	v_mov_b32_e32 v131, v112
	v_add_nc_u32_e32 v119, 16, v119
	s_waitcnt lgkmcnt(0)
	v_xor_b32_e32 v134, 0x80000000, v128
	v_cndmask_b32_e64 v130, v111, v130, s0
	v_cndmask_b32_e32 v132, v113, v132, vcc_lo
	v_cmp_gt_f64_e32 vcc_lo, 0, v[127:128]
	v_cmp_gt_f64_e64 s0, 0, v[125:126]
	v_mov_b32_e32 v133, v127
	v_add_f64 v[129:130], v[129:130], v[131:132]
	v_xor_b32_e32 v132, 0x80000000, v126
	v_mov_b32_e32 v131, v125
	v_cndmask_b32_e32 v134, v128, v134, vcc_lo
	v_cndmask_b32_e64 v132, v126, v132, s0
	v_add_f64 v[131:132], v[131:132], v[133:134]
	v_cmp_lt_f64_e32 vcc_lo, v[129:130], v[131:132]
	v_cndmask_b32_e32 v111, v111, v126, vcc_lo
	v_cndmask_b32_e32 v110, v110, v125, vcc_lo
	;; [unrolled: 1-line block ×4, first 2 shown]
	v_cndmask_b32_e64 v118, v118, s1, vcc_lo
	s_add_i32 s1, s1, 1
	s_cmp_lg_u32 s18, s1
	s_cbranch_scc1 .LBB52_505
.LBB52_506:
	s_inst_prefetch 0x2
	s_waitcnt lgkmcnt(0)
	v_cmp_eq_f64_e32 vcc_lo, 0, v[110:111]
	v_cmp_eq_f64_e64 s0, 0, v[112:113]
	s_and_b32 s0, vcc_lo, s0
	s_and_saveexec_b32 s1, s0
	s_xor_b32 s0, exec_lo, s1
; %bb.507:
	v_cmp_ne_u32_e32 vcc_lo, 0, v123
	v_cndmask_b32_e32 v123, 25, v123, vcc_lo
; %bb.508:
	s_andn2_saveexec_b32 s0, s0
	s_cbranch_execz .LBB52_514
; %bb.509:
	v_cmp_ngt_f64_e64 s1, |v[110:111]|, |v[112:113]|
	s_and_saveexec_b32 s2, s1
	s_xor_b32 s1, exec_lo, s2
	s_cbranch_execz .LBB52_511
; %bb.510:
	v_div_scale_f64 v[125:126], null, v[112:113], v[112:113], v[110:111]
	v_div_scale_f64 v[131:132], vcc_lo, v[110:111], v[112:113], v[110:111]
	v_rcp_f64_e32 v[127:128], v[125:126]
	v_fma_f64 v[129:130], -v[125:126], v[127:128], 1.0
	v_fma_f64 v[127:128], v[127:128], v[129:130], v[127:128]
	v_fma_f64 v[129:130], -v[125:126], v[127:128], 1.0
	v_fma_f64 v[127:128], v[127:128], v[129:130], v[127:128]
	v_mul_f64 v[129:130], v[131:132], v[127:128]
	v_fma_f64 v[125:126], -v[125:126], v[129:130], v[131:132]
	v_div_fmas_f64 v[125:126], v[125:126], v[127:128], v[129:130]
	v_div_fixup_f64 v[125:126], v[125:126], v[112:113], v[110:111]
	v_fma_f64 v[110:111], v[110:111], v[125:126], v[112:113]
	v_div_scale_f64 v[112:113], null, v[110:111], v[110:111], 1.0
	v_rcp_f64_e32 v[127:128], v[112:113]
	v_fma_f64 v[129:130], -v[112:113], v[127:128], 1.0
	v_fma_f64 v[127:128], v[127:128], v[129:130], v[127:128]
	v_fma_f64 v[129:130], -v[112:113], v[127:128], 1.0
	v_fma_f64 v[127:128], v[127:128], v[129:130], v[127:128]
	v_div_scale_f64 v[129:130], vcc_lo, 1.0, v[110:111], 1.0
	v_mul_f64 v[131:132], v[129:130], v[127:128]
	v_fma_f64 v[112:113], -v[112:113], v[131:132], v[129:130]
	v_div_fmas_f64 v[112:113], v[112:113], v[127:128], v[131:132]
	v_div_fixup_f64 v[112:113], v[112:113], v[110:111], 1.0
	v_mul_f64 v[110:111], v[125:126], v[112:113]
	v_xor_b32_e32 v113, 0x80000000, v113
.LBB52_511:
	s_andn2_saveexec_b32 s1, s1
	s_cbranch_execz .LBB52_513
; %bb.512:
	v_div_scale_f64 v[125:126], null, v[110:111], v[110:111], v[112:113]
	v_div_scale_f64 v[131:132], vcc_lo, v[112:113], v[110:111], v[112:113]
	v_rcp_f64_e32 v[127:128], v[125:126]
	v_fma_f64 v[129:130], -v[125:126], v[127:128], 1.0
	v_fma_f64 v[127:128], v[127:128], v[129:130], v[127:128]
	v_fma_f64 v[129:130], -v[125:126], v[127:128], 1.0
	v_fma_f64 v[127:128], v[127:128], v[129:130], v[127:128]
	v_mul_f64 v[129:130], v[131:132], v[127:128]
	v_fma_f64 v[125:126], -v[125:126], v[129:130], v[131:132]
	v_div_fmas_f64 v[125:126], v[125:126], v[127:128], v[129:130]
	v_div_fixup_f64 v[125:126], v[125:126], v[110:111], v[112:113]
	v_fma_f64 v[110:111], v[112:113], v[125:126], v[110:111]
	v_div_scale_f64 v[112:113], null, v[110:111], v[110:111], 1.0
	v_rcp_f64_e32 v[127:128], v[112:113]
	v_fma_f64 v[129:130], -v[112:113], v[127:128], 1.0
	v_fma_f64 v[127:128], v[127:128], v[129:130], v[127:128]
	v_fma_f64 v[129:130], -v[112:113], v[127:128], 1.0
	v_fma_f64 v[127:128], v[127:128], v[129:130], v[127:128]
	v_div_scale_f64 v[129:130], vcc_lo, 1.0, v[110:111], 1.0
	v_mul_f64 v[131:132], v[129:130], v[127:128]
	v_fma_f64 v[112:113], -v[112:113], v[131:132], v[129:130]
	v_div_fmas_f64 v[112:113], v[112:113], v[127:128], v[131:132]
	v_div_fixup_f64 v[110:111], v[112:113], v[110:111], 1.0
	v_mul_f64 v[112:113], v[125:126], -v[110:111]
.LBB52_513:
	s_or_b32 exec_lo, exec_lo, s1
.LBB52_514:
	s_or_b32 exec_lo, exec_lo, s0
	s_mov_b32 s0, exec_lo
	v_cmpx_ne_u32_e64 v124, v118
	s_xor_b32 s0, exec_lo, s0
	s_cbranch_execz .LBB52_520
; %bb.515:
	s_mov_b32 s1, exec_lo
	v_cmpx_eq_u32_e32 24, v124
	s_cbranch_execz .LBB52_519
; %bb.516:
	v_cmp_ne_u32_e32 vcc_lo, 24, v118
	s_xor_b32 s2, s16, -1
	s_and_b32 s3, s2, vcc_lo
	s_and_saveexec_b32 s2, s3
	s_cbranch_execz .LBB52_518
; %bb.517:
	v_ashrrev_i32_e32 v119, 31, v118
	v_lshlrev_b64 v[124:125], 2, v[118:119]
	v_add_co_u32 v124, vcc_lo, v116, v124
	v_add_co_ci_u32_e64 v125, null, v117, v125, vcc_lo
	s_clause 0x1
	global_load_dword v0, v[124:125], off
	global_load_dword v119, v[116:117], off offset:96
	s_waitcnt vmcnt(1)
	global_store_dword v[116:117], v0, off offset:96
	s_waitcnt vmcnt(0)
	global_store_dword v[124:125], v119, off
.LBB52_518:
	s_or_b32 exec_lo, exec_lo, s2
	v_mov_b32_e32 v124, v118
	v_mov_b32_e32 v0, v118
.LBB52_519:
	s_or_b32 exec_lo, exec_lo, s1
.LBB52_520:
	s_andn2_saveexec_b32 s0, s0
	s_cbranch_execz .LBB52_522
; %bb.521:
	v_mov_b32_e32 v124, 24
	ds_write2_b64 v1, v[6:7], v[8:9] offset0:50 offset1:51
	ds_write2_b64 v1, v[2:3], v[4:5] offset0:52 offset1:53
.LBB52_522:
	s_or_b32 exec_lo, exec_lo, s0
	s_mov_b32 s0, exec_lo
	s_waitcnt lgkmcnt(0)
	s_waitcnt_vscnt null, 0x0
	s_barrier
	buffer_gl0_inv
	v_cmpx_lt_i32_e32 24, v124
	s_cbranch_execz .LBB52_524
; %bb.523:
	v_mul_f64 v[118:119], v[110:111], v[12:13]
	v_mul_f64 v[12:13], v[112:113], v[12:13]
	ds_read2_b64 v[125:128], v1 offset0:50 offset1:51
	ds_read2_b64 v[129:132], v1 offset0:52 offset1:53
	v_fma_f64 v[112:113], v[112:113], v[10:11], v[118:119]
	v_fma_f64 v[10:11], v[110:111], v[10:11], -v[12:13]
	s_waitcnt lgkmcnt(1)
	v_mul_f64 v[12:13], v[127:128], v[112:113]
	v_mul_f64 v[110:111], v[125:126], v[112:113]
	s_waitcnt lgkmcnt(0)
	v_mul_f64 v[118:119], v[131:132], v[112:113]
	v_mul_f64 v[133:134], v[129:130], v[112:113]
	v_fma_f64 v[12:13], v[125:126], v[10:11], -v[12:13]
	v_fma_f64 v[110:111], v[127:128], v[10:11], v[110:111]
	v_fma_f64 v[118:119], v[129:130], v[10:11], -v[118:119]
	v_fma_f64 v[125:126], v[131:132], v[10:11], v[133:134]
	v_add_f64 v[6:7], v[6:7], -v[12:13]
	v_add_f64 v[8:9], v[8:9], -v[110:111]
	;; [unrolled: 1-line block ×4, first 2 shown]
	v_mov_b32_e32 v12, v112
	v_mov_b32_e32 v13, v113
.LBB52_524:
	s_or_b32 exec_lo, exec_lo, s0
	v_lshl_add_u32 v110, v124, 4, v1
	s_barrier
	buffer_gl0_inv
	v_mov_b32_e32 v118, 25
	ds_write2_b64 v110, v[6:7], v[8:9] offset1:1
	s_waitcnt lgkmcnt(0)
	s_barrier
	buffer_gl0_inv
	ds_read2_b64 v[110:113], v1 offset0:50 offset1:51
	s_cmp_lt_i32 s18, 27
	s_cbranch_scc1 .LBB52_527
; %bb.525:
	v_add3_u32 v119, v120, 0, 0x1a0
	v_mov_b32_e32 v118, 25
	s_mov_b32 s1, 26
	s_inst_prefetch 0x1
	.p2align	6
.LBB52_526:                             ; =>This Inner Loop Header: Depth=1
	s_waitcnt lgkmcnt(0)
	v_cmp_gt_f64_e32 vcc_lo, 0, v[112:113]
	v_cmp_gt_f64_e64 s0, 0, v[110:111]
	ds_read2_b64 v[125:128], v119 offset1:1
	v_xor_b32_e32 v130, 0x80000000, v111
	v_xor_b32_e32 v132, 0x80000000, v113
	v_mov_b32_e32 v129, v110
	v_mov_b32_e32 v131, v112
	v_add_nc_u32_e32 v119, 16, v119
	s_waitcnt lgkmcnt(0)
	v_xor_b32_e32 v134, 0x80000000, v128
	v_cndmask_b32_e64 v130, v111, v130, s0
	v_cndmask_b32_e32 v132, v113, v132, vcc_lo
	v_cmp_gt_f64_e32 vcc_lo, 0, v[127:128]
	v_cmp_gt_f64_e64 s0, 0, v[125:126]
	v_mov_b32_e32 v133, v127
	v_add_f64 v[129:130], v[129:130], v[131:132]
	v_xor_b32_e32 v132, 0x80000000, v126
	v_mov_b32_e32 v131, v125
	v_cndmask_b32_e32 v134, v128, v134, vcc_lo
	v_cndmask_b32_e64 v132, v126, v132, s0
	v_add_f64 v[131:132], v[131:132], v[133:134]
	v_cmp_lt_f64_e32 vcc_lo, v[129:130], v[131:132]
	v_cndmask_b32_e32 v111, v111, v126, vcc_lo
	v_cndmask_b32_e32 v110, v110, v125, vcc_lo
	;; [unrolled: 1-line block ×4, first 2 shown]
	v_cndmask_b32_e64 v118, v118, s1, vcc_lo
	s_add_i32 s1, s1, 1
	s_cmp_lg_u32 s18, s1
	s_cbranch_scc1 .LBB52_526
.LBB52_527:
	s_inst_prefetch 0x2
	s_waitcnt lgkmcnt(0)
	v_cmp_eq_f64_e32 vcc_lo, 0, v[110:111]
	v_cmp_eq_f64_e64 s0, 0, v[112:113]
	s_and_b32 s0, vcc_lo, s0
	s_and_saveexec_b32 s1, s0
	s_xor_b32 s0, exec_lo, s1
; %bb.528:
	v_cmp_ne_u32_e32 vcc_lo, 0, v123
	v_cndmask_b32_e32 v123, 26, v123, vcc_lo
; %bb.529:
	s_andn2_saveexec_b32 s0, s0
	s_cbranch_execz .LBB52_535
; %bb.530:
	v_cmp_ngt_f64_e64 s1, |v[110:111]|, |v[112:113]|
	s_and_saveexec_b32 s2, s1
	s_xor_b32 s1, exec_lo, s2
	s_cbranch_execz .LBB52_532
; %bb.531:
	v_div_scale_f64 v[125:126], null, v[112:113], v[112:113], v[110:111]
	v_div_scale_f64 v[131:132], vcc_lo, v[110:111], v[112:113], v[110:111]
	v_rcp_f64_e32 v[127:128], v[125:126]
	v_fma_f64 v[129:130], -v[125:126], v[127:128], 1.0
	v_fma_f64 v[127:128], v[127:128], v[129:130], v[127:128]
	v_fma_f64 v[129:130], -v[125:126], v[127:128], 1.0
	v_fma_f64 v[127:128], v[127:128], v[129:130], v[127:128]
	v_mul_f64 v[129:130], v[131:132], v[127:128]
	v_fma_f64 v[125:126], -v[125:126], v[129:130], v[131:132]
	v_div_fmas_f64 v[125:126], v[125:126], v[127:128], v[129:130]
	v_div_fixup_f64 v[125:126], v[125:126], v[112:113], v[110:111]
	v_fma_f64 v[110:111], v[110:111], v[125:126], v[112:113]
	v_div_scale_f64 v[112:113], null, v[110:111], v[110:111], 1.0
	v_rcp_f64_e32 v[127:128], v[112:113]
	v_fma_f64 v[129:130], -v[112:113], v[127:128], 1.0
	v_fma_f64 v[127:128], v[127:128], v[129:130], v[127:128]
	v_fma_f64 v[129:130], -v[112:113], v[127:128], 1.0
	v_fma_f64 v[127:128], v[127:128], v[129:130], v[127:128]
	v_div_scale_f64 v[129:130], vcc_lo, 1.0, v[110:111], 1.0
	v_mul_f64 v[131:132], v[129:130], v[127:128]
	v_fma_f64 v[112:113], -v[112:113], v[131:132], v[129:130]
	v_div_fmas_f64 v[112:113], v[112:113], v[127:128], v[131:132]
	v_div_fixup_f64 v[112:113], v[112:113], v[110:111], 1.0
	v_mul_f64 v[110:111], v[125:126], v[112:113]
	v_xor_b32_e32 v113, 0x80000000, v113
.LBB52_532:
	s_andn2_saveexec_b32 s1, s1
	s_cbranch_execz .LBB52_534
; %bb.533:
	v_div_scale_f64 v[125:126], null, v[110:111], v[110:111], v[112:113]
	v_div_scale_f64 v[131:132], vcc_lo, v[112:113], v[110:111], v[112:113]
	v_rcp_f64_e32 v[127:128], v[125:126]
	v_fma_f64 v[129:130], -v[125:126], v[127:128], 1.0
	v_fma_f64 v[127:128], v[127:128], v[129:130], v[127:128]
	v_fma_f64 v[129:130], -v[125:126], v[127:128], 1.0
	v_fma_f64 v[127:128], v[127:128], v[129:130], v[127:128]
	v_mul_f64 v[129:130], v[131:132], v[127:128]
	v_fma_f64 v[125:126], -v[125:126], v[129:130], v[131:132]
	v_div_fmas_f64 v[125:126], v[125:126], v[127:128], v[129:130]
	v_div_fixup_f64 v[125:126], v[125:126], v[110:111], v[112:113]
	v_fma_f64 v[110:111], v[112:113], v[125:126], v[110:111]
	v_div_scale_f64 v[112:113], null, v[110:111], v[110:111], 1.0
	v_rcp_f64_e32 v[127:128], v[112:113]
	v_fma_f64 v[129:130], -v[112:113], v[127:128], 1.0
	v_fma_f64 v[127:128], v[127:128], v[129:130], v[127:128]
	v_fma_f64 v[129:130], -v[112:113], v[127:128], 1.0
	v_fma_f64 v[127:128], v[127:128], v[129:130], v[127:128]
	v_div_scale_f64 v[129:130], vcc_lo, 1.0, v[110:111], 1.0
	v_mul_f64 v[131:132], v[129:130], v[127:128]
	v_fma_f64 v[112:113], -v[112:113], v[131:132], v[129:130]
	v_div_fmas_f64 v[112:113], v[112:113], v[127:128], v[131:132]
	v_div_fixup_f64 v[110:111], v[112:113], v[110:111], 1.0
	v_mul_f64 v[112:113], v[125:126], -v[110:111]
.LBB52_534:
	s_or_b32 exec_lo, exec_lo, s1
.LBB52_535:
	s_or_b32 exec_lo, exec_lo, s0
	s_mov_b32 s0, exec_lo
	v_cmpx_ne_u32_e64 v124, v118
	s_xor_b32 s0, exec_lo, s0
	s_cbranch_execz .LBB52_541
; %bb.536:
	s_mov_b32 s1, exec_lo
	v_cmpx_eq_u32_e32 25, v124
	s_cbranch_execz .LBB52_540
; %bb.537:
	v_cmp_ne_u32_e32 vcc_lo, 25, v118
	s_xor_b32 s2, s16, -1
	s_and_b32 s3, s2, vcc_lo
	s_and_saveexec_b32 s2, s3
	s_cbranch_execz .LBB52_539
; %bb.538:
	v_ashrrev_i32_e32 v119, 31, v118
	v_lshlrev_b64 v[124:125], 2, v[118:119]
	v_add_co_u32 v124, vcc_lo, v116, v124
	v_add_co_ci_u32_e64 v125, null, v117, v125, vcc_lo
	s_clause 0x1
	global_load_dword v0, v[124:125], off
	global_load_dword v119, v[116:117], off offset:100
	s_waitcnt vmcnt(1)
	global_store_dword v[116:117], v0, off offset:100
	s_waitcnt vmcnt(0)
	global_store_dword v[124:125], v119, off
.LBB52_539:
	s_or_b32 exec_lo, exec_lo, s2
	v_mov_b32_e32 v124, v118
	v_mov_b32_e32 v0, v118
.LBB52_540:
	s_or_b32 exec_lo, exec_lo, s1
.LBB52_541:
	s_andn2_saveexec_b32 s0, s0
; %bb.542:
	v_mov_b32_e32 v124, 25
	ds_write2_b64 v1, v[2:3], v[4:5] offset0:52 offset1:53
; %bb.543:
	s_or_b32 exec_lo, exec_lo, s0
	s_mov_b32 s0, exec_lo
	s_waitcnt lgkmcnt(0)
	s_waitcnt_vscnt null, 0x0
	s_barrier
	buffer_gl0_inv
	v_cmpx_lt_i32_e32 25, v124
	s_cbranch_execz .LBB52_545
; %bb.544:
	v_mul_f64 v[118:119], v[110:111], v[8:9]
	v_mul_f64 v[8:9], v[112:113], v[8:9]
	ds_read2_b64 v[125:128], v1 offset0:52 offset1:53
	v_fma_f64 v[112:113], v[112:113], v[6:7], v[118:119]
	v_fma_f64 v[6:7], v[110:111], v[6:7], -v[8:9]
	s_waitcnt lgkmcnt(0)
	v_mul_f64 v[8:9], v[127:128], v[112:113]
	v_mul_f64 v[110:111], v[125:126], v[112:113]
	v_fma_f64 v[8:9], v[125:126], v[6:7], -v[8:9]
	v_fma_f64 v[110:111], v[127:128], v[6:7], v[110:111]
	v_add_f64 v[2:3], v[2:3], -v[8:9]
	v_add_f64 v[4:5], v[4:5], -v[110:111]
	v_mov_b32_e32 v8, v112
	v_mov_b32_e32 v9, v113
.LBB52_545:
	s_or_b32 exec_lo, exec_lo, s0
	v_lshl_add_u32 v110, v124, 4, v1
	s_barrier
	buffer_gl0_inv
	v_mov_b32_e32 v118, 26
	ds_write2_b64 v110, v[2:3], v[4:5] offset1:1
	s_waitcnt lgkmcnt(0)
	s_barrier
	buffer_gl0_inv
	ds_read2_b64 v[110:113], v1 offset0:52 offset1:53
	s_cmp_lt_i32 s18, 28
	s_cbranch_scc1 .LBB52_548
; %bb.546:
	v_add3_u32 v1, v120, 0, 0x1b0
	v_mov_b32_e32 v118, 26
	s_mov_b32 s1, 27
	s_inst_prefetch 0x1
	.p2align	6
.LBB52_547:                             ; =>This Inner Loop Header: Depth=1
	s_waitcnt lgkmcnt(0)
	v_cmp_gt_f64_e32 vcc_lo, 0, v[112:113]
	v_cmp_gt_f64_e64 s0, 0, v[110:111]
	ds_read2_b64 v[125:128], v1 offset1:1
	v_xor_b32_e32 v120, 0x80000000, v111
	v_xor_b32_e32 v130, 0x80000000, v113
	v_mov_b32_e32 v119, v110
	v_mov_b32_e32 v129, v112
	v_add_nc_u32_e32 v1, 16, v1
	s_waitcnt lgkmcnt(0)
	v_xor_b32_e32 v132, 0x80000000, v128
	v_cndmask_b32_e64 v120, v111, v120, s0
	v_cndmask_b32_e32 v130, v113, v130, vcc_lo
	v_cmp_gt_f64_e32 vcc_lo, 0, v[127:128]
	v_cmp_gt_f64_e64 s0, 0, v[125:126]
	v_mov_b32_e32 v131, v127
	v_add_f64 v[119:120], v[119:120], v[129:130]
	v_xor_b32_e32 v130, 0x80000000, v126
	v_mov_b32_e32 v129, v125
	v_cndmask_b32_e32 v132, v128, v132, vcc_lo
	v_cndmask_b32_e64 v130, v126, v130, s0
	v_add_f64 v[129:130], v[129:130], v[131:132]
	v_cmp_lt_f64_e32 vcc_lo, v[119:120], v[129:130]
	v_cndmask_b32_e32 v111, v111, v126, vcc_lo
	v_cndmask_b32_e32 v110, v110, v125, vcc_lo
	;; [unrolled: 1-line block ×4, first 2 shown]
	v_cndmask_b32_e64 v118, v118, s1, vcc_lo
	s_add_i32 s1, s1, 1
	s_cmp_lg_u32 s18, s1
	s_cbranch_scc1 .LBB52_547
.LBB52_548:
	s_inst_prefetch 0x2
	s_waitcnt lgkmcnt(0)
	v_cmp_eq_f64_e32 vcc_lo, 0, v[110:111]
	v_cmp_eq_f64_e64 s0, 0, v[112:113]
	s_and_b32 s0, vcc_lo, s0
	s_and_saveexec_b32 s1, s0
	s_xor_b32 s0, exec_lo, s1
; %bb.549:
	v_cmp_ne_u32_e32 vcc_lo, 0, v123
	v_cndmask_b32_e32 v123, 27, v123, vcc_lo
; %bb.550:
	s_andn2_saveexec_b32 s0, s0
	s_cbranch_execz .LBB52_556
; %bb.551:
	v_cmp_ngt_f64_e64 s1, |v[110:111]|, |v[112:113]|
	s_and_saveexec_b32 s2, s1
	s_xor_b32 s1, exec_lo, s2
	s_cbranch_execz .LBB52_553
; %bb.552:
	v_div_scale_f64 v[119:120], null, v[112:113], v[112:113], v[110:111]
	v_div_scale_f64 v[129:130], vcc_lo, v[110:111], v[112:113], v[110:111]
	v_rcp_f64_e32 v[125:126], v[119:120]
	v_fma_f64 v[127:128], -v[119:120], v[125:126], 1.0
	v_fma_f64 v[125:126], v[125:126], v[127:128], v[125:126]
	v_fma_f64 v[127:128], -v[119:120], v[125:126], 1.0
	v_fma_f64 v[125:126], v[125:126], v[127:128], v[125:126]
	v_mul_f64 v[127:128], v[129:130], v[125:126]
	v_fma_f64 v[119:120], -v[119:120], v[127:128], v[129:130]
	v_div_fmas_f64 v[119:120], v[119:120], v[125:126], v[127:128]
	v_div_fixup_f64 v[119:120], v[119:120], v[112:113], v[110:111]
	v_fma_f64 v[110:111], v[110:111], v[119:120], v[112:113]
	v_div_scale_f64 v[112:113], null, v[110:111], v[110:111], 1.0
	v_rcp_f64_e32 v[125:126], v[112:113]
	v_fma_f64 v[127:128], -v[112:113], v[125:126], 1.0
	v_fma_f64 v[125:126], v[125:126], v[127:128], v[125:126]
	v_fma_f64 v[127:128], -v[112:113], v[125:126], 1.0
	v_fma_f64 v[125:126], v[125:126], v[127:128], v[125:126]
	v_div_scale_f64 v[127:128], vcc_lo, 1.0, v[110:111], 1.0
	v_mul_f64 v[129:130], v[127:128], v[125:126]
	v_fma_f64 v[112:113], -v[112:113], v[129:130], v[127:128]
	v_div_fmas_f64 v[112:113], v[112:113], v[125:126], v[129:130]
	v_div_fixup_f64 v[112:113], v[112:113], v[110:111], 1.0
	v_mul_f64 v[110:111], v[119:120], v[112:113]
	v_xor_b32_e32 v113, 0x80000000, v113
.LBB52_553:
	s_andn2_saveexec_b32 s1, s1
	s_cbranch_execz .LBB52_555
; %bb.554:
	v_div_scale_f64 v[119:120], null, v[110:111], v[110:111], v[112:113]
	v_div_scale_f64 v[129:130], vcc_lo, v[112:113], v[110:111], v[112:113]
	v_rcp_f64_e32 v[125:126], v[119:120]
	v_fma_f64 v[127:128], -v[119:120], v[125:126], 1.0
	v_fma_f64 v[125:126], v[125:126], v[127:128], v[125:126]
	v_fma_f64 v[127:128], -v[119:120], v[125:126], 1.0
	v_fma_f64 v[125:126], v[125:126], v[127:128], v[125:126]
	v_mul_f64 v[127:128], v[129:130], v[125:126]
	v_fma_f64 v[119:120], -v[119:120], v[127:128], v[129:130]
	v_div_fmas_f64 v[119:120], v[119:120], v[125:126], v[127:128]
	v_div_fixup_f64 v[119:120], v[119:120], v[110:111], v[112:113]
	v_fma_f64 v[110:111], v[112:113], v[119:120], v[110:111]
	v_div_scale_f64 v[112:113], null, v[110:111], v[110:111], 1.0
	v_rcp_f64_e32 v[125:126], v[112:113]
	v_fma_f64 v[127:128], -v[112:113], v[125:126], 1.0
	v_fma_f64 v[125:126], v[125:126], v[127:128], v[125:126]
	v_fma_f64 v[127:128], -v[112:113], v[125:126], 1.0
	v_fma_f64 v[125:126], v[125:126], v[127:128], v[125:126]
	v_div_scale_f64 v[127:128], vcc_lo, 1.0, v[110:111], 1.0
	v_mul_f64 v[129:130], v[127:128], v[125:126]
	v_fma_f64 v[112:113], -v[112:113], v[129:130], v[127:128]
	v_div_fmas_f64 v[112:113], v[112:113], v[125:126], v[129:130]
	v_div_fixup_f64 v[110:111], v[112:113], v[110:111], 1.0
	v_mul_f64 v[112:113], v[119:120], -v[110:111]
.LBB52_555:
	s_or_b32 exec_lo, exec_lo, s1
.LBB52_556:
	s_or_b32 exec_lo, exec_lo, s0
	v_mov_b32_e32 v119, 26
	s_mov_b32 s0, exec_lo
	v_cmpx_ne_u32_e64 v124, v118
	s_cbranch_execz .LBB52_562
; %bb.557:
	s_mov_b32 s1, exec_lo
	v_cmpx_eq_u32_e32 26, v124
	s_cbranch_execz .LBB52_561
; %bb.558:
	v_cmp_ne_u32_e32 vcc_lo, 26, v118
	s_xor_b32 s2, s16, -1
	s_and_b32 s3, s2, vcc_lo
	s_and_saveexec_b32 s2, s3
	s_cbranch_execz .LBB52_560
; %bb.559:
	v_ashrrev_i32_e32 v119, 31, v118
	v_lshlrev_b64 v[0:1], 2, v[118:119]
	v_add_co_u32 v0, vcc_lo, v116, v0
	v_add_co_ci_u32_e64 v1, null, v117, v1, vcc_lo
	s_clause 0x1
	global_load_dword v119, v[0:1], off
	global_load_dword v120, v[116:117], off offset:104
	s_waitcnt vmcnt(1)
	global_store_dword v[116:117], v119, off offset:104
	s_waitcnt vmcnt(0)
	global_store_dword v[0:1], v120, off
.LBB52_560:
	s_or_b32 exec_lo, exec_lo, s2
	v_mov_b32_e32 v124, v118
	v_mov_b32_e32 v0, v118
.LBB52_561:
	s_or_b32 exec_lo, exec_lo, s1
	v_mov_b32_e32 v119, v124
.LBB52_562:
	s_or_b32 exec_lo, exec_lo, s0
	s_mov_b32 s0, exec_lo
	s_waitcnt_vscnt null, 0x0
	s_barrier
	buffer_gl0_inv
	v_cmpx_lt_i32_e32 26, v119
	s_cbranch_execz .LBB52_564
; %bb.563:
	v_mul_f64 v[116:117], v[112:113], v[4:5]
	v_mul_f64 v[4:5], v[110:111], v[4:5]
	v_fma_f64 v[110:111], v[110:111], v[2:3], -v[116:117]
	v_fma_f64 v[4:5], v[112:113], v[2:3], v[4:5]
	v_mov_b32_e32 v2, v110
	v_mov_b32_e32 v3, v111
.LBB52_564:
	s_or_b32 exec_lo, exec_lo, s0
	v_ashrrev_i32_e32 v120, 31, v119
	s_mov_b32 s0, exec_lo
	s_barrier
	buffer_gl0_inv
	v_cmpx_gt_i32_e32 27, v119
	s_cbranch_execz .LBB52_566
; %bb.565:
	v_mul_lo_u32 v1, s15, v114
	v_mul_lo_u32 v112, s14, v115
	v_mad_u64_u32 v[110:111], null, s14, v114, 0
	s_lshl_b64 s[2:3], s[12:13], 2
	v_add3_u32 v0, v0, s17, 1
	v_add3_u32 v111, v111, v112, v1
	v_lshlrev_b64 v[110:111], 2, v[110:111]
	v_add_co_u32 v1, vcc_lo, s10, v110
	v_add_co_ci_u32_e64 v112, null, s11, v111, vcc_lo
	v_lshlrev_b64 v[110:111], 2, v[119:120]
	v_add_co_u32 v1, vcc_lo, v1, s2
	v_add_co_ci_u32_e64 v112, null, s3, v112, vcc_lo
	v_add_co_u32 v110, vcc_lo, v1, v110
	v_add_co_ci_u32_e64 v111, null, v112, v111, vcc_lo
	global_store_dword v[110:111], v0, off
.LBB52_566:
	s_or_b32 exec_lo, exec_lo, s0
	s_mov_b32 s1, exec_lo
	v_cmpx_eq_u32_e32 0, v119
	s_cbranch_execz .LBB52_569
; %bb.567:
	v_lshlrev_b64 v[0:1], 2, v[114:115]
	v_cmp_ne_u32_e64 s0, 0, v123
	v_add_co_u32 v0, vcc_lo, s4, v0
	v_add_co_ci_u32_e64 v1, null, s5, v1, vcc_lo
	global_load_dword v110, v[0:1], off
	s_waitcnt vmcnt(0)
	v_cmp_eq_u32_e32 vcc_lo, 0, v110
	s_and_b32 s0, vcc_lo, s0
	s_and_b32 exec_lo, exec_lo, s0
	s_cbranch_execz .LBB52_569
; %bb.568:
	v_add_nc_u32_e32 v110, s17, v123
	global_store_dword v[0:1], v110, off
.LBB52_569:
	s_or_b32 exec_lo, exec_lo, s1
	v_add3_u32 v0, s6, s6, v119
	v_lshlrev_b64 v[110:111], 4, v[119:120]
	v_add_nc_u32_e32 v112, s6, v0
	v_ashrrev_i32_e32 v1, 31, v0
	v_add_co_u32 v110, vcc_lo, v121, v110
	v_add_co_ci_u32_e64 v111, null, v122, v111, vcc_lo
	v_add_nc_u32_e32 v116, s6, v112
	v_add_co_u32 v114, vcc_lo, v110, s8
	v_ashrrev_i32_e32 v113, 31, v112
	v_add_co_ci_u32_e64 v115, null, s9, v111, vcc_lo
	v_ashrrev_i32_e32 v117, 31, v116
	v_lshlrev_b64 v[0:1], 4, v[0:1]
	global_store_dwordx4 v[110:111], v[102:105], off
	global_store_dwordx4 v[114:115], v[106:109], off
	v_lshlrev_b64 v[102:103], 4, v[112:113]
	v_add_nc_u32_e32 v106, s6, v116
	v_lshlrev_b64 v[104:105], 4, v[116:117]
	v_add_co_u32 v0, vcc_lo, v121, v0
	v_add_co_ci_u32_e64 v1, null, v122, v1, vcc_lo
	v_add_co_u32 v102, vcc_lo, v121, v102
	v_add_co_ci_u32_e64 v103, null, v122, v103, vcc_lo
	v_add_co_u32 v104, vcc_lo, v121, v104
	v_add_nc_u32_e32 v108, s6, v106
	v_add_co_ci_u32_e64 v105, null, v122, v105, vcc_lo
	v_ashrrev_i32_e32 v107, 31, v106
	global_store_dwordx4 v[0:1], v[98:101], off
	global_store_dwordx4 v[102:103], v[94:97], off
	global_store_dwordx4 v[104:105], v[90:93], off
	v_add_nc_u32_e32 v92, s6, v108
	v_ashrrev_i32_e32 v109, 31, v108
	v_lshlrev_b64 v[0:1], 4, v[106:107]
	v_add_nc_u32_e32 v94, s6, v92
	v_lshlrev_b64 v[90:91], 4, v[108:109]
	v_ashrrev_i32_e32 v93, 31, v92
	v_add_co_u32 v0, vcc_lo, v121, v0
	v_add_nc_u32_e32 v96, s6, v94
	v_add_co_ci_u32_e64 v1, null, v122, v1, vcc_lo
	v_add_co_u32 v90, vcc_lo, v121, v90
	v_ashrrev_i32_e32 v95, 31, v94
	v_add_co_ci_u32_e64 v91, null, v122, v91, vcc_lo
	v_ashrrev_i32_e32 v97, 31, v96
	v_lshlrev_b64 v[92:93], 4, v[92:93]
	global_store_dwordx4 v[0:1], v[86:89], off
	global_store_dwordx4 v[90:91], v[82:85], off
	v_lshlrev_b64 v[0:1], 4, v[94:95]
	v_add_nc_u32_e32 v86, s6, v96
	v_lshlrev_b64 v[84:85], 4, v[96:97]
	v_add_co_u32 v82, vcc_lo, v121, v92
	v_add_co_ci_u32_e64 v83, null, v122, v93, vcc_lo
	v_add_co_u32 v0, vcc_lo, v121, v0
	v_add_co_ci_u32_e64 v1, null, v122, v1, vcc_lo
	v_add_co_u32 v84, vcc_lo, v121, v84
	v_add_nc_u32_e32 v88, s6, v86
	v_add_co_ci_u32_e64 v85, null, v122, v85, vcc_lo
	v_ashrrev_i32_e32 v87, 31, v86
	global_store_dwordx4 v[82:83], v[78:81], off
	global_store_dwordx4 v[0:1], v[74:77], off
	global_store_dwordx4 v[84:85], v[70:73], off
	v_add_nc_u32_e32 v70, s6, v88
	v_ashrrev_i32_e32 v89, 31, v88
	v_lshlrev_b64 v[78:79], 4, v[86:87]
	v_add_nc_u32_e32 v74, s6, v70
	v_lshlrev_b64 v[0:1], 4, v[88:89]
	v_ashrrev_i32_e32 v71, 31, v70
	v_add_co_u32 v72, vcc_lo, v121, v78
	v_add_nc_u32_e32 v76, s6, v74
	v_add_co_ci_u32_e64 v73, null, v122, v79, vcc_lo
	;; [unrolled: 30-line block ×3, first 2 shown]
	v_add_co_u32 v0, vcc_lo, v121, v0
	v_ashrrev_i32_e32 v55, 31, v54
	v_add_co_ci_u32_e64 v1, null, v122, v1, vcc_lo
	v_ashrrev_i32_e32 v57, 31, v56
	v_lshlrev_b64 v[50:51], 4, v[50:51]
	global_store_dwordx4 v[52:53], v[46:49], off
	global_store_dwordx4 v[0:1], v[42:45], off
	v_lshlrev_b64 v[0:1], 4, v[54:55]
	v_add_nc_u32_e32 v46, s6, v56
	v_lshlrev_b64 v[44:45], 4, v[56:57]
	v_add_co_u32 v42, vcc_lo, v121, v50
	v_add_co_ci_u32_e64 v43, null, v122, v51, vcc_lo
	v_add_co_u32 v0, vcc_lo, v121, v0
	v_add_nc_u32_e32 v48, s6, v46
	v_add_co_ci_u32_e64 v1, null, v122, v1, vcc_lo
	v_add_co_u32 v44, vcc_lo, v121, v44
	v_ashrrev_i32_e32 v47, 31, v46
	v_add_co_ci_u32_e64 v45, null, v122, v45, vcc_lo
	v_ashrrev_i32_e32 v49, 31, v48
	global_store_dwordx4 v[42:43], v[38:41], off
	v_lshlrev_b64 v[38:39], 4, v[46:47]
	global_store_dwordx4 v[0:1], v[34:37], off
	global_store_dwordx4 v[44:45], v[30:33], off
	v_add_nc_u32_e32 v30, s6, v48
	v_lshlrev_b64 v[0:1], 4, v[48:49]
	v_add_co_u32 v32, vcc_lo, v121, v38
	v_add_nc_u32_e32 v34, s6, v30
	v_add_co_ci_u32_e64 v33, null, v122, v39, vcc_lo
	v_add_co_u32 v0, vcc_lo, v121, v0
	v_add_co_ci_u32_e64 v1, null, v122, v1, vcc_lo
	v_add_nc_u32_e32 v36, s6, v34
	v_ashrrev_i32_e32 v31, 31, v30
	global_store_dwordx4 v[32:33], v[26:29], off
	global_store_dwordx4 v[0:1], v[22:25], off
	v_ashrrev_i32_e32 v35, 31, v34
	v_add_nc_u32_e32 v22, s6, v36
	v_lshlrev_b64 v[26:27], 4, v[30:31]
	v_ashrrev_i32_e32 v37, 31, v36
	v_lshlrev_b64 v[0:1], 4, v[34:35]
	v_add_nc_u32_e32 v28, s6, v22
	v_ashrrev_i32_e32 v23, 31, v22
	v_add_co_u32 v24, vcc_lo, v121, v26
	v_add_co_ci_u32_e64 v25, null, v122, v27, vcc_lo
	v_ashrrev_i32_e32 v29, 31, v28
	v_lshlrev_b64 v[26:27], 4, v[36:37]
	v_lshlrev_b64 v[22:23], 4, v[22:23]
	v_add_co_u32 v0, vcc_lo, v121, v0
	v_lshlrev_b64 v[28:29], 4, v[28:29]
	v_add_co_ci_u32_e64 v1, null, v122, v1, vcc_lo
	v_add_co_u32 v26, vcc_lo, v121, v26
	v_add_co_ci_u32_e64 v27, null, v122, v27, vcc_lo
	v_add_co_u32 v22, vcc_lo, v121, v22
	;; [unrolled: 2-line block ×3, first 2 shown]
	v_add_co_ci_u32_e64 v29, null, v122, v29, vcc_lo
	global_store_dwordx4 v[24:25], v[18:21], off
	global_store_dwordx4 v[0:1], v[14:17], off
	;; [unrolled: 1-line block ×5, first 2 shown]
.LBB52_570:
	s_endpgm
	.section	.rodata,"a",@progbits
	.p2align	6, 0x0
	.amdhsa_kernel _ZN9rocsolver6v33100L18getf2_small_kernelILi27E19rocblas_complex_numIdEiiPS3_EEvT1_T3_lS5_lPS5_llPT2_S5_S5_S7_l
		.amdhsa_group_segment_fixed_size 0
		.amdhsa_private_segment_fixed_size 0
		.amdhsa_kernarg_size 352
		.amdhsa_user_sgpr_count 6
		.amdhsa_user_sgpr_private_segment_buffer 1
		.amdhsa_user_sgpr_dispatch_ptr 0
		.amdhsa_user_sgpr_queue_ptr 0
		.amdhsa_user_sgpr_kernarg_segment_ptr 1
		.amdhsa_user_sgpr_dispatch_id 0
		.amdhsa_user_sgpr_flat_scratch_init 0
		.amdhsa_user_sgpr_private_segment_size 0
		.amdhsa_wavefront_size32 1
		.amdhsa_uses_dynamic_stack 0
		.amdhsa_system_sgpr_private_segment_wavefront_offset 0
		.amdhsa_system_sgpr_workgroup_id_x 1
		.amdhsa_system_sgpr_workgroup_id_y 1
		.amdhsa_system_sgpr_workgroup_id_z 0
		.amdhsa_system_sgpr_workgroup_info 0
		.amdhsa_system_vgpr_workitem_id 1
		.amdhsa_next_free_vgpr 136
		.amdhsa_next_free_sgpr 19
		.amdhsa_reserve_vcc 1
		.amdhsa_reserve_flat_scratch 0
		.amdhsa_float_round_mode_32 0
		.amdhsa_float_round_mode_16_64 0
		.amdhsa_float_denorm_mode_32 3
		.amdhsa_float_denorm_mode_16_64 3
		.amdhsa_dx10_clamp 1
		.amdhsa_ieee_mode 1
		.amdhsa_fp16_overflow 0
		.amdhsa_workgroup_processor_mode 1
		.amdhsa_memory_ordered 1
		.amdhsa_forward_progress 1
		.amdhsa_shared_vgpr_count 0
		.amdhsa_exception_fp_ieee_invalid_op 0
		.amdhsa_exception_fp_denorm_src 0
		.amdhsa_exception_fp_ieee_div_zero 0
		.amdhsa_exception_fp_ieee_overflow 0
		.amdhsa_exception_fp_ieee_underflow 0
		.amdhsa_exception_fp_ieee_inexact 0
		.amdhsa_exception_int_div_zero 0
	.end_amdhsa_kernel
	.section	.text._ZN9rocsolver6v33100L18getf2_small_kernelILi27E19rocblas_complex_numIdEiiPS3_EEvT1_T3_lS5_lPS5_llPT2_S5_S5_S7_l,"axG",@progbits,_ZN9rocsolver6v33100L18getf2_small_kernelILi27E19rocblas_complex_numIdEiiPS3_EEvT1_T3_lS5_lPS5_llPT2_S5_S5_S7_l,comdat
.Lfunc_end52:
	.size	_ZN9rocsolver6v33100L18getf2_small_kernelILi27E19rocblas_complex_numIdEiiPS3_EEvT1_T3_lS5_lPS5_llPT2_S5_S5_S7_l, .Lfunc_end52-_ZN9rocsolver6v33100L18getf2_small_kernelILi27E19rocblas_complex_numIdEiiPS3_EEvT1_T3_lS5_lPS5_llPT2_S5_S5_S7_l
                                        ; -- End function
	.set _ZN9rocsolver6v33100L18getf2_small_kernelILi27E19rocblas_complex_numIdEiiPS3_EEvT1_T3_lS5_lPS5_llPT2_S5_S5_S7_l.num_vgpr, 136
	.set _ZN9rocsolver6v33100L18getf2_small_kernelILi27E19rocblas_complex_numIdEiiPS3_EEvT1_T3_lS5_lPS5_llPT2_S5_S5_S7_l.num_agpr, 0
	.set _ZN9rocsolver6v33100L18getf2_small_kernelILi27E19rocblas_complex_numIdEiiPS3_EEvT1_T3_lS5_lPS5_llPT2_S5_S5_S7_l.numbered_sgpr, 19
	.set _ZN9rocsolver6v33100L18getf2_small_kernelILi27E19rocblas_complex_numIdEiiPS3_EEvT1_T3_lS5_lPS5_llPT2_S5_S5_S7_l.num_named_barrier, 0
	.set _ZN9rocsolver6v33100L18getf2_small_kernelILi27E19rocblas_complex_numIdEiiPS3_EEvT1_T3_lS5_lPS5_llPT2_S5_S5_S7_l.private_seg_size, 0
	.set _ZN9rocsolver6v33100L18getf2_small_kernelILi27E19rocblas_complex_numIdEiiPS3_EEvT1_T3_lS5_lPS5_llPT2_S5_S5_S7_l.uses_vcc, 1
	.set _ZN9rocsolver6v33100L18getf2_small_kernelILi27E19rocblas_complex_numIdEiiPS3_EEvT1_T3_lS5_lPS5_llPT2_S5_S5_S7_l.uses_flat_scratch, 0
	.set _ZN9rocsolver6v33100L18getf2_small_kernelILi27E19rocblas_complex_numIdEiiPS3_EEvT1_T3_lS5_lPS5_llPT2_S5_S5_S7_l.has_dyn_sized_stack, 0
	.set _ZN9rocsolver6v33100L18getf2_small_kernelILi27E19rocblas_complex_numIdEiiPS3_EEvT1_T3_lS5_lPS5_llPT2_S5_S5_S7_l.has_recursion, 0
	.set _ZN9rocsolver6v33100L18getf2_small_kernelILi27E19rocblas_complex_numIdEiiPS3_EEvT1_T3_lS5_lPS5_llPT2_S5_S5_S7_l.has_indirect_call, 0
	.section	.AMDGPU.csdata,"",@progbits
; Kernel info:
; codeLenInByte = 53096
; TotalNumSgprs: 21
; NumVgprs: 136
; ScratchSize: 0
; MemoryBound: 0
; FloatMode: 240
; IeeeMode: 1
; LDSByteSize: 0 bytes/workgroup (compile time only)
; SGPRBlocks: 0
; VGPRBlocks: 16
; NumSGPRsForWavesPerEU: 21
; NumVGPRsForWavesPerEU: 136
; Occupancy: 7
; WaveLimiterHint : 0
; COMPUTE_PGM_RSRC2:SCRATCH_EN: 0
; COMPUTE_PGM_RSRC2:USER_SGPR: 6
; COMPUTE_PGM_RSRC2:TRAP_HANDLER: 0
; COMPUTE_PGM_RSRC2:TGID_X_EN: 1
; COMPUTE_PGM_RSRC2:TGID_Y_EN: 1
; COMPUTE_PGM_RSRC2:TGID_Z_EN: 0
; COMPUTE_PGM_RSRC2:TIDIG_COMP_CNT: 1
	.section	.text._ZN9rocsolver6v33100L23getf2_npvt_small_kernelILi27E19rocblas_complex_numIdEiiPS3_EEvT1_T3_lS5_lPT2_S5_S5_,"axG",@progbits,_ZN9rocsolver6v33100L23getf2_npvt_small_kernelILi27E19rocblas_complex_numIdEiiPS3_EEvT1_T3_lS5_lPT2_S5_S5_,comdat
	.globl	_ZN9rocsolver6v33100L23getf2_npvt_small_kernelILi27E19rocblas_complex_numIdEiiPS3_EEvT1_T3_lS5_lPT2_S5_S5_ ; -- Begin function _ZN9rocsolver6v33100L23getf2_npvt_small_kernelILi27E19rocblas_complex_numIdEiiPS3_EEvT1_T3_lS5_lPT2_S5_S5_
	.p2align	8
	.type	_ZN9rocsolver6v33100L23getf2_npvt_small_kernelILi27E19rocblas_complex_numIdEiiPS3_EEvT1_T3_lS5_lPT2_S5_S5_,@function
_ZN9rocsolver6v33100L23getf2_npvt_small_kernelILi27E19rocblas_complex_numIdEiiPS3_EEvT1_T3_lS5_lPT2_S5_S5_: ; @_ZN9rocsolver6v33100L23getf2_npvt_small_kernelILi27E19rocblas_complex_numIdEiiPS3_EEvT1_T3_lS5_lPT2_S5_S5_
; %bb.0:
	s_mov_b64 s[30:31], s[2:3]
	s_mov_b64 s[28:29], s[0:1]
	s_clause 0x1
	s_load_dword s0, s[4:5], 0x44
	s_load_dwordx2 s[24:25], s[4:5], 0x30
	s_add_u32 s28, s28, s8
	s_addc_u32 s29, s29, 0
	s_waitcnt lgkmcnt(0)
	s_lshr_b32 s8, s0, 16
	s_mov_b32 s0, exec_lo
	v_mad_u64_u32 v[234:235], null, s7, s8, v[1:2]
	v_cmpx_gt_i32_e64 s24, v234
	s_cbranch_execz .LBB53_248
; %bb.1:
	s_clause 0x2
	s_load_dwordx4 s[20:23], s[4:5], 0x20
	s_load_dword s6, s[4:5], 0x18
	s_load_dwordx4 s[0:3], s[4:5], 0x8
	v_ashrrev_i32_e32 v235, 31, v234
	v_lshlrev_b32_e32 v14, 4, v0
	v_lshlrev_b32_e32 v110, 4, v1
	s_mulk_i32 s8, 0x1b0
	v_mad_u32_u24 v236, 0x1b0, v1, 0
	v_add3_u32 v1, 0, s8, v110
	s_waitcnt lgkmcnt(0)
	v_mul_lo_u32 v5, s21, v234
	v_mul_lo_u32 v7, s20, v235
	v_mad_u64_u32 v[2:3], null, s20, v234, 0
	v_add3_u32 v4, s6, s6, v0
	s_lshl_b64 s[2:3], s[2:3], 4
	s_ashr_i32 s7, s6, 31
	v_add_nc_u32_e32 v6, s6, v4
	v_add3_u32 v3, v3, v7, v5
	v_ashrrev_i32_e32 v5, 31, v4
	v_add_nc_u32_e32 v8, s6, v6
	v_lshlrev_b64 v[2:3], 4, v[2:3]
	v_ashrrev_i32_e32 v7, 31, v6
	v_lshlrev_b64 v[4:5], 4, v[4:5]
	v_ashrrev_i32_e32 v9, 31, v8
	v_add_nc_u32_e32 v10, s6, v8
	v_add_co_u32 v12, vcc_lo, s0, v2
	v_add_co_ci_u32_e64 v13, null, s1, v3, vcc_lo
	v_lshlrev_b64 v[2:3], 4, v[8:9]
	v_add_nc_u32_e32 v8, s6, v10
	v_add_co_u32 v15, vcc_lo, v12, s2
	v_lshlrev_b64 v[6:7], 4, v[6:7]
	v_add_co_ci_u32_e64 v16, null, s3, v13, vcc_lo
	v_ashrrev_i32_e32 v11, 31, v10
	v_add_nc_u32_e32 v12, s6, v8
	v_add_co_u32 v21, vcc_lo, v15, v4
	v_ashrrev_i32_e32 v9, 31, v8
	v_add_co_ci_u32_e64 v22, null, v16, v5, vcc_lo
	v_add_co_u32 v19, vcc_lo, v15, v6
	v_lshlrev_b64 v[10:11], 4, v[10:11]
	v_add_co_ci_u32_e64 v20, null, v16, v7, vcc_lo
	v_add_co_u32 v17, vcc_lo, v15, v2
	v_add_nc_u32_e32 v4, s6, v12
	v_add_co_ci_u32_e64 v18, null, v16, v3, vcc_lo
	v_lshlrev_b64 v[2:3], 4, v[8:9]
	v_ashrrev_i32_e32 v13, 31, v12
	v_ashrrev_i32_e32 v5, 31, v4
	v_add_nc_u32_e32 v8, s6, v4
	v_add_co_u32 v10, vcc_lo, v15, v10
	v_lshlrev_b64 v[6:7], 4, v[12:13]
	v_add_co_ci_u32_e64 v11, null, v16, v11, vcc_lo
	v_add_co_u32 v12, vcc_lo, v15, v2
	v_add_co_ci_u32_e64 v13, null, v16, v3, vcc_lo
	v_lshlrev_b64 v[2:3], 4, v[4:5]
	v_ashrrev_i32_e32 v9, 31, v8
	v_add_nc_u32_e32 v4, s6, v8
	v_add_co_u32 v23, vcc_lo, v15, v6
	v_add_co_ci_u32_e64 v24, null, v16, v7, vcc_lo
	v_lshlrev_b64 v[6:7], 4, v[8:9]
	v_ashrrev_i32_e32 v5, 31, v4
	v_add_nc_u32_e32 v8, s6, v4
	;; [unrolled: 5-line block ×15, first 2 shown]
	v_add_co_u32 v220, vcc_lo, v15, v6
	v_add_co_ci_u32_e64 v221, null, v16, v7, vcc_lo
	v_lshlrev_b64 v[6:7], 4, v[8:9]
	v_add_nc_u32_e32 v8, s6, v4
	v_ashrrev_i32_e32 v5, 31, v4
	v_add_co_u32 v224, vcc_lo, v15, v2
	v_add_co_ci_u32_e64 v225, null, v16, v3, vcc_lo
	v_ashrrev_i32_e32 v9, 31, v8
	v_lshlrev_b64 v[2:3], 4, v[4:5]
	v_add_co_u32 v222, vcc_lo, v15, v6
	v_add_co_ci_u32_e64 v223, null, v16, v7, vcc_lo
	v_lshlrev_b64 v[4:5], 4, v[8:9]
	v_add_co_u32 v228, vcc_lo, v15, v2
	v_add_co_ci_u32_e64 v229, null, v16, v3, vcc_lo
	s_lshl_b64 s[0:1], s[6:7], 4
	v_add_co_u32 v226, vcc_lo, v15, v4
	v_add_co_ci_u32_e64 v227, null, v16, v5, vcc_lo
	v_add_co_u32 v230, vcc_lo, v15, v14
	v_add_co_ci_u32_e64 v231, null, 0, v16, vcc_lo
	v_add_nc_u32_e32 v6, s6, v8
	v_add_co_u32 v237, vcc_lo, v230, s0
	v_add_co_ci_u32_e64 v238, null, s1, v231, vcc_lo
	s_clause 0x1
	global_load_dwordx4 v[106:109], v[230:231], off
	global_load_dwordx4 v[102:105], v[237:238], off
	buffer_store_dword v21, off, s[28:31], 0 offset:16 ; 4-byte Folded Spill
	buffer_store_dword v22, off, s[28:31], 0 offset:20 ; 4-byte Folded Spill
	v_ashrrev_i32_e32 v7, 31, v6
	v_cmp_ne_u32_e64 s1, 0, v0
	v_cmp_eq_u32_e64 s0, 0, v0
	v_lshlrev_b64 v[2:3], 4, v[6:7]
	v_add_co_u32 v232, vcc_lo, v15, v2
	v_add_co_ci_u32_e64 v233, null, v16, v3, vcc_lo
	global_load_dwordx4 v[98:101], v[21:22], off
	buffer_store_dword v19, off, s[28:31], 0 offset:8 ; 4-byte Folded Spill
	buffer_store_dword v20, off, s[28:31], 0 offset:12 ; 4-byte Folded Spill
	global_load_dwordx4 v[94:97], v[19:20], off
	buffer_store_dword v17, off, s[28:31], 0 ; 4-byte Folded Spill
	buffer_store_dword v18, off, s[28:31], 0 offset:4 ; 4-byte Folded Spill
	global_load_dwordx4 v[90:93], v[17:18], off
	buffer_store_dword v10, off, s[28:31], 0 offset:24 ; 4-byte Folded Spill
	buffer_store_dword v11, off, s[28:31], 0 offset:28 ; 4-byte Folded Spill
	global_load_dwordx4 v[86:89], v[10:11], off
	buffer_store_dword v12, off, s[28:31], 0 offset:32 ; 4-byte Folded Spill
	buffer_store_dword v13, off, s[28:31], 0 offset:36 ; 4-byte Folded Spill
	global_load_dwordx4 v[82:85], v[12:13], off
	buffer_store_dword v23, off, s[28:31], 0 offset:40 ; 4-byte Folded Spill
	buffer_store_dword v24, off, s[28:31], 0 offset:44 ; 4-byte Folded Spill
	global_load_dwordx4 v[78:81], v[23:24], off
	buffer_store_dword v25, off, s[28:31], 0 offset:48 ; 4-byte Folded Spill
	buffer_store_dword v26, off, s[28:31], 0 offset:52 ; 4-byte Folded Spill
	global_load_dwordx4 v[74:77], v[25:26], off
	buffer_store_dword v27, off, s[28:31], 0 offset:56 ; 4-byte Folded Spill
	buffer_store_dword v28, off, s[28:31], 0 offset:60 ; 4-byte Folded Spill
	global_load_dwordx4 v[70:73], v[27:28], off
	buffer_store_dword v29, off, s[28:31], 0 offset:64 ; 4-byte Folded Spill
	buffer_store_dword v30, off, s[28:31], 0 offset:68 ; 4-byte Folded Spill
	global_load_dwordx4 v[66:69], v[29:30], off
	buffer_store_dword v31, off, s[28:31], 0 offset:72 ; 4-byte Folded Spill
	buffer_store_dword v32, off, s[28:31], 0 offset:76 ; 4-byte Folded Spill
	global_load_dwordx4 v[62:65], v[31:32], off
	buffer_store_dword v33, off, s[28:31], 0 offset:104 ; 4-byte Folded Spill
	buffer_store_dword v34, off, s[28:31], 0 offset:108 ; 4-byte Folded Spill
	global_load_dwordx4 v[58:61], v[33:34], off
	buffer_store_dword v35, off, s[28:31], 0 offset:96 ; 4-byte Folded Spill
	buffer_store_dword v36, off, s[28:31], 0 offset:100 ; 4-byte Folded Spill
	s_clause 0xd
	global_load_dwordx4 v[54:57], v[35:36], off
	global_load_dwordx4 v[50:53], v[244:245], off
	;; [unrolled: 1-line block ×14, first 2 shown]
	s_and_saveexec_b32 s3, s0
	s_cbranch_execz .LBB53_8
; %bb.2:
	s_waitcnt vmcnt(26)
	ds_write2_b64 v1, v[106:107], v[108:109] offset1:1
	s_waitcnt vmcnt(25)
	ds_write2_b64 v236, v[102:103], v[104:105] offset0:2 offset1:3
	s_waitcnt vmcnt(24)
	ds_write2_b64 v236, v[98:99], v[100:101] offset0:4 offset1:5
	;; [unrolled: 2-line block ×26, first 2 shown]
	ds_read2_b64 v[110:113], v1 offset1:1
	s_waitcnt lgkmcnt(0)
	v_cmp_neq_f64_e32 vcc_lo, 0, v[110:111]
	v_cmp_neq_f64_e64 s2, 0, v[112:113]
	s_or_b32 s2, vcc_lo, s2
	s_and_b32 exec_lo, exec_lo, s2
	s_cbranch_execz .LBB53_8
; %bb.3:
	v_cmp_ngt_f64_e64 s2, |v[110:111]|, |v[112:113]|
                                        ; implicit-def: $vgpr114_vgpr115
	s_and_saveexec_b32 s4, s2
	s_xor_b32 s2, exec_lo, s4
                                        ; implicit-def: $vgpr116_vgpr117
	s_cbranch_execz .LBB53_5
; %bb.4:
	v_div_scale_f64 v[114:115], null, v[112:113], v[112:113], v[110:111]
	v_div_scale_f64 v[120:121], vcc_lo, v[110:111], v[112:113], v[110:111]
	v_rcp_f64_e32 v[116:117], v[114:115]
	v_fma_f64 v[118:119], -v[114:115], v[116:117], 1.0
	v_fma_f64 v[116:117], v[116:117], v[118:119], v[116:117]
	v_fma_f64 v[118:119], -v[114:115], v[116:117], 1.0
	v_fma_f64 v[116:117], v[116:117], v[118:119], v[116:117]
	v_mul_f64 v[118:119], v[120:121], v[116:117]
	v_fma_f64 v[114:115], -v[114:115], v[118:119], v[120:121]
	v_div_fmas_f64 v[114:115], v[114:115], v[116:117], v[118:119]
	v_div_fixup_f64 v[114:115], v[114:115], v[112:113], v[110:111]
	v_fma_f64 v[110:111], v[110:111], v[114:115], v[112:113]
	v_div_scale_f64 v[112:113], null, v[110:111], v[110:111], 1.0
	v_rcp_f64_e32 v[116:117], v[112:113]
	v_fma_f64 v[118:119], -v[112:113], v[116:117], 1.0
	v_fma_f64 v[116:117], v[116:117], v[118:119], v[116:117]
	v_fma_f64 v[118:119], -v[112:113], v[116:117], 1.0
	v_fma_f64 v[116:117], v[116:117], v[118:119], v[116:117]
	v_div_scale_f64 v[118:119], vcc_lo, 1.0, v[110:111], 1.0
	v_mul_f64 v[120:121], v[118:119], v[116:117]
	v_fma_f64 v[112:113], -v[112:113], v[120:121], v[118:119]
	v_div_fmas_f64 v[112:113], v[112:113], v[116:117], v[120:121]
	v_div_fixup_f64 v[116:117], v[112:113], v[110:111], 1.0
                                        ; implicit-def: $vgpr110_vgpr111
	v_mul_f64 v[114:115], v[114:115], v[116:117]
	v_xor_b32_e32 v117, 0x80000000, v117
.LBB53_5:
	s_andn2_saveexec_b32 s2, s2
	s_cbranch_execz .LBB53_7
; %bb.6:
	v_div_scale_f64 v[114:115], null, v[110:111], v[110:111], v[112:113]
	v_div_scale_f64 v[120:121], vcc_lo, v[112:113], v[110:111], v[112:113]
	v_rcp_f64_e32 v[116:117], v[114:115]
	v_fma_f64 v[118:119], -v[114:115], v[116:117], 1.0
	v_fma_f64 v[116:117], v[116:117], v[118:119], v[116:117]
	v_fma_f64 v[118:119], -v[114:115], v[116:117], 1.0
	v_fma_f64 v[116:117], v[116:117], v[118:119], v[116:117]
	v_mul_f64 v[118:119], v[120:121], v[116:117]
	v_fma_f64 v[114:115], -v[114:115], v[118:119], v[120:121]
	v_div_fmas_f64 v[114:115], v[114:115], v[116:117], v[118:119]
	v_div_fixup_f64 v[116:117], v[114:115], v[110:111], v[112:113]
	v_fma_f64 v[110:111], v[112:113], v[116:117], v[110:111]
	v_div_scale_f64 v[112:113], null, v[110:111], v[110:111], 1.0
	v_rcp_f64_e32 v[114:115], v[112:113]
	v_fma_f64 v[118:119], -v[112:113], v[114:115], 1.0
	v_fma_f64 v[114:115], v[114:115], v[118:119], v[114:115]
	v_fma_f64 v[118:119], -v[112:113], v[114:115], 1.0
	v_fma_f64 v[114:115], v[114:115], v[118:119], v[114:115]
	v_div_scale_f64 v[118:119], vcc_lo, 1.0, v[110:111], 1.0
	v_mul_f64 v[120:121], v[118:119], v[114:115]
	v_fma_f64 v[112:113], -v[112:113], v[120:121], v[118:119]
	v_div_fmas_f64 v[112:113], v[112:113], v[114:115], v[120:121]
	v_div_fixup_f64 v[114:115], v[112:113], v[110:111], 1.0
	v_mul_f64 v[116:117], v[116:117], -v[114:115]
.LBB53_7:
	s_or_b32 exec_lo, exec_lo, s2
	ds_write2_b64 v1, v[114:115], v[116:117] offset1:1
.LBB53_8:
	s_or_b32 exec_lo, exec_lo, s3
	s_waitcnt vmcnt(0) lgkmcnt(0)
	s_waitcnt_vscnt null, 0x0
	s_barrier
	buffer_gl0_inv
	ds_read2_b64 v[110:113], v1 offset1:1
	s_waitcnt lgkmcnt(0)
	buffer_store_dword v110, off, s[28:31], 0 offset:80 ; 4-byte Folded Spill
	buffer_store_dword v111, off, s[28:31], 0 offset:84 ; 4-byte Folded Spill
	;; [unrolled: 1-line block ×4, first 2 shown]
	s_and_saveexec_b32 s2, s1
	s_cbranch_execz .LBB53_10
; %bb.9:
	s_clause 0x3
	buffer_load_dword v110, off, s[28:31], 0 offset:80
	buffer_load_dword v111, off, s[28:31], 0 offset:84
	;; [unrolled: 1-line block ×4, first 2 shown]
	s_waitcnt vmcnt(2)
	v_mul_f64 v[114:115], v[110:111], v[108:109]
	s_waitcnt vmcnt(0)
	v_mul_f64 v[138:139], v[112:113], v[108:109]
	v_fma_f64 v[108:109], v[112:113], v[106:107], v[114:115]
	ds_read2_b64 v[114:117], v236 offset0:2 offset1:3
	ds_read2_b64 v[118:121], v236 offset0:4 offset1:5
	;; [unrolled: 1-line block ×6, first 2 shown]
	v_fma_f64 v[106:107], v[110:111], v[106:107], -v[138:139]
	ds_read2_b64 v[138:141], v236 offset0:14 offset1:15
	ds_read2_b64 v[142:145], v236 offset0:16 offset1:17
	;; [unrolled: 1-line block ×6, first 2 shown]
	s_waitcnt lgkmcnt(11)
	v_mul_f64 v[162:163], v[116:117], v[108:109]
	s_waitcnt lgkmcnt(10)
	v_mul_f64 v[166:167], v[120:121], v[108:109]
	v_mul_f64 v[168:169], v[118:119], v[108:109]
	s_waitcnt lgkmcnt(9)
	v_mul_f64 v[170:171], v[124:125], v[108:109]
	v_mul_f64 v[172:173], v[122:123], v[108:109]
	;; [unrolled: 1-line block ×3, first 2 shown]
	s_waitcnt lgkmcnt(8)
	v_mul_f64 v[174:175], v[128:129], v[108:109]
	v_mul_f64 v[176:177], v[126:127], v[108:109]
	s_waitcnt lgkmcnt(6)
	v_mul_f64 v[182:183], v[136:137], v[108:109]
	v_mul_f64 v[184:185], v[134:135], v[108:109]
	;; [unrolled: 3-line block ×7, first 2 shown]
	v_mul_f64 v[178:179], v[132:133], v[108:109]
	v_mul_f64 v[180:181], v[130:131], v[108:109]
	v_fma_f64 v[162:163], v[114:115], v[106:107], -v[162:163]
	v_fma_f64 v[166:167], v[118:119], v[106:107], -v[166:167]
	v_fma_f64 v[168:169], v[120:121], v[106:107], v[168:169]
	v_fma_f64 v[170:171], v[122:123], v[106:107], -v[170:171]
	v_fma_f64 v[172:173], v[124:125], v[106:107], v[172:173]
	v_fma_f64 v[164:165], v[116:117], v[106:107], v[164:165]
	ds_read2_b64 v[114:117], v236 offset0:26 offset1:27
	ds_read2_b64 v[118:121], v236 offset0:28 offset1:29
	;; [unrolled: 1-line block ×3, first 2 shown]
	v_fma_f64 v[174:175], v[126:127], v[106:107], -v[174:175]
	v_fma_f64 v[176:177], v[128:129], v[106:107], v[176:177]
	v_fma_f64 v[134:135], v[134:135], v[106:107], -v[182:183]
	v_fma_f64 v[136:137], v[136:137], v[106:107], v[184:185]
	;; [unrolled: 2-line block ×5, first 2 shown]
	ds_read2_b64 v[126:129], v236 offset0:32 offset1:33
	v_fma_f64 v[150:151], v[150:151], v[106:107], -v[198:199]
	v_fma_f64 v[152:153], v[152:153], v[106:107], v[200:201]
	v_fma_f64 v[154:155], v[154:155], v[106:107], -v[202:203]
	v_fma_f64 v[156:157], v[156:157], v[106:107], v[204:205]
	s_waitcnt lgkmcnt(4)
	v_mul_f64 v[182:183], v[160:161], v[108:109]
	v_mul_f64 v[184:185], v[158:159], v[108:109]
	v_add_f64 v[102:103], v[102:103], -v[162:163]
	s_waitcnt lgkmcnt(3)
	v_mul_f64 v[162:163], v[116:117], v[108:109]
	v_add_f64 v[98:99], v[98:99], -v[166:167]
	s_waitcnt lgkmcnt(2)
	v_mul_f64 v[166:167], v[120:121], v[108:109]
	v_add_f64 v[100:101], v[100:101], -v[168:169]
	v_mul_f64 v[168:169], v[118:119], v[108:109]
	v_add_f64 v[94:95], v[94:95], -v[170:171]
	s_waitcnt lgkmcnt(1)
	v_mul_f64 v[170:171], v[124:125], v[108:109]
	v_add_f64 v[96:97], v[96:97], -v[172:173]
	v_mul_f64 v[172:173], v[122:123], v[108:109]
	v_add_f64 v[104:105], v[104:105], -v[164:165]
	v_mul_f64 v[164:165], v[114:115], v[108:109]
	v_fma_f64 v[178:179], v[130:131], v[106:107], -v[178:179]
	v_fma_f64 v[180:181], v[132:133], v[106:107], v[180:181]
	ds_read2_b64 v[130:133], v236 offset0:34 offset1:35
	v_add_f64 v[82:83], v[82:83], -v[134:135]
	v_add_f64 v[84:85], v[84:85], -v[136:137]
	;; [unrolled: 1-line block ×6, first 2 shown]
	ds_read2_b64 v[134:137], v236 offset0:36 offset1:37
	v_add_f64 v[70:71], v[70:71], -v[146:147]
	v_fma_f64 v[142:143], v[158:159], v[106:107], -v[182:183]
	ds_read2_b64 v[138:141], v236 offset0:38 offset1:39
	v_fma_f64 v[144:145], v[160:161], v[106:107], v[184:185]
	v_fma_f64 v[146:147], v[114:115], v[106:107], -v[162:163]
	v_add_f64 v[72:73], v[72:73], -v[148:149]
	v_fma_f64 v[148:149], v[118:119], v[106:107], -v[166:167]
	v_add_f64 v[66:67], v[66:67], -v[150:151]
	v_fma_f64 v[150:151], v[120:121], v[106:107], v[168:169]
	v_add_f64 v[68:69], v[68:69], -v[152:153]
	v_fma_f64 v[152:153], v[122:123], v[106:107], -v[170:171]
	v_add_f64 v[62:63], v[62:63], -v[154:155]
	v_fma_f64 v[154:155], v[124:125], v[106:107], v[172:173]
	v_add_f64 v[64:65], v[64:65], -v[156:157]
	s_waitcnt lgkmcnt(3)
	v_mul_f64 v[156:157], v[128:129], v[108:109]
	v_fma_f64 v[158:159], v[116:117], v[106:107], v[164:165]
	v_mul_f64 v[160:161], v[126:127], v[108:109]
	s_waitcnt lgkmcnt(2)
	v_mul_f64 v[162:163], v[132:133], v[108:109]
	v_mul_f64 v[164:165], v[130:131], v[108:109]
	s_waitcnt lgkmcnt(1)
	v_mul_f64 v[166:167], v[136:137], v[108:109]
	v_mul_f64 v[168:169], v[134:135], v[108:109]
	ds_read2_b64 v[114:117], v236 offset0:40 offset1:41
	s_waitcnt lgkmcnt(1)
	v_mul_f64 v[170:171], v[140:141], v[108:109]
	v_mul_f64 v[172:173], v[138:139], v[108:109]
	v_add_f64 v[58:59], v[58:59], -v[142:143]
	v_add_f64 v[60:61], v[60:61], -v[144:145]
	;; [unrolled: 1-line block ×3, first 2 shown]
	ds_read2_b64 v[118:121], v236 offset0:42 offset1:43
	ds_read2_b64 v[122:125], v236 offset0:44 offset1:45
	v_add_f64 v[50:51], v[50:51], -v[148:149]
	v_add_f64 v[52:53], v[52:53], -v[150:151]
	ds_read2_b64 v[142:145], v236 offset0:46 offset1:47
	ds_read2_b64 v[146:149], v236 offset0:48 offset1:49
	v_add_f64 v[46:47], v[46:47], -v[152:153]
	v_add_f64 v[48:49], v[48:49], -v[154:155]
	ds_read2_b64 v[150:153], v236 offset0:50 offset1:51
	v_fma_f64 v[126:127], v[126:127], v[106:107], -v[156:157]
	ds_read2_b64 v[154:157], v236 offset0:52 offset1:53
	v_add_f64 v[90:91], v[90:91], -v[174:175]
	v_add_f64 v[92:93], v[92:93], -v[176:177]
	;; [unrolled: 1-line block ×5, first 2 shown]
	v_fma_f64 v[128:129], v[128:129], v[106:107], v[160:161]
	v_fma_f64 v[130:131], v[130:131], v[106:107], -v[162:163]
	v_fma_f64 v[132:133], v[132:133], v[106:107], v[164:165]
	v_fma_f64 v[134:135], v[134:135], v[106:107], -v[166:167]
	;; [unrolled: 2-line block ×3, first 2 shown]
	v_fma_f64 v[140:141], v[140:141], v[106:107], v[172:173]
	s_waitcnt lgkmcnt(6)
	v_mul_f64 v[158:159], v[116:117], v[108:109]
	v_mul_f64 v[160:161], v[114:115], v[108:109]
	s_waitcnt lgkmcnt(5)
	v_mul_f64 v[162:163], v[120:121], v[108:109]
	v_mul_f64 v[164:165], v[118:119], v[108:109]
	;; [unrolled: 3-line block ×7, first 2 shown]
	v_add_f64 v[42:43], v[42:43], -v[126:127]
	v_add_f64 v[44:45], v[44:45], -v[128:129]
	v_add_f64 v[38:39], v[38:39], -v[130:131]
	v_add_f64 v[40:41], v[40:41], -v[132:133]
	v_add_f64 v[34:35], v[34:35], -v[134:135]
	v_add_f64 v[36:37], v[36:37], -v[136:137]
	v_add_f64 v[30:31], v[30:31], -v[138:139]
	v_add_f64 v[32:33], v[32:33], -v[140:141]
	v_fma_f64 v[114:115], v[114:115], v[106:107], -v[158:159]
	v_fma_f64 v[116:117], v[116:117], v[106:107], v[160:161]
	v_fma_f64 v[118:119], v[118:119], v[106:107], -v[162:163]
	v_fma_f64 v[120:121], v[120:121], v[106:107], v[164:165]
	;; [unrolled: 2-line block ×7, first 2 shown]
	v_add_f64 v[26:27], v[26:27], -v[114:115]
	v_add_f64 v[28:29], v[28:29], -v[116:117]
	;; [unrolled: 1-line block ×14, first 2 shown]
.LBB53_10:
	s_or_b32 exec_lo, exec_lo, s2
	s_mov_b32 s2, exec_lo
	s_waitcnt_vscnt null, 0x0
	s_barrier
	buffer_gl0_inv
	v_cmpx_eq_u32_e32 1, v0
	s_cbranch_execz .LBB53_17
; %bb.11:
	ds_write2_b64 v1, v[102:103], v[104:105] offset1:1
	ds_write2_b64 v236, v[98:99], v[100:101] offset0:4 offset1:5
	ds_write2_b64 v236, v[94:95], v[96:97] offset0:6 offset1:7
	;; [unrolled: 1-line block ×25, first 2 shown]
	ds_read2_b64 v[114:117], v1 offset1:1
	s_waitcnt lgkmcnt(0)
	v_cmp_neq_f64_e32 vcc_lo, 0, v[114:115]
	v_cmp_neq_f64_e64 s1, 0, v[116:117]
	s_or_b32 s1, vcc_lo, s1
	s_and_b32 exec_lo, exec_lo, s1
	s_cbranch_execz .LBB53_17
; %bb.12:
	v_cmp_ngt_f64_e64 s1, |v[114:115]|, |v[116:117]|
                                        ; implicit-def: $vgpr118_vgpr119
	s_and_saveexec_b32 s3, s1
	s_xor_b32 s1, exec_lo, s3
                                        ; implicit-def: $vgpr120_vgpr121
	s_cbranch_execz .LBB53_14
; %bb.13:
	v_div_scale_f64 v[118:119], null, v[116:117], v[116:117], v[114:115]
	v_div_scale_f64 v[124:125], vcc_lo, v[114:115], v[116:117], v[114:115]
	v_rcp_f64_e32 v[120:121], v[118:119]
	v_fma_f64 v[122:123], -v[118:119], v[120:121], 1.0
	v_fma_f64 v[120:121], v[120:121], v[122:123], v[120:121]
	v_fma_f64 v[122:123], -v[118:119], v[120:121], 1.0
	v_fma_f64 v[120:121], v[120:121], v[122:123], v[120:121]
	v_mul_f64 v[122:123], v[124:125], v[120:121]
	v_fma_f64 v[118:119], -v[118:119], v[122:123], v[124:125]
	v_div_fmas_f64 v[118:119], v[118:119], v[120:121], v[122:123]
	v_div_fixup_f64 v[118:119], v[118:119], v[116:117], v[114:115]
	v_fma_f64 v[114:115], v[114:115], v[118:119], v[116:117]
	v_div_scale_f64 v[116:117], null, v[114:115], v[114:115], 1.0
	v_rcp_f64_e32 v[120:121], v[116:117]
	v_fma_f64 v[122:123], -v[116:117], v[120:121], 1.0
	v_fma_f64 v[120:121], v[120:121], v[122:123], v[120:121]
	v_fma_f64 v[122:123], -v[116:117], v[120:121], 1.0
	v_fma_f64 v[120:121], v[120:121], v[122:123], v[120:121]
	v_div_scale_f64 v[122:123], vcc_lo, 1.0, v[114:115], 1.0
	v_mul_f64 v[124:125], v[122:123], v[120:121]
	v_fma_f64 v[116:117], -v[116:117], v[124:125], v[122:123]
	v_div_fmas_f64 v[116:117], v[116:117], v[120:121], v[124:125]
	v_div_fixup_f64 v[120:121], v[116:117], v[114:115], 1.0
                                        ; implicit-def: $vgpr114_vgpr115
	v_mul_f64 v[118:119], v[118:119], v[120:121]
	v_xor_b32_e32 v121, 0x80000000, v121
.LBB53_14:
	s_andn2_saveexec_b32 s1, s1
	s_cbranch_execz .LBB53_16
; %bb.15:
	v_div_scale_f64 v[118:119], null, v[114:115], v[114:115], v[116:117]
	v_div_scale_f64 v[124:125], vcc_lo, v[116:117], v[114:115], v[116:117]
	v_rcp_f64_e32 v[120:121], v[118:119]
	v_fma_f64 v[122:123], -v[118:119], v[120:121], 1.0
	v_fma_f64 v[120:121], v[120:121], v[122:123], v[120:121]
	v_fma_f64 v[122:123], -v[118:119], v[120:121], 1.0
	v_fma_f64 v[120:121], v[120:121], v[122:123], v[120:121]
	v_mul_f64 v[122:123], v[124:125], v[120:121]
	v_fma_f64 v[118:119], -v[118:119], v[122:123], v[124:125]
	v_div_fmas_f64 v[118:119], v[118:119], v[120:121], v[122:123]
	v_div_fixup_f64 v[120:121], v[118:119], v[114:115], v[116:117]
	v_fma_f64 v[114:115], v[116:117], v[120:121], v[114:115]
	v_div_scale_f64 v[116:117], null, v[114:115], v[114:115], 1.0
	v_rcp_f64_e32 v[118:119], v[116:117]
	v_fma_f64 v[122:123], -v[116:117], v[118:119], 1.0
	v_fma_f64 v[118:119], v[118:119], v[122:123], v[118:119]
	v_fma_f64 v[122:123], -v[116:117], v[118:119], 1.0
	v_fma_f64 v[118:119], v[118:119], v[122:123], v[118:119]
	v_div_scale_f64 v[122:123], vcc_lo, 1.0, v[114:115], 1.0
	v_mul_f64 v[124:125], v[122:123], v[118:119]
	v_fma_f64 v[116:117], -v[116:117], v[124:125], v[122:123]
	v_div_fmas_f64 v[116:117], v[116:117], v[118:119], v[124:125]
	v_div_fixup_f64 v[118:119], v[116:117], v[114:115], 1.0
	v_mul_f64 v[120:121], v[120:121], -v[118:119]
.LBB53_16:
	s_or_b32 exec_lo, exec_lo, s1
	ds_write2_b64 v1, v[118:119], v[120:121] offset1:1
.LBB53_17:
	s_or_b32 exec_lo, exec_lo, s2
	s_waitcnt lgkmcnt(0)
	s_barrier
	buffer_gl0_inv
	ds_read2_b64 v[114:117], v1 offset1:1
	s_mov_b32 s1, exec_lo
	v_cmpx_lt_u32_e32 1, v0
	s_cbranch_execz .LBB53_19
; %bb.18:
	s_waitcnt lgkmcnt(0)
	v_mul_f64 v[118:119], v[116:117], v[104:105]
	v_mul_f64 v[104:105], v[114:115], v[104:105]
	ds_read2_b64 v[120:123], v236 offset0:4 offset1:5
	v_fma_f64 v[118:119], v[114:115], v[102:103], -v[118:119]
	v_fma_f64 v[104:105], v[116:117], v[102:103], v[104:105]
	s_waitcnt lgkmcnt(0)
	v_mul_f64 v[102:103], v[122:123], v[104:105]
	v_fma_f64 v[102:103], v[120:121], v[118:119], -v[102:103]
	v_mul_f64 v[120:121], v[120:121], v[104:105]
	v_add_f64 v[98:99], v[98:99], -v[102:103]
	v_fma_f64 v[120:121], v[122:123], v[118:119], v[120:121]
	v_add_f64 v[100:101], v[100:101], -v[120:121]
	ds_read2_b64 v[120:123], v236 offset0:6 offset1:7
	s_waitcnt lgkmcnt(0)
	v_mul_f64 v[102:103], v[122:123], v[104:105]
	v_fma_f64 v[102:103], v[120:121], v[118:119], -v[102:103]
	v_mul_f64 v[120:121], v[120:121], v[104:105]
	v_add_f64 v[94:95], v[94:95], -v[102:103]
	v_fma_f64 v[120:121], v[122:123], v[118:119], v[120:121]
	v_add_f64 v[96:97], v[96:97], -v[120:121]
	ds_read2_b64 v[120:123], v236 offset0:8 offset1:9
	;; [unrolled: 8-line block ×24, first 2 shown]
	s_waitcnt lgkmcnt(0)
	v_mul_f64 v[102:103], v[122:123], v[104:105]
	v_fma_f64 v[102:103], v[120:121], v[118:119], -v[102:103]
	v_mul_f64 v[120:121], v[120:121], v[104:105]
	v_add_f64 v[2:3], v[2:3], -v[102:103]
	v_fma_f64 v[120:121], v[122:123], v[118:119], v[120:121]
	v_mov_b32_e32 v102, v118
	v_mov_b32_e32 v103, v119
	v_add_f64 v[4:5], v[4:5], -v[120:121]
.LBB53_19:
	s_or_b32 exec_lo, exec_lo, s1
	s_mov_b32 s2, exec_lo
	s_waitcnt lgkmcnt(0)
	s_barrier
	buffer_gl0_inv
	v_cmpx_eq_u32_e32 2, v0
	s_cbranch_execz .LBB53_26
; %bb.20:
	ds_write2_b64 v1, v[98:99], v[100:101] offset1:1
	ds_write2_b64 v236, v[94:95], v[96:97] offset0:6 offset1:7
	ds_write2_b64 v236, v[90:91], v[92:93] offset0:8 offset1:9
	;; [unrolled: 1-line block ×24, first 2 shown]
	ds_read2_b64 v[118:121], v1 offset1:1
	s_waitcnt lgkmcnt(0)
	v_cmp_neq_f64_e32 vcc_lo, 0, v[118:119]
	v_cmp_neq_f64_e64 s1, 0, v[120:121]
	s_or_b32 s1, vcc_lo, s1
	s_and_b32 exec_lo, exec_lo, s1
	s_cbranch_execz .LBB53_26
; %bb.21:
	v_cmp_ngt_f64_e64 s1, |v[118:119]|, |v[120:121]|
                                        ; implicit-def: $vgpr122_vgpr123
	s_and_saveexec_b32 s3, s1
	s_xor_b32 s1, exec_lo, s3
                                        ; implicit-def: $vgpr124_vgpr125
	s_cbranch_execz .LBB53_23
; %bb.22:
	v_div_scale_f64 v[122:123], null, v[120:121], v[120:121], v[118:119]
	v_div_scale_f64 v[128:129], vcc_lo, v[118:119], v[120:121], v[118:119]
	v_rcp_f64_e32 v[124:125], v[122:123]
	v_fma_f64 v[126:127], -v[122:123], v[124:125], 1.0
	v_fma_f64 v[124:125], v[124:125], v[126:127], v[124:125]
	v_fma_f64 v[126:127], -v[122:123], v[124:125], 1.0
	v_fma_f64 v[124:125], v[124:125], v[126:127], v[124:125]
	v_mul_f64 v[126:127], v[128:129], v[124:125]
	v_fma_f64 v[122:123], -v[122:123], v[126:127], v[128:129]
	v_div_fmas_f64 v[122:123], v[122:123], v[124:125], v[126:127]
	v_div_fixup_f64 v[122:123], v[122:123], v[120:121], v[118:119]
	v_fma_f64 v[118:119], v[118:119], v[122:123], v[120:121]
	v_div_scale_f64 v[120:121], null, v[118:119], v[118:119], 1.0
	v_rcp_f64_e32 v[124:125], v[120:121]
	v_fma_f64 v[126:127], -v[120:121], v[124:125], 1.0
	v_fma_f64 v[124:125], v[124:125], v[126:127], v[124:125]
	v_fma_f64 v[126:127], -v[120:121], v[124:125], 1.0
	v_fma_f64 v[124:125], v[124:125], v[126:127], v[124:125]
	v_div_scale_f64 v[126:127], vcc_lo, 1.0, v[118:119], 1.0
	v_mul_f64 v[128:129], v[126:127], v[124:125]
	v_fma_f64 v[120:121], -v[120:121], v[128:129], v[126:127]
	v_div_fmas_f64 v[120:121], v[120:121], v[124:125], v[128:129]
	v_div_fixup_f64 v[124:125], v[120:121], v[118:119], 1.0
                                        ; implicit-def: $vgpr118_vgpr119
	v_mul_f64 v[122:123], v[122:123], v[124:125]
	v_xor_b32_e32 v125, 0x80000000, v125
.LBB53_23:
	s_andn2_saveexec_b32 s1, s1
	s_cbranch_execz .LBB53_25
; %bb.24:
	v_div_scale_f64 v[122:123], null, v[118:119], v[118:119], v[120:121]
	v_div_scale_f64 v[128:129], vcc_lo, v[120:121], v[118:119], v[120:121]
	v_rcp_f64_e32 v[124:125], v[122:123]
	v_fma_f64 v[126:127], -v[122:123], v[124:125], 1.0
	v_fma_f64 v[124:125], v[124:125], v[126:127], v[124:125]
	v_fma_f64 v[126:127], -v[122:123], v[124:125], 1.0
	v_fma_f64 v[124:125], v[124:125], v[126:127], v[124:125]
	v_mul_f64 v[126:127], v[128:129], v[124:125]
	v_fma_f64 v[122:123], -v[122:123], v[126:127], v[128:129]
	v_div_fmas_f64 v[122:123], v[122:123], v[124:125], v[126:127]
	v_div_fixup_f64 v[124:125], v[122:123], v[118:119], v[120:121]
	v_fma_f64 v[118:119], v[120:121], v[124:125], v[118:119]
	v_div_scale_f64 v[120:121], null, v[118:119], v[118:119], 1.0
	v_rcp_f64_e32 v[122:123], v[120:121]
	v_fma_f64 v[126:127], -v[120:121], v[122:123], 1.0
	v_fma_f64 v[122:123], v[122:123], v[126:127], v[122:123]
	v_fma_f64 v[126:127], -v[120:121], v[122:123], 1.0
	v_fma_f64 v[122:123], v[122:123], v[126:127], v[122:123]
	v_div_scale_f64 v[126:127], vcc_lo, 1.0, v[118:119], 1.0
	v_mul_f64 v[128:129], v[126:127], v[122:123]
	v_fma_f64 v[120:121], -v[120:121], v[128:129], v[126:127]
	v_div_fmas_f64 v[120:121], v[120:121], v[122:123], v[128:129]
	v_div_fixup_f64 v[122:123], v[120:121], v[118:119], 1.0
	v_mul_f64 v[124:125], v[124:125], -v[122:123]
.LBB53_25:
	s_or_b32 exec_lo, exec_lo, s1
	ds_write2_b64 v1, v[122:123], v[124:125] offset1:1
.LBB53_26:
	s_or_b32 exec_lo, exec_lo, s2
	s_waitcnt lgkmcnt(0)
	s_barrier
	buffer_gl0_inv
	ds_read2_b64 v[118:121], v1 offset1:1
	s_mov_b32 s1, exec_lo
	v_cmpx_lt_u32_e32 2, v0
	s_cbranch_execz .LBB53_28
; %bb.27:
	s_waitcnt lgkmcnt(0)
	v_mul_f64 v[122:123], v[120:121], v[100:101]
	v_mul_f64 v[100:101], v[118:119], v[100:101]
	ds_read2_b64 v[124:127], v236 offset0:6 offset1:7
	v_fma_f64 v[122:123], v[118:119], v[98:99], -v[122:123]
	v_fma_f64 v[100:101], v[120:121], v[98:99], v[100:101]
	s_waitcnt lgkmcnt(0)
	v_mul_f64 v[98:99], v[126:127], v[100:101]
	v_fma_f64 v[98:99], v[124:125], v[122:123], -v[98:99]
	v_mul_f64 v[124:125], v[124:125], v[100:101]
	v_add_f64 v[94:95], v[94:95], -v[98:99]
	v_fma_f64 v[124:125], v[126:127], v[122:123], v[124:125]
	v_add_f64 v[96:97], v[96:97], -v[124:125]
	ds_read2_b64 v[124:127], v236 offset0:8 offset1:9
	s_waitcnt lgkmcnt(0)
	v_mul_f64 v[98:99], v[126:127], v[100:101]
	v_fma_f64 v[98:99], v[124:125], v[122:123], -v[98:99]
	v_mul_f64 v[124:125], v[124:125], v[100:101]
	v_add_f64 v[90:91], v[90:91], -v[98:99]
	v_fma_f64 v[124:125], v[126:127], v[122:123], v[124:125]
	v_add_f64 v[92:93], v[92:93], -v[124:125]
	ds_read2_b64 v[124:127], v236 offset0:10 offset1:11
	;; [unrolled: 8-line block ×23, first 2 shown]
	s_waitcnt lgkmcnt(0)
	v_mul_f64 v[98:99], v[126:127], v[100:101]
	v_fma_f64 v[98:99], v[124:125], v[122:123], -v[98:99]
	v_mul_f64 v[124:125], v[124:125], v[100:101]
	v_add_f64 v[2:3], v[2:3], -v[98:99]
	v_fma_f64 v[124:125], v[126:127], v[122:123], v[124:125]
	v_mov_b32_e32 v98, v122
	v_mov_b32_e32 v99, v123
	v_add_f64 v[4:5], v[4:5], -v[124:125]
.LBB53_28:
	s_or_b32 exec_lo, exec_lo, s1
	s_mov_b32 s2, exec_lo
	s_waitcnt lgkmcnt(0)
	s_barrier
	buffer_gl0_inv
	v_cmpx_eq_u32_e32 3, v0
	s_cbranch_execz .LBB53_35
; %bb.29:
	ds_write2_b64 v1, v[94:95], v[96:97] offset1:1
	ds_write2_b64 v236, v[90:91], v[92:93] offset0:8 offset1:9
	ds_write2_b64 v236, v[86:87], v[88:89] offset0:10 offset1:11
	;; [unrolled: 1-line block ×23, first 2 shown]
	ds_read2_b64 v[122:125], v1 offset1:1
	s_waitcnt lgkmcnt(0)
	v_cmp_neq_f64_e32 vcc_lo, 0, v[122:123]
	v_cmp_neq_f64_e64 s1, 0, v[124:125]
	s_or_b32 s1, vcc_lo, s1
	s_and_b32 exec_lo, exec_lo, s1
	s_cbranch_execz .LBB53_35
; %bb.30:
	v_cmp_ngt_f64_e64 s1, |v[122:123]|, |v[124:125]|
                                        ; implicit-def: $vgpr126_vgpr127
	s_and_saveexec_b32 s3, s1
	s_xor_b32 s1, exec_lo, s3
                                        ; implicit-def: $vgpr128_vgpr129
	s_cbranch_execz .LBB53_32
; %bb.31:
	v_div_scale_f64 v[126:127], null, v[124:125], v[124:125], v[122:123]
	v_div_scale_f64 v[132:133], vcc_lo, v[122:123], v[124:125], v[122:123]
	v_rcp_f64_e32 v[128:129], v[126:127]
	v_fma_f64 v[130:131], -v[126:127], v[128:129], 1.0
	v_fma_f64 v[128:129], v[128:129], v[130:131], v[128:129]
	v_fma_f64 v[130:131], -v[126:127], v[128:129], 1.0
	v_fma_f64 v[128:129], v[128:129], v[130:131], v[128:129]
	v_mul_f64 v[130:131], v[132:133], v[128:129]
	v_fma_f64 v[126:127], -v[126:127], v[130:131], v[132:133]
	v_div_fmas_f64 v[126:127], v[126:127], v[128:129], v[130:131]
	v_div_fixup_f64 v[126:127], v[126:127], v[124:125], v[122:123]
	v_fma_f64 v[122:123], v[122:123], v[126:127], v[124:125]
	v_div_scale_f64 v[124:125], null, v[122:123], v[122:123], 1.0
	v_rcp_f64_e32 v[128:129], v[124:125]
	v_fma_f64 v[130:131], -v[124:125], v[128:129], 1.0
	v_fma_f64 v[128:129], v[128:129], v[130:131], v[128:129]
	v_fma_f64 v[130:131], -v[124:125], v[128:129], 1.0
	v_fma_f64 v[128:129], v[128:129], v[130:131], v[128:129]
	v_div_scale_f64 v[130:131], vcc_lo, 1.0, v[122:123], 1.0
	v_mul_f64 v[132:133], v[130:131], v[128:129]
	v_fma_f64 v[124:125], -v[124:125], v[132:133], v[130:131]
	v_div_fmas_f64 v[124:125], v[124:125], v[128:129], v[132:133]
	v_div_fixup_f64 v[128:129], v[124:125], v[122:123], 1.0
                                        ; implicit-def: $vgpr122_vgpr123
	v_mul_f64 v[126:127], v[126:127], v[128:129]
	v_xor_b32_e32 v129, 0x80000000, v129
.LBB53_32:
	s_andn2_saveexec_b32 s1, s1
	s_cbranch_execz .LBB53_34
; %bb.33:
	v_div_scale_f64 v[126:127], null, v[122:123], v[122:123], v[124:125]
	v_div_scale_f64 v[132:133], vcc_lo, v[124:125], v[122:123], v[124:125]
	v_rcp_f64_e32 v[128:129], v[126:127]
	v_fma_f64 v[130:131], -v[126:127], v[128:129], 1.0
	v_fma_f64 v[128:129], v[128:129], v[130:131], v[128:129]
	v_fma_f64 v[130:131], -v[126:127], v[128:129], 1.0
	v_fma_f64 v[128:129], v[128:129], v[130:131], v[128:129]
	v_mul_f64 v[130:131], v[132:133], v[128:129]
	v_fma_f64 v[126:127], -v[126:127], v[130:131], v[132:133]
	v_div_fmas_f64 v[126:127], v[126:127], v[128:129], v[130:131]
	v_div_fixup_f64 v[128:129], v[126:127], v[122:123], v[124:125]
	v_fma_f64 v[122:123], v[124:125], v[128:129], v[122:123]
	v_div_scale_f64 v[124:125], null, v[122:123], v[122:123], 1.0
	v_rcp_f64_e32 v[126:127], v[124:125]
	v_fma_f64 v[130:131], -v[124:125], v[126:127], 1.0
	v_fma_f64 v[126:127], v[126:127], v[130:131], v[126:127]
	v_fma_f64 v[130:131], -v[124:125], v[126:127], 1.0
	v_fma_f64 v[126:127], v[126:127], v[130:131], v[126:127]
	v_div_scale_f64 v[130:131], vcc_lo, 1.0, v[122:123], 1.0
	v_mul_f64 v[132:133], v[130:131], v[126:127]
	v_fma_f64 v[124:125], -v[124:125], v[132:133], v[130:131]
	v_div_fmas_f64 v[124:125], v[124:125], v[126:127], v[132:133]
	v_div_fixup_f64 v[126:127], v[124:125], v[122:123], 1.0
	v_mul_f64 v[128:129], v[128:129], -v[126:127]
.LBB53_34:
	s_or_b32 exec_lo, exec_lo, s1
	ds_write2_b64 v1, v[126:127], v[128:129] offset1:1
.LBB53_35:
	s_or_b32 exec_lo, exec_lo, s2
	s_waitcnt lgkmcnt(0)
	s_barrier
	buffer_gl0_inv
	ds_read2_b64 v[122:125], v1 offset1:1
	s_mov_b32 s1, exec_lo
	v_cmpx_lt_u32_e32 3, v0
	s_cbranch_execz .LBB53_37
; %bb.36:
	s_waitcnt lgkmcnt(0)
	v_mul_f64 v[126:127], v[124:125], v[96:97]
	v_mul_f64 v[96:97], v[122:123], v[96:97]
	ds_read2_b64 v[128:131], v236 offset0:8 offset1:9
	v_fma_f64 v[126:127], v[122:123], v[94:95], -v[126:127]
	v_fma_f64 v[96:97], v[124:125], v[94:95], v[96:97]
	s_waitcnt lgkmcnt(0)
	v_mul_f64 v[94:95], v[130:131], v[96:97]
	v_fma_f64 v[94:95], v[128:129], v[126:127], -v[94:95]
	v_mul_f64 v[128:129], v[128:129], v[96:97]
	v_add_f64 v[90:91], v[90:91], -v[94:95]
	v_fma_f64 v[128:129], v[130:131], v[126:127], v[128:129]
	v_add_f64 v[92:93], v[92:93], -v[128:129]
	ds_read2_b64 v[128:131], v236 offset0:10 offset1:11
	s_waitcnt lgkmcnt(0)
	v_mul_f64 v[94:95], v[130:131], v[96:97]
	v_fma_f64 v[94:95], v[128:129], v[126:127], -v[94:95]
	v_mul_f64 v[128:129], v[128:129], v[96:97]
	v_add_f64 v[86:87], v[86:87], -v[94:95]
	v_fma_f64 v[128:129], v[130:131], v[126:127], v[128:129]
	v_add_f64 v[88:89], v[88:89], -v[128:129]
	ds_read2_b64 v[128:131], v236 offset0:12 offset1:13
	;; [unrolled: 8-line block ×22, first 2 shown]
	s_waitcnt lgkmcnt(0)
	v_mul_f64 v[94:95], v[130:131], v[96:97]
	v_fma_f64 v[94:95], v[128:129], v[126:127], -v[94:95]
	v_mul_f64 v[128:129], v[128:129], v[96:97]
	v_add_f64 v[2:3], v[2:3], -v[94:95]
	v_fma_f64 v[128:129], v[130:131], v[126:127], v[128:129]
	v_mov_b32_e32 v94, v126
	v_mov_b32_e32 v95, v127
	v_add_f64 v[4:5], v[4:5], -v[128:129]
.LBB53_37:
	s_or_b32 exec_lo, exec_lo, s1
	s_mov_b32 s2, exec_lo
	s_waitcnt lgkmcnt(0)
	s_barrier
	buffer_gl0_inv
	v_cmpx_eq_u32_e32 4, v0
	s_cbranch_execz .LBB53_44
; %bb.38:
	ds_write2_b64 v1, v[90:91], v[92:93] offset1:1
	ds_write2_b64 v236, v[86:87], v[88:89] offset0:10 offset1:11
	ds_write2_b64 v236, v[82:83], v[84:85] offset0:12 offset1:13
	ds_write2_b64 v236, v[78:79], v[80:81] offset0:14 offset1:15
	ds_write2_b64 v236, v[74:75], v[76:77] offset0:16 offset1:17
	ds_write2_b64 v236, v[70:71], v[72:73] offset0:18 offset1:19
	ds_write2_b64 v236, v[66:67], v[68:69] offset0:20 offset1:21
	ds_write2_b64 v236, v[62:63], v[64:65] offset0:22 offset1:23
	ds_write2_b64 v236, v[58:59], v[60:61] offset0:24 offset1:25
	ds_write2_b64 v236, v[54:55], v[56:57] offset0:26 offset1:27
	ds_write2_b64 v236, v[50:51], v[52:53] offset0:28 offset1:29
	ds_write2_b64 v236, v[46:47], v[48:49] offset0:30 offset1:31
	ds_write2_b64 v236, v[42:43], v[44:45] offset0:32 offset1:33
	ds_write2_b64 v236, v[38:39], v[40:41] offset0:34 offset1:35
	ds_write2_b64 v236, v[34:35], v[36:37] offset0:36 offset1:37
	ds_write2_b64 v236, v[30:31], v[32:33] offset0:38 offset1:39
	ds_write2_b64 v236, v[26:27], v[28:29] offset0:40 offset1:41
	ds_write2_b64 v236, v[22:23], v[24:25] offset0:42 offset1:43
	ds_write2_b64 v236, v[18:19], v[20:21] offset0:44 offset1:45
	ds_write2_b64 v236, v[14:15], v[16:17] offset0:46 offset1:47
	ds_write2_b64 v236, v[10:11], v[12:13] offset0:48 offset1:49
	ds_write2_b64 v236, v[6:7], v[8:9] offset0:50 offset1:51
	ds_write2_b64 v236, v[2:3], v[4:5] offset0:52 offset1:53
	ds_read2_b64 v[126:129], v1 offset1:1
	s_waitcnt lgkmcnt(0)
	v_cmp_neq_f64_e32 vcc_lo, 0, v[126:127]
	v_cmp_neq_f64_e64 s1, 0, v[128:129]
	s_or_b32 s1, vcc_lo, s1
	s_and_b32 exec_lo, exec_lo, s1
	s_cbranch_execz .LBB53_44
; %bb.39:
	v_cmp_ngt_f64_e64 s1, |v[126:127]|, |v[128:129]|
                                        ; implicit-def: $vgpr130_vgpr131
	s_and_saveexec_b32 s3, s1
	s_xor_b32 s1, exec_lo, s3
                                        ; implicit-def: $vgpr132_vgpr133
	s_cbranch_execz .LBB53_41
; %bb.40:
	v_div_scale_f64 v[130:131], null, v[128:129], v[128:129], v[126:127]
	v_div_scale_f64 v[136:137], vcc_lo, v[126:127], v[128:129], v[126:127]
	v_rcp_f64_e32 v[132:133], v[130:131]
	v_fma_f64 v[134:135], -v[130:131], v[132:133], 1.0
	v_fma_f64 v[132:133], v[132:133], v[134:135], v[132:133]
	v_fma_f64 v[134:135], -v[130:131], v[132:133], 1.0
	v_fma_f64 v[132:133], v[132:133], v[134:135], v[132:133]
	v_mul_f64 v[134:135], v[136:137], v[132:133]
	v_fma_f64 v[130:131], -v[130:131], v[134:135], v[136:137]
	v_div_fmas_f64 v[130:131], v[130:131], v[132:133], v[134:135]
	v_div_fixup_f64 v[130:131], v[130:131], v[128:129], v[126:127]
	v_fma_f64 v[126:127], v[126:127], v[130:131], v[128:129]
	v_div_scale_f64 v[128:129], null, v[126:127], v[126:127], 1.0
	v_rcp_f64_e32 v[132:133], v[128:129]
	v_fma_f64 v[134:135], -v[128:129], v[132:133], 1.0
	v_fma_f64 v[132:133], v[132:133], v[134:135], v[132:133]
	v_fma_f64 v[134:135], -v[128:129], v[132:133], 1.0
	v_fma_f64 v[132:133], v[132:133], v[134:135], v[132:133]
	v_div_scale_f64 v[134:135], vcc_lo, 1.0, v[126:127], 1.0
	v_mul_f64 v[136:137], v[134:135], v[132:133]
	v_fma_f64 v[128:129], -v[128:129], v[136:137], v[134:135]
	v_div_fmas_f64 v[128:129], v[128:129], v[132:133], v[136:137]
	v_div_fixup_f64 v[132:133], v[128:129], v[126:127], 1.0
                                        ; implicit-def: $vgpr126_vgpr127
	v_mul_f64 v[130:131], v[130:131], v[132:133]
	v_xor_b32_e32 v133, 0x80000000, v133
.LBB53_41:
	s_andn2_saveexec_b32 s1, s1
	s_cbranch_execz .LBB53_43
; %bb.42:
	v_div_scale_f64 v[130:131], null, v[126:127], v[126:127], v[128:129]
	v_div_scale_f64 v[136:137], vcc_lo, v[128:129], v[126:127], v[128:129]
	v_rcp_f64_e32 v[132:133], v[130:131]
	v_fma_f64 v[134:135], -v[130:131], v[132:133], 1.0
	v_fma_f64 v[132:133], v[132:133], v[134:135], v[132:133]
	v_fma_f64 v[134:135], -v[130:131], v[132:133], 1.0
	v_fma_f64 v[132:133], v[132:133], v[134:135], v[132:133]
	v_mul_f64 v[134:135], v[136:137], v[132:133]
	v_fma_f64 v[130:131], -v[130:131], v[134:135], v[136:137]
	v_div_fmas_f64 v[130:131], v[130:131], v[132:133], v[134:135]
	v_div_fixup_f64 v[132:133], v[130:131], v[126:127], v[128:129]
	v_fma_f64 v[126:127], v[128:129], v[132:133], v[126:127]
	v_div_scale_f64 v[128:129], null, v[126:127], v[126:127], 1.0
	v_rcp_f64_e32 v[130:131], v[128:129]
	v_fma_f64 v[134:135], -v[128:129], v[130:131], 1.0
	v_fma_f64 v[130:131], v[130:131], v[134:135], v[130:131]
	v_fma_f64 v[134:135], -v[128:129], v[130:131], 1.0
	v_fma_f64 v[130:131], v[130:131], v[134:135], v[130:131]
	v_div_scale_f64 v[134:135], vcc_lo, 1.0, v[126:127], 1.0
	v_mul_f64 v[136:137], v[134:135], v[130:131]
	v_fma_f64 v[128:129], -v[128:129], v[136:137], v[134:135]
	v_div_fmas_f64 v[128:129], v[128:129], v[130:131], v[136:137]
	v_div_fixup_f64 v[130:131], v[128:129], v[126:127], 1.0
	v_mul_f64 v[132:133], v[132:133], -v[130:131]
.LBB53_43:
	s_or_b32 exec_lo, exec_lo, s1
	ds_write2_b64 v1, v[130:131], v[132:133] offset1:1
.LBB53_44:
	s_or_b32 exec_lo, exec_lo, s2
	s_waitcnt lgkmcnt(0)
	s_barrier
	buffer_gl0_inv
	ds_read2_b64 v[126:129], v1 offset1:1
	s_mov_b32 s1, exec_lo
	v_cmpx_lt_u32_e32 4, v0
	s_cbranch_execz .LBB53_46
; %bb.45:
	s_waitcnt lgkmcnt(0)
	v_mul_f64 v[130:131], v[128:129], v[92:93]
	v_mul_f64 v[92:93], v[126:127], v[92:93]
	ds_read2_b64 v[132:135], v236 offset0:10 offset1:11
	v_fma_f64 v[130:131], v[126:127], v[90:91], -v[130:131]
	v_fma_f64 v[92:93], v[128:129], v[90:91], v[92:93]
	s_waitcnt lgkmcnt(0)
	v_mul_f64 v[90:91], v[134:135], v[92:93]
	v_fma_f64 v[90:91], v[132:133], v[130:131], -v[90:91]
	v_mul_f64 v[132:133], v[132:133], v[92:93]
	v_add_f64 v[86:87], v[86:87], -v[90:91]
	v_fma_f64 v[132:133], v[134:135], v[130:131], v[132:133]
	v_add_f64 v[88:89], v[88:89], -v[132:133]
	ds_read2_b64 v[132:135], v236 offset0:12 offset1:13
	s_waitcnt lgkmcnt(0)
	v_mul_f64 v[90:91], v[134:135], v[92:93]
	v_fma_f64 v[90:91], v[132:133], v[130:131], -v[90:91]
	v_mul_f64 v[132:133], v[132:133], v[92:93]
	v_add_f64 v[82:83], v[82:83], -v[90:91]
	v_fma_f64 v[132:133], v[134:135], v[130:131], v[132:133]
	v_add_f64 v[84:85], v[84:85], -v[132:133]
	ds_read2_b64 v[132:135], v236 offset0:14 offset1:15
	;; [unrolled: 8-line block ×21, first 2 shown]
	s_waitcnt lgkmcnt(0)
	v_mul_f64 v[90:91], v[134:135], v[92:93]
	v_fma_f64 v[90:91], v[132:133], v[130:131], -v[90:91]
	v_mul_f64 v[132:133], v[132:133], v[92:93]
	v_add_f64 v[2:3], v[2:3], -v[90:91]
	v_fma_f64 v[132:133], v[134:135], v[130:131], v[132:133]
	v_mov_b32_e32 v90, v130
	v_mov_b32_e32 v91, v131
	v_add_f64 v[4:5], v[4:5], -v[132:133]
.LBB53_46:
	s_or_b32 exec_lo, exec_lo, s1
	s_mov_b32 s2, exec_lo
	s_waitcnt lgkmcnt(0)
	s_barrier
	buffer_gl0_inv
	v_cmpx_eq_u32_e32 5, v0
	s_cbranch_execz .LBB53_53
; %bb.47:
	ds_write2_b64 v1, v[86:87], v[88:89] offset1:1
	ds_write2_b64 v236, v[82:83], v[84:85] offset0:12 offset1:13
	ds_write2_b64 v236, v[78:79], v[80:81] offset0:14 offset1:15
	ds_write2_b64 v236, v[74:75], v[76:77] offset0:16 offset1:17
	ds_write2_b64 v236, v[70:71], v[72:73] offset0:18 offset1:19
	ds_write2_b64 v236, v[66:67], v[68:69] offset0:20 offset1:21
	ds_write2_b64 v236, v[62:63], v[64:65] offset0:22 offset1:23
	ds_write2_b64 v236, v[58:59], v[60:61] offset0:24 offset1:25
	ds_write2_b64 v236, v[54:55], v[56:57] offset0:26 offset1:27
	ds_write2_b64 v236, v[50:51], v[52:53] offset0:28 offset1:29
	ds_write2_b64 v236, v[46:47], v[48:49] offset0:30 offset1:31
	ds_write2_b64 v236, v[42:43], v[44:45] offset0:32 offset1:33
	ds_write2_b64 v236, v[38:39], v[40:41] offset0:34 offset1:35
	ds_write2_b64 v236, v[34:35], v[36:37] offset0:36 offset1:37
	ds_write2_b64 v236, v[30:31], v[32:33] offset0:38 offset1:39
	ds_write2_b64 v236, v[26:27], v[28:29] offset0:40 offset1:41
	ds_write2_b64 v236, v[22:23], v[24:25] offset0:42 offset1:43
	ds_write2_b64 v236, v[18:19], v[20:21] offset0:44 offset1:45
	ds_write2_b64 v236, v[14:15], v[16:17] offset0:46 offset1:47
	ds_write2_b64 v236, v[10:11], v[12:13] offset0:48 offset1:49
	ds_write2_b64 v236, v[6:7], v[8:9] offset0:50 offset1:51
	ds_write2_b64 v236, v[2:3], v[4:5] offset0:52 offset1:53
	ds_read2_b64 v[130:133], v1 offset1:1
	s_waitcnt lgkmcnt(0)
	v_cmp_neq_f64_e32 vcc_lo, 0, v[130:131]
	v_cmp_neq_f64_e64 s1, 0, v[132:133]
	s_or_b32 s1, vcc_lo, s1
	s_and_b32 exec_lo, exec_lo, s1
	s_cbranch_execz .LBB53_53
; %bb.48:
	v_cmp_ngt_f64_e64 s1, |v[130:131]|, |v[132:133]|
                                        ; implicit-def: $vgpr134_vgpr135
	s_and_saveexec_b32 s3, s1
	s_xor_b32 s1, exec_lo, s3
                                        ; implicit-def: $vgpr136_vgpr137
	s_cbranch_execz .LBB53_50
; %bb.49:
	v_div_scale_f64 v[134:135], null, v[132:133], v[132:133], v[130:131]
	v_div_scale_f64 v[140:141], vcc_lo, v[130:131], v[132:133], v[130:131]
	v_rcp_f64_e32 v[136:137], v[134:135]
	v_fma_f64 v[138:139], -v[134:135], v[136:137], 1.0
	v_fma_f64 v[136:137], v[136:137], v[138:139], v[136:137]
	v_fma_f64 v[138:139], -v[134:135], v[136:137], 1.0
	v_fma_f64 v[136:137], v[136:137], v[138:139], v[136:137]
	v_mul_f64 v[138:139], v[140:141], v[136:137]
	v_fma_f64 v[134:135], -v[134:135], v[138:139], v[140:141]
	v_div_fmas_f64 v[134:135], v[134:135], v[136:137], v[138:139]
	v_div_fixup_f64 v[134:135], v[134:135], v[132:133], v[130:131]
	v_fma_f64 v[130:131], v[130:131], v[134:135], v[132:133]
	v_div_scale_f64 v[132:133], null, v[130:131], v[130:131], 1.0
	v_rcp_f64_e32 v[136:137], v[132:133]
	v_fma_f64 v[138:139], -v[132:133], v[136:137], 1.0
	v_fma_f64 v[136:137], v[136:137], v[138:139], v[136:137]
	v_fma_f64 v[138:139], -v[132:133], v[136:137], 1.0
	v_fma_f64 v[136:137], v[136:137], v[138:139], v[136:137]
	v_div_scale_f64 v[138:139], vcc_lo, 1.0, v[130:131], 1.0
	v_mul_f64 v[140:141], v[138:139], v[136:137]
	v_fma_f64 v[132:133], -v[132:133], v[140:141], v[138:139]
	v_div_fmas_f64 v[132:133], v[132:133], v[136:137], v[140:141]
	v_div_fixup_f64 v[136:137], v[132:133], v[130:131], 1.0
                                        ; implicit-def: $vgpr130_vgpr131
	v_mul_f64 v[134:135], v[134:135], v[136:137]
	v_xor_b32_e32 v137, 0x80000000, v137
.LBB53_50:
	s_andn2_saveexec_b32 s1, s1
	s_cbranch_execz .LBB53_52
; %bb.51:
	v_div_scale_f64 v[134:135], null, v[130:131], v[130:131], v[132:133]
	v_div_scale_f64 v[140:141], vcc_lo, v[132:133], v[130:131], v[132:133]
	v_rcp_f64_e32 v[136:137], v[134:135]
	v_fma_f64 v[138:139], -v[134:135], v[136:137], 1.0
	v_fma_f64 v[136:137], v[136:137], v[138:139], v[136:137]
	v_fma_f64 v[138:139], -v[134:135], v[136:137], 1.0
	v_fma_f64 v[136:137], v[136:137], v[138:139], v[136:137]
	v_mul_f64 v[138:139], v[140:141], v[136:137]
	v_fma_f64 v[134:135], -v[134:135], v[138:139], v[140:141]
	v_div_fmas_f64 v[134:135], v[134:135], v[136:137], v[138:139]
	v_div_fixup_f64 v[136:137], v[134:135], v[130:131], v[132:133]
	v_fma_f64 v[130:131], v[132:133], v[136:137], v[130:131]
	v_div_scale_f64 v[132:133], null, v[130:131], v[130:131], 1.0
	v_rcp_f64_e32 v[134:135], v[132:133]
	v_fma_f64 v[138:139], -v[132:133], v[134:135], 1.0
	v_fma_f64 v[134:135], v[134:135], v[138:139], v[134:135]
	v_fma_f64 v[138:139], -v[132:133], v[134:135], 1.0
	v_fma_f64 v[134:135], v[134:135], v[138:139], v[134:135]
	v_div_scale_f64 v[138:139], vcc_lo, 1.0, v[130:131], 1.0
	v_mul_f64 v[140:141], v[138:139], v[134:135]
	v_fma_f64 v[132:133], -v[132:133], v[140:141], v[138:139]
	v_div_fmas_f64 v[132:133], v[132:133], v[134:135], v[140:141]
	v_div_fixup_f64 v[134:135], v[132:133], v[130:131], 1.0
	v_mul_f64 v[136:137], v[136:137], -v[134:135]
.LBB53_52:
	s_or_b32 exec_lo, exec_lo, s1
	ds_write2_b64 v1, v[134:135], v[136:137] offset1:1
.LBB53_53:
	s_or_b32 exec_lo, exec_lo, s2
	s_waitcnt lgkmcnt(0)
	s_barrier
	buffer_gl0_inv
	ds_read2_b64 v[130:133], v1 offset1:1
	s_mov_b32 s1, exec_lo
	v_cmpx_lt_u32_e32 5, v0
	s_cbranch_execz .LBB53_55
; %bb.54:
	s_waitcnt lgkmcnt(0)
	v_mul_f64 v[134:135], v[132:133], v[88:89]
	v_mul_f64 v[88:89], v[130:131], v[88:89]
	ds_read2_b64 v[136:139], v236 offset0:12 offset1:13
	v_fma_f64 v[134:135], v[130:131], v[86:87], -v[134:135]
	v_fma_f64 v[88:89], v[132:133], v[86:87], v[88:89]
	s_waitcnt lgkmcnt(0)
	v_mul_f64 v[86:87], v[138:139], v[88:89]
	v_fma_f64 v[86:87], v[136:137], v[134:135], -v[86:87]
	v_mul_f64 v[136:137], v[136:137], v[88:89]
	v_add_f64 v[82:83], v[82:83], -v[86:87]
	v_fma_f64 v[136:137], v[138:139], v[134:135], v[136:137]
	v_add_f64 v[84:85], v[84:85], -v[136:137]
	ds_read2_b64 v[136:139], v236 offset0:14 offset1:15
	s_waitcnt lgkmcnt(0)
	v_mul_f64 v[86:87], v[138:139], v[88:89]
	v_fma_f64 v[86:87], v[136:137], v[134:135], -v[86:87]
	v_mul_f64 v[136:137], v[136:137], v[88:89]
	v_add_f64 v[78:79], v[78:79], -v[86:87]
	v_fma_f64 v[136:137], v[138:139], v[134:135], v[136:137]
	v_add_f64 v[80:81], v[80:81], -v[136:137]
	ds_read2_b64 v[136:139], v236 offset0:16 offset1:17
	s_waitcnt lgkmcnt(0)
	v_mul_f64 v[86:87], v[138:139], v[88:89]
	v_fma_f64 v[86:87], v[136:137], v[134:135], -v[86:87]
	v_mul_f64 v[136:137], v[136:137], v[88:89]
	v_add_f64 v[74:75], v[74:75], -v[86:87]
	v_fma_f64 v[136:137], v[138:139], v[134:135], v[136:137]
	v_add_f64 v[76:77], v[76:77], -v[136:137]
	ds_read2_b64 v[136:139], v236 offset0:18 offset1:19
	s_waitcnt lgkmcnt(0)
	v_mul_f64 v[86:87], v[138:139], v[88:89]
	v_fma_f64 v[86:87], v[136:137], v[134:135], -v[86:87]
	v_mul_f64 v[136:137], v[136:137], v[88:89]
	v_add_f64 v[70:71], v[70:71], -v[86:87]
	v_fma_f64 v[136:137], v[138:139], v[134:135], v[136:137]
	v_add_f64 v[72:73], v[72:73], -v[136:137]
	ds_read2_b64 v[136:139], v236 offset0:20 offset1:21
	s_waitcnt lgkmcnt(0)
	v_mul_f64 v[86:87], v[138:139], v[88:89]
	v_fma_f64 v[86:87], v[136:137], v[134:135], -v[86:87]
	v_mul_f64 v[136:137], v[136:137], v[88:89]
	v_add_f64 v[66:67], v[66:67], -v[86:87]
	v_fma_f64 v[136:137], v[138:139], v[134:135], v[136:137]
	v_add_f64 v[68:69], v[68:69], -v[136:137]
	ds_read2_b64 v[136:139], v236 offset0:22 offset1:23
	s_waitcnt lgkmcnt(0)
	v_mul_f64 v[86:87], v[138:139], v[88:89]
	v_fma_f64 v[86:87], v[136:137], v[134:135], -v[86:87]
	v_mul_f64 v[136:137], v[136:137], v[88:89]
	v_add_f64 v[62:63], v[62:63], -v[86:87]
	v_fma_f64 v[136:137], v[138:139], v[134:135], v[136:137]
	v_add_f64 v[64:65], v[64:65], -v[136:137]
	ds_read2_b64 v[136:139], v236 offset0:24 offset1:25
	s_waitcnt lgkmcnt(0)
	v_mul_f64 v[86:87], v[138:139], v[88:89]
	v_fma_f64 v[86:87], v[136:137], v[134:135], -v[86:87]
	v_mul_f64 v[136:137], v[136:137], v[88:89]
	v_add_f64 v[58:59], v[58:59], -v[86:87]
	v_fma_f64 v[136:137], v[138:139], v[134:135], v[136:137]
	v_add_f64 v[60:61], v[60:61], -v[136:137]
	ds_read2_b64 v[136:139], v236 offset0:26 offset1:27
	s_waitcnt lgkmcnt(0)
	v_mul_f64 v[86:87], v[138:139], v[88:89]
	v_fma_f64 v[86:87], v[136:137], v[134:135], -v[86:87]
	v_mul_f64 v[136:137], v[136:137], v[88:89]
	v_add_f64 v[54:55], v[54:55], -v[86:87]
	v_fma_f64 v[136:137], v[138:139], v[134:135], v[136:137]
	v_add_f64 v[56:57], v[56:57], -v[136:137]
	ds_read2_b64 v[136:139], v236 offset0:28 offset1:29
	s_waitcnt lgkmcnt(0)
	v_mul_f64 v[86:87], v[138:139], v[88:89]
	v_fma_f64 v[86:87], v[136:137], v[134:135], -v[86:87]
	v_mul_f64 v[136:137], v[136:137], v[88:89]
	v_add_f64 v[50:51], v[50:51], -v[86:87]
	v_fma_f64 v[136:137], v[138:139], v[134:135], v[136:137]
	v_add_f64 v[52:53], v[52:53], -v[136:137]
	ds_read2_b64 v[136:139], v236 offset0:30 offset1:31
	s_waitcnt lgkmcnt(0)
	v_mul_f64 v[86:87], v[138:139], v[88:89]
	v_fma_f64 v[86:87], v[136:137], v[134:135], -v[86:87]
	v_mul_f64 v[136:137], v[136:137], v[88:89]
	v_add_f64 v[46:47], v[46:47], -v[86:87]
	v_fma_f64 v[136:137], v[138:139], v[134:135], v[136:137]
	v_add_f64 v[48:49], v[48:49], -v[136:137]
	ds_read2_b64 v[136:139], v236 offset0:32 offset1:33
	s_waitcnt lgkmcnt(0)
	v_mul_f64 v[86:87], v[138:139], v[88:89]
	v_fma_f64 v[86:87], v[136:137], v[134:135], -v[86:87]
	v_mul_f64 v[136:137], v[136:137], v[88:89]
	v_add_f64 v[42:43], v[42:43], -v[86:87]
	v_fma_f64 v[136:137], v[138:139], v[134:135], v[136:137]
	v_add_f64 v[44:45], v[44:45], -v[136:137]
	ds_read2_b64 v[136:139], v236 offset0:34 offset1:35
	s_waitcnt lgkmcnt(0)
	v_mul_f64 v[86:87], v[138:139], v[88:89]
	v_fma_f64 v[86:87], v[136:137], v[134:135], -v[86:87]
	v_mul_f64 v[136:137], v[136:137], v[88:89]
	v_add_f64 v[38:39], v[38:39], -v[86:87]
	v_fma_f64 v[136:137], v[138:139], v[134:135], v[136:137]
	v_add_f64 v[40:41], v[40:41], -v[136:137]
	ds_read2_b64 v[136:139], v236 offset0:36 offset1:37
	s_waitcnt lgkmcnt(0)
	v_mul_f64 v[86:87], v[138:139], v[88:89]
	v_fma_f64 v[86:87], v[136:137], v[134:135], -v[86:87]
	v_mul_f64 v[136:137], v[136:137], v[88:89]
	v_add_f64 v[34:35], v[34:35], -v[86:87]
	v_fma_f64 v[136:137], v[138:139], v[134:135], v[136:137]
	v_add_f64 v[36:37], v[36:37], -v[136:137]
	ds_read2_b64 v[136:139], v236 offset0:38 offset1:39
	s_waitcnt lgkmcnt(0)
	v_mul_f64 v[86:87], v[138:139], v[88:89]
	v_fma_f64 v[86:87], v[136:137], v[134:135], -v[86:87]
	v_mul_f64 v[136:137], v[136:137], v[88:89]
	v_add_f64 v[30:31], v[30:31], -v[86:87]
	v_fma_f64 v[136:137], v[138:139], v[134:135], v[136:137]
	v_add_f64 v[32:33], v[32:33], -v[136:137]
	ds_read2_b64 v[136:139], v236 offset0:40 offset1:41
	s_waitcnt lgkmcnt(0)
	v_mul_f64 v[86:87], v[138:139], v[88:89]
	v_fma_f64 v[86:87], v[136:137], v[134:135], -v[86:87]
	v_mul_f64 v[136:137], v[136:137], v[88:89]
	v_add_f64 v[26:27], v[26:27], -v[86:87]
	v_fma_f64 v[136:137], v[138:139], v[134:135], v[136:137]
	v_add_f64 v[28:29], v[28:29], -v[136:137]
	ds_read2_b64 v[136:139], v236 offset0:42 offset1:43
	s_waitcnt lgkmcnt(0)
	v_mul_f64 v[86:87], v[138:139], v[88:89]
	v_fma_f64 v[86:87], v[136:137], v[134:135], -v[86:87]
	v_mul_f64 v[136:137], v[136:137], v[88:89]
	v_add_f64 v[22:23], v[22:23], -v[86:87]
	v_fma_f64 v[136:137], v[138:139], v[134:135], v[136:137]
	v_add_f64 v[24:25], v[24:25], -v[136:137]
	ds_read2_b64 v[136:139], v236 offset0:44 offset1:45
	s_waitcnt lgkmcnt(0)
	v_mul_f64 v[86:87], v[138:139], v[88:89]
	v_fma_f64 v[86:87], v[136:137], v[134:135], -v[86:87]
	v_mul_f64 v[136:137], v[136:137], v[88:89]
	v_add_f64 v[18:19], v[18:19], -v[86:87]
	v_fma_f64 v[136:137], v[138:139], v[134:135], v[136:137]
	v_add_f64 v[20:21], v[20:21], -v[136:137]
	ds_read2_b64 v[136:139], v236 offset0:46 offset1:47
	s_waitcnt lgkmcnt(0)
	v_mul_f64 v[86:87], v[138:139], v[88:89]
	v_fma_f64 v[86:87], v[136:137], v[134:135], -v[86:87]
	v_mul_f64 v[136:137], v[136:137], v[88:89]
	v_add_f64 v[14:15], v[14:15], -v[86:87]
	v_fma_f64 v[136:137], v[138:139], v[134:135], v[136:137]
	v_add_f64 v[16:17], v[16:17], -v[136:137]
	ds_read2_b64 v[136:139], v236 offset0:48 offset1:49
	s_waitcnt lgkmcnt(0)
	v_mul_f64 v[86:87], v[138:139], v[88:89]
	v_fma_f64 v[86:87], v[136:137], v[134:135], -v[86:87]
	v_mul_f64 v[136:137], v[136:137], v[88:89]
	v_add_f64 v[10:11], v[10:11], -v[86:87]
	v_fma_f64 v[136:137], v[138:139], v[134:135], v[136:137]
	v_add_f64 v[12:13], v[12:13], -v[136:137]
	ds_read2_b64 v[136:139], v236 offset0:50 offset1:51
	s_waitcnt lgkmcnt(0)
	v_mul_f64 v[86:87], v[138:139], v[88:89]
	v_fma_f64 v[86:87], v[136:137], v[134:135], -v[86:87]
	v_mul_f64 v[136:137], v[136:137], v[88:89]
	v_add_f64 v[6:7], v[6:7], -v[86:87]
	v_fma_f64 v[136:137], v[138:139], v[134:135], v[136:137]
	v_add_f64 v[8:9], v[8:9], -v[136:137]
	ds_read2_b64 v[136:139], v236 offset0:52 offset1:53
	s_waitcnt lgkmcnt(0)
	v_mul_f64 v[86:87], v[138:139], v[88:89]
	v_fma_f64 v[86:87], v[136:137], v[134:135], -v[86:87]
	v_mul_f64 v[136:137], v[136:137], v[88:89]
	v_add_f64 v[2:3], v[2:3], -v[86:87]
	v_fma_f64 v[136:137], v[138:139], v[134:135], v[136:137]
	v_mov_b32_e32 v86, v134
	v_mov_b32_e32 v87, v135
	v_add_f64 v[4:5], v[4:5], -v[136:137]
.LBB53_55:
	s_or_b32 exec_lo, exec_lo, s1
	s_mov_b32 s2, exec_lo
	s_waitcnt lgkmcnt(0)
	s_barrier
	buffer_gl0_inv
	v_cmpx_eq_u32_e32 6, v0
	s_cbranch_execz .LBB53_62
; %bb.56:
	ds_write2_b64 v1, v[82:83], v[84:85] offset1:1
	ds_write2_b64 v236, v[78:79], v[80:81] offset0:14 offset1:15
	ds_write2_b64 v236, v[74:75], v[76:77] offset0:16 offset1:17
	;; [unrolled: 1-line block ×20, first 2 shown]
	ds_read2_b64 v[134:137], v1 offset1:1
	s_waitcnt lgkmcnt(0)
	v_cmp_neq_f64_e32 vcc_lo, 0, v[134:135]
	v_cmp_neq_f64_e64 s1, 0, v[136:137]
	s_or_b32 s1, vcc_lo, s1
	s_and_b32 exec_lo, exec_lo, s1
	s_cbranch_execz .LBB53_62
; %bb.57:
	v_cmp_ngt_f64_e64 s1, |v[134:135]|, |v[136:137]|
                                        ; implicit-def: $vgpr138_vgpr139
	s_and_saveexec_b32 s3, s1
	s_xor_b32 s1, exec_lo, s3
                                        ; implicit-def: $vgpr140_vgpr141
	s_cbranch_execz .LBB53_59
; %bb.58:
	v_div_scale_f64 v[138:139], null, v[136:137], v[136:137], v[134:135]
	v_div_scale_f64 v[144:145], vcc_lo, v[134:135], v[136:137], v[134:135]
	v_rcp_f64_e32 v[140:141], v[138:139]
	v_fma_f64 v[142:143], -v[138:139], v[140:141], 1.0
	v_fma_f64 v[140:141], v[140:141], v[142:143], v[140:141]
	v_fma_f64 v[142:143], -v[138:139], v[140:141], 1.0
	v_fma_f64 v[140:141], v[140:141], v[142:143], v[140:141]
	v_mul_f64 v[142:143], v[144:145], v[140:141]
	v_fma_f64 v[138:139], -v[138:139], v[142:143], v[144:145]
	v_div_fmas_f64 v[138:139], v[138:139], v[140:141], v[142:143]
	v_div_fixup_f64 v[138:139], v[138:139], v[136:137], v[134:135]
	v_fma_f64 v[134:135], v[134:135], v[138:139], v[136:137]
	v_div_scale_f64 v[136:137], null, v[134:135], v[134:135], 1.0
	v_rcp_f64_e32 v[140:141], v[136:137]
	v_fma_f64 v[142:143], -v[136:137], v[140:141], 1.0
	v_fma_f64 v[140:141], v[140:141], v[142:143], v[140:141]
	v_fma_f64 v[142:143], -v[136:137], v[140:141], 1.0
	v_fma_f64 v[140:141], v[140:141], v[142:143], v[140:141]
	v_div_scale_f64 v[142:143], vcc_lo, 1.0, v[134:135], 1.0
	v_mul_f64 v[144:145], v[142:143], v[140:141]
	v_fma_f64 v[136:137], -v[136:137], v[144:145], v[142:143]
	v_div_fmas_f64 v[136:137], v[136:137], v[140:141], v[144:145]
	v_div_fixup_f64 v[140:141], v[136:137], v[134:135], 1.0
                                        ; implicit-def: $vgpr134_vgpr135
	v_mul_f64 v[138:139], v[138:139], v[140:141]
	v_xor_b32_e32 v141, 0x80000000, v141
.LBB53_59:
	s_andn2_saveexec_b32 s1, s1
	s_cbranch_execz .LBB53_61
; %bb.60:
	v_div_scale_f64 v[138:139], null, v[134:135], v[134:135], v[136:137]
	v_div_scale_f64 v[144:145], vcc_lo, v[136:137], v[134:135], v[136:137]
	v_rcp_f64_e32 v[140:141], v[138:139]
	v_fma_f64 v[142:143], -v[138:139], v[140:141], 1.0
	v_fma_f64 v[140:141], v[140:141], v[142:143], v[140:141]
	v_fma_f64 v[142:143], -v[138:139], v[140:141], 1.0
	v_fma_f64 v[140:141], v[140:141], v[142:143], v[140:141]
	v_mul_f64 v[142:143], v[144:145], v[140:141]
	v_fma_f64 v[138:139], -v[138:139], v[142:143], v[144:145]
	v_div_fmas_f64 v[138:139], v[138:139], v[140:141], v[142:143]
	v_div_fixup_f64 v[140:141], v[138:139], v[134:135], v[136:137]
	v_fma_f64 v[134:135], v[136:137], v[140:141], v[134:135]
	v_div_scale_f64 v[136:137], null, v[134:135], v[134:135], 1.0
	v_rcp_f64_e32 v[138:139], v[136:137]
	v_fma_f64 v[142:143], -v[136:137], v[138:139], 1.0
	v_fma_f64 v[138:139], v[138:139], v[142:143], v[138:139]
	v_fma_f64 v[142:143], -v[136:137], v[138:139], 1.0
	v_fma_f64 v[138:139], v[138:139], v[142:143], v[138:139]
	v_div_scale_f64 v[142:143], vcc_lo, 1.0, v[134:135], 1.0
	v_mul_f64 v[144:145], v[142:143], v[138:139]
	v_fma_f64 v[136:137], -v[136:137], v[144:145], v[142:143]
	v_div_fmas_f64 v[136:137], v[136:137], v[138:139], v[144:145]
	v_div_fixup_f64 v[138:139], v[136:137], v[134:135], 1.0
	v_mul_f64 v[140:141], v[140:141], -v[138:139]
.LBB53_61:
	s_or_b32 exec_lo, exec_lo, s1
	ds_write2_b64 v1, v[138:139], v[140:141] offset1:1
.LBB53_62:
	s_or_b32 exec_lo, exec_lo, s2
	s_waitcnt lgkmcnt(0)
	s_barrier
	buffer_gl0_inv
	ds_read2_b64 v[134:137], v1 offset1:1
	s_mov_b32 s1, exec_lo
	v_cmpx_lt_u32_e32 6, v0
	s_cbranch_execz .LBB53_64
; %bb.63:
	s_waitcnt lgkmcnt(0)
	v_mul_f64 v[138:139], v[136:137], v[84:85]
	v_mul_f64 v[84:85], v[134:135], v[84:85]
	ds_read2_b64 v[140:143], v236 offset0:14 offset1:15
	v_fma_f64 v[138:139], v[134:135], v[82:83], -v[138:139]
	v_fma_f64 v[84:85], v[136:137], v[82:83], v[84:85]
	s_waitcnt lgkmcnt(0)
	v_mul_f64 v[82:83], v[142:143], v[84:85]
	v_fma_f64 v[82:83], v[140:141], v[138:139], -v[82:83]
	v_mul_f64 v[140:141], v[140:141], v[84:85]
	v_add_f64 v[78:79], v[78:79], -v[82:83]
	v_fma_f64 v[140:141], v[142:143], v[138:139], v[140:141]
	v_add_f64 v[80:81], v[80:81], -v[140:141]
	ds_read2_b64 v[140:143], v236 offset0:16 offset1:17
	s_waitcnt lgkmcnt(0)
	v_mul_f64 v[82:83], v[142:143], v[84:85]
	v_fma_f64 v[82:83], v[140:141], v[138:139], -v[82:83]
	v_mul_f64 v[140:141], v[140:141], v[84:85]
	v_add_f64 v[74:75], v[74:75], -v[82:83]
	v_fma_f64 v[140:141], v[142:143], v[138:139], v[140:141]
	v_add_f64 v[76:77], v[76:77], -v[140:141]
	ds_read2_b64 v[140:143], v236 offset0:18 offset1:19
	;; [unrolled: 8-line block ×19, first 2 shown]
	s_waitcnt lgkmcnt(0)
	v_mul_f64 v[82:83], v[142:143], v[84:85]
	v_fma_f64 v[82:83], v[140:141], v[138:139], -v[82:83]
	v_mul_f64 v[140:141], v[140:141], v[84:85]
	v_add_f64 v[2:3], v[2:3], -v[82:83]
	v_fma_f64 v[140:141], v[142:143], v[138:139], v[140:141]
	v_mov_b32_e32 v82, v138
	v_mov_b32_e32 v83, v139
	v_add_f64 v[4:5], v[4:5], -v[140:141]
.LBB53_64:
	s_or_b32 exec_lo, exec_lo, s1
	s_mov_b32 s2, exec_lo
	s_waitcnt lgkmcnt(0)
	s_barrier
	buffer_gl0_inv
	v_cmpx_eq_u32_e32 7, v0
	s_cbranch_execz .LBB53_71
; %bb.65:
	ds_write2_b64 v1, v[78:79], v[80:81] offset1:1
	ds_write2_b64 v236, v[74:75], v[76:77] offset0:16 offset1:17
	ds_write2_b64 v236, v[70:71], v[72:73] offset0:18 offset1:19
	;; [unrolled: 1-line block ×19, first 2 shown]
	ds_read2_b64 v[138:141], v1 offset1:1
	s_waitcnt lgkmcnt(0)
	v_cmp_neq_f64_e32 vcc_lo, 0, v[138:139]
	v_cmp_neq_f64_e64 s1, 0, v[140:141]
	s_or_b32 s1, vcc_lo, s1
	s_and_b32 exec_lo, exec_lo, s1
	s_cbranch_execz .LBB53_71
; %bb.66:
	v_cmp_ngt_f64_e64 s1, |v[138:139]|, |v[140:141]|
                                        ; implicit-def: $vgpr142_vgpr143
	s_and_saveexec_b32 s3, s1
	s_xor_b32 s1, exec_lo, s3
                                        ; implicit-def: $vgpr144_vgpr145
	s_cbranch_execz .LBB53_68
; %bb.67:
	v_div_scale_f64 v[142:143], null, v[140:141], v[140:141], v[138:139]
	v_div_scale_f64 v[148:149], vcc_lo, v[138:139], v[140:141], v[138:139]
	v_rcp_f64_e32 v[144:145], v[142:143]
	v_fma_f64 v[146:147], -v[142:143], v[144:145], 1.0
	v_fma_f64 v[144:145], v[144:145], v[146:147], v[144:145]
	v_fma_f64 v[146:147], -v[142:143], v[144:145], 1.0
	v_fma_f64 v[144:145], v[144:145], v[146:147], v[144:145]
	v_mul_f64 v[146:147], v[148:149], v[144:145]
	v_fma_f64 v[142:143], -v[142:143], v[146:147], v[148:149]
	v_div_fmas_f64 v[142:143], v[142:143], v[144:145], v[146:147]
	v_div_fixup_f64 v[142:143], v[142:143], v[140:141], v[138:139]
	v_fma_f64 v[138:139], v[138:139], v[142:143], v[140:141]
	v_div_scale_f64 v[140:141], null, v[138:139], v[138:139], 1.0
	v_rcp_f64_e32 v[144:145], v[140:141]
	v_fma_f64 v[146:147], -v[140:141], v[144:145], 1.0
	v_fma_f64 v[144:145], v[144:145], v[146:147], v[144:145]
	v_fma_f64 v[146:147], -v[140:141], v[144:145], 1.0
	v_fma_f64 v[144:145], v[144:145], v[146:147], v[144:145]
	v_div_scale_f64 v[146:147], vcc_lo, 1.0, v[138:139], 1.0
	v_mul_f64 v[148:149], v[146:147], v[144:145]
	v_fma_f64 v[140:141], -v[140:141], v[148:149], v[146:147]
	v_div_fmas_f64 v[140:141], v[140:141], v[144:145], v[148:149]
	v_div_fixup_f64 v[144:145], v[140:141], v[138:139], 1.0
                                        ; implicit-def: $vgpr138_vgpr139
	v_mul_f64 v[142:143], v[142:143], v[144:145]
	v_xor_b32_e32 v145, 0x80000000, v145
.LBB53_68:
	s_andn2_saveexec_b32 s1, s1
	s_cbranch_execz .LBB53_70
; %bb.69:
	v_div_scale_f64 v[142:143], null, v[138:139], v[138:139], v[140:141]
	v_div_scale_f64 v[148:149], vcc_lo, v[140:141], v[138:139], v[140:141]
	v_rcp_f64_e32 v[144:145], v[142:143]
	v_fma_f64 v[146:147], -v[142:143], v[144:145], 1.0
	v_fma_f64 v[144:145], v[144:145], v[146:147], v[144:145]
	v_fma_f64 v[146:147], -v[142:143], v[144:145], 1.0
	v_fma_f64 v[144:145], v[144:145], v[146:147], v[144:145]
	v_mul_f64 v[146:147], v[148:149], v[144:145]
	v_fma_f64 v[142:143], -v[142:143], v[146:147], v[148:149]
	v_div_fmas_f64 v[142:143], v[142:143], v[144:145], v[146:147]
	v_div_fixup_f64 v[144:145], v[142:143], v[138:139], v[140:141]
	v_fma_f64 v[138:139], v[140:141], v[144:145], v[138:139]
	v_div_scale_f64 v[140:141], null, v[138:139], v[138:139], 1.0
	v_rcp_f64_e32 v[142:143], v[140:141]
	v_fma_f64 v[146:147], -v[140:141], v[142:143], 1.0
	v_fma_f64 v[142:143], v[142:143], v[146:147], v[142:143]
	v_fma_f64 v[146:147], -v[140:141], v[142:143], 1.0
	v_fma_f64 v[142:143], v[142:143], v[146:147], v[142:143]
	v_div_scale_f64 v[146:147], vcc_lo, 1.0, v[138:139], 1.0
	v_mul_f64 v[148:149], v[146:147], v[142:143]
	v_fma_f64 v[140:141], -v[140:141], v[148:149], v[146:147]
	v_div_fmas_f64 v[140:141], v[140:141], v[142:143], v[148:149]
	v_div_fixup_f64 v[142:143], v[140:141], v[138:139], 1.0
	v_mul_f64 v[144:145], v[144:145], -v[142:143]
.LBB53_70:
	s_or_b32 exec_lo, exec_lo, s1
	ds_write2_b64 v1, v[142:143], v[144:145] offset1:1
.LBB53_71:
	s_or_b32 exec_lo, exec_lo, s2
	s_waitcnt lgkmcnt(0)
	s_barrier
	buffer_gl0_inv
	ds_read2_b64 v[138:141], v1 offset1:1
	s_mov_b32 s1, exec_lo
	v_cmpx_lt_u32_e32 7, v0
	s_cbranch_execz .LBB53_73
; %bb.72:
	s_waitcnt lgkmcnt(0)
	v_mul_f64 v[142:143], v[140:141], v[80:81]
	v_mul_f64 v[80:81], v[138:139], v[80:81]
	ds_read2_b64 v[144:147], v236 offset0:16 offset1:17
	v_fma_f64 v[142:143], v[138:139], v[78:79], -v[142:143]
	v_fma_f64 v[80:81], v[140:141], v[78:79], v[80:81]
	s_waitcnt lgkmcnt(0)
	v_mul_f64 v[78:79], v[146:147], v[80:81]
	v_fma_f64 v[78:79], v[144:145], v[142:143], -v[78:79]
	v_mul_f64 v[144:145], v[144:145], v[80:81]
	v_add_f64 v[74:75], v[74:75], -v[78:79]
	v_fma_f64 v[144:145], v[146:147], v[142:143], v[144:145]
	v_add_f64 v[76:77], v[76:77], -v[144:145]
	ds_read2_b64 v[144:147], v236 offset0:18 offset1:19
	s_waitcnt lgkmcnt(0)
	v_mul_f64 v[78:79], v[146:147], v[80:81]
	v_fma_f64 v[78:79], v[144:145], v[142:143], -v[78:79]
	v_mul_f64 v[144:145], v[144:145], v[80:81]
	v_add_f64 v[70:71], v[70:71], -v[78:79]
	v_fma_f64 v[144:145], v[146:147], v[142:143], v[144:145]
	v_add_f64 v[72:73], v[72:73], -v[144:145]
	ds_read2_b64 v[144:147], v236 offset0:20 offset1:21
	;; [unrolled: 8-line block ×18, first 2 shown]
	s_waitcnt lgkmcnt(0)
	v_mul_f64 v[78:79], v[146:147], v[80:81]
	v_fma_f64 v[78:79], v[144:145], v[142:143], -v[78:79]
	v_mul_f64 v[144:145], v[144:145], v[80:81]
	v_add_f64 v[2:3], v[2:3], -v[78:79]
	v_fma_f64 v[144:145], v[146:147], v[142:143], v[144:145]
	v_mov_b32_e32 v78, v142
	v_mov_b32_e32 v79, v143
	v_add_f64 v[4:5], v[4:5], -v[144:145]
.LBB53_73:
	s_or_b32 exec_lo, exec_lo, s1
	s_mov_b32 s2, exec_lo
	s_waitcnt lgkmcnt(0)
	s_barrier
	buffer_gl0_inv
	v_cmpx_eq_u32_e32 8, v0
	s_cbranch_execz .LBB53_80
; %bb.74:
	ds_write2_b64 v1, v[74:75], v[76:77] offset1:1
	ds_write2_b64 v236, v[70:71], v[72:73] offset0:18 offset1:19
	ds_write2_b64 v236, v[66:67], v[68:69] offset0:20 offset1:21
	;; [unrolled: 1-line block ×18, first 2 shown]
	ds_read2_b64 v[142:145], v1 offset1:1
	s_waitcnt lgkmcnt(0)
	v_cmp_neq_f64_e32 vcc_lo, 0, v[142:143]
	v_cmp_neq_f64_e64 s1, 0, v[144:145]
	s_or_b32 s1, vcc_lo, s1
	s_and_b32 exec_lo, exec_lo, s1
	s_cbranch_execz .LBB53_80
; %bb.75:
	v_cmp_ngt_f64_e64 s1, |v[142:143]|, |v[144:145]|
                                        ; implicit-def: $vgpr146_vgpr147
	s_and_saveexec_b32 s3, s1
	s_xor_b32 s1, exec_lo, s3
                                        ; implicit-def: $vgpr148_vgpr149
	s_cbranch_execz .LBB53_77
; %bb.76:
	v_div_scale_f64 v[146:147], null, v[144:145], v[144:145], v[142:143]
	v_div_scale_f64 v[152:153], vcc_lo, v[142:143], v[144:145], v[142:143]
	v_rcp_f64_e32 v[148:149], v[146:147]
	v_fma_f64 v[150:151], -v[146:147], v[148:149], 1.0
	v_fma_f64 v[148:149], v[148:149], v[150:151], v[148:149]
	v_fma_f64 v[150:151], -v[146:147], v[148:149], 1.0
	v_fma_f64 v[148:149], v[148:149], v[150:151], v[148:149]
	v_mul_f64 v[150:151], v[152:153], v[148:149]
	v_fma_f64 v[146:147], -v[146:147], v[150:151], v[152:153]
	v_div_fmas_f64 v[146:147], v[146:147], v[148:149], v[150:151]
	v_div_fixup_f64 v[146:147], v[146:147], v[144:145], v[142:143]
	v_fma_f64 v[142:143], v[142:143], v[146:147], v[144:145]
	v_div_scale_f64 v[144:145], null, v[142:143], v[142:143], 1.0
	v_rcp_f64_e32 v[148:149], v[144:145]
	v_fma_f64 v[150:151], -v[144:145], v[148:149], 1.0
	v_fma_f64 v[148:149], v[148:149], v[150:151], v[148:149]
	v_fma_f64 v[150:151], -v[144:145], v[148:149], 1.0
	v_fma_f64 v[148:149], v[148:149], v[150:151], v[148:149]
	v_div_scale_f64 v[150:151], vcc_lo, 1.0, v[142:143], 1.0
	v_mul_f64 v[152:153], v[150:151], v[148:149]
	v_fma_f64 v[144:145], -v[144:145], v[152:153], v[150:151]
	v_div_fmas_f64 v[144:145], v[144:145], v[148:149], v[152:153]
	v_div_fixup_f64 v[148:149], v[144:145], v[142:143], 1.0
                                        ; implicit-def: $vgpr142_vgpr143
	v_mul_f64 v[146:147], v[146:147], v[148:149]
	v_xor_b32_e32 v149, 0x80000000, v149
.LBB53_77:
	s_andn2_saveexec_b32 s1, s1
	s_cbranch_execz .LBB53_79
; %bb.78:
	v_div_scale_f64 v[146:147], null, v[142:143], v[142:143], v[144:145]
	v_div_scale_f64 v[152:153], vcc_lo, v[144:145], v[142:143], v[144:145]
	v_rcp_f64_e32 v[148:149], v[146:147]
	v_fma_f64 v[150:151], -v[146:147], v[148:149], 1.0
	v_fma_f64 v[148:149], v[148:149], v[150:151], v[148:149]
	v_fma_f64 v[150:151], -v[146:147], v[148:149], 1.0
	v_fma_f64 v[148:149], v[148:149], v[150:151], v[148:149]
	v_mul_f64 v[150:151], v[152:153], v[148:149]
	v_fma_f64 v[146:147], -v[146:147], v[150:151], v[152:153]
	v_div_fmas_f64 v[146:147], v[146:147], v[148:149], v[150:151]
	v_div_fixup_f64 v[148:149], v[146:147], v[142:143], v[144:145]
	v_fma_f64 v[142:143], v[144:145], v[148:149], v[142:143]
	v_div_scale_f64 v[144:145], null, v[142:143], v[142:143], 1.0
	v_rcp_f64_e32 v[146:147], v[144:145]
	v_fma_f64 v[150:151], -v[144:145], v[146:147], 1.0
	v_fma_f64 v[146:147], v[146:147], v[150:151], v[146:147]
	v_fma_f64 v[150:151], -v[144:145], v[146:147], 1.0
	v_fma_f64 v[146:147], v[146:147], v[150:151], v[146:147]
	v_div_scale_f64 v[150:151], vcc_lo, 1.0, v[142:143], 1.0
	v_mul_f64 v[152:153], v[150:151], v[146:147]
	v_fma_f64 v[144:145], -v[144:145], v[152:153], v[150:151]
	v_div_fmas_f64 v[144:145], v[144:145], v[146:147], v[152:153]
	v_div_fixup_f64 v[146:147], v[144:145], v[142:143], 1.0
	v_mul_f64 v[148:149], v[148:149], -v[146:147]
.LBB53_79:
	s_or_b32 exec_lo, exec_lo, s1
	ds_write2_b64 v1, v[146:147], v[148:149] offset1:1
.LBB53_80:
	s_or_b32 exec_lo, exec_lo, s2
	s_waitcnt lgkmcnt(0)
	s_barrier
	buffer_gl0_inv
	ds_read2_b64 v[142:145], v1 offset1:1
	s_mov_b32 s1, exec_lo
	v_cmpx_lt_u32_e32 8, v0
	s_cbranch_execz .LBB53_82
; %bb.81:
	s_waitcnt lgkmcnt(0)
	v_mul_f64 v[146:147], v[144:145], v[76:77]
	v_mul_f64 v[76:77], v[142:143], v[76:77]
	ds_read2_b64 v[148:151], v236 offset0:18 offset1:19
	v_fma_f64 v[146:147], v[142:143], v[74:75], -v[146:147]
	v_fma_f64 v[76:77], v[144:145], v[74:75], v[76:77]
	s_waitcnt lgkmcnt(0)
	v_mul_f64 v[74:75], v[150:151], v[76:77]
	v_fma_f64 v[74:75], v[148:149], v[146:147], -v[74:75]
	v_mul_f64 v[148:149], v[148:149], v[76:77]
	v_add_f64 v[70:71], v[70:71], -v[74:75]
	v_fma_f64 v[148:149], v[150:151], v[146:147], v[148:149]
	v_add_f64 v[72:73], v[72:73], -v[148:149]
	ds_read2_b64 v[148:151], v236 offset0:20 offset1:21
	s_waitcnt lgkmcnt(0)
	v_mul_f64 v[74:75], v[150:151], v[76:77]
	v_fma_f64 v[74:75], v[148:149], v[146:147], -v[74:75]
	v_mul_f64 v[148:149], v[148:149], v[76:77]
	v_add_f64 v[66:67], v[66:67], -v[74:75]
	v_fma_f64 v[148:149], v[150:151], v[146:147], v[148:149]
	v_add_f64 v[68:69], v[68:69], -v[148:149]
	ds_read2_b64 v[148:151], v236 offset0:22 offset1:23
	;; [unrolled: 8-line block ×17, first 2 shown]
	s_waitcnt lgkmcnt(0)
	v_mul_f64 v[74:75], v[150:151], v[76:77]
	v_fma_f64 v[74:75], v[148:149], v[146:147], -v[74:75]
	v_mul_f64 v[148:149], v[148:149], v[76:77]
	v_add_f64 v[2:3], v[2:3], -v[74:75]
	v_fma_f64 v[148:149], v[150:151], v[146:147], v[148:149]
	v_mov_b32_e32 v74, v146
	v_mov_b32_e32 v75, v147
	v_add_f64 v[4:5], v[4:5], -v[148:149]
.LBB53_82:
	s_or_b32 exec_lo, exec_lo, s1
	s_mov_b32 s2, exec_lo
	s_waitcnt lgkmcnt(0)
	s_barrier
	buffer_gl0_inv
	v_cmpx_eq_u32_e32 9, v0
	s_cbranch_execz .LBB53_89
; %bb.83:
	ds_write2_b64 v1, v[70:71], v[72:73] offset1:1
	ds_write2_b64 v236, v[66:67], v[68:69] offset0:20 offset1:21
	ds_write2_b64 v236, v[62:63], v[64:65] offset0:22 offset1:23
	;; [unrolled: 1-line block ×17, first 2 shown]
	ds_read2_b64 v[146:149], v1 offset1:1
	s_waitcnt lgkmcnt(0)
	v_cmp_neq_f64_e32 vcc_lo, 0, v[146:147]
	v_cmp_neq_f64_e64 s1, 0, v[148:149]
	s_or_b32 s1, vcc_lo, s1
	s_and_b32 exec_lo, exec_lo, s1
	s_cbranch_execz .LBB53_89
; %bb.84:
	v_cmp_ngt_f64_e64 s1, |v[146:147]|, |v[148:149]|
                                        ; implicit-def: $vgpr150_vgpr151
	s_and_saveexec_b32 s3, s1
	s_xor_b32 s1, exec_lo, s3
                                        ; implicit-def: $vgpr152_vgpr153
	s_cbranch_execz .LBB53_86
; %bb.85:
	v_div_scale_f64 v[150:151], null, v[148:149], v[148:149], v[146:147]
	v_div_scale_f64 v[156:157], vcc_lo, v[146:147], v[148:149], v[146:147]
	v_rcp_f64_e32 v[152:153], v[150:151]
	v_fma_f64 v[154:155], -v[150:151], v[152:153], 1.0
	v_fma_f64 v[152:153], v[152:153], v[154:155], v[152:153]
	v_fma_f64 v[154:155], -v[150:151], v[152:153], 1.0
	v_fma_f64 v[152:153], v[152:153], v[154:155], v[152:153]
	v_mul_f64 v[154:155], v[156:157], v[152:153]
	v_fma_f64 v[150:151], -v[150:151], v[154:155], v[156:157]
	v_div_fmas_f64 v[150:151], v[150:151], v[152:153], v[154:155]
	v_div_fixup_f64 v[150:151], v[150:151], v[148:149], v[146:147]
	v_fma_f64 v[146:147], v[146:147], v[150:151], v[148:149]
	v_div_scale_f64 v[148:149], null, v[146:147], v[146:147], 1.0
	v_rcp_f64_e32 v[152:153], v[148:149]
	v_fma_f64 v[154:155], -v[148:149], v[152:153], 1.0
	v_fma_f64 v[152:153], v[152:153], v[154:155], v[152:153]
	v_fma_f64 v[154:155], -v[148:149], v[152:153], 1.0
	v_fma_f64 v[152:153], v[152:153], v[154:155], v[152:153]
	v_div_scale_f64 v[154:155], vcc_lo, 1.0, v[146:147], 1.0
	v_mul_f64 v[156:157], v[154:155], v[152:153]
	v_fma_f64 v[148:149], -v[148:149], v[156:157], v[154:155]
	v_div_fmas_f64 v[148:149], v[148:149], v[152:153], v[156:157]
	v_div_fixup_f64 v[152:153], v[148:149], v[146:147], 1.0
                                        ; implicit-def: $vgpr146_vgpr147
	v_mul_f64 v[150:151], v[150:151], v[152:153]
	v_xor_b32_e32 v153, 0x80000000, v153
.LBB53_86:
	s_andn2_saveexec_b32 s1, s1
	s_cbranch_execz .LBB53_88
; %bb.87:
	v_div_scale_f64 v[150:151], null, v[146:147], v[146:147], v[148:149]
	v_div_scale_f64 v[156:157], vcc_lo, v[148:149], v[146:147], v[148:149]
	v_rcp_f64_e32 v[152:153], v[150:151]
	v_fma_f64 v[154:155], -v[150:151], v[152:153], 1.0
	v_fma_f64 v[152:153], v[152:153], v[154:155], v[152:153]
	v_fma_f64 v[154:155], -v[150:151], v[152:153], 1.0
	v_fma_f64 v[152:153], v[152:153], v[154:155], v[152:153]
	v_mul_f64 v[154:155], v[156:157], v[152:153]
	v_fma_f64 v[150:151], -v[150:151], v[154:155], v[156:157]
	v_div_fmas_f64 v[150:151], v[150:151], v[152:153], v[154:155]
	v_div_fixup_f64 v[152:153], v[150:151], v[146:147], v[148:149]
	v_fma_f64 v[146:147], v[148:149], v[152:153], v[146:147]
	v_div_scale_f64 v[148:149], null, v[146:147], v[146:147], 1.0
	v_rcp_f64_e32 v[150:151], v[148:149]
	v_fma_f64 v[154:155], -v[148:149], v[150:151], 1.0
	v_fma_f64 v[150:151], v[150:151], v[154:155], v[150:151]
	v_fma_f64 v[154:155], -v[148:149], v[150:151], 1.0
	v_fma_f64 v[150:151], v[150:151], v[154:155], v[150:151]
	v_div_scale_f64 v[154:155], vcc_lo, 1.0, v[146:147], 1.0
	v_mul_f64 v[156:157], v[154:155], v[150:151]
	v_fma_f64 v[148:149], -v[148:149], v[156:157], v[154:155]
	v_div_fmas_f64 v[148:149], v[148:149], v[150:151], v[156:157]
	v_div_fixup_f64 v[150:151], v[148:149], v[146:147], 1.0
	v_mul_f64 v[152:153], v[152:153], -v[150:151]
.LBB53_88:
	s_or_b32 exec_lo, exec_lo, s1
	ds_write2_b64 v1, v[150:151], v[152:153] offset1:1
.LBB53_89:
	s_or_b32 exec_lo, exec_lo, s2
	s_waitcnt lgkmcnt(0)
	s_barrier
	buffer_gl0_inv
	ds_read2_b64 v[146:149], v1 offset1:1
	s_mov_b32 s1, exec_lo
	v_cmpx_lt_u32_e32 9, v0
	s_cbranch_execz .LBB53_91
; %bb.90:
	s_waitcnt lgkmcnt(0)
	v_mul_f64 v[150:151], v[148:149], v[72:73]
	v_mul_f64 v[72:73], v[146:147], v[72:73]
	ds_read2_b64 v[152:155], v236 offset0:20 offset1:21
	v_fma_f64 v[150:151], v[146:147], v[70:71], -v[150:151]
	v_fma_f64 v[72:73], v[148:149], v[70:71], v[72:73]
	s_waitcnt lgkmcnt(0)
	v_mul_f64 v[70:71], v[154:155], v[72:73]
	v_fma_f64 v[70:71], v[152:153], v[150:151], -v[70:71]
	v_mul_f64 v[152:153], v[152:153], v[72:73]
	v_add_f64 v[66:67], v[66:67], -v[70:71]
	v_fma_f64 v[152:153], v[154:155], v[150:151], v[152:153]
	v_add_f64 v[68:69], v[68:69], -v[152:153]
	ds_read2_b64 v[152:155], v236 offset0:22 offset1:23
	s_waitcnt lgkmcnt(0)
	v_mul_f64 v[70:71], v[154:155], v[72:73]
	v_fma_f64 v[70:71], v[152:153], v[150:151], -v[70:71]
	v_mul_f64 v[152:153], v[152:153], v[72:73]
	v_add_f64 v[62:63], v[62:63], -v[70:71]
	v_fma_f64 v[152:153], v[154:155], v[150:151], v[152:153]
	v_add_f64 v[64:65], v[64:65], -v[152:153]
	ds_read2_b64 v[152:155], v236 offset0:24 offset1:25
	;; [unrolled: 8-line block ×16, first 2 shown]
	s_waitcnt lgkmcnt(0)
	v_mul_f64 v[70:71], v[154:155], v[72:73]
	v_fma_f64 v[70:71], v[152:153], v[150:151], -v[70:71]
	v_mul_f64 v[152:153], v[152:153], v[72:73]
	v_add_f64 v[2:3], v[2:3], -v[70:71]
	v_fma_f64 v[152:153], v[154:155], v[150:151], v[152:153]
	v_mov_b32_e32 v70, v150
	v_mov_b32_e32 v71, v151
	v_add_f64 v[4:5], v[4:5], -v[152:153]
.LBB53_91:
	s_or_b32 exec_lo, exec_lo, s1
	s_mov_b32 s2, exec_lo
	s_waitcnt lgkmcnt(0)
	s_barrier
	buffer_gl0_inv
	v_cmpx_eq_u32_e32 10, v0
	s_cbranch_execz .LBB53_98
; %bb.92:
	ds_write2_b64 v1, v[66:67], v[68:69] offset1:1
	ds_write2_b64 v236, v[62:63], v[64:65] offset0:22 offset1:23
	ds_write2_b64 v236, v[58:59], v[60:61] offset0:24 offset1:25
	;; [unrolled: 1-line block ×16, first 2 shown]
	ds_read2_b64 v[150:153], v1 offset1:1
	s_waitcnt lgkmcnt(0)
	v_cmp_neq_f64_e32 vcc_lo, 0, v[150:151]
	v_cmp_neq_f64_e64 s1, 0, v[152:153]
	s_or_b32 s1, vcc_lo, s1
	s_and_b32 exec_lo, exec_lo, s1
	s_cbranch_execz .LBB53_98
; %bb.93:
	v_cmp_ngt_f64_e64 s1, |v[150:151]|, |v[152:153]|
                                        ; implicit-def: $vgpr154_vgpr155
	s_and_saveexec_b32 s3, s1
	s_xor_b32 s1, exec_lo, s3
                                        ; implicit-def: $vgpr156_vgpr157
	s_cbranch_execz .LBB53_95
; %bb.94:
	v_div_scale_f64 v[154:155], null, v[152:153], v[152:153], v[150:151]
	v_div_scale_f64 v[160:161], vcc_lo, v[150:151], v[152:153], v[150:151]
	v_rcp_f64_e32 v[156:157], v[154:155]
	v_fma_f64 v[158:159], -v[154:155], v[156:157], 1.0
	v_fma_f64 v[156:157], v[156:157], v[158:159], v[156:157]
	v_fma_f64 v[158:159], -v[154:155], v[156:157], 1.0
	v_fma_f64 v[156:157], v[156:157], v[158:159], v[156:157]
	v_mul_f64 v[158:159], v[160:161], v[156:157]
	v_fma_f64 v[154:155], -v[154:155], v[158:159], v[160:161]
	v_div_fmas_f64 v[154:155], v[154:155], v[156:157], v[158:159]
	v_div_fixup_f64 v[154:155], v[154:155], v[152:153], v[150:151]
	v_fma_f64 v[150:151], v[150:151], v[154:155], v[152:153]
	v_div_scale_f64 v[152:153], null, v[150:151], v[150:151], 1.0
	v_rcp_f64_e32 v[156:157], v[152:153]
	v_fma_f64 v[158:159], -v[152:153], v[156:157], 1.0
	v_fma_f64 v[156:157], v[156:157], v[158:159], v[156:157]
	v_fma_f64 v[158:159], -v[152:153], v[156:157], 1.0
	v_fma_f64 v[156:157], v[156:157], v[158:159], v[156:157]
	v_div_scale_f64 v[158:159], vcc_lo, 1.0, v[150:151], 1.0
	v_mul_f64 v[160:161], v[158:159], v[156:157]
	v_fma_f64 v[152:153], -v[152:153], v[160:161], v[158:159]
	v_div_fmas_f64 v[152:153], v[152:153], v[156:157], v[160:161]
	v_div_fixup_f64 v[156:157], v[152:153], v[150:151], 1.0
                                        ; implicit-def: $vgpr150_vgpr151
	v_mul_f64 v[154:155], v[154:155], v[156:157]
	v_xor_b32_e32 v157, 0x80000000, v157
.LBB53_95:
	s_andn2_saveexec_b32 s1, s1
	s_cbranch_execz .LBB53_97
; %bb.96:
	v_div_scale_f64 v[154:155], null, v[150:151], v[150:151], v[152:153]
	v_div_scale_f64 v[160:161], vcc_lo, v[152:153], v[150:151], v[152:153]
	v_rcp_f64_e32 v[156:157], v[154:155]
	v_fma_f64 v[158:159], -v[154:155], v[156:157], 1.0
	v_fma_f64 v[156:157], v[156:157], v[158:159], v[156:157]
	v_fma_f64 v[158:159], -v[154:155], v[156:157], 1.0
	v_fma_f64 v[156:157], v[156:157], v[158:159], v[156:157]
	v_mul_f64 v[158:159], v[160:161], v[156:157]
	v_fma_f64 v[154:155], -v[154:155], v[158:159], v[160:161]
	v_div_fmas_f64 v[154:155], v[154:155], v[156:157], v[158:159]
	v_div_fixup_f64 v[156:157], v[154:155], v[150:151], v[152:153]
	v_fma_f64 v[150:151], v[152:153], v[156:157], v[150:151]
	v_div_scale_f64 v[152:153], null, v[150:151], v[150:151], 1.0
	v_rcp_f64_e32 v[154:155], v[152:153]
	v_fma_f64 v[158:159], -v[152:153], v[154:155], 1.0
	v_fma_f64 v[154:155], v[154:155], v[158:159], v[154:155]
	v_fma_f64 v[158:159], -v[152:153], v[154:155], 1.0
	v_fma_f64 v[154:155], v[154:155], v[158:159], v[154:155]
	v_div_scale_f64 v[158:159], vcc_lo, 1.0, v[150:151], 1.0
	v_mul_f64 v[160:161], v[158:159], v[154:155]
	v_fma_f64 v[152:153], -v[152:153], v[160:161], v[158:159]
	v_div_fmas_f64 v[152:153], v[152:153], v[154:155], v[160:161]
	v_div_fixup_f64 v[154:155], v[152:153], v[150:151], 1.0
	v_mul_f64 v[156:157], v[156:157], -v[154:155]
.LBB53_97:
	s_or_b32 exec_lo, exec_lo, s1
	ds_write2_b64 v1, v[154:155], v[156:157] offset1:1
.LBB53_98:
	s_or_b32 exec_lo, exec_lo, s2
	s_waitcnt lgkmcnt(0)
	s_barrier
	buffer_gl0_inv
	ds_read2_b64 v[150:153], v1 offset1:1
	s_mov_b32 s1, exec_lo
	v_cmpx_lt_u32_e32 10, v0
	s_cbranch_execz .LBB53_100
; %bb.99:
	s_waitcnt lgkmcnt(0)
	v_mul_f64 v[154:155], v[150:151], v[68:69]
	v_mul_f64 v[68:69], v[152:153], v[68:69]
	ds_read2_b64 v[156:159], v236 offset0:22 offset1:23
	v_fma_f64 v[154:155], v[152:153], v[66:67], v[154:155]
	v_fma_f64 v[66:67], v[150:151], v[66:67], -v[68:69]
	s_waitcnt lgkmcnt(0)
	v_mul_f64 v[68:69], v[158:159], v[154:155]
	v_fma_f64 v[68:69], v[156:157], v[66:67], -v[68:69]
	v_mul_f64 v[156:157], v[156:157], v[154:155]
	v_add_f64 v[62:63], v[62:63], -v[68:69]
	v_fma_f64 v[156:157], v[158:159], v[66:67], v[156:157]
	v_add_f64 v[64:65], v[64:65], -v[156:157]
	ds_read2_b64 v[156:159], v236 offset0:24 offset1:25
	s_waitcnt lgkmcnt(0)
	v_mul_f64 v[68:69], v[158:159], v[154:155]
	v_fma_f64 v[68:69], v[156:157], v[66:67], -v[68:69]
	v_mul_f64 v[156:157], v[156:157], v[154:155]
	v_add_f64 v[58:59], v[58:59], -v[68:69]
	v_fma_f64 v[156:157], v[158:159], v[66:67], v[156:157]
	v_add_f64 v[60:61], v[60:61], -v[156:157]
	ds_read2_b64 v[156:159], v236 offset0:26 offset1:27
	;; [unrolled: 8-line block ×15, first 2 shown]
	s_waitcnt lgkmcnt(0)
	v_mul_f64 v[68:69], v[158:159], v[154:155]
	v_fma_f64 v[68:69], v[156:157], v[66:67], -v[68:69]
	v_mul_f64 v[156:157], v[156:157], v[154:155]
	v_add_f64 v[2:3], v[2:3], -v[68:69]
	v_fma_f64 v[156:157], v[158:159], v[66:67], v[156:157]
	v_mov_b32_e32 v68, v154
	v_mov_b32_e32 v69, v155
	v_add_f64 v[4:5], v[4:5], -v[156:157]
.LBB53_100:
	s_or_b32 exec_lo, exec_lo, s1
	s_mov_b32 s2, exec_lo
	s_waitcnt lgkmcnt(0)
	s_barrier
	buffer_gl0_inv
	v_cmpx_eq_u32_e32 11, v0
	s_cbranch_execz .LBB53_107
; %bb.101:
	ds_write2_b64 v1, v[62:63], v[64:65] offset1:1
	ds_write2_b64 v236, v[58:59], v[60:61] offset0:24 offset1:25
	ds_write2_b64 v236, v[54:55], v[56:57] offset0:26 offset1:27
	;; [unrolled: 1-line block ×15, first 2 shown]
	ds_read2_b64 v[154:157], v1 offset1:1
	s_waitcnt lgkmcnt(0)
	v_cmp_neq_f64_e32 vcc_lo, 0, v[154:155]
	v_cmp_neq_f64_e64 s1, 0, v[156:157]
	s_or_b32 s1, vcc_lo, s1
	s_and_b32 exec_lo, exec_lo, s1
	s_cbranch_execz .LBB53_107
; %bb.102:
	v_cmp_ngt_f64_e64 s1, |v[154:155]|, |v[156:157]|
                                        ; implicit-def: $vgpr158_vgpr159
	s_and_saveexec_b32 s3, s1
	s_xor_b32 s1, exec_lo, s3
                                        ; implicit-def: $vgpr160_vgpr161
	s_cbranch_execz .LBB53_104
; %bb.103:
	v_div_scale_f64 v[158:159], null, v[156:157], v[156:157], v[154:155]
	v_div_scale_f64 v[164:165], vcc_lo, v[154:155], v[156:157], v[154:155]
	v_rcp_f64_e32 v[160:161], v[158:159]
	v_fma_f64 v[162:163], -v[158:159], v[160:161], 1.0
	v_fma_f64 v[160:161], v[160:161], v[162:163], v[160:161]
	v_fma_f64 v[162:163], -v[158:159], v[160:161], 1.0
	v_fma_f64 v[160:161], v[160:161], v[162:163], v[160:161]
	v_mul_f64 v[162:163], v[164:165], v[160:161]
	v_fma_f64 v[158:159], -v[158:159], v[162:163], v[164:165]
	v_div_fmas_f64 v[158:159], v[158:159], v[160:161], v[162:163]
	v_div_fixup_f64 v[158:159], v[158:159], v[156:157], v[154:155]
	v_fma_f64 v[154:155], v[154:155], v[158:159], v[156:157]
	v_div_scale_f64 v[156:157], null, v[154:155], v[154:155], 1.0
	v_rcp_f64_e32 v[160:161], v[156:157]
	v_fma_f64 v[162:163], -v[156:157], v[160:161], 1.0
	v_fma_f64 v[160:161], v[160:161], v[162:163], v[160:161]
	v_fma_f64 v[162:163], -v[156:157], v[160:161], 1.0
	v_fma_f64 v[160:161], v[160:161], v[162:163], v[160:161]
	v_div_scale_f64 v[162:163], vcc_lo, 1.0, v[154:155], 1.0
	v_mul_f64 v[164:165], v[162:163], v[160:161]
	v_fma_f64 v[156:157], -v[156:157], v[164:165], v[162:163]
	v_div_fmas_f64 v[156:157], v[156:157], v[160:161], v[164:165]
	v_div_fixup_f64 v[160:161], v[156:157], v[154:155], 1.0
                                        ; implicit-def: $vgpr154_vgpr155
	v_mul_f64 v[158:159], v[158:159], v[160:161]
	v_xor_b32_e32 v161, 0x80000000, v161
.LBB53_104:
	s_andn2_saveexec_b32 s1, s1
	s_cbranch_execz .LBB53_106
; %bb.105:
	v_div_scale_f64 v[158:159], null, v[154:155], v[154:155], v[156:157]
	v_div_scale_f64 v[164:165], vcc_lo, v[156:157], v[154:155], v[156:157]
	v_rcp_f64_e32 v[160:161], v[158:159]
	v_fma_f64 v[162:163], -v[158:159], v[160:161], 1.0
	v_fma_f64 v[160:161], v[160:161], v[162:163], v[160:161]
	v_fma_f64 v[162:163], -v[158:159], v[160:161], 1.0
	v_fma_f64 v[160:161], v[160:161], v[162:163], v[160:161]
	v_mul_f64 v[162:163], v[164:165], v[160:161]
	v_fma_f64 v[158:159], -v[158:159], v[162:163], v[164:165]
	v_div_fmas_f64 v[158:159], v[158:159], v[160:161], v[162:163]
	v_div_fixup_f64 v[160:161], v[158:159], v[154:155], v[156:157]
	v_fma_f64 v[154:155], v[156:157], v[160:161], v[154:155]
	v_div_scale_f64 v[156:157], null, v[154:155], v[154:155], 1.0
	v_rcp_f64_e32 v[158:159], v[156:157]
	v_fma_f64 v[162:163], -v[156:157], v[158:159], 1.0
	v_fma_f64 v[158:159], v[158:159], v[162:163], v[158:159]
	v_fma_f64 v[162:163], -v[156:157], v[158:159], 1.0
	v_fma_f64 v[158:159], v[158:159], v[162:163], v[158:159]
	v_div_scale_f64 v[162:163], vcc_lo, 1.0, v[154:155], 1.0
	v_mul_f64 v[164:165], v[162:163], v[158:159]
	v_fma_f64 v[156:157], -v[156:157], v[164:165], v[162:163]
	v_div_fmas_f64 v[156:157], v[156:157], v[158:159], v[164:165]
	v_div_fixup_f64 v[158:159], v[156:157], v[154:155], 1.0
	v_mul_f64 v[160:161], v[160:161], -v[158:159]
.LBB53_106:
	s_or_b32 exec_lo, exec_lo, s1
	ds_write2_b64 v1, v[158:159], v[160:161] offset1:1
.LBB53_107:
	s_or_b32 exec_lo, exec_lo, s2
	s_waitcnt lgkmcnt(0)
	s_barrier
	buffer_gl0_inv
	ds_read2_b64 v[154:157], v1 offset1:1
	s_mov_b32 s1, exec_lo
	v_cmpx_lt_u32_e32 11, v0
	s_cbranch_execz .LBB53_109
; %bb.108:
	s_waitcnt lgkmcnt(0)
	v_mul_f64 v[158:159], v[154:155], v[64:65]
	v_mul_f64 v[64:65], v[156:157], v[64:65]
	ds_read2_b64 v[160:163], v236 offset0:24 offset1:25
	v_fma_f64 v[158:159], v[156:157], v[62:63], v[158:159]
	v_fma_f64 v[62:63], v[154:155], v[62:63], -v[64:65]
	s_waitcnt lgkmcnt(0)
	v_mul_f64 v[64:65], v[162:163], v[158:159]
	v_fma_f64 v[64:65], v[160:161], v[62:63], -v[64:65]
	v_mul_f64 v[160:161], v[160:161], v[158:159]
	v_add_f64 v[58:59], v[58:59], -v[64:65]
	v_fma_f64 v[160:161], v[162:163], v[62:63], v[160:161]
	v_add_f64 v[60:61], v[60:61], -v[160:161]
	ds_read2_b64 v[160:163], v236 offset0:26 offset1:27
	s_waitcnt lgkmcnt(0)
	v_mul_f64 v[64:65], v[162:163], v[158:159]
	v_fma_f64 v[64:65], v[160:161], v[62:63], -v[64:65]
	v_mul_f64 v[160:161], v[160:161], v[158:159]
	v_add_f64 v[54:55], v[54:55], -v[64:65]
	v_fma_f64 v[160:161], v[162:163], v[62:63], v[160:161]
	v_add_f64 v[56:57], v[56:57], -v[160:161]
	ds_read2_b64 v[160:163], v236 offset0:28 offset1:29
	s_waitcnt lgkmcnt(0)
	v_mul_f64 v[64:65], v[162:163], v[158:159]
	v_fma_f64 v[64:65], v[160:161], v[62:63], -v[64:65]
	v_mul_f64 v[160:161], v[160:161], v[158:159]
	v_add_f64 v[50:51], v[50:51], -v[64:65]
	v_fma_f64 v[160:161], v[162:163], v[62:63], v[160:161]
	v_add_f64 v[52:53], v[52:53], -v[160:161]
	ds_read2_b64 v[160:163], v236 offset0:30 offset1:31
	s_waitcnt lgkmcnt(0)
	v_mul_f64 v[64:65], v[162:163], v[158:159]
	v_fma_f64 v[64:65], v[160:161], v[62:63], -v[64:65]
	v_mul_f64 v[160:161], v[160:161], v[158:159]
	v_add_f64 v[46:47], v[46:47], -v[64:65]
	v_fma_f64 v[160:161], v[162:163], v[62:63], v[160:161]
	v_add_f64 v[48:49], v[48:49], -v[160:161]
	ds_read2_b64 v[160:163], v236 offset0:32 offset1:33
	s_waitcnt lgkmcnt(0)
	v_mul_f64 v[64:65], v[162:163], v[158:159]
	v_fma_f64 v[64:65], v[160:161], v[62:63], -v[64:65]
	v_mul_f64 v[160:161], v[160:161], v[158:159]
	v_add_f64 v[42:43], v[42:43], -v[64:65]
	v_fma_f64 v[160:161], v[162:163], v[62:63], v[160:161]
	v_add_f64 v[44:45], v[44:45], -v[160:161]
	ds_read2_b64 v[160:163], v236 offset0:34 offset1:35
	s_waitcnt lgkmcnt(0)
	v_mul_f64 v[64:65], v[162:163], v[158:159]
	v_fma_f64 v[64:65], v[160:161], v[62:63], -v[64:65]
	v_mul_f64 v[160:161], v[160:161], v[158:159]
	v_add_f64 v[38:39], v[38:39], -v[64:65]
	v_fma_f64 v[160:161], v[162:163], v[62:63], v[160:161]
	v_add_f64 v[40:41], v[40:41], -v[160:161]
	ds_read2_b64 v[160:163], v236 offset0:36 offset1:37
	s_waitcnt lgkmcnt(0)
	v_mul_f64 v[64:65], v[162:163], v[158:159]
	v_fma_f64 v[64:65], v[160:161], v[62:63], -v[64:65]
	v_mul_f64 v[160:161], v[160:161], v[158:159]
	v_add_f64 v[34:35], v[34:35], -v[64:65]
	v_fma_f64 v[160:161], v[162:163], v[62:63], v[160:161]
	v_add_f64 v[36:37], v[36:37], -v[160:161]
	ds_read2_b64 v[160:163], v236 offset0:38 offset1:39
	s_waitcnt lgkmcnt(0)
	v_mul_f64 v[64:65], v[162:163], v[158:159]
	v_fma_f64 v[64:65], v[160:161], v[62:63], -v[64:65]
	v_mul_f64 v[160:161], v[160:161], v[158:159]
	v_add_f64 v[30:31], v[30:31], -v[64:65]
	v_fma_f64 v[160:161], v[162:163], v[62:63], v[160:161]
	v_add_f64 v[32:33], v[32:33], -v[160:161]
	ds_read2_b64 v[160:163], v236 offset0:40 offset1:41
	s_waitcnt lgkmcnt(0)
	v_mul_f64 v[64:65], v[162:163], v[158:159]
	v_fma_f64 v[64:65], v[160:161], v[62:63], -v[64:65]
	v_mul_f64 v[160:161], v[160:161], v[158:159]
	v_add_f64 v[26:27], v[26:27], -v[64:65]
	v_fma_f64 v[160:161], v[162:163], v[62:63], v[160:161]
	v_add_f64 v[28:29], v[28:29], -v[160:161]
	ds_read2_b64 v[160:163], v236 offset0:42 offset1:43
	s_waitcnt lgkmcnt(0)
	v_mul_f64 v[64:65], v[162:163], v[158:159]
	v_fma_f64 v[64:65], v[160:161], v[62:63], -v[64:65]
	v_mul_f64 v[160:161], v[160:161], v[158:159]
	v_add_f64 v[22:23], v[22:23], -v[64:65]
	v_fma_f64 v[160:161], v[162:163], v[62:63], v[160:161]
	v_add_f64 v[24:25], v[24:25], -v[160:161]
	ds_read2_b64 v[160:163], v236 offset0:44 offset1:45
	s_waitcnt lgkmcnt(0)
	v_mul_f64 v[64:65], v[162:163], v[158:159]
	v_fma_f64 v[64:65], v[160:161], v[62:63], -v[64:65]
	v_mul_f64 v[160:161], v[160:161], v[158:159]
	v_add_f64 v[18:19], v[18:19], -v[64:65]
	v_fma_f64 v[160:161], v[162:163], v[62:63], v[160:161]
	v_add_f64 v[20:21], v[20:21], -v[160:161]
	ds_read2_b64 v[160:163], v236 offset0:46 offset1:47
	s_waitcnt lgkmcnt(0)
	v_mul_f64 v[64:65], v[162:163], v[158:159]
	v_fma_f64 v[64:65], v[160:161], v[62:63], -v[64:65]
	v_mul_f64 v[160:161], v[160:161], v[158:159]
	v_add_f64 v[14:15], v[14:15], -v[64:65]
	v_fma_f64 v[160:161], v[162:163], v[62:63], v[160:161]
	v_add_f64 v[16:17], v[16:17], -v[160:161]
	ds_read2_b64 v[160:163], v236 offset0:48 offset1:49
	s_waitcnt lgkmcnt(0)
	v_mul_f64 v[64:65], v[162:163], v[158:159]
	v_fma_f64 v[64:65], v[160:161], v[62:63], -v[64:65]
	v_mul_f64 v[160:161], v[160:161], v[158:159]
	v_add_f64 v[10:11], v[10:11], -v[64:65]
	v_fma_f64 v[160:161], v[162:163], v[62:63], v[160:161]
	v_add_f64 v[12:13], v[12:13], -v[160:161]
	ds_read2_b64 v[160:163], v236 offset0:50 offset1:51
	s_waitcnt lgkmcnt(0)
	v_mul_f64 v[64:65], v[162:163], v[158:159]
	v_fma_f64 v[64:65], v[160:161], v[62:63], -v[64:65]
	v_mul_f64 v[160:161], v[160:161], v[158:159]
	v_add_f64 v[6:7], v[6:7], -v[64:65]
	v_fma_f64 v[160:161], v[162:163], v[62:63], v[160:161]
	v_add_f64 v[8:9], v[8:9], -v[160:161]
	ds_read2_b64 v[160:163], v236 offset0:52 offset1:53
	s_waitcnt lgkmcnt(0)
	v_mul_f64 v[64:65], v[162:163], v[158:159]
	v_fma_f64 v[64:65], v[160:161], v[62:63], -v[64:65]
	v_mul_f64 v[160:161], v[160:161], v[158:159]
	v_add_f64 v[2:3], v[2:3], -v[64:65]
	v_fma_f64 v[160:161], v[162:163], v[62:63], v[160:161]
	v_mov_b32_e32 v64, v158
	v_mov_b32_e32 v65, v159
	v_add_f64 v[4:5], v[4:5], -v[160:161]
.LBB53_109:
	s_or_b32 exec_lo, exec_lo, s1
	s_mov_b32 s2, exec_lo
	s_waitcnt lgkmcnt(0)
	s_barrier
	buffer_gl0_inv
	v_cmpx_eq_u32_e32 12, v0
	s_cbranch_execz .LBB53_116
; %bb.110:
	ds_write2_b64 v1, v[58:59], v[60:61] offset1:1
	ds_write2_b64 v236, v[54:55], v[56:57] offset0:26 offset1:27
	ds_write2_b64 v236, v[50:51], v[52:53] offset0:28 offset1:29
	;; [unrolled: 1-line block ×14, first 2 shown]
	ds_read2_b64 v[158:161], v1 offset1:1
	s_waitcnt lgkmcnt(0)
	v_cmp_neq_f64_e32 vcc_lo, 0, v[158:159]
	v_cmp_neq_f64_e64 s1, 0, v[160:161]
	s_or_b32 s1, vcc_lo, s1
	s_and_b32 exec_lo, exec_lo, s1
	s_cbranch_execz .LBB53_116
; %bb.111:
	v_cmp_ngt_f64_e64 s1, |v[158:159]|, |v[160:161]|
                                        ; implicit-def: $vgpr162_vgpr163
	s_and_saveexec_b32 s3, s1
	s_xor_b32 s1, exec_lo, s3
                                        ; implicit-def: $vgpr164_vgpr165
	s_cbranch_execz .LBB53_113
; %bb.112:
	v_div_scale_f64 v[162:163], null, v[160:161], v[160:161], v[158:159]
	v_div_scale_f64 v[168:169], vcc_lo, v[158:159], v[160:161], v[158:159]
	v_rcp_f64_e32 v[164:165], v[162:163]
	v_fma_f64 v[166:167], -v[162:163], v[164:165], 1.0
	v_fma_f64 v[164:165], v[164:165], v[166:167], v[164:165]
	v_fma_f64 v[166:167], -v[162:163], v[164:165], 1.0
	v_fma_f64 v[164:165], v[164:165], v[166:167], v[164:165]
	v_mul_f64 v[166:167], v[168:169], v[164:165]
	v_fma_f64 v[162:163], -v[162:163], v[166:167], v[168:169]
	v_div_fmas_f64 v[162:163], v[162:163], v[164:165], v[166:167]
	v_div_fixup_f64 v[162:163], v[162:163], v[160:161], v[158:159]
	v_fma_f64 v[158:159], v[158:159], v[162:163], v[160:161]
	v_div_scale_f64 v[160:161], null, v[158:159], v[158:159], 1.0
	v_rcp_f64_e32 v[164:165], v[160:161]
	v_fma_f64 v[166:167], -v[160:161], v[164:165], 1.0
	v_fma_f64 v[164:165], v[164:165], v[166:167], v[164:165]
	v_fma_f64 v[166:167], -v[160:161], v[164:165], 1.0
	v_fma_f64 v[164:165], v[164:165], v[166:167], v[164:165]
	v_div_scale_f64 v[166:167], vcc_lo, 1.0, v[158:159], 1.0
	v_mul_f64 v[168:169], v[166:167], v[164:165]
	v_fma_f64 v[160:161], -v[160:161], v[168:169], v[166:167]
	v_div_fmas_f64 v[160:161], v[160:161], v[164:165], v[168:169]
	v_div_fixup_f64 v[164:165], v[160:161], v[158:159], 1.0
                                        ; implicit-def: $vgpr158_vgpr159
	v_mul_f64 v[162:163], v[162:163], v[164:165]
	v_xor_b32_e32 v165, 0x80000000, v165
.LBB53_113:
	s_andn2_saveexec_b32 s1, s1
	s_cbranch_execz .LBB53_115
; %bb.114:
	v_div_scale_f64 v[162:163], null, v[158:159], v[158:159], v[160:161]
	v_div_scale_f64 v[168:169], vcc_lo, v[160:161], v[158:159], v[160:161]
	v_rcp_f64_e32 v[164:165], v[162:163]
	v_fma_f64 v[166:167], -v[162:163], v[164:165], 1.0
	v_fma_f64 v[164:165], v[164:165], v[166:167], v[164:165]
	v_fma_f64 v[166:167], -v[162:163], v[164:165], 1.0
	v_fma_f64 v[164:165], v[164:165], v[166:167], v[164:165]
	v_mul_f64 v[166:167], v[168:169], v[164:165]
	v_fma_f64 v[162:163], -v[162:163], v[166:167], v[168:169]
	v_div_fmas_f64 v[162:163], v[162:163], v[164:165], v[166:167]
	v_div_fixup_f64 v[164:165], v[162:163], v[158:159], v[160:161]
	v_fma_f64 v[158:159], v[160:161], v[164:165], v[158:159]
	v_div_scale_f64 v[160:161], null, v[158:159], v[158:159], 1.0
	v_rcp_f64_e32 v[162:163], v[160:161]
	v_fma_f64 v[166:167], -v[160:161], v[162:163], 1.0
	v_fma_f64 v[162:163], v[162:163], v[166:167], v[162:163]
	v_fma_f64 v[166:167], -v[160:161], v[162:163], 1.0
	v_fma_f64 v[162:163], v[162:163], v[166:167], v[162:163]
	v_div_scale_f64 v[166:167], vcc_lo, 1.0, v[158:159], 1.0
	v_mul_f64 v[168:169], v[166:167], v[162:163]
	v_fma_f64 v[160:161], -v[160:161], v[168:169], v[166:167]
	v_div_fmas_f64 v[160:161], v[160:161], v[162:163], v[168:169]
	v_div_fixup_f64 v[162:163], v[160:161], v[158:159], 1.0
	v_mul_f64 v[164:165], v[164:165], -v[162:163]
.LBB53_115:
	s_or_b32 exec_lo, exec_lo, s1
	ds_write2_b64 v1, v[162:163], v[164:165] offset1:1
.LBB53_116:
	s_or_b32 exec_lo, exec_lo, s2
	s_waitcnt lgkmcnt(0)
	s_barrier
	buffer_gl0_inv
	ds_read2_b64 v[158:161], v1 offset1:1
	s_mov_b32 s1, exec_lo
	v_cmpx_lt_u32_e32 12, v0
	s_cbranch_execz .LBB53_118
; %bb.117:
	s_waitcnt lgkmcnt(0)
	v_mul_f64 v[162:163], v[158:159], v[60:61]
	v_mul_f64 v[60:61], v[160:161], v[60:61]
	ds_read2_b64 v[164:167], v236 offset0:26 offset1:27
	v_fma_f64 v[162:163], v[160:161], v[58:59], v[162:163]
	v_fma_f64 v[58:59], v[158:159], v[58:59], -v[60:61]
	s_waitcnt lgkmcnt(0)
	v_mul_f64 v[60:61], v[166:167], v[162:163]
	v_fma_f64 v[60:61], v[164:165], v[58:59], -v[60:61]
	v_mul_f64 v[164:165], v[164:165], v[162:163]
	v_add_f64 v[54:55], v[54:55], -v[60:61]
	v_fma_f64 v[164:165], v[166:167], v[58:59], v[164:165]
	v_add_f64 v[56:57], v[56:57], -v[164:165]
	ds_read2_b64 v[164:167], v236 offset0:28 offset1:29
	s_waitcnt lgkmcnt(0)
	v_mul_f64 v[60:61], v[166:167], v[162:163]
	v_fma_f64 v[60:61], v[164:165], v[58:59], -v[60:61]
	v_mul_f64 v[164:165], v[164:165], v[162:163]
	v_add_f64 v[50:51], v[50:51], -v[60:61]
	v_fma_f64 v[164:165], v[166:167], v[58:59], v[164:165]
	v_add_f64 v[52:53], v[52:53], -v[164:165]
	ds_read2_b64 v[164:167], v236 offset0:30 offset1:31
	;; [unrolled: 8-line block ×13, first 2 shown]
	s_waitcnt lgkmcnt(0)
	v_mul_f64 v[60:61], v[166:167], v[162:163]
	v_fma_f64 v[60:61], v[164:165], v[58:59], -v[60:61]
	v_mul_f64 v[164:165], v[164:165], v[162:163]
	v_add_f64 v[2:3], v[2:3], -v[60:61]
	v_fma_f64 v[164:165], v[166:167], v[58:59], v[164:165]
	v_mov_b32_e32 v60, v162
	v_mov_b32_e32 v61, v163
	v_add_f64 v[4:5], v[4:5], -v[164:165]
.LBB53_118:
	s_or_b32 exec_lo, exec_lo, s1
	s_mov_b32 s2, exec_lo
	s_waitcnt lgkmcnt(0)
	s_barrier
	buffer_gl0_inv
	v_cmpx_eq_u32_e32 13, v0
	s_cbranch_execz .LBB53_125
; %bb.119:
	ds_write2_b64 v1, v[54:55], v[56:57] offset1:1
	ds_write2_b64 v236, v[50:51], v[52:53] offset0:28 offset1:29
	ds_write2_b64 v236, v[46:47], v[48:49] offset0:30 offset1:31
	;; [unrolled: 1-line block ×13, first 2 shown]
	ds_read2_b64 v[162:165], v1 offset1:1
	s_waitcnt lgkmcnt(0)
	v_cmp_neq_f64_e32 vcc_lo, 0, v[162:163]
	v_cmp_neq_f64_e64 s1, 0, v[164:165]
	s_or_b32 s1, vcc_lo, s1
	s_and_b32 exec_lo, exec_lo, s1
	s_cbranch_execz .LBB53_125
; %bb.120:
	v_cmp_ngt_f64_e64 s1, |v[162:163]|, |v[164:165]|
                                        ; implicit-def: $vgpr166_vgpr167
	s_and_saveexec_b32 s3, s1
	s_xor_b32 s1, exec_lo, s3
                                        ; implicit-def: $vgpr168_vgpr169
	s_cbranch_execz .LBB53_122
; %bb.121:
	v_div_scale_f64 v[166:167], null, v[164:165], v[164:165], v[162:163]
	v_div_scale_f64 v[172:173], vcc_lo, v[162:163], v[164:165], v[162:163]
	v_rcp_f64_e32 v[168:169], v[166:167]
	v_fma_f64 v[170:171], -v[166:167], v[168:169], 1.0
	v_fma_f64 v[168:169], v[168:169], v[170:171], v[168:169]
	v_fma_f64 v[170:171], -v[166:167], v[168:169], 1.0
	v_fma_f64 v[168:169], v[168:169], v[170:171], v[168:169]
	v_mul_f64 v[170:171], v[172:173], v[168:169]
	v_fma_f64 v[166:167], -v[166:167], v[170:171], v[172:173]
	v_div_fmas_f64 v[166:167], v[166:167], v[168:169], v[170:171]
	v_div_fixup_f64 v[166:167], v[166:167], v[164:165], v[162:163]
	v_fma_f64 v[162:163], v[162:163], v[166:167], v[164:165]
	v_div_scale_f64 v[164:165], null, v[162:163], v[162:163], 1.0
	v_rcp_f64_e32 v[168:169], v[164:165]
	v_fma_f64 v[170:171], -v[164:165], v[168:169], 1.0
	v_fma_f64 v[168:169], v[168:169], v[170:171], v[168:169]
	v_fma_f64 v[170:171], -v[164:165], v[168:169], 1.0
	v_fma_f64 v[168:169], v[168:169], v[170:171], v[168:169]
	v_div_scale_f64 v[170:171], vcc_lo, 1.0, v[162:163], 1.0
	v_mul_f64 v[172:173], v[170:171], v[168:169]
	v_fma_f64 v[164:165], -v[164:165], v[172:173], v[170:171]
	v_div_fmas_f64 v[164:165], v[164:165], v[168:169], v[172:173]
	v_div_fixup_f64 v[168:169], v[164:165], v[162:163], 1.0
                                        ; implicit-def: $vgpr162_vgpr163
	v_mul_f64 v[166:167], v[166:167], v[168:169]
	v_xor_b32_e32 v169, 0x80000000, v169
.LBB53_122:
	s_andn2_saveexec_b32 s1, s1
	s_cbranch_execz .LBB53_124
; %bb.123:
	v_div_scale_f64 v[166:167], null, v[162:163], v[162:163], v[164:165]
	v_div_scale_f64 v[172:173], vcc_lo, v[164:165], v[162:163], v[164:165]
	v_rcp_f64_e32 v[168:169], v[166:167]
	v_fma_f64 v[170:171], -v[166:167], v[168:169], 1.0
	v_fma_f64 v[168:169], v[168:169], v[170:171], v[168:169]
	v_fma_f64 v[170:171], -v[166:167], v[168:169], 1.0
	v_fma_f64 v[168:169], v[168:169], v[170:171], v[168:169]
	v_mul_f64 v[170:171], v[172:173], v[168:169]
	v_fma_f64 v[166:167], -v[166:167], v[170:171], v[172:173]
	v_div_fmas_f64 v[166:167], v[166:167], v[168:169], v[170:171]
	v_div_fixup_f64 v[168:169], v[166:167], v[162:163], v[164:165]
	v_fma_f64 v[162:163], v[164:165], v[168:169], v[162:163]
	v_div_scale_f64 v[164:165], null, v[162:163], v[162:163], 1.0
	v_rcp_f64_e32 v[166:167], v[164:165]
	v_fma_f64 v[170:171], -v[164:165], v[166:167], 1.0
	v_fma_f64 v[166:167], v[166:167], v[170:171], v[166:167]
	v_fma_f64 v[170:171], -v[164:165], v[166:167], 1.0
	v_fma_f64 v[166:167], v[166:167], v[170:171], v[166:167]
	v_div_scale_f64 v[170:171], vcc_lo, 1.0, v[162:163], 1.0
	v_mul_f64 v[172:173], v[170:171], v[166:167]
	v_fma_f64 v[164:165], -v[164:165], v[172:173], v[170:171]
	v_div_fmas_f64 v[164:165], v[164:165], v[166:167], v[172:173]
	v_div_fixup_f64 v[166:167], v[164:165], v[162:163], 1.0
	v_mul_f64 v[168:169], v[168:169], -v[166:167]
.LBB53_124:
	s_or_b32 exec_lo, exec_lo, s1
	ds_write2_b64 v1, v[166:167], v[168:169] offset1:1
.LBB53_125:
	s_or_b32 exec_lo, exec_lo, s2
	s_waitcnt lgkmcnt(0)
	s_barrier
	buffer_gl0_inv
	ds_read2_b64 v[162:165], v1 offset1:1
	s_mov_b32 s1, exec_lo
	v_cmpx_lt_u32_e32 13, v0
	s_cbranch_execz .LBB53_127
; %bb.126:
	s_waitcnt lgkmcnt(0)
	v_mul_f64 v[166:167], v[162:163], v[56:57]
	v_mul_f64 v[56:57], v[164:165], v[56:57]
	v_fma_f64 v[170:171], v[164:165], v[54:55], v[166:167]
	ds_read2_b64 v[166:169], v236 offset0:28 offset1:29
	v_fma_f64 v[54:55], v[162:163], v[54:55], -v[56:57]
	s_waitcnt lgkmcnt(0)
	v_mul_f64 v[56:57], v[168:169], v[170:171]
	v_fma_f64 v[56:57], v[166:167], v[54:55], -v[56:57]
	v_mul_f64 v[166:167], v[166:167], v[170:171]
	v_add_f64 v[50:51], v[50:51], -v[56:57]
	v_fma_f64 v[166:167], v[168:169], v[54:55], v[166:167]
	v_add_f64 v[52:53], v[52:53], -v[166:167]
	ds_read2_b64 v[166:169], v236 offset0:30 offset1:31
	s_waitcnt lgkmcnt(0)
	v_mul_f64 v[56:57], v[168:169], v[170:171]
	v_fma_f64 v[56:57], v[166:167], v[54:55], -v[56:57]
	v_mul_f64 v[166:167], v[166:167], v[170:171]
	v_add_f64 v[46:47], v[46:47], -v[56:57]
	v_fma_f64 v[166:167], v[168:169], v[54:55], v[166:167]
	v_add_f64 v[48:49], v[48:49], -v[166:167]
	ds_read2_b64 v[166:169], v236 offset0:32 offset1:33
	s_waitcnt lgkmcnt(0)
	v_mul_f64 v[56:57], v[168:169], v[170:171]
	v_fma_f64 v[56:57], v[166:167], v[54:55], -v[56:57]
	v_mul_f64 v[166:167], v[166:167], v[170:171]
	v_add_f64 v[42:43], v[42:43], -v[56:57]
	v_fma_f64 v[166:167], v[168:169], v[54:55], v[166:167]
	v_add_f64 v[44:45], v[44:45], -v[166:167]
	ds_read2_b64 v[166:169], v236 offset0:34 offset1:35
	s_waitcnt lgkmcnt(0)
	v_mul_f64 v[56:57], v[168:169], v[170:171]
	v_fma_f64 v[56:57], v[166:167], v[54:55], -v[56:57]
	v_mul_f64 v[166:167], v[166:167], v[170:171]
	v_add_f64 v[38:39], v[38:39], -v[56:57]
	v_fma_f64 v[166:167], v[168:169], v[54:55], v[166:167]
	v_add_f64 v[40:41], v[40:41], -v[166:167]
	ds_read2_b64 v[166:169], v236 offset0:36 offset1:37
	s_waitcnt lgkmcnt(0)
	v_mul_f64 v[56:57], v[168:169], v[170:171]
	v_fma_f64 v[56:57], v[166:167], v[54:55], -v[56:57]
	v_mul_f64 v[166:167], v[166:167], v[170:171]
	v_add_f64 v[34:35], v[34:35], -v[56:57]
	v_fma_f64 v[166:167], v[168:169], v[54:55], v[166:167]
	v_add_f64 v[36:37], v[36:37], -v[166:167]
	ds_read2_b64 v[166:169], v236 offset0:38 offset1:39
	s_waitcnt lgkmcnt(0)
	v_mul_f64 v[56:57], v[168:169], v[170:171]
	v_fma_f64 v[56:57], v[166:167], v[54:55], -v[56:57]
	v_mul_f64 v[166:167], v[166:167], v[170:171]
	v_add_f64 v[30:31], v[30:31], -v[56:57]
	v_fma_f64 v[166:167], v[168:169], v[54:55], v[166:167]
	v_add_f64 v[32:33], v[32:33], -v[166:167]
	ds_read2_b64 v[166:169], v236 offset0:40 offset1:41
	s_waitcnt lgkmcnt(0)
	v_mul_f64 v[56:57], v[168:169], v[170:171]
	v_fma_f64 v[56:57], v[166:167], v[54:55], -v[56:57]
	v_mul_f64 v[166:167], v[166:167], v[170:171]
	v_add_f64 v[26:27], v[26:27], -v[56:57]
	v_fma_f64 v[166:167], v[168:169], v[54:55], v[166:167]
	v_add_f64 v[28:29], v[28:29], -v[166:167]
	ds_read2_b64 v[166:169], v236 offset0:42 offset1:43
	s_waitcnt lgkmcnt(0)
	v_mul_f64 v[56:57], v[168:169], v[170:171]
	v_fma_f64 v[56:57], v[166:167], v[54:55], -v[56:57]
	v_mul_f64 v[166:167], v[166:167], v[170:171]
	v_add_f64 v[22:23], v[22:23], -v[56:57]
	v_fma_f64 v[166:167], v[168:169], v[54:55], v[166:167]
	v_add_f64 v[24:25], v[24:25], -v[166:167]
	ds_read2_b64 v[166:169], v236 offset0:44 offset1:45
	s_waitcnt lgkmcnt(0)
	v_mul_f64 v[56:57], v[168:169], v[170:171]
	v_fma_f64 v[56:57], v[166:167], v[54:55], -v[56:57]
	v_mul_f64 v[166:167], v[166:167], v[170:171]
	v_add_f64 v[18:19], v[18:19], -v[56:57]
	v_fma_f64 v[166:167], v[168:169], v[54:55], v[166:167]
	v_add_f64 v[20:21], v[20:21], -v[166:167]
	ds_read2_b64 v[166:169], v236 offset0:46 offset1:47
	s_waitcnt lgkmcnt(0)
	v_mul_f64 v[56:57], v[168:169], v[170:171]
	v_fma_f64 v[56:57], v[166:167], v[54:55], -v[56:57]
	v_mul_f64 v[166:167], v[166:167], v[170:171]
	v_add_f64 v[14:15], v[14:15], -v[56:57]
	v_fma_f64 v[166:167], v[168:169], v[54:55], v[166:167]
	v_add_f64 v[16:17], v[16:17], -v[166:167]
	ds_read2_b64 v[166:169], v236 offset0:48 offset1:49
	s_waitcnt lgkmcnt(0)
	v_mul_f64 v[56:57], v[168:169], v[170:171]
	v_fma_f64 v[56:57], v[166:167], v[54:55], -v[56:57]
	v_mul_f64 v[166:167], v[166:167], v[170:171]
	v_add_f64 v[10:11], v[10:11], -v[56:57]
	v_fma_f64 v[166:167], v[168:169], v[54:55], v[166:167]
	v_add_f64 v[12:13], v[12:13], -v[166:167]
	ds_read2_b64 v[166:169], v236 offset0:50 offset1:51
	s_waitcnt lgkmcnt(0)
	v_mul_f64 v[56:57], v[168:169], v[170:171]
	v_fma_f64 v[56:57], v[166:167], v[54:55], -v[56:57]
	v_mul_f64 v[166:167], v[166:167], v[170:171]
	v_add_f64 v[6:7], v[6:7], -v[56:57]
	v_fma_f64 v[166:167], v[168:169], v[54:55], v[166:167]
	v_add_f64 v[8:9], v[8:9], -v[166:167]
	ds_read2_b64 v[166:169], v236 offset0:52 offset1:53
	s_waitcnt lgkmcnt(0)
	v_mul_f64 v[56:57], v[168:169], v[170:171]
	v_fma_f64 v[56:57], v[166:167], v[54:55], -v[56:57]
	v_mul_f64 v[166:167], v[166:167], v[170:171]
	v_add_f64 v[2:3], v[2:3], -v[56:57]
	v_fma_f64 v[166:167], v[168:169], v[54:55], v[166:167]
	v_mov_b32_e32 v56, v170
	v_mov_b32_e32 v57, v171
	v_add_f64 v[4:5], v[4:5], -v[166:167]
.LBB53_127:
	s_or_b32 exec_lo, exec_lo, s1
	s_mov_b32 s2, exec_lo
	s_waitcnt lgkmcnt(0)
	s_barrier
	buffer_gl0_inv
	v_cmpx_eq_u32_e32 14, v0
	s_cbranch_execz .LBB53_134
; %bb.128:
	ds_write2_b64 v1, v[50:51], v[52:53] offset1:1
	ds_write2_b64 v236, v[46:47], v[48:49] offset0:30 offset1:31
	ds_write2_b64 v236, v[42:43], v[44:45] offset0:32 offset1:33
	;; [unrolled: 1-line block ×12, first 2 shown]
	ds_read2_b64 v[166:169], v1 offset1:1
	s_waitcnt lgkmcnt(0)
	v_cmp_neq_f64_e32 vcc_lo, 0, v[166:167]
	v_cmp_neq_f64_e64 s1, 0, v[168:169]
	s_or_b32 s1, vcc_lo, s1
	s_and_b32 exec_lo, exec_lo, s1
	s_cbranch_execz .LBB53_134
; %bb.129:
	v_cmp_ngt_f64_e64 s1, |v[166:167]|, |v[168:169]|
                                        ; implicit-def: $vgpr170_vgpr171
	s_and_saveexec_b32 s3, s1
	s_xor_b32 s1, exec_lo, s3
                                        ; implicit-def: $vgpr172_vgpr173
	s_cbranch_execz .LBB53_131
; %bb.130:
	v_div_scale_f64 v[170:171], null, v[168:169], v[168:169], v[166:167]
	v_div_scale_f64 v[176:177], vcc_lo, v[166:167], v[168:169], v[166:167]
	v_rcp_f64_e32 v[172:173], v[170:171]
	v_fma_f64 v[174:175], -v[170:171], v[172:173], 1.0
	v_fma_f64 v[172:173], v[172:173], v[174:175], v[172:173]
	v_fma_f64 v[174:175], -v[170:171], v[172:173], 1.0
	v_fma_f64 v[172:173], v[172:173], v[174:175], v[172:173]
	v_mul_f64 v[174:175], v[176:177], v[172:173]
	v_fma_f64 v[170:171], -v[170:171], v[174:175], v[176:177]
	v_div_fmas_f64 v[170:171], v[170:171], v[172:173], v[174:175]
	v_div_fixup_f64 v[170:171], v[170:171], v[168:169], v[166:167]
	v_fma_f64 v[166:167], v[166:167], v[170:171], v[168:169]
	v_div_scale_f64 v[168:169], null, v[166:167], v[166:167], 1.0
	v_rcp_f64_e32 v[172:173], v[168:169]
	v_fma_f64 v[174:175], -v[168:169], v[172:173], 1.0
	v_fma_f64 v[172:173], v[172:173], v[174:175], v[172:173]
	v_fma_f64 v[174:175], -v[168:169], v[172:173], 1.0
	v_fma_f64 v[172:173], v[172:173], v[174:175], v[172:173]
	v_div_scale_f64 v[174:175], vcc_lo, 1.0, v[166:167], 1.0
	v_mul_f64 v[176:177], v[174:175], v[172:173]
	v_fma_f64 v[168:169], -v[168:169], v[176:177], v[174:175]
	v_div_fmas_f64 v[168:169], v[168:169], v[172:173], v[176:177]
	v_div_fixup_f64 v[172:173], v[168:169], v[166:167], 1.0
                                        ; implicit-def: $vgpr166_vgpr167
	v_mul_f64 v[170:171], v[170:171], v[172:173]
	v_xor_b32_e32 v173, 0x80000000, v173
.LBB53_131:
	s_andn2_saveexec_b32 s1, s1
	s_cbranch_execz .LBB53_133
; %bb.132:
	v_div_scale_f64 v[170:171], null, v[166:167], v[166:167], v[168:169]
	v_div_scale_f64 v[176:177], vcc_lo, v[168:169], v[166:167], v[168:169]
	v_rcp_f64_e32 v[172:173], v[170:171]
	v_fma_f64 v[174:175], -v[170:171], v[172:173], 1.0
	v_fma_f64 v[172:173], v[172:173], v[174:175], v[172:173]
	v_fma_f64 v[174:175], -v[170:171], v[172:173], 1.0
	v_fma_f64 v[172:173], v[172:173], v[174:175], v[172:173]
	v_mul_f64 v[174:175], v[176:177], v[172:173]
	v_fma_f64 v[170:171], -v[170:171], v[174:175], v[176:177]
	v_div_fmas_f64 v[170:171], v[170:171], v[172:173], v[174:175]
	v_div_fixup_f64 v[172:173], v[170:171], v[166:167], v[168:169]
	v_fma_f64 v[166:167], v[168:169], v[172:173], v[166:167]
	v_div_scale_f64 v[168:169], null, v[166:167], v[166:167], 1.0
	v_rcp_f64_e32 v[170:171], v[168:169]
	v_fma_f64 v[174:175], -v[168:169], v[170:171], 1.0
	v_fma_f64 v[170:171], v[170:171], v[174:175], v[170:171]
	v_fma_f64 v[174:175], -v[168:169], v[170:171], 1.0
	v_fma_f64 v[170:171], v[170:171], v[174:175], v[170:171]
	v_div_scale_f64 v[174:175], vcc_lo, 1.0, v[166:167], 1.0
	v_mul_f64 v[176:177], v[174:175], v[170:171]
	v_fma_f64 v[168:169], -v[168:169], v[176:177], v[174:175]
	v_div_fmas_f64 v[168:169], v[168:169], v[170:171], v[176:177]
	v_div_fixup_f64 v[170:171], v[168:169], v[166:167], 1.0
	v_mul_f64 v[172:173], v[172:173], -v[170:171]
.LBB53_133:
	s_or_b32 exec_lo, exec_lo, s1
	ds_write2_b64 v1, v[170:171], v[172:173] offset1:1
.LBB53_134:
	s_or_b32 exec_lo, exec_lo, s2
	s_waitcnt lgkmcnt(0)
	s_barrier
	buffer_gl0_inv
	ds_read2_b64 v[166:169], v1 offset1:1
	s_mov_b32 s1, exec_lo
	v_cmpx_lt_u32_e32 14, v0
	s_cbranch_execz .LBB53_136
; %bb.135:
	s_waitcnt lgkmcnt(0)
	v_mul_f64 v[170:171], v[166:167], v[52:53]
	v_mul_f64 v[52:53], v[168:169], v[52:53]
	v_fma_f64 v[174:175], v[168:169], v[50:51], v[170:171]
	ds_read2_b64 v[170:173], v236 offset0:30 offset1:31
	v_fma_f64 v[50:51], v[166:167], v[50:51], -v[52:53]
	s_waitcnt lgkmcnt(0)
	v_mul_f64 v[52:53], v[172:173], v[174:175]
	v_fma_f64 v[52:53], v[170:171], v[50:51], -v[52:53]
	v_mul_f64 v[170:171], v[170:171], v[174:175]
	v_add_f64 v[46:47], v[46:47], -v[52:53]
	v_fma_f64 v[170:171], v[172:173], v[50:51], v[170:171]
	v_add_f64 v[48:49], v[48:49], -v[170:171]
	ds_read2_b64 v[170:173], v236 offset0:32 offset1:33
	s_waitcnt lgkmcnt(0)
	v_mul_f64 v[52:53], v[172:173], v[174:175]
	v_fma_f64 v[52:53], v[170:171], v[50:51], -v[52:53]
	v_mul_f64 v[170:171], v[170:171], v[174:175]
	v_add_f64 v[42:43], v[42:43], -v[52:53]
	v_fma_f64 v[170:171], v[172:173], v[50:51], v[170:171]
	v_add_f64 v[44:45], v[44:45], -v[170:171]
	ds_read2_b64 v[170:173], v236 offset0:34 offset1:35
	;; [unrolled: 8-line block ×11, first 2 shown]
	s_waitcnt lgkmcnt(0)
	v_mul_f64 v[52:53], v[172:173], v[174:175]
	v_fma_f64 v[52:53], v[170:171], v[50:51], -v[52:53]
	v_mul_f64 v[170:171], v[170:171], v[174:175]
	v_add_f64 v[2:3], v[2:3], -v[52:53]
	v_fma_f64 v[170:171], v[172:173], v[50:51], v[170:171]
	v_mov_b32_e32 v52, v174
	v_mov_b32_e32 v53, v175
	v_add_f64 v[4:5], v[4:5], -v[170:171]
.LBB53_136:
	s_or_b32 exec_lo, exec_lo, s1
	s_mov_b32 s2, exec_lo
	s_waitcnt lgkmcnt(0)
	s_barrier
	buffer_gl0_inv
	v_cmpx_eq_u32_e32 15, v0
	s_cbranch_execz .LBB53_143
; %bb.137:
	ds_write2_b64 v1, v[46:47], v[48:49] offset1:1
	ds_write2_b64 v236, v[42:43], v[44:45] offset0:32 offset1:33
	ds_write2_b64 v236, v[38:39], v[40:41] offset0:34 offset1:35
	;; [unrolled: 1-line block ×11, first 2 shown]
	ds_read2_b64 v[170:173], v1 offset1:1
	s_waitcnt lgkmcnt(0)
	v_cmp_neq_f64_e32 vcc_lo, 0, v[170:171]
	v_cmp_neq_f64_e64 s1, 0, v[172:173]
	s_or_b32 s1, vcc_lo, s1
	s_and_b32 exec_lo, exec_lo, s1
	s_cbranch_execz .LBB53_143
; %bb.138:
	v_cmp_ngt_f64_e64 s1, |v[170:171]|, |v[172:173]|
                                        ; implicit-def: $vgpr174_vgpr175
	s_and_saveexec_b32 s3, s1
	s_xor_b32 s1, exec_lo, s3
                                        ; implicit-def: $vgpr176_vgpr177
	s_cbranch_execz .LBB53_140
; %bb.139:
	v_div_scale_f64 v[174:175], null, v[172:173], v[172:173], v[170:171]
	v_div_scale_f64 v[180:181], vcc_lo, v[170:171], v[172:173], v[170:171]
	v_rcp_f64_e32 v[176:177], v[174:175]
	v_fma_f64 v[178:179], -v[174:175], v[176:177], 1.0
	v_fma_f64 v[176:177], v[176:177], v[178:179], v[176:177]
	v_fma_f64 v[178:179], -v[174:175], v[176:177], 1.0
	v_fma_f64 v[176:177], v[176:177], v[178:179], v[176:177]
	v_mul_f64 v[178:179], v[180:181], v[176:177]
	v_fma_f64 v[174:175], -v[174:175], v[178:179], v[180:181]
	v_div_fmas_f64 v[174:175], v[174:175], v[176:177], v[178:179]
	v_div_fixup_f64 v[174:175], v[174:175], v[172:173], v[170:171]
	v_fma_f64 v[170:171], v[170:171], v[174:175], v[172:173]
	v_div_scale_f64 v[172:173], null, v[170:171], v[170:171], 1.0
	v_rcp_f64_e32 v[176:177], v[172:173]
	v_fma_f64 v[178:179], -v[172:173], v[176:177], 1.0
	v_fma_f64 v[176:177], v[176:177], v[178:179], v[176:177]
	v_fma_f64 v[178:179], -v[172:173], v[176:177], 1.0
	v_fma_f64 v[176:177], v[176:177], v[178:179], v[176:177]
	v_div_scale_f64 v[178:179], vcc_lo, 1.0, v[170:171], 1.0
	v_mul_f64 v[180:181], v[178:179], v[176:177]
	v_fma_f64 v[172:173], -v[172:173], v[180:181], v[178:179]
	v_div_fmas_f64 v[172:173], v[172:173], v[176:177], v[180:181]
	v_div_fixup_f64 v[176:177], v[172:173], v[170:171], 1.0
                                        ; implicit-def: $vgpr170_vgpr171
	v_mul_f64 v[174:175], v[174:175], v[176:177]
	v_xor_b32_e32 v177, 0x80000000, v177
.LBB53_140:
	s_andn2_saveexec_b32 s1, s1
	s_cbranch_execz .LBB53_142
; %bb.141:
	v_div_scale_f64 v[174:175], null, v[170:171], v[170:171], v[172:173]
	v_div_scale_f64 v[180:181], vcc_lo, v[172:173], v[170:171], v[172:173]
	v_rcp_f64_e32 v[176:177], v[174:175]
	v_fma_f64 v[178:179], -v[174:175], v[176:177], 1.0
	v_fma_f64 v[176:177], v[176:177], v[178:179], v[176:177]
	v_fma_f64 v[178:179], -v[174:175], v[176:177], 1.0
	v_fma_f64 v[176:177], v[176:177], v[178:179], v[176:177]
	v_mul_f64 v[178:179], v[180:181], v[176:177]
	v_fma_f64 v[174:175], -v[174:175], v[178:179], v[180:181]
	v_div_fmas_f64 v[174:175], v[174:175], v[176:177], v[178:179]
	v_div_fixup_f64 v[176:177], v[174:175], v[170:171], v[172:173]
	v_fma_f64 v[170:171], v[172:173], v[176:177], v[170:171]
	v_div_scale_f64 v[172:173], null, v[170:171], v[170:171], 1.0
	v_rcp_f64_e32 v[174:175], v[172:173]
	v_fma_f64 v[178:179], -v[172:173], v[174:175], 1.0
	v_fma_f64 v[174:175], v[174:175], v[178:179], v[174:175]
	v_fma_f64 v[178:179], -v[172:173], v[174:175], 1.0
	v_fma_f64 v[174:175], v[174:175], v[178:179], v[174:175]
	v_div_scale_f64 v[178:179], vcc_lo, 1.0, v[170:171], 1.0
	v_mul_f64 v[180:181], v[178:179], v[174:175]
	v_fma_f64 v[172:173], -v[172:173], v[180:181], v[178:179]
	v_div_fmas_f64 v[172:173], v[172:173], v[174:175], v[180:181]
	v_div_fixup_f64 v[174:175], v[172:173], v[170:171], 1.0
	v_mul_f64 v[176:177], v[176:177], -v[174:175]
.LBB53_142:
	s_or_b32 exec_lo, exec_lo, s1
	ds_write2_b64 v1, v[174:175], v[176:177] offset1:1
.LBB53_143:
	s_or_b32 exec_lo, exec_lo, s2
	s_waitcnt lgkmcnt(0)
	s_barrier
	buffer_gl0_inv
	ds_read2_b64 v[170:173], v1 offset1:1
	s_mov_b32 s1, exec_lo
	v_cmpx_lt_u32_e32 15, v0
	s_cbranch_execz .LBB53_145
; %bb.144:
	s_waitcnt lgkmcnt(0)
	v_mul_f64 v[174:175], v[170:171], v[48:49]
	v_mul_f64 v[48:49], v[172:173], v[48:49]
	v_fma_f64 v[178:179], v[172:173], v[46:47], v[174:175]
	ds_read2_b64 v[174:177], v236 offset0:32 offset1:33
	v_fma_f64 v[46:47], v[170:171], v[46:47], -v[48:49]
	s_waitcnt lgkmcnt(0)
	v_mul_f64 v[48:49], v[176:177], v[178:179]
	v_fma_f64 v[48:49], v[174:175], v[46:47], -v[48:49]
	v_mul_f64 v[174:175], v[174:175], v[178:179]
	v_add_f64 v[42:43], v[42:43], -v[48:49]
	v_fma_f64 v[174:175], v[176:177], v[46:47], v[174:175]
	v_add_f64 v[44:45], v[44:45], -v[174:175]
	ds_read2_b64 v[174:177], v236 offset0:34 offset1:35
	s_waitcnt lgkmcnt(0)
	v_mul_f64 v[48:49], v[176:177], v[178:179]
	v_fma_f64 v[48:49], v[174:175], v[46:47], -v[48:49]
	v_mul_f64 v[174:175], v[174:175], v[178:179]
	v_add_f64 v[38:39], v[38:39], -v[48:49]
	v_fma_f64 v[174:175], v[176:177], v[46:47], v[174:175]
	v_add_f64 v[40:41], v[40:41], -v[174:175]
	ds_read2_b64 v[174:177], v236 offset0:36 offset1:37
	s_waitcnt lgkmcnt(0)
	v_mul_f64 v[48:49], v[176:177], v[178:179]
	v_fma_f64 v[48:49], v[174:175], v[46:47], -v[48:49]
	v_mul_f64 v[174:175], v[174:175], v[178:179]
	v_add_f64 v[34:35], v[34:35], -v[48:49]
	v_fma_f64 v[174:175], v[176:177], v[46:47], v[174:175]
	v_add_f64 v[36:37], v[36:37], -v[174:175]
	ds_read2_b64 v[174:177], v236 offset0:38 offset1:39
	s_waitcnt lgkmcnt(0)
	v_mul_f64 v[48:49], v[176:177], v[178:179]
	v_fma_f64 v[48:49], v[174:175], v[46:47], -v[48:49]
	v_mul_f64 v[174:175], v[174:175], v[178:179]
	v_add_f64 v[30:31], v[30:31], -v[48:49]
	v_fma_f64 v[174:175], v[176:177], v[46:47], v[174:175]
	v_add_f64 v[32:33], v[32:33], -v[174:175]
	ds_read2_b64 v[174:177], v236 offset0:40 offset1:41
	s_waitcnt lgkmcnt(0)
	v_mul_f64 v[48:49], v[176:177], v[178:179]
	v_fma_f64 v[48:49], v[174:175], v[46:47], -v[48:49]
	v_mul_f64 v[174:175], v[174:175], v[178:179]
	v_add_f64 v[26:27], v[26:27], -v[48:49]
	v_fma_f64 v[174:175], v[176:177], v[46:47], v[174:175]
	v_add_f64 v[28:29], v[28:29], -v[174:175]
	ds_read2_b64 v[174:177], v236 offset0:42 offset1:43
	s_waitcnt lgkmcnt(0)
	v_mul_f64 v[48:49], v[176:177], v[178:179]
	v_fma_f64 v[48:49], v[174:175], v[46:47], -v[48:49]
	v_mul_f64 v[174:175], v[174:175], v[178:179]
	v_add_f64 v[22:23], v[22:23], -v[48:49]
	v_fma_f64 v[174:175], v[176:177], v[46:47], v[174:175]
	v_add_f64 v[24:25], v[24:25], -v[174:175]
	ds_read2_b64 v[174:177], v236 offset0:44 offset1:45
	s_waitcnt lgkmcnt(0)
	v_mul_f64 v[48:49], v[176:177], v[178:179]
	v_fma_f64 v[48:49], v[174:175], v[46:47], -v[48:49]
	v_mul_f64 v[174:175], v[174:175], v[178:179]
	v_add_f64 v[18:19], v[18:19], -v[48:49]
	v_fma_f64 v[174:175], v[176:177], v[46:47], v[174:175]
	v_add_f64 v[20:21], v[20:21], -v[174:175]
	ds_read2_b64 v[174:177], v236 offset0:46 offset1:47
	s_waitcnt lgkmcnt(0)
	v_mul_f64 v[48:49], v[176:177], v[178:179]
	v_fma_f64 v[48:49], v[174:175], v[46:47], -v[48:49]
	v_mul_f64 v[174:175], v[174:175], v[178:179]
	v_add_f64 v[14:15], v[14:15], -v[48:49]
	v_fma_f64 v[174:175], v[176:177], v[46:47], v[174:175]
	v_add_f64 v[16:17], v[16:17], -v[174:175]
	ds_read2_b64 v[174:177], v236 offset0:48 offset1:49
	s_waitcnt lgkmcnt(0)
	v_mul_f64 v[48:49], v[176:177], v[178:179]
	v_fma_f64 v[48:49], v[174:175], v[46:47], -v[48:49]
	v_mul_f64 v[174:175], v[174:175], v[178:179]
	v_add_f64 v[10:11], v[10:11], -v[48:49]
	v_fma_f64 v[174:175], v[176:177], v[46:47], v[174:175]
	v_add_f64 v[12:13], v[12:13], -v[174:175]
	ds_read2_b64 v[174:177], v236 offset0:50 offset1:51
	s_waitcnt lgkmcnt(0)
	v_mul_f64 v[48:49], v[176:177], v[178:179]
	v_fma_f64 v[48:49], v[174:175], v[46:47], -v[48:49]
	v_mul_f64 v[174:175], v[174:175], v[178:179]
	v_add_f64 v[6:7], v[6:7], -v[48:49]
	v_fma_f64 v[174:175], v[176:177], v[46:47], v[174:175]
	v_add_f64 v[8:9], v[8:9], -v[174:175]
	ds_read2_b64 v[174:177], v236 offset0:52 offset1:53
	s_waitcnt lgkmcnt(0)
	v_mul_f64 v[48:49], v[176:177], v[178:179]
	v_fma_f64 v[48:49], v[174:175], v[46:47], -v[48:49]
	v_mul_f64 v[174:175], v[174:175], v[178:179]
	v_add_f64 v[2:3], v[2:3], -v[48:49]
	v_fma_f64 v[174:175], v[176:177], v[46:47], v[174:175]
	v_mov_b32_e32 v48, v178
	v_mov_b32_e32 v49, v179
	v_add_f64 v[4:5], v[4:5], -v[174:175]
.LBB53_145:
	s_or_b32 exec_lo, exec_lo, s1
	s_mov_b32 s2, exec_lo
	s_waitcnt lgkmcnt(0)
	s_barrier
	buffer_gl0_inv
	v_cmpx_eq_u32_e32 16, v0
	s_cbranch_execz .LBB53_152
; %bb.146:
	ds_write2_b64 v1, v[42:43], v[44:45] offset1:1
	ds_write2_b64 v236, v[38:39], v[40:41] offset0:34 offset1:35
	ds_write2_b64 v236, v[34:35], v[36:37] offset0:36 offset1:37
	;; [unrolled: 1-line block ×10, first 2 shown]
	ds_read2_b64 v[174:177], v1 offset1:1
	s_waitcnt lgkmcnt(0)
	v_cmp_neq_f64_e32 vcc_lo, 0, v[174:175]
	v_cmp_neq_f64_e64 s1, 0, v[176:177]
	s_or_b32 s1, vcc_lo, s1
	s_and_b32 exec_lo, exec_lo, s1
	s_cbranch_execz .LBB53_152
; %bb.147:
	v_cmp_ngt_f64_e64 s1, |v[174:175]|, |v[176:177]|
                                        ; implicit-def: $vgpr178_vgpr179
	s_and_saveexec_b32 s3, s1
	s_xor_b32 s1, exec_lo, s3
                                        ; implicit-def: $vgpr180_vgpr181
	s_cbranch_execz .LBB53_149
; %bb.148:
	v_div_scale_f64 v[178:179], null, v[176:177], v[176:177], v[174:175]
	v_div_scale_f64 v[184:185], vcc_lo, v[174:175], v[176:177], v[174:175]
	v_rcp_f64_e32 v[180:181], v[178:179]
	v_fma_f64 v[182:183], -v[178:179], v[180:181], 1.0
	v_fma_f64 v[180:181], v[180:181], v[182:183], v[180:181]
	v_fma_f64 v[182:183], -v[178:179], v[180:181], 1.0
	v_fma_f64 v[180:181], v[180:181], v[182:183], v[180:181]
	v_mul_f64 v[182:183], v[184:185], v[180:181]
	v_fma_f64 v[178:179], -v[178:179], v[182:183], v[184:185]
	v_div_fmas_f64 v[178:179], v[178:179], v[180:181], v[182:183]
	v_div_fixup_f64 v[178:179], v[178:179], v[176:177], v[174:175]
	v_fma_f64 v[174:175], v[174:175], v[178:179], v[176:177]
	v_div_scale_f64 v[176:177], null, v[174:175], v[174:175], 1.0
	v_rcp_f64_e32 v[180:181], v[176:177]
	v_fma_f64 v[182:183], -v[176:177], v[180:181], 1.0
	v_fma_f64 v[180:181], v[180:181], v[182:183], v[180:181]
	v_fma_f64 v[182:183], -v[176:177], v[180:181], 1.0
	v_fma_f64 v[180:181], v[180:181], v[182:183], v[180:181]
	v_div_scale_f64 v[182:183], vcc_lo, 1.0, v[174:175], 1.0
	v_mul_f64 v[184:185], v[182:183], v[180:181]
	v_fma_f64 v[176:177], -v[176:177], v[184:185], v[182:183]
	v_div_fmas_f64 v[176:177], v[176:177], v[180:181], v[184:185]
	v_div_fixup_f64 v[180:181], v[176:177], v[174:175], 1.0
                                        ; implicit-def: $vgpr174_vgpr175
	v_mul_f64 v[178:179], v[178:179], v[180:181]
	v_xor_b32_e32 v181, 0x80000000, v181
.LBB53_149:
	s_andn2_saveexec_b32 s1, s1
	s_cbranch_execz .LBB53_151
; %bb.150:
	v_div_scale_f64 v[178:179], null, v[174:175], v[174:175], v[176:177]
	v_div_scale_f64 v[184:185], vcc_lo, v[176:177], v[174:175], v[176:177]
	v_rcp_f64_e32 v[180:181], v[178:179]
	v_fma_f64 v[182:183], -v[178:179], v[180:181], 1.0
	v_fma_f64 v[180:181], v[180:181], v[182:183], v[180:181]
	v_fma_f64 v[182:183], -v[178:179], v[180:181], 1.0
	v_fma_f64 v[180:181], v[180:181], v[182:183], v[180:181]
	v_mul_f64 v[182:183], v[184:185], v[180:181]
	v_fma_f64 v[178:179], -v[178:179], v[182:183], v[184:185]
	v_div_fmas_f64 v[178:179], v[178:179], v[180:181], v[182:183]
	v_div_fixup_f64 v[180:181], v[178:179], v[174:175], v[176:177]
	v_fma_f64 v[174:175], v[176:177], v[180:181], v[174:175]
	v_div_scale_f64 v[176:177], null, v[174:175], v[174:175], 1.0
	v_rcp_f64_e32 v[178:179], v[176:177]
	v_fma_f64 v[182:183], -v[176:177], v[178:179], 1.0
	v_fma_f64 v[178:179], v[178:179], v[182:183], v[178:179]
	v_fma_f64 v[182:183], -v[176:177], v[178:179], 1.0
	v_fma_f64 v[178:179], v[178:179], v[182:183], v[178:179]
	v_div_scale_f64 v[182:183], vcc_lo, 1.0, v[174:175], 1.0
	v_mul_f64 v[184:185], v[182:183], v[178:179]
	v_fma_f64 v[176:177], -v[176:177], v[184:185], v[182:183]
	v_div_fmas_f64 v[176:177], v[176:177], v[178:179], v[184:185]
	v_div_fixup_f64 v[178:179], v[176:177], v[174:175], 1.0
	v_mul_f64 v[180:181], v[180:181], -v[178:179]
.LBB53_151:
	s_or_b32 exec_lo, exec_lo, s1
	ds_write2_b64 v1, v[178:179], v[180:181] offset1:1
.LBB53_152:
	s_or_b32 exec_lo, exec_lo, s2
	s_waitcnt lgkmcnt(0)
	s_barrier
	buffer_gl0_inv
	ds_read2_b64 v[174:177], v1 offset1:1
	s_mov_b32 s1, exec_lo
	v_cmpx_lt_u32_e32 16, v0
	s_cbranch_execz .LBB53_154
; %bb.153:
	s_waitcnt lgkmcnt(0)
	v_mul_f64 v[178:179], v[174:175], v[44:45]
	v_mul_f64 v[44:45], v[176:177], v[44:45]
	v_fma_f64 v[182:183], v[176:177], v[42:43], v[178:179]
	ds_read2_b64 v[178:181], v236 offset0:34 offset1:35
	v_fma_f64 v[42:43], v[174:175], v[42:43], -v[44:45]
	s_waitcnt lgkmcnt(0)
	v_mul_f64 v[44:45], v[180:181], v[182:183]
	v_fma_f64 v[44:45], v[178:179], v[42:43], -v[44:45]
	v_mul_f64 v[178:179], v[178:179], v[182:183]
	v_add_f64 v[38:39], v[38:39], -v[44:45]
	v_fma_f64 v[178:179], v[180:181], v[42:43], v[178:179]
	v_add_f64 v[40:41], v[40:41], -v[178:179]
	ds_read2_b64 v[178:181], v236 offset0:36 offset1:37
	s_waitcnt lgkmcnt(0)
	v_mul_f64 v[44:45], v[180:181], v[182:183]
	v_fma_f64 v[44:45], v[178:179], v[42:43], -v[44:45]
	v_mul_f64 v[178:179], v[178:179], v[182:183]
	v_add_f64 v[34:35], v[34:35], -v[44:45]
	v_fma_f64 v[178:179], v[180:181], v[42:43], v[178:179]
	v_add_f64 v[36:37], v[36:37], -v[178:179]
	ds_read2_b64 v[178:181], v236 offset0:38 offset1:39
	;; [unrolled: 8-line block ×9, first 2 shown]
	s_waitcnt lgkmcnt(0)
	v_mul_f64 v[44:45], v[180:181], v[182:183]
	v_fma_f64 v[44:45], v[178:179], v[42:43], -v[44:45]
	v_mul_f64 v[178:179], v[178:179], v[182:183]
	v_add_f64 v[2:3], v[2:3], -v[44:45]
	v_fma_f64 v[178:179], v[180:181], v[42:43], v[178:179]
	v_mov_b32_e32 v44, v182
	v_mov_b32_e32 v45, v183
	v_add_f64 v[4:5], v[4:5], -v[178:179]
.LBB53_154:
	s_or_b32 exec_lo, exec_lo, s1
	s_mov_b32 s2, exec_lo
	s_waitcnt lgkmcnt(0)
	s_barrier
	buffer_gl0_inv
	v_cmpx_eq_u32_e32 17, v0
	s_cbranch_execz .LBB53_161
; %bb.155:
	ds_write2_b64 v1, v[38:39], v[40:41] offset1:1
	ds_write2_b64 v236, v[34:35], v[36:37] offset0:36 offset1:37
	ds_write2_b64 v236, v[30:31], v[32:33] offset0:38 offset1:39
	;; [unrolled: 1-line block ×9, first 2 shown]
	ds_read2_b64 v[178:181], v1 offset1:1
	s_waitcnt lgkmcnt(0)
	v_cmp_neq_f64_e32 vcc_lo, 0, v[178:179]
	v_cmp_neq_f64_e64 s1, 0, v[180:181]
	s_or_b32 s1, vcc_lo, s1
	s_and_b32 exec_lo, exec_lo, s1
	s_cbranch_execz .LBB53_161
; %bb.156:
	v_cmp_ngt_f64_e64 s1, |v[178:179]|, |v[180:181]|
                                        ; implicit-def: $vgpr182_vgpr183
	s_and_saveexec_b32 s3, s1
	s_xor_b32 s1, exec_lo, s3
                                        ; implicit-def: $vgpr184_vgpr185
	s_cbranch_execz .LBB53_158
; %bb.157:
	v_div_scale_f64 v[182:183], null, v[180:181], v[180:181], v[178:179]
	v_div_scale_f64 v[188:189], vcc_lo, v[178:179], v[180:181], v[178:179]
	v_rcp_f64_e32 v[184:185], v[182:183]
	v_fma_f64 v[186:187], -v[182:183], v[184:185], 1.0
	v_fma_f64 v[184:185], v[184:185], v[186:187], v[184:185]
	v_fma_f64 v[186:187], -v[182:183], v[184:185], 1.0
	v_fma_f64 v[184:185], v[184:185], v[186:187], v[184:185]
	v_mul_f64 v[186:187], v[188:189], v[184:185]
	v_fma_f64 v[182:183], -v[182:183], v[186:187], v[188:189]
	v_div_fmas_f64 v[182:183], v[182:183], v[184:185], v[186:187]
	v_div_fixup_f64 v[182:183], v[182:183], v[180:181], v[178:179]
	v_fma_f64 v[178:179], v[178:179], v[182:183], v[180:181]
	v_div_scale_f64 v[180:181], null, v[178:179], v[178:179], 1.0
	v_rcp_f64_e32 v[184:185], v[180:181]
	v_fma_f64 v[186:187], -v[180:181], v[184:185], 1.0
	v_fma_f64 v[184:185], v[184:185], v[186:187], v[184:185]
	v_fma_f64 v[186:187], -v[180:181], v[184:185], 1.0
	v_fma_f64 v[184:185], v[184:185], v[186:187], v[184:185]
	v_div_scale_f64 v[186:187], vcc_lo, 1.0, v[178:179], 1.0
	v_mul_f64 v[188:189], v[186:187], v[184:185]
	v_fma_f64 v[180:181], -v[180:181], v[188:189], v[186:187]
	v_div_fmas_f64 v[180:181], v[180:181], v[184:185], v[188:189]
	v_div_fixup_f64 v[184:185], v[180:181], v[178:179], 1.0
                                        ; implicit-def: $vgpr178_vgpr179
	v_mul_f64 v[182:183], v[182:183], v[184:185]
	v_xor_b32_e32 v185, 0x80000000, v185
.LBB53_158:
	s_andn2_saveexec_b32 s1, s1
	s_cbranch_execz .LBB53_160
; %bb.159:
	v_div_scale_f64 v[182:183], null, v[178:179], v[178:179], v[180:181]
	v_div_scale_f64 v[188:189], vcc_lo, v[180:181], v[178:179], v[180:181]
	v_rcp_f64_e32 v[184:185], v[182:183]
	v_fma_f64 v[186:187], -v[182:183], v[184:185], 1.0
	v_fma_f64 v[184:185], v[184:185], v[186:187], v[184:185]
	v_fma_f64 v[186:187], -v[182:183], v[184:185], 1.0
	v_fma_f64 v[184:185], v[184:185], v[186:187], v[184:185]
	v_mul_f64 v[186:187], v[188:189], v[184:185]
	v_fma_f64 v[182:183], -v[182:183], v[186:187], v[188:189]
	v_div_fmas_f64 v[182:183], v[182:183], v[184:185], v[186:187]
	v_div_fixup_f64 v[184:185], v[182:183], v[178:179], v[180:181]
	v_fma_f64 v[178:179], v[180:181], v[184:185], v[178:179]
	v_div_scale_f64 v[180:181], null, v[178:179], v[178:179], 1.0
	v_rcp_f64_e32 v[182:183], v[180:181]
	v_fma_f64 v[186:187], -v[180:181], v[182:183], 1.0
	v_fma_f64 v[182:183], v[182:183], v[186:187], v[182:183]
	v_fma_f64 v[186:187], -v[180:181], v[182:183], 1.0
	v_fma_f64 v[182:183], v[182:183], v[186:187], v[182:183]
	v_div_scale_f64 v[186:187], vcc_lo, 1.0, v[178:179], 1.0
	v_mul_f64 v[188:189], v[186:187], v[182:183]
	v_fma_f64 v[180:181], -v[180:181], v[188:189], v[186:187]
	v_div_fmas_f64 v[180:181], v[180:181], v[182:183], v[188:189]
	v_div_fixup_f64 v[182:183], v[180:181], v[178:179], 1.0
	v_mul_f64 v[184:185], v[184:185], -v[182:183]
.LBB53_160:
	s_or_b32 exec_lo, exec_lo, s1
	ds_write2_b64 v1, v[182:183], v[184:185] offset1:1
.LBB53_161:
	s_or_b32 exec_lo, exec_lo, s2
	s_waitcnt lgkmcnt(0)
	s_barrier
	buffer_gl0_inv
	ds_read2_b64 v[178:181], v1 offset1:1
	s_mov_b32 s1, exec_lo
	v_cmpx_lt_u32_e32 17, v0
	s_cbranch_execz .LBB53_163
; %bb.162:
	s_waitcnt lgkmcnt(0)
	v_mul_f64 v[182:183], v[178:179], v[40:41]
	v_mul_f64 v[40:41], v[180:181], v[40:41]
	v_fma_f64 v[186:187], v[180:181], v[38:39], v[182:183]
	ds_read2_b64 v[182:185], v236 offset0:36 offset1:37
	v_fma_f64 v[38:39], v[178:179], v[38:39], -v[40:41]
	s_waitcnt lgkmcnt(0)
	v_mul_f64 v[40:41], v[184:185], v[186:187]
	v_fma_f64 v[40:41], v[182:183], v[38:39], -v[40:41]
	v_mul_f64 v[182:183], v[182:183], v[186:187]
	v_add_f64 v[34:35], v[34:35], -v[40:41]
	v_fma_f64 v[182:183], v[184:185], v[38:39], v[182:183]
	v_add_f64 v[36:37], v[36:37], -v[182:183]
	ds_read2_b64 v[182:185], v236 offset0:38 offset1:39
	s_waitcnt lgkmcnt(0)
	v_mul_f64 v[40:41], v[184:185], v[186:187]
	v_fma_f64 v[40:41], v[182:183], v[38:39], -v[40:41]
	v_mul_f64 v[182:183], v[182:183], v[186:187]
	v_add_f64 v[30:31], v[30:31], -v[40:41]
	v_fma_f64 v[182:183], v[184:185], v[38:39], v[182:183]
	v_add_f64 v[32:33], v[32:33], -v[182:183]
	ds_read2_b64 v[182:185], v236 offset0:40 offset1:41
	;; [unrolled: 8-line block ×8, first 2 shown]
	s_waitcnt lgkmcnt(0)
	v_mul_f64 v[40:41], v[184:185], v[186:187]
	v_fma_f64 v[40:41], v[182:183], v[38:39], -v[40:41]
	v_mul_f64 v[182:183], v[182:183], v[186:187]
	v_add_f64 v[2:3], v[2:3], -v[40:41]
	v_fma_f64 v[182:183], v[184:185], v[38:39], v[182:183]
	v_mov_b32_e32 v40, v186
	v_mov_b32_e32 v41, v187
	v_add_f64 v[4:5], v[4:5], -v[182:183]
.LBB53_163:
	s_or_b32 exec_lo, exec_lo, s1
	s_mov_b32 s2, exec_lo
	s_waitcnt lgkmcnt(0)
	s_barrier
	buffer_gl0_inv
	v_cmpx_eq_u32_e32 18, v0
	s_cbranch_execz .LBB53_170
; %bb.164:
	ds_write2_b64 v1, v[34:35], v[36:37] offset1:1
	ds_write2_b64 v236, v[30:31], v[32:33] offset0:38 offset1:39
	ds_write2_b64 v236, v[26:27], v[28:29] offset0:40 offset1:41
	;; [unrolled: 1-line block ×8, first 2 shown]
	ds_read2_b64 v[182:185], v1 offset1:1
	s_waitcnt lgkmcnt(0)
	v_cmp_neq_f64_e32 vcc_lo, 0, v[182:183]
	v_cmp_neq_f64_e64 s1, 0, v[184:185]
	s_or_b32 s1, vcc_lo, s1
	s_and_b32 exec_lo, exec_lo, s1
	s_cbranch_execz .LBB53_170
; %bb.165:
	v_cmp_ngt_f64_e64 s1, |v[182:183]|, |v[184:185]|
                                        ; implicit-def: $vgpr186_vgpr187
	s_and_saveexec_b32 s3, s1
	s_xor_b32 s1, exec_lo, s3
                                        ; implicit-def: $vgpr188_vgpr189
	s_cbranch_execz .LBB53_167
; %bb.166:
	v_div_scale_f64 v[186:187], null, v[184:185], v[184:185], v[182:183]
	v_div_scale_f64 v[192:193], vcc_lo, v[182:183], v[184:185], v[182:183]
	v_rcp_f64_e32 v[188:189], v[186:187]
	v_fma_f64 v[190:191], -v[186:187], v[188:189], 1.0
	v_fma_f64 v[188:189], v[188:189], v[190:191], v[188:189]
	v_fma_f64 v[190:191], -v[186:187], v[188:189], 1.0
	v_fma_f64 v[188:189], v[188:189], v[190:191], v[188:189]
	v_mul_f64 v[190:191], v[192:193], v[188:189]
	v_fma_f64 v[186:187], -v[186:187], v[190:191], v[192:193]
	v_div_fmas_f64 v[186:187], v[186:187], v[188:189], v[190:191]
	v_div_fixup_f64 v[186:187], v[186:187], v[184:185], v[182:183]
	v_fma_f64 v[182:183], v[182:183], v[186:187], v[184:185]
	v_div_scale_f64 v[184:185], null, v[182:183], v[182:183], 1.0
	v_rcp_f64_e32 v[188:189], v[184:185]
	v_fma_f64 v[190:191], -v[184:185], v[188:189], 1.0
	v_fma_f64 v[188:189], v[188:189], v[190:191], v[188:189]
	v_fma_f64 v[190:191], -v[184:185], v[188:189], 1.0
	v_fma_f64 v[188:189], v[188:189], v[190:191], v[188:189]
	v_div_scale_f64 v[190:191], vcc_lo, 1.0, v[182:183], 1.0
	v_mul_f64 v[192:193], v[190:191], v[188:189]
	v_fma_f64 v[184:185], -v[184:185], v[192:193], v[190:191]
	v_div_fmas_f64 v[184:185], v[184:185], v[188:189], v[192:193]
	v_div_fixup_f64 v[188:189], v[184:185], v[182:183], 1.0
                                        ; implicit-def: $vgpr182_vgpr183
	v_mul_f64 v[186:187], v[186:187], v[188:189]
	v_xor_b32_e32 v189, 0x80000000, v189
.LBB53_167:
	s_andn2_saveexec_b32 s1, s1
	s_cbranch_execz .LBB53_169
; %bb.168:
	v_div_scale_f64 v[186:187], null, v[182:183], v[182:183], v[184:185]
	v_div_scale_f64 v[192:193], vcc_lo, v[184:185], v[182:183], v[184:185]
	v_rcp_f64_e32 v[188:189], v[186:187]
	v_fma_f64 v[190:191], -v[186:187], v[188:189], 1.0
	v_fma_f64 v[188:189], v[188:189], v[190:191], v[188:189]
	v_fma_f64 v[190:191], -v[186:187], v[188:189], 1.0
	v_fma_f64 v[188:189], v[188:189], v[190:191], v[188:189]
	v_mul_f64 v[190:191], v[192:193], v[188:189]
	v_fma_f64 v[186:187], -v[186:187], v[190:191], v[192:193]
	v_div_fmas_f64 v[186:187], v[186:187], v[188:189], v[190:191]
	v_div_fixup_f64 v[188:189], v[186:187], v[182:183], v[184:185]
	v_fma_f64 v[182:183], v[184:185], v[188:189], v[182:183]
	v_div_scale_f64 v[184:185], null, v[182:183], v[182:183], 1.0
	v_rcp_f64_e32 v[186:187], v[184:185]
	v_fma_f64 v[190:191], -v[184:185], v[186:187], 1.0
	v_fma_f64 v[186:187], v[186:187], v[190:191], v[186:187]
	v_fma_f64 v[190:191], -v[184:185], v[186:187], 1.0
	v_fma_f64 v[186:187], v[186:187], v[190:191], v[186:187]
	v_div_scale_f64 v[190:191], vcc_lo, 1.0, v[182:183], 1.0
	v_mul_f64 v[192:193], v[190:191], v[186:187]
	v_fma_f64 v[184:185], -v[184:185], v[192:193], v[190:191]
	v_div_fmas_f64 v[184:185], v[184:185], v[186:187], v[192:193]
	v_div_fixup_f64 v[186:187], v[184:185], v[182:183], 1.0
	v_mul_f64 v[188:189], v[188:189], -v[186:187]
.LBB53_169:
	s_or_b32 exec_lo, exec_lo, s1
	ds_write2_b64 v1, v[186:187], v[188:189] offset1:1
.LBB53_170:
	s_or_b32 exec_lo, exec_lo, s2
	s_waitcnt lgkmcnt(0)
	s_barrier
	buffer_gl0_inv
	ds_read2_b64 v[182:185], v1 offset1:1
	s_mov_b32 s1, exec_lo
	v_cmpx_lt_u32_e32 18, v0
	s_cbranch_execz .LBB53_172
; %bb.171:
	s_waitcnt lgkmcnt(0)
	v_mul_f64 v[186:187], v[182:183], v[36:37]
	v_mul_f64 v[36:37], v[184:185], v[36:37]
	v_fma_f64 v[190:191], v[184:185], v[34:35], v[186:187]
	ds_read2_b64 v[186:189], v236 offset0:38 offset1:39
	v_fma_f64 v[34:35], v[182:183], v[34:35], -v[36:37]
	s_waitcnt lgkmcnt(0)
	v_mul_f64 v[36:37], v[188:189], v[190:191]
	v_fma_f64 v[36:37], v[186:187], v[34:35], -v[36:37]
	v_mul_f64 v[186:187], v[186:187], v[190:191]
	v_add_f64 v[30:31], v[30:31], -v[36:37]
	v_fma_f64 v[186:187], v[188:189], v[34:35], v[186:187]
	v_add_f64 v[32:33], v[32:33], -v[186:187]
	ds_read2_b64 v[186:189], v236 offset0:40 offset1:41
	s_waitcnt lgkmcnt(0)
	v_mul_f64 v[36:37], v[188:189], v[190:191]
	v_fma_f64 v[36:37], v[186:187], v[34:35], -v[36:37]
	v_mul_f64 v[186:187], v[186:187], v[190:191]
	v_add_f64 v[26:27], v[26:27], -v[36:37]
	v_fma_f64 v[186:187], v[188:189], v[34:35], v[186:187]
	v_add_f64 v[28:29], v[28:29], -v[186:187]
	ds_read2_b64 v[186:189], v236 offset0:42 offset1:43
	;; [unrolled: 8-line block ×7, first 2 shown]
	s_waitcnt lgkmcnt(0)
	v_mul_f64 v[36:37], v[188:189], v[190:191]
	v_fma_f64 v[36:37], v[186:187], v[34:35], -v[36:37]
	v_mul_f64 v[186:187], v[186:187], v[190:191]
	v_add_f64 v[2:3], v[2:3], -v[36:37]
	v_fma_f64 v[186:187], v[188:189], v[34:35], v[186:187]
	v_mov_b32_e32 v36, v190
	v_mov_b32_e32 v37, v191
	v_add_f64 v[4:5], v[4:5], -v[186:187]
.LBB53_172:
	s_or_b32 exec_lo, exec_lo, s1
	s_mov_b32 s2, exec_lo
	s_waitcnt lgkmcnt(0)
	s_barrier
	buffer_gl0_inv
	v_cmpx_eq_u32_e32 19, v0
	s_cbranch_execz .LBB53_179
; %bb.173:
	ds_write2_b64 v1, v[30:31], v[32:33] offset1:1
	ds_write2_b64 v236, v[26:27], v[28:29] offset0:40 offset1:41
	ds_write2_b64 v236, v[22:23], v[24:25] offset0:42 offset1:43
	;; [unrolled: 1-line block ×7, first 2 shown]
	ds_read2_b64 v[186:189], v1 offset1:1
	s_waitcnt lgkmcnt(0)
	v_cmp_neq_f64_e32 vcc_lo, 0, v[186:187]
	v_cmp_neq_f64_e64 s1, 0, v[188:189]
	s_or_b32 s1, vcc_lo, s1
	s_and_b32 exec_lo, exec_lo, s1
	s_cbranch_execz .LBB53_179
; %bb.174:
	v_cmp_ngt_f64_e64 s1, |v[186:187]|, |v[188:189]|
                                        ; implicit-def: $vgpr190_vgpr191
	s_and_saveexec_b32 s3, s1
	s_xor_b32 s1, exec_lo, s3
                                        ; implicit-def: $vgpr192_vgpr193
	s_cbranch_execz .LBB53_176
; %bb.175:
	v_div_scale_f64 v[190:191], null, v[188:189], v[188:189], v[186:187]
	v_div_scale_f64 v[196:197], vcc_lo, v[186:187], v[188:189], v[186:187]
	v_rcp_f64_e32 v[192:193], v[190:191]
	v_fma_f64 v[194:195], -v[190:191], v[192:193], 1.0
	v_fma_f64 v[192:193], v[192:193], v[194:195], v[192:193]
	v_fma_f64 v[194:195], -v[190:191], v[192:193], 1.0
	v_fma_f64 v[192:193], v[192:193], v[194:195], v[192:193]
	v_mul_f64 v[194:195], v[196:197], v[192:193]
	v_fma_f64 v[190:191], -v[190:191], v[194:195], v[196:197]
	v_div_fmas_f64 v[190:191], v[190:191], v[192:193], v[194:195]
	v_div_fixup_f64 v[190:191], v[190:191], v[188:189], v[186:187]
	v_fma_f64 v[186:187], v[186:187], v[190:191], v[188:189]
	v_div_scale_f64 v[188:189], null, v[186:187], v[186:187], 1.0
	v_rcp_f64_e32 v[192:193], v[188:189]
	v_fma_f64 v[194:195], -v[188:189], v[192:193], 1.0
	v_fma_f64 v[192:193], v[192:193], v[194:195], v[192:193]
	v_fma_f64 v[194:195], -v[188:189], v[192:193], 1.0
	v_fma_f64 v[192:193], v[192:193], v[194:195], v[192:193]
	v_div_scale_f64 v[194:195], vcc_lo, 1.0, v[186:187], 1.0
	v_mul_f64 v[196:197], v[194:195], v[192:193]
	v_fma_f64 v[188:189], -v[188:189], v[196:197], v[194:195]
	v_div_fmas_f64 v[188:189], v[188:189], v[192:193], v[196:197]
	v_div_fixup_f64 v[192:193], v[188:189], v[186:187], 1.0
                                        ; implicit-def: $vgpr186_vgpr187
	v_mul_f64 v[190:191], v[190:191], v[192:193]
	v_xor_b32_e32 v193, 0x80000000, v193
.LBB53_176:
	s_andn2_saveexec_b32 s1, s1
	s_cbranch_execz .LBB53_178
; %bb.177:
	v_div_scale_f64 v[190:191], null, v[186:187], v[186:187], v[188:189]
	v_div_scale_f64 v[196:197], vcc_lo, v[188:189], v[186:187], v[188:189]
	v_rcp_f64_e32 v[192:193], v[190:191]
	v_fma_f64 v[194:195], -v[190:191], v[192:193], 1.0
	v_fma_f64 v[192:193], v[192:193], v[194:195], v[192:193]
	v_fma_f64 v[194:195], -v[190:191], v[192:193], 1.0
	v_fma_f64 v[192:193], v[192:193], v[194:195], v[192:193]
	v_mul_f64 v[194:195], v[196:197], v[192:193]
	v_fma_f64 v[190:191], -v[190:191], v[194:195], v[196:197]
	v_div_fmas_f64 v[190:191], v[190:191], v[192:193], v[194:195]
	v_div_fixup_f64 v[192:193], v[190:191], v[186:187], v[188:189]
	v_fma_f64 v[186:187], v[188:189], v[192:193], v[186:187]
	v_div_scale_f64 v[188:189], null, v[186:187], v[186:187], 1.0
	v_rcp_f64_e32 v[190:191], v[188:189]
	v_fma_f64 v[194:195], -v[188:189], v[190:191], 1.0
	v_fma_f64 v[190:191], v[190:191], v[194:195], v[190:191]
	v_fma_f64 v[194:195], -v[188:189], v[190:191], 1.0
	v_fma_f64 v[190:191], v[190:191], v[194:195], v[190:191]
	v_div_scale_f64 v[194:195], vcc_lo, 1.0, v[186:187], 1.0
	v_mul_f64 v[196:197], v[194:195], v[190:191]
	v_fma_f64 v[188:189], -v[188:189], v[196:197], v[194:195]
	v_div_fmas_f64 v[188:189], v[188:189], v[190:191], v[196:197]
	v_div_fixup_f64 v[190:191], v[188:189], v[186:187], 1.0
	v_mul_f64 v[192:193], v[192:193], -v[190:191]
.LBB53_178:
	s_or_b32 exec_lo, exec_lo, s1
	ds_write2_b64 v1, v[190:191], v[192:193] offset1:1
.LBB53_179:
	s_or_b32 exec_lo, exec_lo, s2
	s_waitcnt lgkmcnt(0)
	s_barrier
	buffer_gl0_inv
	ds_read2_b64 v[186:189], v1 offset1:1
	s_mov_b32 s1, exec_lo
	v_cmpx_lt_u32_e32 19, v0
	s_cbranch_execz .LBB53_181
; %bb.180:
	s_waitcnt lgkmcnt(0)
	v_mul_f64 v[190:191], v[186:187], v[32:33]
	v_mul_f64 v[32:33], v[188:189], v[32:33]
	v_fma_f64 v[194:195], v[188:189], v[30:31], v[190:191]
	ds_read2_b64 v[190:193], v236 offset0:40 offset1:41
	v_fma_f64 v[30:31], v[186:187], v[30:31], -v[32:33]
	s_waitcnt lgkmcnt(0)
	v_mul_f64 v[32:33], v[192:193], v[194:195]
	v_fma_f64 v[32:33], v[190:191], v[30:31], -v[32:33]
	v_mul_f64 v[190:191], v[190:191], v[194:195]
	v_add_f64 v[26:27], v[26:27], -v[32:33]
	v_fma_f64 v[190:191], v[192:193], v[30:31], v[190:191]
	v_add_f64 v[28:29], v[28:29], -v[190:191]
	ds_read2_b64 v[190:193], v236 offset0:42 offset1:43
	s_waitcnt lgkmcnt(0)
	v_mul_f64 v[32:33], v[192:193], v[194:195]
	v_fma_f64 v[32:33], v[190:191], v[30:31], -v[32:33]
	v_mul_f64 v[190:191], v[190:191], v[194:195]
	v_add_f64 v[22:23], v[22:23], -v[32:33]
	v_fma_f64 v[190:191], v[192:193], v[30:31], v[190:191]
	v_add_f64 v[24:25], v[24:25], -v[190:191]
	ds_read2_b64 v[190:193], v236 offset0:44 offset1:45
	;; [unrolled: 8-line block ×6, first 2 shown]
	s_waitcnt lgkmcnt(0)
	v_mul_f64 v[32:33], v[192:193], v[194:195]
	v_fma_f64 v[32:33], v[190:191], v[30:31], -v[32:33]
	v_mul_f64 v[190:191], v[190:191], v[194:195]
	v_add_f64 v[2:3], v[2:3], -v[32:33]
	v_fma_f64 v[190:191], v[192:193], v[30:31], v[190:191]
	v_mov_b32_e32 v32, v194
	v_mov_b32_e32 v33, v195
	v_add_f64 v[4:5], v[4:5], -v[190:191]
.LBB53_181:
	s_or_b32 exec_lo, exec_lo, s1
	s_mov_b32 s2, exec_lo
	s_waitcnt lgkmcnt(0)
	s_barrier
	buffer_gl0_inv
	v_cmpx_eq_u32_e32 20, v0
	s_cbranch_execz .LBB53_188
; %bb.182:
	ds_write2_b64 v1, v[26:27], v[28:29] offset1:1
	ds_write2_b64 v236, v[22:23], v[24:25] offset0:42 offset1:43
	ds_write2_b64 v236, v[18:19], v[20:21] offset0:44 offset1:45
	;; [unrolled: 1-line block ×6, first 2 shown]
	ds_read2_b64 v[190:193], v1 offset1:1
	s_waitcnt lgkmcnt(0)
	v_cmp_neq_f64_e32 vcc_lo, 0, v[190:191]
	v_cmp_neq_f64_e64 s1, 0, v[192:193]
	s_or_b32 s1, vcc_lo, s1
	s_and_b32 exec_lo, exec_lo, s1
	s_cbranch_execz .LBB53_188
; %bb.183:
	v_cmp_ngt_f64_e64 s1, |v[190:191]|, |v[192:193]|
                                        ; implicit-def: $vgpr194_vgpr195
	s_and_saveexec_b32 s3, s1
	s_xor_b32 s1, exec_lo, s3
                                        ; implicit-def: $vgpr196_vgpr197
	s_cbranch_execz .LBB53_185
; %bb.184:
	v_div_scale_f64 v[194:195], null, v[192:193], v[192:193], v[190:191]
	v_div_scale_f64 v[200:201], vcc_lo, v[190:191], v[192:193], v[190:191]
	v_rcp_f64_e32 v[196:197], v[194:195]
	v_fma_f64 v[198:199], -v[194:195], v[196:197], 1.0
	v_fma_f64 v[196:197], v[196:197], v[198:199], v[196:197]
	v_fma_f64 v[198:199], -v[194:195], v[196:197], 1.0
	v_fma_f64 v[196:197], v[196:197], v[198:199], v[196:197]
	v_mul_f64 v[198:199], v[200:201], v[196:197]
	v_fma_f64 v[194:195], -v[194:195], v[198:199], v[200:201]
	v_div_fmas_f64 v[194:195], v[194:195], v[196:197], v[198:199]
	v_div_fixup_f64 v[194:195], v[194:195], v[192:193], v[190:191]
	v_fma_f64 v[190:191], v[190:191], v[194:195], v[192:193]
	v_div_scale_f64 v[192:193], null, v[190:191], v[190:191], 1.0
	v_rcp_f64_e32 v[196:197], v[192:193]
	v_fma_f64 v[198:199], -v[192:193], v[196:197], 1.0
	v_fma_f64 v[196:197], v[196:197], v[198:199], v[196:197]
	v_fma_f64 v[198:199], -v[192:193], v[196:197], 1.0
	v_fma_f64 v[196:197], v[196:197], v[198:199], v[196:197]
	v_div_scale_f64 v[198:199], vcc_lo, 1.0, v[190:191], 1.0
	v_mul_f64 v[200:201], v[198:199], v[196:197]
	v_fma_f64 v[192:193], -v[192:193], v[200:201], v[198:199]
	v_div_fmas_f64 v[192:193], v[192:193], v[196:197], v[200:201]
	v_div_fixup_f64 v[196:197], v[192:193], v[190:191], 1.0
                                        ; implicit-def: $vgpr190_vgpr191
	v_mul_f64 v[194:195], v[194:195], v[196:197]
	v_xor_b32_e32 v197, 0x80000000, v197
.LBB53_185:
	s_andn2_saveexec_b32 s1, s1
	s_cbranch_execz .LBB53_187
; %bb.186:
	v_div_scale_f64 v[194:195], null, v[190:191], v[190:191], v[192:193]
	v_div_scale_f64 v[200:201], vcc_lo, v[192:193], v[190:191], v[192:193]
	v_rcp_f64_e32 v[196:197], v[194:195]
	v_fma_f64 v[198:199], -v[194:195], v[196:197], 1.0
	v_fma_f64 v[196:197], v[196:197], v[198:199], v[196:197]
	v_fma_f64 v[198:199], -v[194:195], v[196:197], 1.0
	v_fma_f64 v[196:197], v[196:197], v[198:199], v[196:197]
	v_mul_f64 v[198:199], v[200:201], v[196:197]
	v_fma_f64 v[194:195], -v[194:195], v[198:199], v[200:201]
	v_div_fmas_f64 v[194:195], v[194:195], v[196:197], v[198:199]
	v_div_fixup_f64 v[196:197], v[194:195], v[190:191], v[192:193]
	v_fma_f64 v[190:191], v[192:193], v[196:197], v[190:191]
	v_div_scale_f64 v[192:193], null, v[190:191], v[190:191], 1.0
	v_rcp_f64_e32 v[194:195], v[192:193]
	v_fma_f64 v[198:199], -v[192:193], v[194:195], 1.0
	v_fma_f64 v[194:195], v[194:195], v[198:199], v[194:195]
	v_fma_f64 v[198:199], -v[192:193], v[194:195], 1.0
	v_fma_f64 v[194:195], v[194:195], v[198:199], v[194:195]
	v_div_scale_f64 v[198:199], vcc_lo, 1.0, v[190:191], 1.0
	v_mul_f64 v[200:201], v[198:199], v[194:195]
	v_fma_f64 v[192:193], -v[192:193], v[200:201], v[198:199]
	v_div_fmas_f64 v[192:193], v[192:193], v[194:195], v[200:201]
	v_div_fixup_f64 v[194:195], v[192:193], v[190:191], 1.0
	v_mul_f64 v[196:197], v[196:197], -v[194:195]
.LBB53_187:
	s_or_b32 exec_lo, exec_lo, s1
	ds_write2_b64 v1, v[194:195], v[196:197] offset1:1
.LBB53_188:
	s_or_b32 exec_lo, exec_lo, s2
	s_waitcnt lgkmcnt(0)
	s_barrier
	buffer_gl0_inv
	ds_read2_b64 v[190:193], v1 offset1:1
	s_mov_b32 s1, exec_lo
	v_cmpx_lt_u32_e32 20, v0
	s_cbranch_execz .LBB53_190
; %bb.189:
	s_waitcnt lgkmcnt(0)
	v_mul_f64 v[194:195], v[190:191], v[28:29]
	v_mul_f64 v[28:29], v[192:193], v[28:29]
	v_fma_f64 v[198:199], v[192:193], v[26:27], v[194:195]
	ds_read2_b64 v[194:197], v236 offset0:42 offset1:43
	v_fma_f64 v[26:27], v[190:191], v[26:27], -v[28:29]
	s_waitcnt lgkmcnt(0)
	v_mul_f64 v[28:29], v[196:197], v[198:199]
	v_fma_f64 v[28:29], v[194:195], v[26:27], -v[28:29]
	v_mul_f64 v[194:195], v[194:195], v[198:199]
	v_add_f64 v[22:23], v[22:23], -v[28:29]
	v_fma_f64 v[194:195], v[196:197], v[26:27], v[194:195]
	v_add_f64 v[24:25], v[24:25], -v[194:195]
	ds_read2_b64 v[194:197], v236 offset0:44 offset1:45
	s_waitcnt lgkmcnt(0)
	v_mul_f64 v[28:29], v[196:197], v[198:199]
	v_fma_f64 v[28:29], v[194:195], v[26:27], -v[28:29]
	v_mul_f64 v[194:195], v[194:195], v[198:199]
	v_add_f64 v[18:19], v[18:19], -v[28:29]
	v_fma_f64 v[194:195], v[196:197], v[26:27], v[194:195]
	v_add_f64 v[20:21], v[20:21], -v[194:195]
	ds_read2_b64 v[194:197], v236 offset0:46 offset1:47
	s_waitcnt lgkmcnt(0)
	v_mul_f64 v[28:29], v[196:197], v[198:199]
	v_fma_f64 v[28:29], v[194:195], v[26:27], -v[28:29]
	v_mul_f64 v[194:195], v[194:195], v[198:199]
	v_add_f64 v[14:15], v[14:15], -v[28:29]
	v_fma_f64 v[194:195], v[196:197], v[26:27], v[194:195]
	v_add_f64 v[16:17], v[16:17], -v[194:195]
	ds_read2_b64 v[194:197], v236 offset0:48 offset1:49
	s_waitcnt lgkmcnt(0)
	v_mul_f64 v[28:29], v[196:197], v[198:199]
	v_fma_f64 v[28:29], v[194:195], v[26:27], -v[28:29]
	v_mul_f64 v[194:195], v[194:195], v[198:199]
	v_add_f64 v[10:11], v[10:11], -v[28:29]
	v_fma_f64 v[194:195], v[196:197], v[26:27], v[194:195]
	v_add_f64 v[12:13], v[12:13], -v[194:195]
	ds_read2_b64 v[194:197], v236 offset0:50 offset1:51
	s_waitcnt lgkmcnt(0)
	v_mul_f64 v[28:29], v[196:197], v[198:199]
	v_fma_f64 v[28:29], v[194:195], v[26:27], -v[28:29]
	v_mul_f64 v[194:195], v[194:195], v[198:199]
	v_add_f64 v[6:7], v[6:7], -v[28:29]
	v_fma_f64 v[194:195], v[196:197], v[26:27], v[194:195]
	v_add_f64 v[8:9], v[8:9], -v[194:195]
	ds_read2_b64 v[194:197], v236 offset0:52 offset1:53
	s_waitcnt lgkmcnt(0)
	v_mul_f64 v[28:29], v[196:197], v[198:199]
	v_fma_f64 v[28:29], v[194:195], v[26:27], -v[28:29]
	v_mul_f64 v[194:195], v[194:195], v[198:199]
	v_add_f64 v[2:3], v[2:3], -v[28:29]
	v_fma_f64 v[194:195], v[196:197], v[26:27], v[194:195]
	v_mov_b32_e32 v28, v198
	v_mov_b32_e32 v29, v199
	v_add_f64 v[4:5], v[4:5], -v[194:195]
.LBB53_190:
	s_or_b32 exec_lo, exec_lo, s1
	s_mov_b32 s2, exec_lo
	s_waitcnt lgkmcnt(0)
	s_barrier
	buffer_gl0_inv
	v_cmpx_eq_u32_e32 21, v0
	s_cbranch_execz .LBB53_197
; %bb.191:
	ds_write2_b64 v1, v[22:23], v[24:25] offset1:1
	ds_write2_b64 v236, v[18:19], v[20:21] offset0:44 offset1:45
	ds_write2_b64 v236, v[14:15], v[16:17] offset0:46 offset1:47
	;; [unrolled: 1-line block ×5, first 2 shown]
	ds_read2_b64 v[194:197], v1 offset1:1
	s_waitcnt lgkmcnt(0)
	v_cmp_neq_f64_e32 vcc_lo, 0, v[194:195]
	v_cmp_neq_f64_e64 s1, 0, v[196:197]
	s_or_b32 s1, vcc_lo, s1
	s_and_b32 exec_lo, exec_lo, s1
	s_cbranch_execz .LBB53_197
; %bb.192:
	v_cmp_ngt_f64_e64 s1, |v[194:195]|, |v[196:197]|
                                        ; implicit-def: $vgpr198_vgpr199
	s_and_saveexec_b32 s3, s1
	s_xor_b32 s1, exec_lo, s3
                                        ; implicit-def: $vgpr200_vgpr201
	s_cbranch_execz .LBB53_194
; %bb.193:
	v_div_scale_f64 v[198:199], null, v[196:197], v[196:197], v[194:195]
	v_div_scale_f64 v[204:205], vcc_lo, v[194:195], v[196:197], v[194:195]
	v_rcp_f64_e32 v[200:201], v[198:199]
	v_fma_f64 v[202:203], -v[198:199], v[200:201], 1.0
	v_fma_f64 v[200:201], v[200:201], v[202:203], v[200:201]
	v_fma_f64 v[202:203], -v[198:199], v[200:201], 1.0
	v_fma_f64 v[200:201], v[200:201], v[202:203], v[200:201]
	v_mul_f64 v[202:203], v[204:205], v[200:201]
	v_fma_f64 v[198:199], -v[198:199], v[202:203], v[204:205]
	v_div_fmas_f64 v[198:199], v[198:199], v[200:201], v[202:203]
	v_div_fixup_f64 v[198:199], v[198:199], v[196:197], v[194:195]
	v_fma_f64 v[194:195], v[194:195], v[198:199], v[196:197]
	v_div_scale_f64 v[196:197], null, v[194:195], v[194:195], 1.0
	v_rcp_f64_e32 v[200:201], v[196:197]
	v_fma_f64 v[202:203], -v[196:197], v[200:201], 1.0
	v_fma_f64 v[200:201], v[200:201], v[202:203], v[200:201]
	v_fma_f64 v[202:203], -v[196:197], v[200:201], 1.0
	v_fma_f64 v[200:201], v[200:201], v[202:203], v[200:201]
	v_div_scale_f64 v[202:203], vcc_lo, 1.0, v[194:195], 1.0
	v_mul_f64 v[204:205], v[202:203], v[200:201]
	v_fma_f64 v[196:197], -v[196:197], v[204:205], v[202:203]
	v_div_fmas_f64 v[196:197], v[196:197], v[200:201], v[204:205]
	v_div_fixup_f64 v[200:201], v[196:197], v[194:195], 1.0
                                        ; implicit-def: $vgpr194_vgpr195
	v_mul_f64 v[198:199], v[198:199], v[200:201]
	v_xor_b32_e32 v201, 0x80000000, v201
.LBB53_194:
	s_andn2_saveexec_b32 s1, s1
	s_cbranch_execz .LBB53_196
; %bb.195:
	v_div_scale_f64 v[198:199], null, v[194:195], v[194:195], v[196:197]
	v_div_scale_f64 v[204:205], vcc_lo, v[196:197], v[194:195], v[196:197]
	v_rcp_f64_e32 v[200:201], v[198:199]
	v_fma_f64 v[202:203], -v[198:199], v[200:201], 1.0
	v_fma_f64 v[200:201], v[200:201], v[202:203], v[200:201]
	v_fma_f64 v[202:203], -v[198:199], v[200:201], 1.0
	v_fma_f64 v[200:201], v[200:201], v[202:203], v[200:201]
	v_mul_f64 v[202:203], v[204:205], v[200:201]
	v_fma_f64 v[198:199], -v[198:199], v[202:203], v[204:205]
	v_div_fmas_f64 v[198:199], v[198:199], v[200:201], v[202:203]
	v_div_fixup_f64 v[200:201], v[198:199], v[194:195], v[196:197]
	v_fma_f64 v[194:195], v[196:197], v[200:201], v[194:195]
	v_div_scale_f64 v[196:197], null, v[194:195], v[194:195], 1.0
	v_rcp_f64_e32 v[198:199], v[196:197]
	v_fma_f64 v[202:203], -v[196:197], v[198:199], 1.0
	v_fma_f64 v[198:199], v[198:199], v[202:203], v[198:199]
	v_fma_f64 v[202:203], -v[196:197], v[198:199], 1.0
	v_fma_f64 v[198:199], v[198:199], v[202:203], v[198:199]
	v_div_scale_f64 v[202:203], vcc_lo, 1.0, v[194:195], 1.0
	v_mul_f64 v[204:205], v[202:203], v[198:199]
	v_fma_f64 v[196:197], -v[196:197], v[204:205], v[202:203]
	v_div_fmas_f64 v[196:197], v[196:197], v[198:199], v[204:205]
	v_div_fixup_f64 v[198:199], v[196:197], v[194:195], 1.0
	v_mul_f64 v[200:201], v[200:201], -v[198:199]
.LBB53_196:
	s_or_b32 exec_lo, exec_lo, s1
	ds_write2_b64 v1, v[198:199], v[200:201] offset1:1
.LBB53_197:
	s_or_b32 exec_lo, exec_lo, s2
	s_waitcnt lgkmcnt(0)
	s_barrier
	buffer_gl0_inv
	ds_read2_b64 v[194:197], v1 offset1:1
	s_mov_b32 s1, exec_lo
	v_cmpx_lt_u32_e32 21, v0
	s_cbranch_execz .LBB53_199
; %bb.198:
	s_waitcnt lgkmcnt(0)
	v_mul_f64 v[198:199], v[194:195], v[24:25]
	v_mul_f64 v[24:25], v[196:197], v[24:25]
	v_fma_f64 v[202:203], v[196:197], v[22:23], v[198:199]
	ds_read2_b64 v[198:201], v236 offset0:44 offset1:45
	v_fma_f64 v[22:23], v[194:195], v[22:23], -v[24:25]
	s_waitcnt lgkmcnt(0)
	v_mul_f64 v[24:25], v[200:201], v[202:203]
	v_fma_f64 v[24:25], v[198:199], v[22:23], -v[24:25]
	v_mul_f64 v[198:199], v[198:199], v[202:203]
	v_add_f64 v[18:19], v[18:19], -v[24:25]
	v_fma_f64 v[198:199], v[200:201], v[22:23], v[198:199]
	v_add_f64 v[20:21], v[20:21], -v[198:199]
	ds_read2_b64 v[198:201], v236 offset0:46 offset1:47
	s_waitcnt lgkmcnt(0)
	v_mul_f64 v[24:25], v[200:201], v[202:203]
	v_fma_f64 v[24:25], v[198:199], v[22:23], -v[24:25]
	v_mul_f64 v[198:199], v[198:199], v[202:203]
	v_add_f64 v[14:15], v[14:15], -v[24:25]
	v_fma_f64 v[198:199], v[200:201], v[22:23], v[198:199]
	v_add_f64 v[16:17], v[16:17], -v[198:199]
	ds_read2_b64 v[198:201], v236 offset0:48 offset1:49
	;; [unrolled: 8-line block ×4, first 2 shown]
	s_waitcnt lgkmcnt(0)
	v_mul_f64 v[24:25], v[200:201], v[202:203]
	v_fma_f64 v[24:25], v[198:199], v[22:23], -v[24:25]
	v_mul_f64 v[198:199], v[198:199], v[202:203]
	v_add_f64 v[2:3], v[2:3], -v[24:25]
	v_fma_f64 v[198:199], v[200:201], v[22:23], v[198:199]
	v_mov_b32_e32 v24, v202
	v_mov_b32_e32 v25, v203
	v_add_f64 v[4:5], v[4:5], -v[198:199]
.LBB53_199:
	s_or_b32 exec_lo, exec_lo, s1
	s_mov_b32 s2, exec_lo
	s_waitcnt lgkmcnt(0)
	s_barrier
	buffer_gl0_inv
	v_cmpx_eq_u32_e32 22, v0
	s_cbranch_execz .LBB53_206
; %bb.200:
	ds_write2_b64 v1, v[18:19], v[20:21] offset1:1
	ds_write2_b64 v236, v[14:15], v[16:17] offset0:46 offset1:47
	ds_write2_b64 v236, v[10:11], v[12:13] offset0:48 offset1:49
	;; [unrolled: 1-line block ×4, first 2 shown]
	ds_read2_b64 v[198:201], v1 offset1:1
	s_waitcnt lgkmcnt(0)
	v_cmp_neq_f64_e32 vcc_lo, 0, v[198:199]
	v_cmp_neq_f64_e64 s1, 0, v[200:201]
	s_or_b32 s1, vcc_lo, s1
	s_and_b32 exec_lo, exec_lo, s1
	s_cbranch_execz .LBB53_206
; %bb.201:
	v_cmp_ngt_f64_e64 s1, |v[198:199]|, |v[200:201]|
                                        ; implicit-def: $vgpr202_vgpr203
	s_and_saveexec_b32 s3, s1
	s_xor_b32 s1, exec_lo, s3
                                        ; implicit-def: $vgpr204_vgpr205
	s_cbranch_execz .LBB53_203
; %bb.202:
	v_div_scale_f64 v[202:203], null, v[200:201], v[200:201], v[198:199]
	v_div_scale_f64 v[208:209], vcc_lo, v[198:199], v[200:201], v[198:199]
	v_rcp_f64_e32 v[204:205], v[202:203]
	v_fma_f64 v[206:207], -v[202:203], v[204:205], 1.0
	v_fma_f64 v[204:205], v[204:205], v[206:207], v[204:205]
	v_fma_f64 v[206:207], -v[202:203], v[204:205], 1.0
	v_fma_f64 v[204:205], v[204:205], v[206:207], v[204:205]
	v_mul_f64 v[206:207], v[208:209], v[204:205]
	v_fma_f64 v[202:203], -v[202:203], v[206:207], v[208:209]
	v_div_fmas_f64 v[202:203], v[202:203], v[204:205], v[206:207]
	v_div_fixup_f64 v[202:203], v[202:203], v[200:201], v[198:199]
	v_fma_f64 v[198:199], v[198:199], v[202:203], v[200:201]
	v_div_scale_f64 v[200:201], null, v[198:199], v[198:199], 1.0
	v_rcp_f64_e32 v[204:205], v[200:201]
	v_fma_f64 v[206:207], -v[200:201], v[204:205], 1.0
	v_fma_f64 v[204:205], v[204:205], v[206:207], v[204:205]
	v_fma_f64 v[206:207], -v[200:201], v[204:205], 1.0
	v_fma_f64 v[204:205], v[204:205], v[206:207], v[204:205]
	v_div_scale_f64 v[206:207], vcc_lo, 1.0, v[198:199], 1.0
	v_mul_f64 v[208:209], v[206:207], v[204:205]
	v_fma_f64 v[200:201], -v[200:201], v[208:209], v[206:207]
	v_div_fmas_f64 v[200:201], v[200:201], v[204:205], v[208:209]
	v_div_fixup_f64 v[204:205], v[200:201], v[198:199], 1.0
                                        ; implicit-def: $vgpr198_vgpr199
	v_mul_f64 v[202:203], v[202:203], v[204:205]
	v_xor_b32_e32 v205, 0x80000000, v205
.LBB53_203:
	s_andn2_saveexec_b32 s1, s1
	s_cbranch_execz .LBB53_205
; %bb.204:
	v_div_scale_f64 v[202:203], null, v[198:199], v[198:199], v[200:201]
	v_div_scale_f64 v[208:209], vcc_lo, v[200:201], v[198:199], v[200:201]
	v_rcp_f64_e32 v[204:205], v[202:203]
	v_fma_f64 v[206:207], -v[202:203], v[204:205], 1.0
	v_fma_f64 v[204:205], v[204:205], v[206:207], v[204:205]
	v_fma_f64 v[206:207], -v[202:203], v[204:205], 1.0
	v_fma_f64 v[204:205], v[204:205], v[206:207], v[204:205]
	v_mul_f64 v[206:207], v[208:209], v[204:205]
	v_fma_f64 v[202:203], -v[202:203], v[206:207], v[208:209]
	v_div_fmas_f64 v[202:203], v[202:203], v[204:205], v[206:207]
	v_div_fixup_f64 v[204:205], v[202:203], v[198:199], v[200:201]
	v_fma_f64 v[198:199], v[200:201], v[204:205], v[198:199]
	v_div_scale_f64 v[200:201], null, v[198:199], v[198:199], 1.0
	v_rcp_f64_e32 v[202:203], v[200:201]
	v_fma_f64 v[206:207], -v[200:201], v[202:203], 1.0
	v_fma_f64 v[202:203], v[202:203], v[206:207], v[202:203]
	v_fma_f64 v[206:207], -v[200:201], v[202:203], 1.0
	v_fma_f64 v[202:203], v[202:203], v[206:207], v[202:203]
	v_div_scale_f64 v[206:207], vcc_lo, 1.0, v[198:199], 1.0
	v_mul_f64 v[208:209], v[206:207], v[202:203]
	v_fma_f64 v[200:201], -v[200:201], v[208:209], v[206:207]
	v_div_fmas_f64 v[200:201], v[200:201], v[202:203], v[208:209]
	v_div_fixup_f64 v[202:203], v[200:201], v[198:199], 1.0
	v_mul_f64 v[204:205], v[204:205], -v[202:203]
.LBB53_205:
	s_or_b32 exec_lo, exec_lo, s1
	ds_write2_b64 v1, v[202:203], v[204:205] offset1:1
.LBB53_206:
	s_or_b32 exec_lo, exec_lo, s2
	s_waitcnt lgkmcnt(0)
	s_barrier
	buffer_gl0_inv
	ds_read2_b64 v[198:201], v1 offset1:1
	s_mov_b32 s1, exec_lo
	v_cmpx_lt_u32_e32 22, v0
	s_cbranch_execz .LBB53_208
; %bb.207:
	s_waitcnt lgkmcnt(0)
	v_mul_f64 v[202:203], v[198:199], v[20:21]
	v_mul_f64 v[20:21], v[200:201], v[20:21]
	v_fma_f64 v[206:207], v[200:201], v[18:19], v[202:203]
	ds_read2_b64 v[202:205], v236 offset0:46 offset1:47
	v_fma_f64 v[18:19], v[198:199], v[18:19], -v[20:21]
	s_waitcnt lgkmcnt(0)
	v_mul_f64 v[20:21], v[204:205], v[206:207]
	v_fma_f64 v[20:21], v[202:203], v[18:19], -v[20:21]
	v_mul_f64 v[202:203], v[202:203], v[206:207]
	v_add_f64 v[14:15], v[14:15], -v[20:21]
	v_fma_f64 v[202:203], v[204:205], v[18:19], v[202:203]
	v_add_f64 v[16:17], v[16:17], -v[202:203]
	ds_read2_b64 v[202:205], v236 offset0:48 offset1:49
	s_waitcnt lgkmcnt(0)
	v_mul_f64 v[20:21], v[204:205], v[206:207]
	v_fma_f64 v[20:21], v[202:203], v[18:19], -v[20:21]
	v_mul_f64 v[202:203], v[202:203], v[206:207]
	v_add_f64 v[10:11], v[10:11], -v[20:21]
	v_fma_f64 v[202:203], v[204:205], v[18:19], v[202:203]
	v_add_f64 v[12:13], v[12:13], -v[202:203]
	ds_read2_b64 v[202:205], v236 offset0:50 offset1:51
	;; [unrolled: 8-line block ×3, first 2 shown]
	s_waitcnt lgkmcnt(0)
	v_mul_f64 v[20:21], v[204:205], v[206:207]
	v_fma_f64 v[20:21], v[202:203], v[18:19], -v[20:21]
	v_mul_f64 v[202:203], v[202:203], v[206:207]
	v_add_f64 v[2:3], v[2:3], -v[20:21]
	v_fma_f64 v[202:203], v[204:205], v[18:19], v[202:203]
	v_mov_b32_e32 v20, v206
	v_mov_b32_e32 v21, v207
	v_add_f64 v[4:5], v[4:5], -v[202:203]
.LBB53_208:
	s_or_b32 exec_lo, exec_lo, s1
	s_mov_b32 s2, exec_lo
	s_waitcnt lgkmcnt(0)
	s_barrier
	buffer_gl0_inv
	v_cmpx_eq_u32_e32 23, v0
	s_cbranch_execz .LBB53_215
; %bb.209:
	ds_write2_b64 v1, v[14:15], v[16:17] offset1:1
	ds_write2_b64 v236, v[10:11], v[12:13] offset0:48 offset1:49
	ds_write2_b64 v236, v[6:7], v[8:9] offset0:50 offset1:51
	;; [unrolled: 1-line block ×3, first 2 shown]
	ds_read2_b64 v[202:205], v1 offset1:1
	s_waitcnt lgkmcnt(0)
	v_cmp_neq_f64_e32 vcc_lo, 0, v[202:203]
	v_cmp_neq_f64_e64 s1, 0, v[204:205]
	s_or_b32 s1, vcc_lo, s1
	s_and_b32 exec_lo, exec_lo, s1
	s_cbranch_execz .LBB53_215
; %bb.210:
	v_cmp_ngt_f64_e64 s1, |v[202:203]|, |v[204:205]|
                                        ; implicit-def: $vgpr206_vgpr207
	s_and_saveexec_b32 s3, s1
	s_xor_b32 s1, exec_lo, s3
                                        ; implicit-def: $vgpr208_vgpr209
	s_cbranch_execz .LBB53_212
; %bb.211:
	v_div_scale_f64 v[206:207], null, v[204:205], v[204:205], v[202:203]
	v_div_scale_f64 v[212:213], vcc_lo, v[202:203], v[204:205], v[202:203]
	v_rcp_f64_e32 v[208:209], v[206:207]
	v_fma_f64 v[210:211], -v[206:207], v[208:209], 1.0
	v_fma_f64 v[208:209], v[208:209], v[210:211], v[208:209]
	v_fma_f64 v[210:211], -v[206:207], v[208:209], 1.0
	v_fma_f64 v[208:209], v[208:209], v[210:211], v[208:209]
	v_mul_f64 v[210:211], v[212:213], v[208:209]
	v_fma_f64 v[206:207], -v[206:207], v[210:211], v[212:213]
	v_div_fmas_f64 v[206:207], v[206:207], v[208:209], v[210:211]
	v_div_fixup_f64 v[206:207], v[206:207], v[204:205], v[202:203]
	v_fma_f64 v[202:203], v[202:203], v[206:207], v[204:205]
	v_div_scale_f64 v[204:205], null, v[202:203], v[202:203], 1.0
	v_rcp_f64_e32 v[208:209], v[204:205]
	v_fma_f64 v[210:211], -v[204:205], v[208:209], 1.0
	v_fma_f64 v[208:209], v[208:209], v[210:211], v[208:209]
	v_fma_f64 v[210:211], -v[204:205], v[208:209], 1.0
	v_fma_f64 v[208:209], v[208:209], v[210:211], v[208:209]
	v_div_scale_f64 v[210:211], vcc_lo, 1.0, v[202:203], 1.0
	v_mul_f64 v[212:213], v[210:211], v[208:209]
	v_fma_f64 v[204:205], -v[204:205], v[212:213], v[210:211]
	v_div_fmas_f64 v[204:205], v[204:205], v[208:209], v[212:213]
	v_div_fixup_f64 v[208:209], v[204:205], v[202:203], 1.0
                                        ; implicit-def: $vgpr202_vgpr203
	v_mul_f64 v[206:207], v[206:207], v[208:209]
	v_xor_b32_e32 v209, 0x80000000, v209
.LBB53_212:
	s_andn2_saveexec_b32 s1, s1
	s_cbranch_execz .LBB53_214
; %bb.213:
	v_div_scale_f64 v[206:207], null, v[202:203], v[202:203], v[204:205]
	v_div_scale_f64 v[212:213], vcc_lo, v[204:205], v[202:203], v[204:205]
	v_rcp_f64_e32 v[208:209], v[206:207]
	v_fma_f64 v[210:211], -v[206:207], v[208:209], 1.0
	v_fma_f64 v[208:209], v[208:209], v[210:211], v[208:209]
	v_fma_f64 v[210:211], -v[206:207], v[208:209], 1.0
	v_fma_f64 v[208:209], v[208:209], v[210:211], v[208:209]
	v_mul_f64 v[210:211], v[212:213], v[208:209]
	v_fma_f64 v[206:207], -v[206:207], v[210:211], v[212:213]
	v_div_fmas_f64 v[206:207], v[206:207], v[208:209], v[210:211]
	v_div_fixup_f64 v[208:209], v[206:207], v[202:203], v[204:205]
	v_fma_f64 v[202:203], v[204:205], v[208:209], v[202:203]
	v_div_scale_f64 v[204:205], null, v[202:203], v[202:203], 1.0
	v_rcp_f64_e32 v[206:207], v[204:205]
	v_fma_f64 v[210:211], -v[204:205], v[206:207], 1.0
	v_fma_f64 v[206:207], v[206:207], v[210:211], v[206:207]
	v_fma_f64 v[210:211], -v[204:205], v[206:207], 1.0
	v_fma_f64 v[206:207], v[206:207], v[210:211], v[206:207]
	v_div_scale_f64 v[210:211], vcc_lo, 1.0, v[202:203], 1.0
	v_mul_f64 v[212:213], v[210:211], v[206:207]
	v_fma_f64 v[204:205], -v[204:205], v[212:213], v[210:211]
	v_div_fmas_f64 v[204:205], v[204:205], v[206:207], v[212:213]
	v_div_fixup_f64 v[206:207], v[204:205], v[202:203], 1.0
	v_mul_f64 v[208:209], v[208:209], -v[206:207]
.LBB53_214:
	s_or_b32 exec_lo, exec_lo, s1
	ds_write2_b64 v1, v[206:207], v[208:209] offset1:1
.LBB53_215:
	s_or_b32 exec_lo, exec_lo, s2
	s_waitcnt lgkmcnt(0)
	s_barrier
	buffer_gl0_inv
	ds_read2_b64 v[202:205], v1 offset1:1
	s_mov_b32 s1, exec_lo
	v_cmpx_lt_u32_e32 23, v0
	s_cbranch_execz .LBB53_217
; %bb.216:
	s_waitcnt lgkmcnt(0)
	v_mul_f64 v[206:207], v[202:203], v[16:17]
	v_mul_f64 v[16:17], v[204:205], v[16:17]
	v_fma_f64 v[210:211], v[204:205], v[14:15], v[206:207]
	ds_read2_b64 v[206:209], v236 offset0:48 offset1:49
	v_fma_f64 v[14:15], v[202:203], v[14:15], -v[16:17]
	s_waitcnt lgkmcnt(0)
	v_mul_f64 v[16:17], v[208:209], v[210:211]
	v_fma_f64 v[16:17], v[206:207], v[14:15], -v[16:17]
	v_mul_f64 v[206:207], v[206:207], v[210:211]
	v_add_f64 v[10:11], v[10:11], -v[16:17]
	v_fma_f64 v[206:207], v[208:209], v[14:15], v[206:207]
	v_add_f64 v[12:13], v[12:13], -v[206:207]
	ds_read2_b64 v[206:209], v236 offset0:50 offset1:51
	s_waitcnt lgkmcnt(0)
	v_mul_f64 v[16:17], v[208:209], v[210:211]
	v_fma_f64 v[16:17], v[206:207], v[14:15], -v[16:17]
	v_mul_f64 v[206:207], v[206:207], v[210:211]
	v_add_f64 v[6:7], v[6:7], -v[16:17]
	v_fma_f64 v[206:207], v[208:209], v[14:15], v[206:207]
	v_add_f64 v[8:9], v[8:9], -v[206:207]
	ds_read2_b64 v[206:209], v236 offset0:52 offset1:53
	s_waitcnt lgkmcnt(0)
	v_mul_f64 v[16:17], v[208:209], v[210:211]
	v_fma_f64 v[16:17], v[206:207], v[14:15], -v[16:17]
	v_mul_f64 v[206:207], v[206:207], v[210:211]
	v_add_f64 v[2:3], v[2:3], -v[16:17]
	v_fma_f64 v[206:207], v[208:209], v[14:15], v[206:207]
	v_mov_b32_e32 v16, v210
	v_mov_b32_e32 v17, v211
	v_add_f64 v[4:5], v[4:5], -v[206:207]
.LBB53_217:
	s_or_b32 exec_lo, exec_lo, s1
	s_mov_b32 s2, exec_lo
	s_waitcnt lgkmcnt(0)
	s_barrier
	buffer_gl0_inv
	v_cmpx_eq_u32_e32 24, v0
	s_cbranch_execz .LBB53_224
; %bb.218:
	ds_write2_b64 v1, v[10:11], v[12:13] offset1:1
	ds_write2_b64 v236, v[6:7], v[8:9] offset0:50 offset1:51
	ds_write2_b64 v236, v[2:3], v[4:5] offset0:52 offset1:53
	ds_read2_b64 v[206:209], v1 offset1:1
	s_waitcnt lgkmcnt(0)
	v_cmp_neq_f64_e32 vcc_lo, 0, v[206:207]
	v_cmp_neq_f64_e64 s1, 0, v[208:209]
	s_or_b32 s1, vcc_lo, s1
	s_and_b32 exec_lo, exec_lo, s1
	s_cbranch_execz .LBB53_224
; %bb.219:
	v_cmp_ngt_f64_e64 s1, |v[206:207]|, |v[208:209]|
                                        ; implicit-def: $vgpr210_vgpr211
	s_and_saveexec_b32 s3, s1
	s_xor_b32 s1, exec_lo, s3
                                        ; implicit-def: $vgpr212_vgpr213
	s_cbranch_execz .LBB53_221
; %bb.220:
	v_div_scale_f64 v[210:211], null, v[208:209], v[208:209], v[206:207]
	v_div_scale_f64 v[216:217], vcc_lo, v[206:207], v[208:209], v[206:207]
	v_rcp_f64_e32 v[212:213], v[210:211]
	v_fma_f64 v[214:215], -v[210:211], v[212:213], 1.0
	v_fma_f64 v[212:213], v[212:213], v[214:215], v[212:213]
	v_fma_f64 v[214:215], -v[210:211], v[212:213], 1.0
	v_fma_f64 v[212:213], v[212:213], v[214:215], v[212:213]
	v_mul_f64 v[214:215], v[216:217], v[212:213]
	v_fma_f64 v[210:211], -v[210:211], v[214:215], v[216:217]
	v_div_fmas_f64 v[210:211], v[210:211], v[212:213], v[214:215]
	v_div_fixup_f64 v[210:211], v[210:211], v[208:209], v[206:207]
	v_fma_f64 v[206:207], v[206:207], v[210:211], v[208:209]
	v_div_scale_f64 v[208:209], null, v[206:207], v[206:207], 1.0
	v_rcp_f64_e32 v[212:213], v[208:209]
	v_fma_f64 v[214:215], -v[208:209], v[212:213], 1.0
	v_fma_f64 v[212:213], v[212:213], v[214:215], v[212:213]
	v_fma_f64 v[214:215], -v[208:209], v[212:213], 1.0
	v_fma_f64 v[212:213], v[212:213], v[214:215], v[212:213]
	v_div_scale_f64 v[214:215], vcc_lo, 1.0, v[206:207], 1.0
	v_mul_f64 v[216:217], v[214:215], v[212:213]
	v_fma_f64 v[208:209], -v[208:209], v[216:217], v[214:215]
	v_div_fmas_f64 v[208:209], v[208:209], v[212:213], v[216:217]
	v_div_fixup_f64 v[212:213], v[208:209], v[206:207], 1.0
                                        ; implicit-def: $vgpr206_vgpr207
	v_mul_f64 v[210:211], v[210:211], v[212:213]
	v_xor_b32_e32 v213, 0x80000000, v213
.LBB53_221:
	s_andn2_saveexec_b32 s1, s1
	s_cbranch_execz .LBB53_223
; %bb.222:
	v_div_scale_f64 v[210:211], null, v[206:207], v[206:207], v[208:209]
	v_div_scale_f64 v[216:217], vcc_lo, v[208:209], v[206:207], v[208:209]
	v_rcp_f64_e32 v[212:213], v[210:211]
	v_fma_f64 v[214:215], -v[210:211], v[212:213], 1.0
	v_fma_f64 v[212:213], v[212:213], v[214:215], v[212:213]
	v_fma_f64 v[214:215], -v[210:211], v[212:213], 1.0
	v_fma_f64 v[212:213], v[212:213], v[214:215], v[212:213]
	v_mul_f64 v[214:215], v[216:217], v[212:213]
	v_fma_f64 v[210:211], -v[210:211], v[214:215], v[216:217]
	v_div_fmas_f64 v[210:211], v[210:211], v[212:213], v[214:215]
	v_div_fixup_f64 v[212:213], v[210:211], v[206:207], v[208:209]
	v_fma_f64 v[206:207], v[208:209], v[212:213], v[206:207]
	v_div_scale_f64 v[208:209], null, v[206:207], v[206:207], 1.0
	v_rcp_f64_e32 v[210:211], v[208:209]
	v_fma_f64 v[214:215], -v[208:209], v[210:211], 1.0
	v_fma_f64 v[210:211], v[210:211], v[214:215], v[210:211]
	v_fma_f64 v[214:215], -v[208:209], v[210:211], 1.0
	v_fma_f64 v[210:211], v[210:211], v[214:215], v[210:211]
	v_div_scale_f64 v[214:215], vcc_lo, 1.0, v[206:207], 1.0
	v_mul_f64 v[216:217], v[214:215], v[210:211]
	v_fma_f64 v[208:209], -v[208:209], v[216:217], v[214:215]
	v_div_fmas_f64 v[208:209], v[208:209], v[210:211], v[216:217]
	v_div_fixup_f64 v[210:211], v[208:209], v[206:207], 1.0
	v_mul_f64 v[212:213], v[212:213], -v[210:211]
.LBB53_223:
	s_or_b32 exec_lo, exec_lo, s1
	ds_write2_b64 v1, v[210:211], v[212:213] offset1:1
.LBB53_224:
	s_or_b32 exec_lo, exec_lo, s2
	s_waitcnt lgkmcnt(0)
	s_barrier
	buffer_gl0_inv
	ds_read2_b64 v[206:209], v1 offset1:1
	s_mov_b32 s1, exec_lo
	v_cmpx_lt_u32_e32 24, v0
	s_cbranch_execz .LBB53_226
; %bb.225:
	s_waitcnt lgkmcnt(0)
	v_mul_f64 v[210:211], v[206:207], v[12:13]
	v_mul_f64 v[12:13], v[208:209], v[12:13]
	v_fma_f64 v[214:215], v[208:209], v[10:11], v[210:211]
	ds_read2_b64 v[210:213], v236 offset0:50 offset1:51
	v_fma_f64 v[10:11], v[206:207], v[10:11], -v[12:13]
	s_waitcnt lgkmcnt(0)
	v_mul_f64 v[12:13], v[212:213], v[214:215]
	v_fma_f64 v[12:13], v[210:211], v[10:11], -v[12:13]
	v_mul_f64 v[210:211], v[210:211], v[214:215]
	v_add_f64 v[6:7], v[6:7], -v[12:13]
	v_fma_f64 v[210:211], v[212:213], v[10:11], v[210:211]
	v_add_f64 v[8:9], v[8:9], -v[210:211]
	ds_read2_b64 v[210:213], v236 offset0:52 offset1:53
	s_waitcnt lgkmcnt(0)
	v_mul_f64 v[12:13], v[212:213], v[214:215]
	v_fma_f64 v[12:13], v[210:211], v[10:11], -v[12:13]
	v_mul_f64 v[210:211], v[210:211], v[214:215]
	v_add_f64 v[2:3], v[2:3], -v[12:13]
	v_fma_f64 v[210:211], v[212:213], v[10:11], v[210:211]
	v_mov_b32_e32 v12, v214
	v_mov_b32_e32 v13, v215
	v_add_f64 v[4:5], v[4:5], -v[210:211]
.LBB53_226:
	s_or_b32 exec_lo, exec_lo, s1
	s_mov_b32 s2, exec_lo
	s_waitcnt lgkmcnt(0)
	s_barrier
	buffer_gl0_inv
	v_cmpx_eq_u32_e32 25, v0
	s_cbranch_execz .LBB53_233
; %bb.227:
	ds_write2_b64 v1, v[6:7], v[8:9] offset1:1
	ds_write2_b64 v236, v[2:3], v[4:5] offset0:52 offset1:53
	ds_read2_b64 v[210:213], v1 offset1:1
	s_waitcnt lgkmcnt(0)
	v_cmp_neq_f64_e32 vcc_lo, 0, v[210:211]
	v_cmp_neq_f64_e64 s1, 0, v[212:213]
	s_or_b32 s1, vcc_lo, s1
	s_and_b32 exec_lo, exec_lo, s1
	s_cbranch_execz .LBB53_233
; %bb.228:
	v_cmp_ngt_f64_e64 s1, |v[210:211]|, |v[212:213]|
                                        ; implicit-def: $vgpr214_vgpr215
	s_and_saveexec_b32 s3, s1
	s_xor_b32 s1, exec_lo, s3
                                        ; implicit-def: $vgpr216_vgpr217
	s_cbranch_execz .LBB53_230
; %bb.229:
	v_div_scale_f64 v[214:215], null, v[212:213], v[212:213], v[210:211]
	v_rcp_f64_e32 v[216:217], v[214:215]
	v_fma_f64 v[110:111], -v[214:215], v[216:217], 1.0
	v_fma_f64 v[110:111], v[216:217], v[110:111], v[216:217]
	v_div_scale_f64 v[216:217], vcc_lo, v[210:211], v[212:213], v[210:211]
	v_fma_f64 v[112:113], -v[214:215], v[110:111], 1.0
	v_fma_f64 v[110:111], v[110:111], v[112:113], v[110:111]
	v_mul_f64 v[112:113], v[216:217], v[110:111]
	v_fma_f64 v[214:215], -v[214:215], v[112:113], v[216:217]
	v_div_fmas_f64 v[110:111], v[214:215], v[110:111], v[112:113]
	v_div_fixup_f64 v[110:111], v[110:111], v[212:213], v[210:211]
	v_fma_f64 v[112:113], v[210:211], v[110:111], v[212:213]
	v_div_scale_f64 v[210:211], null, v[112:113], v[112:113], 1.0
	v_rcp_f64_e32 v[212:213], v[210:211]
	v_fma_f64 v[214:215], -v[210:211], v[212:213], 1.0
	v_fma_f64 v[212:213], v[212:213], v[214:215], v[212:213]
	v_fma_f64 v[214:215], -v[210:211], v[212:213], 1.0
	v_fma_f64 v[212:213], v[212:213], v[214:215], v[212:213]
	v_div_scale_f64 v[214:215], vcc_lo, 1.0, v[112:113], 1.0
	v_mul_f64 v[216:217], v[214:215], v[212:213]
	v_fma_f64 v[210:211], -v[210:211], v[216:217], v[214:215]
	v_div_fmas_f64 v[210:211], v[210:211], v[212:213], v[216:217]
	v_div_fixup_f64 v[216:217], v[210:211], v[112:113], 1.0
                                        ; implicit-def: $vgpr210_vgpr211
	v_mul_f64 v[214:215], v[110:111], v[216:217]
	v_xor_b32_e32 v217, 0x80000000, v217
.LBB53_230:
	s_andn2_saveexec_b32 s1, s1
	s_cbranch_execz .LBB53_232
; %bb.231:
	v_div_scale_f64 v[110:111], null, v[210:211], v[210:211], v[212:213]
	v_div_scale_f64 v[216:217], vcc_lo, v[212:213], v[210:211], v[212:213]
	v_rcp_f64_e32 v[112:113], v[110:111]
	v_fma_f64 v[214:215], -v[110:111], v[112:113], 1.0
	v_fma_f64 v[112:113], v[112:113], v[214:215], v[112:113]
	v_fma_f64 v[214:215], -v[110:111], v[112:113], 1.0
	v_fma_f64 v[112:113], v[112:113], v[214:215], v[112:113]
	v_mul_f64 v[214:215], v[216:217], v[112:113]
	v_fma_f64 v[110:111], -v[110:111], v[214:215], v[216:217]
	v_div_fmas_f64 v[110:111], v[110:111], v[112:113], v[214:215]
	v_div_fixup_f64 v[110:111], v[110:111], v[210:211], v[212:213]
	v_fma_f64 v[112:113], v[212:213], v[110:111], v[210:211]
	v_div_scale_f64 v[210:211], null, v[112:113], v[112:113], 1.0
	v_rcp_f64_e32 v[212:213], v[210:211]
	v_fma_f64 v[214:215], -v[210:211], v[212:213], 1.0
	v_fma_f64 v[212:213], v[212:213], v[214:215], v[212:213]
	v_fma_f64 v[214:215], -v[210:211], v[212:213], 1.0
	v_fma_f64 v[212:213], v[212:213], v[214:215], v[212:213]
	v_div_scale_f64 v[214:215], vcc_lo, 1.0, v[112:113], 1.0
	v_mul_f64 v[216:217], v[214:215], v[212:213]
	v_fma_f64 v[210:211], -v[210:211], v[216:217], v[214:215]
	v_div_fmas_f64 v[210:211], v[210:211], v[212:213], v[216:217]
	v_div_fixup_f64 v[214:215], v[210:211], v[112:113], 1.0
	v_mul_f64 v[216:217], v[110:111], -v[214:215]
.LBB53_232:
	s_or_b32 exec_lo, exec_lo, s1
	ds_write2_b64 v1, v[214:215], v[216:217] offset1:1
.LBB53_233:
	s_or_b32 exec_lo, exec_lo, s2
	s_waitcnt lgkmcnt(0)
	s_barrier
	buffer_gl0_inv
	ds_read2_b64 v[210:213], v1 offset1:1
	s_mov_b32 s1, exec_lo
	v_cmpx_lt_u32_e32 25, v0
	s_cbranch_execz .LBB53_235
; %bb.234:
	s_waitcnt lgkmcnt(0)
	v_mul_f64 v[110:111], v[210:211], v[8:9]
	v_mul_f64 v[8:9], v[212:213], v[8:9]
	ds_read2_b64 v[214:217], v236 offset0:52 offset1:53
	v_fma_f64 v[110:111], v[212:213], v[6:7], v[110:111]
	v_fma_f64 v[6:7], v[210:211], v[6:7], -v[8:9]
	s_waitcnt lgkmcnt(0)
	v_mul_f64 v[8:9], v[216:217], v[110:111]
	v_mul_f64 v[112:113], v[214:215], v[110:111]
	v_fma_f64 v[8:9], v[214:215], v[6:7], -v[8:9]
	v_fma_f64 v[112:113], v[216:217], v[6:7], v[112:113]
	v_add_f64 v[2:3], v[2:3], -v[8:9]
	v_add_f64 v[4:5], v[4:5], -v[112:113]
	v_mov_b32_e32 v8, v110
	v_mov_b32_e32 v9, v111
.LBB53_235:
	s_or_b32 exec_lo, exec_lo, s1
	s_mov_b32 s2, exec_lo
	s_waitcnt lgkmcnt(0)
	s_barrier
	buffer_gl0_inv
	v_cmpx_eq_u32_e32 26, v0
	s_cbranch_execz .LBB53_242
; %bb.236:
	v_cmp_neq_f64_e32 vcc_lo, 0, v[2:3]
	v_cmp_neq_f64_e64 s1, 0, v[4:5]
	ds_write2_b64 v1, v[2:3], v[4:5] offset1:1
	s_or_b32 s1, vcc_lo, s1
	s_and_b32 exec_lo, exec_lo, s1
	s_cbranch_execz .LBB53_242
; %bb.237:
	v_cmp_ngt_f64_e64 s1, |v[2:3]|, |v[4:5]|
                                        ; implicit-def: $vgpr214_vgpr215
	s_and_saveexec_b32 s3, s1
	s_xor_b32 s1, exec_lo, s3
                                        ; implicit-def: $vgpr216_vgpr217
	s_cbranch_execz .LBB53_239
; %bb.238:
	v_div_scale_f64 v[110:111], null, v[4:5], v[4:5], v[2:3]
	v_div_scale_f64 v[216:217], vcc_lo, v[2:3], v[4:5], v[2:3]
	buffer_store_dword v30, off, s[28:31], 0 offset:112 ; 4-byte Folded Spill
	buffer_store_dword v31, off, s[28:31], 0 offset:116 ; 4-byte Folded Spill
	;; [unrolled: 1-line block ×4, first 2 shown]
	v_mov_b32_e32 v30, v34
	v_mov_b32_e32 v31, v35
	v_mov_b32_e32 v32, v36
	v_mov_b32_e32 v33, v37
	v_mov_b32_e32 v34, v38
	v_mov_b32_e32 v35, v39
	v_mov_b32_e32 v36, v40
	v_mov_b32_e32 v37, v41
	v_mov_b32_e32 v38, v42
	v_mov_b32_e32 v39, v43
	v_mov_b32_e32 v40, v44
	v_mov_b32_e32 v41, v45
	v_mov_b32_e32 v42, v46
	v_mov_b32_e32 v43, v47
	v_mov_b32_e32 v44, v48
	v_mov_b32_e32 v45, v49
	v_mov_b32_e32 v46, v50
	v_rcp_f64_e32 v[112:113], v[110:111]
	v_mov_b32_e32 v47, v51
	v_mov_b32_e32 v48, v52
	;; [unrolled: 1-line block ×23, first 2 shown]
	v_fma_f64 v[214:215], -v[110:111], v[112:113], 1.0
	v_mov_b32_e32 v66, v70
	v_mov_b32_e32 v67, v71
	;; [unrolled: 1-line block ×21, first 2 shown]
	v_fma_f64 v[112:113], v[112:113], v[214:215], v[112:113]
	v_mov_b32_e32 v196, v88
	v_mov_b32_e32 v195, v87
	;; [unrolled: 1-line block ×21, first 2 shown]
	v_fma_f64 v[214:215], -v[110:111], v[112:113], 1.0
	v_mov_b32_e32 v104, v192
	v_mov_b32_e32 v105, v193
	;; [unrolled: 1-line block ×21, first 2 shown]
	v_fma_f64 v[112:113], v[112:113], v[214:215], v[112:113]
	v_mov_b32_e32 v178, v174
	v_mov_b32_e32 v177, v173
	;; [unrolled: 1-line block ×21, first 2 shown]
	v_mul_f64 v[214:215], v[216:217], v[112:113]
	v_mov_b32_e32 v157, v153
	v_mov_b32_e32 v156, v152
	;; [unrolled: 1-line block ×21, first 2 shown]
	v_fma_f64 v[110:111], -v[110:111], v[214:215], v[216:217]
	v_mov_b32_e32 v136, v132
	v_mov_b32_e32 v135, v131
	;; [unrolled: 1-line block ×21, first 2 shown]
	v_div_fmas_f64 v[110:111], v[110:111], v[112:113], v[214:215]
	v_mov_b32_e32 v122, v232
	v_mov_b32_e32 v123, v233
	;; [unrolled: 1-line block ×21, first 2 shown]
	v_div_fixup_f64 v[110:111], v[110:111], v[4:5], v[2:3]
	v_mov_b32_e32 v250, v248
	v_mov_b32_e32 v248, v250
	;; [unrolled: 1-line block ×17, first 2 shown]
	v_fma_f64 v[112:113], v[2:3], v[110:111], v[4:5]
	v_mov_b32_e32 v226, v228
	v_mov_b32_e32 v227, v229
	;; [unrolled: 1-line block ×6, first 2 shown]
	v_div_scale_f64 v[214:215], null, v[112:113], v[112:113], 1.0
	v_rcp_f64_e32 v[216:217], v[214:215]
	v_fma_f64 v[236:237], -v[214:215], v[216:217], 1.0
	v_fma_f64 v[216:217], v[216:217], v[236:237], v[216:217]
	v_fma_f64 v[236:237], -v[214:215], v[216:217], 1.0
	v_fma_f64 v[216:217], v[216:217], v[236:237], v[216:217]
	v_div_scale_f64 v[236:237], vcc_lo, 1.0, v[112:113], 1.0
	v_mul_f64 v[114:115], v[236:237], v[216:217]
	v_fma_f64 v[116:117], -v[214:215], v[114:115], v[236:237]
	v_div_fmas_f64 v[114:115], v[116:117], v[216:217], v[114:115]
	v_div_fixup_f64 v[216:217], v[114:115], v[112:113], 1.0
	v_mov_b32_e32 v114, v118
	v_mov_b32_e32 v115, v119
	;; [unrolled: 1-line block ×166, first 2 shown]
	s_clause 0x3
	buffer_load_dword v30, off, s[28:31], 0 offset:112
	buffer_load_dword v31, off, s[28:31], 0 offset:116
	;; [unrolled: 1-line block ×4, first 2 shown]
	v_mul_f64 v[214:215], v[110:111], v[216:217]
	v_xor_b32_e32 v217, 0x80000000, v217
.LBB53_239:
	s_andn2_saveexec_b32 s1, s1
	s_cbranch_execz .LBB53_241
; %bb.240:
	v_div_scale_f64 v[110:111], null, v[2:3], v[2:3], v[4:5]
	s_waitcnt vmcnt(0)
	v_mov_b32_e32 v243, v33
	v_mov_b32_e32 v242, v32
	;; [unrolled: 1-line block ×73, first 2 shown]
	v_rcp_f64_e32 v[112:113], v[110:111]
	v_mov_b32_e32 v91, v95
	v_mov_b32_e32 v92, v96
	;; [unrolled: 1-line block ×97, first 2 shown]
	v_fma_f64 v[114:115], -v[110:111], v[112:113], 1.0
	v_div_scale_f64 v[116:117], vcc_lo, v[4:5], v[2:3], v[4:5]
	v_fma_f64 v[112:113], v[112:113], v[114:115], v[112:113]
	v_fma_f64 v[114:115], -v[110:111], v[112:113], 1.0
	v_fma_f64 v[112:113], v[112:113], v[114:115], v[112:113]
	v_mul_f64 v[114:115], v[116:117], v[112:113]
	v_fma_f64 v[110:111], -v[110:111], v[114:115], v[116:117]
	v_div_fmas_f64 v[110:111], v[110:111], v[112:113], v[114:115]
	v_div_fixup_f64 v[110:111], v[110:111], v[2:3], v[4:5]
	v_fma_f64 v[112:113], v[4:5], v[110:111], v[2:3]
	v_div_scale_f64 v[114:115], null, v[112:113], v[112:113], 1.0
	v_rcp_f64_e32 v[116:117], v[114:115]
	v_fma_f64 v[214:215], -v[114:115], v[116:117], 1.0
	v_fma_f64 v[116:117], v[116:117], v[214:215], v[116:117]
	v_fma_f64 v[214:215], -v[114:115], v[116:117], 1.0
	v_fma_f64 v[116:117], v[116:117], v[214:215], v[116:117]
	v_div_scale_f64 v[214:215], vcc_lo, 1.0, v[112:113], 1.0
	v_mul_f64 v[216:217], v[214:215], v[116:117]
	v_fma_f64 v[114:115], -v[114:115], v[216:217], v[214:215]
	v_div_fmas_f64 v[114:115], v[114:115], v[116:117], v[216:217]
	v_div_fixup_f64 v[214:215], v[114:115], v[112:113], 1.0
	v_mov_b32_e32 v114, v118
	v_mov_b32_e32 v115, v119
	;; [unrolled: 1-line block ×103, first 2 shown]
	v_mul_f64 v[216:217], v[110:111], -v[214:215]
	v_mov_b32_e32 v87, v195
	v_mov_b32_e32 v88, v196
	;; [unrolled: 1-line block ×67, first 2 shown]
.LBB53_241:
	s_or_b32 exec_lo, exec_lo, s1
	ds_write2_b64 v1, v[214:215], v[216:217] offset1:1
.LBB53_242:
	s_or_b32 exec_lo, exec_lo, s2
	s_waitcnt vmcnt(0) lgkmcnt(0)
	s_waitcnt_vscnt null, 0x0
	s_barrier
	buffer_gl0_inv
	ds_read2_b64 v[214:217], v1 offset1:1
	s_mov_b32 s1, exec_lo
	v_cmpx_lt_u32_e32 26, v0
	s_cbranch_execz .LBB53_244
; %bb.243:
	s_waitcnt lgkmcnt(0)
	v_mul_f64 v[0:1], v[216:217], v[4:5]
	v_mul_f64 v[4:5], v[214:215], v[4:5]
	v_fma_f64 v[0:1], v[214:215], v[2:3], -v[0:1]
	v_fma_f64 v[4:5], v[216:217], v[2:3], v[4:5]
	v_mov_b32_e32 v3, v1
	v_mov_b32_e32 v2, v0
.LBB53_244:
	s_or_b32 exec_lo, exec_lo, s1
	s_waitcnt lgkmcnt(0)
	s_barrier
	buffer_gl0_inv
	s_and_saveexec_b32 s24, s0
	s_cbranch_execz .LBB53_247
; %bb.245:
	s_clause 0x3
	buffer_load_dword v110, off, s[28:31], 0 offset:80
	buffer_load_dword v111, off, s[28:31], 0 offset:84
	;; [unrolled: 1-line block ×4, first 2 shown]
	v_lshlrev_b64 v[0:1], 2, v[234:235]
	v_cmp_neq_f64_e64 s1, 0, v[114:115]
	v_cmp_neq_f64_e64 s3, 0, v[116:117]
	v_cmp_eq_f64_e64 s4, 0, v[118:119]
	v_cmp_eq_f64_e64 s6, 0, v[120:121]
	;; [unrolled: 1-line block ×3, first 2 shown]
	v_add_co_u32 v0, s21, s22, v0
	v_add_co_ci_u32_e64 v1, null, s23, v1, s21
	v_cmp_eq_f64_e64 s8, 0, v[124:125]
	v_cmp_eq_f64_e64 s9, 0, v[126:127]
	;; [unrolled: 1-line block ×14, first 2 shown]
	s_or_b32 s1, s1, s3
	v_cmp_eq_f64_e64 s5, 0, v[152:153]
	s_and_b32 s3, s11, s13
	s_waitcnt vmcnt(2)
	v_cmp_eq_f64_e32 vcc_lo, 0, v[110:111]
	global_load_dword v111, v[0:1], off
	s_waitcnt vmcnt(1)
	v_cmp_eq_f64_e64 s0, 0, v[112:113]
	s_and_b32 s0, vcc_lo, s0
	v_cndmask_b32_e64 v110, 0, 1, s0
	s_or_b32 vcc_lo, s1, s0
	s_and_b32 s0, s4, s6
	v_cmp_eq_f64_e64 s1, 0, v[156:157]
	s_and_b32 s4, s2, s5
	v_cndmask_b32_e32 v110, 2, v110, vcc_lo
	v_cmp_eq_f64_e64 s2, 0, v[160:161]
	v_cmp_eq_u32_e32 vcc_lo, 0, v110
	s_and_b32 s0, s0, vcc_lo
	v_cndmask_b32_e64 v110, v110, 3, s0
	s_and_b32 s0, s7, s8
	v_cmp_eq_u32_e32 vcc_lo, 0, v110
	s_and_b32 s0, s0, vcc_lo
	v_cndmask_b32_e64 v110, v110, 4, s0
	s_and_b32 s0, s9, s10
	;; [unrolled: 4-line block ×6, first 2 shown]
	v_cmp_eq_u32_e32 vcc_lo, 0, v110
	s_and_b32 s0, s0, vcc_lo
	v_cndmask_b32_e64 v110, v110, 9, s0
	v_cmp_eq_f64_e64 s0, 0, v[154:155]
	v_cmp_eq_u32_e32 vcc_lo, 0, v110
	s_and_b32 s3, s3, vcc_lo
	v_cndmask_b32_e64 v110, v110, 10, s3
	v_cmp_eq_f64_e64 s3, 0, v[158:159]
	v_cmp_eq_u32_e32 vcc_lo, 0, v110
	s_and_b32 s4, s4, vcc_lo
	s_and_b32 s1, s0, s1
	v_cndmask_b32_e64 v110, v110, 11, s4
	v_cmp_eq_f64_e64 s4, 0, v[162:163]
	v_cmp_eq_f64_e64 s0, 0, v[164:165]
	v_cmp_eq_u32_e32 vcc_lo, 0, v110
	s_and_b32 s1, s1, vcc_lo
	s_and_b32 s3, s3, s2
	v_cndmask_b32_e64 v110, v110, 12, s1
	v_cmp_eq_f64_e64 s1, 0, v[166:167]
	;; [unrolled: 6-line block ×4, first 2 shown]
	v_cmp_eq_f64_e64 s1, 0, v[176:177]
	v_cmp_eq_u32_e32 vcc_lo, 0, v110
	s_and_b32 s2, s2, vcc_lo
	v_cndmask_b32_e64 v110, v110, 15, s2
	s_and_b32 s3, s3, s0
	v_cmp_eq_f64_e64 s2, 0, v[178:179]
	v_cmp_eq_f64_e64 s0, 0, v[180:181]
	v_cmp_eq_u32_e32 vcc_lo, 0, v110
	s_and_b32 s3, s3, vcc_lo
	v_cndmask_b32_e64 v110, v110, 16, s3
	s_and_b32 s4, s4, s1
	v_cmp_eq_f64_e64 s3, 0, v[182:183]
	v_cmp_eq_f64_e64 s1, 0, v[184:185]
	v_cmp_eq_u32_e32 vcc_lo, 0, v110
	s_and_b32 s4, s4, vcc_lo
	v_cndmask_b32_e64 v110, v110, 17, s4
	s_and_b32 s2, s2, s0
	v_cmp_eq_f64_e64 s4, 0, v[186:187]
	v_cmp_eq_f64_e64 s0, 0, v[188:189]
	v_cmp_eq_u32_e32 vcc_lo, 0, v110
	s_and_b32 s2, s2, vcc_lo
	v_cndmask_b32_e64 v110, v110, 18, s2
	s_and_b32 s3, s3, s1
	v_cmp_eq_f64_e64 s2, 0, v[190:191]
	v_cmp_eq_f64_e64 s1, 0, v[192:193]
	v_cmp_eq_u32_e32 vcc_lo, 0, v110
	s_and_b32 s3, s3, vcc_lo
	v_cndmask_b32_e64 v110, v110, 19, s3
	s_and_b32 s4, s4, s0
	v_cmp_eq_f64_e64 s3, 0, v[194:195]
	v_cmp_eq_f64_e64 s0, 0, v[196:197]
	v_cmp_eq_u32_e32 vcc_lo, 0, v110
	s_and_b32 s4, s4, vcc_lo
	v_cndmask_b32_e64 v110, v110, 20, s4
	s_and_b32 s2, s2, s1
	v_cmp_eq_f64_e64 s4, 0, v[198:199]
	v_cmp_eq_f64_e64 s1, 0, v[200:201]
	v_cmp_eq_u32_e32 vcc_lo, 0, v110
	s_and_b32 s2, s2, vcc_lo
	v_cndmask_b32_e64 v110, v110, 21, s2
	s_and_b32 s3, s3, s0
	v_cmp_eq_f64_e64 s2, 0, v[202:203]
	v_cmp_eq_f64_e64 s0, 0, v[204:205]
	v_cmp_eq_u32_e32 vcc_lo, 0, v110
	s_and_b32 s3, s3, vcc_lo
	v_cndmask_b32_e64 v110, v110, 22, s3
	s_and_b32 s4, s4, s1
	v_cmp_eq_f64_e64 s3, 0, v[206:207]
	v_cmp_eq_f64_e64 s1, 0, v[208:209]
	v_cmp_eq_u32_e32 vcc_lo, 0, v110
	s_and_b32 s4, s4, vcc_lo
	v_cndmask_b32_e64 v110, v110, 23, s4
	s_and_b32 s2, s2, s0
	v_cmp_eq_f64_e64 s0, 0, v[210:211]
	v_cmp_eq_u32_e32 vcc_lo, 0, v110
	s_and_b32 s2, s2, vcc_lo
	v_cmp_eq_f64_e32 vcc_lo, 0, v[212:213]
	v_cndmask_b32_e64 v110, v110, 24, s2
	s_and_b32 s3, s3, s1
	v_cmp_eq_f64_e64 s1, 0, v[214:215]
	v_cmp_eq_u32_e64 s2, 0, v110
	s_and_b32 s3, s3, s2
	v_cmp_eq_f64_e64 s2, 0, v[216:217]
	v_cndmask_b32_e64 v110, v110, 25, s3
	v_cmp_eq_u32_e64 s3, 0, v110
	s_and_b32 s0, s0, vcc_lo
	s_and_b32 s0, s0, s3
	v_cndmask_b32_e64 v110, v110, 26, s0
	v_cmp_eq_u32_e32 vcc_lo, 0, v110
	s_and_b32 s0, s1, s2
	s_and_b32 s0, s0, vcc_lo
	s_waitcnt vmcnt(0)
	v_cmp_eq_u32_e32 vcc_lo, 0, v111
	v_cndmask_b32_e64 v110, v110, 27, s0
	v_cmp_ne_u32_e64 s0, 0, v110
	s_and_b32 s0, vcc_lo, s0
	s_and_b32 exec_lo, exec_lo, s0
	s_cbranch_execz .LBB53_247
; %bb.246:
	v_add_nc_u32_e32 v110, s25, v110
	global_store_dword v[0:1], v110, off
.LBB53_247:
	s_or_b32 exec_lo, exec_lo, s24
	global_store_dwordx4 v[230:231], v[106:109], off
	global_store_dwordx4 v[237:238], v[102:105], off
	s_clause 0x1
	buffer_load_dword v0, off, s[28:31], 0 offset:16
	buffer_load_dword v1, off, s[28:31], 0 offset:20
	s_waitcnt vmcnt(0)
	global_store_dwordx4 v[0:1], v[98:101], off
	s_clause 0x1
	buffer_load_dword v0, off, s[28:31], 0 offset:8
	buffer_load_dword v1, off, s[28:31], 0 offset:12
	s_waitcnt vmcnt(0)
	global_store_dwordx4 v[0:1], v[94:97], off
	s_clause 0x1
	buffer_load_dword v0, off, s[28:31], 0
	buffer_load_dword v1, off, s[28:31], 0 offset:4
	s_waitcnt vmcnt(0)
	global_store_dwordx4 v[0:1], v[90:93], off
	s_clause 0x1
	buffer_load_dword v0, off, s[28:31], 0 offset:24
	buffer_load_dword v1, off, s[28:31], 0 offset:28
	s_waitcnt vmcnt(0)
	global_store_dwordx4 v[0:1], v[86:89], off
	s_clause 0x1
	buffer_load_dword v0, off, s[28:31], 0 offset:32
	;; [unrolled: 5-line block ×9, first 2 shown]
	buffer_load_dword v1, off, s[28:31], 0 offset:100
	s_waitcnt vmcnt(0)
	global_store_dwordx4 v[0:1], v[54:57], off
	global_store_dwordx4 v[244:245], v[50:53], off
	;; [unrolled: 1-line block ×14, first 2 shown]
.LBB53_248:
	s_endpgm
	.section	.rodata,"a",@progbits
	.p2align	6, 0x0
	.amdhsa_kernel _ZN9rocsolver6v33100L23getf2_npvt_small_kernelILi27E19rocblas_complex_numIdEiiPS3_EEvT1_T3_lS5_lPT2_S5_S5_
		.amdhsa_group_segment_fixed_size 0
		.amdhsa_private_segment_fixed_size 132
		.amdhsa_kernarg_size 312
		.amdhsa_user_sgpr_count 6
		.amdhsa_user_sgpr_private_segment_buffer 1
		.amdhsa_user_sgpr_dispatch_ptr 0
		.amdhsa_user_sgpr_queue_ptr 0
		.amdhsa_user_sgpr_kernarg_segment_ptr 1
		.amdhsa_user_sgpr_dispatch_id 0
		.amdhsa_user_sgpr_flat_scratch_init 0
		.amdhsa_user_sgpr_private_segment_size 0
		.amdhsa_wavefront_size32 1
		.amdhsa_uses_dynamic_stack 0
		.amdhsa_system_sgpr_private_segment_wavefront_offset 1
		.amdhsa_system_sgpr_workgroup_id_x 1
		.amdhsa_system_sgpr_workgroup_id_y 1
		.amdhsa_system_sgpr_workgroup_id_z 0
		.amdhsa_system_sgpr_workgroup_info 0
		.amdhsa_system_vgpr_workitem_id 1
		.amdhsa_next_free_vgpr 256
		.amdhsa_next_free_sgpr 32
		.amdhsa_reserve_vcc 1
		.amdhsa_reserve_flat_scratch 0
		.amdhsa_float_round_mode_32 0
		.amdhsa_float_round_mode_16_64 0
		.amdhsa_float_denorm_mode_32 3
		.amdhsa_float_denorm_mode_16_64 3
		.amdhsa_dx10_clamp 1
		.amdhsa_ieee_mode 1
		.amdhsa_fp16_overflow 0
		.amdhsa_workgroup_processor_mode 1
		.amdhsa_memory_ordered 1
		.amdhsa_forward_progress 1
		.amdhsa_shared_vgpr_count 0
		.amdhsa_exception_fp_ieee_invalid_op 0
		.amdhsa_exception_fp_denorm_src 0
		.amdhsa_exception_fp_ieee_div_zero 0
		.amdhsa_exception_fp_ieee_overflow 0
		.amdhsa_exception_fp_ieee_underflow 0
		.amdhsa_exception_fp_ieee_inexact 0
		.amdhsa_exception_int_div_zero 0
	.end_amdhsa_kernel
	.section	.text._ZN9rocsolver6v33100L23getf2_npvt_small_kernelILi27E19rocblas_complex_numIdEiiPS3_EEvT1_T3_lS5_lPT2_S5_S5_,"axG",@progbits,_ZN9rocsolver6v33100L23getf2_npvt_small_kernelILi27E19rocblas_complex_numIdEiiPS3_EEvT1_T3_lS5_lPT2_S5_S5_,comdat
.Lfunc_end53:
	.size	_ZN9rocsolver6v33100L23getf2_npvt_small_kernelILi27E19rocblas_complex_numIdEiiPS3_EEvT1_T3_lS5_lPT2_S5_S5_, .Lfunc_end53-_ZN9rocsolver6v33100L23getf2_npvt_small_kernelILi27E19rocblas_complex_numIdEiiPS3_EEvT1_T3_lS5_lPT2_S5_S5_
                                        ; -- End function
	.set _ZN9rocsolver6v33100L23getf2_npvt_small_kernelILi27E19rocblas_complex_numIdEiiPS3_EEvT1_T3_lS5_lPT2_S5_S5_.num_vgpr, 256
	.set _ZN9rocsolver6v33100L23getf2_npvt_small_kernelILi27E19rocblas_complex_numIdEiiPS3_EEvT1_T3_lS5_lPT2_S5_S5_.num_agpr, 0
	.set _ZN9rocsolver6v33100L23getf2_npvt_small_kernelILi27E19rocblas_complex_numIdEiiPS3_EEvT1_T3_lS5_lPT2_S5_S5_.numbered_sgpr, 32
	.set _ZN9rocsolver6v33100L23getf2_npvt_small_kernelILi27E19rocblas_complex_numIdEiiPS3_EEvT1_T3_lS5_lPT2_S5_S5_.num_named_barrier, 0
	.set _ZN9rocsolver6v33100L23getf2_npvt_small_kernelILi27E19rocblas_complex_numIdEiiPS3_EEvT1_T3_lS5_lPT2_S5_S5_.private_seg_size, 132
	.set _ZN9rocsolver6v33100L23getf2_npvt_small_kernelILi27E19rocblas_complex_numIdEiiPS3_EEvT1_T3_lS5_lPT2_S5_S5_.uses_vcc, 1
	.set _ZN9rocsolver6v33100L23getf2_npvt_small_kernelILi27E19rocblas_complex_numIdEiiPS3_EEvT1_T3_lS5_lPT2_S5_S5_.uses_flat_scratch, 0
	.set _ZN9rocsolver6v33100L23getf2_npvt_small_kernelILi27E19rocblas_complex_numIdEiiPS3_EEvT1_T3_lS5_lPT2_S5_S5_.has_dyn_sized_stack, 0
	.set _ZN9rocsolver6v33100L23getf2_npvt_small_kernelILi27E19rocblas_complex_numIdEiiPS3_EEvT1_T3_lS5_lPT2_S5_S5_.has_recursion, 0
	.set _ZN9rocsolver6v33100L23getf2_npvt_small_kernelILi27E19rocblas_complex_numIdEiiPS3_EEvT1_T3_lS5_lPT2_S5_S5_.has_indirect_call, 0
	.section	.AMDGPU.csdata,"",@progbits
; Kernel info:
; codeLenInByte = 45596
; TotalNumSgprs: 34
; NumVgprs: 256
; ScratchSize: 132
; MemoryBound: 1
; FloatMode: 240
; IeeeMode: 1
; LDSByteSize: 0 bytes/workgroup (compile time only)
; SGPRBlocks: 0
; VGPRBlocks: 31
; NumSGPRsForWavesPerEU: 34
; NumVGPRsForWavesPerEU: 256
; Occupancy: 4
; WaveLimiterHint : 0
; COMPUTE_PGM_RSRC2:SCRATCH_EN: 1
; COMPUTE_PGM_RSRC2:USER_SGPR: 6
; COMPUTE_PGM_RSRC2:TRAP_HANDLER: 0
; COMPUTE_PGM_RSRC2:TGID_X_EN: 1
; COMPUTE_PGM_RSRC2:TGID_Y_EN: 1
; COMPUTE_PGM_RSRC2:TGID_Z_EN: 0
; COMPUTE_PGM_RSRC2:TIDIG_COMP_CNT: 1
	.section	.text._ZN9rocsolver6v33100L18getf2_small_kernelILi28E19rocblas_complex_numIdEiiPS3_EEvT1_T3_lS5_lPS5_llPT2_S5_S5_S7_l,"axG",@progbits,_ZN9rocsolver6v33100L18getf2_small_kernelILi28E19rocblas_complex_numIdEiiPS3_EEvT1_T3_lS5_lPS5_llPT2_S5_S5_S7_l,comdat
	.globl	_ZN9rocsolver6v33100L18getf2_small_kernelILi28E19rocblas_complex_numIdEiiPS3_EEvT1_T3_lS5_lPS5_llPT2_S5_S5_S7_l ; -- Begin function _ZN9rocsolver6v33100L18getf2_small_kernelILi28E19rocblas_complex_numIdEiiPS3_EEvT1_T3_lS5_lPS5_llPT2_S5_S5_S7_l
	.p2align	8
	.type	_ZN9rocsolver6v33100L18getf2_small_kernelILi28E19rocblas_complex_numIdEiiPS3_EEvT1_T3_lS5_lPS5_llPT2_S5_S5_S7_l,@function
_ZN9rocsolver6v33100L18getf2_small_kernelILi28E19rocblas_complex_numIdEiiPS3_EEvT1_T3_lS5_lPS5_llPT2_S5_S5_S7_l: ; @_ZN9rocsolver6v33100L18getf2_small_kernelILi28E19rocblas_complex_numIdEiiPS3_EEvT1_T3_lS5_lPS5_llPT2_S5_S5_S7_l
; %bb.0:
	s_clause 0x1
	s_load_dword s0, s[4:5], 0x6c
	s_load_dwordx2 s[16:17], s[4:5], 0x48
	s_waitcnt lgkmcnt(0)
	s_lshr_b32 s0, s0, 16
	v_mad_u64_u32 v[118:119], null, s7, s0, v[1:2]
	s_mov_b32 s0, exec_lo
	v_cmpx_gt_i32_e64 s16, v118
	s_cbranch_execz .LBB54_591
; %bb.1:
	s_load_dwordx4 s[0:3], s[4:5], 0x50
	v_mov_b32_e32 v120, 0
	v_ashrrev_i32_e32 v119, 31, v118
	v_mov_b32_e32 v121, 0
	s_waitcnt lgkmcnt(0)
	s_cmp_eq_u64 s[0:1], 0
	s_cselect_b32 s16, -1, 0
	s_and_b32 vcc_lo, exec_lo, s16
	s_cbranch_vccnz .LBB54_3
; %bb.2:
	v_mul_lo_u32 v4, s3, v118
	v_mul_lo_u32 v5, s2, v119
	v_mad_u64_u32 v[2:3], null, s2, v118, 0
	v_add3_u32 v3, v3, v5, v4
	v_lshlrev_b64 v[2:3], 2, v[2:3]
	v_add_co_u32 v120, vcc_lo, s0, v2
	v_add_co_ci_u32_e64 v121, null, s1, v3, vcc_lo
.LBB54_3:
	s_clause 0x2
	s_load_dwordx8 s[8:15], s[4:5], 0x20
	s_load_dword s6, s[4:5], 0x18
	s_load_dwordx4 s[0:3], s[4:5], 0x8
	v_lshlrev_b32_e32 v124, 4, v0
	s_clause 0x1
	s_load_dword s18, s[4:5], 0x0
	s_load_dwordx2 s[4:5], s[4:5], 0x40
	s_waitcnt lgkmcnt(0)
	v_mul_lo_u32 v5, s9, v118
	v_mul_lo_u32 v7, s8, v119
	v_mad_u64_u32 v[2:3], null, s8, v118, 0
	v_add3_u32 v4, s6, s6, v0
	s_lshl_b64 s[2:3], s[2:3], 4
	s_ashr_i32 s7, s6, 31
	s_lshl_b64 s[8:9], s[6:7], 4
	v_add_nc_u32_e32 v6, s6, v4
	v_add3_u32 v3, v3, v7, v5
	v_ashrrev_i32_e32 v5, 31, v4
	v_add_nc_u32_e32 v8, s6, v6
	v_lshlrev_b64 v[2:3], 4, v[2:3]
	v_ashrrev_i32_e32 v7, 31, v6
	v_lshlrev_b64 v[4:5], 4, v[4:5]
	v_ashrrev_i32_e32 v9, 31, v8
	v_add_nc_u32_e32 v10, s6, v8
	v_add_co_u32 v12, vcc_lo, s0, v2
	v_add_co_ci_u32_e64 v13, null, s1, v3, vcc_lo
	v_lshlrev_b64 v[2:3], 4, v[8:9]
	v_add_nc_u32_e32 v8, s6, v10
	v_add_co_u32 v125, vcc_lo, v12, s2
	v_ashrrev_i32_e32 v11, 31, v10
	v_lshlrev_b64 v[6:7], 4, v[6:7]
	v_add_nc_u32_e32 v12, s6, v8
	v_add_co_ci_u32_e64 v126, null, s3, v13, vcc_lo
	v_ashrrev_i32_e32 v9, 31, v8
	v_lshlrev_b64 v[10:11], 4, v[10:11]
	v_add_nc_u32_e32 v14, s6, v12
	v_ashrrev_i32_e32 v13, 31, v12
	v_add_co_u32 v4, vcc_lo, v125, v4
	v_add_co_ci_u32_e64 v5, null, v126, v5, vcc_lo
	v_add_nc_u32_e32 v16, s6, v14
	v_ashrrev_i32_e32 v15, 31, v14
	v_add_co_u32 v6, vcc_lo, v125, v6
	v_lshlrev_b64 v[8:9], 4, v[8:9]
	v_add_nc_u32_e32 v18, s6, v16
	v_ashrrev_i32_e32 v17, 31, v16
	v_add_co_ci_u32_e64 v7, null, v126, v7, vcc_lo
	v_add_co_u32 v2, vcc_lo, v125, v2
	v_add_nc_u32_e32 v20, s6, v18
	v_lshlrev_b64 v[12:13], 4, v[12:13]
	v_ashrrev_i32_e32 v19, 31, v18
	v_add_co_ci_u32_e64 v3, null, v126, v3, vcc_lo
	v_add_nc_u32_e32 v22, s6, v20
	v_add_co_u32 v10, vcc_lo, v125, v10
	v_lshlrev_b64 v[14:15], 4, v[14:15]
	v_ashrrev_i32_e32 v21, 31, v20
	v_add_nc_u32_e32 v24, s6, v22
	v_add_co_ci_u32_e64 v11, null, v126, v11, vcc_lo
	v_add_co_u32 v8, vcc_lo, v125, v8
	v_add_nc_u32_e32 v26, s6, v24
	v_lshlrev_b64 v[16:17], 4, v[16:17]
	v_ashrrev_i32_e32 v23, 31, v22
	v_add_co_ci_u32_e64 v9, null, v126, v9, vcc_lo
	v_add_nc_u32_e32 v28, s6, v26
	v_add_co_u32 v12, vcc_lo, v125, v12
	v_lshlrev_b64 v[18:19], 4, v[18:19]
	v_ashrrev_i32_e32 v25, 31, v24
	v_add_nc_u32_e32 v30, s6, v28
	;; [unrolled: 11-line block ×3, first 2 shown]
	v_add_co_ci_u32_e64 v17, null, v126, v17, vcc_lo
	v_add_co_u32 v18, vcc_lo, v125, v18
	v_lshlrev_b64 v[24:25], 4, v[24:25]
	v_ashrrev_i32_e32 v31, 31, v30
	v_add_co_ci_u32_e64 v19, null, v126, v19, vcc_lo
	v_add_co_u32 v20, vcc_lo, v125, v20
	v_lshlrev_b64 v[26:27], 4, v[26:27]
	v_add_nc_u32_e32 v38, s6, v36
	v_ashrrev_i32_e32 v33, 31, v32
	v_add_co_ci_u32_e64 v21, null, v126, v21, vcc_lo
	v_add_co_u32 v22, vcc_lo, v125, v22
	v_lshlrev_b64 v[28:29], 4, v[28:29]
	v_ashrrev_i32_e32 v35, 31, v34
	v_add_co_ci_u32_e64 v23, null, v126, v23, vcc_lo
	v_add_co_u32 v24, vcc_lo, v125, v24
	v_lshlrev_b64 v[30:31], 4, v[30:31]
	v_ashrrev_i32_e32 v37, 31, v36
	v_add_nc_u32_e32 v40, s6, v38
	v_add_co_ci_u32_e64 v25, null, v126, v25, vcc_lo
	v_add_co_u32 v26, vcc_lo, v125, v26
	v_lshlrev_b64 v[32:33], 4, v[32:33]
	v_ashrrev_i32_e32 v39, 31, v38
	v_add_co_ci_u32_e64 v27, null, v126, v27, vcc_lo
	v_add_co_u32 v28, vcc_lo, v125, v28
	v_lshlrev_b64 v[34:35], 4, v[34:35]
	v_add_co_ci_u32_e64 v29, null, v126, v29, vcc_lo
	v_add_co_u32 v30, vcc_lo, v125, v30
	v_lshlrev_b64 v[36:37], 4, v[36:37]
	v_add_nc_u32_e32 v42, s6, v40
	v_add_co_ci_u32_e64 v31, null, v126, v31, vcc_lo
	v_add_co_u32 v32, vcc_lo, v125, v32
	v_lshlrev_b64 v[38:39], 4, v[38:39]
	v_ashrrev_i32_e32 v41, 31, v40
	v_add_co_ci_u32_e64 v33, null, v126, v33, vcc_lo
	v_add_co_u32 v34, vcc_lo, v125, v34
	v_ashrrev_i32_e32 v43, 31, v42
	v_add_nc_u32_e32 v44, s6, v42
	v_add_co_ci_u32_e64 v35, null, v126, v35, vcc_lo
	v_add_co_u32 v36, vcc_lo, v125, v36
	v_lshlrev_b64 v[40:41], 4, v[40:41]
	v_add_co_ci_u32_e64 v37, null, v126, v37, vcc_lo
	v_add_co_u32 v114, vcc_lo, v125, v38
	v_add_co_ci_u32_e64 v115, null, v126, v39, vcc_lo
	v_lshlrev_b64 v[38:39], 4, v[42:43]
	v_ashrrev_i32_e32 v45, 31, v44
	v_add_nc_u32_e32 v42, s6, v44
	v_add_co_u32 v116, vcc_lo, v125, v40
	v_add_co_ci_u32_e64 v117, null, v126, v41, vcc_lo
	v_lshlrev_b64 v[40:41], 4, v[44:45]
	v_ashrrev_i32_e32 v43, 31, v42
	v_add_nc_u32_e32 v44, s6, v42
	v_add_co_u32 v122, vcc_lo, v125, v38
	v_add_co_ci_u32_e64 v123, null, v126, v39, vcc_lo
	v_lshlrev_b64 v[38:39], 4, v[42:43]
	v_add_nc_u32_e32 v42, s6, v44
	v_ashrrev_i32_e32 v45, 31, v44
	v_add_co_u32 v127, vcc_lo, v125, v40
	v_add_co_ci_u32_e64 v128, null, v126, v41, vcc_lo
	v_ashrrev_i32_e32 v43, 31, v42
	v_lshlrev_b64 v[40:41], 4, v[44:45]
	v_add_co_u32 v129, vcc_lo, v125, v38
	v_add_co_ci_u32_e64 v130, null, v126, v39, vcc_lo
	v_lshlrev_b64 v[38:39], 4, v[42:43]
	v_add_nc_u32_e32 v42, s6, v42
	v_add_co_u32 v131, vcc_lo, v125, v40
	v_add_co_ci_u32_e64 v132, null, v126, v41, vcc_lo
	v_ashrrev_i32_e32 v43, 31, v42
	v_add_co_u32 v133, vcc_lo, v125, v38
	v_add_co_ci_u32_e64 v134, null, v126, v39, vcc_lo
	v_add_co_u32 v40, vcc_lo, v125, v124
	v_add_co_ci_u32_e64 v41, null, 0, v126, vcc_lo
	v_lshlrev_b64 v[38:39], 4, v[42:43]
	v_add_co_u32 v42, vcc_lo, v40, s8
	v_add_co_ci_u32_e64 v43, null, s9, v41, vcc_lo
	s_max_i32 s0, s18, 28
	v_add_co_u32 v135, vcc_lo, v125, v38
	v_add_co_ci_u32_e64 v136, null, v126, v39, vcc_lo
	s_clause 0x1b
	global_load_dwordx4 v[110:113], v[40:41], off
	global_load_dwordx4 v[102:105], v[42:43], off
	;; [unrolled: 1-line block ×28, first 2 shown]
	v_mul_lo_u32 v122, s0, v1
	s_cmp_lt_i32 s18, 2
	v_lshl_add_u32 v1, v122, 4, 0
	v_add_nc_u32_e32 v114, v1, v124
	v_lshlrev_b32_e32 v124, 4, v122
	v_mov_b32_e32 v122, 0
	s_waitcnt vmcnt(27)
	ds_write2_b64 v114, v[110:111], v[112:113] offset1:1
	s_waitcnt vmcnt(0) lgkmcnt(0)
	s_barrier
	buffer_gl0_inv
	ds_read2_b64 v[114:117], v1 offset1:1
	s_cbranch_scc1 .LBB54_6
; %bb.4:
	v_add3_u32 v123, v124, 0, 16
	v_mov_b32_e32 v122, 0
	s_mov_b32 s3, 1
	s_inst_prefetch 0x1
	.p2align	6
.LBB54_5:                               ; =>This Inner Loop Header: Depth=1
	ds_read2_b64 v[127:130], v123 offset1:1
	s_waitcnt lgkmcnt(1)
	v_cmp_gt_f64_e32 vcc_lo, 0, v[114:115]
	v_cmp_gt_f64_e64 s0, 0, v[116:117]
	v_xor_b32_e32 v132, 0x80000000, v115
	v_xor_b32_e32 v134, 0x80000000, v117
	v_mov_b32_e32 v131, v114
	v_mov_b32_e32 v133, v116
	v_add_nc_u32_e32 v123, 16, v123
	s_waitcnt lgkmcnt(0)
	v_cmp_gt_f64_e64 s1, 0, v[127:128]
	v_cmp_gt_f64_e64 s2, 0, v[129:130]
	v_xor_b32_e32 v136, 0x80000000, v128
	v_xor_b32_e32 v138, 0x80000000, v130
	v_mov_b32_e32 v135, v127
	v_mov_b32_e32 v137, v129
	v_cndmask_b32_e32 v132, v115, v132, vcc_lo
	v_cndmask_b32_e64 v134, v117, v134, s0
	v_add_f64 v[131:132], v[131:132], v[133:134]
	v_cndmask_b32_e64 v136, v128, v136, s1
	v_cndmask_b32_e64 v138, v130, v138, s2
	v_add_f64 v[133:134], v[135:136], v[137:138]
	v_cmp_lt_f64_e32 vcc_lo, v[131:132], v[133:134]
	v_cndmask_b32_e32 v115, v115, v128, vcc_lo
	v_cndmask_b32_e32 v114, v114, v127, vcc_lo
	;; [unrolled: 1-line block ×4, first 2 shown]
	v_cndmask_b32_e64 v122, v122, s3, vcc_lo
	s_add_i32 s3, s3, 1
	s_cmp_eq_u32 s18, s3
	s_cbranch_scc0 .LBB54_5
.LBB54_6:
	s_inst_prefetch 0x2
	s_waitcnt lgkmcnt(0)
	v_cmp_neq_f64_e32 vcc_lo, 0, v[114:115]
	v_cmp_neq_f64_e64 s0, 0, v[116:117]
	v_mov_b32_e32 v127, 1
	v_mov_b32_e32 v129, 1
	s_or_b32 s1, vcc_lo, s0
	s_and_saveexec_b32 s0, s1
	s_cbranch_execz .LBB54_12
; %bb.7:
	v_cmp_ngt_f64_e64 s1, |v[114:115]|, |v[116:117]|
	s_and_saveexec_b32 s2, s1
	s_xor_b32 s1, exec_lo, s2
	s_cbranch_execz .LBB54_9
; %bb.8:
	v_div_scale_f64 v[127:128], null, v[116:117], v[116:117], v[114:115]
	v_div_scale_f64 v[133:134], vcc_lo, v[114:115], v[116:117], v[114:115]
	v_rcp_f64_e32 v[129:130], v[127:128]
	v_fma_f64 v[131:132], -v[127:128], v[129:130], 1.0
	v_fma_f64 v[129:130], v[129:130], v[131:132], v[129:130]
	v_fma_f64 v[131:132], -v[127:128], v[129:130], 1.0
	v_fma_f64 v[129:130], v[129:130], v[131:132], v[129:130]
	v_mul_f64 v[131:132], v[133:134], v[129:130]
	v_fma_f64 v[127:128], -v[127:128], v[131:132], v[133:134]
	v_div_fmas_f64 v[127:128], v[127:128], v[129:130], v[131:132]
	v_div_fixup_f64 v[127:128], v[127:128], v[116:117], v[114:115]
	v_fma_f64 v[114:115], v[114:115], v[127:128], v[116:117]
	v_div_scale_f64 v[116:117], null, v[114:115], v[114:115], 1.0
	v_rcp_f64_e32 v[129:130], v[116:117]
	v_fma_f64 v[131:132], -v[116:117], v[129:130], 1.0
	v_fma_f64 v[129:130], v[129:130], v[131:132], v[129:130]
	v_fma_f64 v[131:132], -v[116:117], v[129:130], 1.0
	v_fma_f64 v[129:130], v[129:130], v[131:132], v[129:130]
	v_div_scale_f64 v[131:132], vcc_lo, 1.0, v[114:115], 1.0
	v_mul_f64 v[133:134], v[131:132], v[129:130]
	v_fma_f64 v[116:117], -v[116:117], v[133:134], v[131:132]
	v_div_fmas_f64 v[116:117], v[116:117], v[129:130], v[133:134]
	v_div_fixup_f64 v[116:117], v[116:117], v[114:115], 1.0
	v_mul_f64 v[114:115], v[127:128], v[116:117]
	v_xor_b32_e32 v117, 0x80000000, v117
.LBB54_9:
	s_andn2_saveexec_b32 s1, s1
	s_cbranch_execz .LBB54_11
; %bb.10:
	v_div_scale_f64 v[127:128], null, v[114:115], v[114:115], v[116:117]
	v_div_scale_f64 v[133:134], vcc_lo, v[116:117], v[114:115], v[116:117]
	v_rcp_f64_e32 v[129:130], v[127:128]
	v_fma_f64 v[131:132], -v[127:128], v[129:130], 1.0
	v_fma_f64 v[129:130], v[129:130], v[131:132], v[129:130]
	v_fma_f64 v[131:132], -v[127:128], v[129:130], 1.0
	v_fma_f64 v[129:130], v[129:130], v[131:132], v[129:130]
	v_mul_f64 v[131:132], v[133:134], v[129:130]
	v_fma_f64 v[127:128], -v[127:128], v[131:132], v[133:134]
	v_div_fmas_f64 v[127:128], v[127:128], v[129:130], v[131:132]
	v_div_fixup_f64 v[127:128], v[127:128], v[114:115], v[116:117]
	v_fma_f64 v[114:115], v[116:117], v[127:128], v[114:115]
	v_div_scale_f64 v[116:117], null, v[114:115], v[114:115], 1.0
	v_rcp_f64_e32 v[129:130], v[116:117]
	v_fma_f64 v[131:132], -v[116:117], v[129:130], 1.0
	v_fma_f64 v[129:130], v[129:130], v[131:132], v[129:130]
	v_fma_f64 v[131:132], -v[116:117], v[129:130], 1.0
	v_fma_f64 v[129:130], v[129:130], v[131:132], v[129:130]
	v_div_scale_f64 v[131:132], vcc_lo, 1.0, v[114:115], 1.0
	v_mul_f64 v[133:134], v[131:132], v[129:130]
	v_fma_f64 v[116:117], -v[116:117], v[133:134], v[131:132]
	v_div_fmas_f64 v[116:117], v[116:117], v[129:130], v[133:134]
	v_div_fixup_f64 v[114:115], v[116:117], v[114:115], 1.0
	v_mul_f64 v[116:117], v[127:128], -v[114:115]
.LBB54_11:
	s_or_b32 exec_lo, exec_lo, s1
	v_mov_b32_e32 v129, 0
	v_mov_b32_e32 v127, 2
.LBB54_12:
	s_or_b32 exec_lo, exec_lo, s0
	s_mov_b32 s0, exec_lo
	v_cmpx_ne_u32_e64 v0, v122
	s_xor_b32 s0, exec_lo, s0
	s_cbranch_execz .LBB54_18
; %bb.13:
	s_mov_b32 s1, exec_lo
	v_cmpx_eq_u32_e32 0, v0
	s_cbranch_execz .LBB54_17
; %bb.14:
	v_cmp_ne_u32_e32 vcc_lo, 0, v122
	s_xor_b32 s2, s16, -1
	s_and_b32 s3, s2, vcc_lo
	s_and_saveexec_b32 s2, s3
	s_cbranch_execz .LBB54_16
; %bb.15:
	v_ashrrev_i32_e32 v123, 31, v122
	v_lshlrev_b64 v[130:131], 2, v[122:123]
	v_add_co_u32 v130, vcc_lo, v120, v130
	v_add_co_ci_u32_e64 v131, null, v121, v131, vcc_lo
	s_clause 0x1
	global_load_dword v0, v[130:131], off
	global_load_dword v123, v[120:121], off
	s_waitcnt vmcnt(1)
	global_store_dword v[120:121], v0, off
	s_waitcnt vmcnt(0)
	global_store_dword v[130:131], v123, off
.LBB54_16:
	s_or_b32 exec_lo, exec_lo, s2
	v_mov_b32_e32 v0, v122
.LBB54_17:
	s_or_b32 exec_lo, exec_lo, s1
.LBB54_18:
	s_or_saveexec_b32 s0, s0
	v_mov_b32_e32 v128, v0
	s_xor_b32 exec_lo, exec_lo, s0
	s_cbranch_execz .LBB54_20
; %bb.19:
	v_mov_b32_e32 v128, 0
	ds_write2_b64 v1, v[102:103], v[104:105] offset0:2 offset1:3
	ds_write2_b64 v1, v[106:107], v[108:109] offset0:4 offset1:5
	;; [unrolled: 1-line block ×27, first 2 shown]
.LBB54_20:
	s_or_b32 exec_lo, exec_lo, s0
	s_mov_b32 s0, exec_lo
	s_waitcnt lgkmcnt(0)
	s_waitcnt_vscnt null, 0x0
	s_barrier
	buffer_gl0_inv
	v_cmpx_lt_i32_e32 0, v128
	s_cbranch_execz .LBB54_22
; %bb.21:
	v_mul_f64 v[122:123], v[116:117], v[112:113]
	v_mul_f64 v[112:113], v[114:115], v[112:113]
	v_fma_f64 v[122:123], v[114:115], v[110:111], -v[122:123]
	v_fma_f64 v[112:113], v[116:117], v[110:111], v[112:113]
	ds_read2_b64 v[114:117], v1 offset0:2 offset1:3
	s_waitcnt lgkmcnt(0)
	v_mul_f64 v[110:111], v[116:117], v[112:113]
	v_fma_f64 v[110:111], v[114:115], v[122:123], -v[110:111]
	v_mul_f64 v[114:115], v[114:115], v[112:113]
	v_add_f64 v[102:103], v[102:103], -v[110:111]
	v_fma_f64 v[114:115], v[116:117], v[122:123], v[114:115]
	v_add_f64 v[104:105], v[104:105], -v[114:115]
	ds_read2_b64 v[114:117], v1 offset0:4 offset1:5
	s_waitcnt lgkmcnt(0)
	v_mul_f64 v[110:111], v[116:117], v[112:113]
	v_fma_f64 v[110:111], v[114:115], v[122:123], -v[110:111]
	v_mul_f64 v[114:115], v[114:115], v[112:113]
	v_add_f64 v[106:107], v[106:107], -v[110:111]
	v_fma_f64 v[114:115], v[116:117], v[122:123], v[114:115]
	v_add_f64 v[108:109], v[108:109], -v[114:115]
	;; [unrolled: 8-line block ×26, first 2 shown]
	ds_read2_b64 v[114:117], v1 offset0:54 offset1:55
	s_waitcnt lgkmcnt(0)
	v_mul_f64 v[110:111], v[116:117], v[112:113]
	v_fma_f64 v[110:111], v[114:115], v[122:123], -v[110:111]
	v_mul_f64 v[114:115], v[114:115], v[112:113]
	v_add_f64 v[2:3], v[2:3], -v[110:111]
	v_fma_f64 v[114:115], v[116:117], v[122:123], v[114:115]
	v_mov_b32_e32 v110, v122
	v_mov_b32_e32 v111, v123
	v_add_f64 v[4:5], v[4:5], -v[114:115]
.LBB54_22:
	s_or_b32 exec_lo, exec_lo, s0
	v_lshl_add_u32 v114, v128, 4, v1
	s_barrier
	buffer_gl0_inv
	v_mov_b32_e32 v122, 1
	ds_write2_b64 v114, v[102:103], v[104:105] offset1:1
	s_waitcnt lgkmcnt(0)
	s_barrier
	buffer_gl0_inv
	ds_read2_b64 v[114:117], v1 offset0:2 offset1:3
	s_cmp_lt_i32 s18, 3
	s_cbranch_scc1 .LBB54_25
; %bb.23:
	v_add3_u32 v123, v124, 0, 32
	v_mov_b32_e32 v122, 1
	s_mov_b32 s1, 2
	s_inst_prefetch 0x1
	.p2align	6
.LBB54_24:                              ; =>This Inner Loop Header: Depth=1
	s_waitcnt lgkmcnt(0)
	v_cmp_gt_f64_e32 vcc_lo, 0, v[116:117]
	v_cmp_gt_f64_e64 s0, 0, v[114:115]
	ds_read2_b64 v[130:133], v123 offset1:1
	v_xor_b32_e32 v135, 0x80000000, v115
	v_xor_b32_e32 v137, 0x80000000, v117
	v_mov_b32_e32 v134, v114
	v_mov_b32_e32 v136, v116
	v_add_nc_u32_e32 v123, 16, v123
	s_waitcnt lgkmcnt(0)
	v_xor_b32_e32 v139, 0x80000000, v133
	v_cndmask_b32_e64 v135, v115, v135, s0
	v_cndmask_b32_e32 v137, v117, v137, vcc_lo
	v_cmp_gt_f64_e32 vcc_lo, 0, v[132:133]
	v_cmp_gt_f64_e64 s0, 0, v[130:131]
	v_mov_b32_e32 v138, v132
	v_add_f64 v[134:135], v[134:135], v[136:137]
	v_xor_b32_e32 v137, 0x80000000, v131
	v_mov_b32_e32 v136, v130
	v_cndmask_b32_e32 v139, v133, v139, vcc_lo
	v_cndmask_b32_e64 v137, v131, v137, s0
	v_add_f64 v[136:137], v[136:137], v[138:139]
	v_cmp_lt_f64_e32 vcc_lo, v[134:135], v[136:137]
	v_cndmask_b32_e32 v115, v115, v131, vcc_lo
	v_cndmask_b32_e32 v114, v114, v130, vcc_lo
	;; [unrolled: 1-line block ×4, first 2 shown]
	v_cndmask_b32_e64 v122, v122, s1, vcc_lo
	s_add_i32 s1, s1, 1
	s_cmp_lg_u32 s18, s1
	s_cbranch_scc1 .LBB54_24
.LBB54_25:
	s_inst_prefetch 0x2
	s_waitcnt lgkmcnt(0)
	v_cmp_neq_f64_e32 vcc_lo, 0, v[114:115]
	v_cmp_neq_f64_e64 s0, 0, v[116:117]
	s_or_b32 s1, vcc_lo, s0
	s_and_saveexec_b32 s0, s1
	s_cbranch_execz .LBB54_31
; %bb.26:
	v_cmp_ngt_f64_e64 s1, |v[114:115]|, |v[116:117]|
	s_and_saveexec_b32 s2, s1
	s_xor_b32 s1, exec_lo, s2
	s_cbranch_execz .LBB54_28
; %bb.27:
	v_div_scale_f64 v[130:131], null, v[116:117], v[116:117], v[114:115]
	v_div_scale_f64 v[136:137], vcc_lo, v[114:115], v[116:117], v[114:115]
	v_rcp_f64_e32 v[132:133], v[130:131]
	v_fma_f64 v[134:135], -v[130:131], v[132:133], 1.0
	v_fma_f64 v[132:133], v[132:133], v[134:135], v[132:133]
	v_fma_f64 v[134:135], -v[130:131], v[132:133], 1.0
	v_fma_f64 v[132:133], v[132:133], v[134:135], v[132:133]
	v_mul_f64 v[134:135], v[136:137], v[132:133]
	v_fma_f64 v[130:131], -v[130:131], v[134:135], v[136:137]
	v_div_fmas_f64 v[130:131], v[130:131], v[132:133], v[134:135]
	v_div_fixup_f64 v[130:131], v[130:131], v[116:117], v[114:115]
	v_fma_f64 v[114:115], v[114:115], v[130:131], v[116:117]
	v_div_scale_f64 v[116:117], null, v[114:115], v[114:115], 1.0
	v_rcp_f64_e32 v[132:133], v[116:117]
	v_fma_f64 v[134:135], -v[116:117], v[132:133], 1.0
	v_fma_f64 v[132:133], v[132:133], v[134:135], v[132:133]
	v_fma_f64 v[134:135], -v[116:117], v[132:133], 1.0
	v_fma_f64 v[132:133], v[132:133], v[134:135], v[132:133]
	v_div_scale_f64 v[134:135], vcc_lo, 1.0, v[114:115], 1.0
	v_mul_f64 v[136:137], v[134:135], v[132:133]
	v_fma_f64 v[116:117], -v[116:117], v[136:137], v[134:135]
	v_div_fmas_f64 v[116:117], v[116:117], v[132:133], v[136:137]
	v_div_fixup_f64 v[116:117], v[116:117], v[114:115], 1.0
	v_mul_f64 v[114:115], v[130:131], v[116:117]
	v_xor_b32_e32 v117, 0x80000000, v117
.LBB54_28:
	s_andn2_saveexec_b32 s1, s1
	s_cbranch_execz .LBB54_30
; %bb.29:
	v_div_scale_f64 v[130:131], null, v[114:115], v[114:115], v[116:117]
	v_div_scale_f64 v[136:137], vcc_lo, v[116:117], v[114:115], v[116:117]
	v_rcp_f64_e32 v[132:133], v[130:131]
	v_fma_f64 v[134:135], -v[130:131], v[132:133], 1.0
	v_fma_f64 v[132:133], v[132:133], v[134:135], v[132:133]
	v_fma_f64 v[134:135], -v[130:131], v[132:133], 1.0
	v_fma_f64 v[132:133], v[132:133], v[134:135], v[132:133]
	v_mul_f64 v[134:135], v[136:137], v[132:133]
	v_fma_f64 v[130:131], -v[130:131], v[134:135], v[136:137]
	v_div_fmas_f64 v[130:131], v[130:131], v[132:133], v[134:135]
	v_div_fixup_f64 v[130:131], v[130:131], v[114:115], v[116:117]
	v_fma_f64 v[114:115], v[116:117], v[130:131], v[114:115]
	v_div_scale_f64 v[116:117], null, v[114:115], v[114:115], 1.0
	v_rcp_f64_e32 v[132:133], v[116:117]
	v_fma_f64 v[134:135], -v[116:117], v[132:133], 1.0
	v_fma_f64 v[132:133], v[132:133], v[134:135], v[132:133]
	v_fma_f64 v[134:135], -v[116:117], v[132:133], 1.0
	v_fma_f64 v[132:133], v[132:133], v[134:135], v[132:133]
	v_div_scale_f64 v[134:135], vcc_lo, 1.0, v[114:115], 1.0
	v_mul_f64 v[136:137], v[134:135], v[132:133]
	v_fma_f64 v[116:117], -v[116:117], v[136:137], v[134:135]
	v_div_fmas_f64 v[116:117], v[116:117], v[132:133], v[136:137]
	v_div_fixup_f64 v[114:115], v[116:117], v[114:115], 1.0
	v_mul_f64 v[116:117], v[130:131], -v[114:115]
.LBB54_30:
	s_or_b32 exec_lo, exec_lo, s1
	v_mov_b32_e32 v127, v129
.LBB54_31:
	s_or_b32 exec_lo, exec_lo, s0
	s_mov_b32 s0, exec_lo
	v_cmpx_ne_u32_e64 v128, v122
	s_xor_b32 s0, exec_lo, s0
	s_cbranch_execz .LBB54_37
; %bb.32:
	s_mov_b32 s1, exec_lo
	v_cmpx_eq_u32_e32 1, v128
	s_cbranch_execz .LBB54_36
; %bb.33:
	v_cmp_ne_u32_e32 vcc_lo, 1, v122
	s_xor_b32 s2, s16, -1
	s_and_b32 s3, s2, vcc_lo
	s_and_saveexec_b32 s2, s3
	s_cbranch_execz .LBB54_35
; %bb.34:
	v_ashrrev_i32_e32 v123, 31, v122
	v_lshlrev_b64 v[128:129], 2, v[122:123]
	v_add_co_u32 v128, vcc_lo, v120, v128
	v_add_co_ci_u32_e64 v129, null, v121, v129, vcc_lo
	s_clause 0x1
	global_load_dword v0, v[128:129], off
	global_load_dword v123, v[120:121], off offset:4
	s_waitcnt vmcnt(1)
	global_store_dword v[120:121], v0, off offset:4
	s_waitcnt vmcnt(0)
	global_store_dword v[128:129], v123, off
.LBB54_35:
	s_or_b32 exec_lo, exec_lo, s2
	v_mov_b32_e32 v128, v122
	v_mov_b32_e32 v0, v122
.LBB54_36:
	s_or_b32 exec_lo, exec_lo, s1
.LBB54_37:
	s_andn2_saveexec_b32 s0, s0
	s_cbranch_execz .LBB54_39
; %bb.38:
	v_mov_b32_e32 v128, 1
	ds_write2_b64 v1, v[106:107], v[108:109] offset0:4 offset1:5
	ds_write2_b64 v1, v[98:99], v[100:101] offset0:6 offset1:7
	;; [unrolled: 1-line block ×26, first 2 shown]
.LBB54_39:
	s_or_b32 exec_lo, exec_lo, s0
	s_mov_b32 s0, exec_lo
	s_waitcnt lgkmcnt(0)
	s_waitcnt_vscnt null, 0x0
	s_barrier
	buffer_gl0_inv
	v_cmpx_lt_i32_e32 1, v128
	s_cbranch_execz .LBB54_41
; %bb.40:
	v_mul_f64 v[122:123], v[116:117], v[104:105]
	v_mul_f64 v[104:105], v[114:115], v[104:105]
	v_fma_f64 v[122:123], v[114:115], v[102:103], -v[122:123]
	v_fma_f64 v[104:105], v[116:117], v[102:103], v[104:105]
	ds_read2_b64 v[114:117], v1 offset0:4 offset1:5
	s_waitcnt lgkmcnt(0)
	v_mul_f64 v[102:103], v[116:117], v[104:105]
	v_fma_f64 v[102:103], v[114:115], v[122:123], -v[102:103]
	v_mul_f64 v[114:115], v[114:115], v[104:105]
	v_add_f64 v[106:107], v[106:107], -v[102:103]
	v_fma_f64 v[114:115], v[116:117], v[122:123], v[114:115]
	v_add_f64 v[108:109], v[108:109], -v[114:115]
	ds_read2_b64 v[114:117], v1 offset0:6 offset1:7
	s_waitcnt lgkmcnt(0)
	v_mul_f64 v[102:103], v[116:117], v[104:105]
	v_fma_f64 v[102:103], v[114:115], v[122:123], -v[102:103]
	v_mul_f64 v[114:115], v[114:115], v[104:105]
	v_add_f64 v[98:99], v[98:99], -v[102:103]
	v_fma_f64 v[114:115], v[116:117], v[122:123], v[114:115]
	v_add_f64 v[100:101], v[100:101], -v[114:115]
	;; [unrolled: 8-line block ×25, first 2 shown]
	ds_read2_b64 v[114:117], v1 offset0:54 offset1:55
	s_waitcnt lgkmcnt(0)
	v_mul_f64 v[102:103], v[116:117], v[104:105]
	v_fma_f64 v[102:103], v[114:115], v[122:123], -v[102:103]
	v_mul_f64 v[114:115], v[114:115], v[104:105]
	v_add_f64 v[2:3], v[2:3], -v[102:103]
	v_fma_f64 v[114:115], v[116:117], v[122:123], v[114:115]
	v_mov_b32_e32 v102, v122
	v_mov_b32_e32 v103, v123
	v_add_f64 v[4:5], v[4:5], -v[114:115]
.LBB54_41:
	s_or_b32 exec_lo, exec_lo, s0
	v_lshl_add_u32 v114, v128, 4, v1
	s_barrier
	buffer_gl0_inv
	v_mov_b32_e32 v122, 2
	ds_write2_b64 v114, v[106:107], v[108:109] offset1:1
	s_waitcnt lgkmcnt(0)
	s_barrier
	buffer_gl0_inv
	ds_read2_b64 v[114:117], v1 offset0:4 offset1:5
	s_cmp_lt_i32 s18, 4
	s_cbranch_scc1 .LBB54_44
; %bb.42:
	v_add3_u32 v123, v124, 0, 48
	v_mov_b32_e32 v122, 2
	s_mov_b32 s1, 3
	s_inst_prefetch 0x1
	.p2align	6
.LBB54_43:                              ; =>This Inner Loop Header: Depth=1
	s_waitcnt lgkmcnt(0)
	v_cmp_gt_f64_e32 vcc_lo, 0, v[116:117]
	v_cmp_gt_f64_e64 s0, 0, v[114:115]
	ds_read2_b64 v[129:132], v123 offset1:1
	v_xor_b32_e32 v134, 0x80000000, v115
	v_xor_b32_e32 v136, 0x80000000, v117
	v_mov_b32_e32 v133, v114
	v_mov_b32_e32 v135, v116
	v_add_nc_u32_e32 v123, 16, v123
	s_waitcnt lgkmcnt(0)
	v_xor_b32_e32 v138, 0x80000000, v132
	v_cndmask_b32_e64 v134, v115, v134, s0
	v_cndmask_b32_e32 v136, v117, v136, vcc_lo
	v_cmp_gt_f64_e32 vcc_lo, 0, v[131:132]
	v_cmp_gt_f64_e64 s0, 0, v[129:130]
	v_mov_b32_e32 v137, v131
	v_add_f64 v[133:134], v[133:134], v[135:136]
	v_xor_b32_e32 v136, 0x80000000, v130
	v_mov_b32_e32 v135, v129
	v_cndmask_b32_e32 v138, v132, v138, vcc_lo
	v_cndmask_b32_e64 v136, v130, v136, s0
	v_add_f64 v[135:136], v[135:136], v[137:138]
	v_cmp_lt_f64_e32 vcc_lo, v[133:134], v[135:136]
	v_cndmask_b32_e32 v115, v115, v130, vcc_lo
	v_cndmask_b32_e32 v114, v114, v129, vcc_lo
	;; [unrolled: 1-line block ×4, first 2 shown]
	v_cndmask_b32_e64 v122, v122, s1, vcc_lo
	s_add_i32 s1, s1, 1
	s_cmp_lg_u32 s18, s1
	s_cbranch_scc1 .LBB54_43
.LBB54_44:
	s_inst_prefetch 0x2
	s_waitcnt lgkmcnt(0)
	v_cmp_eq_f64_e32 vcc_lo, 0, v[114:115]
	v_cmp_eq_f64_e64 s0, 0, v[116:117]
	s_and_b32 s0, vcc_lo, s0
	s_and_saveexec_b32 s1, s0
	s_xor_b32 s0, exec_lo, s1
; %bb.45:
	v_cmp_ne_u32_e32 vcc_lo, 0, v127
	v_cndmask_b32_e32 v127, 3, v127, vcc_lo
; %bb.46:
	s_andn2_saveexec_b32 s0, s0
	s_cbranch_execz .LBB54_52
; %bb.47:
	v_cmp_ngt_f64_e64 s1, |v[114:115]|, |v[116:117]|
	s_and_saveexec_b32 s2, s1
	s_xor_b32 s1, exec_lo, s2
	s_cbranch_execz .LBB54_49
; %bb.48:
	v_div_scale_f64 v[129:130], null, v[116:117], v[116:117], v[114:115]
	v_div_scale_f64 v[135:136], vcc_lo, v[114:115], v[116:117], v[114:115]
	v_rcp_f64_e32 v[131:132], v[129:130]
	v_fma_f64 v[133:134], -v[129:130], v[131:132], 1.0
	v_fma_f64 v[131:132], v[131:132], v[133:134], v[131:132]
	v_fma_f64 v[133:134], -v[129:130], v[131:132], 1.0
	v_fma_f64 v[131:132], v[131:132], v[133:134], v[131:132]
	v_mul_f64 v[133:134], v[135:136], v[131:132]
	v_fma_f64 v[129:130], -v[129:130], v[133:134], v[135:136]
	v_div_fmas_f64 v[129:130], v[129:130], v[131:132], v[133:134]
	v_div_fixup_f64 v[129:130], v[129:130], v[116:117], v[114:115]
	v_fma_f64 v[114:115], v[114:115], v[129:130], v[116:117]
	v_div_scale_f64 v[116:117], null, v[114:115], v[114:115], 1.0
	v_rcp_f64_e32 v[131:132], v[116:117]
	v_fma_f64 v[133:134], -v[116:117], v[131:132], 1.0
	v_fma_f64 v[131:132], v[131:132], v[133:134], v[131:132]
	v_fma_f64 v[133:134], -v[116:117], v[131:132], 1.0
	v_fma_f64 v[131:132], v[131:132], v[133:134], v[131:132]
	v_div_scale_f64 v[133:134], vcc_lo, 1.0, v[114:115], 1.0
	v_mul_f64 v[135:136], v[133:134], v[131:132]
	v_fma_f64 v[116:117], -v[116:117], v[135:136], v[133:134]
	v_div_fmas_f64 v[116:117], v[116:117], v[131:132], v[135:136]
	v_div_fixup_f64 v[116:117], v[116:117], v[114:115], 1.0
	v_mul_f64 v[114:115], v[129:130], v[116:117]
	v_xor_b32_e32 v117, 0x80000000, v117
.LBB54_49:
	s_andn2_saveexec_b32 s1, s1
	s_cbranch_execz .LBB54_51
; %bb.50:
	v_div_scale_f64 v[129:130], null, v[114:115], v[114:115], v[116:117]
	v_div_scale_f64 v[135:136], vcc_lo, v[116:117], v[114:115], v[116:117]
	v_rcp_f64_e32 v[131:132], v[129:130]
	v_fma_f64 v[133:134], -v[129:130], v[131:132], 1.0
	v_fma_f64 v[131:132], v[131:132], v[133:134], v[131:132]
	v_fma_f64 v[133:134], -v[129:130], v[131:132], 1.0
	v_fma_f64 v[131:132], v[131:132], v[133:134], v[131:132]
	v_mul_f64 v[133:134], v[135:136], v[131:132]
	v_fma_f64 v[129:130], -v[129:130], v[133:134], v[135:136]
	v_div_fmas_f64 v[129:130], v[129:130], v[131:132], v[133:134]
	v_div_fixup_f64 v[129:130], v[129:130], v[114:115], v[116:117]
	v_fma_f64 v[114:115], v[116:117], v[129:130], v[114:115]
	v_div_scale_f64 v[116:117], null, v[114:115], v[114:115], 1.0
	v_rcp_f64_e32 v[131:132], v[116:117]
	v_fma_f64 v[133:134], -v[116:117], v[131:132], 1.0
	v_fma_f64 v[131:132], v[131:132], v[133:134], v[131:132]
	v_fma_f64 v[133:134], -v[116:117], v[131:132], 1.0
	v_fma_f64 v[131:132], v[131:132], v[133:134], v[131:132]
	v_div_scale_f64 v[133:134], vcc_lo, 1.0, v[114:115], 1.0
	v_mul_f64 v[135:136], v[133:134], v[131:132]
	v_fma_f64 v[116:117], -v[116:117], v[135:136], v[133:134]
	v_div_fmas_f64 v[116:117], v[116:117], v[131:132], v[135:136]
	v_div_fixup_f64 v[114:115], v[116:117], v[114:115], 1.0
	v_mul_f64 v[116:117], v[129:130], -v[114:115]
.LBB54_51:
	s_or_b32 exec_lo, exec_lo, s1
.LBB54_52:
	s_or_b32 exec_lo, exec_lo, s0
	s_mov_b32 s0, exec_lo
	v_cmpx_ne_u32_e64 v128, v122
	s_xor_b32 s0, exec_lo, s0
	s_cbranch_execz .LBB54_58
; %bb.53:
	s_mov_b32 s1, exec_lo
	v_cmpx_eq_u32_e32 2, v128
	s_cbranch_execz .LBB54_57
; %bb.54:
	v_cmp_ne_u32_e32 vcc_lo, 2, v122
	s_xor_b32 s2, s16, -1
	s_and_b32 s3, s2, vcc_lo
	s_and_saveexec_b32 s2, s3
	s_cbranch_execz .LBB54_56
; %bb.55:
	v_ashrrev_i32_e32 v123, 31, v122
	v_lshlrev_b64 v[128:129], 2, v[122:123]
	v_add_co_u32 v128, vcc_lo, v120, v128
	v_add_co_ci_u32_e64 v129, null, v121, v129, vcc_lo
	s_clause 0x1
	global_load_dword v0, v[128:129], off
	global_load_dword v123, v[120:121], off offset:8
	s_waitcnt vmcnt(1)
	global_store_dword v[120:121], v0, off offset:8
	s_waitcnt vmcnt(0)
	global_store_dword v[128:129], v123, off
.LBB54_56:
	s_or_b32 exec_lo, exec_lo, s2
	v_mov_b32_e32 v128, v122
	v_mov_b32_e32 v0, v122
.LBB54_57:
	s_or_b32 exec_lo, exec_lo, s1
.LBB54_58:
	s_andn2_saveexec_b32 s0, s0
	s_cbranch_execz .LBB54_60
; %bb.59:
	v_mov_b32_e32 v128, 2
	ds_write2_b64 v1, v[98:99], v[100:101] offset0:6 offset1:7
	ds_write2_b64 v1, v[94:95], v[96:97] offset0:8 offset1:9
	;; [unrolled: 1-line block ×25, first 2 shown]
.LBB54_60:
	s_or_b32 exec_lo, exec_lo, s0
	s_mov_b32 s0, exec_lo
	s_waitcnt lgkmcnt(0)
	s_waitcnt_vscnt null, 0x0
	s_barrier
	buffer_gl0_inv
	v_cmpx_lt_i32_e32 2, v128
	s_cbranch_execz .LBB54_62
; %bb.61:
	v_mul_f64 v[122:123], v[116:117], v[108:109]
	v_mul_f64 v[108:109], v[114:115], v[108:109]
	v_fma_f64 v[122:123], v[114:115], v[106:107], -v[122:123]
	v_fma_f64 v[108:109], v[116:117], v[106:107], v[108:109]
	ds_read2_b64 v[114:117], v1 offset0:6 offset1:7
	s_waitcnt lgkmcnt(0)
	v_mul_f64 v[106:107], v[116:117], v[108:109]
	v_fma_f64 v[106:107], v[114:115], v[122:123], -v[106:107]
	v_mul_f64 v[114:115], v[114:115], v[108:109]
	v_add_f64 v[98:99], v[98:99], -v[106:107]
	v_fma_f64 v[114:115], v[116:117], v[122:123], v[114:115]
	v_add_f64 v[100:101], v[100:101], -v[114:115]
	ds_read2_b64 v[114:117], v1 offset0:8 offset1:9
	s_waitcnt lgkmcnt(0)
	v_mul_f64 v[106:107], v[116:117], v[108:109]
	v_fma_f64 v[106:107], v[114:115], v[122:123], -v[106:107]
	v_mul_f64 v[114:115], v[114:115], v[108:109]
	v_add_f64 v[94:95], v[94:95], -v[106:107]
	v_fma_f64 v[114:115], v[116:117], v[122:123], v[114:115]
	v_add_f64 v[96:97], v[96:97], -v[114:115]
	;; [unrolled: 8-line block ×24, first 2 shown]
	ds_read2_b64 v[114:117], v1 offset0:54 offset1:55
	s_waitcnt lgkmcnt(0)
	v_mul_f64 v[106:107], v[116:117], v[108:109]
	v_fma_f64 v[106:107], v[114:115], v[122:123], -v[106:107]
	v_mul_f64 v[114:115], v[114:115], v[108:109]
	v_add_f64 v[2:3], v[2:3], -v[106:107]
	v_fma_f64 v[114:115], v[116:117], v[122:123], v[114:115]
	v_mov_b32_e32 v106, v122
	v_mov_b32_e32 v107, v123
	v_add_f64 v[4:5], v[4:5], -v[114:115]
.LBB54_62:
	s_or_b32 exec_lo, exec_lo, s0
	v_lshl_add_u32 v114, v128, 4, v1
	s_barrier
	buffer_gl0_inv
	v_mov_b32_e32 v122, 3
	ds_write2_b64 v114, v[98:99], v[100:101] offset1:1
	s_waitcnt lgkmcnt(0)
	s_barrier
	buffer_gl0_inv
	ds_read2_b64 v[114:117], v1 offset0:6 offset1:7
	s_cmp_lt_i32 s18, 5
	s_mov_b32 s1, 4
	s_cbranch_scc1 .LBB54_65
; %bb.63:
	v_add3_u32 v123, v124, 0, 64
	v_mov_b32_e32 v122, 3
	s_inst_prefetch 0x1
	.p2align	6
.LBB54_64:                              ; =>This Inner Loop Header: Depth=1
	s_waitcnt lgkmcnt(0)
	v_cmp_gt_f64_e32 vcc_lo, 0, v[116:117]
	v_cmp_gt_f64_e64 s0, 0, v[114:115]
	ds_read2_b64 v[129:132], v123 offset1:1
	v_xor_b32_e32 v134, 0x80000000, v115
	v_xor_b32_e32 v136, 0x80000000, v117
	v_mov_b32_e32 v133, v114
	v_mov_b32_e32 v135, v116
	v_add_nc_u32_e32 v123, 16, v123
	s_waitcnt lgkmcnt(0)
	v_xor_b32_e32 v138, 0x80000000, v132
	v_cndmask_b32_e64 v134, v115, v134, s0
	v_cndmask_b32_e32 v136, v117, v136, vcc_lo
	v_cmp_gt_f64_e32 vcc_lo, 0, v[131:132]
	v_cmp_gt_f64_e64 s0, 0, v[129:130]
	v_mov_b32_e32 v137, v131
	v_add_f64 v[133:134], v[133:134], v[135:136]
	v_xor_b32_e32 v136, 0x80000000, v130
	v_mov_b32_e32 v135, v129
	v_cndmask_b32_e32 v138, v132, v138, vcc_lo
	v_cndmask_b32_e64 v136, v130, v136, s0
	v_add_f64 v[135:136], v[135:136], v[137:138]
	v_cmp_lt_f64_e32 vcc_lo, v[133:134], v[135:136]
	v_cndmask_b32_e32 v115, v115, v130, vcc_lo
	v_cndmask_b32_e32 v114, v114, v129, vcc_lo
	;; [unrolled: 1-line block ×4, first 2 shown]
	v_cndmask_b32_e64 v122, v122, s1, vcc_lo
	s_add_i32 s1, s1, 1
	s_cmp_lg_u32 s18, s1
	s_cbranch_scc1 .LBB54_64
.LBB54_65:
	s_inst_prefetch 0x2
	s_waitcnt lgkmcnt(0)
	v_cmp_eq_f64_e32 vcc_lo, 0, v[114:115]
	v_cmp_eq_f64_e64 s0, 0, v[116:117]
	s_and_b32 s0, vcc_lo, s0
	s_and_saveexec_b32 s1, s0
	s_xor_b32 s0, exec_lo, s1
; %bb.66:
	v_cmp_ne_u32_e32 vcc_lo, 0, v127
	v_cndmask_b32_e32 v127, 4, v127, vcc_lo
; %bb.67:
	s_andn2_saveexec_b32 s0, s0
	s_cbranch_execz .LBB54_73
; %bb.68:
	v_cmp_ngt_f64_e64 s1, |v[114:115]|, |v[116:117]|
	s_and_saveexec_b32 s2, s1
	s_xor_b32 s1, exec_lo, s2
	s_cbranch_execz .LBB54_70
; %bb.69:
	v_div_scale_f64 v[129:130], null, v[116:117], v[116:117], v[114:115]
	v_div_scale_f64 v[135:136], vcc_lo, v[114:115], v[116:117], v[114:115]
	v_rcp_f64_e32 v[131:132], v[129:130]
	v_fma_f64 v[133:134], -v[129:130], v[131:132], 1.0
	v_fma_f64 v[131:132], v[131:132], v[133:134], v[131:132]
	v_fma_f64 v[133:134], -v[129:130], v[131:132], 1.0
	v_fma_f64 v[131:132], v[131:132], v[133:134], v[131:132]
	v_mul_f64 v[133:134], v[135:136], v[131:132]
	v_fma_f64 v[129:130], -v[129:130], v[133:134], v[135:136]
	v_div_fmas_f64 v[129:130], v[129:130], v[131:132], v[133:134]
	v_div_fixup_f64 v[129:130], v[129:130], v[116:117], v[114:115]
	v_fma_f64 v[114:115], v[114:115], v[129:130], v[116:117]
	v_div_scale_f64 v[116:117], null, v[114:115], v[114:115], 1.0
	v_rcp_f64_e32 v[131:132], v[116:117]
	v_fma_f64 v[133:134], -v[116:117], v[131:132], 1.0
	v_fma_f64 v[131:132], v[131:132], v[133:134], v[131:132]
	v_fma_f64 v[133:134], -v[116:117], v[131:132], 1.0
	v_fma_f64 v[131:132], v[131:132], v[133:134], v[131:132]
	v_div_scale_f64 v[133:134], vcc_lo, 1.0, v[114:115], 1.0
	v_mul_f64 v[135:136], v[133:134], v[131:132]
	v_fma_f64 v[116:117], -v[116:117], v[135:136], v[133:134]
	v_div_fmas_f64 v[116:117], v[116:117], v[131:132], v[135:136]
	v_div_fixup_f64 v[116:117], v[116:117], v[114:115], 1.0
	v_mul_f64 v[114:115], v[129:130], v[116:117]
	v_xor_b32_e32 v117, 0x80000000, v117
.LBB54_70:
	s_andn2_saveexec_b32 s1, s1
	s_cbranch_execz .LBB54_72
; %bb.71:
	v_div_scale_f64 v[129:130], null, v[114:115], v[114:115], v[116:117]
	v_div_scale_f64 v[135:136], vcc_lo, v[116:117], v[114:115], v[116:117]
	v_rcp_f64_e32 v[131:132], v[129:130]
	v_fma_f64 v[133:134], -v[129:130], v[131:132], 1.0
	v_fma_f64 v[131:132], v[131:132], v[133:134], v[131:132]
	v_fma_f64 v[133:134], -v[129:130], v[131:132], 1.0
	v_fma_f64 v[131:132], v[131:132], v[133:134], v[131:132]
	v_mul_f64 v[133:134], v[135:136], v[131:132]
	v_fma_f64 v[129:130], -v[129:130], v[133:134], v[135:136]
	v_div_fmas_f64 v[129:130], v[129:130], v[131:132], v[133:134]
	v_div_fixup_f64 v[129:130], v[129:130], v[114:115], v[116:117]
	v_fma_f64 v[114:115], v[116:117], v[129:130], v[114:115]
	v_div_scale_f64 v[116:117], null, v[114:115], v[114:115], 1.0
	v_rcp_f64_e32 v[131:132], v[116:117]
	v_fma_f64 v[133:134], -v[116:117], v[131:132], 1.0
	v_fma_f64 v[131:132], v[131:132], v[133:134], v[131:132]
	v_fma_f64 v[133:134], -v[116:117], v[131:132], 1.0
	v_fma_f64 v[131:132], v[131:132], v[133:134], v[131:132]
	v_div_scale_f64 v[133:134], vcc_lo, 1.0, v[114:115], 1.0
	v_mul_f64 v[135:136], v[133:134], v[131:132]
	v_fma_f64 v[116:117], -v[116:117], v[135:136], v[133:134]
	v_div_fmas_f64 v[116:117], v[116:117], v[131:132], v[135:136]
	v_div_fixup_f64 v[114:115], v[116:117], v[114:115], 1.0
	v_mul_f64 v[116:117], v[129:130], -v[114:115]
.LBB54_72:
	s_or_b32 exec_lo, exec_lo, s1
.LBB54_73:
	s_or_b32 exec_lo, exec_lo, s0
	s_mov_b32 s0, exec_lo
	v_cmpx_ne_u32_e64 v128, v122
	s_xor_b32 s0, exec_lo, s0
	s_cbranch_execz .LBB54_79
; %bb.74:
	s_mov_b32 s1, exec_lo
	v_cmpx_eq_u32_e32 3, v128
	s_cbranch_execz .LBB54_78
; %bb.75:
	v_cmp_ne_u32_e32 vcc_lo, 3, v122
	s_xor_b32 s2, s16, -1
	s_and_b32 s3, s2, vcc_lo
	s_and_saveexec_b32 s2, s3
	s_cbranch_execz .LBB54_77
; %bb.76:
	v_ashrrev_i32_e32 v123, 31, v122
	v_lshlrev_b64 v[128:129], 2, v[122:123]
	v_add_co_u32 v128, vcc_lo, v120, v128
	v_add_co_ci_u32_e64 v129, null, v121, v129, vcc_lo
	s_clause 0x1
	global_load_dword v0, v[128:129], off
	global_load_dword v123, v[120:121], off offset:12
	s_waitcnt vmcnt(1)
	global_store_dword v[120:121], v0, off offset:12
	s_waitcnt vmcnt(0)
	global_store_dword v[128:129], v123, off
.LBB54_77:
	s_or_b32 exec_lo, exec_lo, s2
	v_mov_b32_e32 v128, v122
	v_mov_b32_e32 v0, v122
.LBB54_78:
	s_or_b32 exec_lo, exec_lo, s1
.LBB54_79:
	s_andn2_saveexec_b32 s0, s0
	s_cbranch_execz .LBB54_81
; %bb.80:
	v_mov_b32_e32 v128, 3
	ds_write2_b64 v1, v[94:95], v[96:97] offset0:8 offset1:9
	ds_write2_b64 v1, v[90:91], v[92:93] offset0:10 offset1:11
	;; [unrolled: 1-line block ×24, first 2 shown]
.LBB54_81:
	s_or_b32 exec_lo, exec_lo, s0
	s_mov_b32 s0, exec_lo
	s_waitcnt lgkmcnt(0)
	s_waitcnt_vscnt null, 0x0
	s_barrier
	buffer_gl0_inv
	v_cmpx_lt_i32_e32 3, v128
	s_cbranch_execz .LBB54_83
; %bb.82:
	v_mul_f64 v[122:123], v[116:117], v[100:101]
	v_mul_f64 v[100:101], v[114:115], v[100:101]
	v_fma_f64 v[122:123], v[114:115], v[98:99], -v[122:123]
	v_fma_f64 v[100:101], v[116:117], v[98:99], v[100:101]
	ds_read2_b64 v[114:117], v1 offset0:8 offset1:9
	s_waitcnt lgkmcnt(0)
	v_mul_f64 v[98:99], v[116:117], v[100:101]
	v_fma_f64 v[98:99], v[114:115], v[122:123], -v[98:99]
	v_mul_f64 v[114:115], v[114:115], v[100:101]
	v_add_f64 v[94:95], v[94:95], -v[98:99]
	v_fma_f64 v[114:115], v[116:117], v[122:123], v[114:115]
	v_add_f64 v[96:97], v[96:97], -v[114:115]
	ds_read2_b64 v[114:117], v1 offset0:10 offset1:11
	s_waitcnt lgkmcnt(0)
	v_mul_f64 v[98:99], v[116:117], v[100:101]
	v_fma_f64 v[98:99], v[114:115], v[122:123], -v[98:99]
	v_mul_f64 v[114:115], v[114:115], v[100:101]
	v_add_f64 v[90:91], v[90:91], -v[98:99]
	v_fma_f64 v[114:115], v[116:117], v[122:123], v[114:115]
	v_add_f64 v[92:93], v[92:93], -v[114:115]
	;; [unrolled: 8-line block ×23, first 2 shown]
	ds_read2_b64 v[114:117], v1 offset0:54 offset1:55
	s_waitcnt lgkmcnt(0)
	v_mul_f64 v[98:99], v[116:117], v[100:101]
	v_fma_f64 v[98:99], v[114:115], v[122:123], -v[98:99]
	v_mul_f64 v[114:115], v[114:115], v[100:101]
	v_add_f64 v[2:3], v[2:3], -v[98:99]
	v_fma_f64 v[114:115], v[116:117], v[122:123], v[114:115]
	v_mov_b32_e32 v98, v122
	v_mov_b32_e32 v99, v123
	v_add_f64 v[4:5], v[4:5], -v[114:115]
.LBB54_83:
	s_or_b32 exec_lo, exec_lo, s0
	v_lshl_add_u32 v114, v128, 4, v1
	s_barrier
	buffer_gl0_inv
	v_mov_b32_e32 v122, 4
	ds_write2_b64 v114, v[94:95], v[96:97] offset1:1
	s_waitcnt lgkmcnt(0)
	s_barrier
	buffer_gl0_inv
	ds_read2_b64 v[114:117], v1 offset0:8 offset1:9
	s_cmp_lt_i32 s18, 6
	s_cbranch_scc1 .LBB54_86
; %bb.84:
	v_mov_b32_e32 v122, 4
	v_add3_u32 v123, v124, 0, 0x50
	s_mov_b32 s1, 5
	s_inst_prefetch 0x1
	.p2align	6
.LBB54_85:                              ; =>This Inner Loop Header: Depth=1
	s_waitcnt lgkmcnt(0)
	v_cmp_gt_f64_e32 vcc_lo, 0, v[116:117]
	v_cmp_gt_f64_e64 s0, 0, v[114:115]
	ds_read2_b64 v[129:132], v123 offset1:1
	v_xor_b32_e32 v134, 0x80000000, v115
	v_xor_b32_e32 v136, 0x80000000, v117
	v_mov_b32_e32 v133, v114
	v_mov_b32_e32 v135, v116
	v_add_nc_u32_e32 v123, 16, v123
	s_waitcnt lgkmcnt(0)
	v_xor_b32_e32 v138, 0x80000000, v132
	v_cndmask_b32_e64 v134, v115, v134, s0
	v_cndmask_b32_e32 v136, v117, v136, vcc_lo
	v_cmp_gt_f64_e32 vcc_lo, 0, v[131:132]
	v_cmp_gt_f64_e64 s0, 0, v[129:130]
	v_mov_b32_e32 v137, v131
	v_add_f64 v[133:134], v[133:134], v[135:136]
	v_xor_b32_e32 v136, 0x80000000, v130
	v_mov_b32_e32 v135, v129
	v_cndmask_b32_e32 v138, v132, v138, vcc_lo
	v_cndmask_b32_e64 v136, v130, v136, s0
	v_add_f64 v[135:136], v[135:136], v[137:138]
	v_cmp_lt_f64_e32 vcc_lo, v[133:134], v[135:136]
	v_cndmask_b32_e32 v115, v115, v130, vcc_lo
	v_cndmask_b32_e32 v114, v114, v129, vcc_lo
	;; [unrolled: 1-line block ×4, first 2 shown]
	v_cndmask_b32_e64 v122, v122, s1, vcc_lo
	s_add_i32 s1, s1, 1
	s_cmp_lg_u32 s18, s1
	s_cbranch_scc1 .LBB54_85
.LBB54_86:
	s_inst_prefetch 0x2
	s_waitcnt lgkmcnt(0)
	v_cmp_eq_f64_e32 vcc_lo, 0, v[114:115]
	v_cmp_eq_f64_e64 s0, 0, v[116:117]
	s_and_b32 s0, vcc_lo, s0
	s_and_saveexec_b32 s1, s0
	s_xor_b32 s0, exec_lo, s1
; %bb.87:
	v_cmp_ne_u32_e32 vcc_lo, 0, v127
	v_cndmask_b32_e32 v127, 5, v127, vcc_lo
; %bb.88:
	s_andn2_saveexec_b32 s0, s0
	s_cbranch_execz .LBB54_94
; %bb.89:
	v_cmp_ngt_f64_e64 s1, |v[114:115]|, |v[116:117]|
	s_and_saveexec_b32 s2, s1
	s_xor_b32 s1, exec_lo, s2
	s_cbranch_execz .LBB54_91
; %bb.90:
	v_div_scale_f64 v[129:130], null, v[116:117], v[116:117], v[114:115]
	v_div_scale_f64 v[135:136], vcc_lo, v[114:115], v[116:117], v[114:115]
	v_rcp_f64_e32 v[131:132], v[129:130]
	v_fma_f64 v[133:134], -v[129:130], v[131:132], 1.0
	v_fma_f64 v[131:132], v[131:132], v[133:134], v[131:132]
	v_fma_f64 v[133:134], -v[129:130], v[131:132], 1.0
	v_fma_f64 v[131:132], v[131:132], v[133:134], v[131:132]
	v_mul_f64 v[133:134], v[135:136], v[131:132]
	v_fma_f64 v[129:130], -v[129:130], v[133:134], v[135:136]
	v_div_fmas_f64 v[129:130], v[129:130], v[131:132], v[133:134]
	v_div_fixup_f64 v[129:130], v[129:130], v[116:117], v[114:115]
	v_fma_f64 v[114:115], v[114:115], v[129:130], v[116:117]
	v_div_scale_f64 v[116:117], null, v[114:115], v[114:115], 1.0
	v_rcp_f64_e32 v[131:132], v[116:117]
	v_fma_f64 v[133:134], -v[116:117], v[131:132], 1.0
	v_fma_f64 v[131:132], v[131:132], v[133:134], v[131:132]
	v_fma_f64 v[133:134], -v[116:117], v[131:132], 1.0
	v_fma_f64 v[131:132], v[131:132], v[133:134], v[131:132]
	v_div_scale_f64 v[133:134], vcc_lo, 1.0, v[114:115], 1.0
	v_mul_f64 v[135:136], v[133:134], v[131:132]
	v_fma_f64 v[116:117], -v[116:117], v[135:136], v[133:134]
	v_div_fmas_f64 v[116:117], v[116:117], v[131:132], v[135:136]
	v_div_fixup_f64 v[116:117], v[116:117], v[114:115], 1.0
	v_mul_f64 v[114:115], v[129:130], v[116:117]
	v_xor_b32_e32 v117, 0x80000000, v117
.LBB54_91:
	s_andn2_saveexec_b32 s1, s1
	s_cbranch_execz .LBB54_93
; %bb.92:
	v_div_scale_f64 v[129:130], null, v[114:115], v[114:115], v[116:117]
	v_div_scale_f64 v[135:136], vcc_lo, v[116:117], v[114:115], v[116:117]
	v_rcp_f64_e32 v[131:132], v[129:130]
	v_fma_f64 v[133:134], -v[129:130], v[131:132], 1.0
	v_fma_f64 v[131:132], v[131:132], v[133:134], v[131:132]
	v_fma_f64 v[133:134], -v[129:130], v[131:132], 1.0
	v_fma_f64 v[131:132], v[131:132], v[133:134], v[131:132]
	v_mul_f64 v[133:134], v[135:136], v[131:132]
	v_fma_f64 v[129:130], -v[129:130], v[133:134], v[135:136]
	v_div_fmas_f64 v[129:130], v[129:130], v[131:132], v[133:134]
	v_div_fixup_f64 v[129:130], v[129:130], v[114:115], v[116:117]
	v_fma_f64 v[114:115], v[116:117], v[129:130], v[114:115]
	v_div_scale_f64 v[116:117], null, v[114:115], v[114:115], 1.0
	v_rcp_f64_e32 v[131:132], v[116:117]
	v_fma_f64 v[133:134], -v[116:117], v[131:132], 1.0
	v_fma_f64 v[131:132], v[131:132], v[133:134], v[131:132]
	v_fma_f64 v[133:134], -v[116:117], v[131:132], 1.0
	v_fma_f64 v[131:132], v[131:132], v[133:134], v[131:132]
	v_div_scale_f64 v[133:134], vcc_lo, 1.0, v[114:115], 1.0
	v_mul_f64 v[135:136], v[133:134], v[131:132]
	v_fma_f64 v[116:117], -v[116:117], v[135:136], v[133:134]
	v_div_fmas_f64 v[116:117], v[116:117], v[131:132], v[135:136]
	v_div_fixup_f64 v[114:115], v[116:117], v[114:115], 1.0
	v_mul_f64 v[116:117], v[129:130], -v[114:115]
.LBB54_93:
	s_or_b32 exec_lo, exec_lo, s1
.LBB54_94:
	s_or_b32 exec_lo, exec_lo, s0
	s_mov_b32 s0, exec_lo
	v_cmpx_ne_u32_e64 v128, v122
	s_xor_b32 s0, exec_lo, s0
	s_cbranch_execz .LBB54_100
; %bb.95:
	s_mov_b32 s1, exec_lo
	v_cmpx_eq_u32_e32 4, v128
	s_cbranch_execz .LBB54_99
; %bb.96:
	v_cmp_ne_u32_e32 vcc_lo, 4, v122
	s_xor_b32 s2, s16, -1
	s_and_b32 s3, s2, vcc_lo
	s_and_saveexec_b32 s2, s3
	s_cbranch_execz .LBB54_98
; %bb.97:
	v_ashrrev_i32_e32 v123, 31, v122
	v_lshlrev_b64 v[128:129], 2, v[122:123]
	v_add_co_u32 v128, vcc_lo, v120, v128
	v_add_co_ci_u32_e64 v129, null, v121, v129, vcc_lo
	s_clause 0x1
	global_load_dword v0, v[128:129], off
	global_load_dword v123, v[120:121], off offset:16
	s_waitcnt vmcnt(1)
	global_store_dword v[120:121], v0, off offset:16
	s_waitcnt vmcnt(0)
	global_store_dword v[128:129], v123, off
.LBB54_98:
	s_or_b32 exec_lo, exec_lo, s2
	v_mov_b32_e32 v128, v122
	v_mov_b32_e32 v0, v122
.LBB54_99:
	s_or_b32 exec_lo, exec_lo, s1
.LBB54_100:
	s_andn2_saveexec_b32 s0, s0
	s_cbranch_execz .LBB54_102
; %bb.101:
	v_mov_b32_e32 v128, 4
	ds_write2_b64 v1, v[90:91], v[92:93] offset0:10 offset1:11
	ds_write2_b64 v1, v[86:87], v[88:89] offset0:12 offset1:13
	ds_write2_b64 v1, v[82:83], v[84:85] offset0:14 offset1:15
	ds_write2_b64 v1, v[78:79], v[80:81] offset0:16 offset1:17
	ds_write2_b64 v1, v[74:75], v[76:77] offset0:18 offset1:19
	ds_write2_b64 v1, v[70:71], v[72:73] offset0:20 offset1:21
	ds_write2_b64 v1, v[66:67], v[68:69] offset0:22 offset1:23
	ds_write2_b64 v1, v[62:63], v[64:65] offset0:24 offset1:25
	ds_write2_b64 v1, v[58:59], v[60:61] offset0:26 offset1:27
	ds_write2_b64 v1, v[54:55], v[56:57] offset0:28 offset1:29
	ds_write2_b64 v1, v[50:51], v[52:53] offset0:30 offset1:31
	ds_write2_b64 v1, v[46:47], v[48:49] offset0:32 offset1:33
	ds_write2_b64 v1, v[42:43], v[44:45] offset0:34 offset1:35
	ds_write2_b64 v1, v[38:39], v[40:41] offset0:36 offset1:37
	ds_write2_b64 v1, v[34:35], v[36:37] offset0:38 offset1:39
	ds_write2_b64 v1, v[30:31], v[32:33] offset0:40 offset1:41
	ds_write2_b64 v1, v[26:27], v[28:29] offset0:42 offset1:43
	ds_write2_b64 v1, v[22:23], v[24:25] offset0:44 offset1:45
	ds_write2_b64 v1, v[18:19], v[20:21] offset0:46 offset1:47
	ds_write2_b64 v1, v[14:15], v[16:17] offset0:48 offset1:49
	ds_write2_b64 v1, v[10:11], v[12:13] offset0:50 offset1:51
	ds_write2_b64 v1, v[6:7], v[8:9] offset0:52 offset1:53
	ds_write2_b64 v1, v[2:3], v[4:5] offset0:54 offset1:55
.LBB54_102:
	s_or_b32 exec_lo, exec_lo, s0
	s_mov_b32 s0, exec_lo
	s_waitcnt lgkmcnt(0)
	s_waitcnt_vscnt null, 0x0
	s_barrier
	buffer_gl0_inv
	v_cmpx_lt_i32_e32 4, v128
	s_cbranch_execz .LBB54_104
; %bb.103:
	v_mul_f64 v[122:123], v[116:117], v[96:97]
	v_mul_f64 v[96:97], v[114:115], v[96:97]
	v_fma_f64 v[122:123], v[114:115], v[94:95], -v[122:123]
	v_fma_f64 v[96:97], v[116:117], v[94:95], v[96:97]
	ds_read2_b64 v[114:117], v1 offset0:10 offset1:11
	s_waitcnt lgkmcnt(0)
	v_mul_f64 v[94:95], v[116:117], v[96:97]
	v_fma_f64 v[94:95], v[114:115], v[122:123], -v[94:95]
	v_mul_f64 v[114:115], v[114:115], v[96:97]
	v_add_f64 v[90:91], v[90:91], -v[94:95]
	v_fma_f64 v[114:115], v[116:117], v[122:123], v[114:115]
	v_add_f64 v[92:93], v[92:93], -v[114:115]
	ds_read2_b64 v[114:117], v1 offset0:12 offset1:13
	s_waitcnt lgkmcnt(0)
	v_mul_f64 v[94:95], v[116:117], v[96:97]
	v_fma_f64 v[94:95], v[114:115], v[122:123], -v[94:95]
	v_mul_f64 v[114:115], v[114:115], v[96:97]
	v_add_f64 v[86:87], v[86:87], -v[94:95]
	v_fma_f64 v[114:115], v[116:117], v[122:123], v[114:115]
	v_add_f64 v[88:89], v[88:89], -v[114:115]
	;; [unrolled: 8-line block ×22, first 2 shown]
	ds_read2_b64 v[114:117], v1 offset0:54 offset1:55
	s_waitcnt lgkmcnt(0)
	v_mul_f64 v[94:95], v[116:117], v[96:97]
	v_fma_f64 v[94:95], v[114:115], v[122:123], -v[94:95]
	v_mul_f64 v[114:115], v[114:115], v[96:97]
	v_add_f64 v[2:3], v[2:3], -v[94:95]
	v_fma_f64 v[114:115], v[116:117], v[122:123], v[114:115]
	v_mov_b32_e32 v94, v122
	v_mov_b32_e32 v95, v123
	v_add_f64 v[4:5], v[4:5], -v[114:115]
.LBB54_104:
	s_or_b32 exec_lo, exec_lo, s0
	v_lshl_add_u32 v114, v128, 4, v1
	s_barrier
	buffer_gl0_inv
	v_mov_b32_e32 v122, 5
	ds_write2_b64 v114, v[90:91], v[92:93] offset1:1
	s_waitcnt lgkmcnt(0)
	s_barrier
	buffer_gl0_inv
	ds_read2_b64 v[114:117], v1 offset0:10 offset1:11
	s_cmp_lt_i32 s18, 7
	s_cbranch_scc1 .LBB54_107
; %bb.105:
	v_add3_u32 v123, v124, 0, 0x60
	v_mov_b32_e32 v122, 5
	s_mov_b32 s1, 6
	s_inst_prefetch 0x1
	.p2align	6
.LBB54_106:                             ; =>This Inner Loop Header: Depth=1
	s_waitcnt lgkmcnt(0)
	v_cmp_gt_f64_e32 vcc_lo, 0, v[116:117]
	v_cmp_gt_f64_e64 s0, 0, v[114:115]
	ds_read2_b64 v[129:132], v123 offset1:1
	v_xor_b32_e32 v134, 0x80000000, v115
	v_xor_b32_e32 v136, 0x80000000, v117
	v_mov_b32_e32 v133, v114
	v_mov_b32_e32 v135, v116
	v_add_nc_u32_e32 v123, 16, v123
	s_waitcnt lgkmcnt(0)
	v_xor_b32_e32 v138, 0x80000000, v132
	v_cndmask_b32_e64 v134, v115, v134, s0
	v_cndmask_b32_e32 v136, v117, v136, vcc_lo
	v_cmp_gt_f64_e32 vcc_lo, 0, v[131:132]
	v_cmp_gt_f64_e64 s0, 0, v[129:130]
	v_mov_b32_e32 v137, v131
	v_add_f64 v[133:134], v[133:134], v[135:136]
	v_xor_b32_e32 v136, 0x80000000, v130
	v_mov_b32_e32 v135, v129
	v_cndmask_b32_e32 v138, v132, v138, vcc_lo
	v_cndmask_b32_e64 v136, v130, v136, s0
	v_add_f64 v[135:136], v[135:136], v[137:138]
	v_cmp_lt_f64_e32 vcc_lo, v[133:134], v[135:136]
	v_cndmask_b32_e32 v115, v115, v130, vcc_lo
	v_cndmask_b32_e32 v114, v114, v129, vcc_lo
	;; [unrolled: 1-line block ×4, first 2 shown]
	v_cndmask_b32_e64 v122, v122, s1, vcc_lo
	s_add_i32 s1, s1, 1
	s_cmp_lg_u32 s18, s1
	s_cbranch_scc1 .LBB54_106
.LBB54_107:
	s_inst_prefetch 0x2
	s_waitcnt lgkmcnt(0)
	v_cmp_eq_f64_e32 vcc_lo, 0, v[114:115]
	v_cmp_eq_f64_e64 s0, 0, v[116:117]
	s_and_b32 s0, vcc_lo, s0
	s_and_saveexec_b32 s1, s0
	s_xor_b32 s0, exec_lo, s1
; %bb.108:
	v_cmp_ne_u32_e32 vcc_lo, 0, v127
	v_cndmask_b32_e32 v127, 6, v127, vcc_lo
; %bb.109:
	s_andn2_saveexec_b32 s0, s0
	s_cbranch_execz .LBB54_115
; %bb.110:
	v_cmp_ngt_f64_e64 s1, |v[114:115]|, |v[116:117]|
	s_and_saveexec_b32 s2, s1
	s_xor_b32 s1, exec_lo, s2
	s_cbranch_execz .LBB54_112
; %bb.111:
	v_div_scale_f64 v[129:130], null, v[116:117], v[116:117], v[114:115]
	v_div_scale_f64 v[135:136], vcc_lo, v[114:115], v[116:117], v[114:115]
	v_rcp_f64_e32 v[131:132], v[129:130]
	v_fma_f64 v[133:134], -v[129:130], v[131:132], 1.0
	v_fma_f64 v[131:132], v[131:132], v[133:134], v[131:132]
	v_fma_f64 v[133:134], -v[129:130], v[131:132], 1.0
	v_fma_f64 v[131:132], v[131:132], v[133:134], v[131:132]
	v_mul_f64 v[133:134], v[135:136], v[131:132]
	v_fma_f64 v[129:130], -v[129:130], v[133:134], v[135:136]
	v_div_fmas_f64 v[129:130], v[129:130], v[131:132], v[133:134]
	v_div_fixup_f64 v[129:130], v[129:130], v[116:117], v[114:115]
	v_fma_f64 v[114:115], v[114:115], v[129:130], v[116:117]
	v_div_scale_f64 v[116:117], null, v[114:115], v[114:115], 1.0
	v_rcp_f64_e32 v[131:132], v[116:117]
	v_fma_f64 v[133:134], -v[116:117], v[131:132], 1.0
	v_fma_f64 v[131:132], v[131:132], v[133:134], v[131:132]
	v_fma_f64 v[133:134], -v[116:117], v[131:132], 1.0
	v_fma_f64 v[131:132], v[131:132], v[133:134], v[131:132]
	v_div_scale_f64 v[133:134], vcc_lo, 1.0, v[114:115], 1.0
	v_mul_f64 v[135:136], v[133:134], v[131:132]
	v_fma_f64 v[116:117], -v[116:117], v[135:136], v[133:134]
	v_div_fmas_f64 v[116:117], v[116:117], v[131:132], v[135:136]
	v_div_fixup_f64 v[116:117], v[116:117], v[114:115], 1.0
	v_mul_f64 v[114:115], v[129:130], v[116:117]
	v_xor_b32_e32 v117, 0x80000000, v117
.LBB54_112:
	s_andn2_saveexec_b32 s1, s1
	s_cbranch_execz .LBB54_114
; %bb.113:
	v_div_scale_f64 v[129:130], null, v[114:115], v[114:115], v[116:117]
	v_div_scale_f64 v[135:136], vcc_lo, v[116:117], v[114:115], v[116:117]
	v_rcp_f64_e32 v[131:132], v[129:130]
	v_fma_f64 v[133:134], -v[129:130], v[131:132], 1.0
	v_fma_f64 v[131:132], v[131:132], v[133:134], v[131:132]
	v_fma_f64 v[133:134], -v[129:130], v[131:132], 1.0
	v_fma_f64 v[131:132], v[131:132], v[133:134], v[131:132]
	v_mul_f64 v[133:134], v[135:136], v[131:132]
	v_fma_f64 v[129:130], -v[129:130], v[133:134], v[135:136]
	v_div_fmas_f64 v[129:130], v[129:130], v[131:132], v[133:134]
	v_div_fixup_f64 v[129:130], v[129:130], v[114:115], v[116:117]
	v_fma_f64 v[114:115], v[116:117], v[129:130], v[114:115]
	v_div_scale_f64 v[116:117], null, v[114:115], v[114:115], 1.0
	v_rcp_f64_e32 v[131:132], v[116:117]
	v_fma_f64 v[133:134], -v[116:117], v[131:132], 1.0
	v_fma_f64 v[131:132], v[131:132], v[133:134], v[131:132]
	v_fma_f64 v[133:134], -v[116:117], v[131:132], 1.0
	v_fma_f64 v[131:132], v[131:132], v[133:134], v[131:132]
	v_div_scale_f64 v[133:134], vcc_lo, 1.0, v[114:115], 1.0
	v_mul_f64 v[135:136], v[133:134], v[131:132]
	v_fma_f64 v[116:117], -v[116:117], v[135:136], v[133:134]
	v_div_fmas_f64 v[116:117], v[116:117], v[131:132], v[135:136]
	v_div_fixup_f64 v[114:115], v[116:117], v[114:115], 1.0
	v_mul_f64 v[116:117], v[129:130], -v[114:115]
.LBB54_114:
	s_or_b32 exec_lo, exec_lo, s1
.LBB54_115:
	s_or_b32 exec_lo, exec_lo, s0
	s_mov_b32 s0, exec_lo
	v_cmpx_ne_u32_e64 v128, v122
	s_xor_b32 s0, exec_lo, s0
	s_cbranch_execz .LBB54_121
; %bb.116:
	s_mov_b32 s1, exec_lo
	v_cmpx_eq_u32_e32 5, v128
	s_cbranch_execz .LBB54_120
; %bb.117:
	v_cmp_ne_u32_e32 vcc_lo, 5, v122
	s_xor_b32 s2, s16, -1
	s_and_b32 s3, s2, vcc_lo
	s_and_saveexec_b32 s2, s3
	s_cbranch_execz .LBB54_119
; %bb.118:
	v_ashrrev_i32_e32 v123, 31, v122
	v_lshlrev_b64 v[128:129], 2, v[122:123]
	v_add_co_u32 v128, vcc_lo, v120, v128
	v_add_co_ci_u32_e64 v129, null, v121, v129, vcc_lo
	s_clause 0x1
	global_load_dword v0, v[128:129], off
	global_load_dword v123, v[120:121], off offset:20
	s_waitcnt vmcnt(1)
	global_store_dword v[120:121], v0, off offset:20
	s_waitcnt vmcnt(0)
	global_store_dword v[128:129], v123, off
.LBB54_119:
	s_or_b32 exec_lo, exec_lo, s2
	v_mov_b32_e32 v128, v122
	v_mov_b32_e32 v0, v122
.LBB54_120:
	s_or_b32 exec_lo, exec_lo, s1
.LBB54_121:
	s_andn2_saveexec_b32 s0, s0
	s_cbranch_execz .LBB54_123
; %bb.122:
	v_mov_b32_e32 v128, 5
	ds_write2_b64 v1, v[86:87], v[88:89] offset0:12 offset1:13
	ds_write2_b64 v1, v[82:83], v[84:85] offset0:14 offset1:15
	;; [unrolled: 1-line block ×22, first 2 shown]
.LBB54_123:
	s_or_b32 exec_lo, exec_lo, s0
	s_mov_b32 s0, exec_lo
	s_waitcnt lgkmcnt(0)
	s_waitcnt_vscnt null, 0x0
	s_barrier
	buffer_gl0_inv
	v_cmpx_lt_i32_e32 5, v128
	s_cbranch_execz .LBB54_125
; %bb.124:
	v_mul_f64 v[122:123], v[116:117], v[92:93]
	v_mul_f64 v[92:93], v[114:115], v[92:93]
	v_fma_f64 v[122:123], v[114:115], v[90:91], -v[122:123]
	v_fma_f64 v[92:93], v[116:117], v[90:91], v[92:93]
	ds_read2_b64 v[114:117], v1 offset0:12 offset1:13
	s_waitcnt lgkmcnt(0)
	v_mul_f64 v[90:91], v[116:117], v[92:93]
	v_fma_f64 v[90:91], v[114:115], v[122:123], -v[90:91]
	v_mul_f64 v[114:115], v[114:115], v[92:93]
	v_add_f64 v[86:87], v[86:87], -v[90:91]
	v_fma_f64 v[114:115], v[116:117], v[122:123], v[114:115]
	v_add_f64 v[88:89], v[88:89], -v[114:115]
	ds_read2_b64 v[114:117], v1 offset0:14 offset1:15
	s_waitcnt lgkmcnt(0)
	v_mul_f64 v[90:91], v[116:117], v[92:93]
	v_fma_f64 v[90:91], v[114:115], v[122:123], -v[90:91]
	v_mul_f64 v[114:115], v[114:115], v[92:93]
	v_add_f64 v[82:83], v[82:83], -v[90:91]
	v_fma_f64 v[114:115], v[116:117], v[122:123], v[114:115]
	v_add_f64 v[84:85], v[84:85], -v[114:115]
	;; [unrolled: 8-line block ×21, first 2 shown]
	ds_read2_b64 v[114:117], v1 offset0:54 offset1:55
	s_waitcnt lgkmcnt(0)
	v_mul_f64 v[90:91], v[116:117], v[92:93]
	v_fma_f64 v[90:91], v[114:115], v[122:123], -v[90:91]
	v_mul_f64 v[114:115], v[114:115], v[92:93]
	v_add_f64 v[2:3], v[2:3], -v[90:91]
	v_fma_f64 v[114:115], v[116:117], v[122:123], v[114:115]
	v_mov_b32_e32 v90, v122
	v_mov_b32_e32 v91, v123
	v_add_f64 v[4:5], v[4:5], -v[114:115]
.LBB54_125:
	s_or_b32 exec_lo, exec_lo, s0
	v_lshl_add_u32 v114, v128, 4, v1
	s_barrier
	buffer_gl0_inv
	v_mov_b32_e32 v122, 6
	ds_write2_b64 v114, v[86:87], v[88:89] offset1:1
	s_waitcnt lgkmcnt(0)
	s_barrier
	buffer_gl0_inv
	ds_read2_b64 v[114:117], v1 offset0:12 offset1:13
	s_cmp_lt_i32 s18, 8
	s_cbranch_scc1 .LBB54_128
; %bb.126:
	v_add3_u32 v123, v124, 0, 0x70
	v_mov_b32_e32 v122, 6
	s_mov_b32 s1, 7
	s_inst_prefetch 0x1
	.p2align	6
.LBB54_127:                             ; =>This Inner Loop Header: Depth=1
	s_waitcnt lgkmcnt(0)
	v_cmp_gt_f64_e32 vcc_lo, 0, v[116:117]
	v_cmp_gt_f64_e64 s0, 0, v[114:115]
	ds_read2_b64 v[129:132], v123 offset1:1
	v_xor_b32_e32 v134, 0x80000000, v115
	v_xor_b32_e32 v136, 0x80000000, v117
	v_mov_b32_e32 v133, v114
	v_mov_b32_e32 v135, v116
	v_add_nc_u32_e32 v123, 16, v123
	s_waitcnt lgkmcnt(0)
	v_xor_b32_e32 v138, 0x80000000, v132
	v_cndmask_b32_e64 v134, v115, v134, s0
	v_cndmask_b32_e32 v136, v117, v136, vcc_lo
	v_cmp_gt_f64_e32 vcc_lo, 0, v[131:132]
	v_cmp_gt_f64_e64 s0, 0, v[129:130]
	v_mov_b32_e32 v137, v131
	v_add_f64 v[133:134], v[133:134], v[135:136]
	v_xor_b32_e32 v136, 0x80000000, v130
	v_mov_b32_e32 v135, v129
	v_cndmask_b32_e32 v138, v132, v138, vcc_lo
	v_cndmask_b32_e64 v136, v130, v136, s0
	v_add_f64 v[135:136], v[135:136], v[137:138]
	v_cmp_lt_f64_e32 vcc_lo, v[133:134], v[135:136]
	v_cndmask_b32_e32 v115, v115, v130, vcc_lo
	v_cndmask_b32_e32 v114, v114, v129, vcc_lo
	;; [unrolled: 1-line block ×4, first 2 shown]
	v_cndmask_b32_e64 v122, v122, s1, vcc_lo
	s_add_i32 s1, s1, 1
	s_cmp_lg_u32 s18, s1
	s_cbranch_scc1 .LBB54_127
.LBB54_128:
	s_inst_prefetch 0x2
	s_waitcnt lgkmcnt(0)
	v_cmp_eq_f64_e32 vcc_lo, 0, v[114:115]
	v_cmp_eq_f64_e64 s0, 0, v[116:117]
	s_and_b32 s0, vcc_lo, s0
	s_and_saveexec_b32 s1, s0
	s_xor_b32 s0, exec_lo, s1
; %bb.129:
	v_cmp_ne_u32_e32 vcc_lo, 0, v127
	v_cndmask_b32_e32 v127, 7, v127, vcc_lo
; %bb.130:
	s_andn2_saveexec_b32 s0, s0
	s_cbranch_execz .LBB54_136
; %bb.131:
	v_cmp_ngt_f64_e64 s1, |v[114:115]|, |v[116:117]|
	s_and_saveexec_b32 s2, s1
	s_xor_b32 s1, exec_lo, s2
	s_cbranch_execz .LBB54_133
; %bb.132:
	v_div_scale_f64 v[129:130], null, v[116:117], v[116:117], v[114:115]
	v_div_scale_f64 v[135:136], vcc_lo, v[114:115], v[116:117], v[114:115]
	v_rcp_f64_e32 v[131:132], v[129:130]
	v_fma_f64 v[133:134], -v[129:130], v[131:132], 1.0
	v_fma_f64 v[131:132], v[131:132], v[133:134], v[131:132]
	v_fma_f64 v[133:134], -v[129:130], v[131:132], 1.0
	v_fma_f64 v[131:132], v[131:132], v[133:134], v[131:132]
	v_mul_f64 v[133:134], v[135:136], v[131:132]
	v_fma_f64 v[129:130], -v[129:130], v[133:134], v[135:136]
	v_div_fmas_f64 v[129:130], v[129:130], v[131:132], v[133:134]
	v_div_fixup_f64 v[129:130], v[129:130], v[116:117], v[114:115]
	v_fma_f64 v[114:115], v[114:115], v[129:130], v[116:117]
	v_div_scale_f64 v[116:117], null, v[114:115], v[114:115], 1.0
	v_rcp_f64_e32 v[131:132], v[116:117]
	v_fma_f64 v[133:134], -v[116:117], v[131:132], 1.0
	v_fma_f64 v[131:132], v[131:132], v[133:134], v[131:132]
	v_fma_f64 v[133:134], -v[116:117], v[131:132], 1.0
	v_fma_f64 v[131:132], v[131:132], v[133:134], v[131:132]
	v_div_scale_f64 v[133:134], vcc_lo, 1.0, v[114:115], 1.0
	v_mul_f64 v[135:136], v[133:134], v[131:132]
	v_fma_f64 v[116:117], -v[116:117], v[135:136], v[133:134]
	v_div_fmas_f64 v[116:117], v[116:117], v[131:132], v[135:136]
	v_div_fixup_f64 v[116:117], v[116:117], v[114:115], 1.0
	v_mul_f64 v[114:115], v[129:130], v[116:117]
	v_xor_b32_e32 v117, 0x80000000, v117
.LBB54_133:
	s_andn2_saveexec_b32 s1, s1
	s_cbranch_execz .LBB54_135
; %bb.134:
	v_div_scale_f64 v[129:130], null, v[114:115], v[114:115], v[116:117]
	v_div_scale_f64 v[135:136], vcc_lo, v[116:117], v[114:115], v[116:117]
	v_rcp_f64_e32 v[131:132], v[129:130]
	v_fma_f64 v[133:134], -v[129:130], v[131:132], 1.0
	v_fma_f64 v[131:132], v[131:132], v[133:134], v[131:132]
	v_fma_f64 v[133:134], -v[129:130], v[131:132], 1.0
	v_fma_f64 v[131:132], v[131:132], v[133:134], v[131:132]
	v_mul_f64 v[133:134], v[135:136], v[131:132]
	v_fma_f64 v[129:130], -v[129:130], v[133:134], v[135:136]
	v_div_fmas_f64 v[129:130], v[129:130], v[131:132], v[133:134]
	v_div_fixup_f64 v[129:130], v[129:130], v[114:115], v[116:117]
	v_fma_f64 v[114:115], v[116:117], v[129:130], v[114:115]
	v_div_scale_f64 v[116:117], null, v[114:115], v[114:115], 1.0
	v_rcp_f64_e32 v[131:132], v[116:117]
	v_fma_f64 v[133:134], -v[116:117], v[131:132], 1.0
	v_fma_f64 v[131:132], v[131:132], v[133:134], v[131:132]
	v_fma_f64 v[133:134], -v[116:117], v[131:132], 1.0
	v_fma_f64 v[131:132], v[131:132], v[133:134], v[131:132]
	v_div_scale_f64 v[133:134], vcc_lo, 1.0, v[114:115], 1.0
	v_mul_f64 v[135:136], v[133:134], v[131:132]
	v_fma_f64 v[116:117], -v[116:117], v[135:136], v[133:134]
	v_div_fmas_f64 v[116:117], v[116:117], v[131:132], v[135:136]
	v_div_fixup_f64 v[114:115], v[116:117], v[114:115], 1.0
	v_mul_f64 v[116:117], v[129:130], -v[114:115]
.LBB54_135:
	s_or_b32 exec_lo, exec_lo, s1
.LBB54_136:
	s_or_b32 exec_lo, exec_lo, s0
	s_mov_b32 s0, exec_lo
	v_cmpx_ne_u32_e64 v128, v122
	s_xor_b32 s0, exec_lo, s0
	s_cbranch_execz .LBB54_142
; %bb.137:
	s_mov_b32 s1, exec_lo
	v_cmpx_eq_u32_e32 6, v128
	s_cbranch_execz .LBB54_141
; %bb.138:
	v_cmp_ne_u32_e32 vcc_lo, 6, v122
	s_xor_b32 s2, s16, -1
	s_and_b32 s3, s2, vcc_lo
	s_and_saveexec_b32 s2, s3
	s_cbranch_execz .LBB54_140
; %bb.139:
	v_ashrrev_i32_e32 v123, 31, v122
	v_lshlrev_b64 v[128:129], 2, v[122:123]
	v_add_co_u32 v128, vcc_lo, v120, v128
	v_add_co_ci_u32_e64 v129, null, v121, v129, vcc_lo
	s_clause 0x1
	global_load_dword v0, v[128:129], off
	global_load_dword v123, v[120:121], off offset:24
	s_waitcnt vmcnt(1)
	global_store_dword v[120:121], v0, off offset:24
	s_waitcnt vmcnt(0)
	global_store_dword v[128:129], v123, off
.LBB54_140:
	s_or_b32 exec_lo, exec_lo, s2
	v_mov_b32_e32 v128, v122
	v_mov_b32_e32 v0, v122
.LBB54_141:
	s_or_b32 exec_lo, exec_lo, s1
.LBB54_142:
	s_andn2_saveexec_b32 s0, s0
	s_cbranch_execz .LBB54_144
; %bb.143:
	v_mov_b32_e32 v128, 6
	ds_write2_b64 v1, v[82:83], v[84:85] offset0:14 offset1:15
	ds_write2_b64 v1, v[78:79], v[80:81] offset0:16 offset1:17
	;; [unrolled: 1-line block ×21, first 2 shown]
.LBB54_144:
	s_or_b32 exec_lo, exec_lo, s0
	s_mov_b32 s0, exec_lo
	s_waitcnt lgkmcnt(0)
	s_waitcnt_vscnt null, 0x0
	s_barrier
	buffer_gl0_inv
	v_cmpx_lt_i32_e32 6, v128
	s_cbranch_execz .LBB54_146
; %bb.145:
	v_mul_f64 v[122:123], v[116:117], v[88:89]
	v_mul_f64 v[88:89], v[114:115], v[88:89]
	v_fma_f64 v[122:123], v[114:115], v[86:87], -v[122:123]
	v_fma_f64 v[88:89], v[116:117], v[86:87], v[88:89]
	ds_read2_b64 v[114:117], v1 offset0:14 offset1:15
	s_waitcnt lgkmcnt(0)
	v_mul_f64 v[86:87], v[116:117], v[88:89]
	v_fma_f64 v[86:87], v[114:115], v[122:123], -v[86:87]
	v_mul_f64 v[114:115], v[114:115], v[88:89]
	v_add_f64 v[82:83], v[82:83], -v[86:87]
	v_fma_f64 v[114:115], v[116:117], v[122:123], v[114:115]
	v_add_f64 v[84:85], v[84:85], -v[114:115]
	ds_read2_b64 v[114:117], v1 offset0:16 offset1:17
	s_waitcnt lgkmcnt(0)
	v_mul_f64 v[86:87], v[116:117], v[88:89]
	v_fma_f64 v[86:87], v[114:115], v[122:123], -v[86:87]
	v_mul_f64 v[114:115], v[114:115], v[88:89]
	v_add_f64 v[78:79], v[78:79], -v[86:87]
	v_fma_f64 v[114:115], v[116:117], v[122:123], v[114:115]
	v_add_f64 v[80:81], v[80:81], -v[114:115]
	;; [unrolled: 8-line block ×20, first 2 shown]
	ds_read2_b64 v[114:117], v1 offset0:54 offset1:55
	s_waitcnt lgkmcnt(0)
	v_mul_f64 v[86:87], v[116:117], v[88:89]
	v_fma_f64 v[86:87], v[114:115], v[122:123], -v[86:87]
	v_mul_f64 v[114:115], v[114:115], v[88:89]
	v_add_f64 v[2:3], v[2:3], -v[86:87]
	v_fma_f64 v[114:115], v[116:117], v[122:123], v[114:115]
	v_mov_b32_e32 v86, v122
	v_mov_b32_e32 v87, v123
	v_add_f64 v[4:5], v[4:5], -v[114:115]
.LBB54_146:
	s_or_b32 exec_lo, exec_lo, s0
	v_lshl_add_u32 v114, v128, 4, v1
	s_barrier
	buffer_gl0_inv
	v_mov_b32_e32 v122, 7
	ds_write2_b64 v114, v[82:83], v[84:85] offset1:1
	s_waitcnt lgkmcnt(0)
	s_barrier
	buffer_gl0_inv
	ds_read2_b64 v[114:117], v1 offset0:14 offset1:15
	s_cmp_lt_i32 s18, 9
	s_cbranch_scc1 .LBB54_149
; %bb.147:
	v_add3_u32 v123, v124, 0, 0x80
	v_mov_b32_e32 v122, 7
	s_mov_b32 s1, 8
	s_inst_prefetch 0x1
	.p2align	6
.LBB54_148:                             ; =>This Inner Loop Header: Depth=1
	s_waitcnt lgkmcnt(0)
	v_cmp_gt_f64_e32 vcc_lo, 0, v[116:117]
	v_cmp_gt_f64_e64 s0, 0, v[114:115]
	ds_read2_b64 v[129:132], v123 offset1:1
	v_xor_b32_e32 v134, 0x80000000, v115
	v_xor_b32_e32 v136, 0x80000000, v117
	v_mov_b32_e32 v133, v114
	v_mov_b32_e32 v135, v116
	v_add_nc_u32_e32 v123, 16, v123
	s_waitcnt lgkmcnt(0)
	v_xor_b32_e32 v138, 0x80000000, v132
	v_cndmask_b32_e64 v134, v115, v134, s0
	v_cndmask_b32_e32 v136, v117, v136, vcc_lo
	v_cmp_gt_f64_e32 vcc_lo, 0, v[131:132]
	v_cmp_gt_f64_e64 s0, 0, v[129:130]
	v_mov_b32_e32 v137, v131
	v_add_f64 v[133:134], v[133:134], v[135:136]
	v_xor_b32_e32 v136, 0x80000000, v130
	v_mov_b32_e32 v135, v129
	v_cndmask_b32_e32 v138, v132, v138, vcc_lo
	v_cndmask_b32_e64 v136, v130, v136, s0
	v_add_f64 v[135:136], v[135:136], v[137:138]
	v_cmp_lt_f64_e32 vcc_lo, v[133:134], v[135:136]
	v_cndmask_b32_e32 v115, v115, v130, vcc_lo
	v_cndmask_b32_e32 v114, v114, v129, vcc_lo
	;; [unrolled: 1-line block ×4, first 2 shown]
	v_cndmask_b32_e64 v122, v122, s1, vcc_lo
	s_add_i32 s1, s1, 1
	s_cmp_lg_u32 s18, s1
	s_cbranch_scc1 .LBB54_148
.LBB54_149:
	s_inst_prefetch 0x2
	s_waitcnt lgkmcnt(0)
	v_cmp_eq_f64_e32 vcc_lo, 0, v[114:115]
	v_cmp_eq_f64_e64 s0, 0, v[116:117]
	s_and_b32 s0, vcc_lo, s0
	s_and_saveexec_b32 s1, s0
	s_xor_b32 s0, exec_lo, s1
; %bb.150:
	v_cmp_ne_u32_e32 vcc_lo, 0, v127
	v_cndmask_b32_e32 v127, 8, v127, vcc_lo
; %bb.151:
	s_andn2_saveexec_b32 s0, s0
	s_cbranch_execz .LBB54_157
; %bb.152:
	v_cmp_ngt_f64_e64 s1, |v[114:115]|, |v[116:117]|
	s_and_saveexec_b32 s2, s1
	s_xor_b32 s1, exec_lo, s2
	s_cbranch_execz .LBB54_154
; %bb.153:
	v_div_scale_f64 v[129:130], null, v[116:117], v[116:117], v[114:115]
	v_div_scale_f64 v[135:136], vcc_lo, v[114:115], v[116:117], v[114:115]
	v_rcp_f64_e32 v[131:132], v[129:130]
	v_fma_f64 v[133:134], -v[129:130], v[131:132], 1.0
	v_fma_f64 v[131:132], v[131:132], v[133:134], v[131:132]
	v_fma_f64 v[133:134], -v[129:130], v[131:132], 1.0
	v_fma_f64 v[131:132], v[131:132], v[133:134], v[131:132]
	v_mul_f64 v[133:134], v[135:136], v[131:132]
	v_fma_f64 v[129:130], -v[129:130], v[133:134], v[135:136]
	v_div_fmas_f64 v[129:130], v[129:130], v[131:132], v[133:134]
	v_div_fixup_f64 v[129:130], v[129:130], v[116:117], v[114:115]
	v_fma_f64 v[114:115], v[114:115], v[129:130], v[116:117]
	v_div_scale_f64 v[116:117], null, v[114:115], v[114:115], 1.0
	v_rcp_f64_e32 v[131:132], v[116:117]
	v_fma_f64 v[133:134], -v[116:117], v[131:132], 1.0
	v_fma_f64 v[131:132], v[131:132], v[133:134], v[131:132]
	v_fma_f64 v[133:134], -v[116:117], v[131:132], 1.0
	v_fma_f64 v[131:132], v[131:132], v[133:134], v[131:132]
	v_div_scale_f64 v[133:134], vcc_lo, 1.0, v[114:115], 1.0
	v_mul_f64 v[135:136], v[133:134], v[131:132]
	v_fma_f64 v[116:117], -v[116:117], v[135:136], v[133:134]
	v_div_fmas_f64 v[116:117], v[116:117], v[131:132], v[135:136]
	v_div_fixup_f64 v[116:117], v[116:117], v[114:115], 1.0
	v_mul_f64 v[114:115], v[129:130], v[116:117]
	v_xor_b32_e32 v117, 0x80000000, v117
.LBB54_154:
	s_andn2_saveexec_b32 s1, s1
	s_cbranch_execz .LBB54_156
; %bb.155:
	v_div_scale_f64 v[129:130], null, v[114:115], v[114:115], v[116:117]
	v_div_scale_f64 v[135:136], vcc_lo, v[116:117], v[114:115], v[116:117]
	v_rcp_f64_e32 v[131:132], v[129:130]
	v_fma_f64 v[133:134], -v[129:130], v[131:132], 1.0
	v_fma_f64 v[131:132], v[131:132], v[133:134], v[131:132]
	v_fma_f64 v[133:134], -v[129:130], v[131:132], 1.0
	v_fma_f64 v[131:132], v[131:132], v[133:134], v[131:132]
	v_mul_f64 v[133:134], v[135:136], v[131:132]
	v_fma_f64 v[129:130], -v[129:130], v[133:134], v[135:136]
	v_div_fmas_f64 v[129:130], v[129:130], v[131:132], v[133:134]
	v_div_fixup_f64 v[129:130], v[129:130], v[114:115], v[116:117]
	v_fma_f64 v[114:115], v[116:117], v[129:130], v[114:115]
	v_div_scale_f64 v[116:117], null, v[114:115], v[114:115], 1.0
	v_rcp_f64_e32 v[131:132], v[116:117]
	v_fma_f64 v[133:134], -v[116:117], v[131:132], 1.0
	v_fma_f64 v[131:132], v[131:132], v[133:134], v[131:132]
	v_fma_f64 v[133:134], -v[116:117], v[131:132], 1.0
	v_fma_f64 v[131:132], v[131:132], v[133:134], v[131:132]
	v_div_scale_f64 v[133:134], vcc_lo, 1.0, v[114:115], 1.0
	v_mul_f64 v[135:136], v[133:134], v[131:132]
	v_fma_f64 v[116:117], -v[116:117], v[135:136], v[133:134]
	v_div_fmas_f64 v[116:117], v[116:117], v[131:132], v[135:136]
	v_div_fixup_f64 v[114:115], v[116:117], v[114:115], 1.0
	v_mul_f64 v[116:117], v[129:130], -v[114:115]
.LBB54_156:
	s_or_b32 exec_lo, exec_lo, s1
.LBB54_157:
	s_or_b32 exec_lo, exec_lo, s0
	s_mov_b32 s0, exec_lo
	v_cmpx_ne_u32_e64 v128, v122
	s_xor_b32 s0, exec_lo, s0
	s_cbranch_execz .LBB54_163
; %bb.158:
	s_mov_b32 s1, exec_lo
	v_cmpx_eq_u32_e32 7, v128
	s_cbranch_execz .LBB54_162
; %bb.159:
	v_cmp_ne_u32_e32 vcc_lo, 7, v122
	s_xor_b32 s2, s16, -1
	s_and_b32 s3, s2, vcc_lo
	s_and_saveexec_b32 s2, s3
	s_cbranch_execz .LBB54_161
; %bb.160:
	v_ashrrev_i32_e32 v123, 31, v122
	v_lshlrev_b64 v[128:129], 2, v[122:123]
	v_add_co_u32 v128, vcc_lo, v120, v128
	v_add_co_ci_u32_e64 v129, null, v121, v129, vcc_lo
	s_clause 0x1
	global_load_dword v0, v[128:129], off
	global_load_dword v123, v[120:121], off offset:28
	s_waitcnt vmcnt(1)
	global_store_dword v[120:121], v0, off offset:28
	s_waitcnt vmcnt(0)
	global_store_dword v[128:129], v123, off
.LBB54_161:
	s_or_b32 exec_lo, exec_lo, s2
	v_mov_b32_e32 v128, v122
	v_mov_b32_e32 v0, v122
.LBB54_162:
	s_or_b32 exec_lo, exec_lo, s1
.LBB54_163:
	s_andn2_saveexec_b32 s0, s0
	s_cbranch_execz .LBB54_165
; %bb.164:
	v_mov_b32_e32 v128, 7
	ds_write2_b64 v1, v[78:79], v[80:81] offset0:16 offset1:17
	ds_write2_b64 v1, v[74:75], v[76:77] offset0:18 offset1:19
	;; [unrolled: 1-line block ×20, first 2 shown]
.LBB54_165:
	s_or_b32 exec_lo, exec_lo, s0
	s_mov_b32 s0, exec_lo
	s_waitcnt lgkmcnt(0)
	s_waitcnt_vscnt null, 0x0
	s_barrier
	buffer_gl0_inv
	v_cmpx_lt_i32_e32 7, v128
	s_cbranch_execz .LBB54_167
; %bb.166:
	v_mul_f64 v[122:123], v[116:117], v[84:85]
	v_mul_f64 v[84:85], v[114:115], v[84:85]
	v_fma_f64 v[122:123], v[114:115], v[82:83], -v[122:123]
	v_fma_f64 v[84:85], v[116:117], v[82:83], v[84:85]
	ds_read2_b64 v[114:117], v1 offset0:16 offset1:17
	s_waitcnt lgkmcnt(0)
	v_mul_f64 v[82:83], v[116:117], v[84:85]
	v_fma_f64 v[82:83], v[114:115], v[122:123], -v[82:83]
	v_mul_f64 v[114:115], v[114:115], v[84:85]
	v_add_f64 v[78:79], v[78:79], -v[82:83]
	v_fma_f64 v[114:115], v[116:117], v[122:123], v[114:115]
	v_add_f64 v[80:81], v[80:81], -v[114:115]
	ds_read2_b64 v[114:117], v1 offset0:18 offset1:19
	s_waitcnt lgkmcnt(0)
	v_mul_f64 v[82:83], v[116:117], v[84:85]
	v_fma_f64 v[82:83], v[114:115], v[122:123], -v[82:83]
	v_mul_f64 v[114:115], v[114:115], v[84:85]
	v_add_f64 v[74:75], v[74:75], -v[82:83]
	v_fma_f64 v[114:115], v[116:117], v[122:123], v[114:115]
	v_add_f64 v[76:77], v[76:77], -v[114:115]
	;; [unrolled: 8-line block ×19, first 2 shown]
	ds_read2_b64 v[114:117], v1 offset0:54 offset1:55
	s_waitcnt lgkmcnt(0)
	v_mul_f64 v[82:83], v[116:117], v[84:85]
	v_fma_f64 v[82:83], v[114:115], v[122:123], -v[82:83]
	v_mul_f64 v[114:115], v[114:115], v[84:85]
	v_add_f64 v[2:3], v[2:3], -v[82:83]
	v_fma_f64 v[114:115], v[116:117], v[122:123], v[114:115]
	v_mov_b32_e32 v82, v122
	v_mov_b32_e32 v83, v123
	v_add_f64 v[4:5], v[4:5], -v[114:115]
.LBB54_167:
	s_or_b32 exec_lo, exec_lo, s0
	v_lshl_add_u32 v114, v128, 4, v1
	s_barrier
	buffer_gl0_inv
	v_mov_b32_e32 v122, 8
	ds_write2_b64 v114, v[78:79], v[80:81] offset1:1
	s_waitcnt lgkmcnt(0)
	s_barrier
	buffer_gl0_inv
	ds_read2_b64 v[114:117], v1 offset0:16 offset1:17
	s_cmp_lt_i32 s18, 10
	s_cbranch_scc1 .LBB54_170
; %bb.168:
	v_add3_u32 v123, v124, 0, 0x90
	v_mov_b32_e32 v122, 8
	s_mov_b32 s1, 9
	s_inst_prefetch 0x1
	.p2align	6
.LBB54_169:                             ; =>This Inner Loop Header: Depth=1
	s_waitcnt lgkmcnt(0)
	v_cmp_gt_f64_e32 vcc_lo, 0, v[116:117]
	v_cmp_gt_f64_e64 s0, 0, v[114:115]
	ds_read2_b64 v[129:132], v123 offset1:1
	v_xor_b32_e32 v134, 0x80000000, v115
	v_xor_b32_e32 v136, 0x80000000, v117
	v_mov_b32_e32 v133, v114
	v_mov_b32_e32 v135, v116
	v_add_nc_u32_e32 v123, 16, v123
	s_waitcnt lgkmcnt(0)
	v_xor_b32_e32 v138, 0x80000000, v132
	v_cndmask_b32_e64 v134, v115, v134, s0
	v_cndmask_b32_e32 v136, v117, v136, vcc_lo
	v_cmp_gt_f64_e32 vcc_lo, 0, v[131:132]
	v_cmp_gt_f64_e64 s0, 0, v[129:130]
	v_mov_b32_e32 v137, v131
	v_add_f64 v[133:134], v[133:134], v[135:136]
	v_xor_b32_e32 v136, 0x80000000, v130
	v_mov_b32_e32 v135, v129
	v_cndmask_b32_e32 v138, v132, v138, vcc_lo
	v_cndmask_b32_e64 v136, v130, v136, s0
	v_add_f64 v[135:136], v[135:136], v[137:138]
	v_cmp_lt_f64_e32 vcc_lo, v[133:134], v[135:136]
	v_cndmask_b32_e32 v115, v115, v130, vcc_lo
	v_cndmask_b32_e32 v114, v114, v129, vcc_lo
	;; [unrolled: 1-line block ×4, first 2 shown]
	v_cndmask_b32_e64 v122, v122, s1, vcc_lo
	s_add_i32 s1, s1, 1
	s_cmp_lg_u32 s18, s1
	s_cbranch_scc1 .LBB54_169
.LBB54_170:
	s_inst_prefetch 0x2
	s_waitcnt lgkmcnt(0)
	v_cmp_eq_f64_e32 vcc_lo, 0, v[114:115]
	v_cmp_eq_f64_e64 s0, 0, v[116:117]
	s_and_b32 s0, vcc_lo, s0
	s_and_saveexec_b32 s1, s0
	s_xor_b32 s0, exec_lo, s1
; %bb.171:
	v_cmp_ne_u32_e32 vcc_lo, 0, v127
	v_cndmask_b32_e32 v127, 9, v127, vcc_lo
; %bb.172:
	s_andn2_saveexec_b32 s0, s0
	s_cbranch_execz .LBB54_178
; %bb.173:
	v_cmp_ngt_f64_e64 s1, |v[114:115]|, |v[116:117]|
	s_and_saveexec_b32 s2, s1
	s_xor_b32 s1, exec_lo, s2
	s_cbranch_execz .LBB54_175
; %bb.174:
	v_div_scale_f64 v[129:130], null, v[116:117], v[116:117], v[114:115]
	v_div_scale_f64 v[135:136], vcc_lo, v[114:115], v[116:117], v[114:115]
	v_rcp_f64_e32 v[131:132], v[129:130]
	v_fma_f64 v[133:134], -v[129:130], v[131:132], 1.0
	v_fma_f64 v[131:132], v[131:132], v[133:134], v[131:132]
	v_fma_f64 v[133:134], -v[129:130], v[131:132], 1.0
	v_fma_f64 v[131:132], v[131:132], v[133:134], v[131:132]
	v_mul_f64 v[133:134], v[135:136], v[131:132]
	v_fma_f64 v[129:130], -v[129:130], v[133:134], v[135:136]
	v_div_fmas_f64 v[129:130], v[129:130], v[131:132], v[133:134]
	v_div_fixup_f64 v[129:130], v[129:130], v[116:117], v[114:115]
	v_fma_f64 v[114:115], v[114:115], v[129:130], v[116:117]
	v_div_scale_f64 v[116:117], null, v[114:115], v[114:115], 1.0
	v_rcp_f64_e32 v[131:132], v[116:117]
	v_fma_f64 v[133:134], -v[116:117], v[131:132], 1.0
	v_fma_f64 v[131:132], v[131:132], v[133:134], v[131:132]
	v_fma_f64 v[133:134], -v[116:117], v[131:132], 1.0
	v_fma_f64 v[131:132], v[131:132], v[133:134], v[131:132]
	v_div_scale_f64 v[133:134], vcc_lo, 1.0, v[114:115], 1.0
	v_mul_f64 v[135:136], v[133:134], v[131:132]
	v_fma_f64 v[116:117], -v[116:117], v[135:136], v[133:134]
	v_div_fmas_f64 v[116:117], v[116:117], v[131:132], v[135:136]
	v_div_fixup_f64 v[116:117], v[116:117], v[114:115], 1.0
	v_mul_f64 v[114:115], v[129:130], v[116:117]
	v_xor_b32_e32 v117, 0x80000000, v117
.LBB54_175:
	s_andn2_saveexec_b32 s1, s1
	s_cbranch_execz .LBB54_177
; %bb.176:
	v_div_scale_f64 v[129:130], null, v[114:115], v[114:115], v[116:117]
	v_div_scale_f64 v[135:136], vcc_lo, v[116:117], v[114:115], v[116:117]
	v_rcp_f64_e32 v[131:132], v[129:130]
	v_fma_f64 v[133:134], -v[129:130], v[131:132], 1.0
	v_fma_f64 v[131:132], v[131:132], v[133:134], v[131:132]
	v_fma_f64 v[133:134], -v[129:130], v[131:132], 1.0
	v_fma_f64 v[131:132], v[131:132], v[133:134], v[131:132]
	v_mul_f64 v[133:134], v[135:136], v[131:132]
	v_fma_f64 v[129:130], -v[129:130], v[133:134], v[135:136]
	v_div_fmas_f64 v[129:130], v[129:130], v[131:132], v[133:134]
	v_div_fixup_f64 v[129:130], v[129:130], v[114:115], v[116:117]
	v_fma_f64 v[114:115], v[116:117], v[129:130], v[114:115]
	v_div_scale_f64 v[116:117], null, v[114:115], v[114:115], 1.0
	v_rcp_f64_e32 v[131:132], v[116:117]
	v_fma_f64 v[133:134], -v[116:117], v[131:132], 1.0
	v_fma_f64 v[131:132], v[131:132], v[133:134], v[131:132]
	v_fma_f64 v[133:134], -v[116:117], v[131:132], 1.0
	v_fma_f64 v[131:132], v[131:132], v[133:134], v[131:132]
	v_div_scale_f64 v[133:134], vcc_lo, 1.0, v[114:115], 1.0
	v_mul_f64 v[135:136], v[133:134], v[131:132]
	v_fma_f64 v[116:117], -v[116:117], v[135:136], v[133:134]
	v_div_fmas_f64 v[116:117], v[116:117], v[131:132], v[135:136]
	v_div_fixup_f64 v[114:115], v[116:117], v[114:115], 1.0
	v_mul_f64 v[116:117], v[129:130], -v[114:115]
.LBB54_177:
	s_or_b32 exec_lo, exec_lo, s1
.LBB54_178:
	s_or_b32 exec_lo, exec_lo, s0
	s_mov_b32 s0, exec_lo
	v_cmpx_ne_u32_e64 v128, v122
	s_xor_b32 s0, exec_lo, s0
	s_cbranch_execz .LBB54_184
; %bb.179:
	s_mov_b32 s1, exec_lo
	v_cmpx_eq_u32_e32 8, v128
	s_cbranch_execz .LBB54_183
; %bb.180:
	v_cmp_ne_u32_e32 vcc_lo, 8, v122
	s_xor_b32 s2, s16, -1
	s_and_b32 s3, s2, vcc_lo
	s_and_saveexec_b32 s2, s3
	s_cbranch_execz .LBB54_182
; %bb.181:
	v_ashrrev_i32_e32 v123, 31, v122
	v_lshlrev_b64 v[128:129], 2, v[122:123]
	v_add_co_u32 v128, vcc_lo, v120, v128
	v_add_co_ci_u32_e64 v129, null, v121, v129, vcc_lo
	s_clause 0x1
	global_load_dword v0, v[128:129], off
	global_load_dword v123, v[120:121], off offset:32
	s_waitcnt vmcnt(1)
	global_store_dword v[120:121], v0, off offset:32
	s_waitcnt vmcnt(0)
	global_store_dword v[128:129], v123, off
.LBB54_182:
	s_or_b32 exec_lo, exec_lo, s2
	v_mov_b32_e32 v128, v122
	v_mov_b32_e32 v0, v122
.LBB54_183:
	s_or_b32 exec_lo, exec_lo, s1
.LBB54_184:
	s_andn2_saveexec_b32 s0, s0
	s_cbranch_execz .LBB54_186
; %bb.185:
	v_mov_b32_e32 v128, 8
	ds_write2_b64 v1, v[74:75], v[76:77] offset0:18 offset1:19
	ds_write2_b64 v1, v[70:71], v[72:73] offset0:20 offset1:21
	;; [unrolled: 1-line block ×19, first 2 shown]
.LBB54_186:
	s_or_b32 exec_lo, exec_lo, s0
	s_mov_b32 s0, exec_lo
	s_waitcnt lgkmcnt(0)
	s_waitcnt_vscnt null, 0x0
	s_barrier
	buffer_gl0_inv
	v_cmpx_lt_i32_e32 8, v128
	s_cbranch_execz .LBB54_188
; %bb.187:
	v_mul_f64 v[122:123], v[116:117], v[80:81]
	v_mul_f64 v[80:81], v[114:115], v[80:81]
	v_fma_f64 v[122:123], v[114:115], v[78:79], -v[122:123]
	v_fma_f64 v[80:81], v[116:117], v[78:79], v[80:81]
	ds_read2_b64 v[114:117], v1 offset0:18 offset1:19
	s_waitcnt lgkmcnt(0)
	v_mul_f64 v[78:79], v[116:117], v[80:81]
	v_fma_f64 v[78:79], v[114:115], v[122:123], -v[78:79]
	v_mul_f64 v[114:115], v[114:115], v[80:81]
	v_add_f64 v[74:75], v[74:75], -v[78:79]
	v_fma_f64 v[114:115], v[116:117], v[122:123], v[114:115]
	v_add_f64 v[76:77], v[76:77], -v[114:115]
	ds_read2_b64 v[114:117], v1 offset0:20 offset1:21
	s_waitcnt lgkmcnt(0)
	v_mul_f64 v[78:79], v[116:117], v[80:81]
	v_fma_f64 v[78:79], v[114:115], v[122:123], -v[78:79]
	v_mul_f64 v[114:115], v[114:115], v[80:81]
	v_add_f64 v[70:71], v[70:71], -v[78:79]
	v_fma_f64 v[114:115], v[116:117], v[122:123], v[114:115]
	v_add_f64 v[72:73], v[72:73], -v[114:115]
	;; [unrolled: 8-line block ×18, first 2 shown]
	ds_read2_b64 v[114:117], v1 offset0:54 offset1:55
	s_waitcnt lgkmcnt(0)
	v_mul_f64 v[78:79], v[116:117], v[80:81]
	v_fma_f64 v[78:79], v[114:115], v[122:123], -v[78:79]
	v_mul_f64 v[114:115], v[114:115], v[80:81]
	v_add_f64 v[2:3], v[2:3], -v[78:79]
	v_fma_f64 v[114:115], v[116:117], v[122:123], v[114:115]
	v_mov_b32_e32 v78, v122
	v_mov_b32_e32 v79, v123
	v_add_f64 v[4:5], v[4:5], -v[114:115]
.LBB54_188:
	s_or_b32 exec_lo, exec_lo, s0
	v_lshl_add_u32 v114, v128, 4, v1
	s_barrier
	buffer_gl0_inv
	v_mov_b32_e32 v122, 9
	ds_write2_b64 v114, v[74:75], v[76:77] offset1:1
	s_waitcnt lgkmcnt(0)
	s_barrier
	buffer_gl0_inv
	ds_read2_b64 v[114:117], v1 offset0:18 offset1:19
	s_cmp_lt_i32 s18, 11
	s_cbranch_scc1 .LBB54_191
; %bb.189:
	v_add3_u32 v123, v124, 0, 0xa0
	v_mov_b32_e32 v122, 9
	s_mov_b32 s1, 10
	s_inst_prefetch 0x1
	.p2align	6
.LBB54_190:                             ; =>This Inner Loop Header: Depth=1
	s_waitcnt lgkmcnt(0)
	v_cmp_gt_f64_e32 vcc_lo, 0, v[116:117]
	v_cmp_gt_f64_e64 s0, 0, v[114:115]
	ds_read2_b64 v[129:132], v123 offset1:1
	v_xor_b32_e32 v134, 0x80000000, v115
	v_xor_b32_e32 v136, 0x80000000, v117
	v_mov_b32_e32 v133, v114
	v_mov_b32_e32 v135, v116
	v_add_nc_u32_e32 v123, 16, v123
	s_waitcnt lgkmcnt(0)
	v_xor_b32_e32 v138, 0x80000000, v132
	v_cndmask_b32_e64 v134, v115, v134, s0
	v_cndmask_b32_e32 v136, v117, v136, vcc_lo
	v_cmp_gt_f64_e32 vcc_lo, 0, v[131:132]
	v_cmp_gt_f64_e64 s0, 0, v[129:130]
	v_mov_b32_e32 v137, v131
	v_add_f64 v[133:134], v[133:134], v[135:136]
	v_xor_b32_e32 v136, 0x80000000, v130
	v_mov_b32_e32 v135, v129
	v_cndmask_b32_e32 v138, v132, v138, vcc_lo
	v_cndmask_b32_e64 v136, v130, v136, s0
	v_add_f64 v[135:136], v[135:136], v[137:138]
	v_cmp_lt_f64_e32 vcc_lo, v[133:134], v[135:136]
	v_cndmask_b32_e32 v115, v115, v130, vcc_lo
	v_cndmask_b32_e32 v114, v114, v129, vcc_lo
	;; [unrolled: 1-line block ×4, first 2 shown]
	v_cndmask_b32_e64 v122, v122, s1, vcc_lo
	s_add_i32 s1, s1, 1
	s_cmp_lg_u32 s18, s1
	s_cbranch_scc1 .LBB54_190
.LBB54_191:
	s_inst_prefetch 0x2
	s_waitcnt lgkmcnt(0)
	v_cmp_eq_f64_e32 vcc_lo, 0, v[114:115]
	v_cmp_eq_f64_e64 s0, 0, v[116:117]
	s_and_b32 s0, vcc_lo, s0
	s_and_saveexec_b32 s1, s0
	s_xor_b32 s0, exec_lo, s1
; %bb.192:
	v_cmp_ne_u32_e32 vcc_lo, 0, v127
	v_cndmask_b32_e32 v127, 10, v127, vcc_lo
; %bb.193:
	s_andn2_saveexec_b32 s0, s0
	s_cbranch_execz .LBB54_199
; %bb.194:
	v_cmp_ngt_f64_e64 s1, |v[114:115]|, |v[116:117]|
	s_and_saveexec_b32 s2, s1
	s_xor_b32 s1, exec_lo, s2
	s_cbranch_execz .LBB54_196
; %bb.195:
	v_div_scale_f64 v[129:130], null, v[116:117], v[116:117], v[114:115]
	v_div_scale_f64 v[135:136], vcc_lo, v[114:115], v[116:117], v[114:115]
	v_rcp_f64_e32 v[131:132], v[129:130]
	v_fma_f64 v[133:134], -v[129:130], v[131:132], 1.0
	v_fma_f64 v[131:132], v[131:132], v[133:134], v[131:132]
	v_fma_f64 v[133:134], -v[129:130], v[131:132], 1.0
	v_fma_f64 v[131:132], v[131:132], v[133:134], v[131:132]
	v_mul_f64 v[133:134], v[135:136], v[131:132]
	v_fma_f64 v[129:130], -v[129:130], v[133:134], v[135:136]
	v_div_fmas_f64 v[129:130], v[129:130], v[131:132], v[133:134]
	v_div_fixup_f64 v[129:130], v[129:130], v[116:117], v[114:115]
	v_fma_f64 v[114:115], v[114:115], v[129:130], v[116:117]
	v_div_scale_f64 v[116:117], null, v[114:115], v[114:115], 1.0
	v_rcp_f64_e32 v[131:132], v[116:117]
	v_fma_f64 v[133:134], -v[116:117], v[131:132], 1.0
	v_fma_f64 v[131:132], v[131:132], v[133:134], v[131:132]
	v_fma_f64 v[133:134], -v[116:117], v[131:132], 1.0
	v_fma_f64 v[131:132], v[131:132], v[133:134], v[131:132]
	v_div_scale_f64 v[133:134], vcc_lo, 1.0, v[114:115], 1.0
	v_mul_f64 v[135:136], v[133:134], v[131:132]
	v_fma_f64 v[116:117], -v[116:117], v[135:136], v[133:134]
	v_div_fmas_f64 v[116:117], v[116:117], v[131:132], v[135:136]
	v_div_fixup_f64 v[116:117], v[116:117], v[114:115], 1.0
	v_mul_f64 v[114:115], v[129:130], v[116:117]
	v_xor_b32_e32 v117, 0x80000000, v117
.LBB54_196:
	s_andn2_saveexec_b32 s1, s1
	s_cbranch_execz .LBB54_198
; %bb.197:
	v_div_scale_f64 v[129:130], null, v[114:115], v[114:115], v[116:117]
	v_div_scale_f64 v[135:136], vcc_lo, v[116:117], v[114:115], v[116:117]
	v_rcp_f64_e32 v[131:132], v[129:130]
	v_fma_f64 v[133:134], -v[129:130], v[131:132], 1.0
	v_fma_f64 v[131:132], v[131:132], v[133:134], v[131:132]
	v_fma_f64 v[133:134], -v[129:130], v[131:132], 1.0
	v_fma_f64 v[131:132], v[131:132], v[133:134], v[131:132]
	v_mul_f64 v[133:134], v[135:136], v[131:132]
	v_fma_f64 v[129:130], -v[129:130], v[133:134], v[135:136]
	v_div_fmas_f64 v[129:130], v[129:130], v[131:132], v[133:134]
	v_div_fixup_f64 v[129:130], v[129:130], v[114:115], v[116:117]
	v_fma_f64 v[114:115], v[116:117], v[129:130], v[114:115]
	v_div_scale_f64 v[116:117], null, v[114:115], v[114:115], 1.0
	v_rcp_f64_e32 v[131:132], v[116:117]
	v_fma_f64 v[133:134], -v[116:117], v[131:132], 1.0
	v_fma_f64 v[131:132], v[131:132], v[133:134], v[131:132]
	v_fma_f64 v[133:134], -v[116:117], v[131:132], 1.0
	v_fma_f64 v[131:132], v[131:132], v[133:134], v[131:132]
	v_div_scale_f64 v[133:134], vcc_lo, 1.0, v[114:115], 1.0
	v_mul_f64 v[135:136], v[133:134], v[131:132]
	v_fma_f64 v[116:117], -v[116:117], v[135:136], v[133:134]
	v_div_fmas_f64 v[116:117], v[116:117], v[131:132], v[135:136]
	v_div_fixup_f64 v[114:115], v[116:117], v[114:115], 1.0
	v_mul_f64 v[116:117], v[129:130], -v[114:115]
.LBB54_198:
	s_or_b32 exec_lo, exec_lo, s1
.LBB54_199:
	s_or_b32 exec_lo, exec_lo, s0
	s_mov_b32 s0, exec_lo
	v_cmpx_ne_u32_e64 v128, v122
	s_xor_b32 s0, exec_lo, s0
	s_cbranch_execz .LBB54_205
; %bb.200:
	s_mov_b32 s1, exec_lo
	v_cmpx_eq_u32_e32 9, v128
	s_cbranch_execz .LBB54_204
; %bb.201:
	v_cmp_ne_u32_e32 vcc_lo, 9, v122
	s_xor_b32 s2, s16, -1
	s_and_b32 s3, s2, vcc_lo
	s_and_saveexec_b32 s2, s3
	s_cbranch_execz .LBB54_203
; %bb.202:
	v_ashrrev_i32_e32 v123, 31, v122
	v_lshlrev_b64 v[128:129], 2, v[122:123]
	v_add_co_u32 v128, vcc_lo, v120, v128
	v_add_co_ci_u32_e64 v129, null, v121, v129, vcc_lo
	s_clause 0x1
	global_load_dword v0, v[128:129], off
	global_load_dword v123, v[120:121], off offset:36
	s_waitcnt vmcnt(1)
	global_store_dword v[120:121], v0, off offset:36
	s_waitcnt vmcnt(0)
	global_store_dword v[128:129], v123, off
.LBB54_203:
	s_or_b32 exec_lo, exec_lo, s2
	v_mov_b32_e32 v128, v122
	v_mov_b32_e32 v0, v122
.LBB54_204:
	s_or_b32 exec_lo, exec_lo, s1
.LBB54_205:
	s_andn2_saveexec_b32 s0, s0
	s_cbranch_execz .LBB54_207
; %bb.206:
	v_mov_b32_e32 v128, 9
	ds_write2_b64 v1, v[70:71], v[72:73] offset0:20 offset1:21
	ds_write2_b64 v1, v[66:67], v[68:69] offset0:22 offset1:23
	;; [unrolled: 1-line block ×18, first 2 shown]
.LBB54_207:
	s_or_b32 exec_lo, exec_lo, s0
	s_mov_b32 s0, exec_lo
	s_waitcnt lgkmcnt(0)
	s_waitcnt_vscnt null, 0x0
	s_barrier
	buffer_gl0_inv
	v_cmpx_lt_i32_e32 9, v128
	s_cbranch_execz .LBB54_209
; %bb.208:
	v_mul_f64 v[122:123], v[116:117], v[76:77]
	v_mul_f64 v[76:77], v[114:115], v[76:77]
	v_fma_f64 v[122:123], v[114:115], v[74:75], -v[122:123]
	v_fma_f64 v[76:77], v[116:117], v[74:75], v[76:77]
	ds_read2_b64 v[114:117], v1 offset0:20 offset1:21
	s_waitcnt lgkmcnt(0)
	v_mul_f64 v[74:75], v[116:117], v[76:77]
	v_fma_f64 v[74:75], v[114:115], v[122:123], -v[74:75]
	v_mul_f64 v[114:115], v[114:115], v[76:77]
	v_add_f64 v[70:71], v[70:71], -v[74:75]
	v_fma_f64 v[114:115], v[116:117], v[122:123], v[114:115]
	v_add_f64 v[72:73], v[72:73], -v[114:115]
	ds_read2_b64 v[114:117], v1 offset0:22 offset1:23
	s_waitcnt lgkmcnt(0)
	v_mul_f64 v[74:75], v[116:117], v[76:77]
	v_fma_f64 v[74:75], v[114:115], v[122:123], -v[74:75]
	v_mul_f64 v[114:115], v[114:115], v[76:77]
	v_add_f64 v[66:67], v[66:67], -v[74:75]
	v_fma_f64 v[114:115], v[116:117], v[122:123], v[114:115]
	v_add_f64 v[68:69], v[68:69], -v[114:115]
	;; [unrolled: 8-line block ×17, first 2 shown]
	ds_read2_b64 v[114:117], v1 offset0:54 offset1:55
	s_waitcnt lgkmcnt(0)
	v_mul_f64 v[74:75], v[116:117], v[76:77]
	v_fma_f64 v[74:75], v[114:115], v[122:123], -v[74:75]
	v_mul_f64 v[114:115], v[114:115], v[76:77]
	v_add_f64 v[2:3], v[2:3], -v[74:75]
	v_fma_f64 v[114:115], v[116:117], v[122:123], v[114:115]
	v_mov_b32_e32 v74, v122
	v_mov_b32_e32 v75, v123
	v_add_f64 v[4:5], v[4:5], -v[114:115]
.LBB54_209:
	s_or_b32 exec_lo, exec_lo, s0
	v_lshl_add_u32 v114, v128, 4, v1
	s_barrier
	buffer_gl0_inv
	v_mov_b32_e32 v122, 10
	ds_write2_b64 v114, v[70:71], v[72:73] offset1:1
	s_waitcnt lgkmcnt(0)
	s_barrier
	buffer_gl0_inv
	ds_read2_b64 v[114:117], v1 offset0:20 offset1:21
	s_cmp_lt_i32 s18, 12
	s_cbranch_scc1 .LBB54_212
; %bb.210:
	v_add3_u32 v123, v124, 0, 0xb0
	v_mov_b32_e32 v122, 10
	s_mov_b32 s1, 11
	s_inst_prefetch 0x1
	.p2align	6
.LBB54_211:                             ; =>This Inner Loop Header: Depth=1
	s_waitcnt lgkmcnt(0)
	v_cmp_gt_f64_e32 vcc_lo, 0, v[116:117]
	v_cmp_gt_f64_e64 s0, 0, v[114:115]
	ds_read2_b64 v[129:132], v123 offset1:1
	v_xor_b32_e32 v134, 0x80000000, v115
	v_xor_b32_e32 v136, 0x80000000, v117
	v_mov_b32_e32 v133, v114
	v_mov_b32_e32 v135, v116
	v_add_nc_u32_e32 v123, 16, v123
	s_waitcnt lgkmcnt(0)
	v_xor_b32_e32 v138, 0x80000000, v132
	v_cndmask_b32_e64 v134, v115, v134, s0
	v_cndmask_b32_e32 v136, v117, v136, vcc_lo
	v_cmp_gt_f64_e32 vcc_lo, 0, v[131:132]
	v_cmp_gt_f64_e64 s0, 0, v[129:130]
	v_mov_b32_e32 v137, v131
	v_add_f64 v[133:134], v[133:134], v[135:136]
	v_xor_b32_e32 v136, 0x80000000, v130
	v_mov_b32_e32 v135, v129
	v_cndmask_b32_e32 v138, v132, v138, vcc_lo
	v_cndmask_b32_e64 v136, v130, v136, s0
	v_add_f64 v[135:136], v[135:136], v[137:138]
	v_cmp_lt_f64_e32 vcc_lo, v[133:134], v[135:136]
	v_cndmask_b32_e32 v115, v115, v130, vcc_lo
	v_cndmask_b32_e32 v114, v114, v129, vcc_lo
	;; [unrolled: 1-line block ×4, first 2 shown]
	v_cndmask_b32_e64 v122, v122, s1, vcc_lo
	s_add_i32 s1, s1, 1
	s_cmp_lg_u32 s18, s1
	s_cbranch_scc1 .LBB54_211
.LBB54_212:
	s_inst_prefetch 0x2
	s_waitcnt lgkmcnt(0)
	v_cmp_eq_f64_e32 vcc_lo, 0, v[114:115]
	v_cmp_eq_f64_e64 s0, 0, v[116:117]
	s_and_b32 s0, vcc_lo, s0
	s_and_saveexec_b32 s1, s0
	s_xor_b32 s0, exec_lo, s1
; %bb.213:
	v_cmp_ne_u32_e32 vcc_lo, 0, v127
	v_cndmask_b32_e32 v127, 11, v127, vcc_lo
; %bb.214:
	s_andn2_saveexec_b32 s0, s0
	s_cbranch_execz .LBB54_220
; %bb.215:
	v_cmp_ngt_f64_e64 s1, |v[114:115]|, |v[116:117]|
	s_and_saveexec_b32 s2, s1
	s_xor_b32 s1, exec_lo, s2
	s_cbranch_execz .LBB54_217
; %bb.216:
	v_div_scale_f64 v[129:130], null, v[116:117], v[116:117], v[114:115]
	v_div_scale_f64 v[135:136], vcc_lo, v[114:115], v[116:117], v[114:115]
	v_rcp_f64_e32 v[131:132], v[129:130]
	v_fma_f64 v[133:134], -v[129:130], v[131:132], 1.0
	v_fma_f64 v[131:132], v[131:132], v[133:134], v[131:132]
	v_fma_f64 v[133:134], -v[129:130], v[131:132], 1.0
	v_fma_f64 v[131:132], v[131:132], v[133:134], v[131:132]
	v_mul_f64 v[133:134], v[135:136], v[131:132]
	v_fma_f64 v[129:130], -v[129:130], v[133:134], v[135:136]
	v_div_fmas_f64 v[129:130], v[129:130], v[131:132], v[133:134]
	v_div_fixup_f64 v[129:130], v[129:130], v[116:117], v[114:115]
	v_fma_f64 v[114:115], v[114:115], v[129:130], v[116:117]
	v_div_scale_f64 v[116:117], null, v[114:115], v[114:115], 1.0
	v_rcp_f64_e32 v[131:132], v[116:117]
	v_fma_f64 v[133:134], -v[116:117], v[131:132], 1.0
	v_fma_f64 v[131:132], v[131:132], v[133:134], v[131:132]
	v_fma_f64 v[133:134], -v[116:117], v[131:132], 1.0
	v_fma_f64 v[131:132], v[131:132], v[133:134], v[131:132]
	v_div_scale_f64 v[133:134], vcc_lo, 1.0, v[114:115], 1.0
	v_mul_f64 v[135:136], v[133:134], v[131:132]
	v_fma_f64 v[116:117], -v[116:117], v[135:136], v[133:134]
	v_div_fmas_f64 v[116:117], v[116:117], v[131:132], v[135:136]
	v_div_fixup_f64 v[116:117], v[116:117], v[114:115], 1.0
	v_mul_f64 v[114:115], v[129:130], v[116:117]
	v_xor_b32_e32 v117, 0x80000000, v117
.LBB54_217:
	s_andn2_saveexec_b32 s1, s1
	s_cbranch_execz .LBB54_219
; %bb.218:
	v_div_scale_f64 v[129:130], null, v[114:115], v[114:115], v[116:117]
	v_div_scale_f64 v[135:136], vcc_lo, v[116:117], v[114:115], v[116:117]
	v_rcp_f64_e32 v[131:132], v[129:130]
	v_fma_f64 v[133:134], -v[129:130], v[131:132], 1.0
	v_fma_f64 v[131:132], v[131:132], v[133:134], v[131:132]
	v_fma_f64 v[133:134], -v[129:130], v[131:132], 1.0
	v_fma_f64 v[131:132], v[131:132], v[133:134], v[131:132]
	v_mul_f64 v[133:134], v[135:136], v[131:132]
	v_fma_f64 v[129:130], -v[129:130], v[133:134], v[135:136]
	v_div_fmas_f64 v[129:130], v[129:130], v[131:132], v[133:134]
	v_div_fixup_f64 v[129:130], v[129:130], v[114:115], v[116:117]
	v_fma_f64 v[114:115], v[116:117], v[129:130], v[114:115]
	v_div_scale_f64 v[116:117], null, v[114:115], v[114:115], 1.0
	v_rcp_f64_e32 v[131:132], v[116:117]
	v_fma_f64 v[133:134], -v[116:117], v[131:132], 1.0
	v_fma_f64 v[131:132], v[131:132], v[133:134], v[131:132]
	v_fma_f64 v[133:134], -v[116:117], v[131:132], 1.0
	v_fma_f64 v[131:132], v[131:132], v[133:134], v[131:132]
	v_div_scale_f64 v[133:134], vcc_lo, 1.0, v[114:115], 1.0
	v_mul_f64 v[135:136], v[133:134], v[131:132]
	v_fma_f64 v[116:117], -v[116:117], v[135:136], v[133:134]
	v_div_fmas_f64 v[116:117], v[116:117], v[131:132], v[135:136]
	v_div_fixup_f64 v[114:115], v[116:117], v[114:115], 1.0
	v_mul_f64 v[116:117], v[129:130], -v[114:115]
.LBB54_219:
	s_or_b32 exec_lo, exec_lo, s1
.LBB54_220:
	s_or_b32 exec_lo, exec_lo, s0
	s_mov_b32 s0, exec_lo
	v_cmpx_ne_u32_e64 v128, v122
	s_xor_b32 s0, exec_lo, s0
	s_cbranch_execz .LBB54_226
; %bb.221:
	s_mov_b32 s1, exec_lo
	v_cmpx_eq_u32_e32 10, v128
	s_cbranch_execz .LBB54_225
; %bb.222:
	v_cmp_ne_u32_e32 vcc_lo, 10, v122
	s_xor_b32 s2, s16, -1
	s_and_b32 s3, s2, vcc_lo
	s_and_saveexec_b32 s2, s3
	s_cbranch_execz .LBB54_224
; %bb.223:
	v_ashrrev_i32_e32 v123, 31, v122
	v_lshlrev_b64 v[128:129], 2, v[122:123]
	v_add_co_u32 v128, vcc_lo, v120, v128
	v_add_co_ci_u32_e64 v129, null, v121, v129, vcc_lo
	s_clause 0x1
	global_load_dword v0, v[128:129], off
	global_load_dword v123, v[120:121], off offset:40
	s_waitcnt vmcnt(1)
	global_store_dword v[120:121], v0, off offset:40
	s_waitcnt vmcnt(0)
	global_store_dword v[128:129], v123, off
.LBB54_224:
	s_or_b32 exec_lo, exec_lo, s2
	v_mov_b32_e32 v128, v122
	v_mov_b32_e32 v0, v122
.LBB54_225:
	s_or_b32 exec_lo, exec_lo, s1
.LBB54_226:
	s_andn2_saveexec_b32 s0, s0
	s_cbranch_execz .LBB54_228
; %bb.227:
	v_mov_b32_e32 v128, 10
	ds_write2_b64 v1, v[66:67], v[68:69] offset0:22 offset1:23
	ds_write2_b64 v1, v[62:63], v[64:65] offset0:24 offset1:25
	;; [unrolled: 1-line block ×17, first 2 shown]
.LBB54_228:
	s_or_b32 exec_lo, exec_lo, s0
	s_mov_b32 s0, exec_lo
	s_waitcnt lgkmcnt(0)
	s_waitcnt_vscnt null, 0x0
	s_barrier
	buffer_gl0_inv
	v_cmpx_lt_i32_e32 10, v128
	s_cbranch_execz .LBB54_230
; %bb.229:
	v_mul_f64 v[122:123], v[116:117], v[72:73]
	v_mul_f64 v[72:73], v[114:115], v[72:73]
	v_fma_f64 v[122:123], v[114:115], v[70:71], -v[122:123]
	v_fma_f64 v[72:73], v[116:117], v[70:71], v[72:73]
	ds_read2_b64 v[114:117], v1 offset0:22 offset1:23
	s_waitcnt lgkmcnt(0)
	v_mul_f64 v[70:71], v[116:117], v[72:73]
	v_fma_f64 v[70:71], v[114:115], v[122:123], -v[70:71]
	v_mul_f64 v[114:115], v[114:115], v[72:73]
	v_add_f64 v[66:67], v[66:67], -v[70:71]
	v_fma_f64 v[114:115], v[116:117], v[122:123], v[114:115]
	v_add_f64 v[68:69], v[68:69], -v[114:115]
	ds_read2_b64 v[114:117], v1 offset0:24 offset1:25
	s_waitcnt lgkmcnt(0)
	v_mul_f64 v[70:71], v[116:117], v[72:73]
	v_fma_f64 v[70:71], v[114:115], v[122:123], -v[70:71]
	v_mul_f64 v[114:115], v[114:115], v[72:73]
	v_add_f64 v[62:63], v[62:63], -v[70:71]
	v_fma_f64 v[114:115], v[116:117], v[122:123], v[114:115]
	v_add_f64 v[64:65], v[64:65], -v[114:115]
	ds_read2_b64 v[114:117], v1 offset0:26 offset1:27
	s_waitcnt lgkmcnt(0)
	v_mul_f64 v[70:71], v[116:117], v[72:73]
	v_fma_f64 v[70:71], v[114:115], v[122:123], -v[70:71]
	v_mul_f64 v[114:115], v[114:115], v[72:73]
	v_add_f64 v[58:59], v[58:59], -v[70:71]
	v_fma_f64 v[114:115], v[116:117], v[122:123], v[114:115]
	v_add_f64 v[60:61], v[60:61], -v[114:115]
	ds_read2_b64 v[114:117], v1 offset0:28 offset1:29
	s_waitcnt lgkmcnt(0)
	v_mul_f64 v[70:71], v[116:117], v[72:73]
	v_fma_f64 v[70:71], v[114:115], v[122:123], -v[70:71]
	v_mul_f64 v[114:115], v[114:115], v[72:73]
	v_add_f64 v[54:55], v[54:55], -v[70:71]
	v_fma_f64 v[114:115], v[116:117], v[122:123], v[114:115]
	v_add_f64 v[56:57], v[56:57], -v[114:115]
	ds_read2_b64 v[114:117], v1 offset0:30 offset1:31
	s_waitcnt lgkmcnt(0)
	v_mul_f64 v[70:71], v[116:117], v[72:73]
	v_fma_f64 v[70:71], v[114:115], v[122:123], -v[70:71]
	v_mul_f64 v[114:115], v[114:115], v[72:73]
	v_add_f64 v[50:51], v[50:51], -v[70:71]
	v_fma_f64 v[114:115], v[116:117], v[122:123], v[114:115]
	v_add_f64 v[52:53], v[52:53], -v[114:115]
	ds_read2_b64 v[114:117], v1 offset0:32 offset1:33
	s_waitcnt lgkmcnt(0)
	v_mul_f64 v[70:71], v[116:117], v[72:73]
	v_fma_f64 v[70:71], v[114:115], v[122:123], -v[70:71]
	v_mul_f64 v[114:115], v[114:115], v[72:73]
	v_add_f64 v[46:47], v[46:47], -v[70:71]
	v_fma_f64 v[114:115], v[116:117], v[122:123], v[114:115]
	v_add_f64 v[48:49], v[48:49], -v[114:115]
	ds_read2_b64 v[114:117], v1 offset0:34 offset1:35
	s_waitcnt lgkmcnt(0)
	v_mul_f64 v[70:71], v[116:117], v[72:73]
	v_fma_f64 v[70:71], v[114:115], v[122:123], -v[70:71]
	v_mul_f64 v[114:115], v[114:115], v[72:73]
	v_add_f64 v[42:43], v[42:43], -v[70:71]
	v_fma_f64 v[114:115], v[116:117], v[122:123], v[114:115]
	v_add_f64 v[44:45], v[44:45], -v[114:115]
	ds_read2_b64 v[114:117], v1 offset0:36 offset1:37
	s_waitcnt lgkmcnt(0)
	v_mul_f64 v[70:71], v[116:117], v[72:73]
	v_fma_f64 v[70:71], v[114:115], v[122:123], -v[70:71]
	v_mul_f64 v[114:115], v[114:115], v[72:73]
	v_add_f64 v[38:39], v[38:39], -v[70:71]
	v_fma_f64 v[114:115], v[116:117], v[122:123], v[114:115]
	v_add_f64 v[40:41], v[40:41], -v[114:115]
	ds_read2_b64 v[114:117], v1 offset0:38 offset1:39
	s_waitcnt lgkmcnt(0)
	v_mul_f64 v[70:71], v[116:117], v[72:73]
	v_fma_f64 v[70:71], v[114:115], v[122:123], -v[70:71]
	v_mul_f64 v[114:115], v[114:115], v[72:73]
	v_add_f64 v[34:35], v[34:35], -v[70:71]
	v_fma_f64 v[114:115], v[116:117], v[122:123], v[114:115]
	v_add_f64 v[36:37], v[36:37], -v[114:115]
	ds_read2_b64 v[114:117], v1 offset0:40 offset1:41
	s_waitcnt lgkmcnt(0)
	v_mul_f64 v[70:71], v[116:117], v[72:73]
	v_fma_f64 v[70:71], v[114:115], v[122:123], -v[70:71]
	v_mul_f64 v[114:115], v[114:115], v[72:73]
	v_add_f64 v[30:31], v[30:31], -v[70:71]
	v_fma_f64 v[114:115], v[116:117], v[122:123], v[114:115]
	v_add_f64 v[32:33], v[32:33], -v[114:115]
	ds_read2_b64 v[114:117], v1 offset0:42 offset1:43
	s_waitcnt lgkmcnt(0)
	v_mul_f64 v[70:71], v[116:117], v[72:73]
	v_fma_f64 v[70:71], v[114:115], v[122:123], -v[70:71]
	v_mul_f64 v[114:115], v[114:115], v[72:73]
	v_add_f64 v[26:27], v[26:27], -v[70:71]
	v_fma_f64 v[114:115], v[116:117], v[122:123], v[114:115]
	v_add_f64 v[28:29], v[28:29], -v[114:115]
	ds_read2_b64 v[114:117], v1 offset0:44 offset1:45
	s_waitcnt lgkmcnt(0)
	v_mul_f64 v[70:71], v[116:117], v[72:73]
	v_fma_f64 v[70:71], v[114:115], v[122:123], -v[70:71]
	v_mul_f64 v[114:115], v[114:115], v[72:73]
	v_add_f64 v[22:23], v[22:23], -v[70:71]
	v_fma_f64 v[114:115], v[116:117], v[122:123], v[114:115]
	v_add_f64 v[24:25], v[24:25], -v[114:115]
	ds_read2_b64 v[114:117], v1 offset0:46 offset1:47
	s_waitcnt lgkmcnt(0)
	v_mul_f64 v[70:71], v[116:117], v[72:73]
	v_fma_f64 v[70:71], v[114:115], v[122:123], -v[70:71]
	v_mul_f64 v[114:115], v[114:115], v[72:73]
	v_add_f64 v[18:19], v[18:19], -v[70:71]
	v_fma_f64 v[114:115], v[116:117], v[122:123], v[114:115]
	v_add_f64 v[20:21], v[20:21], -v[114:115]
	ds_read2_b64 v[114:117], v1 offset0:48 offset1:49
	s_waitcnt lgkmcnt(0)
	v_mul_f64 v[70:71], v[116:117], v[72:73]
	v_fma_f64 v[70:71], v[114:115], v[122:123], -v[70:71]
	v_mul_f64 v[114:115], v[114:115], v[72:73]
	v_add_f64 v[14:15], v[14:15], -v[70:71]
	v_fma_f64 v[114:115], v[116:117], v[122:123], v[114:115]
	v_add_f64 v[16:17], v[16:17], -v[114:115]
	ds_read2_b64 v[114:117], v1 offset0:50 offset1:51
	s_waitcnt lgkmcnt(0)
	v_mul_f64 v[70:71], v[116:117], v[72:73]
	v_fma_f64 v[70:71], v[114:115], v[122:123], -v[70:71]
	v_mul_f64 v[114:115], v[114:115], v[72:73]
	v_add_f64 v[10:11], v[10:11], -v[70:71]
	v_fma_f64 v[114:115], v[116:117], v[122:123], v[114:115]
	v_add_f64 v[12:13], v[12:13], -v[114:115]
	ds_read2_b64 v[114:117], v1 offset0:52 offset1:53
	s_waitcnt lgkmcnt(0)
	v_mul_f64 v[70:71], v[116:117], v[72:73]
	v_fma_f64 v[70:71], v[114:115], v[122:123], -v[70:71]
	v_mul_f64 v[114:115], v[114:115], v[72:73]
	v_add_f64 v[6:7], v[6:7], -v[70:71]
	v_fma_f64 v[114:115], v[116:117], v[122:123], v[114:115]
	v_add_f64 v[8:9], v[8:9], -v[114:115]
	ds_read2_b64 v[114:117], v1 offset0:54 offset1:55
	s_waitcnt lgkmcnt(0)
	v_mul_f64 v[70:71], v[116:117], v[72:73]
	v_fma_f64 v[70:71], v[114:115], v[122:123], -v[70:71]
	v_mul_f64 v[114:115], v[114:115], v[72:73]
	v_add_f64 v[2:3], v[2:3], -v[70:71]
	v_fma_f64 v[114:115], v[116:117], v[122:123], v[114:115]
	v_mov_b32_e32 v70, v122
	v_mov_b32_e32 v71, v123
	v_add_f64 v[4:5], v[4:5], -v[114:115]
.LBB54_230:
	s_or_b32 exec_lo, exec_lo, s0
	v_lshl_add_u32 v114, v128, 4, v1
	s_barrier
	buffer_gl0_inv
	v_mov_b32_e32 v122, 11
	ds_write2_b64 v114, v[66:67], v[68:69] offset1:1
	s_waitcnt lgkmcnt(0)
	s_barrier
	buffer_gl0_inv
	ds_read2_b64 v[114:117], v1 offset0:22 offset1:23
	s_cmp_lt_i32 s18, 13
	s_cbranch_scc1 .LBB54_233
; %bb.231:
	v_add3_u32 v123, v124, 0, 0xc0
	v_mov_b32_e32 v122, 11
	s_mov_b32 s1, 12
	s_inst_prefetch 0x1
	.p2align	6
.LBB54_232:                             ; =>This Inner Loop Header: Depth=1
	s_waitcnt lgkmcnt(0)
	v_cmp_gt_f64_e32 vcc_lo, 0, v[116:117]
	v_cmp_gt_f64_e64 s0, 0, v[114:115]
	ds_read2_b64 v[129:132], v123 offset1:1
	v_xor_b32_e32 v134, 0x80000000, v115
	v_xor_b32_e32 v136, 0x80000000, v117
	v_mov_b32_e32 v133, v114
	v_mov_b32_e32 v135, v116
	v_add_nc_u32_e32 v123, 16, v123
	s_waitcnt lgkmcnt(0)
	v_xor_b32_e32 v138, 0x80000000, v132
	v_cndmask_b32_e64 v134, v115, v134, s0
	v_cndmask_b32_e32 v136, v117, v136, vcc_lo
	v_cmp_gt_f64_e32 vcc_lo, 0, v[131:132]
	v_cmp_gt_f64_e64 s0, 0, v[129:130]
	v_mov_b32_e32 v137, v131
	v_add_f64 v[133:134], v[133:134], v[135:136]
	v_xor_b32_e32 v136, 0x80000000, v130
	v_mov_b32_e32 v135, v129
	v_cndmask_b32_e32 v138, v132, v138, vcc_lo
	v_cndmask_b32_e64 v136, v130, v136, s0
	v_add_f64 v[135:136], v[135:136], v[137:138]
	v_cmp_lt_f64_e32 vcc_lo, v[133:134], v[135:136]
	v_cndmask_b32_e32 v115, v115, v130, vcc_lo
	v_cndmask_b32_e32 v114, v114, v129, vcc_lo
	;; [unrolled: 1-line block ×4, first 2 shown]
	v_cndmask_b32_e64 v122, v122, s1, vcc_lo
	s_add_i32 s1, s1, 1
	s_cmp_lg_u32 s18, s1
	s_cbranch_scc1 .LBB54_232
.LBB54_233:
	s_inst_prefetch 0x2
	s_waitcnt lgkmcnt(0)
	v_cmp_eq_f64_e32 vcc_lo, 0, v[114:115]
	v_cmp_eq_f64_e64 s0, 0, v[116:117]
	s_and_b32 s0, vcc_lo, s0
	s_and_saveexec_b32 s1, s0
	s_xor_b32 s0, exec_lo, s1
; %bb.234:
	v_cmp_ne_u32_e32 vcc_lo, 0, v127
	v_cndmask_b32_e32 v127, 12, v127, vcc_lo
; %bb.235:
	s_andn2_saveexec_b32 s0, s0
	s_cbranch_execz .LBB54_241
; %bb.236:
	v_cmp_ngt_f64_e64 s1, |v[114:115]|, |v[116:117]|
	s_and_saveexec_b32 s2, s1
	s_xor_b32 s1, exec_lo, s2
	s_cbranch_execz .LBB54_238
; %bb.237:
	v_div_scale_f64 v[129:130], null, v[116:117], v[116:117], v[114:115]
	v_div_scale_f64 v[135:136], vcc_lo, v[114:115], v[116:117], v[114:115]
	v_rcp_f64_e32 v[131:132], v[129:130]
	v_fma_f64 v[133:134], -v[129:130], v[131:132], 1.0
	v_fma_f64 v[131:132], v[131:132], v[133:134], v[131:132]
	v_fma_f64 v[133:134], -v[129:130], v[131:132], 1.0
	v_fma_f64 v[131:132], v[131:132], v[133:134], v[131:132]
	v_mul_f64 v[133:134], v[135:136], v[131:132]
	v_fma_f64 v[129:130], -v[129:130], v[133:134], v[135:136]
	v_div_fmas_f64 v[129:130], v[129:130], v[131:132], v[133:134]
	v_div_fixup_f64 v[129:130], v[129:130], v[116:117], v[114:115]
	v_fma_f64 v[114:115], v[114:115], v[129:130], v[116:117]
	v_div_scale_f64 v[116:117], null, v[114:115], v[114:115], 1.0
	v_rcp_f64_e32 v[131:132], v[116:117]
	v_fma_f64 v[133:134], -v[116:117], v[131:132], 1.0
	v_fma_f64 v[131:132], v[131:132], v[133:134], v[131:132]
	v_fma_f64 v[133:134], -v[116:117], v[131:132], 1.0
	v_fma_f64 v[131:132], v[131:132], v[133:134], v[131:132]
	v_div_scale_f64 v[133:134], vcc_lo, 1.0, v[114:115], 1.0
	v_mul_f64 v[135:136], v[133:134], v[131:132]
	v_fma_f64 v[116:117], -v[116:117], v[135:136], v[133:134]
	v_div_fmas_f64 v[116:117], v[116:117], v[131:132], v[135:136]
	v_div_fixup_f64 v[116:117], v[116:117], v[114:115], 1.0
	v_mul_f64 v[114:115], v[129:130], v[116:117]
	v_xor_b32_e32 v117, 0x80000000, v117
.LBB54_238:
	s_andn2_saveexec_b32 s1, s1
	s_cbranch_execz .LBB54_240
; %bb.239:
	v_div_scale_f64 v[129:130], null, v[114:115], v[114:115], v[116:117]
	v_div_scale_f64 v[135:136], vcc_lo, v[116:117], v[114:115], v[116:117]
	v_rcp_f64_e32 v[131:132], v[129:130]
	v_fma_f64 v[133:134], -v[129:130], v[131:132], 1.0
	v_fma_f64 v[131:132], v[131:132], v[133:134], v[131:132]
	v_fma_f64 v[133:134], -v[129:130], v[131:132], 1.0
	v_fma_f64 v[131:132], v[131:132], v[133:134], v[131:132]
	v_mul_f64 v[133:134], v[135:136], v[131:132]
	v_fma_f64 v[129:130], -v[129:130], v[133:134], v[135:136]
	v_div_fmas_f64 v[129:130], v[129:130], v[131:132], v[133:134]
	v_div_fixup_f64 v[129:130], v[129:130], v[114:115], v[116:117]
	v_fma_f64 v[114:115], v[116:117], v[129:130], v[114:115]
	v_div_scale_f64 v[116:117], null, v[114:115], v[114:115], 1.0
	v_rcp_f64_e32 v[131:132], v[116:117]
	v_fma_f64 v[133:134], -v[116:117], v[131:132], 1.0
	v_fma_f64 v[131:132], v[131:132], v[133:134], v[131:132]
	v_fma_f64 v[133:134], -v[116:117], v[131:132], 1.0
	v_fma_f64 v[131:132], v[131:132], v[133:134], v[131:132]
	v_div_scale_f64 v[133:134], vcc_lo, 1.0, v[114:115], 1.0
	v_mul_f64 v[135:136], v[133:134], v[131:132]
	v_fma_f64 v[116:117], -v[116:117], v[135:136], v[133:134]
	v_div_fmas_f64 v[116:117], v[116:117], v[131:132], v[135:136]
	v_div_fixup_f64 v[114:115], v[116:117], v[114:115], 1.0
	v_mul_f64 v[116:117], v[129:130], -v[114:115]
.LBB54_240:
	s_or_b32 exec_lo, exec_lo, s1
.LBB54_241:
	s_or_b32 exec_lo, exec_lo, s0
	s_mov_b32 s0, exec_lo
	v_cmpx_ne_u32_e64 v128, v122
	s_xor_b32 s0, exec_lo, s0
	s_cbranch_execz .LBB54_247
; %bb.242:
	s_mov_b32 s1, exec_lo
	v_cmpx_eq_u32_e32 11, v128
	s_cbranch_execz .LBB54_246
; %bb.243:
	v_cmp_ne_u32_e32 vcc_lo, 11, v122
	s_xor_b32 s2, s16, -1
	s_and_b32 s3, s2, vcc_lo
	s_and_saveexec_b32 s2, s3
	s_cbranch_execz .LBB54_245
; %bb.244:
	v_ashrrev_i32_e32 v123, 31, v122
	v_lshlrev_b64 v[128:129], 2, v[122:123]
	v_add_co_u32 v128, vcc_lo, v120, v128
	v_add_co_ci_u32_e64 v129, null, v121, v129, vcc_lo
	s_clause 0x1
	global_load_dword v0, v[128:129], off
	global_load_dword v123, v[120:121], off offset:44
	s_waitcnt vmcnt(1)
	global_store_dword v[120:121], v0, off offset:44
	s_waitcnt vmcnt(0)
	global_store_dword v[128:129], v123, off
.LBB54_245:
	s_or_b32 exec_lo, exec_lo, s2
	v_mov_b32_e32 v128, v122
	v_mov_b32_e32 v0, v122
.LBB54_246:
	s_or_b32 exec_lo, exec_lo, s1
.LBB54_247:
	s_andn2_saveexec_b32 s0, s0
	s_cbranch_execz .LBB54_249
; %bb.248:
	v_mov_b32_e32 v128, 11
	ds_write2_b64 v1, v[62:63], v[64:65] offset0:24 offset1:25
	ds_write2_b64 v1, v[58:59], v[60:61] offset0:26 offset1:27
	;; [unrolled: 1-line block ×16, first 2 shown]
.LBB54_249:
	s_or_b32 exec_lo, exec_lo, s0
	s_mov_b32 s0, exec_lo
	s_waitcnt lgkmcnt(0)
	s_waitcnt_vscnt null, 0x0
	s_barrier
	buffer_gl0_inv
	v_cmpx_lt_i32_e32 11, v128
	s_cbranch_execz .LBB54_251
; %bb.250:
	v_mul_f64 v[122:123], v[114:115], v[68:69]
	v_mul_f64 v[68:69], v[116:117], v[68:69]
	v_fma_f64 v[122:123], v[116:117], v[66:67], v[122:123]
	v_fma_f64 v[66:67], v[114:115], v[66:67], -v[68:69]
	ds_read2_b64 v[114:117], v1 offset0:24 offset1:25
	s_waitcnt lgkmcnt(0)
	v_mul_f64 v[68:69], v[116:117], v[122:123]
	v_fma_f64 v[68:69], v[114:115], v[66:67], -v[68:69]
	v_mul_f64 v[114:115], v[114:115], v[122:123]
	v_add_f64 v[62:63], v[62:63], -v[68:69]
	v_fma_f64 v[114:115], v[116:117], v[66:67], v[114:115]
	v_add_f64 v[64:65], v[64:65], -v[114:115]
	ds_read2_b64 v[114:117], v1 offset0:26 offset1:27
	s_waitcnt lgkmcnt(0)
	v_mul_f64 v[68:69], v[116:117], v[122:123]
	v_fma_f64 v[68:69], v[114:115], v[66:67], -v[68:69]
	v_mul_f64 v[114:115], v[114:115], v[122:123]
	v_add_f64 v[58:59], v[58:59], -v[68:69]
	v_fma_f64 v[114:115], v[116:117], v[66:67], v[114:115]
	v_add_f64 v[60:61], v[60:61], -v[114:115]
	;; [unrolled: 8-line block ×15, first 2 shown]
	ds_read2_b64 v[114:117], v1 offset0:54 offset1:55
	s_waitcnt lgkmcnt(0)
	v_mul_f64 v[68:69], v[116:117], v[122:123]
	v_fma_f64 v[68:69], v[114:115], v[66:67], -v[68:69]
	v_mul_f64 v[114:115], v[114:115], v[122:123]
	v_add_f64 v[2:3], v[2:3], -v[68:69]
	v_fma_f64 v[114:115], v[116:117], v[66:67], v[114:115]
	v_mov_b32_e32 v68, v122
	v_mov_b32_e32 v69, v123
	v_add_f64 v[4:5], v[4:5], -v[114:115]
.LBB54_251:
	s_or_b32 exec_lo, exec_lo, s0
	v_lshl_add_u32 v114, v128, 4, v1
	s_barrier
	buffer_gl0_inv
	v_mov_b32_e32 v122, 12
	ds_write2_b64 v114, v[62:63], v[64:65] offset1:1
	s_waitcnt lgkmcnt(0)
	s_barrier
	buffer_gl0_inv
	ds_read2_b64 v[114:117], v1 offset0:24 offset1:25
	s_cmp_lt_i32 s18, 14
	s_cbranch_scc1 .LBB54_254
; %bb.252:
	v_add3_u32 v123, v124, 0, 0xd0
	v_mov_b32_e32 v122, 12
	s_mov_b32 s1, 13
	s_inst_prefetch 0x1
	.p2align	6
.LBB54_253:                             ; =>This Inner Loop Header: Depth=1
	s_waitcnt lgkmcnt(0)
	v_cmp_gt_f64_e32 vcc_lo, 0, v[116:117]
	v_cmp_gt_f64_e64 s0, 0, v[114:115]
	ds_read2_b64 v[129:132], v123 offset1:1
	v_xor_b32_e32 v134, 0x80000000, v115
	v_xor_b32_e32 v136, 0x80000000, v117
	v_mov_b32_e32 v133, v114
	v_mov_b32_e32 v135, v116
	v_add_nc_u32_e32 v123, 16, v123
	s_waitcnt lgkmcnt(0)
	v_xor_b32_e32 v138, 0x80000000, v132
	v_cndmask_b32_e64 v134, v115, v134, s0
	v_cndmask_b32_e32 v136, v117, v136, vcc_lo
	v_cmp_gt_f64_e32 vcc_lo, 0, v[131:132]
	v_cmp_gt_f64_e64 s0, 0, v[129:130]
	v_mov_b32_e32 v137, v131
	v_add_f64 v[133:134], v[133:134], v[135:136]
	v_xor_b32_e32 v136, 0x80000000, v130
	v_mov_b32_e32 v135, v129
	v_cndmask_b32_e32 v138, v132, v138, vcc_lo
	v_cndmask_b32_e64 v136, v130, v136, s0
	v_add_f64 v[135:136], v[135:136], v[137:138]
	v_cmp_lt_f64_e32 vcc_lo, v[133:134], v[135:136]
	v_cndmask_b32_e32 v115, v115, v130, vcc_lo
	v_cndmask_b32_e32 v114, v114, v129, vcc_lo
	;; [unrolled: 1-line block ×4, first 2 shown]
	v_cndmask_b32_e64 v122, v122, s1, vcc_lo
	s_add_i32 s1, s1, 1
	s_cmp_lg_u32 s18, s1
	s_cbranch_scc1 .LBB54_253
.LBB54_254:
	s_inst_prefetch 0x2
	s_waitcnt lgkmcnt(0)
	v_cmp_eq_f64_e32 vcc_lo, 0, v[114:115]
	v_cmp_eq_f64_e64 s0, 0, v[116:117]
	s_and_b32 s0, vcc_lo, s0
	s_and_saveexec_b32 s1, s0
	s_xor_b32 s0, exec_lo, s1
; %bb.255:
	v_cmp_ne_u32_e32 vcc_lo, 0, v127
	v_cndmask_b32_e32 v127, 13, v127, vcc_lo
; %bb.256:
	s_andn2_saveexec_b32 s0, s0
	s_cbranch_execz .LBB54_262
; %bb.257:
	v_cmp_ngt_f64_e64 s1, |v[114:115]|, |v[116:117]|
	s_and_saveexec_b32 s2, s1
	s_xor_b32 s1, exec_lo, s2
	s_cbranch_execz .LBB54_259
; %bb.258:
	v_div_scale_f64 v[129:130], null, v[116:117], v[116:117], v[114:115]
	v_div_scale_f64 v[135:136], vcc_lo, v[114:115], v[116:117], v[114:115]
	v_rcp_f64_e32 v[131:132], v[129:130]
	v_fma_f64 v[133:134], -v[129:130], v[131:132], 1.0
	v_fma_f64 v[131:132], v[131:132], v[133:134], v[131:132]
	v_fma_f64 v[133:134], -v[129:130], v[131:132], 1.0
	v_fma_f64 v[131:132], v[131:132], v[133:134], v[131:132]
	v_mul_f64 v[133:134], v[135:136], v[131:132]
	v_fma_f64 v[129:130], -v[129:130], v[133:134], v[135:136]
	v_div_fmas_f64 v[129:130], v[129:130], v[131:132], v[133:134]
	v_div_fixup_f64 v[129:130], v[129:130], v[116:117], v[114:115]
	v_fma_f64 v[114:115], v[114:115], v[129:130], v[116:117]
	v_div_scale_f64 v[116:117], null, v[114:115], v[114:115], 1.0
	v_rcp_f64_e32 v[131:132], v[116:117]
	v_fma_f64 v[133:134], -v[116:117], v[131:132], 1.0
	v_fma_f64 v[131:132], v[131:132], v[133:134], v[131:132]
	v_fma_f64 v[133:134], -v[116:117], v[131:132], 1.0
	v_fma_f64 v[131:132], v[131:132], v[133:134], v[131:132]
	v_div_scale_f64 v[133:134], vcc_lo, 1.0, v[114:115], 1.0
	v_mul_f64 v[135:136], v[133:134], v[131:132]
	v_fma_f64 v[116:117], -v[116:117], v[135:136], v[133:134]
	v_div_fmas_f64 v[116:117], v[116:117], v[131:132], v[135:136]
	v_div_fixup_f64 v[116:117], v[116:117], v[114:115], 1.0
	v_mul_f64 v[114:115], v[129:130], v[116:117]
	v_xor_b32_e32 v117, 0x80000000, v117
.LBB54_259:
	s_andn2_saveexec_b32 s1, s1
	s_cbranch_execz .LBB54_261
; %bb.260:
	v_div_scale_f64 v[129:130], null, v[114:115], v[114:115], v[116:117]
	v_div_scale_f64 v[135:136], vcc_lo, v[116:117], v[114:115], v[116:117]
	v_rcp_f64_e32 v[131:132], v[129:130]
	v_fma_f64 v[133:134], -v[129:130], v[131:132], 1.0
	v_fma_f64 v[131:132], v[131:132], v[133:134], v[131:132]
	v_fma_f64 v[133:134], -v[129:130], v[131:132], 1.0
	v_fma_f64 v[131:132], v[131:132], v[133:134], v[131:132]
	v_mul_f64 v[133:134], v[135:136], v[131:132]
	v_fma_f64 v[129:130], -v[129:130], v[133:134], v[135:136]
	v_div_fmas_f64 v[129:130], v[129:130], v[131:132], v[133:134]
	v_div_fixup_f64 v[129:130], v[129:130], v[114:115], v[116:117]
	v_fma_f64 v[114:115], v[116:117], v[129:130], v[114:115]
	v_div_scale_f64 v[116:117], null, v[114:115], v[114:115], 1.0
	v_rcp_f64_e32 v[131:132], v[116:117]
	v_fma_f64 v[133:134], -v[116:117], v[131:132], 1.0
	v_fma_f64 v[131:132], v[131:132], v[133:134], v[131:132]
	v_fma_f64 v[133:134], -v[116:117], v[131:132], 1.0
	v_fma_f64 v[131:132], v[131:132], v[133:134], v[131:132]
	v_div_scale_f64 v[133:134], vcc_lo, 1.0, v[114:115], 1.0
	v_mul_f64 v[135:136], v[133:134], v[131:132]
	v_fma_f64 v[116:117], -v[116:117], v[135:136], v[133:134]
	v_div_fmas_f64 v[116:117], v[116:117], v[131:132], v[135:136]
	v_div_fixup_f64 v[114:115], v[116:117], v[114:115], 1.0
	v_mul_f64 v[116:117], v[129:130], -v[114:115]
.LBB54_261:
	s_or_b32 exec_lo, exec_lo, s1
.LBB54_262:
	s_or_b32 exec_lo, exec_lo, s0
	s_mov_b32 s0, exec_lo
	v_cmpx_ne_u32_e64 v128, v122
	s_xor_b32 s0, exec_lo, s0
	s_cbranch_execz .LBB54_268
; %bb.263:
	s_mov_b32 s1, exec_lo
	v_cmpx_eq_u32_e32 12, v128
	s_cbranch_execz .LBB54_267
; %bb.264:
	v_cmp_ne_u32_e32 vcc_lo, 12, v122
	s_xor_b32 s2, s16, -1
	s_and_b32 s3, s2, vcc_lo
	s_and_saveexec_b32 s2, s3
	s_cbranch_execz .LBB54_266
; %bb.265:
	v_ashrrev_i32_e32 v123, 31, v122
	v_lshlrev_b64 v[128:129], 2, v[122:123]
	v_add_co_u32 v128, vcc_lo, v120, v128
	v_add_co_ci_u32_e64 v129, null, v121, v129, vcc_lo
	s_clause 0x1
	global_load_dword v0, v[128:129], off
	global_load_dword v123, v[120:121], off offset:48
	s_waitcnt vmcnt(1)
	global_store_dword v[120:121], v0, off offset:48
	s_waitcnt vmcnt(0)
	global_store_dword v[128:129], v123, off
.LBB54_266:
	s_or_b32 exec_lo, exec_lo, s2
	v_mov_b32_e32 v128, v122
	v_mov_b32_e32 v0, v122
.LBB54_267:
	s_or_b32 exec_lo, exec_lo, s1
.LBB54_268:
	s_andn2_saveexec_b32 s0, s0
	s_cbranch_execz .LBB54_270
; %bb.269:
	v_mov_b32_e32 v128, 12
	ds_write2_b64 v1, v[58:59], v[60:61] offset0:26 offset1:27
	ds_write2_b64 v1, v[54:55], v[56:57] offset0:28 offset1:29
	;; [unrolled: 1-line block ×15, first 2 shown]
.LBB54_270:
	s_or_b32 exec_lo, exec_lo, s0
	s_mov_b32 s0, exec_lo
	s_waitcnt lgkmcnt(0)
	s_waitcnt_vscnt null, 0x0
	s_barrier
	buffer_gl0_inv
	v_cmpx_lt_i32_e32 12, v128
	s_cbranch_execz .LBB54_272
; %bb.271:
	v_mul_f64 v[122:123], v[114:115], v[64:65]
	v_mul_f64 v[64:65], v[116:117], v[64:65]
	v_fma_f64 v[122:123], v[116:117], v[62:63], v[122:123]
	v_fma_f64 v[62:63], v[114:115], v[62:63], -v[64:65]
	ds_read2_b64 v[114:117], v1 offset0:26 offset1:27
	s_waitcnt lgkmcnt(0)
	v_mul_f64 v[64:65], v[116:117], v[122:123]
	v_fma_f64 v[64:65], v[114:115], v[62:63], -v[64:65]
	v_mul_f64 v[114:115], v[114:115], v[122:123]
	v_add_f64 v[58:59], v[58:59], -v[64:65]
	v_fma_f64 v[114:115], v[116:117], v[62:63], v[114:115]
	v_add_f64 v[60:61], v[60:61], -v[114:115]
	ds_read2_b64 v[114:117], v1 offset0:28 offset1:29
	s_waitcnt lgkmcnt(0)
	v_mul_f64 v[64:65], v[116:117], v[122:123]
	v_fma_f64 v[64:65], v[114:115], v[62:63], -v[64:65]
	v_mul_f64 v[114:115], v[114:115], v[122:123]
	v_add_f64 v[54:55], v[54:55], -v[64:65]
	v_fma_f64 v[114:115], v[116:117], v[62:63], v[114:115]
	v_add_f64 v[56:57], v[56:57], -v[114:115]
	;; [unrolled: 8-line block ×14, first 2 shown]
	ds_read2_b64 v[114:117], v1 offset0:54 offset1:55
	s_waitcnt lgkmcnt(0)
	v_mul_f64 v[64:65], v[116:117], v[122:123]
	v_fma_f64 v[64:65], v[114:115], v[62:63], -v[64:65]
	v_mul_f64 v[114:115], v[114:115], v[122:123]
	v_add_f64 v[2:3], v[2:3], -v[64:65]
	v_fma_f64 v[114:115], v[116:117], v[62:63], v[114:115]
	v_mov_b32_e32 v64, v122
	v_mov_b32_e32 v65, v123
	v_add_f64 v[4:5], v[4:5], -v[114:115]
.LBB54_272:
	s_or_b32 exec_lo, exec_lo, s0
	v_lshl_add_u32 v114, v128, 4, v1
	s_barrier
	buffer_gl0_inv
	v_mov_b32_e32 v122, 13
	ds_write2_b64 v114, v[58:59], v[60:61] offset1:1
	s_waitcnt lgkmcnt(0)
	s_barrier
	buffer_gl0_inv
	ds_read2_b64 v[114:117], v1 offset0:26 offset1:27
	s_cmp_lt_i32 s18, 15
	s_cbranch_scc1 .LBB54_275
; %bb.273:
	v_add3_u32 v123, v124, 0, 0xe0
	v_mov_b32_e32 v122, 13
	s_mov_b32 s1, 14
	s_inst_prefetch 0x1
	.p2align	6
.LBB54_274:                             ; =>This Inner Loop Header: Depth=1
	s_waitcnt lgkmcnt(0)
	v_cmp_gt_f64_e32 vcc_lo, 0, v[116:117]
	v_cmp_gt_f64_e64 s0, 0, v[114:115]
	ds_read2_b64 v[129:132], v123 offset1:1
	v_xor_b32_e32 v134, 0x80000000, v115
	v_xor_b32_e32 v136, 0x80000000, v117
	v_mov_b32_e32 v133, v114
	v_mov_b32_e32 v135, v116
	v_add_nc_u32_e32 v123, 16, v123
	s_waitcnt lgkmcnt(0)
	v_xor_b32_e32 v138, 0x80000000, v132
	v_cndmask_b32_e64 v134, v115, v134, s0
	v_cndmask_b32_e32 v136, v117, v136, vcc_lo
	v_cmp_gt_f64_e32 vcc_lo, 0, v[131:132]
	v_cmp_gt_f64_e64 s0, 0, v[129:130]
	v_mov_b32_e32 v137, v131
	v_add_f64 v[133:134], v[133:134], v[135:136]
	v_xor_b32_e32 v136, 0x80000000, v130
	v_mov_b32_e32 v135, v129
	v_cndmask_b32_e32 v138, v132, v138, vcc_lo
	v_cndmask_b32_e64 v136, v130, v136, s0
	v_add_f64 v[135:136], v[135:136], v[137:138]
	v_cmp_lt_f64_e32 vcc_lo, v[133:134], v[135:136]
	v_cndmask_b32_e32 v115, v115, v130, vcc_lo
	v_cndmask_b32_e32 v114, v114, v129, vcc_lo
	;; [unrolled: 1-line block ×4, first 2 shown]
	v_cndmask_b32_e64 v122, v122, s1, vcc_lo
	s_add_i32 s1, s1, 1
	s_cmp_lg_u32 s18, s1
	s_cbranch_scc1 .LBB54_274
.LBB54_275:
	s_inst_prefetch 0x2
	s_waitcnt lgkmcnt(0)
	v_cmp_eq_f64_e32 vcc_lo, 0, v[114:115]
	v_cmp_eq_f64_e64 s0, 0, v[116:117]
	s_and_b32 s0, vcc_lo, s0
	s_and_saveexec_b32 s1, s0
	s_xor_b32 s0, exec_lo, s1
; %bb.276:
	v_cmp_ne_u32_e32 vcc_lo, 0, v127
	v_cndmask_b32_e32 v127, 14, v127, vcc_lo
; %bb.277:
	s_andn2_saveexec_b32 s0, s0
	s_cbranch_execz .LBB54_283
; %bb.278:
	v_cmp_ngt_f64_e64 s1, |v[114:115]|, |v[116:117]|
	s_and_saveexec_b32 s2, s1
	s_xor_b32 s1, exec_lo, s2
	s_cbranch_execz .LBB54_280
; %bb.279:
	v_div_scale_f64 v[129:130], null, v[116:117], v[116:117], v[114:115]
	v_div_scale_f64 v[135:136], vcc_lo, v[114:115], v[116:117], v[114:115]
	v_rcp_f64_e32 v[131:132], v[129:130]
	v_fma_f64 v[133:134], -v[129:130], v[131:132], 1.0
	v_fma_f64 v[131:132], v[131:132], v[133:134], v[131:132]
	v_fma_f64 v[133:134], -v[129:130], v[131:132], 1.0
	v_fma_f64 v[131:132], v[131:132], v[133:134], v[131:132]
	v_mul_f64 v[133:134], v[135:136], v[131:132]
	v_fma_f64 v[129:130], -v[129:130], v[133:134], v[135:136]
	v_div_fmas_f64 v[129:130], v[129:130], v[131:132], v[133:134]
	v_div_fixup_f64 v[129:130], v[129:130], v[116:117], v[114:115]
	v_fma_f64 v[114:115], v[114:115], v[129:130], v[116:117]
	v_div_scale_f64 v[116:117], null, v[114:115], v[114:115], 1.0
	v_rcp_f64_e32 v[131:132], v[116:117]
	v_fma_f64 v[133:134], -v[116:117], v[131:132], 1.0
	v_fma_f64 v[131:132], v[131:132], v[133:134], v[131:132]
	v_fma_f64 v[133:134], -v[116:117], v[131:132], 1.0
	v_fma_f64 v[131:132], v[131:132], v[133:134], v[131:132]
	v_div_scale_f64 v[133:134], vcc_lo, 1.0, v[114:115], 1.0
	v_mul_f64 v[135:136], v[133:134], v[131:132]
	v_fma_f64 v[116:117], -v[116:117], v[135:136], v[133:134]
	v_div_fmas_f64 v[116:117], v[116:117], v[131:132], v[135:136]
	v_div_fixup_f64 v[116:117], v[116:117], v[114:115], 1.0
	v_mul_f64 v[114:115], v[129:130], v[116:117]
	v_xor_b32_e32 v117, 0x80000000, v117
.LBB54_280:
	s_andn2_saveexec_b32 s1, s1
	s_cbranch_execz .LBB54_282
; %bb.281:
	v_div_scale_f64 v[129:130], null, v[114:115], v[114:115], v[116:117]
	v_div_scale_f64 v[135:136], vcc_lo, v[116:117], v[114:115], v[116:117]
	v_rcp_f64_e32 v[131:132], v[129:130]
	v_fma_f64 v[133:134], -v[129:130], v[131:132], 1.0
	v_fma_f64 v[131:132], v[131:132], v[133:134], v[131:132]
	v_fma_f64 v[133:134], -v[129:130], v[131:132], 1.0
	v_fma_f64 v[131:132], v[131:132], v[133:134], v[131:132]
	v_mul_f64 v[133:134], v[135:136], v[131:132]
	v_fma_f64 v[129:130], -v[129:130], v[133:134], v[135:136]
	v_div_fmas_f64 v[129:130], v[129:130], v[131:132], v[133:134]
	v_div_fixup_f64 v[129:130], v[129:130], v[114:115], v[116:117]
	v_fma_f64 v[114:115], v[116:117], v[129:130], v[114:115]
	v_div_scale_f64 v[116:117], null, v[114:115], v[114:115], 1.0
	v_rcp_f64_e32 v[131:132], v[116:117]
	v_fma_f64 v[133:134], -v[116:117], v[131:132], 1.0
	v_fma_f64 v[131:132], v[131:132], v[133:134], v[131:132]
	v_fma_f64 v[133:134], -v[116:117], v[131:132], 1.0
	v_fma_f64 v[131:132], v[131:132], v[133:134], v[131:132]
	v_div_scale_f64 v[133:134], vcc_lo, 1.0, v[114:115], 1.0
	v_mul_f64 v[135:136], v[133:134], v[131:132]
	v_fma_f64 v[116:117], -v[116:117], v[135:136], v[133:134]
	v_div_fmas_f64 v[116:117], v[116:117], v[131:132], v[135:136]
	v_div_fixup_f64 v[114:115], v[116:117], v[114:115], 1.0
	v_mul_f64 v[116:117], v[129:130], -v[114:115]
.LBB54_282:
	s_or_b32 exec_lo, exec_lo, s1
.LBB54_283:
	s_or_b32 exec_lo, exec_lo, s0
	s_mov_b32 s0, exec_lo
	v_cmpx_ne_u32_e64 v128, v122
	s_xor_b32 s0, exec_lo, s0
	s_cbranch_execz .LBB54_289
; %bb.284:
	s_mov_b32 s1, exec_lo
	v_cmpx_eq_u32_e32 13, v128
	s_cbranch_execz .LBB54_288
; %bb.285:
	v_cmp_ne_u32_e32 vcc_lo, 13, v122
	s_xor_b32 s2, s16, -1
	s_and_b32 s3, s2, vcc_lo
	s_and_saveexec_b32 s2, s3
	s_cbranch_execz .LBB54_287
; %bb.286:
	v_ashrrev_i32_e32 v123, 31, v122
	v_lshlrev_b64 v[128:129], 2, v[122:123]
	v_add_co_u32 v128, vcc_lo, v120, v128
	v_add_co_ci_u32_e64 v129, null, v121, v129, vcc_lo
	s_clause 0x1
	global_load_dword v0, v[128:129], off
	global_load_dword v123, v[120:121], off offset:52
	s_waitcnt vmcnt(1)
	global_store_dword v[120:121], v0, off offset:52
	s_waitcnt vmcnt(0)
	global_store_dword v[128:129], v123, off
.LBB54_287:
	s_or_b32 exec_lo, exec_lo, s2
	v_mov_b32_e32 v128, v122
	v_mov_b32_e32 v0, v122
.LBB54_288:
	s_or_b32 exec_lo, exec_lo, s1
.LBB54_289:
	s_andn2_saveexec_b32 s0, s0
	s_cbranch_execz .LBB54_291
; %bb.290:
	v_mov_b32_e32 v128, 13
	ds_write2_b64 v1, v[54:55], v[56:57] offset0:28 offset1:29
	ds_write2_b64 v1, v[50:51], v[52:53] offset0:30 offset1:31
	;; [unrolled: 1-line block ×14, first 2 shown]
.LBB54_291:
	s_or_b32 exec_lo, exec_lo, s0
	s_mov_b32 s0, exec_lo
	s_waitcnt lgkmcnt(0)
	s_waitcnt_vscnt null, 0x0
	s_barrier
	buffer_gl0_inv
	v_cmpx_lt_i32_e32 13, v128
	s_cbranch_execz .LBB54_293
; %bb.292:
	v_mul_f64 v[122:123], v[114:115], v[60:61]
	v_mul_f64 v[60:61], v[116:117], v[60:61]
	v_fma_f64 v[122:123], v[116:117], v[58:59], v[122:123]
	v_fma_f64 v[58:59], v[114:115], v[58:59], -v[60:61]
	ds_read2_b64 v[114:117], v1 offset0:28 offset1:29
	s_waitcnt lgkmcnt(0)
	v_mul_f64 v[60:61], v[116:117], v[122:123]
	v_fma_f64 v[60:61], v[114:115], v[58:59], -v[60:61]
	v_mul_f64 v[114:115], v[114:115], v[122:123]
	v_add_f64 v[54:55], v[54:55], -v[60:61]
	v_fma_f64 v[114:115], v[116:117], v[58:59], v[114:115]
	v_add_f64 v[56:57], v[56:57], -v[114:115]
	ds_read2_b64 v[114:117], v1 offset0:30 offset1:31
	s_waitcnt lgkmcnt(0)
	v_mul_f64 v[60:61], v[116:117], v[122:123]
	v_fma_f64 v[60:61], v[114:115], v[58:59], -v[60:61]
	v_mul_f64 v[114:115], v[114:115], v[122:123]
	v_add_f64 v[50:51], v[50:51], -v[60:61]
	v_fma_f64 v[114:115], v[116:117], v[58:59], v[114:115]
	v_add_f64 v[52:53], v[52:53], -v[114:115]
	;; [unrolled: 8-line block ×13, first 2 shown]
	ds_read2_b64 v[114:117], v1 offset0:54 offset1:55
	s_waitcnt lgkmcnt(0)
	v_mul_f64 v[60:61], v[116:117], v[122:123]
	v_fma_f64 v[60:61], v[114:115], v[58:59], -v[60:61]
	v_mul_f64 v[114:115], v[114:115], v[122:123]
	v_add_f64 v[2:3], v[2:3], -v[60:61]
	v_fma_f64 v[114:115], v[116:117], v[58:59], v[114:115]
	v_mov_b32_e32 v60, v122
	v_mov_b32_e32 v61, v123
	v_add_f64 v[4:5], v[4:5], -v[114:115]
.LBB54_293:
	s_or_b32 exec_lo, exec_lo, s0
	v_lshl_add_u32 v114, v128, 4, v1
	s_barrier
	buffer_gl0_inv
	v_mov_b32_e32 v122, 14
	ds_write2_b64 v114, v[54:55], v[56:57] offset1:1
	s_waitcnt lgkmcnt(0)
	s_barrier
	buffer_gl0_inv
	ds_read2_b64 v[114:117], v1 offset0:28 offset1:29
	s_cmp_lt_i32 s18, 16
	s_cbranch_scc1 .LBB54_296
; %bb.294:
	v_add3_u32 v123, v124, 0, 0xf0
	v_mov_b32_e32 v122, 14
	s_mov_b32 s1, 15
	s_inst_prefetch 0x1
	.p2align	6
.LBB54_295:                             ; =>This Inner Loop Header: Depth=1
	s_waitcnt lgkmcnt(0)
	v_cmp_gt_f64_e32 vcc_lo, 0, v[116:117]
	v_cmp_gt_f64_e64 s0, 0, v[114:115]
	ds_read2_b64 v[129:132], v123 offset1:1
	v_xor_b32_e32 v134, 0x80000000, v115
	v_xor_b32_e32 v136, 0x80000000, v117
	v_mov_b32_e32 v133, v114
	v_mov_b32_e32 v135, v116
	v_add_nc_u32_e32 v123, 16, v123
	s_waitcnt lgkmcnt(0)
	v_xor_b32_e32 v138, 0x80000000, v132
	v_cndmask_b32_e64 v134, v115, v134, s0
	v_cndmask_b32_e32 v136, v117, v136, vcc_lo
	v_cmp_gt_f64_e32 vcc_lo, 0, v[131:132]
	v_cmp_gt_f64_e64 s0, 0, v[129:130]
	v_mov_b32_e32 v137, v131
	v_add_f64 v[133:134], v[133:134], v[135:136]
	v_xor_b32_e32 v136, 0x80000000, v130
	v_mov_b32_e32 v135, v129
	v_cndmask_b32_e32 v138, v132, v138, vcc_lo
	v_cndmask_b32_e64 v136, v130, v136, s0
	v_add_f64 v[135:136], v[135:136], v[137:138]
	v_cmp_lt_f64_e32 vcc_lo, v[133:134], v[135:136]
	v_cndmask_b32_e32 v115, v115, v130, vcc_lo
	v_cndmask_b32_e32 v114, v114, v129, vcc_lo
	;; [unrolled: 1-line block ×4, first 2 shown]
	v_cndmask_b32_e64 v122, v122, s1, vcc_lo
	s_add_i32 s1, s1, 1
	s_cmp_lg_u32 s18, s1
	s_cbranch_scc1 .LBB54_295
.LBB54_296:
	s_inst_prefetch 0x2
	s_waitcnt lgkmcnt(0)
	v_cmp_eq_f64_e32 vcc_lo, 0, v[114:115]
	v_cmp_eq_f64_e64 s0, 0, v[116:117]
	s_and_b32 s0, vcc_lo, s0
	s_and_saveexec_b32 s1, s0
	s_xor_b32 s0, exec_lo, s1
; %bb.297:
	v_cmp_ne_u32_e32 vcc_lo, 0, v127
	v_cndmask_b32_e32 v127, 15, v127, vcc_lo
; %bb.298:
	s_andn2_saveexec_b32 s0, s0
	s_cbranch_execz .LBB54_304
; %bb.299:
	v_cmp_ngt_f64_e64 s1, |v[114:115]|, |v[116:117]|
	s_and_saveexec_b32 s2, s1
	s_xor_b32 s1, exec_lo, s2
	s_cbranch_execz .LBB54_301
; %bb.300:
	v_div_scale_f64 v[129:130], null, v[116:117], v[116:117], v[114:115]
	v_div_scale_f64 v[135:136], vcc_lo, v[114:115], v[116:117], v[114:115]
	v_rcp_f64_e32 v[131:132], v[129:130]
	v_fma_f64 v[133:134], -v[129:130], v[131:132], 1.0
	v_fma_f64 v[131:132], v[131:132], v[133:134], v[131:132]
	v_fma_f64 v[133:134], -v[129:130], v[131:132], 1.0
	v_fma_f64 v[131:132], v[131:132], v[133:134], v[131:132]
	v_mul_f64 v[133:134], v[135:136], v[131:132]
	v_fma_f64 v[129:130], -v[129:130], v[133:134], v[135:136]
	v_div_fmas_f64 v[129:130], v[129:130], v[131:132], v[133:134]
	v_div_fixup_f64 v[129:130], v[129:130], v[116:117], v[114:115]
	v_fma_f64 v[114:115], v[114:115], v[129:130], v[116:117]
	v_div_scale_f64 v[116:117], null, v[114:115], v[114:115], 1.0
	v_rcp_f64_e32 v[131:132], v[116:117]
	v_fma_f64 v[133:134], -v[116:117], v[131:132], 1.0
	v_fma_f64 v[131:132], v[131:132], v[133:134], v[131:132]
	v_fma_f64 v[133:134], -v[116:117], v[131:132], 1.0
	v_fma_f64 v[131:132], v[131:132], v[133:134], v[131:132]
	v_div_scale_f64 v[133:134], vcc_lo, 1.0, v[114:115], 1.0
	v_mul_f64 v[135:136], v[133:134], v[131:132]
	v_fma_f64 v[116:117], -v[116:117], v[135:136], v[133:134]
	v_div_fmas_f64 v[116:117], v[116:117], v[131:132], v[135:136]
	v_div_fixup_f64 v[116:117], v[116:117], v[114:115], 1.0
	v_mul_f64 v[114:115], v[129:130], v[116:117]
	v_xor_b32_e32 v117, 0x80000000, v117
.LBB54_301:
	s_andn2_saveexec_b32 s1, s1
	s_cbranch_execz .LBB54_303
; %bb.302:
	v_div_scale_f64 v[129:130], null, v[114:115], v[114:115], v[116:117]
	v_div_scale_f64 v[135:136], vcc_lo, v[116:117], v[114:115], v[116:117]
	v_rcp_f64_e32 v[131:132], v[129:130]
	v_fma_f64 v[133:134], -v[129:130], v[131:132], 1.0
	v_fma_f64 v[131:132], v[131:132], v[133:134], v[131:132]
	v_fma_f64 v[133:134], -v[129:130], v[131:132], 1.0
	v_fma_f64 v[131:132], v[131:132], v[133:134], v[131:132]
	v_mul_f64 v[133:134], v[135:136], v[131:132]
	v_fma_f64 v[129:130], -v[129:130], v[133:134], v[135:136]
	v_div_fmas_f64 v[129:130], v[129:130], v[131:132], v[133:134]
	v_div_fixup_f64 v[129:130], v[129:130], v[114:115], v[116:117]
	v_fma_f64 v[114:115], v[116:117], v[129:130], v[114:115]
	v_div_scale_f64 v[116:117], null, v[114:115], v[114:115], 1.0
	v_rcp_f64_e32 v[131:132], v[116:117]
	v_fma_f64 v[133:134], -v[116:117], v[131:132], 1.0
	v_fma_f64 v[131:132], v[131:132], v[133:134], v[131:132]
	v_fma_f64 v[133:134], -v[116:117], v[131:132], 1.0
	v_fma_f64 v[131:132], v[131:132], v[133:134], v[131:132]
	v_div_scale_f64 v[133:134], vcc_lo, 1.0, v[114:115], 1.0
	v_mul_f64 v[135:136], v[133:134], v[131:132]
	v_fma_f64 v[116:117], -v[116:117], v[135:136], v[133:134]
	v_div_fmas_f64 v[116:117], v[116:117], v[131:132], v[135:136]
	v_div_fixup_f64 v[114:115], v[116:117], v[114:115], 1.0
	v_mul_f64 v[116:117], v[129:130], -v[114:115]
.LBB54_303:
	s_or_b32 exec_lo, exec_lo, s1
.LBB54_304:
	s_or_b32 exec_lo, exec_lo, s0
	s_mov_b32 s0, exec_lo
	v_cmpx_ne_u32_e64 v128, v122
	s_xor_b32 s0, exec_lo, s0
	s_cbranch_execz .LBB54_310
; %bb.305:
	s_mov_b32 s1, exec_lo
	v_cmpx_eq_u32_e32 14, v128
	s_cbranch_execz .LBB54_309
; %bb.306:
	v_cmp_ne_u32_e32 vcc_lo, 14, v122
	s_xor_b32 s2, s16, -1
	s_and_b32 s3, s2, vcc_lo
	s_and_saveexec_b32 s2, s3
	s_cbranch_execz .LBB54_308
; %bb.307:
	v_ashrrev_i32_e32 v123, 31, v122
	v_lshlrev_b64 v[128:129], 2, v[122:123]
	v_add_co_u32 v128, vcc_lo, v120, v128
	v_add_co_ci_u32_e64 v129, null, v121, v129, vcc_lo
	s_clause 0x1
	global_load_dword v0, v[128:129], off
	global_load_dword v123, v[120:121], off offset:56
	s_waitcnt vmcnt(1)
	global_store_dword v[120:121], v0, off offset:56
	s_waitcnt vmcnt(0)
	global_store_dword v[128:129], v123, off
.LBB54_308:
	s_or_b32 exec_lo, exec_lo, s2
	v_mov_b32_e32 v128, v122
	v_mov_b32_e32 v0, v122
.LBB54_309:
	s_or_b32 exec_lo, exec_lo, s1
.LBB54_310:
	s_andn2_saveexec_b32 s0, s0
	s_cbranch_execz .LBB54_312
; %bb.311:
	v_mov_b32_e32 v128, 14
	ds_write2_b64 v1, v[50:51], v[52:53] offset0:30 offset1:31
	ds_write2_b64 v1, v[46:47], v[48:49] offset0:32 offset1:33
	;; [unrolled: 1-line block ×13, first 2 shown]
.LBB54_312:
	s_or_b32 exec_lo, exec_lo, s0
	s_mov_b32 s0, exec_lo
	s_waitcnt lgkmcnt(0)
	s_waitcnt_vscnt null, 0x0
	s_barrier
	buffer_gl0_inv
	v_cmpx_lt_i32_e32 14, v128
	s_cbranch_execz .LBB54_314
; %bb.313:
	v_mul_f64 v[122:123], v[114:115], v[56:57]
	v_mul_f64 v[56:57], v[116:117], v[56:57]
	v_fma_f64 v[122:123], v[116:117], v[54:55], v[122:123]
	v_fma_f64 v[54:55], v[114:115], v[54:55], -v[56:57]
	ds_read2_b64 v[114:117], v1 offset0:30 offset1:31
	s_waitcnt lgkmcnt(0)
	v_mul_f64 v[56:57], v[116:117], v[122:123]
	v_fma_f64 v[56:57], v[114:115], v[54:55], -v[56:57]
	v_mul_f64 v[114:115], v[114:115], v[122:123]
	v_add_f64 v[50:51], v[50:51], -v[56:57]
	v_fma_f64 v[114:115], v[116:117], v[54:55], v[114:115]
	v_add_f64 v[52:53], v[52:53], -v[114:115]
	ds_read2_b64 v[114:117], v1 offset0:32 offset1:33
	s_waitcnt lgkmcnt(0)
	v_mul_f64 v[56:57], v[116:117], v[122:123]
	v_fma_f64 v[56:57], v[114:115], v[54:55], -v[56:57]
	v_mul_f64 v[114:115], v[114:115], v[122:123]
	v_add_f64 v[46:47], v[46:47], -v[56:57]
	v_fma_f64 v[114:115], v[116:117], v[54:55], v[114:115]
	v_add_f64 v[48:49], v[48:49], -v[114:115]
	;; [unrolled: 8-line block ×12, first 2 shown]
	ds_read2_b64 v[114:117], v1 offset0:54 offset1:55
	s_waitcnt lgkmcnt(0)
	v_mul_f64 v[56:57], v[116:117], v[122:123]
	v_fma_f64 v[56:57], v[114:115], v[54:55], -v[56:57]
	v_mul_f64 v[114:115], v[114:115], v[122:123]
	v_add_f64 v[2:3], v[2:3], -v[56:57]
	v_fma_f64 v[114:115], v[116:117], v[54:55], v[114:115]
	v_mov_b32_e32 v56, v122
	v_mov_b32_e32 v57, v123
	v_add_f64 v[4:5], v[4:5], -v[114:115]
.LBB54_314:
	s_or_b32 exec_lo, exec_lo, s0
	v_lshl_add_u32 v114, v128, 4, v1
	s_barrier
	buffer_gl0_inv
	v_mov_b32_e32 v122, 15
	ds_write2_b64 v114, v[50:51], v[52:53] offset1:1
	s_waitcnt lgkmcnt(0)
	s_barrier
	buffer_gl0_inv
	ds_read2_b64 v[114:117], v1 offset0:30 offset1:31
	s_cmp_lt_i32 s18, 17
	s_cbranch_scc1 .LBB54_317
; %bb.315:
	v_add3_u32 v123, v124, 0, 0x100
	v_mov_b32_e32 v122, 15
	s_mov_b32 s1, 16
	s_inst_prefetch 0x1
	.p2align	6
.LBB54_316:                             ; =>This Inner Loop Header: Depth=1
	s_waitcnt lgkmcnt(0)
	v_cmp_gt_f64_e32 vcc_lo, 0, v[116:117]
	v_cmp_gt_f64_e64 s0, 0, v[114:115]
	ds_read2_b64 v[129:132], v123 offset1:1
	v_xor_b32_e32 v134, 0x80000000, v115
	v_xor_b32_e32 v136, 0x80000000, v117
	v_mov_b32_e32 v133, v114
	v_mov_b32_e32 v135, v116
	v_add_nc_u32_e32 v123, 16, v123
	s_waitcnt lgkmcnt(0)
	v_xor_b32_e32 v138, 0x80000000, v132
	v_cndmask_b32_e64 v134, v115, v134, s0
	v_cndmask_b32_e32 v136, v117, v136, vcc_lo
	v_cmp_gt_f64_e32 vcc_lo, 0, v[131:132]
	v_cmp_gt_f64_e64 s0, 0, v[129:130]
	v_mov_b32_e32 v137, v131
	v_add_f64 v[133:134], v[133:134], v[135:136]
	v_xor_b32_e32 v136, 0x80000000, v130
	v_mov_b32_e32 v135, v129
	v_cndmask_b32_e32 v138, v132, v138, vcc_lo
	v_cndmask_b32_e64 v136, v130, v136, s0
	v_add_f64 v[135:136], v[135:136], v[137:138]
	v_cmp_lt_f64_e32 vcc_lo, v[133:134], v[135:136]
	v_cndmask_b32_e32 v115, v115, v130, vcc_lo
	v_cndmask_b32_e32 v114, v114, v129, vcc_lo
	;; [unrolled: 1-line block ×4, first 2 shown]
	v_cndmask_b32_e64 v122, v122, s1, vcc_lo
	s_add_i32 s1, s1, 1
	s_cmp_lg_u32 s18, s1
	s_cbranch_scc1 .LBB54_316
.LBB54_317:
	s_inst_prefetch 0x2
	s_waitcnt lgkmcnt(0)
	v_cmp_eq_f64_e32 vcc_lo, 0, v[114:115]
	v_cmp_eq_f64_e64 s0, 0, v[116:117]
	s_and_b32 s0, vcc_lo, s0
	s_and_saveexec_b32 s1, s0
	s_xor_b32 s0, exec_lo, s1
; %bb.318:
	v_cmp_ne_u32_e32 vcc_lo, 0, v127
	v_cndmask_b32_e32 v127, 16, v127, vcc_lo
; %bb.319:
	s_andn2_saveexec_b32 s0, s0
	s_cbranch_execz .LBB54_325
; %bb.320:
	v_cmp_ngt_f64_e64 s1, |v[114:115]|, |v[116:117]|
	s_and_saveexec_b32 s2, s1
	s_xor_b32 s1, exec_lo, s2
	s_cbranch_execz .LBB54_322
; %bb.321:
	v_div_scale_f64 v[129:130], null, v[116:117], v[116:117], v[114:115]
	v_div_scale_f64 v[135:136], vcc_lo, v[114:115], v[116:117], v[114:115]
	v_rcp_f64_e32 v[131:132], v[129:130]
	v_fma_f64 v[133:134], -v[129:130], v[131:132], 1.0
	v_fma_f64 v[131:132], v[131:132], v[133:134], v[131:132]
	v_fma_f64 v[133:134], -v[129:130], v[131:132], 1.0
	v_fma_f64 v[131:132], v[131:132], v[133:134], v[131:132]
	v_mul_f64 v[133:134], v[135:136], v[131:132]
	v_fma_f64 v[129:130], -v[129:130], v[133:134], v[135:136]
	v_div_fmas_f64 v[129:130], v[129:130], v[131:132], v[133:134]
	v_div_fixup_f64 v[129:130], v[129:130], v[116:117], v[114:115]
	v_fma_f64 v[114:115], v[114:115], v[129:130], v[116:117]
	v_div_scale_f64 v[116:117], null, v[114:115], v[114:115], 1.0
	v_rcp_f64_e32 v[131:132], v[116:117]
	v_fma_f64 v[133:134], -v[116:117], v[131:132], 1.0
	v_fma_f64 v[131:132], v[131:132], v[133:134], v[131:132]
	v_fma_f64 v[133:134], -v[116:117], v[131:132], 1.0
	v_fma_f64 v[131:132], v[131:132], v[133:134], v[131:132]
	v_div_scale_f64 v[133:134], vcc_lo, 1.0, v[114:115], 1.0
	v_mul_f64 v[135:136], v[133:134], v[131:132]
	v_fma_f64 v[116:117], -v[116:117], v[135:136], v[133:134]
	v_div_fmas_f64 v[116:117], v[116:117], v[131:132], v[135:136]
	v_div_fixup_f64 v[116:117], v[116:117], v[114:115], 1.0
	v_mul_f64 v[114:115], v[129:130], v[116:117]
	v_xor_b32_e32 v117, 0x80000000, v117
.LBB54_322:
	s_andn2_saveexec_b32 s1, s1
	s_cbranch_execz .LBB54_324
; %bb.323:
	v_div_scale_f64 v[129:130], null, v[114:115], v[114:115], v[116:117]
	v_div_scale_f64 v[135:136], vcc_lo, v[116:117], v[114:115], v[116:117]
	v_rcp_f64_e32 v[131:132], v[129:130]
	v_fma_f64 v[133:134], -v[129:130], v[131:132], 1.0
	v_fma_f64 v[131:132], v[131:132], v[133:134], v[131:132]
	v_fma_f64 v[133:134], -v[129:130], v[131:132], 1.0
	v_fma_f64 v[131:132], v[131:132], v[133:134], v[131:132]
	v_mul_f64 v[133:134], v[135:136], v[131:132]
	v_fma_f64 v[129:130], -v[129:130], v[133:134], v[135:136]
	v_div_fmas_f64 v[129:130], v[129:130], v[131:132], v[133:134]
	v_div_fixup_f64 v[129:130], v[129:130], v[114:115], v[116:117]
	v_fma_f64 v[114:115], v[116:117], v[129:130], v[114:115]
	v_div_scale_f64 v[116:117], null, v[114:115], v[114:115], 1.0
	v_rcp_f64_e32 v[131:132], v[116:117]
	v_fma_f64 v[133:134], -v[116:117], v[131:132], 1.0
	v_fma_f64 v[131:132], v[131:132], v[133:134], v[131:132]
	v_fma_f64 v[133:134], -v[116:117], v[131:132], 1.0
	v_fma_f64 v[131:132], v[131:132], v[133:134], v[131:132]
	v_div_scale_f64 v[133:134], vcc_lo, 1.0, v[114:115], 1.0
	v_mul_f64 v[135:136], v[133:134], v[131:132]
	v_fma_f64 v[116:117], -v[116:117], v[135:136], v[133:134]
	v_div_fmas_f64 v[116:117], v[116:117], v[131:132], v[135:136]
	v_div_fixup_f64 v[114:115], v[116:117], v[114:115], 1.0
	v_mul_f64 v[116:117], v[129:130], -v[114:115]
.LBB54_324:
	s_or_b32 exec_lo, exec_lo, s1
.LBB54_325:
	s_or_b32 exec_lo, exec_lo, s0
	s_mov_b32 s0, exec_lo
	v_cmpx_ne_u32_e64 v128, v122
	s_xor_b32 s0, exec_lo, s0
	s_cbranch_execz .LBB54_331
; %bb.326:
	s_mov_b32 s1, exec_lo
	v_cmpx_eq_u32_e32 15, v128
	s_cbranch_execz .LBB54_330
; %bb.327:
	v_cmp_ne_u32_e32 vcc_lo, 15, v122
	s_xor_b32 s2, s16, -1
	s_and_b32 s3, s2, vcc_lo
	s_and_saveexec_b32 s2, s3
	s_cbranch_execz .LBB54_329
; %bb.328:
	v_ashrrev_i32_e32 v123, 31, v122
	v_lshlrev_b64 v[128:129], 2, v[122:123]
	v_add_co_u32 v128, vcc_lo, v120, v128
	v_add_co_ci_u32_e64 v129, null, v121, v129, vcc_lo
	s_clause 0x1
	global_load_dword v0, v[128:129], off
	global_load_dword v123, v[120:121], off offset:60
	s_waitcnt vmcnt(1)
	global_store_dword v[120:121], v0, off offset:60
	s_waitcnt vmcnt(0)
	global_store_dword v[128:129], v123, off
.LBB54_329:
	s_or_b32 exec_lo, exec_lo, s2
	v_mov_b32_e32 v128, v122
	v_mov_b32_e32 v0, v122
.LBB54_330:
	s_or_b32 exec_lo, exec_lo, s1
.LBB54_331:
	s_andn2_saveexec_b32 s0, s0
	s_cbranch_execz .LBB54_333
; %bb.332:
	v_mov_b32_e32 v128, 15
	ds_write2_b64 v1, v[46:47], v[48:49] offset0:32 offset1:33
	ds_write2_b64 v1, v[42:43], v[44:45] offset0:34 offset1:35
	;; [unrolled: 1-line block ×12, first 2 shown]
.LBB54_333:
	s_or_b32 exec_lo, exec_lo, s0
	s_mov_b32 s0, exec_lo
	s_waitcnt lgkmcnt(0)
	s_waitcnt_vscnt null, 0x0
	s_barrier
	buffer_gl0_inv
	v_cmpx_lt_i32_e32 15, v128
	s_cbranch_execz .LBB54_335
; %bb.334:
	v_mul_f64 v[122:123], v[114:115], v[52:53]
	v_mul_f64 v[52:53], v[116:117], v[52:53]
	v_fma_f64 v[122:123], v[116:117], v[50:51], v[122:123]
	v_fma_f64 v[50:51], v[114:115], v[50:51], -v[52:53]
	ds_read2_b64 v[114:117], v1 offset0:32 offset1:33
	s_waitcnt lgkmcnt(0)
	v_mul_f64 v[52:53], v[116:117], v[122:123]
	v_fma_f64 v[52:53], v[114:115], v[50:51], -v[52:53]
	v_mul_f64 v[114:115], v[114:115], v[122:123]
	v_add_f64 v[46:47], v[46:47], -v[52:53]
	v_fma_f64 v[114:115], v[116:117], v[50:51], v[114:115]
	v_add_f64 v[48:49], v[48:49], -v[114:115]
	ds_read2_b64 v[114:117], v1 offset0:34 offset1:35
	s_waitcnt lgkmcnt(0)
	v_mul_f64 v[52:53], v[116:117], v[122:123]
	v_fma_f64 v[52:53], v[114:115], v[50:51], -v[52:53]
	v_mul_f64 v[114:115], v[114:115], v[122:123]
	v_add_f64 v[42:43], v[42:43], -v[52:53]
	v_fma_f64 v[114:115], v[116:117], v[50:51], v[114:115]
	v_add_f64 v[44:45], v[44:45], -v[114:115]
	;; [unrolled: 8-line block ×11, first 2 shown]
	ds_read2_b64 v[114:117], v1 offset0:54 offset1:55
	s_waitcnt lgkmcnt(0)
	v_mul_f64 v[52:53], v[116:117], v[122:123]
	v_fma_f64 v[52:53], v[114:115], v[50:51], -v[52:53]
	v_mul_f64 v[114:115], v[114:115], v[122:123]
	v_add_f64 v[2:3], v[2:3], -v[52:53]
	v_fma_f64 v[114:115], v[116:117], v[50:51], v[114:115]
	v_mov_b32_e32 v52, v122
	v_mov_b32_e32 v53, v123
	v_add_f64 v[4:5], v[4:5], -v[114:115]
.LBB54_335:
	s_or_b32 exec_lo, exec_lo, s0
	v_lshl_add_u32 v114, v128, 4, v1
	s_barrier
	buffer_gl0_inv
	v_mov_b32_e32 v122, 16
	ds_write2_b64 v114, v[46:47], v[48:49] offset1:1
	s_waitcnt lgkmcnt(0)
	s_barrier
	buffer_gl0_inv
	ds_read2_b64 v[114:117], v1 offset0:32 offset1:33
	s_cmp_lt_i32 s18, 18
	s_cbranch_scc1 .LBB54_338
; %bb.336:
	v_add3_u32 v123, v124, 0, 0x110
	v_mov_b32_e32 v122, 16
	s_mov_b32 s1, 17
	s_inst_prefetch 0x1
	.p2align	6
.LBB54_337:                             ; =>This Inner Loop Header: Depth=1
	s_waitcnt lgkmcnt(0)
	v_cmp_gt_f64_e32 vcc_lo, 0, v[116:117]
	v_cmp_gt_f64_e64 s0, 0, v[114:115]
	ds_read2_b64 v[129:132], v123 offset1:1
	v_xor_b32_e32 v134, 0x80000000, v115
	v_xor_b32_e32 v136, 0x80000000, v117
	v_mov_b32_e32 v133, v114
	v_mov_b32_e32 v135, v116
	v_add_nc_u32_e32 v123, 16, v123
	s_waitcnt lgkmcnt(0)
	v_xor_b32_e32 v138, 0x80000000, v132
	v_cndmask_b32_e64 v134, v115, v134, s0
	v_cndmask_b32_e32 v136, v117, v136, vcc_lo
	v_cmp_gt_f64_e32 vcc_lo, 0, v[131:132]
	v_cmp_gt_f64_e64 s0, 0, v[129:130]
	v_mov_b32_e32 v137, v131
	v_add_f64 v[133:134], v[133:134], v[135:136]
	v_xor_b32_e32 v136, 0x80000000, v130
	v_mov_b32_e32 v135, v129
	v_cndmask_b32_e32 v138, v132, v138, vcc_lo
	v_cndmask_b32_e64 v136, v130, v136, s0
	v_add_f64 v[135:136], v[135:136], v[137:138]
	v_cmp_lt_f64_e32 vcc_lo, v[133:134], v[135:136]
	v_cndmask_b32_e32 v115, v115, v130, vcc_lo
	v_cndmask_b32_e32 v114, v114, v129, vcc_lo
	;; [unrolled: 1-line block ×4, first 2 shown]
	v_cndmask_b32_e64 v122, v122, s1, vcc_lo
	s_add_i32 s1, s1, 1
	s_cmp_lg_u32 s18, s1
	s_cbranch_scc1 .LBB54_337
.LBB54_338:
	s_inst_prefetch 0x2
	s_waitcnt lgkmcnt(0)
	v_cmp_eq_f64_e32 vcc_lo, 0, v[114:115]
	v_cmp_eq_f64_e64 s0, 0, v[116:117]
	s_and_b32 s0, vcc_lo, s0
	s_and_saveexec_b32 s1, s0
	s_xor_b32 s0, exec_lo, s1
; %bb.339:
	v_cmp_ne_u32_e32 vcc_lo, 0, v127
	v_cndmask_b32_e32 v127, 17, v127, vcc_lo
; %bb.340:
	s_andn2_saveexec_b32 s0, s0
	s_cbranch_execz .LBB54_346
; %bb.341:
	v_cmp_ngt_f64_e64 s1, |v[114:115]|, |v[116:117]|
	s_and_saveexec_b32 s2, s1
	s_xor_b32 s1, exec_lo, s2
	s_cbranch_execz .LBB54_343
; %bb.342:
	v_div_scale_f64 v[129:130], null, v[116:117], v[116:117], v[114:115]
	v_div_scale_f64 v[135:136], vcc_lo, v[114:115], v[116:117], v[114:115]
	v_rcp_f64_e32 v[131:132], v[129:130]
	v_fma_f64 v[133:134], -v[129:130], v[131:132], 1.0
	v_fma_f64 v[131:132], v[131:132], v[133:134], v[131:132]
	v_fma_f64 v[133:134], -v[129:130], v[131:132], 1.0
	v_fma_f64 v[131:132], v[131:132], v[133:134], v[131:132]
	v_mul_f64 v[133:134], v[135:136], v[131:132]
	v_fma_f64 v[129:130], -v[129:130], v[133:134], v[135:136]
	v_div_fmas_f64 v[129:130], v[129:130], v[131:132], v[133:134]
	v_div_fixup_f64 v[129:130], v[129:130], v[116:117], v[114:115]
	v_fma_f64 v[114:115], v[114:115], v[129:130], v[116:117]
	v_div_scale_f64 v[116:117], null, v[114:115], v[114:115], 1.0
	v_rcp_f64_e32 v[131:132], v[116:117]
	v_fma_f64 v[133:134], -v[116:117], v[131:132], 1.0
	v_fma_f64 v[131:132], v[131:132], v[133:134], v[131:132]
	v_fma_f64 v[133:134], -v[116:117], v[131:132], 1.0
	v_fma_f64 v[131:132], v[131:132], v[133:134], v[131:132]
	v_div_scale_f64 v[133:134], vcc_lo, 1.0, v[114:115], 1.0
	v_mul_f64 v[135:136], v[133:134], v[131:132]
	v_fma_f64 v[116:117], -v[116:117], v[135:136], v[133:134]
	v_div_fmas_f64 v[116:117], v[116:117], v[131:132], v[135:136]
	v_div_fixup_f64 v[116:117], v[116:117], v[114:115], 1.0
	v_mul_f64 v[114:115], v[129:130], v[116:117]
	v_xor_b32_e32 v117, 0x80000000, v117
.LBB54_343:
	s_andn2_saveexec_b32 s1, s1
	s_cbranch_execz .LBB54_345
; %bb.344:
	v_div_scale_f64 v[129:130], null, v[114:115], v[114:115], v[116:117]
	v_div_scale_f64 v[135:136], vcc_lo, v[116:117], v[114:115], v[116:117]
	v_rcp_f64_e32 v[131:132], v[129:130]
	v_fma_f64 v[133:134], -v[129:130], v[131:132], 1.0
	v_fma_f64 v[131:132], v[131:132], v[133:134], v[131:132]
	v_fma_f64 v[133:134], -v[129:130], v[131:132], 1.0
	v_fma_f64 v[131:132], v[131:132], v[133:134], v[131:132]
	v_mul_f64 v[133:134], v[135:136], v[131:132]
	v_fma_f64 v[129:130], -v[129:130], v[133:134], v[135:136]
	v_div_fmas_f64 v[129:130], v[129:130], v[131:132], v[133:134]
	v_div_fixup_f64 v[129:130], v[129:130], v[114:115], v[116:117]
	v_fma_f64 v[114:115], v[116:117], v[129:130], v[114:115]
	v_div_scale_f64 v[116:117], null, v[114:115], v[114:115], 1.0
	v_rcp_f64_e32 v[131:132], v[116:117]
	v_fma_f64 v[133:134], -v[116:117], v[131:132], 1.0
	v_fma_f64 v[131:132], v[131:132], v[133:134], v[131:132]
	v_fma_f64 v[133:134], -v[116:117], v[131:132], 1.0
	v_fma_f64 v[131:132], v[131:132], v[133:134], v[131:132]
	v_div_scale_f64 v[133:134], vcc_lo, 1.0, v[114:115], 1.0
	v_mul_f64 v[135:136], v[133:134], v[131:132]
	v_fma_f64 v[116:117], -v[116:117], v[135:136], v[133:134]
	v_div_fmas_f64 v[116:117], v[116:117], v[131:132], v[135:136]
	v_div_fixup_f64 v[114:115], v[116:117], v[114:115], 1.0
	v_mul_f64 v[116:117], v[129:130], -v[114:115]
.LBB54_345:
	s_or_b32 exec_lo, exec_lo, s1
.LBB54_346:
	s_or_b32 exec_lo, exec_lo, s0
	s_mov_b32 s0, exec_lo
	v_cmpx_ne_u32_e64 v128, v122
	s_xor_b32 s0, exec_lo, s0
	s_cbranch_execz .LBB54_352
; %bb.347:
	s_mov_b32 s1, exec_lo
	v_cmpx_eq_u32_e32 16, v128
	s_cbranch_execz .LBB54_351
; %bb.348:
	v_cmp_ne_u32_e32 vcc_lo, 16, v122
	s_xor_b32 s2, s16, -1
	s_and_b32 s3, s2, vcc_lo
	s_and_saveexec_b32 s2, s3
	s_cbranch_execz .LBB54_350
; %bb.349:
	v_ashrrev_i32_e32 v123, 31, v122
	v_lshlrev_b64 v[128:129], 2, v[122:123]
	v_add_co_u32 v128, vcc_lo, v120, v128
	v_add_co_ci_u32_e64 v129, null, v121, v129, vcc_lo
	s_clause 0x1
	global_load_dword v0, v[128:129], off
	global_load_dword v123, v[120:121], off offset:64
	s_waitcnt vmcnt(1)
	global_store_dword v[120:121], v0, off offset:64
	s_waitcnt vmcnt(0)
	global_store_dword v[128:129], v123, off
.LBB54_350:
	s_or_b32 exec_lo, exec_lo, s2
	v_mov_b32_e32 v128, v122
	v_mov_b32_e32 v0, v122
.LBB54_351:
	s_or_b32 exec_lo, exec_lo, s1
.LBB54_352:
	s_andn2_saveexec_b32 s0, s0
	s_cbranch_execz .LBB54_354
; %bb.353:
	v_mov_b32_e32 v128, 16
	ds_write2_b64 v1, v[42:43], v[44:45] offset0:34 offset1:35
	ds_write2_b64 v1, v[38:39], v[40:41] offset0:36 offset1:37
	;; [unrolled: 1-line block ×11, first 2 shown]
.LBB54_354:
	s_or_b32 exec_lo, exec_lo, s0
	s_mov_b32 s0, exec_lo
	s_waitcnt lgkmcnt(0)
	s_waitcnt_vscnt null, 0x0
	s_barrier
	buffer_gl0_inv
	v_cmpx_lt_i32_e32 16, v128
	s_cbranch_execz .LBB54_356
; %bb.355:
	v_mul_f64 v[122:123], v[114:115], v[48:49]
	v_mul_f64 v[48:49], v[116:117], v[48:49]
	v_fma_f64 v[122:123], v[116:117], v[46:47], v[122:123]
	v_fma_f64 v[46:47], v[114:115], v[46:47], -v[48:49]
	ds_read2_b64 v[114:117], v1 offset0:34 offset1:35
	s_waitcnt lgkmcnt(0)
	v_mul_f64 v[48:49], v[116:117], v[122:123]
	v_fma_f64 v[48:49], v[114:115], v[46:47], -v[48:49]
	v_mul_f64 v[114:115], v[114:115], v[122:123]
	v_add_f64 v[42:43], v[42:43], -v[48:49]
	v_fma_f64 v[114:115], v[116:117], v[46:47], v[114:115]
	v_add_f64 v[44:45], v[44:45], -v[114:115]
	ds_read2_b64 v[114:117], v1 offset0:36 offset1:37
	s_waitcnt lgkmcnt(0)
	v_mul_f64 v[48:49], v[116:117], v[122:123]
	v_fma_f64 v[48:49], v[114:115], v[46:47], -v[48:49]
	v_mul_f64 v[114:115], v[114:115], v[122:123]
	v_add_f64 v[38:39], v[38:39], -v[48:49]
	v_fma_f64 v[114:115], v[116:117], v[46:47], v[114:115]
	v_add_f64 v[40:41], v[40:41], -v[114:115]
	;; [unrolled: 8-line block ×10, first 2 shown]
	ds_read2_b64 v[114:117], v1 offset0:54 offset1:55
	s_waitcnt lgkmcnt(0)
	v_mul_f64 v[48:49], v[116:117], v[122:123]
	v_fma_f64 v[48:49], v[114:115], v[46:47], -v[48:49]
	v_mul_f64 v[114:115], v[114:115], v[122:123]
	v_add_f64 v[2:3], v[2:3], -v[48:49]
	v_fma_f64 v[114:115], v[116:117], v[46:47], v[114:115]
	v_mov_b32_e32 v48, v122
	v_mov_b32_e32 v49, v123
	v_add_f64 v[4:5], v[4:5], -v[114:115]
.LBB54_356:
	s_or_b32 exec_lo, exec_lo, s0
	v_lshl_add_u32 v114, v128, 4, v1
	s_barrier
	buffer_gl0_inv
	v_mov_b32_e32 v122, 17
	ds_write2_b64 v114, v[42:43], v[44:45] offset1:1
	s_waitcnt lgkmcnt(0)
	s_barrier
	buffer_gl0_inv
	ds_read2_b64 v[114:117], v1 offset0:34 offset1:35
	s_cmp_lt_i32 s18, 19
	s_cbranch_scc1 .LBB54_359
; %bb.357:
	v_add3_u32 v123, v124, 0, 0x120
	v_mov_b32_e32 v122, 17
	s_mov_b32 s1, 18
	s_inst_prefetch 0x1
	.p2align	6
.LBB54_358:                             ; =>This Inner Loop Header: Depth=1
	s_waitcnt lgkmcnt(0)
	v_cmp_gt_f64_e32 vcc_lo, 0, v[116:117]
	v_cmp_gt_f64_e64 s0, 0, v[114:115]
	ds_read2_b64 v[129:132], v123 offset1:1
	v_xor_b32_e32 v134, 0x80000000, v115
	v_xor_b32_e32 v136, 0x80000000, v117
	v_mov_b32_e32 v133, v114
	v_mov_b32_e32 v135, v116
	v_add_nc_u32_e32 v123, 16, v123
	s_waitcnt lgkmcnt(0)
	v_xor_b32_e32 v138, 0x80000000, v132
	v_cndmask_b32_e64 v134, v115, v134, s0
	v_cndmask_b32_e32 v136, v117, v136, vcc_lo
	v_cmp_gt_f64_e32 vcc_lo, 0, v[131:132]
	v_cmp_gt_f64_e64 s0, 0, v[129:130]
	v_mov_b32_e32 v137, v131
	v_add_f64 v[133:134], v[133:134], v[135:136]
	v_xor_b32_e32 v136, 0x80000000, v130
	v_mov_b32_e32 v135, v129
	v_cndmask_b32_e32 v138, v132, v138, vcc_lo
	v_cndmask_b32_e64 v136, v130, v136, s0
	v_add_f64 v[135:136], v[135:136], v[137:138]
	v_cmp_lt_f64_e32 vcc_lo, v[133:134], v[135:136]
	v_cndmask_b32_e32 v115, v115, v130, vcc_lo
	v_cndmask_b32_e32 v114, v114, v129, vcc_lo
	;; [unrolled: 1-line block ×4, first 2 shown]
	v_cndmask_b32_e64 v122, v122, s1, vcc_lo
	s_add_i32 s1, s1, 1
	s_cmp_lg_u32 s18, s1
	s_cbranch_scc1 .LBB54_358
.LBB54_359:
	s_inst_prefetch 0x2
	s_waitcnt lgkmcnt(0)
	v_cmp_eq_f64_e32 vcc_lo, 0, v[114:115]
	v_cmp_eq_f64_e64 s0, 0, v[116:117]
	s_and_b32 s0, vcc_lo, s0
	s_and_saveexec_b32 s1, s0
	s_xor_b32 s0, exec_lo, s1
; %bb.360:
	v_cmp_ne_u32_e32 vcc_lo, 0, v127
	v_cndmask_b32_e32 v127, 18, v127, vcc_lo
; %bb.361:
	s_andn2_saveexec_b32 s0, s0
	s_cbranch_execz .LBB54_367
; %bb.362:
	v_cmp_ngt_f64_e64 s1, |v[114:115]|, |v[116:117]|
	s_and_saveexec_b32 s2, s1
	s_xor_b32 s1, exec_lo, s2
	s_cbranch_execz .LBB54_364
; %bb.363:
	v_div_scale_f64 v[129:130], null, v[116:117], v[116:117], v[114:115]
	v_div_scale_f64 v[135:136], vcc_lo, v[114:115], v[116:117], v[114:115]
	v_rcp_f64_e32 v[131:132], v[129:130]
	v_fma_f64 v[133:134], -v[129:130], v[131:132], 1.0
	v_fma_f64 v[131:132], v[131:132], v[133:134], v[131:132]
	v_fma_f64 v[133:134], -v[129:130], v[131:132], 1.0
	v_fma_f64 v[131:132], v[131:132], v[133:134], v[131:132]
	v_mul_f64 v[133:134], v[135:136], v[131:132]
	v_fma_f64 v[129:130], -v[129:130], v[133:134], v[135:136]
	v_div_fmas_f64 v[129:130], v[129:130], v[131:132], v[133:134]
	v_div_fixup_f64 v[129:130], v[129:130], v[116:117], v[114:115]
	v_fma_f64 v[114:115], v[114:115], v[129:130], v[116:117]
	v_div_scale_f64 v[116:117], null, v[114:115], v[114:115], 1.0
	v_rcp_f64_e32 v[131:132], v[116:117]
	v_fma_f64 v[133:134], -v[116:117], v[131:132], 1.0
	v_fma_f64 v[131:132], v[131:132], v[133:134], v[131:132]
	v_fma_f64 v[133:134], -v[116:117], v[131:132], 1.0
	v_fma_f64 v[131:132], v[131:132], v[133:134], v[131:132]
	v_div_scale_f64 v[133:134], vcc_lo, 1.0, v[114:115], 1.0
	v_mul_f64 v[135:136], v[133:134], v[131:132]
	v_fma_f64 v[116:117], -v[116:117], v[135:136], v[133:134]
	v_div_fmas_f64 v[116:117], v[116:117], v[131:132], v[135:136]
	v_div_fixup_f64 v[116:117], v[116:117], v[114:115], 1.0
	v_mul_f64 v[114:115], v[129:130], v[116:117]
	v_xor_b32_e32 v117, 0x80000000, v117
.LBB54_364:
	s_andn2_saveexec_b32 s1, s1
	s_cbranch_execz .LBB54_366
; %bb.365:
	v_div_scale_f64 v[129:130], null, v[114:115], v[114:115], v[116:117]
	v_div_scale_f64 v[135:136], vcc_lo, v[116:117], v[114:115], v[116:117]
	v_rcp_f64_e32 v[131:132], v[129:130]
	v_fma_f64 v[133:134], -v[129:130], v[131:132], 1.0
	v_fma_f64 v[131:132], v[131:132], v[133:134], v[131:132]
	v_fma_f64 v[133:134], -v[129:130], v[131:132], 1.0
	v_fma_f64 v[131:132], v[131:132], v[133:134], v[131:132]
	v_mul_f64 v[133:134], v[135:136], v[131:132]
	v_fma_f64 v[129:130], -v[129:130], v[133:134], v[135:136]
	v_div_fmas_f64 v[129:130], v[129:130], v[131:132], v[133:134]
	v_div_fixup_f64 v[129:130], v[129:130], v[114:115], v[116:117]
	v_fma_f64 v[114:115], v[116:117], v[129:130], v[114:115]
	v_div_scale_f64 v[116:117], null, v[114:115], v[114:115], 1.0
	v_rcp_f64_e32 v[131:132], v[116:117]
	v_fma_f64 v[133:134], -v[116:117], v[131:132], 1.0
	v_fma_f64 v[131:132], v[131:132], v[133:134], v[131:132]
	v_fma_f64 v[133:134], -v[116:117], v[131:132], 1.0
	v_fma_f64 v[131:132], v[131:132], v[133:134], v[131:132]
	v_div_scale_f64 v[133:134], vcc_lo, 1.0, v[114:115], 1.0
	v_mul_f64 v[135:136], v[133:134], v[131:132]
	v_fma_f64 v[116:117], -v[116:117], v[135:136], v[133:134]
	v_div_fmas_f64 v[116:117], v[116:117], v[131:132], v[135:136]
	v_div_fixup_f64 v[114:115], v[116:117], v[114:115], 1.0
	v_mul_f64 v[116:117], v[129:130], -v[114:115]
.LBB54_366:
	s_or_b32 exec_lo, exec_lo, s1
.LBB54_367:
	s_or_b32 exec_lo, exec_lo, s0
	s_mov_b32 s0, exec_lo
	v_cmpx_ne_u32_e64 v128, v122
	s_xor_b32 s0, exec_lo, s0
	s_cbranch_execz .LBB54_373
; %bb.368:
	s_mov_b32 s1, exec_lo
	v_cmpx_eq_u32_e32 17, v128
	s_cbranch_execz .LBB54_372
; %bb.369:
	v_cmp_ne_u32_e32 vcc_lo, 17, v122
	s_xor_b32 s2, s16, -1
	s_and_b32 s3, s2, vcc_lo
	s_and_saveexec_b32 s2, s3
	s_cbranch_execz .LBB54_371
; %bb.370:
	v_ashrrev_i32_e32 v123, 31, v122
	v_lshlrev_b64 v[128:129], 2, v[122:123]
	v_add_co_u32 v128, vcc_lo, v120, v128
	v_add_co_ci_u32_e64 v129, null, v121, v129, vcc_lo
	s_clause 0x1
	global_load_dword v0, v[128:129], off
	global_load_dword v123, v[120:121], off offset:68
	s_waitcnt vmcnt(1)
	global_store_dword v[120:121], v0, off offset:68
	s_waitcnt vmcnt(0)
	global_store_dword v[128:129], v123, off
.LBB54_371:
	s_or_b32 exec_lo, exec_lo, s2
	v_mov_b32_e32 v128, v122
	v_mov_b32_e32 v0, v122
.LBB54_372:
	s_or_b32 exec_lo, exec_lo, s1
.LBB54_373:
	s_andn2_saveexec_b32 s0, s0
	s_cbranch_execz .LBB54_375
; %bb.374:
	v_mov_b32_e32 v128, 17
	ds_write2_b64 v1, v[38:39], v[40:41] offset0:36 offset1:37
	ds_write2_b64 v1, v[34:35], v[36:37] offset0:38 offset1:39
	;; [unrolled: 1-line block ×10, first 2 shown]
.LBB54_375:
	s_or_b32 exec_lo, exec_lo, s0
	s_mov_b32 s0, exec_lo
	s_waitcnt lgkmcnt(0)
	s_waitcnt_vscnt null, 0x0
	s_barrier
	buffer_gl0_inv
	v_cmpx_lt_i32_e32 17, v128
	s_cbranch_execz .LBB54_377
; %bb.376:
	v_mul_f64 v[122:123], v[114:115], v[44:45]
	v_mul_f64 v[44:45], v[116:117], v[44:45]
	v_fma_f64 v[122:123], v[116:117], v[42:43], v[122:123]
	v_fma_f64 v[42:43], v[114:115], v[42:43], -v[44:45]
	ds_read2_b64 v[114:117], v1 offset0:36 offset1:37
	s_waitcnt lgkmcnt(0)
	v_mul_f64 v[44:45], v[116:117], v[122:123]
	v_fma_f64 v[44:45], v[114:115], v[42:43], -v[44:45]
	v_mul_f64 v[114:115], v[114:115], v[122:123]
	v_add_f64 v[38:39], v[38:39], -v[44:45]
	v_fma_f64 v[114:115], v[116:117], v[42:43], v[114:115]
	v_add_f64 v[40:41], v[40:41], -v[114:115]
	ds_read2_b64 v[114:117], v1 offset0:38 offset1:39
	s_waitcnt lgkmcnt(0)
	v_mul_f64 v[44:45], v[116:117], v[122:123]
	v_fma_f64 v[44:45], v[114:115], v[42:43], -v[44:45]
	v_mul_f64 v[114:115], v[114:115], v[122:123]
	v_add_f64 v[34:35], v[34:35], -v[44:45]
	v_fma_f64 v[114:115], v[116:117], v[42:43], v[114:115]
	v_add_f64 v[36:37], v[36:37], -v[114:115]
	;; [unrolled: 8-line block ×9, first 2 shown]
	ds_read2_b64 v[114:117], v1 offset0:54 offset1:55
	s_waitcnt lgkmcnt(0)
	v_mul_f64 v[44:45], v[116:117], v[122:123]
	v_fma_f64 v[44:45], v[114:115], v[42:43], -v[44:45]
	v_mul_f64 v[114:115], v[114:115], v[122:123]
	v_add_f64 v[2:3], v[2:3], -v[44:45]
	v_fma_f64 v[114:115], v[116:117], v[42:43], v[114:115]
	v_mov_b32_e32 v44, v122
	v_mov_b32_e32 v45, v123
	v_add_f64 v[4:5], v[4:5], -v[114:115]
.LBB54_377:
	s_or_b32 exec_lo, exec_lo, s0
	v_lshl_add_u32 v114, v128, 4, v1
	s_barrier
	buffer_gl0_inv
	v_mov_b32_e32 v122, 18
	ds_write2_b64 v114, v[38:39], v[40:41] offset1:1
	s_waitcnt lgkmcnt(0)
	s_barrier
	buffer_gl0_inv
	ds_read2_b64 v[114:117], v1 offset0:36 offset1:37
	s_cmp_lt_i32 s18, 20
	s_cbranch_scc1 .LBB54_380
; %bb.378:
	v_add3_u32 v123, v124, 0, 0x130
	v_mov_b32_e32 v122, 18
	s_mov_b32 s1, 19
	s_inst_prefetch 0x1
	.p2align	6
.LBB54_379:                             ; =>This Inner Loop Header: Depth=1
	s_waitcnt lgkmcnt(0)
	v_cmp_gt_f64_e32 vcc_lo, 0, v[116:117]
	v_cmp_gt_f64_e64 s0, 0, v[114:115]
	ds_read2_b64 v[129:132], v123 offset1:1
	v_xor_b32_e32 v134, 0x80000000, v115
	v_xor_b32_e32 v136, 0x80000000, v117
	v_mov_b32_e32 v133, v114
	v_mov_b32_e32 v135, v116
	v_add_nc_u32_e32 v123, 16, v123
	s_waitcnt lgkmcnt(0)
	v_xor_b32_e32 v138, 0x80000000, v132
	v_cndmask_b32_e64 v134, v115, v134, s0
	v_cndmask_b32_e32 v136, v117, v136, vcc_lo
	v_cmp_gt_f64_e32 vcc_lo, 0, v[131:132]
	v_cmp_gt_f64_e64 s0, 0, v[129:130]
	v_mov_b32_e32 v137, v131
	v_add_f64 v[133:134], v[133:134], v[135:136]
	v_xor_b32_e32 v136, 0x80000000, v130
	v_mov_b32_e32 v135, v129
	v_cndmask_b32_e32 v138, v132, v138, vcc_lo
	v_cndmask_b32_e64 v136, v130, v136, s0
	v_add_f64 v[135:136], v[135:136], v[137:138]
	v_cmp_lt_f64_e32 vcc_lo, v[133:134], v[135:136]
	v_cndmask_b32_e32 v115, v115, v130, vcc_lo
	v_cndmask_b32_e32 v114, v114, v129, vcc_lo
	v_cndmask_b32_e32 v117, v117, v132, vcc_lo
	v_cndmask_b32_e32 v116, v116, v131, vcc_lo
	v_cndmask_b32_e64 v122, v122, s1, vcc_lo
	s_add_i32 s1, s1, 1
	s_cmp_lg_u32 s18, s1
	s_cbranch_scc1 .LBB54_379
.LBB54_380:
	s_inst_prefetch 0x2
	s_waitcnt lgkmcnt(0)
	v_cmp_eq_f64_e32 vcc_lo, 0, v[114:115]
	v_cmp_eq_f64_e64 s0, 0, v[116:117]
	s_and_b32 s0, vcc_lo, s0
	s_and_saveexec_b32 s1, s0
	s_xor_b32 s0, exec_lo, s1
; %bb.381:
	v_cmp_ne_u32_e32 vcc_lo, 0, v127
	v_cndmask_b32_e32 v127, 19, v127, vcc_lo
; %bb.382:
	s_andn2_saveexec_b32 s0, s0
	s_cbranch_execz .LBB54_388
; %bb.383:
	v_cmp_ngt_f64_e64 s1, |v[114:115]|, |v[116:117]|
	s_and_saveexec_b32 s2, s1
	s_xor_b32 s1, exec_lo, s2
	s_cbranch_execz .LBB54_385
; %bb.384:
	v_div_scale_f64 v[129:130], null, v[116:117], v[116:117], v[114:115]
	v_div_scale_f64 v[135:136], vcc_lo, v[114:115], v[116:117], v[114:115]
	v_rcp_f64_e32 v[131:132], v[129:130]
	v_fma_f64 v[133:134], -v[129:130], v[131:132], 1.0
	v_fma_f64 v[131:132], v[131:132], v[133:134], v[131:132]
	v_fma_f64 v[133:134], -v[129:130], v[131:132], 1.0
	v_fma_f64 v[131:132], v[131:132], v[133:134], v[131:132]
	v_mul_f64 v[133:134], v[135:136], v[131:132]
	v_fma_f64 v[129:130], -v[129:130], v[133:134], v[135:136]
	v_div_fmas_f64 v[129:130], v[129:130], v[131:132], v[133:134]
	v_div_fixup_f64 v[129:130], v[129:130], v[116:117], v[114:115]
	v_fma_f64 v[114:115], v[114:115], v[129:130], v[116:117]
	v_div_scale_f64 v[116:117], null, v[114:115], v[114:115], 1.0
	v_rcp_f64_e32 v[131:132], v[116:117]
	v_fma_f64 v[133:134], -v[116:117], v[131:132], 1.0
	v_fma_f64 v[131:132], v[131:132], v[133:134], v[131:132]
	v_fma_f64 v[133:134], -v[116:117], v[131:132], 1.0
	v_fma_f64 v[131:132], v[131:132], v[133:134], v[131:132]
	v_div_scale_f64 v[133:134], vcc_lo, 1.0, v[114:115], 1.0
	v_mul_f64 v[135:136], v[133:134], v[131:132]
	v_fma_f64 v[116:117], -v[116:117], v[135:136], v[133:134]
	v_div_fmas_f64 v[116:117], v[116:117], v[131:132], v[135:136]
	v_div_fixup_f64 v[116:117], v[116:117], v[114:115], 1.0
	v_mul_f64 v[114:115], v[129:130], v[116:117]
	v_xor_b32_e32 v117, 0x80000000, v117
.LBB54_385:
	s_andn2_saveexec_b32 s1, s1
	s_cbranch_execz .LBB54_387
; %bb.386:
	v_div_scale_f64 v[129:130], null, v[114:115], v[114:115], v[116:117]
	v_div_scale_f64 v[135:136], vcc_lo, v[116:117], v[114:115], v[116:117]
	v_rcp_f64_e32 v[131:132], v[129:130]
	v_fma_f64 v[133:134], -v[129:130], v[131:132], 1.0
	v_fma_f64 v[131:132], v[131:132], v[133:134], v[131:132]
	v_fma_f64 v[133:134], -v[129:130], v[131:132], 1.0
	v_fma_f64 v[131:132], v[131:132], v[133:134], v[131:132]
	v_mul_f64 v[133:134], v[135:136], v[131:132]
	v_fma_f64 v[129:130], -v[129:130], v[133:134], v[135:136]
	v_div_fmas_f64 v[129:130], v[129:130], v[131:132], v[133:134]
	v_div_fixup_f64 v[129:130], v[129:130], v[114:115], v[116:117]
	v_fma_f64 v[114:115], v[116:117], v[129:130], v[114:115]
	v_div_scale_f64 v[116:117], null, v[114:115], v[114:115], 1.0
	v_rcp_f64_e32 v[131:132], v[116:117]
	v_fma_f64 v[133:134], -v[116:117], v[131:132], 1.0
	v_fma_f64 v[131:132], v[131:132], v[133:134], v[131:132]
	v_fma_f64 v[133:134], -v[116:117], v[131:132], 1.0
	v_fma_f64 v[131:132], v[131:132], v[133:134], v[131:132]
	v_div_scale_f64 v[133:134], vcc_lo, 1.0, v[114:115], 1.0
	v_mul_f64 v[135:136], v[133:134], v[131:132]
	v_fma_f64 v[116:117], -v[116:117], v[135:136], v[133:134]
	v_div_fmas_f64 v[116:117], v[116:117], v[131:132], v[135:136]
	v_div_fixup_f64 v[114:115], v[116:117], v[114:115], 1.0
	v_mul_f64 v[116:117], v[129:130], -v[114:115]
.LBB54_387:
	s_or_b32 exec_lo, exec_lo, s1
.LBB54_388:
	s_or_b32 exec_lo, exec_lo, s0
	s_mov_b32 s0, exec_lo
	v_cmpx_ne_u32_e64 v128, v122
	s_xor_b32 s0, exec_lo, s0
	s_cbranch_execz .LBB54_394
; %bb.389:
	s_mov_b32 s1, exec_lo
	v_cmpx_eq_u32_e32 18, v128
	s_cbranch_execz .LBB54_393
; %bb.390:
	v_cmp_ne_u32_e32 vcc_lo, 18, v122
	s_xor_b32 s2, s16, -1
	s_and_b32 s3, s2, vcc_lo
	s_and_saveexec_b32 s2, s3
	s_cbranch_execz .LBB54_392
; %bb.391:
	v_ashrrev_i32_e32 v123, 31, v122
	v_lshlrev_b64 v[128:129], 2, v[122:123]
	v_add_co_u32 v128, vcc_lo, v120, v128
	v_add_co_ci_u32_e64 v129, null, v121, v129, vcc_lo
	s_clause 0x1
	global_load_dword v0, v[128:129], off
	global_load_dword v123, v[120:121], off offset:72
	s_waitcnt vmcnt(1)
	global_store_dword v[120:121], v0, off offset:72
	s_waitcnt vmcnt(0)
	global_store_dword v[128:129], v123, off
.LBB54_392:
	s_or_b32 exec_lo, exec_lo, s2
	v_mov_b32_e32 v128, v122
	v_mov_b32_e32 v0, v122
.LBB54_393:
	s_or_b32 exec_lo, exec_lo, s1
.LBB54_394:
	s_andn2_saveexec_b32 s0, s0
	s_cbranch_execz .LBB54_396
; %bb.395:
	v_mov_b32_e32 v128, 18
	ds_write2_b64 v1, v[34:35], v[36:37] offset0:38 offset1:39
	ds_write2_b64 v1, v[30:31], v[32:33] offset0:40 offset1:41
	;; [unrolled: 1-line block ×9, first 2 shown]
.LBB54_396:
	s_or_b32 exec_lo, exec_lo, s0
	s_mov_b32 s0, exec_lo
	s_waitcnt lgkmcnt(0)
	s_waitcnt_vscnt null, 0x0
	s_barrier
	buffer_gl0_inv
	v_cmpx_lt_i32_e32 18, v128
	s_cbranch_execz .LBB54_398
; %bb.397:
	v_mul_f64 v[122:123], v[114:115], v[40:41]
	v_mul_f64 v[40:41], v[116:117], v[40:41]
	v_fma_f64 v[122:123], v[116:117], v[38:39], v[122:123]
	v_fma_f64 v[38:39], v[114:115], v[38:39], -v[40:41]
	ds_read2_b64 v[114:117], v1 offset0:38 offset1:39
	s_waitcnt lgkmcnt(0)
	v_mul_f64 v[40:41], v[116:117], v[122:123]
	v_fma_f64 v[40:41], v[114:115], v[38:39], -v[40:41]
	v_mul_f64 v[114:115], v[114:115], v[122:123]
	v_add_f64 v[34:35], v[34:35], -v[40:41]
	v_fma_f64 v[114:115], v[116:117], v[38:39], v[114:115]
	v_add_f64 v[36:37], v[36:37], -v[114:115]
	ds_read2_b64 v[114:117], v1 offset0:40 offset1:41
	s_waitcnt lgkmcnt(0)
	v_mul_f64 v[40:41], v[116:117], v[122:123]
	v_fma_f64 v[40:41], v[114:115], v[38:39], -v[40:41]
	v_mul_f64 v[114:115], v[114:115], v[122:123]
	v_add_f64 v[30:31], v[30:31], -v[40:41]
	v_fma_f64 v[114:115], v[116:117], v[38:39], v[114:115]
	v_add_f64 v[32:33], v[32:33], -v[114:115]
	;; [unrolled: 8-line block ×8, first 2 shown]
	ds_read2_b64 v[114:117], v1 offset0:54 offset1:55
	s_waitcnt lgkmcnt(0)
	v_mul_f64 v[40:41], v[116:117], v[122:123]
	v_fma_f64 v[40:41], v[114:115], v[38:39], -v[40:41]
	v_mul_f64 v[114:115], v[114:115], v[122:123]
	v_add_f64 v[2:3], v[2:3], -v[40:41]
	v_fma_f64 v[114:115], v[116:117], v[38:39], v[114:115]
	v_mov_b32_e32 v40, v122
	v_mov_b32_e32 v41, v123
	v_add_f64 v[4:5], v[4:5], -v[114:115]
.LBB54_398:
	s_or_b32 exec_lo, exec_lo, s0
	v_lshl_add_u32 v114, v128, 4, v1
	s_barrier
	buffer_gl0_inv
	v_mov_b32_e32 v122, 19
	ds_write2_b64 v114, v[34:35], v[36:37] offset1:1
	s_waitcnt lgkmcnt(0)
	s_barrier
	buffer_gl0_inv
	ds_read2_b64 v[114:117], v1 offset0:38 offset1:39
	s_cmp_lt_i32 s18, 21
	s_cbranch_scc1 .LBB54_401
; %bb.399:
	v_add3_u32 v123, v124, 0, 0x140
	v_mov_b32_e32 v122, 19
	s_mov_b32 s1, 20
	s_inst_prefetch 0x1
	.p2align	6
.LBB54_400:                             ; =>This Inner Loop Header: Depth=1
	s_waitcnt lgkmcnt(0)
	v_cmp_gt_f64_e32 vcc_lo, 0, v[116:117]
	v_cmp_gt_f64_e64 s0, 0, v[114:115]
	ds_read2_b64 v[129:132], v123 offset1:1
	v_xor_b32_e32 v134, 0x80000000, v115
	v_xor_b32_e32 v136, 0x80000000, v117
	v_mov_b32_e32 v133, v114
	v_mov_b32_e32 v135, v116
	v_add_nc_u32_e32 v123, 16, v123
	s_waitcnt lgkmcnt(0)
	v_xor_b32_e32 v138, 0x80000000, v132
	v_cndmask_b32_e64 v134, v115, v134, s0
	v_cndmask_b32_e32 v136, v117, v136, vcc_lo
	v_cmp_gt_f64_e32 vcc_lo, 0, v[131:132]
	v_cmp_gt_f64_e64 s0, 0, v[129:130]
	v_mov_b32_e32 v137, v131
	v_add_f64 v[133:134], v[133:134], v[135:136]
	v_xor_b32_e32 v136, 0x80000000, v130
	v_mov_b32_e32 v135, v129
	v_cndmask_b32_e32 v138, v132, v138, vcc_lo
	v_cndmask_b32_e64 v136, v130, v136, s0
	v_add_f64 v[135:136], v[135:136], v[137:138]
	v_cmp_lt_f64_e32 vcc_lo, v[133:134], v[135:136]
	v_cndmask_b32_e32 v115, v115, v130, vcc_lo
	v_cndmask_b32_e32 v114, v114, v129, vcc_lo
	;; [unrolled: 1-line block ×4, first 2 shown]
	v_cndmask_b32_e64 v122, v122, s1, vcc_lo
	s_add_i32 s1, s1, 1
	s_cmp_lg_u32 s18, s1
	s_cbranch_scc1 .LBB54_400
.LBB54_401:
	s_inst_prefetch 0x2
	s_waitcnt lgkmcnt(0)
	v_cmp_eq_f64_e32 vcc_lo, 0, v[114:115]
	v_cmp_eq_f64_e64 s0, 0, v[116:117]
	s_and_b32 s0, vcc_lo, s0
	s_and_saveexec_b32 s1, s0
	s_xor_b32 s0, exec_lo, s1
; %bb.402:
	v_cmp_ne_u32_e32 vcc_lo, 0, v127
	v_cndmask_b32_e32 v127, 20, v127, vcc_lo
; %bb.403:
	s_andn2_saveexec_b32 s0, s0
	s_cbranch_execz .LBB54_409
; %bb.404:
	v_cmp_ngt_f64_e64 s1, |v[114:115]|, |v[116:117]|
	s_and_saveexec_b32 s2, s1
	s_xor_b32 s1, exec_lo, s2
	s_cbranch_execz .LBB54_406
; %bb.405:
	v_div_scale_f64 v[129:130], null, v[116:117], v[116:117], v[114:115]
	v_div_scale_f64 v[135:136], vcc_lo, v[114:115], v[116:117], v[114:115]
	v_rcp_f64_e32 v[131:132], v[129:130]
	v_fma_f64 v[133:134], -v[129:130], v[131:132], 1.0
	v_fma_f64 v[131:132], v[131:132], v[133:134], v[131:132]
	v_fma_f64 v[133:134], -v[129:130], v[131:132], 1.0
	v_fma_f64 v[131:132], v[131:132], v[133:134], v[131:132]
	v_mul_f64 v[133:134], v[135:136], v[131:132]
	v_fma_f64 v[129:130], -v[129:130], v[133:134], v[135:136]
	v_div_fmas_f64 v[129:130], v[129:130], v[131:132], v[133:134]
	v_div_fixup_f64 v[129:130], v[129:130], v[116:117], v[114:115]
	v_fma_f64 v[114:115], v[114:115], v[129:130], v[116:117]
	v_div_scale_f64 v[116:117], null, v[114:115], v[114:115], 1.0
	v_rcp_f64_e32 v[131:132], v[116:117]
	v_fma_f64 v[133:134], -v[116:117], v[131:132], 1.0
	v_fma_f64 v[131:132], v[131:132], v[133:134], v[131:132]
	v_fma_f64 v[133:134], -v[116:117], v[131:132], 1.0
	v_fma_f64 v[131:132], v[131:132], v[133:134], v[131:132]
	v_div_scale_f64 v[133:134], vcc_lo, 1.0, v[114:115], 1.0
	v_mul_f64 v[135:136], v[133:134], v[131:132]
	v_fma_f64 v[116:117], -v[116:117], v[135:136], v[133:134]
	v_div_fmas_f64 v[116:117], v[116:117], v[131:132], v[135:136]
	v_div_fixup_f64 v[116:117], v[116:117], v[114:115], 1.0
	v_mul_f64 v[114:115], v[129:130], v[116:117]
	v_xor_b32_e32 v117, 0x80000000, v117
.LBB54_406:
	s_andn2_saveexec_b32 s1, s1
	s_cbranch_execz .LBB54_408
; %bb.407:
	v_div_scale_f64 v[129:130], null, v[114:115], v[114:115], v[116:117]
	v_div_scale_f64 v[135:136], vcc_lo, v[116:117], v[114:115], v[116:117]
	v_rcp_f64_e32 v[131:132], v[129:130]
	v_fma_f64 v[133:134], -v[129:130], v[131:132], 1.0
	v_fma_f64 v[131:132], v[131:132], v[133:134], v[131:132]
	v_fma_f64 v[133:134], -v[129:130], v[131:132], 1.0
	v_fma_f64 v[131:132], v[131:132], v[133:134], v[131:132]
	v_mul_f64 v[133:134], v[135:136], v[131:132]
	v_fma_f64 v[129:130], -v[129:130], v[133:134], v[135:136]
	v_div_fmas_f64 v[129:130], v[129:130], v[131:132], v[133:134]
	v_div_fixup_f64 v[129:130], v[129:130], v[114:115], v[116:117]
	v_fma_f64 v[114:115], v[116:117], v[129:130], v[114:115]
	v_div_scale_f64 v[116:117], null, v[114:115], v[114:115], 1.0
	v_rcp_f64_e32 v[131:132], v[116:117]
	v_fma_f64 v[133:134], -v[116:117], v[131:132], 1.0
	v_fma_f64 v[131:132], v[131:132], v[133:134], v[131:132]
	v_fma_f64 v[133:134], -v[116:117], v[131:132], 1.0
	v_fma_f64 v[131:132], v[131:132], v[133:134], v[131:132]
	v_div_scale_f64 v[133:134], vcc_lo, 1.0, v[114:115], 1.0
	v_mul_f64 v[135:136], v[133:134], v[131:132]
	v_fma_f64 v[116:117], -v[116:117], v[135:136], v[133:134]
	v_div_fmas_f64 v[116:117], v[116:117], v[131:132], v[135:136]
	v_div_fixup_f64 v[114:115], v[116:117], v[114:115], 1.0
	v_mul_f64 v[116:117], v[129:130], -v[114:115]
.LBB54_408:
	s_or_b32 exec_lo, exec_lo, s1
.LBB54_409:
	s_or_b32 exec_lo, exec_lo, s0
	s_mov_b32 s0, exec_lo
	v_cmpx_ne_u32_e64 v128, v122
	s_xor_b32 s0, exec_lo, s0
	s_cbranch_execz .LBB54_415
; %bb.410:
	s_mov_b32 s1, exec_lo
	v_cmpx_eq_u32_e32 19, v128
	s_cbranch_execz .LBB54_414
; %bb.411:
	v_cmp_ne_u32_e32 vcc_lo, 19, v122
	s_xor_b32 s2, s16, -1
	s_and_b32 s3, s2, vcc_lo
	s_and_saveexec_b32 s2, s3
	s_cbranch_execz .LBB54_413
; %bb.412:
	v_ashrrev_i32_e32 v123, 31, v122
	v_lshlrev_b64 v[128:129], 2, v[122:123]
	v_add_co_u32 v128, vcc_lo, v120, v128
	v_add_co_ci_u32_e64 v129, null, v121, v129, vcc_lo
	s_clause 0x1
	global_load_dword v0, v[128:129], off
	global_load_dword v123, v[120:121], off offset:76
	s_waitcnt vmcnt(1)
	global_store_dword v[120:121], v0, off offset:76
	s_waitcnt vmcnt(0)
	global_store_dword v[128:129], v123, off
.LBB54_413:
	s_or_b32 exec_lo, exec_lo, s2
	v_mov_b32_e32 v128, v122
	v_mov_b32_e32 v0, v122
.LBB54_414:
	s_or_b32 exec_lo, exec_lo, s1
.LBB54_415:
	s_andn2_saveexec_b32 s0, s0
	s_cbranch_execz .LBB54_417
; %bb.416:
	v_mov_b32_e32 v128, 19
	ds_write2_b64 v1, v[30:31], v[32:33] offset0:40 offset1:41
	ds_write2_b64 v1, v[26:27], v[28:29] offset0:42 offset1:43
	;; [unrolled: 1-line block ×8, first 2 shown]
.LBB54_417:
	s_or_b32 exec_lo, exec_lo, s0
	s_mov_b32 s0, exec_lo
	s_waitcnt lgkmcnt(0)
	s_waitcnt_vscnt null, 0x0
	s_barrier
	buffer_gl0_inv
	v_cmpx_lt_i32_e32 19, v128
	s_cbranch_execz .LBB54_419
; %bb.418:
	v_mul_f64 v[122:123], v[114:115], v[36:37]
	v_mul_f64 v[36:37], v[116:117], v[36:37]
	v_fma_f64 v[122:123], v[116:117], v[34:35], v[122:123]
	v_fma_f64 v[34:35], v[114:115], v[34:35], -v[36:37]
	ds_read2_b64 v[114:117], v1 offset0:40 offset1:41
	s_waitcnt lgkmcnt(0)
	v_mul_f64 v[36:37], v[116:117], v[122:123]
	v_fma_f64 v[36:37], v[114:115], v[34:35], -v[36:37]
	v_mul_f64 v[114:115], v[114:115], v[122:123]
	v_add_f64 v[30:31], v[30:31], -v[36:37]
	v_fma_f64 v[114:115], v[116:117], v[34:35], v[114:115]
	v_add_f64 v[32:33], v[32:33], -v[114:115]
	ds_read2_b64 v[114:117], v1 offset0:42 offset1:43
	s_waitcnt lgkmcnt(0)
	v_mul_f64 v[36:37], v[116:117], v[122:123]
	v_fma_f64 v[36:37], v[114:115], v[34:35], -v[36:37]
	v_mul_f64 v[114:115], v[114:115], v[122:123]
	v_add_f64 v[26:27], v[26:27], -v[36:37]
	v_fma_f64 v[114:115], v[116:117], v[34:35], v[114:115]
	v_add_f64 v[28:29], v[28:29], -v[114:115]
	;; [unrolled: 8-line block ×7, first 2 shown]
	ds_read2_b64 v[114:117], v1 offset0:54 offset1:55
	s_waitcnt lgkmcnt(0)
	v_mul_f64 v[36:37], v[116:117], v[122:123]
	v_fma_f64 v[36:37], v[114:115], v[34:35], -v[36:37]
	v_mul_f64 v[114:115], v[114:115], v[122:123]
	v_add_f64 v[2:3], v[2:3], -v[36:37]
	v_fma_f64 v[114:115], v[116:117], v[34:35], v[114:115]
	v_mov_b32_e32 v36, v122
	v_mov_b32_e32 v37, v123
	v_add_f64 v[4:5], v[4:5], -v[114:115]
.LBB54_419:
	s_or_b32 exec_lo, exec_lo, s0
	v_lshl_add_u32 v114, v128, 4, v1
	s_barrier
	buffer_gl0_inv
	v_mov_b32_e32 v122, 20
	ds_write2_b64 v114, v[30:31], v[32:33] offset1:1
	s_waitcnt lgkmcnt(0)
	s_barrier
	buffer_gl0_inv
	ds_read2_b64 v[114:117], v1 offset0:40 offset1:41
	s_cmp_lt_i32 s18, 22
	s_cbranch_scc1 .LBB54_422
; %bb.420:
	v_add3_u32 v123, v124, 0, 0x150
	v_mov_b32_e32 v122, 20
	s_mov_b32 s1, 21
	s_inst_prefetch 0x1
	.p2align	6
.LBB54_421:                             ; =>This Inner Loop Header: Depth=1
	s_waitcnt lgkmcnt(0)
	v_cmp_gt_f64_e32 vcc_lo, 0, v[116:117]
	v_cmp_gt_f64_e64 s0, 0, v[114:115]
	ds_read2_b64 v[129:132], v123 offset1:1
	v_xor_b32_e32 v134, 0x80000000, v115
	v_xor_b32_e32 v136, 0x80000000, v117
	v_mov_b32_e32 v133, v114
	v_mov_b32_e32 v135, v116
	v_add_nc_u32_e32 v123, 16, v123
	s_waitcnt lgkmcnt(0)
	v_xor_b32_e32 v138, 0x80000000, v132
	v_cndmask_b32_e64 v134, v115, v134, s0
	v_cndmask_b32_e32 v136, v117, v136, vcc_lo
	v_cmp_gt_f64_e32 vcc_lo, 0, v[131:132]
	v_cmp_gt_f64_e64 s0, 0, v[129:130]
	v_mov_b32_e32 v137, v131
	v_add_f64 v[133:134], v[133:134], v[135:136]
	v_xor_b32_e32 v136, 0x80000000, v130
	v_mov_b32_e32 v135, v129
	v_cndmask_b32_e32 v138, v132, v138, vcc_lo
	v_cndmask_b32_e64 v136, v130, v136, s0
	v_add_f64 v[135:136], v[135:136], v[137:138]
	v_cmp_lt_f64_e32 vcc_lo, v[133:134], v[135:136]
	v_cndmask_b32_e32 v115, v115, v130, vcc_lo
	v_cndmask_b32_e32 v114, v114, v129, vcc_lo
	;; [unrolled: 1-line block ×4, first 2 shown]
	v_cndmask_b32_e64 v122, v122, s1, vcc_lo
	s_add_i32 s1, s1, 1
	s_cmp_lg_u32 s18, s1
	s_cbranch_scc1 .LBB54_421
.LBB54_422:
	s_inst_prefetch 0x2
	s_waitcnt lgkmcnt(0)
	v_cmp_eq_f64_e32 vcc_lo, 0, v[114:115]
	v_cmp_eq_f64_e64 s0, 0, v[116:117]
	s_and_b32 s0, vcc_lo, s0
	s_and_saveexec_b32 s1, s0
	s_xor_b32 s0, exec_lo, s1
; %bb.423:
	v_cmp_ne_u32_e32 vcc_lo, 0, v127
	v_cndmask_b32_e32 v127, 21, v127, vcc_lo
; %bb.424:
	s_andn2_saveexec_b32 s0, s0
	s_cbranch_execz .LBB54_430
; %bb.425:
	v_cmp_ngt_f64_e64 s1, |v[114:115]|, |v[116:117]|
	s_and_saveexec_b32 s2, s1
	s_xor_b32 s1, exec_lo, s2
	s_cbranch_execz .LBB54_427
; %bb.426:
	v_div_scale_f64 v[129:130], null, v[116:117], v[116:117], v[114:115]
	v_div_scale_f64 v[135:136], vcc_lo, v[114:115], v[116:117], v[114:115]
	v_rcp_f64_e32 v[131:132], v[129:130]
	v_fma_f64 v[133:134], -v[129:130], v[131:132], 1.0
	v_fma_f64 v[131:132], v[131:132], v[133:134], v[131:132]
	v_fma_f64 v[133:134], -v[129:130], v[131:132], 1.0
	v_fma_f64 v[131:132], v[131:132], v[133:134], v[131:132]
	v_mul_f64 v[133:134], v[135:136], v[131:132]
	v_fma_f64 v[129:130], -v[129:130], v[133:134], v[135:136]
	v_div_fmas_f64 v[129:130], v[129:130], v[131:132], v[133:134]
	v_div_fixup_f64 v[129:130], v[129:130], v[116:117], v[114:115]
	v_fma_f64 v[114:115], v[114:115], v[129:130], v[116:117]
	v_div_scale_f64 v[116:117], null, v[114:115], v[114:115], 1.0
	v_rcp_f64_e32 v[131:132], v[116:117]
	v_fma_f64 v[133:134], -v[116:117], v[131:132], 1.0
	v_fma_f64 v[131:132], v[131:132], v[133:134], v[131:132]
	v_fma_f64 v[133:134], -v[116:117], v[131:132], 1.0
	v_fma_f64 v[131:132], v[131:132], v[133:134], v[131:132]
	v_div_scale_f64 v[133:134], vcc_lo, 1.0, v[114:115], 1.0
	v_mul_f64 v[135:136], v[133:134], v[131:132]
	v_fma_f64 v[116:117], -v[116:117], v[135:136], v[133:134]
	v_div_fmas_f64 v[116:117], v[116:117], v[131:132], v[135:136]
	v_div_fixup_f64 v[116:117], v[116:117], v[114:115], 1.0
	v_mul_f64 v[114:115], v[129:130], v[116:117]
	v_xor_b32_e32 v117, 0x80000000, v117
.LBB54_427:
	s_andn2_saveexec_b32 s1, s1
	s_cbranch_execz .LBB54_429
; %bb.428:
	v_div_scale_f64 v[129:130], null, v[114:115], v[114:115], v[116:117]
	v_div_scale_f64 v[135:136], vcc_lo, v[116:117], v[114:115], v[116:117]
	v_rcp_f64_e32 v[131:132], v[129:130]
	v_fma_f64 v[133:134], -v[129:130], v[131:132], 1.0
	v_fma_f64 v[131:132], v[131:132], v[133:134], v[131:132]
	v_fma_f64 v[133:134], -v[129:130], v[131:132], 1.0
	v_fma_f64 v[131:132], v[131:132], v[133:134], v[131:132]
	v_mul_f64 v[133:134], v[135:136], v[131:132]
	v_fma_f64 v[129:130], -v[129:130], v[133:134], v[135:136]
	v_div_fmas_f64 v[129:130], v[129:130], v[131:132], v[133:134]
	v_div_fixup_f64 v[129:130], v[129:130], v[114:115], v[116:117]
	v_fma_f64 v[114:115], v[116:117], v[129:130], v[114:115]
	v_div_scale_f64 v[116:117], null, v[114:115], v[114:115], 1.0
	v_rcp_f64_e32 v[131:132], v[116:117]
	v_fma_f64 v[133:134], -v[116:117], v[131:132], 1.0
	v_fma_f64 v[131:132], v[131:132], v[133:134], v[131:132]
	v_fma_f64 v[133:134], -v[116:117], v[131:132], 1.0
	v_fma_f64 v[131:132], v[131:132], v[133:134], v[131:132]
	v_div_scale_f64 v[133:134], vcc_lo, 1.0, v[114:115], 1.0
	v_mul_f64 v[135:136], v[133:134], v[131:132]
	v_fma_f64 v[116:117], -v[116:117], v[135:136], v[133:134]
	v_div_fmas_f64 v[116:117], v[116:117], v[131:132], v[135:136]
	v_div_fixup_f64 v[114:115], v[116:117], v[114:115], 1.0
	v_mul_f64 v[116:117], v[129:130], -v[114:115]
.LBB54_429:
	s_or_b32 exec_lo, exec_lo, s1
.LBB54_430:
	s_or_b32 exec_lo, exec_lo, s0
	s_mov_b32 s0, exec_lo
	v_cmpx_ne_u32_e64 v128, v122
	s_xor_b32 s0, exec_lo, s0
	s_cbranch_execz .LBB54_436
; %bb.431:
	s_mov_b32 s1, exec_lo
	v_cmpx_eq_u32_e32 20, v128
	s_cbranch_execz .LBB54_435
; %bb.432:
	v_cmp_ne_u32_e32 vcc_lo, 20, v122
	s_xor_b32 s2, s16, -1
	s_and_b32 s3, s2, vcc_lo
	s_and_saveexec_b32 s2, s3
	s_cbranch_execz .LBB54_434
; %bb.433:
	v_ashrrev_i32_e32 v123, 31, v122
	v_lshlrev_b64 v[128:129], 2, v[122:123]
	v_add_co_u32 v128, vcc_lo, v120, v128
	v_add_co_ci_u32_e64 v129, null, v121, v129, vcc_lo
	s_clause 0x1
	global_load_dword v0, v[128:129], off
	global_load_dword v123, v[120:121], off offset:80
	s_waitcnt vmcnt(1)
	global_store_dword v[120:121], v0, off offset:80
	s_waitcnt vmcnt(0)
	global_store_dword v[128:129], v123, off
.LBB54_434:
	s_or_b32 exec_lo, exec_lo, s2
	v_mov_b32_e32 v128, v122
	v_mov_b32_e32 v0, v122
.LBB54_435:
	s_or_b32 exec_lo, exec_lo, s1
.LBB54_436:
	s_andn2_saveexec_b32 s0, s0
	s_cbranch_execz .LBB54_438
; %bb.437:
	v_mov_b32_e32 v128, 20
	ds_write2_b64 v1, v[26:27], v[28:29] offset0:42 offset1:43
	ds_write2_b64 v1, v[22:23], v[24:25] offset0:44 offset1:45
	;; [unrolled: 1-line block ×7, first 2 shown]
.LBB54_438:
	s_or_b32 exec_lo, exec_lo, s0
	s_mov_b32 s0, exec_lo
	s_waitcnt lgkmcnt(0)
	s_waitcnt_vscnt null, 0x0
	s_barrier
	buffer_gl0_inv
	v_cmpx_lt_i32_e32 20, v128
	s_cbranch_execz .LBB54_440
; %bb.439:
	v_mul_f64 v[122:123], v[114:115], v[32:33]
	v_mul_f64 v[32:33], v[116:117], v[32:33]
	v_fma_f64 v[122:123], v[116:117], v[30:31], v[122:123]
	v_fma_f64 v[30:31], v[114:115], v[30:31], -v[32:33]
	ds_read2_b64 v[114:117], v1 offset0:42 offset1:43
	s_waitcnt lgkmcnt(0)
	v_mul_f64 v[32:33], v[116:117], v[122:123]
	v_fma_f64 v[32:33], v[114:115], v[30:31], -v[32:33]
	v_mul_f64 v[114:115], v[114:115], v[122:123]
	v_add_f64 v[26:27], v[26:27], -v[32:33]
	v_fma_f64 v[114:115], v[116:117], v[30:31], v[114:115]
	v_add_f64 v[28:29], v[28:29], -v[114:115]
	ds_read2_b64 v[114:117], v1 offset0:44 offset1:45
	s_waitcnt lgkmcnt(0)
	v_mul_f64 v[32:33], v[116:117], v[122:123]
	v_fma_f64 v[32:33], v[114:115], v[30:31], -v[32:33]
	v_mul_f64 v[114:115], v[114:115], v[122:123]
	v_add_f64 v[22:23], v[22:23], -v[32:33]
	v_fma_f64 v[114:115], v[116:117], v[30:31], v[114:115]
	v_add_f64 v[24:25], v[24:25], -v[114:115]
	;; [unrolled: 8-line block ×6, first 2 shown]
	ds_read2_b64 v[114:117], v1 offset0:54 offset1:55
	s_waitcnt lgkmcnt(0)
	v_mul_f64 v[32:33], v[116:117], v[122:123]
	v_fma_f64 v[32:33], v[114:115], v[30:31], -v[32:33]
	v_mul_f64 v[114:115], v[114:115], v[122:123]
	v_add_f64 v[2:3], v[2:3], -v[32:33]
	v_fma_f64 v[114:115], v[116:117], v[30:31], v[114:115]
	v_mov_b32_e32 v32, v122
	v_mov_b32_e32 v33, v123
	v_add_f64 v[4:5], v[4:5], -v[114:115]
.LBB54_440:
	s_or_b32 exec_lo, exec_lo, s0
	v_lshl_add_u32 v114, v128, 4, v1
	s_barrier
	buffer_gl0_inv
	v_mov_b32_e32 v122, 21
	ds_write2_b64 v114, v[26:27], v[28:29] offset1:1
	s_waitcnt lgkmcnt(0)
	s_barrier
	buffer_gl0_inv
	ds_read2_b64 v[114:117], v1 offset0:42 offset1:43
	s_cmp_lt_i32 s18, 23
	s_cbranch_scc1 .LBB54_443
; %bb.441:
	v_add3_u32 v123, v124, 0, 0x160
	v_mov_b32_e32 v122, 21
	s_mov_b32 s1, 22
	s_inst_prefetch 0x1
	.p2align	6
.LBB54_442:                             ; =>This Inner Loop Header: Depth=1
	s_waitcnt lgkmcnt(0)
	v_cmp_gt_f64_e32 vcc_lo, 0, v[116:117]
	v_cmp_gt_f64_e64 s0, 0, v[114:115]
	ds_read2_b64 v[129:132], v123 offset1:1
	v_xor_b32_e32 v134, 0x80000000, v115
	v_xor_b32_e32 v136, 0x80000000, v117
	v_mov_b32_e32 v133, v114
	v_mov_b32_e32 v135, v116
	v_add_nc_u32_e32 v123, 16, v123
	s_waitcnt lgkmcnt(0)
	v_xor_b32_e32 v138, 0x80000000, v132
	v_cndmask_b32_e64 v134, v115, v134, s0
	v_cndmask_b32_e32 v136, v117, v136, vcc_lo
	v_cmp_gt_f64_e32 vcc_lo, 0, v[131:132]
	v_cmp_gt_f64_e64 s0, 0, v[129:130]
	v_mov_b32_e32 v137, v131
	v_add_f64 v[133:134], v[133:134], v[135:136]
	v_xor_b32_e32 v136, 0x80000000, v130
	v_mov_b32_e32 v135, v129
	v_cndmask_b32_e32 v138, v132, v138, vcc_lo
	v_cndmask_b32_e64 v136, v130, v136, s0
	v_add_f64 v[135:136], v[135:136], v[137:138]
	v_cmp_lt_f64_e32 vcc_lo, v[133:134], v[135:136]
	v_cndmask_b32_e32 v115, v115, v130, vcc_lo
	v_cndmask_b32_e32 v114, v114, v129, vcc_lo
	;; [unrolled: 1-line block ×4, first 2 shown]
	v_cndmask_b32_e64 v122, v122, s1, vcc_lo
	s_add_i32 s1, s1, 1
	s_cmp_lg_u32 s18, s1
	s_cbranch_scc1 .LBB54_442
.LBB54_443:
	s_inst_prefetch 0x2
	s_waitcnt lgkmcnt(0)
	v_cmp_eq_f64_e32 vcc_lo, 0, v[114:115]
	v_cmp_eq_f64_e64 s0, 0, v[116:117]
	s_and_b32 s0, vcc_lo, s0
	s_and_saveexec_b32 s1, s0
	s_xor_b32 s0, exec_lo, s1
; %bb.444:
	v_cmp_ne_u32_e32 vcc_lo, 0, v127
	v_cndmask_b32_e32 v127, 22, v127, vcc_lo
; %bb.445:
	s_andn2_saveexec_b32 s0, s0
	s_cbranch_execz .LBB54_451
; %bb.446:
	v_cmp_ngt_f64_e64 s1, |v[114:115]|, |v[116:117]|
	s_and_saveexec_b32 s2, s1
	s_xor_b32 s1, exec_lo, s2
	s_cbranch_execz .LBB54_448
; %bb.447:
	v_div_scale_f64 v[129:130], null, v[116:117], v[116:117], v[114:115]
	v_div_scale_f64 v[135:136], vcc_lo, v[114:115], v[116:117], v[114:115]
	v_rcp_f64_e32 v[131:132], v[129:130]
	v_fma_f64 v[133:134], -v[129:130], v[131:132], 1.0
	v_fma_f64 v[131:132], v[131:132], v[133:134], v[131:132]
	v_fma_f64 v[133:134], -v[129:130], v[131:132], 1.0
	v_fma_f64 v[131:132], v[131:132], v[133:134], v[131:132]
	v_mul_f64 v[133:134], v[135:136], v[131:132]
	v_fma_f64 v[129:130], -v[129:130], v[133:134], v[135:136]
	v_div_fmas_f64 v[129:130], v[129:130], v[131:132], v[133:134]
	v_div_fixup_f64 v[129:130], v[129:130], v[116:117], v[114:115]
	v_fma_f64 v[114:115], v[114:115], v[129:130], v[116:117]
	v_div_scale_f64 v[116:117], null, v[114:115], v[114:115], 1.0
	v_rcp_f64_e32 v[131:132], v[116:117]
	v_fma_f64 v[133:134], -v[116:117], v[131:132], 1.0
	v_fma_f64 v[131:132], v[131:132], v[133:134], v[131:132]
	v_fma_f64 v[133:134], -v[116:117], v[131:132], 1.0
	v_fma_f64 v[131:132], v[131:132], v[133:134], v[131:132]
	v_div_scale_f64 v[133:134], vcc_lo, 1.0, v[114:115], 1.0
	v_mul_f64 v[135:136], v[133:134], v[131:132]
	v_fma_f64 v[116:117], -v[116:117], v[135:136], v[133:134]
	v_div_fmas_f64 v[116:117], v[116:117], v[131:132], v[135:136]
	v_div_fixup_f64 v[116:117], v[116:117], v[114:115], 1.0
	v_mul_f64 v[114:115], v[129:130], v[116:117]
	v_xor_b32_e32 v117, 0x80000000, v117
.LBB54_448:
	s_andn2_saveexec_b32 s1, s1
	s_cbranch_execz .LBB54_450
; %bb.449:
	v_div_scale_f64 v[129:130], null, v[114:115], v[114:115], v[116:117]
	v_div_scale_f64 v[135:136], vcc_lo, v[116:117], v[114:115], v[116:117]
	v_rcp_f64_e32 v[131:132], v[129:130]
	v_fma_f64 v[133:134], -v[129:130], v[131:132], 1.0
	v_fma_f64 v[131:132], v[131:132], v[133:134], v[131:132]
	v_fma_f64 v[133:134], -v[129:130], v[131:132], 1.0
	v_fma_f64 v[131:132], v[131:132], v[133:134], v[131:132]
	v_mul_f64 v[133:134], v[135:136], v[131:132]
	v_fma_f64 v[129:130], -v[129:130], v[133:134], v[135:136]
	v_div_fmas_f64 v[129:130], v[129:130], v[131:132], v[133:134]
	v_div_fixup_f64 v[129:130], v[129:130], v[114:115], v[116:117]
	v_fma_f64 v[114:115], v[116:117], v[129:130], v[114:115]
	v_div_scale_f64 v[116:117], null, v[114:115], v[114:115], 1.0
	v_rcp_f64_e32 v[131:132], v[116:117]
	v_fma_f64 v[133:134], -v[116:117], v[131:132], 1.0
	v_fma_f64 v[131:132], v[131:132], v[133:134], v[131:132]
	v_fma_f64 v[133:134], -v[116:117], v[131:132], 1.0
	v_fma_f64 v[131:132], v[131:132], v[133:134], v[131:132]
	v_div_scale_f64 v[133:134], vcc_lo, 1.0, v[114:115], 1.0
	v_mul_f64 v[135:136], v[133:134], v[131:132]
	v_fma_f64 v[116:117], -v[116:117], v[135:136], v[133:134]
	v_div_fmas_f64 v[116:117], v[116:117], v[131:132], v[135:136]
	v_div_fixup_f64 v[114:115], v[116:117], v[114:115], 1.0
	v_mul_f64 v[116:117], v[129:130], -v[114:115]
.LBB54_450:
	s_or_b32 exec_lo, exec_lo, s1
.LBB54_451:
	s_or_b32 exec_lo, exec_lo, s0
	s_mov_b32 s0, exec_lo
	v_cmpx_ne_u32_e64 v128, v122
	s_xor_b32 s0, exec_lo, s0
	s_cbranch_execz .LBB54_457
; %bb.452:
	s_mov_b32 s1, exec_lo
	v_cmpx_eq_u32_e32 21, v128
	s_cbranch_execz .LBB54_456
; %bb.453:
	v_cmp_ne_u32_e32 vcc_lo, 21, v122
	s_xor_b32 s2, s16, -1
	s_and_b32 s3, s2, vcc_lo
	s_and_saveexec_b32 s2, s3
	s_cbranch_execz .LBB54_455
; %bb.454:
	v_ashrrev_i32_e32 v123, 31, v122
	v_lshlrev_b64 v[128:129], 2, v[122:123]
	v_add_co_u32 v128, vcc_lo, v120, v128
	v_add_co_ci_u32_e64 v129, null, v121, v129, vcc_lo
	s_clause 0x1
	global_load_dword v0, v[128:129], off
	global_load_dword v123, v[120:121], off offset:84
	s_waitcnt vmcnt(1)
	global_store_dword v[120:121], v0, off offset:84
	s_waitcnt vmcnt(0)
	global_store_dword v[128:129], v123, off
.LBB54_455:
	s_or_b32 exec_lo, exec_lo, s2
	v_mov_b32_e32 v128, v122
	v_mov_b32_e32 v0, v122
.LBB54_456:
	s_or_b32 exec_lo, exec_lo, s1
.LBB54_457:
	s_andn2_saveexec_b32 s0, s0
	s_cbranch_execz .LBB54_459
; %bb.458:
	v_mov_b32_e32 v128, 21
	ds_write2_b64 v1, v[22:23], v[24:25] offset0:44 offset1:45
	ds_write2_b64 v1, v[18:19], v[20:21] offset0:46 offset1:47
	;; [unrolled: 1-line block ×6, first 2 shown]
.LBB54_459:
	s_or_b32 exec_lo, exec_lo, s0
	s_mov_b32 s0, exec_lo
	s_waitcnt lgkmcnt(0)
	s_waitcnt_vscnt null, 0x0
	s_barrier
	buffer_gl0_inv
	v_cmpx_lt_i32_e32 21, v128
	s_cbranch_execz .LBB54_461
; %bb.460:
	v_mul_f64 v[122:123], v[114:115], v[28:29]
	v_mul_f64 v[28:29], v[116:117], v[28:29]
	v_fma_f64 v[122:123], v[116:117], v[26:27], v[122:123]
	v_fma_f64 v[26:27], v[114:115], v[26:27], -v[28:29]
	ds_read2_b64 v[114:117], v1 offset0:44 offset1:45
	s_waitcnt lgkmcnt(0)
	v_mul_f64 v[28:29], v[116:117], v[122:123]
	v_fma_f64 v[28:29], v[114:115], v[26:27], -v[28:29]
	v_mul_f64 v[114:115], v[114:115], v[122:123]
	v_add_f64 v[22:23], v[22:23], -v[28:29]
	v_fma_f64 v[114:115], v[116:117], v[26:27], v[114:115]
	v_add_f64 v[24:25], v[24:25], -v[114:115]
	ds_read2_b64 v[114:117], v1 offset0:46 offset1:47
	s_waitcnt lgkmcnt(0)
	v_mul_f64 v[28:29], v[116:117], v[122:123]
	v_fma_f64 v[28:29], v[114:115], v[26:27], -v[28:29]
	v_mul_f64 v[114:115], v[114:115], v[122:123]
	v_add_f64 v[18:19], v[18:19], -v[28:29]
	v_fma_f64 v[114:115], v[116:117], v[26:27], v[114:115]
	v_add_f64 v[20:21], v[20:21], -v[114:115]
	;; [unrolled: 8-line block ×5, first 2 shown]
	ds_read2_b64 v[114:117], v1 offset0:54 offset1:55
	s_waitcnt lgkmcnt(0)
	v_mul_f64 v[28:29], v[116:117], v[122:123]
	v_fma_f64 v[28:29], v[114:115], v[26:27], -v[28:29]
	v_mul_f64 v[114:115], v[114:115], v[122:123]
	v_add_f64 v[2:3], v[2:3], -v[28:29]
	v_fma_f64 v[114:115], v[116:117], v[26:27], v[114:115]
	v_mov_b32_e32 v28, v122
	v_mov_b32_e32 v29, v123
	v_add_f64 v[4:5], v[4:5], -v[114:115]
.LBB54_461:
	s_or_b32 exec_lo, exec_lo, s0
	v_lshl_add_u32 v114, v128, 4, v1
	s_barrier
	buffer_gl0_inv
	v_mov_b32_e32 v122, 22
	ds_write2_b64 v114, v[22:23], v[24:25] offset1:1
	s_waitcnt lgkmcnt(0)
	s_barrier
	buffer_gl0_inv
	ds_read2_b64 v[114:117], v1 offset0:44 offset1:45
	s_cmp_lt_i32 s18, 24
	s_cbranch_scc1 .LBB54_464
; %bb.462:
	v_add3_u32 v123, v124, 0, 0x170
	v_mov_b32_e32 v122, 22
	s_mov_b32 s1, 23
	s_inst_prefetch 0x1
	.p2align	6
.LBB54_463:                             ; =>This Inner Loop Header: Depth=1
	s_waitcnt lgkmcnt(0)
	v_cmp_gt_f64_e32 vcc_lo, 0, v[116:117]
	v_cmp_gt_f64_e64 s0, 0, v[114:115]
	ds_read2_b64 v[129:132], v123 offset1:1
	v_xor_b32_e32 v134, 0x80000000, v115
	v_xor_b32_e32 v136, 0x80000000, v117
	v_mov_b32_e32 v133, v114
	v_mov_b32_e32 v135, v116
	v_add_nc_u32_e32 v123, 16, v123
	s_waitcnt lgkmcnt(0)
	v_xor_b32_e32 v138, 0x80000000, v132
	v_cndmask_b32_e64 v134, v115, v134, s0
	v_cndmask_b32_e32 v136, v117, v136, vcc_lo
	v_cmp_gt_f64_e32 vcc_lo, 0, v[131:132]
	v_cmp_gt_f64_e64 s0, 0, v[129:130]
	v_mov_b32_e32 v137, v131
	v_add_f64 v[133:134], v[133:134], v[135:136]
	v_xor_b32_e32 v136, 0x80000000, v130
	v_mov_b32_e32 v135, v129
	v_cndmask_b32_e32 v138, v132, v138, vcc_lo
	v_cndmask_b32_e64 v136, v130, v136, s0
	v_add_f64 v[135:136], v[135:136], v[137:138]
	v_cmp_lt_f64_e32 vcc_lo, v[133:134], v[135:136]
	v_cndmask_b32_e32 v115, v115, v130, vcc_lo
	v_cndmask_b32_e32 v114, v114, v129, vcc_lo
	;; [unrolled: 1-line block ×4, first 2 shown]
	v_cndmask_b32_e64 v122, v122, s1, vcc_lo
	s_add_i32 s1, s1, 1
	s_cmp_lg_u32 s18, s1
	s_cbranch_scc1 .LBB54_463
.LBB54_464:
	s_inst_prefetch 0x2
	s_waitcnt lgkmcnt(0)
	v_cmp_eq_f64_e32 vcc_lo, 0, v[114:115]
	v_cmp_eq_f64_e64 s0, 0, v[116:117]
	s_and_b32 s0, vcc_lo, s0
	s_and_saveexec_b32 s1, s0
	s_xor_b32 s0, exec_lo, s1
; %bb.465:
	v_cmp_ne_u32_e32 vcc_lo, 0, v127
	v_cndmask_b32_e32 v127, 23, v127, vcc_lo
; %bb.466:
	s_andn2_saveexec_b32 s0, s0
	s_cbranch_execz .LBB54_472
; %bb.467:
	v_cmp_ngt_f64_e64 s1, |v[114:115]|, |v[116:117]|
	s_and_saveexec_b32 s2, s1
	s_xor_b32 s1, exec_lo, s2
	s_cbranch_execz .LBB54_469
; %bb.468:
	v_div_scale_f64 v[129:130], null, v[116:117], v[116:117], v[114:115]
	v_div_scale_f64 v[135:136], vcc_lo, v[114:115], v[116:117], v[114:115]
	v_rcp_f64_e32 v[131:132], v[129:130]
	v_fma_f64 v[133:134], -v[129:130], v[131:132], 1.0
	v_fma_f64 v[131:132], v[131:132], v[133:134], v[131:132]
	v_fma_f64 v[133:134], -v[129:130], v[131:132], 1.0
	v_fma_f64 v[131:132], v[131:132], v[133:134], v[131:132]
	v_mul_f64 v[133:134], v[135:136], v[131:132]
	v_fma_f64 v[129:130], -v[129:130], v[133:134], v[135:136]
	v_div_fmas_f64 v[129:130], v[129:130], v[131:132], v[133:134]
	v_div_fixup_f64 v[129:130], v[129:130], v[116:117], v[114:115]
	v_fma_f64 v[114:115], v[114:115], v[129:130], v[116:117]
	v_div_scale_f64 v[116:117], null, v[114:115], v[114:115], 1.0
	v_rcp_f64_e32 v[131:132], v[116:117]
	v_fma_f64 v[133:134], -v[116:117], v[131:132], 1.0
	v_fma_f64 v[131:132], v[131:132], v[133:134], v[131:132]
	v_fma_f64 v[133:134], -v[116:117], v[131:132], 1.0
	v_fma_f64 v[131:132], v[131:132], v[133:134], v[131:132]
	v_div_scale_f64 v[133:134], vcc_lo, 1.0, v[114:115], 1.0
	v_mul_f64 v[135:136], v[133:134], v[131:132]
	v_fma_f64 v[116:117], -v[116:117], v[135:136], v[133:134]
	v_div_fmas_f64 v[116:117], v[116:117], v[131:132], v[135:136]
	v_div_fixup_f64 v[116:117], v[116:117], v[114:115], 1.0
	v_mul_f64 v[114:115], v[129:130], v[116:117]
	v_xor_b32_e32 v117, 0x80000000, v117
.LBB54_469:
	s_andn2_saveexec_b32 s1, s1
	s_cbranch_execz .LBB54_471
; %bb.470:
	v_div_scale_f64 v[129:130], null, v[114:115], v[114:115], v[116:117]
	v_div_scale_f64 v[135:136], vcc_lo, v[116:117], v[114:115], v[116:117]
	v_rcp_f64_e32 v[131:132], v[129:130]
	v_fma_f64 v[133:134], -v[129:130], v[131:132], 1.0
	v_fma_f64 v[131:132], v[131:132], v[133:134], v[131:132]
	v_fma_f64 v[133:134], -v[129:130], v[131:132], 1.0
	v_fma_f64 v[131:132], v[131:132], v[133:134], v[131:132]
	v_mul_f64 v[133:134], v[135:136], v[131:132]
	v_fma_f64 v[129:130], -v[129:130], v[133:134], v[135:136]
	v_div_fmas_f64 v[129:130], v[129:130], v[131:132], v[133:134]
	v_div_fixup_f64 v[129:130], v[129:130], v[114:115], v[116:117]
	v_fma_f64 v[114:115], v[116:117], v[129:130], v[114:115]
	v_div_scale_f64 v[116:117], null, v[114:115], v[114:115], 1.0
	v_rcp_f64_e32 v[131:132], v[116:117]
	v_fma_f64 v[133:134], -v[116:117], v[131:132], 1.0
	v_fma_f64 v[131:132], v[131:132], v[133:134], v[131:132]
	v_fma_f64 v[133:134], -v[116:117], v[131:132], 1.0
	v_fma_f64 v[131:132], v[131:132], v[133:134], v[131:132]
	v_div_scale_f64 v[133:134], vcc_lo, 1.0, v[114:115], 1.0
	v_mul_f64 v[135:136], v[133:134], v[131:132]
	v_fma_f64 v[116:117], -v[116:117], v[135:136], v[133:134]
	v_div_fmas_f64 v[116:117], v[116:117], v[131:132], v[135:136]
	v_div_fixup_f64 v[114:115], v[116:117], v[114:115], 1.0
	v_mul_f64 v[116:117], v[129:130], -v[114:115]
.LBB54_471:
	s_or_b32 exec_lo, exec_lo, s1
.LBB54_472:
	s_or_b32 exec_lo, exec_lo, s0
	s_mov_b32 s0, exec_lo
	v_cmpx_ne_u32_e64 v128, v122
	s_xor_b32 s0, exec_lo, s0
	s_cbranch_execz .LBB54_478
; %bb.473:
	s_mov_b32 s1, exec_lo
	v_cmpx_eq_u32_e32 22, v128
	s_cbranch_execz .LBB54_477
; %bb.474:
	v_cmp_ne_u32_e32 vcc_lo, 22, v122
	s_xor_b32 s2, s16, -1
	s_and_b32 s3, s2, vcc_lo
	s_and_saveexec_b32 s2, s3
	s_cbranch_execz .LBB54_476
; %bb.475:
	v_ashrrev_i32_e32 v123, 31, v122
	v_lshlrev_b64 v[128:129], 2, v[122:123]
	v_add_co_u32 v128, vcc_lo, v120, v128
	v_add_co_ci_u32_e64 v129, null, v121, v129, vcc_lo
	s_clause 0x1
	global_load_dword v0, v[128:129], off
	global_load_dword v123, v[120:121], off offset:88
	s_waitcnt vmcnt(1)
	global_store_dword v[120:121], v0, off offset:88
	s_waitcnt vmcnt(0)
	global_store_dword v[128:129], v123, off
.LBB54_476:
	s_or_b32 exec_lo, exec_lo, s2
	v_mov_b32_e32 v128, v122
	v_mov_b32_e32 v0, v122
.LBB54_477:
	s_or_b32 exec_lo, exec_lo, s1
.LBB54_478:
	s_andn2_saveexec_b32 s0, s0
	s_cbranch_execz .LBB54_480
; %bb.479:
	v_mov_b32_e32 v128, 22
	ds_write2_b64 v1, v[18:19], v[20:21] offset0:46 offset1:47
	ds_write2_b64 v1, v[14:15], v[16:17] offset0:48 offset1:49
	;; [unrolled: 1-line block ×5, first 2 shown]
.LBB54_480:
	s_or_b32 exec_lo, exec_lo, s0
	s_mov_b32 s0, exec_lo
	s_waitcnt lgkmcnt(0)
	s_waitcnt_vscnt null, 0x0
	s_barrier
	buffer_gl0_inv
	v_cmpx_lt_i32_e32 22, v128
	s_cbranch_execz .LBB54_482
; %bb.481:
	v_mul_f64 v[122:123], v[114:115], v[24:25]
	v_mul_f64 v[24:25], v[116:117], v[24:25]
	v_fma_f64 v[122:123], v[116:117], v[22:23], v[122:123]
	v_fma_f64 v[22:23], v[114:115], v[22:23], -v[24:25]
	ds_read2_b64 v[114:117], v1 offset0:46 offset1:47
	s_waitcnt lgkmcnt(0)
	v_mul_f64 v[24:25], v[116:117], v[122:123]
	v_fma_f64 v[24:25], v[114:115], v[22:23], -v[24:25]
	v_mul_f64 v[114:115], v[114:115], v[122:123]
	v_add_f64 v[18:19], v[18:19], -v[24:25]
	v_fma_f64 v[114:115], v[116:117], v[22:23], v[114:115]
	v_add_f64 v[20:21], v[20:21], -v[114:115]
	ds_read2_b64 v[114:117], v1 offset0:48 offset1:49
	s_waitcnt lgkmcnt(0)
	v_mul_f64 v[24:25], v[116:117], v[122:123]
	v_fma_f64 v[24:25], v[114:115], v[22:23], -v[24:25]
	v_mul_f64 v[114:115], v[114:115], v[122:123]
	v_add_f64 v[14:15], v[14:15], -v[24:25]
	v_fma_f64 v[114:115], v[116:117], v[22:23], v[114:115]
	v_add_f64 v[16:17], v[16:17], -v[114:115]
	;; [unrolled: 8-line block ×4, first 2 shown]
	ds_read2_b64 v[114:117], v1 offset0:54 offset1:55
	s_waitcnt lgkmcnt(0)
	v_mul_f64 v[24:25], v[116:117], v[122:123]
	v_fma_f64 v[24:25], v[114:115], v[22:23], -v[24:25]
	v_mul_f64 v[114:115], v[114:115], v[122:123]
	v_add_f64 v[2:3], v[2:3], -v[24:25]
	v_fma_f64 v[114:115], v[116:117], v[22:23], v[114:115]
	v_mov_b32_e32 v24, v122
	v_mov_b32_e32 v25, v123
	v_add_f64 v[4:5], v[4:5], -v[114:115]
.LBB54_482:
	s_or_b32 exec_lo, exec_lo, s0
	v_lshl_add_u32 v114, v128, 4, v1
	s_barrier
	buffer_gl0_inv
	v_mov_b32_e32 v122, 23
	ds_write2_b64 v114, v[18:19], v[20:21] offset1:1
	s_waitcnt lgkmcnt(0)
	s_barrier
	buffer_gl0_inv
	ds_read2_b64 v[114:117], v1 offset0:46 offset1:47
	s_cmp_lt_i32 s18, 25
	s_cbranch_scc1 .LBB54_485
; %bb.483:
	v_add3_u32 v123, v124, 0, 0x180
	v_mov_b32_e32 v122, 23
	s_mov_b32 s1, 24
	s_inst_prefetch 0x1
	.p2align	6
.LBB54_484:                             ; =>This Inner Loop Header: Depth=1
	s_waitcnt lgkmcnt(0)
	v_cmp_gt_f64_e32 vcc_lo, 0, v[116:117]
	v_cmp_gt_f64_e64 s0, 0, v[114:115]
	ds_read2_b64 v[129:132], v123 offset1:1
	v_xor_b32_e32 v134, 0x80000000, v115
	v_xor_b32_e32 v136, 0x80000000, v117
	v_mov_b32_e32 v133, v114
	v_mov_b32_e32 v135, v116
	v_add_nc_u32_e32 v123, 16, v123
	s_waitcnt lgkmcnt(0)
	v_xor_b32_e32 v138, 0x80000000, v132
	v_cndmask_b32_e64 v134, v115, v134, s0
	v_cndmask_b32_e32 v136, v117, v136, vcc_lo
	v_cmp_gt_f64_e32 vcc_lo, 0, v[131:132]
	v_cmp_gt_f64_e64 s0, 0, v[129:130]
	v_mov_b32_e32 v137, v131
	v_add_f64 v[133:134], v[133:134], v[135:136]
	v_xor_b32_e32 v136, 0x80000000, v130
	v_mov_b32_e32 v135, v129
	v_cndmask_b32_e32 v138, v132, v138, vcc_lo
	v_cndmask_b32_e64 v136, v130, v136, s0
	v_add_f64 v[135:136], v[135:136], v[137:138]
	v_cmp_lt_f64_e32 vcc_lo, v[133:134], v[135:136]
	v_cndmask_b32_e32 v115, v115, v130, vcc_lo
	v_cndmask_b32_e32 v114, v114, v129, vcc_lo
	v_cndmask_b32_e32 v117, v117, v132, vcc_lo
	v_cndmask_b32_e32 v116, v116, v131, vcc_lo
	v_cndmask_b32_e64 v122, v122, s1, vcc_lo
	s_add_i32 s1, s1, 1
	s_cmp_lg_u32 s18, s1
	s_cbranch_scc1 .LBB54_484
.LBB54_485:
	s_inst_prefetch 0x2
	s_waitcnt lgkmcnt(0)
	v_cmp_eq_f64_e32 vcc_lo, 0, v[114:115]
	v_cmp_eq_f64_e64 s0, 0, v[116:117]
	s_and_b32 s0, vcc_lo, s0
	s_and_saveexec_b32 s1, s0
	s_xor_b32 s0, exec_lo, s1
; %bb.486:
	v_cmp_ne_u32_e32 vcc_lo, 0, v127
	v_cndmask_b32_e32 v127, 24, v127, vcc_lo
; %bb.487:
	s_andn2_saveexec_b32 s0, s0
	s_cbranch_execz .LBB54_493
; %bb.488:
	v_cmp_ngt_f64_e64 s1, |v[114:115]|, |v[116:117]|
	s_and_saveexec_b32 s2, s1
	s_xor_b32 s1, exec_lo, s2
	s_cbranch_execz .LBB54_490
; %bb.489:
	v_div_scale_f64 v[129:130], null, v[116:117], v[116:117], v[114:115]
	v_div_scale_f64 v[135:136], vcc_lo, v[114:115], v[116:117], v[114:115]
	v_rcp_f64_e32 v[131:132], v[129:130]
	v_fma_f64 v[133:134], -v[129:130], v[131:132], 1.0
	v_fma_f64 v[131:132], v[131:132], v[133:134], v[131:132]
	v_fma_f64 v[133:134], -v[129:130], v[131:132], 1.0
	v_fma_f64 v[131:132], v[131:132], v[133:134], v[131:132]
	v_mul_f64 v[133:134], v[135:136], v[131:132]
	v_fma_f64 v[129:130], -v[129:130], v[133:134], v[135:136]
	v_div_fmas_f64 v[129:130], v[129:130], v[131:132], v[133:134]
	v_div_fixup_f64 v[129:130], v[129:130], v[116:117], v[114:115]
	v_fma_f64 v[114:115], v[114:115], v[129:130], v[116:117]
	v_div_scale_f64 v[116:117], null, v[114:115], v[114:115], 1.0
	v_rcp_f64_e32 v[131:132], v[116:117]
	v_fma_f64 v[133:134], -v[116:117], v[131:132], 1.0
	v_fma_f64 v[131:132], v[131:132], v[133:134], v[131:132]
	v_fma_f64 v[133:134], -v[116:117], v[131:132], 1.0
	v_fma_f64 v[131:132], v[131:132], v[133:134], v[131:132]
	v_div_scale_f64 v[133:134], vcc_lo, 1.0, v[114:115], 1.0
	v_mul_f64 v[135:136], v[133:134], v[131:132]
	v_fma_f64 v[116:117], -v[116:117], v[135:136], v[133:134]
	v_div_fmas_f64 v[116:117], v[116:117], v[131:132], v[135:136]
	v_div_fixup_f64 v[116:117], v[116:117], v[114:115], 1.0
	v_mul_f64 v[114:115], v[129:130], v[116:117]
	v_xor_b32_e32 v117, 0x80000000, v117
.LBB54_490:
	s_andn2_saveexec_b32 s1, s1
	s_cbranch_execz .LBB54_492
; %bb.491:
	v_div_scale_f64 v[129:130], null, v[114:115], v[114:115], v[116:117]
	v_div_scale_f64 v[135:136], vcc_lo, v[116:117], v[114:115], v[116:117]
	v_rcp_f64_e32 v[131:132], v[129:130]
	v_fma_f64 v[133:134], -v[129:130], v[131:132], 1.0
	v_fma_f64 v[131:132], v[131:132], v[133:134], v[131:132]
	v_fma_f64 v[133:134], -v[129:130], v[131:132], 1.0
	v_fma_f64 v[131:132], v[131:132], v[133:134], v[131:132]
	v_mul_f64 v[133:134], v[135:136], v[131:132]
	v_fma_f64 v[129:130], -v[129:130], v[133:134], v[135:136]
	v_div_fmas_f64 v[129:130], v[129:130], v[131:132], v[133:134]
	v_div_fixup_f64 v[129:130], v[129:130], v[114:115], v[116:117]
	v_fma_f64 v[114:115], v[116:117], v[129:130], v[114:115]
	v_div_scale_f64 v[116:117], null, v[114:115], v[114:115], 1.0
	v_rcp_f64_e32 v[131:132], v[116:117]
	v_fma_f64 v[133:134], -v[116:117], v[131:132], 1.0
	v_fma_f64 v[131:132], v[131:132], v[133:134], v[131:132]
	v_fma_f64 v[133:134], -v[116:117], v[131:132], 1.0
	v_fma_f64 v[131:132], v[131:132], v[133:134], v[131:132]
	v_div_scale_f64 v[133:134], vcc_lo, 1.0, v[114:115], 1.0
	v_mul_f64 v[135:136], v[133:134], v[131:132]
	v_fma_f64 v[116:117], -v[116:117], v[135:136], v[133:134]
	v_div_fmas_f64 v[116:117], v[116:117], v[131:132], v[135:136]
	v_div_fixup_f64 v[114:115], v[116:117], v[114:115], 1.0
	v_mul_f64 v[116:117], v[129:130], -v[114:115]
.LBB54_492:
	s_or_b32 exec_lo, exec_lo, s1
.LBB54_493:
	s_or_b32 exec_lo, exec_lo, s0
	s_mov_b32 s0, exec_lo
	v_cmpx_ne_u32_e64 v128, v122
	s_xor_b32 s0, exec_lo, s0
	s_cbranch_execz .LBB54_499
; %bb.494:
	s_mov_b32 s1, exec_lo
	v_cmpx_eq_u32_e32 23, v128
	s_cbranch_execz .LBB54_498
; %bb.495:
	v_cmp_ne_u32_e32 vcc_lo, 23, v122
	s_xor_b32 s2, s16, -1
	s_and_b32 s3, s2, vcc_lo
	s_and_saveexec_b32 s2, s3
	s_cbranch_execz .LBB54_497
; %bb.496:
	v_ashrrev_i32_e32 v123, 31, v122
	v_lshlrev_b64 v[128:129], 2, v[122:123]
	v_add_co_u32 v128, vcc_lo, v120, v128
	v_add_co_ci_u32_e64 v129, null, v121, v129, vcc_lo
	s_clause 0x1
	global_load_dword v0, v[128:129], off
	global_load_dword v123, v[120:121], off offset:92
	s_waitcnt vmcnt(1)
	global_store_dword v[120:121], v0, off offset:92
	s_waitcnt vmcnt(0)
	global_store_dword v[128:129], v123, off
.LBB54_497:
	s_or_b32 exec_lo, exec_lo, s2
	v_mov_b32_e32 v128, v122
	v_mov_b32_e32 v0, v122
.LBB54_498:
	s_or_b32 exec_lo, exec_lo, s1
.LBB54_499:
	s_andn2_saveexec_b32 s0, s0
	s_cbranch_execz .LBB54_501
; %bb.500:
	v_mov_b32_e32 v128, 23
	ds_write2_b64 v1, v[14:15], v[16:17] offset0:48 offset1:49
	ds_write2_b64 v1, v[10:11], v[12:13] offset0:50 offset1:51
	;; [unrolled: 1-line block ×4, first 2 shown]
.LBB54_501:
	s_or_b32 exec_lo, exec_lo, s0
	s_mov_b32 s0, exec_lo
	s_waitcnt lgkmcnt(0)
	s_waitcnt_vscnt null, 0x0
	s_barrier
	buffer_gl0_inv
	v_cmpx_lt_i32_e32 23, v128
	s_cbranch_execz .LBB54_503
; %bb.502:
	v_mul_f64 v[122:123], v[114:115], v[20:21]
	v_mul_f64 v[20:21], v[116:117], v[20:21]
	v_fma_f64 v[122:123], v[116:117], v[18:19], v[122:123]
	v_fma_f64 v[18:19], v[114:115], v[18:19], -v[20:21]
	ds_read2_b64 v[114:117], v1 offset0:48 offset1:49
	s_waitcnt lgkmcnt(0)
	v_mul_f64 v[20:21], v[116:117], v[122:123]
	v_fma_f64 v[20:21], v[114:115], v[18:19], -v[20:21]
	v_mul_f64 v[114:115], v[114:115], v[122:123]
	v_add_f64 v[14:15], v[14:15], -v[20:21]
	v_fma_f64 v[114:115], v[116:117], v[18:19], v[114:115]
	v_add_f64 v[16:17], v[16:17], -v[114:115]
	ds_read2_b64 v[114:117], v1 offset0:50 offset1:51
	s_waitcnt lgkmcnt(0)
	v_mul_f64 v[20:21], v[116:117], v[122:123]
	v_fma_f64 v[20:21], v[114:115], v[18:19], -v[20:21]
	v_mul_f64 v[114:115], v[114:115], v[122:123]
	v_add_f64 v[10:11], v[10:11], -v[20:21]
	v_fma_f64 v[114:115], v[116:117], v[18:19], v[114:115]
	v_add_f64 v[12:13], v[12:13], -v[114:115]
	;; [unrolled: 8-line block ×3, first 2 shown]
	ds_read2_b64 v[114:117], v1 offset0:54 offset1:55
	s_waitcnt lgkmcnt(0)
	v_mul_f64 v[20:21], v[116:117], v[122:123]
	v_fma_f64 v[20:21], v[114:115], v[18:19], -v[20:21]
	v_mul_f64 v[114:115], v[114:115], v[122:123]
	v_add_f64 v[2:3], v[2:3], -v[20:21]
	v_fma_f64 v[114:115], v[116:117], v[18:19], v[114:115]
	v_mov_b32_e32 v20, v122
	v_mov_b32_e32 v21, v123
	v_add_f64 v[4:5], v[4:5], -v[114:115]
.LBB54_503:
	s_or_b32 exec_lo, exec_lo, s0
	v_lshl_add_u32 v114, v128, 4, v1
	s_barrier
	buffer_gl0_inv
	v_mov_b32_e32 v122, 24
	ds_write2_b64 v114, v[14:15], v[16:17] offset1:1
	s_waitcnt lgkmcnt(0)
	s_barrier
	buffer_gl0_inv
	ds_read2_b64 v[114:117], v1 offset0:48 offset1:49
	s_cmp_lt_i32 s18, 26
	s_cbranch_scc1 .LBB54_506
; %bb.504:
	v_add3_u32 v123, v124, 0, 0x190
	v_mov_b32_e32 v122, 24
	s_mov_b32 s1, 25
	s_inst_prefetch 0x1
	.p2align	6
.LBB54_505:                             ; =>This Inner Loop Header: Depth=1
	s_waitcnt lgkmcnt(0)
	v_cmp_gt_f64_e32 vcc_lo, 0, v[116:117]
	v_cmp_gt_f64_e64 s0, 0, v[114:115]
	ds_read2_b64 v[129:132], v123 offset1:1
	v_xor_b32_e32 v134, 0x80000000, v115
	v_xor_b32_e32 v136, 0x80000000, v117
	v_mov_b32_e32 v133, v114
	v_mov_b32_e32 v135, v116
	v_add_nc_u32_e32 v123, 16, v123
	s_waitcnt lgkmcnt(0)
	v_xor_b32_e32 v138, 0x80000000, v132
	v_cndmask_b32_e64 v134, v115, v134, s0
	v_cndmask_b32_e32 v136, v117, v136, vcc_lo
	v_cmp_gt_f64_e32 vcc_lo, 0, v[131:132]
	v_cmp_gt_f64_e64 s0, 0, v[129:130]
	v_mov_b32_e32 v137, v131
	v_add_f64 v[133:134], v[133:134], v[135:136]
	v_xor_b32_e32 v136, 0x80000000, v130
	v_mov_b32_e32 v135, v129
	v_cndmask_b32_e32 v138, v132, v138, vcc_lo
	v_cndmask_b32_e64 v136, v130, v136, s0
	v_add_f64 v[135:136], v[135:136], v[137:138]
	v_cmp_lt_f64_e32 vcc_lo, v[133:134], v[135:136]
	v_cndmask_b32_e32 v115, v115, v130, vcc_lo
	v_cndmask_b32_e32 v114, v114, v129, vcc_lo
	v_cndmask_b32_e32 v117, v117, v132, vcc_lo
	v_cndmask_b32_e32 v116, v116, v131, vcc_lo
	v_cndmask_b32_e64 v122, v122, s1, vcc_lo
	s_add_i32 s1, s1, 1
	s_cmp_lg_u32 s18, s1
	s_cbranch_scc1 .LBB54_505
.LBB54_506:
	s_inst_prefetch 0x2
	s_waitcnt lgkmcnt(0)
	v_cmp_eq_f64_e32 vcc_lo, 0, v[114:115]
	v_cmp_eq_f64_e64 s0, 0, v[116:117]
	s_and_b32 s0, vcc_lo, s0
	s_and_saveexec_b32 s1, s0
	s_xor_b32 s0, exec_lo, s1
; %bb.507:
	v_cmp_ne_u32_e32 vcc_lo, 0, v127
	v_cndmask_b32_e32 v127, 25, v127, vcc_lo
; %bb.508:
	s_andn2_saveexec_b32 s0, s0
	s_cbranch_execz .LBB54_514
; %bb.509:
	v_cmp_ngt_f64_e64 s1, |v[114:115]|, |v[116:117]|
	s_and_saveexec_b32 s2, s1
	s_xor_b32 s1, exec_lo, s2
	s_cbranch_execz .LBB54_511
; %bb.510:
	v_div_scale_f64 v[129:130], null, v[116:117], v[116:117], v[114:115]
	v_div_scale_f64 v[135:136], vcc_lo, v[114:115], v[116:117], v[114:115]
	v_rcp_f64_e32 v[131:132], v[129:130]
	v_fma_f64 v[133:134], -v[129:130], v[131:132], 1.0
	v_fma_f64 v[131:132], v[131:132], v[133:134], v[131:132]
	v_fma_f64 v[133:134], -v[129:130], v[131:132], 1.0
	v_fma_f64 v[131:132], v[131:132], v[133:134], v[131:132]
	v_mul_f64 v[133:134], v[135:136], v[131:132]
	v_fma_f64 v[129:130], -v[129:130], v[133:134], v[135:136]
	v_div_fmas_f64 v[129:130], v[129:130], v[131:132], v[133:134]
	v_div_fixup_f64 v[129:130], v[129:130], v[116:117], v[114:115]
	v_fma_f64 v[114:115], v[114:115], v[129:130], v[116:117]
	v_div_scale_f64 v[116:117], null, v[114:115], v[114:115], 1.0
	v_rcp_f64_e32 v[131:132], v[116:117]
	v_fma_f64 v[133:134], -v[116:117], v[131:132], 1.0
	v_fma_f64 v[131:132], v[131:132], v[133:134], v[131:132]
	v_fma_f64 v[133:134], -v[116:117], v[131:132], 1.0
	v_fma_f64 v[131:132], v[131:132], v[133:134], v[131:132]
	v_div_scale_f64 v[133:134], vcc_lo, 1.0, v[114:115], 1.0
	v_mul_f64 v[135:136], v[133:134], v[131:132]
	v_fma_f64 v[116:117], -v[116:117], v[135:136], v[133:134]
	v_div_fmas_f64 v[116:117], v[116:117], v[131:132], v[135:136]
	v_div_fixup_f64 v[116:117], v[116:117], v[114:115], 1.0
	v_mul_f64 v[114:115], v[129:130], v[116:117]
	v_xor_b32_e32 v117, 0x80000000, v117
.LBB54_511:
	s_andn2_saveexec_b32 s1, s1
	s_cbranch_execz .LBB54_513
; %bb.512:
	v_div_scale_f64 v[129:130], null, v[114:115], v[114:115], v[116:117]
	v_div_scale_f64 v[135:136], vcc_lo, v[116:117], v[114:115], v[116:117]
	v_rcp_f64_e32 v[131:132], v[129:130]
	v_fma_f64 v[133:134], -v[129:130], v[131:132], 1.0
	v_fma_f64 v[131:132], v[131:132], v[133:134], v[131:132]
	v_fma_f64 v[133:134], -v[129:130], v[131:132], 1.0
	v_fma_f64 v[131:132], v[131:132], v[133:134], v[131:132]
	v_mul_f64 v[133:134], v[135:136], v[131:132]
	v_fma_f64 v[129:130], -v[129:130], v[133:134], v[135:136]
	v_div_fmas_f64 v[129:130], v[129:130], v[131:132], v[133:134]
	v_div_fixup_f64 v[129:130], v[129:130], v[114:115], v[116:117]
	v_fma_f64 v[114:115], v[116:117], v[129:130], v[114:115]
	v_div_scale_f64 v[116:117], null, v[114:115], v[114:115], 1.0
	v_rcp_f64_e32 v[131:132], v[116:117]
	v_fma_f64 v[133:134], -v[116:117], v[131:132], 1.0
	v_fma_f64 v[131:132], v[131:132], v[133:134], v[131:132]
	v_fma_f64 v[133:134], -v[116:117], v[131:132], 1.0
	v_fma_f64 v[131:132], v[131:132], v[133:134], v[131:132]
	v_div_scale_f64 v[133:134], vcc_lo, 1.0, v[114:115], 1.0
	v_mul_f64 v[135:136], v[133:134], v[131:132]
	v_fma_f64 v[116:117], -v[116:117], v[135:136], v[133:134]
	v_div_fmas_f64 v[116:117], v[116:117], v[131:132], v[135:136]
	v_div_fixup_f64 v[114:115], v[116:117], v[114:115], 1.0
	v_mul_f64 v[116:117], v[129:130], -v[114:115]
.LBB54_513:
	s_or_b32 exec_lo, exec_lo, s1
.LBB54_514:
	s_or_b32 exec_lo, exec_lo, s0
	s_mov_b32 s0, exec_lo
	v_cmpx_ne_u32_e64 v128, v122
	s_xor_b32 s0, exec_lo, s0
	s_cbranch_execz .LBB54_520
; %bb.515:
	s_mov_b32 s1, exec_lo
	v_cmpx_eq_u32_e32 24, v128
	s_cbranch_execz .LBB54_519
; %bb.516:
	v_cmp_ne_u32_e32 vcc_lo, 24, v122
	s_xor_b32 s2, s16, -1
	s_and_b32 s3, s2, vcc_lo
	s_and_saveexec_b32 s2, s3
	s_cbranch_execz .LBB54_518
; %bb.517:
	v_ashrrev_i32_e32 v123, 31, v122
	v_lshlrev_b64 v[128:129], 2, v[122:123]
	v_add_co_u32 v128, vcc_lo, v120, v128
	v_add_co_ci_u32_e64 v129, null, v121, v129, vcc_lo
	s_clause 0x1
	global_load_dword v0, v[128:129], off
	global_load_dword v123, v[120:121], off offset:96
	s_waitcnt vmcnt(1)
	global_store_dword v[120:121], v0, off offset:96
	s_waitcnt vmcnt(0)
	global_store_dword v[128:129], v123, off
.LBB54_518:
	s_or_b32 exec_lo, exec_lo, s2
	v_mov_b32_e32 v128, v122
	v_mov_b32_e32 v0, v122
.LBB54_519:
	s_or_b32 exec_lo, exec_lo, s1
.LBB54_520:
	s_andn2_saveexec_b32 s0, s0
	s_cbranch_execz .LBB54_522
; %bb.521:
	v_mov_b32_e32 v128, 24
	ds_write2_b64 v1, v[10:11], v[12:13] offset0:50 offset1:51
	ds_write2_b64 v1, v[6:7], v[8:9] offset0:52 offset1:53
	;; [unrolled: 1-line block ×3, first 2 shown]
.LBB54_522:
	s_or_b32 exec_lo, exec_lo, s0
	s_mov_b32 s0, exec_lo
	s_waitcnt lgkmcnt(0)
	s_waitcnt_vscnt null, 0x0
	s_barrier
	buffer_gl0_inv
	v_cmpx_lt_i32_e32 24, v128
	s_cbranch_execz .LBB54_524
; %bb.523:
	v_mul_f64 v[122:123], v[114:115], v[16:17]
	v_mul_f64 v[16:17], v[116:117], v[16:17]
	v_fma_f64 v[122:123], v[116:117], v[14:15], v[122:123]
	v_fma_f64 v[14:15], v[114:115], v[14:15], -v[16:17]
	ds_read2_b64 v[114:117], v1 offset0:50 offset1:51
	s_waitcnt lgkmcnt(0)
	v_mul_f64 v[16:17], v[116:117], v[122:123]
	v_fma_f64 v[16:17], v[114:115], v[14:15], -v[16:17]
	v_mul_f64 v[114:115], v[114:115], v[122:123]
	v_add_f64 v[10:11], v[10:11], -v[16:17]
	v_fma_f64 v[114:115], v[116:117], v[14:15], v[114:115]
	v_add_f64 v[12:13], v[12:13], -v[114:115]
	ds_read2_b64 v[114:117], v1 offset0:52 offset1:53
	s_waitcnt lgkmcnt(0)
	v_mul_f64 v[16:17], v[116:117], v[122:123]
	v_fma_f64 v[16:17], v[114:115], v[14:15], -v[16:17]
	v_mul_f64 v[114:115], v[114:115], v[122:123]
	v_add_f64 v[6:7], v[6:7], -v[16:17]
	v_fma_f64 v[114:115], v[116:117], v[14:15], v[114:115]
	v_add_f64 v[8:9], v[8:9], -v[114:115]
	ds_read2_b64 v[114:117], v1 offset0:54 offset1:55
	s_waitcnt lgkmcnt(0)
	v_mul_f64 v[16:17], v[116:117], v[122:123]
	v_fma_f64 v[16:17], v[114:115], v[14:15], -v[16:17]
	v_mul_f64 v[114:115], v[114:115], v[122:123]
	v_add_f64 v[2:3], v[2:3], -v[16:17]
	v_fma_f64 v[114:115], v[116:117], v[14:15], v[114:115]
	v_mov_b32_e32 v16, v122
	v_mov_b32_e32 v17, v123
	v_add_f64 v[4:5], v[4:5], -v[114:115]
.LBB54_524:
	s_or_b32 exec_lo, exec_lo, s0
	v_lshl_add_u32 v114, v128, 4, v1
	s_barrier
	buffer_gl0_inv
	v_mov_b32_e32 v122, 25
	ds_write2_b64 v114, v[10:11], v[12:13] offset1:1
	s_waitcnt lgkmcnt(0)
	s_barrier
	buffer_gl0_inv
	ds_read2_b64 v[114:117], v1 offset0:50 offset1:51
	s_cmp_lt_i32 s18, 27
	s_cbranch_scc1 .LBB54_527
; %bb.525:
	v_add3_u32 v123, v124, 0, 0x1a0
	v_mov_b32_e32 v122, 25
	s_mov_b32 s1, 26
	s_inst_prefetch 0x1
	.p2align	6
.LBB54_526:                             ; =>This Inner Loop Header: Depth=1
	s_waitcnt lgkmcnt(0)
	v_cmp_gt_f64_e32 vcc_lo, 0, v[116:117]
	v_cmp_gt_f64_e64 s0, 0, v[114:115]
	ds_read2_b64 v[129:132], v123 offset1:1
	v_xor_b32_e32 v134, 0x80000000, v115
	v_xor_b32_e32 v136, 0x80000000, v117
	v_mov_b32_e32 v133, v114
	v_mov_b32_e32 v135, v116
	v_add_nc_u32_e32 v123, 16, v123
	s_waitcnt lgkmcnt(0)
	v_xor_b32_e32 v138, 0x80000000, v132
	v_cndmask_b32_e64 v134, v115, v134, s0
	v_cndmask_b32_e32 v136, v117, v136, vcc_lo
	v_cmp_gt_f64_e32 vcc_lo, 0, v[131:132]
	v_cmp_gt_f64_e64 s0, 0, v[129:130]
	v_mov_b32_e32 v137, v131
	v_add_f64 v[133:134], v[133:134], v[135:136]
	v_xor_b32_e32 v136, 0x80000000, v130
	v_mov_b32_e32 v135, v129
	v_cndmask_b32_e32 v138, v132, v138, vcc_lo
	v_cndmask_b32_e64 v136, v130, v136, s0
	v_add_f64 v[135:136], v[135:136], v[137:138]
	v_cmp_lt_f64_e32 vcc_lo, v[133:134], v[135:136]
	v_cndmask_b32_e32 v115, v115, v130, vcc_lo
	v_cndmask_b32_e32 v114, v114, v129, vcc_lo
	;; [unrolled: 1-line block ×4, first 2 shown]
	v_cndmask_b32_e64 v122, v122, s1, vcc_lo
	s_add_i32 s1, s1, 1
	s_cmp_lg_u32 s18, s1
	s_cbranch_scc1 .LBB54_526
.LBB54_527:
	s_inst_prefetch 0x2
	s_waitcnt lgkmcnt(0)
	v_cmp_eq_f64_e32 vcc_lo, 0, v[114:115]
	v_cmp_eq_f64_e64 s0, 0, v[116:117]
	s_and_b32 s0, vcc_lo, s0
	s_and_saveexec_b32 s1, s0
	s_xor_b32 s0, exec_lo, s1
; %bb.528:
	v_cmp_ne_u32_e32 vcc_lo, 0, v127
	v_cndmask_b32_e32 v127, 26, v127, vcc_lo
; %bb.529:
	s_andn2_saveexec_b32 s0, s0
	s_cbranch_execz .LBB54_535
; %bb.530:
	v_cmp_ngt_f64_e64 s1, |v[114:115]|, |v[116:117]|
	s_and_saveexec_b32 s2, s1
	s_xor_b32 s1, exec_lo, s2
	s_cbranch_execz .LBB54_532
; %bb.531:
	v_div_scale_f64 v[129:130], null, v[116:117], v[116:117], v[114:115]
	v_div_scale_f64 v[135:136], vcc_lo, v[114:115], v[116:117], v[114:115]
	v_rcp_f64_e32 v[131:132], v[129:130]
	v_fma_f64 v[133:134], -v[129:130], v[131:132], 1.0
	v_fma_f64 v[131:132], v[131:132], v[133:134], v[131:132]
	v_fma_f64 v[133:134], -v[129:130], v[131:132], 1.0
	v_fma_f64 v[131:132], v[131:132], v[133:134], v[131:132]
	v_mul_f64 v[133:134], v[135:136], v[131:132]
	v_fma_f64 v[129:130], -v[129:130], v[133:134], v[135:136]
	v_div_fmas_f64 v[129:130], v[129:130], v[131:132], v[133:134]
	v_div_fixup_f64 v[129:130], v[129:130], v[116:117], v[114:115]
	v_fma_f64 v[114:115], v[114:115], v[129:130], v[116:117]
	v_div_scale_f64 v[116:117], null, v[114:115], v[114:115], 1.0
	v_rcp_f64_e32 v[131:132], v[116:117]
	v_fma_f64 v[133:134], -v[116:117], v[131:132], 1.0
	v_fma_f64 v[131:132], v[131:132], v[133:134], v[131:132]
	v_fma_f64 v[133:134], -v[116:117], v[131:132], 1.0
	v_fma_f64 v[131:132], v[131:132], v[133:134], v[131:132]
	v_div_scale_f64 v[133:134], vcc_lo, 1.0, v[114:115], 1.0
	v_mul_f64 v[135:136], v[133:134], v[131:132]
	v_fma_f64 v[116:117], -v[116:117], v[135:136], v[133:134]
	v_div_fmas_f64 v[116:117], v[116:117], v[131:132], v[135:136]
	v_div_fixup_f64 v[116:117], v[116:117], v[114:115], 1.0
	v_mul_f64 v[114:115], v[129:130], v[116:117]
	v_xor_b32_e32 v117, 0x80000000, v117
.LBB54_532:
	s_andn2_saveexec_b32 s1, s1
	s_cbranch_execz .LBB54_534
; %bb.533:
	v_div_scale_f64 v[129:130], null, v[114:115], v[114:115], v[116:117]
	v_div_scale_f64 v[135:136], vcc_lo, v[116:117], v[114:115], v[116:117]
	v_rcp_f64_e32 v[131:132], v[129:130]
	v_fma_f64 v[133:134], -v[129:130], v[131:132], 1.0
	v_fma_f64 v[131:132], v[131:132], v[133:134], v[131:132]
	v_fma_f64 v[133:134], -v[129:130], v[131:132], 1.0
	v_fma_f64 v[131:132], v[131:132], v[133:134], v[131:132]
	v_mul_f64 v[133:134], v[135:136], v[131:132]
	v_fma_f64 v[129:130], -v[129:130], v[133:134], v[135:136]
	v_div_fmas_f64 v[129:130], v[129:130], v[131:132], v[133:134]
	v_div_fixup_f64 v[129:130], v[129:130], v[114:115], v[116:117]
	v_fma_f64 v[114:115], v[116:117], v[129:130], v[114:115]
	v_div_scale_f64 v[116:117], null, v[114:115], v[114:115], 1.0
	v_rcp_f64_e32 v[131:132], v[116:117]
	v_fma_f64 v[133:134], -v[116:117], v[131:132], 1.0
	v_fma_f64 v[131:132], v[131:132], v[133:134], v[131:132]
	v_fma_f64 v[133:134], -v[116:117], v[131:132], 1.0
	v_fma_f64 v[131:132], v[131:132], v[133:134], v[131:132]
	v_div_scale_f64 v[133:134], vcc_lo, 1.0, v[114:115], 1.0
	v_mul_f64 v[135:136], v[133:134], v[131:132]
	v_fma_f64 v[116:117], -v[116:117], v[135:136], v[133:134]
	v_div_fmas_f64 v[116:117], v[116:117], v[131:132], v[135:136]
	v_div_fixup_f64 v[114:115], v[116:117], v[114:115], 1.0
	v_mul_f64 v[116:117], v[129:130], -v[114:115]
.LBB54_534:
	s_or_b32 exec_lo, exec_lo, s1
.LBB54_535:
	s_or_b32 exec_lo, exec_lo, s0
	s_mov_b32 s0, exec_lo
	v_cmpx_ne_u32_e64 v128, v122
	s_xor_b32 s0, exec_lo, s0
	s_cbranch_execz .LBB54_541
; %bb.536:
	s_mov_b32 s1, exec_lo
	v_cmpx_eq_u32_e32 25, v128
	s_cbranch_execz .LBB54_540
; %bb.537:
	v_cmp_ne_u32_e32 vcc_lo, 25, v122
	s_xor_b32 s2, s16, -1
	s_and_b32 s3, s2, vcc_lo
	s_and_saveexec_b32 s2, s3
	s_cbranch_execz .LBB54_539
; %bb.538:
	v_ashrrev_i32_e32 v123, 31, v122
	v_lshlrev_b64 v[128:129], 2, v[122:123]
	v_add_co_u32 v128, vcc_lo, v120, v128
	v_add_co_ci_u32_e64 v129, null, v121, v129, vcc_lo
	s_clause 0x1
	global_load_dword v0, v[128:129], off
	global_load_dword v123, v[120:121], off offset:100
	s_waitcnt vmcnt(1)
	global_store_dword v[120:121], v0, off offset:100
	s_waitcnt vmcnt(0)
	global_store_dword v[128:129], v123, off
.LBB54_539:
	s_or_b32 exec_lo, exec_lo, s2
	v_mov_b32_e32 v128, v122
	v_mov_b32_e32 v0, v122
.LBB54_540:
	s_or_b32 exec_lo, exec_lo, s1
.LBB54_541:
	s_andn2_saveexec_b32 s0, s0
	s_cbranch_execz .LBB54_543
; %bb.542:
	v_mov_b32_e32 v128, 25
	ds_write2_b64 v1, v[6:7], v[8:9] offset0:52 offset1:53
	ds_write2_b64 v1, v[2:3], v[4:5] offset0:54 offset1:55
.LBB54_543:
	s_or_b32 exec_lo, exec_lo, s0
	s_mov_b32 s0, exec_lo
	s_waitcnt lgkmcnt(0)
	s_waitcnt_vscnt null, 0x0
	s_barrier
	buffer_gl0_inv
	v_cmpx_lt_i32_e32 25, v128
	s_cbranch_execz .LBB54_545
; %bb.544:
	v_mul_f64 v[122:123], v[114:115], v[12:13]
	v_mul_f64 v[12:13], v[116:117], v[12:13]
	ds_read2_b64 v[129:132], v1 offset0:52 offset1:53
	ds_read2_b64 v[133:136], v1 offset0:54 offset1:55
	v_fma_f64 v[116:117], v[116:117], v[10:11], v[122:123]
	v_fma_f64 v[10:11], v[114:115], v[10:11], -v[12:13]
	s_waitcnt lgkmcnt(1)
	v_mul_f64 v[12:13], v[131:132], v[116:117]
	v_mul_f64 v[114:115], v[129:130], v[116:117]
	s_waitcnt lgkmcnt(0)
	v_mul_f64 v[122:123], v[135:136], v[116:117]
	v_mul_f64 v[137:138], v[133:134], v[116:117]
	v_fma_f64 v[12:13], v[129:130], v[10:11], -v[12:13]
	v_fma_f64 v[114:115], v[131:132], v[10:11], v[114:115]
	v_fma_f64 v[122:123], v[133:134], v[10:11], -v[122:123]
	v_fma_f64 v[129:130], v[135:136], v[10:11], v[137:138]
	v_add_f64 v[6:7], v[6:7], -v[12:13]
	v_add_f64 v[8:9], v[8:9], -v[114:115]
	;; [unrolled: 1-line block ×4, first 2 shown]
	v_mov_b32_e32 v12, v116
	v_mov_b32_e32 v13, v117
.LBB54_545:
	s_or_b32 exec_lo, exec_lo, s0
	v_lshl_add_u32 v114, v128, 4, v1
	s_barrier
	buffer_gl0_inv
	v_mov_b32_e32 v122, 26
	ds_write2_b64 v114, v[6:7], v[8:9] offset1:1
	s_waitcnt lgkmcnt(0)
	s_barrier
	buffer_gl0_inv
	ds_read2_b64 v[114:117], v1 offset0:52 offset1:53
	s_cmp_lt_i32 s18, 28
	s_cbranch_scc1 .LBB54_548
; %bb.546:
	v_add3_u32 v123, v124, 0, 0x1b0
	v_mov_b32_e32 v122, 26
	s_mov_b32 s1, 27
	s_inst_prefetch 0x1
	.p2align	6
.LBB54_547:                             ; =>This Inner Loop Header: Depth=1
	s_waitcnt lgkmcnt(0)
	v_cmp_gt_f64_e32 vcc_lo, 0, v[116:117]
	v_cmp_gt_f64_e64 s0, 0, v[114:115]
	ds_read2_b64 v[129:132], v123 offset1:1
	v_xor_b32_e32 v134, 0x80000000, v115
	v_xor_b32_e32 v136, 0x80000000, v117
	v_mov_b32_e32 v133, v114
	v_mov_b32_e32 v135, v116
	v_add_nc_u32_e32 v123, 16, v123
	s_waitcnt lgkmcnt(0)
	v_xor_b32_e32 v138, 0x80000000, v132
	v_cndmask_b32_e64 v134, v115, v134, s0
	v_cndmask_b32_e32 v136, v117, v136, vcc_lo
	v_cmp_gt_f64_e32 vcc_lo, 0, v[131:132]
	v_cmp_gt_f64_e64 s0, 0, v[129:130]
	v_mov_b32_e32 v137, v131
	v_add_f64 v[133:134], v[133:134], v[135:136]
	v_xor_b32_e32 v136, 0x80000000, v130
	v_mov_b32_e32 v135, v129
	v_cndmask_b32_e32 v138, v132, v138, vcc_lo
	v_cndmask_b32_e64 v136, v130, v136, s0
	v_add_f64 v[135:136], v[135:136], v[137:138]
	v_cmp_lt_f64_e32 vcc_lo, v[133:134], v[135:136]
	v_cndmask_b32_e32 v115, v115, v130, vcc_lo
	v_cndmask_b32_e32 v114, v114, v129, vcc_lo
	;; [unrolled: 1-line block ×4, first 2 shown]
	v_cndmask_b32_e64 v122, v122, s1, vcc_lo
	s_add_i32 s1, s1, 1
	s_cmp_lg_u32 s18, s1
	s_cbranch_scc1 .LBB54_547
.LBB54_548:
	s_inst_prefetch 0x2
	s_waitcnt lgkmcnt(0)
	v_cmp_eq_f64_e32 vcc_lo, 0, v[114:115]
	v_cmp_eq_f64_e64 s0, 0, v[116:117]
	s_and_b32 s0, vcc_lo, s0
	s_and_saveexec_b32 s1, s0
	s_xor_b32 s0, exec_lo, s1
; %bb.549:
	v_cmp_ne_u32_e32 vcc_lo, 0, v127
	v_cndmask_b32_e32 v127, 27, v127, vcc_lo
; %bb.550:
	s_andn2_saveexec_b32 s0, s0
	s_cbranch_execz .LBB54_556
; %bb.551:
	v_cmp_ngt_f64_e64 s1, |v[114:115]|, |v[116:117]|
	s_and_saveexec_b32 s2, s1
	s_xor_b32 s1, exec_lo, s2
	s_cbranch_execz .LBB54_553
; %bb.552:
	v_div_scale_f64 v[129:130], null, v[116:117], v[116:117], v[114:115]
	v_div_scale_f64 v[135:136], vcc_lo, v[114:115], v[116:117], v[114:115]
	v_rcp_f64_e32 v[131:132], v[129:130]
	v_fma_f64 v[133:134], -v[129:130], v[131:132], 1.0
	v_fma_f64 v[131:132], v[131:132], v[133:134], v[131:132]
	v_fma_f64 v[133:134], -v[129:130], v[131:132], 1.0
	v_fma_f64 v[131:132], v[131:132], v[133:134], v[131:132]
	v_mul_f64 v[133:134], v[135:136], v[131:132]
	v_fma_f64 v[129:130], -v[129:130], v[133:134], v[135:136]
	v_div_fmas_f64 v[129:130], v[129:130], v[131:132], v[133:134]
	v_div_fixup_f64 v[129:130], v[129:130], v[116:117], v[114:115]
	v_fma_f64 v[114:115], v[114:115], v[129:130], v[116:117]
	v_div_scale_f64 v[116:117], null, v[114:115], v[114:115], 1.0
	v_rcp_f64_e32 v[131:132], v[116:117]
	v_fma_f64 v[133:134], -v[116:117], v[131:132], 1.0
	v_fma_f64 v[131:132], v[131:132], v[133:134], v[131:132]
	v_fma_f64 v[133:134], -v[116:117], v[131:132], 1.0
	v_fma_f64 v[131:132], v[131:132], v[133:134], v[131:132]
	v_div_scale_f64 v[133:134], vcc_lo, 1.0, v[114:115], 1.0
	v_mul_f64 v[135:136], v[133:134], v[131:132]
	v_fma_f64 v[116:117], -v[116:117], v[135:136], v[133:134]
	v_div_fmas_f64 v[116:117], v[116:117], v[131:132], v[135:136]
	v_div_fixup_f64 v[116:117], v[116:117], v[114:115], 1.0
	v_mul_f64 v[114:115], v[129:130], v[116:117]
	v_xor_b32_e32 v117, 0x80000000, v117
.LBB54_553:
	s_andn2_saveexec_b32 s1, s1
	s_cbranch_execz .LBB54_555
; %bb.554:
	v_div_scale_f64 v[129:130], null, v[114:115], v[114:115], v[116:117]
	v_div_scale_f64 v[135:136], vcc_lo, v[116:117], v[114:115], v[116:117]
	v_rcp_f64_e32 v[131:132], v[129:130]
	v_fma_f64 v[133:134], -v[129:130], v[131:132], 1.0
	v_fma_f64 v[131:132], v[131:132], v[133:134], v[131:132]
	v_fma_f64 v[133:134], -v[129:130], v[131:132], 1.0
	v_fma_f64 v[131:132], v[131:132], v[133:134], v[131:132]
	v_mul_f64 v[133:134], v[135:136], v[131:132]
	v_fma_f64 v[129:130], -v[129:130], v[133:134], v[135:136]
	v_div_fmas_f64 v[129:130], v[129:130], v[131:132], v[133:134]
	v_div_fixup_f64 v[129:130], v[129:130], v[114:115], v[116:117]
	v_fma_f64 v[114:115], v[116:117], v[129:130], v[114:115]
	v_div_scale_f64 v[116:117], null, v[114:115], v[114:115], 1.0
	v_rcp_f64_e32 v[131:132], v[116:117]
	v_fma_f64 v[133:134], -v[116:117], v[131:132], 1.0
	v_fma_f64 v[131:132], v[131:132], v[133:134], v[131:132]
	v_fma_f64 v[133:134], -v[116:117], v[131:132], 1.0
	v_fma_f64 v[131:132], v[131:132], v[133:134], v[131:132]
	v_div_scale_f64 v[133:134], vcc_lo, 1.0, v[114:115], 1.0
	v_mul_f64 v[135:136], v[133:134], v[131:132]
	v_fma_f64 v[116:117], -v[116:117], v[135:136], v[133:134]
	v_div_fmas_f64 v[116:117], v[116:117], v[131:132], v[135:136]
	v_div_fixup_f64 v[114:115], v[116:117], v[114:115], 1.0
	v_mul_f64 v[116:117], v[129:130], -v[114:115]
.LBB54_555:
	s_or_b32 exec_lo, exec_lo, s1
.LBB54_556:
	s_or_b32 exec_lo, exec_lo, s0
	s_mov_b32 s0, exec_lo
	v_cmpx_ne_u32_e64 v128, v122
	s_xor_b32 s0, exec_lo, s0
	s_cbranch_execz .LBB54_562
; %bb.557:
	s_mov_b32 s1, exec_lo
	v_cmpx_eq_u32_e32 26, v128
	s_cbranch_execz .LBB54_561
; %bb.558:
	v_cmp_ne_u32_e32 vcc_lo, 26, v122
	s_xor_b32 s2, s16, -1
	s_and_b32 s3, s2, vcc_lo
	s_and_saveexec_b32 s2, s3
	s_cbranch_execz .LBB54_560
; %bb.559:
	v_ashrrev_i32_e32 v123, 31, v122
	v_lshlrev_b64 v[128:129], 2, v[122:123]
	v_add_co_u32 v128, vcc_lo, v120, v128
	v_add_co_ci_u32_e64 v129, null, v121, v129, vcc_lo
	s_clause 0x1
	global_load_dword v0, v[128:129], off
	global_load_dword v123, v[120:121], off offset:104
	s_waitcnt vmcnt(1)
	global_store_dword v[120:121], v0, off offset:104
	s_waitcnt vmcnt(0)
	global_store_dword v[128:129], v123, off
.LBB54_560:
	s_or_b32 exec_lo, exec_lo, s2
	v_mov_b32_e32 v128, v122
	v_mov_b32_e32 v0, v122
.LBB54_561:
	s_or_b32 exec_lo, exec_lo, s1
.LBB54_562:
	s_andn2_saveexec_b32 s0, s0
; %bb.563:
	v_mov_b32_e32 v128, 26
	ds_write2_b64 v1, v[2:3], v[4:5] offset0:54 offset1:55
; %bb.564:
	s_or_b32 exec_lo, exec_lo, s0
	s_mov_b32 s0, exec_lo
	s_waitcnt lgkmcnt(0)
	s_waitcnt_vscnt null, 0x0
	s_barrier
	buffer_gl0_inv
	v_cmpx_lt_i32_e32 26, v128
	s_cbranch_execz .LBB54_566
; %bb.565:
	v_mul_f64 v[122:123], v[114:115], v[8:9]
	v_mul_f64 v[8:9], v[116:117], v[8:9]
	ds_read2_b64 v[129:132], v1 offset0:54 offset1:55
	v_fma_f64 v[116:117], v[116:117], v[6:7], v[122:123]
	v_fma_f64 v[6:7], v[114:115], v[6:7], -v[8:9]
	s_waitcnt lgkmcnt(0)
	v_mul_f64 v[8:9], v[131:132], v[116:117]
	v_mul_f64 v[114:115], v[129:130], v[116:117]
	v_fma_f64 v[8:9], v[129:130], v[6:7], -v[8:9]
	v_fma_f64 v[114:115], v[131:132], v[6:7], v[114:115]
	v_add_f64 v[2:3], v[2:3], -v[8:9]
	v_add_f64 v[4:5], v[4:5], -v[114:115]
	v_mov_b32_e32 v8, v116
	v_mov_b32_e32 v9, v117
.LBB54_566:
	s_or_b32 exec_lo, exec_lo, s0
	v_lshl_add_u32 v114, v128, 4, v1
	s_barrier
	buffer_gl0_inv
	v_mov_b32_e32 v122, 27
	ds_write2_b64 v114, v[2:3], v[4:5] offset1:1
	s_waitcnt lgkmcnt(0)
	s_barrier
	buffer_gl0_inv
	ds_read2_b64 v[114:117], v1 offset0:54 offset1:55
	s_cmp_lt_i32 s18, 29
	s_cbranch_scc1 .LBB54_569
; %bb.567:
	v_add3_u32 v1, v124, 0, 0x1c0
	v_mov_b32_e32 v122, 27
	s_mov_b32 s1, 28
	s_inst_prefetch 0x1
	.p2align	6
.LBB54_568:                             ; =>This Inner Loop Header: Depth=1
	s_waitcnt lgkmcnt(0)
	v_cmp_gt_f64_e32 vcc_lo, 0, v[116:117]
	v_cmp_gt_f64_e64 s0, 0, v[114:115]
	ds_read2_b64 v[129:132], v1 offset1:1
	v_xor_b32_e32 v124, 0x80000000, v115
	v_xor_b32_e32 v134, 0x80000000, v117
	v_mov_b32_e32 v123, v114
	v_mov_b32_e32 v133, v116
	v_add_nc_u32_e32 v1, 16, v1
	s_waitcnt lgkmcnt(0)
	v_xor_b32_e32 v136, 0x80000000, v132
	v_cndmask_b32_e64 v124, v115, v124, s0
	v_cndmask_b32_e32 v134, v117, v134, vcc_lo
	v_cmp_gt_f64_e32 vcc_lo, 0, v[131:132]
	v_cmp_gt_f64_e64 s0, 0, v[129:130]
	v_mov_b32_e32 v135, v131
	v_add_f64 v[123:124], v[123:124], v[133:134]
	v_xor_b32_e32 v134, 0x80000000, v130
	v_mov_b32_e32 v133, v129
	v_cndmask_b32_e32 v136, v132, v136, vcc_lo
	v_cndmask_b32_e64 v134, v130, v134, s0
	v_add_f64 v[133:134], v[133:134], v[135:136]
	v_cmp_lt_f64_e32 vcc_lo, v[123:124], v[133:134]
	v_cndmask_b32_e32 v115, v115, v130, vcc_lo
	v_cndmask_b32_e32 v114, v114, v129, vcc_lo
	;; [unrolled: 1-line block ×4, first 2 shown]
	v_cndmask_b32_e64 v122, v122, s1, vcc_lo
	s_add_i32 s1, s1, 1
	s_cmp_lg_u32 s18, s1
	s_cbranch_scc1 .LBB54_568
.LBB54_569:
	s_inst_prefetch 0x2
	s_waitcnt lgkmcnt(0)
	v_cmp_eq_f64_e32 vcc_lo, 0, v[114:115]
	v_cmp_eq_f64_e64 s0, 0, v[116:117]
	s_and_b32 s0, vcc_lo, s0
	s_and_saveexec_b32 s1, s0
	s_xor_b32 s0, exec_lo, s1
; %bb.570:
	v_cmp_ne_u32_e32 vcc_lo, 0, v127
	v_cndmask_b32_e32 v127, 28, v127, vcc_lo
; %bb.571:
	s_andn2_saveexec_b32 s0, s0
	s_cbranch_execz .LBB54_577
; %bb.572:
	v_cmp_ngt_f64_e64 s1, |v[114:115]|, |v[116:117]|
	s_and_saveexec_b32 s2, s1
	s_xor_b32 s1, exec_lo, s2
	s_cbranch_execz .LBB54_574
; %bb.573:
	v_div_scale_f64 v[123:124], null, v[116:117], v[116:117], v[114:115]
	v_div_scale_f64 v[133:134], vcc_lo, v[114:115], v[116:117], v[114:115]
	v_rcp_f64_e32 v[129:130], v[123:124]
	v_fma_f64 v[131:132], -v[123:124], v[129:130], 1.0
	v_fma_f64 v[129:130], v[129:130], v[131:132], v[129:130]
	v_fma_f64 v[131:132], -v[123:124], v[129:130], 1.0
	v_fma_f64 v[129:130], v[129:130], v[131:132], v[129:130]
	v_mul_f64 v[131:132], v[133:134], v[129:130]
	v_fma_f64 v[123:124], -v[123:124], v[131:132], v[133:134]
	v_div_fmas_f64 v[123:124], v[123:124], v[129:130], v[131:132]
	v_div_fixup_f64 v[123:124], v[123:124], v[116:117], v[114:115]
	v_fma_f64 v[114:115], v[114:115], v[123:124], v[116:117]
	v_div_scale_f64 v[116:117], null, v[114:115], v[114:115], 1.0
	v_rcp_f64_e32 v[129:130], v[116:117]
	v_fma_f64 v[131:132], -v[116:117], v[129:130], 1.0
	v_fma_f64 v[129:130], v[129:130], v[131:132], v[129:130]
	v_fma_f64 v[131:132], -v[116:117], v[129:130], 1.0
	v_fma_f64 v[129:130], v[129:130], v[131:132], v[129:130]
	v_div_scale_f64 v[131:132], vcc_lo, 1.0, v[114:115], 1.0
	v_mul_f64 v[133:134], v[131:132], v[129:130]
	v_fma_f64 v[116:117], -v[116:117], v[133:134], v[131:132]
	v_div_fmas_f64 v[116:117], v[116:117], v[129:130], v[133:134]
	v_div_fixup_f64 v[116:117], v[116:117], v[114:115], 1.0
	v_mul_f64 v[114:115], v[123:124], v[116:117]
	v_xor_b32_e32 v117, 0x80000000, v117
.LBB54_574:
	s_andn2_saveexec_b32 s1, s1
	s_cbranch_execz .LBB54_576
; %bb.575:
	v_div_scale_f64 v[123:124], null, v[114:115], v[114:115], v[116:117]
	v_div_scale_f64 v[133:134], vcc_lo, v[116:117], v[114:115], v[116:117]
	v_rcp_f64_e32 v[129:130], v[123:124]
	v_fma_f64 v[131:132], -v[123:124], v[129:130], 1.0
	v_fma_f64 v[129:130], v[129:130], v[131:132], v[129:130]
	v_fma_f64 v[131:132], -v[123:124], v[129:130], 1.0
	v_fma_f64 v[129:130], v[129:130], v[131:132], v[129:130]
	v_mul_f64 v[131:132], v[133:134], v[129:130]
	v_fma_f64 v[123:124], -v[123:124], v[131:132], v[133:134]
	v_div_fmas_f64 v[123:124], v[123:124], v[129:130], v[131:132]
	v_div_fixup_f64 v[123:124], v[123:124], v[114:115], v[116:117]
	v_fma_f64 v[114:115], v[116:117], v[123:124], v[114:115]
	v_div_scale_f64 v[116:117], null, v[114:115], v[114:115], 1.0
	v_rcp_f64_e32 v[129:130], v[116:117]
	v_fma_f64 v[131:132], -v[116:117], v[129:130], 1.0
	v_fma_f64 v[129:130], v[129:130], v[131:132], v[129:130]
	v_fma_f64 v[131:132], -v[116:117], v[129:130], 1.0
	v_fma_f64 v[129:130], v[129:130], v[131:132], v[129:130]
	v_div_scale_f64 v[131:132], vcc_lo, 1.0, v[114:115], 1.0
	v_mul_f64 v[133:134], v[131:132], v[129:130]
	v_fma_f64 v[116:117], -v[116:117], v[133:134], v[131:132]
	v_div_fmas_f64 v[116:117], v[116:117], v[129:130], v[133:134]
	v_div_fixup_f64 v[114:115], v[116:117], v[114:115], 1.0
	v_mul_f64 v[116:117], v[123:124], -v[114:115]
.LBB54_576:
	s_or_b32 exec_lo, exec_lo, s1
.LBB54_577:
	s_or_b32 exec_lo, exec_lo, s0
	v_mov_b32_e32 v123, 27
	s_mov_b32 s0, exec_lo
	v_cmpx_ne_u32_e64 v128, v122
	s_cbranch_execz .LBB54_583
; %bb.578:
	s_mov_b32 s1, exec_lo
	v_cmpx_eq_u32_e32 27, v128
	s_cbranch_execz .LBB54_582
; %bb.579:
	v_cmp_ne_u32_e32 vcc_lo, 27, v122
	s_xor_b32 s2, s16, -1
	s_and_b32 s3, s2, vcc_lo
	s_and_saveexec_b32 s2, s3
	s_cbranch_execz .LBB54_581
; %bb.580:
	v_ashrrev_i32_e32 v123, 31, v122
	v_lshlrev_b64 v[0:1], 2, v[122:123]
	v_add_co_u32 v0, vcc_lo, v120, v0
	v_add_co_ci_u32_e64 v1, null, v121, v1, vcc_lo
	s_clause 0x1
	global_load_dword v123, v[0:1], off
	global_load_dword v124, v[120:121], off offset:108
	s_waitcnt vmcnt(1)
	global_store_dword v[120:121], v123, off offset:108
	s_waitcnt vmcnt(0)
	global_store_dword v[0:1], v124, off
.LBB54_581:
	s_or_b32 exec_lo, exec_lo, s2
	v_mov_b32_e32 v128, v122
	v_mov_b32_e32 v0, v122
.LBB54_582:
	s_or_b32 exec_lo, exec_lo, s1
	v_mov_b32_e32 v123, v128
.LBB54_583:
	s_or_b32 exec_lo, exec_lo, s0
	s_mov_b32 s0, exec_lo
	s_waitcnt_vscnt null, 0x0
	s_barrier
	buffer_gl0_inv
	v_cmpx_lt_i32_e32 27, v123
	s_cbranch_execz .LBB54_585
; %bb.584:
	v_mul_f64 v[120:121], v[116:117], v[4:5]
	v_mul_f64 v[4:5], v[114:115], v[4:5]
	v_fma_f64 v[114:115], v[114:115], v[2:3], -v[120:121]
	v_fma_f64 v[4:5], v[116:117], v[2:3], v[4:5]
	v_mov_b32_e32 v2, v114
	v_mov_b32_e32 v3, v115
.LBB54_585:
	s_or_b32 exec_lo, exec_lo, s0
	v_ashrrev_i32_e32 v124, 31, v123
	s_mov_b32 s0, exec_lo
	s_barrier
	buffer_gl0_inv
	v_cmpx_gt_i32_e32 28, v123
	s_cbranch_execz .LBB54_587
; %bb.586:
	v_mul_lo_u32 v1, s15, v118
	v_mul_lo_u32 v116, s14, v119
	v_mad_u64_u32 v[114:115], null, s14, v118, 0
	s_lshl_b64 s[2:3], s[12:13], 2
	v_add3_u32 v0, v0, s17, 1
	v_add3_u32 v115, v115, v116, v1
	v_lshlrev_b64 v[114:115], 2, v[114:115]
	v_add_co_u32 v1, vcc_lo, s10, v114
	v_add_co_ci_u32_e64 v116, null, s11, v115, vcc_lo
	v_lshlrev_b64 v[114:115], 2, v[123:124]
	v_add_co_u32 v1, vcc_lo, v1, s2
	v_add_co_ci_u32_e64 v116, null, s3, v116, vcc_lo
	v_add_co_u32 v114, vcc_lo, v1, v114
	v_add_co_ci_u32_e64 v115, null, v116, v115, vcc_lo
	global_store_dword v[114:115], v0, off
.LBB54_587:
	s_or_b32 exec_lo, exec_lo, s0
	s_mov_b32 s1, exec_lo
	v_cmpx_eq_u32_e32 0, v123
	s_cbranch_execz .LBB54_590
; %bb.588:
	v_lshlrev_b64 v[0:1], 2, v[118:119]
	v_cmp_ne_u32_e64 s0, 0, v127
	v_add_co_u32 v0, vcc_lo, s4, v0
	v_add_co_ci_u32_e64 v1, null, s5, v1, vcc_lo
	global_load_dword v114, v[0:1], off
	s_waitcnt vmcnt(0)
	v_cmp_eq_u32_e32 vcc_lo, 0, v114
	s_and_b32 s0, vcc_lo, s0
	s_and_b32 exec_lo, exec_lo, s0
	s_cbranch_execz .LBB54_590
; %bb.589:
	v_add_nc_u32_e32 v114, s17, v127
	global_store_dword v[0:1], v114, off
.LBB54_590:
	s_or_b32 exec_lo, exec_lo, s1
	v_lshlrev_b64 v[114:115], 4, v[123:124]
	v_add3_u32 v0, s6, s6, v123
	v_add_nc_u32_e32 v116, s6, v0
	v_add_co_u32 v114, vcc_lo, v125, v114
	v_add_co_ci_u32_e64 v115, null, v126, v115, vcc_lo
	v_ashrrev_i32_e32 v1, 31, v0
	v_ashrrev_i32_e32 v117, 31, v116
	global_store_dwordx4 v[114:115], v[110:113], off
	v_add_nc_u32_e32 v112, s6, v116
	v_lshlrev_b64 v[0:1], 4, v[0:1]
	v_add_co_u32 v110, vcc_lo, v114, s8
	v_add_co_ci_u32_e64 v111, null, s9, v115, vcc_lo
	v_add_nc_u32_e32 v114, s6, v112
	v_add_co_u32 v0, vcc_lo, v125, v0
	v_ashrrev_i32_e32 v113, 31, v112
	v_add_co_ci_u32_e64 v1, null, v126, v1, vcc_lo
	v_ashrrev_i32_e32 v115, 31, v114
	v_lshlrev_b64 v[116:117], 4, v[116:117]
	global_store_dwordx4 v[110:111], v[102:105], off
	global_store_dwordx4 v[0:1], v[106:109], off
	v_lshlrev_b64 v[0:1], 4, v[112:113]
	v_add_nc_u32_e32 v106, s6, v114
	v_lshlrev_b64 v[104:105], 4, v[114:115]
	v_add_co_u32 v102, vcc_lo, v125, v116
	v_add_co_ci_u32_e64 v103, null, v126, v117, vcc_lo
	v_add_co_u32 v0, vcc_lo, v125, v0
	v_add_co_ci_u32_e64 v1, null, v126, v1, vcc_lo
	v_add_co_u32 v104, vcc_lo, v125, v104
	v_add_nc_u32_e32 v108, s6, v106
	v_add_co_ci_u32_e64 v105, null, v126, v105, vcc_lo
	v_ashrrev_i32_e32 v107, 31, v106
	global_store_dwordx4 v[102:103], v[98:101], off
	global_store_dwordx4 v[0:1], v[94:97], off
	global_store_dwordx4 v[104:105], v[90:93], off
	v_add_nc_u32_e32 v90, s6, v108
	v_ashrrev_i32_e32 v109, 31, v108
	v_lshlrev_b64 v[98:99], 4, v[106:107]
	v_add_nc_u32_e32 v94, s6, v90
	v_lshlrev_b64 v[0:1], 4, v[108:109]
	v_ashrrev_i32_e32 v91, 31, v90
	v_add_co_u32 v92, vcc_lo, v125, v98
	v_add_nc_u32_e32 v96, s6, v94
	v_add_co_ci_u32_e64 v93, null, v126, v99, vcc_lo
	v_add_co_u32 v0, vcc_lo, v125, v0
	v_ashrrev_i32_e32 v95, 31, v94
	v_add_co_ci_u32_e64 v1, null, v126, v1, vcc_lo
	v_ashrrev_i32_e32 v97, 31, v96
	v_lshlrev_b64 v[90:91], 4, v[90:91]
	global_store_dwordx4 v[92:93], v[86:89], off
	global_store_dwordx4 v[0:1], v[82:85], off
	v_lshlrev_b64 v[0:1], 4, v[94:95]
	v_add_nc_u32_e32 v86, s6, v96
	v_lshlrev_b64 v[84:85], 4, v[96:97]
	v_add_co_u32 v82, vcc_lo, v125, v90
	v_add_co_ci_u32_e64 v83, null, v126, v91, vcc_lo
	v_add_co_u32 v0, vcc_lo, v125, v0
	v_add_co_ci_u32_e64 v1, null, v126, v1, vcc_lo
	v_add_co_u32 v84, vcc_lo, v125, v84
	v_add_nc_u32_e32 v88, s6, v86
	v_add_co_ci_u32_e64 v85, null, v126, v85, vcc_lo
	v_ashrrev_i32_e32 v87, 31, v86
	global_store_dwordx4 v[82:83], v[78:81], off
	global_store_dwordx4 v[0:1], v[74:77], off
	global_store_dwordx4 v[84:85], v[70:73], off
	v_add_nc_u32_e32 v70, s6, v88
	v_ashrrev_i32_e32 v89, 31, v88
	v_lshlrev_b64 v[78:79], 4, v[86:87]
	v_add_nc_u32_e32 v74, s6, v70
	v_lshlrev_b64 v[0:1], 4, v[88:89]
	v_ashrrev_i32_e32 v71, 31, v70
	v_add_co_u32 v72, vcc_lo, v125, v78
	v_add_nc_u32_e32 v76, s6, v74
	v_add_co_ci_u32_e64 v73, null, v126, v79, vcc_lo
	;; [unrolled: 30-line block ×3, first 2 shown]
	v_add_co_u32 v0, vcc_lo, v125, v0
	v_ashrrev_i32_e32 v55, 31, v54
	v_add_co_ci_u32_e64 v1, null, v126, v1, vcc_lo
	v_ashrrev_i32_e32 v57, 31, v56
	v_lshlrev_b64 v[50:51], 4, v[50:51]
	global_store_dwordx4 v[52:53], v[46:49], off
	global_store_dwordx4 v[0:1], v[42:45], off
	v_lshlrev_b64 v[0:1], 4, v[54:55]
	v_add_nc_u32_e32 v46, s6, v56
	v_lshlrev_b64 v[44:45], 4, v[56:57]
	v_add_co_u32 v42, vcc_lo, v125, v50
	v_add_co_ci_u32_e64 v43, null, v126, v51, vcc_lo
	v_add_co_u32 v0, vcc_lo, v125, v0
	v_add_nc_u32_e32 v48, s6, v46
	v_add_co_ci_u32_e64 v1, null, v126, v1, vcc_lo
	v_add_co_u32 v44, vcc_lo, v125, v44
	v_ashrrev_i32_e32 v47, 31, v46
	v_add_co_ci_u32_e64 v45, null, v126, v45, vcc_lo
	v_ashrrev_i32_e32 v49, 31, v48
	global_store_dwordx4 v[42:43], v[38:41], off
	v_lshlrev_b64 v[38:39], 4, v[46:47]
	global_store_dwordx4 v[0:1], v[34:37], off
	global_store_dwordx4 v[44:45], v[30:33], off
	v_add_nc_u32_e32 v30, s6, v48
	v_lshlrev_b64 v[0:1], 4, v[48:49]
	v_add_co_u32 v32, vcc_lo, v125, v38
	v_add_nc_u32_e32 v34, s6, v30
	v_add_co_ci_u32_e64 v33, null, v126, v39, vcc_lo
	v_add_co_u32 v0, vcc_lo, v125, v0
	v_add_co_ci_u32_e64 v1, null, v126, v1, vcc_lo
	v_add_nc_u32_e32 v36, s6, v34
	v_ashrrev_i32_e32 v31, 31, v30
	global_store_dwordx4 v[32:33], v[26:29], off
	global_store_dwordx4 v[0:1], v[22:25], off
	v_ashrrev_i32_e32 v35, 31, v34
	v_add_nc_u32_e32 v22, s6, v36
	v_lshlrev_b64 v[26:27], 4, v[30:31]
	v_ashrrev_i32_e32 v37, 31, v36
	v_lshlrev_b64 v[0:1], 4, v[34:35]
	v_add_nc_u32_e32 v28, s6, v22
	v_ashrrev_i32_e32 v23, 31, v22
	v_add_co_u32 v24, vcc_lo, v125, v26
	v_add_co_ci_u32_e64 v25, null, v126, v27, vcc_lo
	v_ashrrev_i32_e32 v29, 31, v28
	v_lshlrev_b64 v[26:27], 4, v[36:37]
	v_lshlrev_b64 v[22:23], 4, v[22:23]
	v_add_co_u32 v0, vcc_lo, v125, v0
	v_lshlrev_b64 v[28:29], 4, v[28:29]
	v_add_co_ci_u32_e64 v1, null, v126, v1, vcc_lo
	v_add_co_u32 v26, vcc_lo, v125, v26
	v_add_co_ci_u32_e64 v27, null, v126, v27, vcc_lo
	v_add_co_u32 v22, vcc_lo, v125, v22
	;; [unrolled: 2-line block ×3, first 2 shown]
	v_add_co_ci_u32_e64 v29, null, v126, v29, vcc_lo
	global_store_dwordx4 v[24:25], v[18:21], off
	global_store_dwordx4 v[0:1], v[14:17], off
	;; [unrolled: 1-line block ×5, first 2 shown]
.LBB54_591:
	s_endpgm
	.section	.rodata,"a",@progbits
	.p2align	6, 0x0
	.amdhsa_kernel _ZN9rocsolver6v33100L18getf2_small_kernelILi28E19rocblas_complex_numIdEiiPS3_EEvT1_T3_lS5_lPS5_llPT2_S5_S5_S7_l
		.amdhsa_group_segment_fixed_size 0
		.amdhsa_private_segment_fixed_size 0
		.amdhsa_kernarg_size 352
		.amdhsa_user_sgpr_count 6
		.amdhsa_user_sgpr_private_segment_buffer 1
		.amdhsa_user_sgpr_dispatch_ptr 0
		.amdhsa_user_sgpr_queue_ptr 0
		.amdhsa_user_sgpr_kernarg_segment_ptr 1
		.amdhsa_user_sgpr_dispatch_id 0
		.amdhsa_user_sgpr_flat_scratch_init 0
		.amdhsa_user_sgpr_private_segment_size 0
		.amdhsa_wavefront_size32 1
		.amdhsa_uses_dynamic_stack 0
		.amdhsa_system_sgpr_private_segment_wavefront_offset 0
		.amdhsa_system_sgpr_workgroup_id_x 1
		.amdhsa_system_sgpr_workgroup_id_y 1
		.amdhsa_system_sgpr_workgroup_id_z 0
		.amdhsa_system_sgpr_workgroup_info 0
		.amdhsa_system_vgpr_workitem_id 1
		.amdhsa_next_free_vgpr 140
		.amdhsa_next_free_sgpr 19
		.amdhsa_reserve_vcc 1
		.amdhsa_reserve_flat_scratch 0
		.amdhsa_float_round_mode_32 0
		.amdhsa_float_round_mode_16_64 0
		.amdhsa_float_denorm_mode_32 3
		.amdhsa_float_denorm_mode_16_64 3
		.amdhsa_dx10_clamp 1
		.amdhsa_ieee_mode 1
		.amdhsa_fp16_overflow 0
		.amdhsa_workgroup_processor_mode 1
		.amdhsa_memory_ordered 1
		.amdhsa_forward_progress 1
		.amdhsa_shared_vgpr_count 0
		.amdhsa_exception_fp_ieee_invalid_op 0
		.amdhsa_exception_fp_denorm_src 0
		.amdhsa_exception_fp_ieee_div_zero 0
		.amdhsa_exception_fp_ieee_overflow 0
		.amdhsa_exception_fp_ieee_underflow 0
		.amdhsa_exception_fp_ieee_inexact 0
		.amdhsa_exception_int_div_zero 0
	.end_amdhsa_kernel
	.section	.text._ZN9rocsolver6v33100L18getf2_small_kernelILi28E19rocblas_complex_numIdEiiPS3_EEvT1_T3_lS5_lPS5_llPT2_S5_S5_S7_l,"axG",@progbits,_ZN9rocsolver6v33100L18getf2_small_kernelILi28E19rocblas_complex_numIdEiiPS3_EEvT1_T3_lS5_lPS5_llPT2_S5_S5_S7_l,comdat
.Lfunc_end54:
	.size	_ZN9rocsolver6v33100L18getf2_small_kernelILi28E19rocblas_complex_numIdEiiPS3_EEvT1_T3_lS5_lPS5_llPT2_S5_S5_S7_l, .Lfunc_end54-_ZN9rocsolver6v33100L18getf2_small_kernelILi28E19rocblas_complex_numIdEiiPS3_EEvT1_T3_lS5_lPS5_llPT2_S5_S5_S7_l
                                        ; -- End function
	.set _ZN9rocsolver6v33100L18getf2_small_kernelILi28E19rocblas_complex_numIdEiiPS3_EEvT1_T3_lS5_lPS5_llPT2_S5_S5_S7_l.num_vgpr, 140
	.set _ZN9rocsolver6v33100L18getf2_small_kernelILi28E19rocblas_complex_numIdEiiPS3_EEvT1_T3_lS5_lPS5_llPT2_S5_S5_S7_l.num_agpr, 0
	.set _ZN9rocsolver6v33100L18getf2_small_kernelILi28E19rocblas_complex_numIdEiiPS3_EEvT1_T3_lS5_lPS5_llPT2_S5_S5_S7_l.numbered_sgpr, 19
	.set _ZN9rocsolver6v33100L18getf2_small_kernelILi28E19rocblas_complex_numIdEiiPS3_EEvT1_T3_lS5_lPS5_llPT2_S5_S5_S7_l.num_named_barrier, 0
	.set _ZN9rocsolver6v33100L18getf2_small_kernelILi28E19rocblas_complex_numIdEiiPS3_EEvT1_T3_lS5_lPS5_llPT2_S5_S5_S7_l.private_seg_size, 0
	.set _ZN9rocsolver6v33100L18getf2_small_kernelILi28E19rocblas_complex_numIdEiiPS3_EEvT1_T3_lS5_lPS5_llPT2_S5_S5_S7_l.uses_vcc, 1
	.set _ZN9rocsolver6v33100L18getf2_small_kernelILi28E19rocblas_complex_numIdEiiPS3_EEvT1_T3_lS5_lPS5_llPT2_S5_S5_S7_l.uses_flat_scratch, 0
	.set _ZN9rocsolver6v33100L18getf2_small_kernelILi28E19rocblas_complex_numIdEiiPS3_EEvT1_T3_lS5_lPS5_llPT2_S5_S5_S7_l.has_dyn_sized_stack, 0
	.set _ZN9rocsolver6v33100L18getf2_small_kernelILi28E19rocblas_complex_numIdEiiPS3_EEvT1_T3_lS5_lPS5_llPT2_S5_S5_S7_l.has_recursion, 0
	.set _ZN9rocsolver6v33100L18getf2_small_kernelILi28E19rocblas_complex_numIdEiiPS3_EEvT1_T3_lS5_lPS5_llPT2_S5_S5_S7_l.has_indirect_call, 0
	.section	.AMDGPU.csdata,"",@progbits
; Kernel info:
; codeLenInByte = 56016
; TotalNumSgprs: 21
; NumVgprs: 140
; ScratchSize: 0
; MemoryBound: 0
; FloatMode: 240
; IeeeMode: 1
; LDSByteSize: 0 bytes/workgroup (compile time only)
; SGPRBlocks: 0
; VGPRBlocks: 17
; NumSGPRsForWavesPerEU: 21
; NumVGPRsForWavesPerEU: 140
; Occupancy: 7
; WaveLimiterHint : 0
; COMPUTE_PGM_RSRC2:SCRATCH_EN: 0
; COMPUTE_PGM_RSRC2:USER_SGPR: 6
; COMPUTE_PGM_RSRC2:TRAP_HANDLER: 0
; COMPUTE_PGM_RSRC2:TGID_X_EN: 1
; COMPUTE_PGM_RSRC2:TGID_Y_EN: 1
; COMPUTE_PGM_RSRC2:TGID_Z_EN: 0
; COMPUTE_PGM_RSRC2:TIDIG_COMP_CNT: 1
	.section	.text._ZN9rocsolver6v33100L23getf2_npvt_small_kernelILi28E19rocblas_complex_numIdEiiPS3_EEvT1_T3_lS5_lPT2_S5_S5_,"axG",@progbits,_ZN9rocsolver6v33100L23getf2_npvt_small_kernelILi28E19rocblas_complex_numIdEiiPS3_EEvT1_T3_lS5_lPT2_S5_S5_,comdat
	.globl	_ZN9rocsolver6v33100L23getf2_npvt_small_kernelILi28E19rocblas_complex_numIdEiiPS3_EEvT1_T3_lS5_lPT2_S5_S5_ ; -- Begin function _ZN9rocsolver6v33100L23getf2_npvt_small_kernelILi28E19rocblas_complex_numIdEiiPS3_EEvT1_T3_lS5_lPT2_S5_S5_
	.p2align	8
	.type	_ZN9rocsolver6v33100L23getf2_npvt_small_kernelILi28E19rocblas_complex_numIdEiiPS3_EEvT1_T3_lS5_lPT2_S5_S5_,@function
_ZN9rocsolver6v33100L23getf2_npvt_small_kernelILi28E19rocblas_complex_numIdEiiPS3_EEvT1_T3_lS5_lPT2_S5_S5_: ; @_ZN9rocsolver6v33100L23getf2_npvt_small_kernelILi28E19rocblas_complex_numIdEiiPS3_EEvT1_T3_lS5_lPT2_S5_S5_
; %bb.0:
	s_mov_b64 s[38:39], s[2:3]
	s_mov_b64 s[36:37], s[0:1]
	s_clause 0x1
	s_load_dword s0, s[4:5], 0x44
	s_load_dwordx2 s[28:29], s[4:5], 0x30
	s_add_u32 s36, s36, s8
	s_addc_u32 s37, s37, 0
	s_waitcnt lgkmcnt(0)
	s_lshr_b32 s8, s0, 16
	s_mov_b32 s0, exec_lo
	v_mad_u64_u32 v[252:253], null, s7, s8, v[1:2]
	v_cmpx_gt_i32_e64 s28, v252
	s_cbranch_execz .LBB55_257
; %bb.1:
	s_clause 0x2
	s_load_dwordx4 s[24:27], s[4:5], 0x20
	s_load_dword s6, s[4:5], 0x18
	s_load_dwordx4 s[0:3], s[4:5], 0x8
	v_ashrrev_i32_e32 v253, 31, v252
	s_mulk_i32 s8, 0x1c0
	v_mad_u32_u24 v254, 0x1c0, v1, 0
	s_waitcnt lgkmcnt(0)
	v_mul_lo_u32 v5, s25, v252
	v_mul_lo_u32 v7, s24, v253
	v_mad_u64_u32 v[2:3], null, s24, v252, 0
	v_add3_u32 v4, s6, s6, v0
	s_lshl_b64 s[2:3], s[2:3], 4
	s_ashr_i32 s7, s6, 31
	v_add_nc_u32_e32 v6, s6, v4
	v_add3_u32 v3, v3, v7, v5
	v_ashrrev_i32_e32 v5, 31, v4
	v_add_nc_u32_e32 v8, s6, v6
	v_lshlrev_b64 v[2:3], 4, v[2:3]
	v_ashrrev_i32_e32 v7, 31, v6
	v_lshlrev_b64 v[4:5], 4, v[4:5]
	v_ashrrev_i32_e32 v9, 31, v8
	v_add_nc_u32_e32 v10, s6, v8
	v_add_co_u32 v12, vcc_lo, s0, v2
	v_add_co_ci_u32_e64 v13, null, s1, v3, vcc_lo
	v_lshlrev_b64 v[2:3], 4, v[8:9]
	v_add_nc_u32_e32 v8, s6, v10
	v_add_co_u32 v14, vcc_lo, v12, s2
	v_lshlrev_b64 v[6:7], 4, v[6:7]
	v_add_co_ci_u32_e64 v15, null, s3, v13, vcc_lo
	v_ashrrev_i32_e32 v11, 31, v10
	v_add_nc_u32_e32 v12, s6, v8
	v_add_co_u32 v20, vcc_lo, v14, v4
	v_ashrrev_i32_e32 v9, 31, v8
	v_add_co_ci_u32_e64 v21, null, v15, v5, vcc_lo
	v_add_co_u32 v18, vcc_lo, v14, v6
	v_lshlrev_b64 v[10:11], 4, v[10:11]
	v_add_co_ci_u32_e64 v19, null, v15, v7, vcc_lo
	v_add_co_u32 v16, vcc_lo, v14, v2
	v_add_nc_u32_e32 v4, s6, v12
	v_add_co_ci_u32_e64 v17, null, v15, v3, vcc_lo
	v_lshlrev_b64 v[2:3], 4, v[8:9]
	v_ashrrev_i32_e32 v13, 31, v12
	v_ashrrev_i32_e32 v5, 31, v4
	v_add_nc_u32_e32 v8, s6, v4
	v_add_co_u32 v10, vcc_lo, v14, v10
	v_lshlrev_b64 v[6:7], 4, v[12:13]
	v_add_co_ci_u32_e64 v11, null, v15, v11, vcc_lo
	v_add_co_u32 v12, vcc_lo, v14, v2
	v_add_co_ci_u32_e64 v13, null, v15, v3, vcc_lo
	v_lshlrev_b64 v[2:3], 4, v[4:5]
	v_ashrrev_i32_e32 v9, 31, v8
	v_add_nc_u32_e32 v4, s6, v8
	v_add_co_u32 v22, vcc_lo, v14, v6
	v_add_co_ci_u32_e64 v23, null, v15, v7, vcc_lo
	v_lshlrev_b64 v[6:7], 4, v[8:9]
	v_ashrrev_i32_e32 v5, 31, v4
	v_add_nc_u32_e32 v8, s6, v4
	v_add_co_u32 v24, vcc_lo, v14, v2
	v_add_co_ci_u32_e64 v25, null, v15, v3, vcc_lo
	v_lshlrev_b64 v[2:3], 4, v[4:5]
	v_ashrrev_i32_e32 v9, 31, v8
	v_add_nc_u32_e32 v4, s6, v8
	v_add_co_u32 v26, vcc_lo, v14, v6
	v_add_co_ci_u32_e64 v27, null, v15, v7, vcc_lo
	v_lshlrev_b64 v[6:7], 4, v[8:9]
	v_ashrrev_i32_e32 v5, 31, v4
	v_add_nc_u32_e32 v8, s6, v4
	v_add_co_u32 v28, vcc_lo, v14, v2
	v_add_co_ci_u32_e64 v29, null, v15, v3, vcc_lo
	v_lshlrev_b64 v[2:3], 4, v[4:5]
	v_ashrrev_i32_e32 v9, 31, v8
	v_add_nc_u32_e32 v4, s6, v8
	v_add_co_u32 v30, vcc_lo, v14, v6
	v_add_co_ci_u32_e64 v31, null, v15, v7, vcc_lo
	v_lshlrev_b64 v[6:7], 4, v[8:9]
	v_ashrrev_i32_e32 v5, 31, v4
	v_add_nc_u32_e32 v8, s6, v4
	v_add_co_u32 v32, vcc_lo, v14, v2
	v_add_co_ci_u32_e64 v33, null, v15, v3, vcc_lo
	v_lshlrev_b64 v[2:3], 4, v[4:5]
	v_ashrrev_i32_e32 v9, 31, v8
	v_add_nc_u32_e32 v4, s6, v8
	v_add_co_u32 v34, vcc_lo, v14, v6
	v_add_co_ci_u32_e64 v35, null, v15, v7, vcc_lo
	v_lshlrev_b64 v[6:7], 4, v[8:9]
	v_ashrrev_i32_e32 v5, 31, v4
	v_add_nc_u32_e32 v8, s6, v4
	v_add_co_u32 v36, vcc_lo, v14, v2
	v_add_co_ci_u32_e64 v37, null, v15, v3, vcc_lo
	v_lshlrev_b64 v[2:3], 4, v[4:5]
	v_ashrrev_i32_e32 v9, 31, v8
	v_add_nc_u32_e32 v4, s6, v8
	v_add_co_u32 v38, vcc_lo, v14, v6
	v_add_co_ci_u32_e64 v39, null, v15, v7, vcc_lo
	v_lshlrev_b64 v[6:7], 4, v[8:9]
	v_ashrrev_i32_e32 v5, 31, v4
	v_add_nc_u32_e32 v8, s6, v4
	v_add_co_u32 v40, vcc_lo, v14, v2
	v_add_co_ci_u32_e64 v41, null, v15, v3, vcc_lo
	v_lshlrev_b64 v[2:3], 4, v[4:5]
	v_ashrrev_i32_e32 v9, 31, v8
	v_add_nc_u32_e32 v4, s6, v8
	v_add_co_u32 v230, vcc_lo, v14, v6
	v_add_co_ci_u32_e64 v231, null, v15, v7, vcc_lo
	v_lshlrev_b64 v[6:7], 4, v[8:9]
	v_ashrrev_i32_e32 v5, 31, v4
	v_add_nc_u32_e32 v8, s6, v4
	v_add_co_u32 v114, vcc_lo, v14, v2
	v_add_co_ci_u32_e64 v115, null, v15, v3, vcc_lo
	v_lshlrev_b64 v[2:3], 4, v[4:5]
	v_ashrrev_i32_e32 v9, 31, v8
	v_add_nc_u32_e32 v4, s6, v8
	v_add_co_u32 v116, vcc_lo, v14, v6
	v_add_co_ci_u32_e64 v117, null, v15, v7, vcc_lo
	v_lshlrev_b64 v[6:7], 4, v[8:9]
	v_ashrrev_i32_e32 v5, 31, v4
	v_add_nc_u32_e32 v8, s6, v4
	v_add_co_u32 v118, vcc_lo, v14, v2
	v_add_co_ci_u32_e64 v119, null, v15, v3, vcc_lo
	v_lshlrev_b64 v[2:3], 4, v[4:5]
	v_ashrrev_i32_e32 v9, 31, v8
	v_add_nc_u32_e32 v4, s6, v8
	v_add_co_u32 v236, vcc_lo, v14, v6
	v_add_co_ci_u32_e64 v237, null, v15, v7, vcc_lo
	v_lshlrev_b64 v[6:7], 4, v[8:9]
	v_ashrrev_i32_e32 v5, 31, v4
	v_add_nc_u32_e32 v8, s6, v4
	v_add_co_u32 v238, vcc_lo, v14, v2
	v_add_co_ci_u32_e64 v239, null, v15, v3, vcc_lo
	v_lshlrev_b64 v[2:3], 4, v[4:5]
	v_add_nc_u32_e32 v4, s6, v8
	v_ashrrev_i32_e32 v9, 31, v8
	v_add_co_u32 v240, vcc_lo, v14, v6
	v_add_co_ci_u32_e64 v241, null, v15, v7, vcc_lo
	v_ashrrev_i32_e32 v5, 31, v4
	v_lshlrev_b64 v[6:7], 4, v[8:9]
	v_add_co_u32 v242, vcc_lo, v14, v2
	v_add_co_ci_u32_e64 v243, null, v15, v3, vcc_lo
	v_lshlrev_b64 v[2:3], 4, v[4:5]
	v_add_co_u32 v244, vcc_lo, v14, v6
	v_lshlrev_b32_e32 v6, 4, v0
	v_add_co_ci_u32_e64 v245, null, v15, v7, vcc_lo
	v_add_co_u32 v246, vcc_lo, v14, v2
	v_add_co_ci_u32_e64 v247, null, v15, v3, vcc_lo
	v_add_co_u32 v248, vcc_lo, v14, v6
	v_add_co_ci_u32_e64 v249, null, 0, v15, vcc_lo
	s_lshl_b64 s[0:1], s[6:7], 4
	v_add_nc_u32_e32 v4, s6, v4
	v_add_co_u32 v228, vcc_lo, v248, s0
	v_add_co_ci_u32_e64 v229, null, s1, v249, vcc_lo
	s_clause 0x1
	global_load_dwordx4 v[110:113], v[248:249], off
	global_load_dwordx4 v[106:109], v[228:229], off
	buffer_store_dword v20, off, s[36:39], 0 offset:16 ; 4-byte Folded Spill
	buffer_store_dword v21, off, s[36:39], 0 offset:20 ; 4-byte Folded Spill
	v_ashrrev_i32_e32 v5, 31, v4
	v_cmp_ne_u32_e64 s1, 0, v0
	v_cmp_eq_u32_e64 s0, 0, v0
	v_lshlrev_b64 v[2:3], 4, v[4:5]
	v_add_co_u32 v250, vcc_lo, v14, v2
	v_add_co_ci_u32_e64 v251, null, v15, v3, vcc_lo
	global_load_dwordx4 v[102:105], v[20:21], off
	buffer_store_dword v18, off, s[36:39], 0 offset:8 ; 4-byte Folded Spill
	buffer_store_dword v19, off, s[36:39], 0 offset:12 ; 4-byte Folded Spill
	global_load_dwordx4 v[98:101], v[18:19], off
	buffer_store_dword v16, off, s[36:39], 0 ; 4-byte Folded Spill
	buffer_store_dword v17, off, s[36:39], 0 offset:4 ; 4-byte Folded Spill
	global_load_dwordx4 v[94:97], v[16:17], off
	buffer_store_dword v10, off, s[36:39], 0 offset:24 ; 4-byte Folded Spill
	buffer_store_dword v11, off, s[36:39], 0 offset:28 ; 4-byte Folded Spill
	global_load_dwordx4 v[90:93], v[10:11], off
	buffer_store_dword v12, off, s[36:39], 0 offset:32 ; 4-byte Folded Spill
	;; [unrolled: 3-line block ×12, first 2 shown]
	buffer_store_dword v41, off, s[36:39], 0 offset:116 ; 4-byte Folded Spill
	s_clause 0x1
	global_load_dwordx4 v[46:49], v[40:41], off
	global_load_dwordx4 v[42:45], v[230:231], off
	buffer_store_dword v114, off, s[36:39], 0 offset:144 ; 4-byte Folded Spill
	buffer_store_dword v115, off, s[36:39], 0 offset:148 ; 4-byte Folded Spill
	global_load_dwordx4 v[38:41], v[114:115], off
	buffer_store_dword v116, off, s[36:39], 0 offset:136 ; 4-byte Folded Spill
	buffer_store_dword v117, off, s[36:39], 0 offset:140 ; 4-byte Folded Spill
	v_lshlrev_b32_e32 v114, 4, v1
	v_add3_u32 v1, 0, s8, v114
	global_load_dwordx4 v[34:37], v[116:117], off
	buffer_store_dword v118, off, s[36:39], 0 offset:152 ; 4-byte Folded Spill
	buffer_store_dword v119, off, s[36:39], 0 offset:156 ; 4-byte Folded Spill
	s_clause 0x7
	global_load_dwordx4 v[30:33], v[118:119], off
	global_load_dwordx4 v[26:29], v[236:237], off
	;; [unrolled: 1-line block ×8, first 2 shown]
	s_and_saveexec_b32 s3, s0
	s_cbranch_execz .LBB55_8
; %bb.2:
	s_waitcnt vmcnt(27)
	ds_write2_b64 v1, v[110:111], v[112:113] offset1:1
	s_waitcnt vmcnt(26)
	ds_write2_b64 v254, v[106:107], v[108:109] offset0:2 offset1:3
	s_waitcnt vmcnt(25)
	ds_write2_b64 v254, v[102:103], v[104:105] offset0:4 offset1:5
	s_waitcnt vmcnt(24)
	ds_write2_b64 v254, v[98:99], v[100:101] offset0:6 offset1:7
	s_waitcnt vmcnt(23)
	ds_write2_b64 v254, v[94:95], v[96:97] offset0:8 offset1:9
	s_waitcnt vmcnt(22)
	ds_write2_b64 v254, v[90:91], v[92:93] offset0:10 offset1:11
	s_waitcnt vmcnt(21)
	ds_write2_b64 v254, v[86:87], v[88:89] offset0:12 offset1:13
	s_waitcnt vmcnt(20)
	ds_write2_b64 v254, v[82:83], v[84:85] offset0:14 offset1:15
	s_waitcnt vmcnt(19)
	ds_write2_b64 v254, v[78:79], v[80:81] offset0:16 offset1:17
	s_waitcnt vmcnt(18)
	ds_write2_b64 v254, v[74:75], v[76:77] offset0:18 offset1:19
	s_waitcnt vmcnt(17)
	ds_write2_b64 v254, v[70:71], v[72:73] offset0:20 offset1:21
	s_waitcnt vmcnt(16)
	ds_write2_b64 v254, v[66:67], v[68:69] offset0:22 offset1:23
	s_waitcnt vmcnt(15)
	ds_write2_b64 v254, v[62:63], v[64:65] offset0:24 offset1:25
	s_waitcnt vmcnt(14)
	ds_write2_b64 v254, v[58:59], v[60:61] offset0:26 offset1:27
	s_waitcnt vmcnt(13)
	ds_write2_b64 v254, v[54:55], v[56:57] offset0:28 offset1:29
	s_waitcnt vmcnt(12)
	ds_write2_b64 v254, v[50:51], v[52:53] offset0:30 offset1:31
	s_waitcnt vmcnt(11)
	ds_write2_b64 v254, v[46:47], v[48:49] offset0:32 offset1:33
	s_waitcnt vmcnt(10)
	ds_write2_b64 v254, v[42:43], v[44:45] offset0:34 offset1:35
	s_waitcnt vmcnt(9)
	ds_write2_b64 v254, v[38:39], v[40:41] offset0:36 offset1:37
	s_waitcnt vmcnt(8)
	ds_write2_b64 v254, v[34:35], v[36:37] offset0:38 offset1:39
	s_waitcnt vmcnt(7)
	ds_write2_b64 v254, v[30:31], v[32:33] offset0:40 offset1:41
	s_waitcnt vmcnt(6)
	ds_write2_b64 v254, v[26:27], v[28:29] offset0:42 offset1:43
	s_waitcnt vmcnt(5)
	ds_write2_b64 v254, v[22:23], v[24:25] offset0:44 offset1:45
	s_waitcnt vmcnt(4)
	ds_write2_b64 v254, v[18:19], v[20:21] offset0:46 offset1:47
	s_waitcnt vmcnt(3)
	ds_write2_b64 v254, v[14:15], v[16:17] offset0:48 offset1:49
	s_waitcnt vmcnt(2)
	ds_write2_b64 v254, v[10:11], v[12:13] offset0:50 offset1:51
	s_waitcnt vmcnt(1)
	ds_write2_b64 v254, v[6:7], v[8:9] offset0:52 offset1:53
	s_waitcnt vmcnt(0)
	ds_write2_b64 v254, v[2:3], v[4:5] offset0:54 offset1:55
	ds_read2_b64 v[114:117], v1 offset1:1
	s_waitcnt lgkmcnt(0)
	v_cmp_neq_f64_e32 vcc_lo, 0, v[114:115]
	v_cmp_neq_f64_e64 s2, 0, v[116:117]
	s_or_b32 s2, vcc_lo, s2
	s_and_b32 exec_lo, exec_lo, s2
	s_cbranch_execz .LBB55_8
; %bb.3:
	v_cmp_ngt_f64_e64 s2, |v[114:115]|, |v[116:117]|
                                        ; implicit-def: $vgpr118_vgpr119
	s_and_saveexec_b32 s4, s2
	s_xor_b32 s2, exec_lo, s4
                                        ; implicit-def: $vgpr120_vgpr121
	s_cbranch_execz .LBB55_5
; %bb.4:
	v_div_scale_f64 v[118:119], null, v[116:117], v[116:117], v[114:115]
	v_div_scale_f64 v[124:125], vcc_lo, v[114:115], v[116:117], v[114:115]
	v_rcp_f64_e32 v[120:121], v[118:119]
	v_fma_f64 v[122:123], -v[118:119], v[120:121], 1.0
	v_fma_f64 v[120:121], v[120:121], v[122:123], v[120:121]
	v_fma_f64 v[122:123], -v[118:119], v[120:121], 1.0
	v_fma_f64 v[120:121], v[120:121], v[122:123], v[120:121]
	v_mul_f64 v[122:123], v[124:125], v[120:121]
	v_fma_f64 v[118:119], -v[118:119], v[122:123], v[124:125]
	v_div_fmas_f64 v[118:119], v[118:119], v[120:121], v[122:123]
	v_div_fixup_f64 v[118:119], v[118:119], v[116:117], v[114:115]
	v_fma_f64 v[114:115], v[114:115], v[118:119], v[116:117]
	v_div_scale_f64 v[116:117], null, v[114:115], v[114:115], 1.0
	v_rcp_f64_e32 v[120:121], v[116:117]
	v_fma_f64 v[122:123], -v[116:117], v[120:121], 1.0
	v_fma_f64 v[120:121], v[120:121], v[122:123], v[120:121]
	v_fma_f64 v[122:123], -v[116:117], v[120:121], 1.0
	v_fma_f64 v[120:121], v[120:121], v[122:123], v[120:121]
	v_div_scale_f64 v[122:123], vcc_lo, 1.0, v[114:115], 1.0
	v_mul_f64 v[124:125], v[122:123], v[120:121]
	v_fma_f64 v[116:117], -v[116:117], v[124:125], v[122:123]
	v_div_fmas_f64 v[116:117], v[116:117], v[120:121], v[124:125]
	v_div_fixup_f64 v[120:121], v[116:117], v[114:115], 1.0
                                        ; implicit-def: $vgpr114_vgpr115
	v_mul_f64 v[118:119], v[118:119], v[120:121]
	v_xor_b32_e32 v121, 0x80000000, v121
.LBB55_5:
	s_andn2_saveexec_b32 s2, s2
	s_cbranch_execz .LBB55_7
; %bb.6:
	v_div_scale_f64 v[118:119], null, v[114:115], v[114:115], v[116:117]
	v_div_scale_f64 v[124:125], vcc_lo, v[116:117], v[114:115], v[116:117]
	v_rcp_f64_e32 v[120:121], v[118:119]
	v_fma_f64 v[122:123], -v[118:119], v[120:121], 1.0
	v_fma_f64 v[120:121], v[120:121], v[122:123], v[120:121]
	v_fma_f64 v[122:123], -v[118:119], v[120:121], 1.0
	v_fma_f64 v[120:121], v[120:121], v[122:123], v[120:121]
	v_mul_f64 v[122:123], v[124:125], v[120:121]
	v_fma_f64 v[118:119], -v[118:119], v[122:123], v[124:125]
	v_div_fmas_f64 v[118:119], v[118:119], v[120:121], v[122:123]
	v_div_fixup_f64 v[120:121], v[118:119], v[114:115], v[116:117]
	v_fma_f64 v[114:115], v[116:117], v[120:121], v[114:115]
	v_div_scale_f64 v[116:117], null, v[114:115], v[114:115], 1.0
	v_rcp_f64_e32 v[118:119], v[116:117]
	v_fma_f64 v[122:123], -v[116:117], v[118:119], 1.0
	v_fma_f64 v[118:119], v[118:119], v[122:123], v[118:119]
	v_fma_f64 v[122:123], -v[116:117], v[118:119], 1.0
	v_fma_f64 v[118:119], v[118:119], v[122:123], v[118:119]
	v_div_scale_f64 v[122:123], vcc_lo, 1.0, v[114:115], 1.0
	v_mul_f64 v[124:125], v[122:123], v[118:119]
	v_fma_f64 v[116:117], -v[116:117], v[124:125], v[122:123]
	v_div_fmas_f64 v[116:117], v[116:117], v[118:119], v[124:125]
	v_div_fixup_f64 v[118:119], v[116:117], v[114:115], 1.0
	v_mul_f64 v[120:121], v[120:121], -v[118:119]
.LBB55_7:
	s_or_b32 exec_lo, exec_lo, s2
	ds_write2_b64 v1, v[118:119], v[120:121] offset1:1
.LBB55_8:
	s_or_b32 exec_lo, exec_lo, s3
	s_waitcnt vmcnt(0) lgkmcnt(0)
	s_waitcnt_vscnt null, 0x0
	s_barrier
	buffer_gl0_inv
	ds_read2_b64 v[114:117], v1 offset1:1
	s_waitcnt lgkmcnt(0)
	buffer_store_dword v114, off, s[36:39], 0 offset:120 ; 4-byte Folded Spill
	buffer_store_dword v115, off, s[36:39], 0 offset:124 ; 4-byte Folded Spill
	;; [unrolled: 1-line block ×4, first 2 shown]
	s_and_saveexec_b32 s2, s1
	s_cbranch_execz .LBB55_10
; %bb.9:
	s_clause 0x3
	buffer_load_dword v114, off, s[36:39], 0 offset:120
	buffer_load_dword v115, off, s[36:39], 0 offset:124
	;; [unrolled: 1-line block ×4, first 2 shown]
	s_waitcnt vmcnt(2)
	v_mul_f64 v[118:119], v[114:115], v[112:113]
	s_waitcnt vmcnt(0)
	v_mul_f64 v[142:143], v[116:117], v[112:113]
	v_fma_f64 v[112:113], v[116:117], v[110:111], v[118:119]
	ds_read2_b64 v[118:121], v254 offset0:2 offset1:3
	ds_read2_b64 v[122:125], v254 offset0:4 offset1:5
	;; [unrolled: 1-line block ×6, first 2 shown]
	v_fma_f64 v[110:111], v[114:115], v[110:111], -v[142:143]
	ds_read2_b64 v[142:145], v254 offset0:14 offset1:15
	ds_read2_b64 v[146:149], v254 offset0:16 offset1:17
	;; [unrolled: 1-line block ×4, first 2 shown]
	s_waitcnt lgkmcnt(9)
	v_mul_f64 v[158:159], v[120:121], v[112:113]
	v_mul_f64 v[160:161], v[118:119], v[112:113]
	s_waitcnt lgkmcnt(8)
	v_mul_f64 v[162:163], v[124:125], v[112:113]
	v_mul_f64 v[164:165], v[122:123], v[112:113]
	;; [unrolled: 3-line block ×3, first 2 shown]
	v_mul_f64 v[168:169], v[126:127], v[112:113]
	v_mul_f64 v[170:171], v[132:133], v[112:113]
	v_mul_f64 v[172:173], v[130:131], v[112:113]
	v_mul_f64 v[176:177], v[134:135], v[112:113]
	s_waitcnt lgkmcnt(4)
	v_mul_f64 v[178:179], v[140:141], v[112:113]
	v_mul_f64 v[180:181], v[138:139], v[112:113]
	v_fma_f64 v[182:183], v[118:119], v[110:111], -v[158:159]
	v_fma_f64 v[184:185], v[120:121], v[110:111], v[160:161]
	ds_read2_b64 v[118:121], v254 offset0:22 offset1:23
	ds_read2_b64 v[158:161], v254 offset0:24 offset1:25
	v_fma_f64 v[162:163], v[122:123], v[110:111], -v[162:163]
	v_fma_f64 v[164:165], v[124:125], v[110:111], v[164:165]
	s_waitcnt lgkmcnt(5)
	v_mul_f64 v[122:123], v[144:145], v[112:113]
	v_mul_f64 v[124:125], v[142:143], v[112:113]
	v_fma_f64 v[134:135], v[134:135], v[110:111], -v[174:175]
	s_waitcnt lgkmcnt(2)
	v_mul_f64 v[174:175], v[156:157], v[112:113]
	v_fma_f64 v[166:167], v[126:127], v[110:111], -v[166:167]
	v_fma_f64 v[168:169], v[128:129], v[110:111], v[168:169]
	v_mul_f64 v[126:127], v[148:149], v[112:113]
	v_mul_f64 v[128:129], v[146:147], v[112:113]
	v_fma_f64 v[170:171], v[130:131], v[110:111], -v[170:171]
	v_fma_f64 v[172:173], v[132:133], v[110:111], v[172:173]
	v_mul_f64 v[130:131], v[152:153], v[112:113]
	v_mul_f64 v[132:133], v[150:151], v[112:113]
	v_fma_f64 v[136:137], v[136:137], v[110:111], v[176:177]
	v_mul_f64 v[176:177], v[154:155], v[112:113]
	v_fma_f64 v[138:139], v[138:139], v[110:111], -v[178:179]
	v_fma_f64 v[140:141], v[140:141], v[110:111], v[180:181]
	s_waitcnt lgkmcnt(1)
	v_mul_f64 v[178:179], v[120:121], v[112:113]
	v_mul_f64 v[180:181], v[118:119], v[112:113]
	v_add_f64 v[106:107], v[106:107], -v[182:183]
	v_add_f64 v[108:109], v[108:109], -v[184:185]
	v_add_f64 v[102:103], v[102:103], -v[162:163]
	v_add_f64 v[104:105], v[104:105], -v[164:165]
	v_fma_f64 v[142:143], v[142:143], v[110:111], -v[122:123]
	v_fma_f64 v[144:145], v[144:145], v[110:111], v[124:125]
	ds_read2_b64 v[122:125], v254 offset0:26 offset1:27
	v_fma_f64 v[154:155], v[154:155], v[110:111], -v[174:175]
	s_waitcnt lgkmcnt(1)
	v_mul_f64 v[174:175], v[160:161], v[112:113]
	v_add_f64 v[98:99], v[98:99], -v[166:167]
	v_fma_f64 v[146:147], v[146:147], v[110:111], -v[126:127]
	v_fma_f64 v[148:149], v[148:149], v[110:111], v[128:129]
	ds_read2_b64 v[126:129], v254 offset0:28 offset1:29
	v_add_f64 v[100:101], v[100:101], -v[168:169]
	v_fma_f64 v[150:151], v[150:151], v[110:111], -v[130:131]
	v_fma_f64 v[152:153], v[152:153], v[110:111], v[132:133]
	ds_read2_b64 v[130:133], v254 offset0:30 offset1:31
	v_fma_f64 v[156:157], v[156:157], v[110:111], v[176:177]
	v_add_f64 v[94:95], v[94:95], -v[170:171]
	v_add_f64 v[96:97], v[96:97], -v[172:173]
	v_fma_f64 v[176:177], v[118:119], v[110:111], -v[178:179]
	v_fma_f64 v[178:179], v[120:121], v[110:111], v[180:181]
	ds_read2_b64 v[118:121], v254 offset0:32 offset1:33
	v_mul_f64 v[180:181], v[158:159], v[112:113]
	v_add_f64 v[90:91], v[90:91], -v[134:135]
	v_add_f64 v[92:93], v[92:93], -v[136:137]
	s_waitcnt lgkmcnt(3)
	v_mul_f64 v[182:183], v[124:125], v[112:113]
	v_mul_f64 v[184:185], v[122:123], v[112:113]
	ds_read2_b64 v[134:137], v254 offset0:34 offset1:35
	v_add_f64 v[86:87], v[86:87], -v[138:139]
	v_fma_f64 v[158:159], v[158:159], v[110:111], -v[174:175]
	v_add_f64 v[88:89], v[88:89], -v[140:141]
	s_waitcnt lgkmcnt(3)
	v_mul_f64 v[162:163], v[128:129], v[112:113]
	v_mul_f64 v[164:165], v[126:127], v[112:113]
	v_add_f64 v[82:83], v[82:83], -v[142:143]
	v_add_f64 v[84:85], v[84:85], -v[144:145]
	s_waitcnt lgkmcnt(2)
	v_mul_f64 v[166:167], v[132:133], v[112:113]
	v_mul_f64 v[168:169], v[130:131], v[112:113]
	v_add_f64 v[78:79], v[78:79], -v[146:147]
	v_add_f64 v[80:81], v[80:81], -v[148:149]
	;; [unrolled: 1-line block ×4, first 2 shown]
	s_waitcnt lgkmcnt(1)
	v_mul_f64 v[170:171], v[120:121], v[112:113]
	v_mul_f64 v[172:173], v[118:119], v[112:113]
	ds_read2_b64 v[138:141], v254 offset0:36 offset1:37
	v_fma_f64 v[160:161], v[160:161], v[110:111], v[180:181]
	v_add_f64 v[70:71], v[70:71], -v[154:155]
	ds_read2_b64 v[142:145], v254 offset0:38 offset1:39
	ds_read2_b64 v[146:149], v254 offset0:40 offset1:41
	v_fma_f64 v[174:175], v[122:123], v[110:111], -v[182:183]
	v_fma_f64 v[150:151], v[124:125], v[110:111], v[184:185]
	ds_read2_b64 v[122:125], v254 offset0:42 offset1:43
	v_add_f64 v[62:63], v[62:63], -v[158:159]
	s_waitcnt lgkmcnt(4)
	v_mul_f64 v[158:159], v[136:137], v[112:113]
	v_fma_f64 v[126:127], v[126:127], v[110:111], -v[162:163]
	v_fma_f64 v[128:129], v[128:129], v[110:111], v[164:165]
	v_add_f64 v[66:67], v[66:67], -v[176:177]
	v_add_f64 v[68:69], v[68:69], -v[178:179]
	v_fma_f64 v[130:131], v[130:131], v[110:111], -v[166:167]
	v_fma_f64 v[132:133], v[132:133], v[110:111], v[168:169]
	v_mul_f64 v[162:163], v[134:135], v[112:113]
	v_add_f64 v[72:73], v[72:73], -v[156:157]
	v_fma_f64 v[152:153], v[118:119], v[110:111], -v[170:171]
	v_fma_f64 v[154:155], v[120:121], v[110:111], v[172:173]
	s_waitcnt lgkmcnt(3)
	v_mul_f64 v[164:165], v[140:141], v[112:113]
	v_mul_f64 v[166:167], v[138:139], v[112:113]
	s_waitcnt lgkmcnt(2)
	v_mul_f64 v[168:169], v[144:145], v[112:113]
	v_mul_f64 v[170:171], v[142:143], v[112:113]
	s_waitcnt lgkmcnt(1)
	v_mul_f64 v[172:173], v[148:149], v[112:113]
	v_add_f64 v[58:59], v[58:59], -v[174:175]
	v_mul_f64 v[174:175], v[146:147], v[112:113]
	ds_read2_b64 v[118:121], v254 offset0:44 offset1:45
	s_waitcnt lgkmcnt(1)
	v_mul_f64 v[176:177], v[124:125], v[112:113]
	v_mul_f64 v[178:179], v[122:123], v[112:113]
	v_add_f64 v[64:65], v[64:65], -v[160:161]
	v_add_f64 v[60:61], v[60:61], -v[150:151]
	;; [unrolled: 1-line block ×5, first 2 shown]
	ds_read2_b64 v[126:129], v254 offset0:46 offset1:47
	v_add_f64 v[52:53], v[52:53], -v[132:133]
	ds_read2_b64 v[130:133], v254 offset0:48 offset1:49
	v_fma_f64 v[134:135], v[134:135], v[110:111], -v[158:159]
	ds_read2_b64 v[158:161], v254 offset0:54 offset1:55
	v_add_f64 v[46:47], v[46:47], -v[152:153]
	ds_read2_b64 v[150:153], v254 offset0:50 offset1:51
	v_add_f64 v[48:49], v[48:49], -v[154:155]
	ds_read2_b64 v[154:157], v254 offset0:52 offset1:53
	v_fma_f64 v[136:137], v[136:137], v[110:111], v[162:163]
	v_fma_f64 v[138:139], v[138:139], v[110:111], -v[164:165]
	v_fma_f64 v[140:141], v[140:141], v[110:111], v[166:167]
	v_fma_f64 v[142:143], v[142:143], v[110:111], -v[168:169]
	;; [unrolled: 2-line block ×4, first 2 shown]
	v_fma_f64 v[124:125], v[124:125], v[110:111], v[178:179]
	s_waitcnt lgkmcnt(5)
	v_mul_f64 v[162:163], v[120:121], v[112:113]
	v_mul_f64 v[164:165], v[118:119], v[112:113]
	s_waitcnt lgkmcnt(4)
	v_mul_f64 v[166:167], v[128:129], v[112:113]
	v_mul_f64 v[168:169], v[126:127], v[112:113]
	s_waitcnt lgkmcnt(3)
	v_mul_f64 v[170:171], v[132:133], v[112:113]
	v_mul_f64 v[172:173], v[130:131], v[112:113]
	s_waitcnt lgkmcnt(2)
	v_mul_f64 v[182:183], v[160:161], v[112:113]
	v_mul_f64 v[184:185], v[158:159], v[112:113]
	s_waitcnt lgkmcnt(1)
	v_mul_f64 v[174:175], v[152:153], v[112:113]
	v_mul_f64 v[176:177], v[150:151], v[112:113]
	s_waitcnt lgkmcnt(0)
	v_mul_f64 v[178:179], v[156:157], v[112:113]
	v_mul_f64 v[180:181], v[154:155], v[112:113]
	v_add_f64 v[42:43], v[42:43], -v[134:135]
	v_add_f64 v[44:45], v[44:45], -v[136:137]
	;; [unrolled: 1-line block ×10, first 2 shown]
	v_fma_f64 v[118:119], v[118:119], v[110:111], -v[162:163]
	v_fma_f64 v[120:121], v[120:121], v[110:111], v[164:165]
	v_fma_f64 v[126:127], v[126:127], v[110:111], -v[166:167]
	v_fma_f64 v[128:129], v[128:129], v[110:111], v[168:169]
	;; [unrolled: 2-line block ×6, first 2 shown]
	v_add_f64 v[22:23], v[22:23], -v[118:119]
	v_add_f64 v[24:25], v[24:25], -v[120:121]
	;; [unrolled: 1-line block ×12, first 2 shown]
.LBB55_10:
	s_or_b32 exec_lo, exec_lo, s2
	s_mov_b32 s2, exec_lo
	s_waitcnt_vscnt null, 0x0
	s_barrier
	buffer_gl0_inv
	v_cmpx_eq_u32_e32 1, v0
	s_cbranch_execz .LBB55_17
; %bb.11:
	ds_write2_b64 v1, v[106:107], v[108:109] offset1:1
	ds_write2_b64 v254, v[102:103], v[104:105] offset0:4 offset1:5
	ds_write2_b64 v254, v[98:99], v[100:101] offset0:6 offset1:7
	;; [unrolled: 1-line block ×26, first 2 shown]
	ds_read2_b64 v[118:121], v1 offset1:1
	s_waitcnt lgkmcnt(0)
	v_cmp_neq_f64_e32 vcc_lo, 0, v[118:119]
	v_cmp_neq_f64_e64 s1, 0, v[120:121]
	s_or_b32 s1, vcc_lo, s1
	s_and_b32 exec_lo, exec_lo, s1
	s_cbranch_execz .LBB55_17
; %bb.12:
	v_cmp_ngt_f64_e64 s1, |v[118:119]|, |v[120:121]|
                                        ; implicit-def: $vgpr122_vgpr123
	s_and_saveexec_b32 s3, s1
	s_xor_b32 s1, exec_lo, s3
                                        ; implicit-def: $vgpr124_vgpr125
	s_cbranch_execz .LBB55_14
; %bb.13:
	v_div_scale_f64 v[122:123], null, v[120:121], v[120:121], v[118:119]
	v_div_scale_f64 v[128:129], vcc_lo, v[118:119], v[120:121], v[118:119]
	v_rcp_f64_e32 v[124:125], v[122:123]
	v_fma_f64 v[126:127], -v[122:123], v[124:125], 1.0
	v_fma_f64 v[124:125], v[124:125], v[126:127], v[124:125]
	v_fma_f64 v[126:127], -v[122:123], v[124:125], 1.0
	v_fma_f64 v[124:125], v[124:125], v[126:127], v[124:125]
	v_mul_f64 v[126:127], v[128:129], v[124:125]
	v_fma_f64 v[122:123], -v[122:123], v[126:127], v[128:129]
	v_div_fmas_f64 v[122:123], v[122:123], v[124:125], v[126:127]
	v_div_fixup_f64 v[122:123], v[122:123], v[120:121], v[118:119]
	v_fma_f64 v[118:119], v[118:119], v[122:123], v[120:121]
	v_div_scale_f64 v[120:121], null, v[118:119], v[118:119], 1.0
	v_rcp_f64_e32 v[124:125], v[120:121]
	v_fma_f64 v[126:127], -v[120:121], v[124:125], 1.0
	v_fma_f64 v[124:125], v[124:125], v[126:127], v[124:125]
	v_fma_f64 v[126:127], -v[120:121], v[124:125], 1.0
	v_fma_f64 v[124:125], v[124:125], v[126:127], v[124:125]
	v_div_scale_f64 v[126:127], vcc_lo, 1.0, v[118:119], 1.0
	v_mul_f64 v[128:129], v[126:127], v[124:125]
	v_fma_f64 v[120:121], -v[120:121], v[128:129], v[126:127]
	v_div_fmas_f64 v[120:121], v[120:121], v[124:125], v[128:129]
	v_div_fixup_f64 v[124:125], v[120:121], v[118:119], 1.0
                                        ; implicit-def: $vgpr118_vgpr119
	v_mul_f64 v[122:123], v[122:123], v[124:125]
	v_xor_b32_e32 v125, 0x80000000, v125
.LBB55_14:
	s_andn2_saveexec_b32 s1, s1
	s_cbranch_execz .LBB55_16
; %bb.15:
	v_div_scale_f64 v[122:123], null, v[118:119], v[118:119], v[120:121]
	v_div_scale_f64 v[128:129], vcc_lo, v[120:121], v[118:119], v[120:121]
	v_rcp_f64_e32 v[124:125], v[122:123]
	v_fma_f64 v[126:127], -v[122:123], v[124:125], 1.0
	v_fma_f64 v[124:125], v[124:125], v[126:127], v[124:125]
	v_fma_f64 v[126:127], -v[122:123], v[124:125], 1.0
	v_fma_f64 v[124:125], v[124:125], v[126:127], v[124:125]
	v_mul_f64 v[126:127], v[128:129], v[124:125]
	v_fma_f64 v[122:123], -v[122:123], v[126:127], v[128:129]
	v_div_fmas_f64 v[122:123], v[122:123], v[124:125], v[126:127]
	v_div_fixup_f64 v[124:125], v[122:123], v[118:119], v[120:121]
	v_fma_f64 v[118:119], v[120:121], v[124:125], v[118:119]
	v_div_scale_f64 v[120:121], null, v[118:119], v[118:119], 1.0
	v_rcp_f64_e32 v[122:123], v[120:121]
	v_fma_f64 v[126:127], -v[120:121], v[122:123], 1.0
	v_fma_f64 v[122:123], v[122:123], v[126:127], v[122:123]
	v_fma_f64 v[126:127], -v[120:121], v[122:123], 1.0
	v_fma_f64 v[122:123], v[122:123], v[126:127], v[122:123]
	v_div_scale_f64 v[126:127], vcc_lo, 1.0, v[118:119], 1.0
	v_mul_f64 v[128:129], v[126:127], v[122:123]
	v_fma_f64 v[120:121], -v[120:121], v[128:129], v[126:127]
	v_div_fmas_f64 v[120:121], v[120:121], v[122:123], v[128:129]
	v_div_fixup_f64 v[122:123], v[120:121], v[118:119], 1.0
	v_mul_f64 v[124:125], v[124:125], -v[122:123]
.LBB55_16:
	s_or_b32 exec_lo, exec_lo, s1
	ds_write2_b64 v1, v[122:123], v[124:125] offset1:1
.LBB55_17:
	s_or_b32 exec_lo, exec_lo, s2
	s_waitcnt lgkmcnt(0)
	s_barrier
	buffer_gl0_inv
	ds_read2_b64 v[118:121], v1 offset1:1
	s_mov_b32 s1, exec_lo
	v_cmpx_lt_u32_e32 1, v0
	s_cbranch_execz .LBB55_19
; %bb.18:
	s_waitcnt lgkmcnt(0)
	v_mul_f64 v[122:123], v[120:121], v[108:109]
	v_mul_f64 v[108:109], v[118:119], v[108:109]
	ds_read2_b64 v[124:127], v254 offset0:4 offset1:5
	v_fma_f64 v[122:123], v[118:119], v[106:107], -v[122:123]
	v_fma_f64 v[108:109], v[120:121], v[106:107], v[108:109]
	s_waitcnt lgkmcnt(0)
	v_mul_f64 v[106:107], v[126:127], v[108:109]
	v_fma_f64 v[106:107], v[124:125], v[122:123], -v[106:107]
	v_mul_f64 v[124:125], v[124:125], v[108:109]
	v_add_f64 v[102:103], v[102:103], -v[106:107]
	v_fma_f64 v[124:125], v[126:127], v[122:123], v[124:125]
	v_add_f64 v[104:105], v[104:105], -v[124:125]
	ds_read2_b64 v[124:127], v254 offset0:6 offset1:7
	s_waitcnt lgkmcnt(0)
	v_mul_f64 v[106:107], v[126:127], v[108:109]
	v_fma_f64 v[106:107], v[124:125], v[122:123], -v[106:107]
	v_mul_f64 v[124:125], v[124:125], v[108:109]
	v_add_f64 v[98:99], v[98:99], -v[106:107]
	v_fma_f64 v[124:125], v[126:127], v[122:123], v[124:125]
	v_add_f64 v[100:101], v[100:101], -v[124:125]
	ds_read2_b64 v[124:127], v254 offset0:8 offset1:9
	;; [unrolled: 8-line block ×25, first 2 shown]
	s_waitcnt lgkmcnt(0)
	v_mul_f64 v[106:107], v[126:127], v[108:109]
	v_fma_f64 v[106:107], v[124:125], v[122:123], -v[106:107]
	v_mul_f64 v[124:125], v[124:125], v[108:109]
	v_add_f64 v[2:3], v[2:3], -v[106:107]
	v_fma_f64 v[124:125], v[126:127], v[122:123], v[124:125]
	v_mov_b32_e32 v106, v122
	v_mov_b32_e32 v107, v123
	v_add_f64 v[4:5], v[4:5], -v[124:125]
.LBB55_19:
	s_or_b32 exec_lo, exec_lo, s1
	s_mov_b32 s2, exec_lo
	s_waitcnt lgkmcnt(0)
	s_barrier
	buffer_gl0_inv
	v_cmpx_eq_u32_e32 2, v0
	s_cbranch_execz .LBB55_26
; %bb.20:
	ds_write2_b64 v1, v[102:103], v[104:105] offset1:1
	ds_write2_b64 v254, v[98:99], v[100:101] offset0:6 offset1:7
	ds_write2_b64 v254, v[94:95], v[96:97] offset0:8 offset1:9
	;; [unrolled: 1-line block ×25, first 2 shown]
	ds_read2_b64 v[122:125], v1 offset1:1
	s_waitcnt lgkmcnt(0)
	v_cmp_neq_f64_e32 vcc_lo, 0, v[122:123]
	v_cmp_neq_f64_e64 s1, 0, v[124:125]
	s_or_b32 s1, vcc_lo, s1
	s_and_b32 exec_lo, exec_lo, s1
	s_cbranch_execz .LBB55_26
; %bb.21:
	v_cmp_ngt_f64_e64 s1, |v[122:123]|, |v[124:125]|
                                        ; implicit-def: $vgpr126_vgpr127
	s_and_saveexec_b32 s3, s1
	s_xor_b32 s1, exec_lo, s3
                                        ; implicit-def: $vgpr128_vgpr129
	s_cbranch_execz .LBB55_23
; %bb.22:
	v_div_scale_f64 v[126:127], null, v[124:125], v[124:125], v[122:123]
	v_div_scale_f64 v[132:133], vcc_lo, v[122:123], v[124:125], v[122:123]
	v_rcp_f64_e32 v[128:129], v[126:127]
	v_fma_f64 v[130:131], -v[126:127], v[128:129], 1.0
	v_fma_f64 v[128:129], v[128:129], v[130:131], v[128:129]
	v_fma_f64 v[130:131], -v[126:127], v[128:129], 1.0
	v_fma_f64 v[128:129], v[128:129], v[130:131], v[128:129]
	v_mul_f64 v[130:131], v[132:133], v[128:129]
	v_fma_f64 v[126:127], -v[126:127], v[130:131], v[132:133]
	v_div_fmas_f64 v[126:127], v[126:127], v[128:129], v[130:131]
	v_div_fixup_f64 v[126:127], v[126:127], v[124:125], v[122:123]
	v_fma_f64 v[122:123], v[122:123], v[126:127], v[124:125]
	v_div_scale_f64 v[124:125], null, v[122:123], v[122:123], 1.0
	v_rcp_f64_e32 v[128:129], v[124:125]
	v_fma_f64 v[130:131], -v[124:125], v[128:129], 1.0
	v_fma_f64 v[128:129], v[128:129], v[130:131], v[128:129]
	v_fma_f64 v[130:131], -v[124:125], v[128:129], 1.0
	v_fma_f64 v[128:129], v[128:129], v[130:131], v[128:129]
	v_div_scale_f64 v[130:131], vcc_lo, 1.0, v[122:123], 1.0
	v_mul_f64 v[132:133], v[130:131], v[128:129]
	v_fma_f64 v[124:125], -v[124:125], v[132:133], v[130:131]
	v_div_fmas_f64 v[124:125], v[124:125], v[128:129], v[132:133]
	v_div_fixup_f64 v[128:129], v[124:125], v[122:123], 1.0
                                        ; implicit-def: $vgpr122_vgpr123
	v_mul_f64 v[126:127], v[126:127], v[128:129]
	v_xor_b32_e32 v129, 0x80000000, v129
.LBB55_23:
	s_andn2_saveexec_b32 s1, s1
	s_cbranch_execz .LBB55_25
; %bb.24:
	v_div_scale_f64 v[126:127], null, v[122:123], v[122:123], v[124:125]
	v_div_scale_f64 v[132:133], vcc_lo, v[124:125], v[122:123], v[124:125]
	v_rcp_f64_e32 v[128:129], v[126:127]
	v_fma_f64 v[130:131], -v[126:127], v[128:129], 1.0
	v_fma_f64 v[128:129], v[128:129], v[130:131], v[128:129]
	v_fma_f64 v[130:131], -v[126:127], v[128:129], 1.0
	v_fma_f64 v[128:129], v[128:129], v[130:131], v[128:129]
	v_mul_f64 v[130:131], v[132:133], v[128:129]
	v_fma_f64 v[126:127], -v[126:127], v[130:131], v[132:133]
	v_div_fmas_f64 v[126:127], v[126:127], v[128:129], v[130:131]
	v_div_fixup_f64 v[128:129], v[126:127], v[122:123], v[124:125]
	v_fma_f64 v[122:123], v[124:125], v[128:129], v[122:123]
	v_div_scale_f64 v[124:125], null, v[122:123], v[122:123], 1.0
	v_rcp_f64_e32 v[126:127], v[124:125]
	v_fma_f64 v[130:131], -v[124:125], v[126:127], 1.0
	v_fma_f64 v[126:127], v[126:127], v[130:131], v[126:127]
	v_fma_f64 v[130:131], -v[124:125], v[126:127], 1.0
	v_fma_f64 v[126:127], v[126:127], v[130:131], v[126:127]
	v_div_scale_f64 v[130:131], vcc_lo, 1.0, v[122:123], 1.0
	v_mul_f64 v[132:133], v[130:131], v[126:127]
	v_fma_f64 v[124:125], -v[124:125], v[132:133], v[130:131]
	v_div_fmas_f64 v[124:125], v[124:125], v[126:127], v[132:133]
	v_div_fixup_f64 v[126:127], v[124:125], v[122:123], 1.0
	v_mul_f64 v[128:129], v[128:129], -v[126:127]
.LBB55_25:
	s_or_b32 exec_lo, exec_lo, s1
	ds_write2_b64 v1, v[126:127], v[128:129] offset1:1
.LBB55_26:
	s_or_b32 exec_lo, exec_lo, s2
	s_waitcnt lgkmcnt(0)
	s_barrier
	buffer_gl0_inv
	ds_read2_b64 v[122:125], v1 offset1:1
	s_mov_b32 s1, exec_lo
	v_cmpx_lt_u32_e32 2, v0
	s_cbranch_execz .LBB55_28
; %bb.27:
	s_waitcnt lgkmcnt(0)
	v_mul_f64 v[126:127], v[124:125], v[104:105]
	v_mul_f64 v[104:105], v[122:123], v[104:105]
	ds_read2_b64 v[128:131], v254 offset0:6 offset1:7
	v_fma_f64 v[126:127], v[122:123], v[102:103], -v[126:127]
	v_fma_f64 v[104:105], v[124:125], v[102:103], v[104:105]
	s_waitcnt lgkmcnt(0)
	v_mul_f64 v[102:103], v[130:131], v[104:105]
	v_fma_f64 v[102:103], v[128:129], v[126:127], -v[102:103]
	v_mul_f64 v[128:129], v[128:129], v[104:105]
	v_add_f64 v[98:99], v[98:99], -v[102:103]
	v_fma_f64 v[128:129], v[130:131], v[126:127], v[128:129]
	v_add_f64 v[100:101], v[100:101], -v[128:129]
	ds_read2_b64 v[128:131], v254 offset0:8 offset1:9
	s_waitcnt lgkmcnt(0)
	v_mul_f64 v[102:103], v[130:131], v[104:105]
	v_fma_f64 v[102:103], v[128:129], v[126:127], -v[102:103]
	v_mul_f64 v[128:129], v[128:129], v[104:105]
	v_add_f64 v[94:95], v[94:95], -v[102:103]
	v_fma_f64 v[128:129], v[130:131], v[126:127], v[128:129]
	v_add_f64 v[96:97], v[96:97], -v[128:129]
	ds_read2_b64 v[128:131], v254 offset0:10 offset1:11
	;; [unrolled: 8-line block ×24, first 2 shown]
	s_waitcnt lgkmcnt(0)
	v_mul_f64 v[102:103], v[130:131], v[104:105]
	v_fma_f64 v[102:103], v[128:129], v[126:127], -v[102:103]
	v_mul_f64 v[128:129], v[128:129], v[104:105]
	v_add_f64 v[2:3], v[2:3], -v[102:103]
	v_fma_f64 v[128:129], v[130:131], v[126:127], v[128:129]
	v_mov_b32_e32 v102, v126
	v_mov_b32_e32 v103, v127
	v_add_f64 v[4:5], v[4:5], -v[128:129]
.LBB55_28:
	s_or_b32 exec_lo, exec_lo, s1
	s_mov_b32 s2, exec_lo
	s_waitcnt lgkmcnt(0)
	s_barrier
	buffer_gl0_inv
	v_cmpx_eq_u32_e32 3, v0
	s_cbranch_execz .LBB55_35
; %bb.29:
	ds_write2_b64 v1, v[98:99], v[100:101] offset1:1
	ds_write2_b64 v254, v[94:95], v[96:97] offset0:8 offset1:9
	ds_write2_b64 v254, v[90:91], v[92:93] offset0:10 offset1:11
	;; [unrolled: 1-line block ×24, first 2 shown]
	ds_read2_b64 v[126:129], v1 offset1:1
	s_waitcnt lgkmcnt(0)
	v_cmp_neq_f64_e32 vcc_lo, 0, v[126:127]
	v_cmp_neq_f64_e64 s1, 0, v[128:129]
	s_or_b32 s1, vcc_lo, s1
	s_and_b32 exec_lo, exec_lo, s1
	s_cbranch_execz .LBB55_35
; %bb.30:
	v_cmp_ngt_f64_e64 s1, |v[126:127]|, |v[128:129]|
                                        ; implicit-def: $vgpr130_vgpr131
	s_and_saveexec_b32 s3, s1
	s_xor_b32 s1, exec_lo, s3
                                        ; implicit-def: $vgpr132_vgpr133
	s_cbranch_execz .LBB55_32
; %bb.31:
	v_div_scale_f64 v[130:131], null, v[128:129], v[128:129], v[126:127]
	v_div_scale_f64 v[136:137], vcc_lo, v[126:127], v[128:129], v[126:127]
	v_rcp_f64_e32 v[132:133], v[130:131]
	v_fma_f64 v[134:135], -v[130:131], v[132:133], 1.0
	v_fma_f64 v[132:133], v[132:133], v[134:135], v[132:133]
	v_fma_f64 v[134:135], -v[130:131], v[132:133], 1.0
	v_fma_f64 v[132:133], v[132:133], v[134:135], v[132:133]
	v_mul_f64 v[134:135], v[136:137], v[132:133]
	v_fma_f64 v[130:131], -v[130:131], v[134:135], v[136:137]
	v_div_fmas_f64 v[130:131], v[130:131], v[132:133], v[134:135]
	v_div_fixup_f64 v[130:131], v[130:131], v[128:129], v[126:127]
	v_fma_f64 v[126:127], v[126:127], v[130:131], v[128:129]
	v_div_scale_f64 v[128:129], null, v[126:127], v[126:127], 1.0
	v_rcp_f64_e32 v[132:133], v[128:129]
	v_fma_f64 v[134:135], -v[128:129], v[132:133], 1.0
	v_fma_f64 v[132:133], v[132:133], v[134:135], v[132:133]
	v_fma_f64 v[134:135], -v[128:129], v[132:133], 1.0
	v_fma_f64 v[132:133], v[132:133], v[134:135], v[132:133]
	v_div_scale_f64 v[134:135], vcc_lo, 1.0, v[126:127], 1.0
	v_mul_f64 v[136:137], v[134:135], v[132:133]
	v_fma_f64 v[128:129], -v[128:129], v[136:137], v[134:135]
	v_div_fmas_f64 v[128:129], v[128:129], v[132:133], v[136:137]
	v_div_fixup_f64 v[132:133], v[128:129], v[126:127], 1.0
                                        ; implicit-def: $vgpr126_vgpr127
	v_mul_f64 v[130:131], v[130:131], v[132:133]
	v_xor_b32_e32 v133, 0x80000000, v133
.LBB55_32:
	s_andn2_saveexec_b32 s1, s1
	s_cbranch_execz .LBB55_34
; %bb.33:
	v_div_scale_f64 v[130:131], null, v[126:127], v[126:127], v[128:129]
	v_div_scale_f64 v[136:137], vcc_lo, v[128:129], v[126:127], v[128:129]
	v_rcp_f64_e32 v[132:133], v[130:131]
	v_fma_f64 v[134:135], -v[130:131], v[132:133], 1.0
	v_fma_f64 v[132:133], v[132:133], v[134:135], v[132:133]
	v_fma_f64 v[134:135], -v[130:131], v[132:133], 1.0
	v_fma_f64 v[132:133], v[132:133], v[134:135], v[132:133]
	v_mul_f64 v[134:135], v[136:137], v[132:133]
	v_fma_f64 v[130:131], -v[130:131], v[134:135], v[136:137]
	v_div_fmas_f64 v[130:131], v[130:131], v[132:133], v[134:135]
	v_div_fixup_f64 v[132:133], v[130:131], v[126:127], v[128:129]
	v_fma_f64 v[126:127], v[128:129], v[132:133], v[126:127]
	v_div_scale_f64 v[128:129], null, v[126:127], v[126:127], 1.0
	v_rcp_f64_e32 v[130:131], v[128:129]
	v_fma_f64 v[134:135], -v[128:129], v[130:131], 1.0
	v_fma_f64 v[130:131], v[130:131], v[134:135], v[130:131]
	v_fma_f64 v[134:135], -v[128:129], v[130:131], 1.0
	v_fma_f64 v[130:131], v[130:131], v[134:135], v[130:131]
	v_div_scale_f64 v[134:135], vcc_lo, 1.0, v[126:127], 1.0
	v_mul_f64 v[136:137], v[134:135], v[130:131]
	v_fma_f64 v[128:129], -v[128:129], v[136:137], v[134:135]
	v_div_fmas_f64 v[128:129], v[128:129], v[130:131], v[136:137]
	v_div_fixup_f64 v[130:131], v[128:129], v[126:127], 1.0
	v_mul_f64 v[132:133], v[132:133], -v[130:131]
.LBB55_34:
	s_or_b32 exec_lo, exec_lo, s1
	ds_write2_b64 v1, v[130:131], v[132:133] offset1:1
.LBB55_35:
	s_or_b32 exec_lo, exec_lo, s2
	s_waitcnt lgkmcnt(0)
	s_barrier
	buffer_gl0_inv
	ds_read2_b64 v[126:129], v1 offset1:1
	s_mov_b32 s1, exec_lo
	v_cmpx_lt_u32_e32 3, v0
	s_cbranch_execz .LBB55_37
; %bb.36:
	s_waitcnt lgkmcnt(0)
	v_mul_f64 v[130:131], v[128:129], v[100:101]
	v_mul_f64 v[100:101], v[126:127], v[100:101]
	ds_read2_b64 v[132:135], v254 offset0:8 offset1:9
	v_fma_f64 v[130:131], v[126:127], v[98:99], -v[130:131]
	v_fma_f64 v[100:101], v[128:129], v[98:99], v[100:101]
	s_waitcnt lgkmcnt(0)
	v_mul_f64 v[98:99], v[134:135], v[100:101]
	v_fma_f64 v[98:99], v[132:133], v[130:131], -v[98:99]
	v_mul_f64 v[132:133], v[132:133], v[100:101]
	v_add_f64 v[94:95], v[94:95], -v[98:99]
	v_fma_f64 v[132:133], v[134:135], v[130:131], v[132:133]
	v_add_f64 v[96:97], v[96:97], -v[132:133]
	ds_read2_b64 v[132:135], v254 offset0:10 offset1:11
	s_waitcnt lgkmcnt(0)
	v_mul_f64 v[98:99], v[134:135], v[100:101]
	v_fma_f64 v[98:99], v[132:133], v[130:131], -v[98:99]
	v_mul_f64 v[132:133], v[132:133], v[100:101]
	v_add_f64 v[90:91], v[90:91], -v[98:99]
	v_fma_f64 v[132:133], v[134:135], v[130:131], v[132:133]
	v_add_f64 v[92:93], v[92:93], -v[132:133]
	ds_read2_b64 v[132:135], v254 offset0:12 offset1:13
	;; [unrolled: 8-line block ×23, first 2 shown]
	s_waitcnt lgkmcnt(0)
	v_mul_f64 v[98:99], v[134:135], v[100:101]
	v_fma_f64 v[98:99], v[132:133], v[130:131], -v[98:99]
	v_mul_f64 v[132:133], v[132:133], v[100:101]
	v_add_f64 v[2:3], v[2:3], -v[98:99]
	v_fma_f64 v[132:133], v[134:135], v[130:131], v[132:133]
	v_mov_b32_e32 v98, v130
	v_mov_b32_e32 v99, v131
	v_add_f64 v[4:5], v[4:5], -v[132:133]
.LBB55_37:
	s_or_b32 exec_lo, exec_lo, s1
	s_mov_b32 s2, exec_lo
	s_waitcnt lgkmcnt(0)
	s_barrier
	buffer_gl0_inv
	v_cmpx_eq_u32_e32 4, v0
	s_cbranch_execz .LBB55_44
; %bb.38:
	ds_write2_b64 v1, v[94:95], v[96:97] offset1:1
	ds_write2_b64 v254, v[90:91], v[92:93] offset0:10 offset1:11
	ds_write2_b64 v254, v[86:87], v[88:89] offset0:12 offset1:13
	;; [unrolled: 1-line block ×23, first 2 shown]
	ds_read2_b64 v[130:133], v1 offset1:1
	s_waitcnt lgkmcnt(0)
	v_cmp_neq_f64_e32 vcc_lo, 0, v[130:131]
	v_cmp_neq_f64_e64 s1, 0, v[132:133]
	s_or_b32 s1, vcc_lo, s1
	s_and_b32 exec_lo, exec_lo, s1
	s_cbranch_execz .LBB55_44
; %bb.39:
	v_cmp_ngt_f64_e64 s1, |v[130:131]|, |v[132:133]|
                                        ; implicit-def: $vgpr134_vgpr135
	s_and_saveexec_b32 s3, s1
	s_xor_b32 s1, exec_lo, s3
                                        ; implicit-def: $vgpr136_vgpr137
	s_cbranch_execz .LBB55_41
; %bb.40:
	v_div_scale_f64 v[134:135], null, v[132:133], v[132:133], v[130:131]
	v_div_scale_f64 v[140:141], vcc_lo, v[130:131], v[132:133], v[130:131]
	v_rcp_f64_e32 v[136:137], v[134:135]
	v_fma_f64 v[138:139], -v[134:135], v[136:137], 1.0
	v_fma_f64 v[136:137], v[136:137], v[138:139], v[136:137]
	v_fma_f64 v[138:139], -v[134:135], v[136:137], 1.0
	v_fma_f64 v[136:137], v[136:137], v[138:139], v[136:137]
	v_mul_f64 v[138:139], v[140:141], v[136:137]
	v_fma_f64 v[134:135], -v[134:135], v[138:139], v[140:141]
	v_div_fmas_f64 v[134:135], v[134:135], v[136:137], v[138:139]
	v_div_fixup_f64 v[134:135], v[134:135], v[132:133], v[130:131]
	v_fma_f64 v[130:131], v[130:131], v[134:135], v[132:133]
	v_div_scale_f64 v[132:133], null, v[130:131], v[130:131], 1.0
	v_rcp_f64_e32 v[136:137], v[132:133]
	v_fma_f64 v[138:139], -v[132:133], v[136:137], 1.0
	v_fma_f64 v[136:137], v[136:137], v[138:139], v[136:137]
	v_fma_f64 v[138:139], -v[132:133], v[136:137], 1.0
	v_fma_f64 v[136:137], v[136:137], v[138:139], v[136:137]
	v_div_scale_f64 v[138:139], vcc_lo, 1.0, v[130:131], 1.0
	v_mul_f64 v[140:141], v[138:139], v[136:137]
	v_fma_f64 v[132:133], -v[132:133], v[140:141], v[138:139]
	v_div_fmas_f64 v[132:133], v[132:133], v[136:137], v[140:141]
	v_div_fixup_f64 v[136:137], v[132:133], v[130:131], 1.0
                                        ; implicit-def: $vgpr130_vgpr131
	v_mul_f64 v[134:135], v[134:135], v[136:137]
	v_xor_b32_e32 v137, 0x80000000, v137
.LBB55_41:
	s_andn2_saveexec_b32 s1, s1
	s_cbranch_execz .LBB55_43
; %bb.42:
	v_div_scale_f64 v[134:135], null, v[130:131], v[130:131], v[132:133]
	v_div_scale_f64 v[140:141], vcc_lo, v[132:133], v[130:131], v[132:133]
	v_rcp_f64_e32 v[136:137], v[134:135]
	v_fma_f64 v[138:139], -v[134:135], v[136:137], 1.0
	v_fma_f64 v[136:137], v[136:137], v[138:139], v[136:137]
	v_fma_f64 v[138:139], -v[134:135], v[136:137], 1.0
	v_fma_f64 v[136:137], v[136:137], v[138:139], v[136:137]
	v_mul_f64 v[138:139], v[140:141], v[136:137]
	v_fma_f64 v[134:135], -v[134:135], v[138:139], v[140:141]
	v_div_fmas_f64 v[134:135], v[134:135], v[136:137], v[138:139]
	v_div_fixup_f64 v[136:137], v[134:135], v[130:131], v[132:133]
	v_fma_f64 v[130:131], v[132:133], v[136:137], v[130:131]
	v_div_scale_f64 v[132:133], null, v[130:131], v[130:131], 1.0
	v_rcp_f64_e32 v[134:135], v[132:133]
	v_fma_f64 v[138:139], -v[132:133], v[134:135], 1.0
	v_fma_f64 v[134:135], v[134:135], v[138:139], v[134:135]
	v_fma_f64 v[138:139], -v[132:133], v[134:135], 1.0
	v_fma_f64 v[134:135], v[134:135], v[138:139], v[134:135]
	v_div_scale_f64 v[138:139], vcc_lo, 1.0, v[130:131], 1.0
	v_mul_f64 v[140:141], v[138:139], v[134:135]
	v_fma_f64 v[132:133], -v[132:133], v[140:141], v[138:139]
	v_div_fmas_f64 v[132:133], v[132:133], v[134:135], v[140:141]
	v_div_fixup_f64 v[134:135], v[132:133], v[130:131], 1.0
	v_mul_f64 v[136:137], v[136:137], -v[134:135]
.LBB55_43:
	s_or_b32 exec_lo, exec_lo, s1
	ds_write2_b64 v1, v[134:135], v[136:137] offset1:1
.LBB55_44:
	s_or_b32 exec_lo, exec_lo, s2
	s_waitcnt lgkmcnt(0)
	s_barrier
	buffer_gl0_inv
	ds_read2_b64 v[130:133], v1 offset1:1
	s_mov_b32 s1, exec_lo
	v_cmpx_lt_u32_e32 4, v0
	s_cbranch_execz .LBB55_46
; %bb.45:
	s_waitcnt lgkmcnt(0)
	v_mul_f64 v[134:135], v[132:133], v[96:97]
	v_mul_f64 v[96:97], v[130:131], v[96:97]
	ds_read2_b64 v[136:139], v254 offset0:10 offset1:11
	v_fma_f64 v[134:135], v[130:131], v[94:95], -v[134:135]
	v_fma_f64 v[96:97], v[132:133], v[94:95], v[96:97]
	s_waitcnt lgkmcnt(0)
	v_mul_f64 v[94:95], v[138:139], v[96:97]
	v_fma_f64 v[94:95], v[136:137], v[134:135], -v[94:95]
	v_mul_f64 v[136:137], v[136:137], v[96:97]
	v_add_f64 v[90:91], v[90:91], -v[94:95]
	v_fma_f64 v[136:137], v[138:139], v[134:135], v[136:137]
	v_add_f64 v[92:93], v[92:93], -v[136:137]
	ds_read2_b64 v[136:139], v254 offset0:12 offset1:13
	s_waitcnt lgkmcnt(0)
	v_mul_f64 v[94:95], v[138:139], v[96:97]
	v_fma_f64 v[94:95], v[136:137], v[134:135], -v[94:95]
	v_mul_f64 v[136:137], v[136:137], v[96:97]
	v_add_f64 v[86:87], v[86:87], -v[94:95]
	v_fma_f64 v[136:137], v[138:139], v[134:135], v[136:137]
	v_add_f64 v[88:89], v[88:89], -v[136:137]
	ds_read2_b64 v[136:139], v254 offset0:14 offset1:15
	;; [unrolled: 8-line block ×22, first 2 shown]
	s_waitcnt lgkmcnt(0)
	v_mul_f64 v[94:95], v[138:139], v[96:97]
	v_fma_f64 v[94:95], v[136:137], v[134:135], -v[94:95]
	v_mul_f64 v[136:137], v[136:137], v[96:97]
	v_add_f64 v[2:3], v[2:3], -v[94:95]
	v_fma_f64 v[136:137], v[138:139], v[134:135], v[136:137]
	v_mov_b32_e32 v94, v134
	v_mov_b32_e32 v95, v135
	v_add_f64 v[4:5], v[4:5], -v[136:137]
.LBB55_46:
	s_or_b32 exec_lo, exec_lo, s1
	s_mov_b32 s2, exec_lo
	s_waitcnt lgkmcnt(0)
	s_barrier
	buffer_gl0_inv
	v_cmpx_eq_u32_e32 5, v0
	s_cbranch_execz .LBB55_53
; %bb.47:
	ds_write2_b64 v1, v[90:91], v[92:93] offset1:1
	ds_write2_b64 v254, v[86:87], v[88:89] offset0:12 offset1:13
	ds_write2_b64 v254, v[82:83], v[84:85] offset0:14 offset1:15
	;; [unrolled: 1-line block ×22, first 2 shown]
	ds_read2_b64 v[134:137], v1 offset1:1
	s_waitcnt lgkmcnt(0)
	v_cmp_neq_f64_e32 vcc_lo, 0, v[134:135]
	v_cmp_neq_f64_e64 s1, 0, v[136:137]
	s_or_b32 s1, vcc_lo, s1
	s_and_b32 exec_lo, exec_lo, s1
	s_cbranch_execz .LBB55_53
; %bb.48:
	v_cmp_ngt_f64_e64 s1, |v[134:135]|, |v[136:137]|
                                        ; implicit-def: $vgpr138_vgpr139
	s_and_saveexec_b32 s3, s1
	s_xor_b32 s1, exec_lo, s3
                                        ; implicit-def: $vgpr140_vgpr141
	s_cbranch_execz .LBB55_50
; %bb.49:
	v_div_scale_f64 v[138:139], null, v[136:137], v[136:137], v[134:135]
	v_div_scale_f64 v[144:145], vcc_lo, v[134:135], v[136:137], v[134:135]
	v_rcp_f64_e32 v[140:141], v[138:139]
	v_fma_f64 v[142:143], -v[138:139], v[140:141], 1.0
	v_fma_f64 v[140:141], v[140:141], v[142:143], v[140:141]
	v_fma_f64 v[142:143], -v[138:139], v[140:141], 1.0
	v_fma_f64 v[140:141], v[140:141], v[142:143], v[140:141]
	v_mul_f64 v[142:143], v[144:145], v[140:141]
	v_fma_f64 v[138:139], -v[138:139], v[142:143], v[144:145]
	v_div_fmas_f64 v[138:139], v[138:139], v[140:141], v[142:143]
	v_div_fixup_f64 v[138:139], v[138:139], v[136:137], v[134:135]
	v_fma_f64 v[134:135], v[134:135], v[138:139], v[136:137]
	v_div_scale_f64 v[136:137], null, v[134:135], v[134:135], 1.0
	v_rcp_f64_e32 v[140:141], v[136:137]
	v_fma_f64 v[142:143], -v[136:137], v[140:141], 1.0
	v_fma_f64 v[140:141], v[140:141], v[142:143], v[140:141]
	v_fma_f64 v[142:143], -v[136:137], v[140:141], 1.0
	v_fma_f64 v[140:141], v[140:141], v[142:143], v[140:141]
	v_div_scale_f64 v[142:143], vcc_lo, 1.0, v[134:135], 1.0
	v_mul_f64 v[144:145], v[142:143], v[140:141]
	v_fma_f64 v[136:137], -v[136:137], v[144:145], v[142:143]
	v_div_fmas_f64 v[136:137], v[136:137], v[140:141], v[144:145]
	v_div_fixup_f64 v[140:141], v[136:137], v[134:135], 1.0
                                        ; implicit-def: $vgpr134_vgpr135
	v_mul_f64 v[138:139], v[138:139], v[140:141]
	v_xor_b32_e32 v141, 0x80000000, v141
.LBB55_50:
	s_andn2_saveexec_b32 s1, s1
	s_cbranch_execz .LBB55_52
; %bb.51:
	v_div_scale_f64 v[138:139], null, v[134:135], v[134:135], v[136:137]
	v_div_scale_f64 v[144:145], vcc_lo, v[136:137], v[134:135], v[136:137]
	v_rcp_f64_e32 v[140:141], v[138:139]
	v_fma_f64 v[142:143], -v[138:139], v[140:141], 1.0
	v_fma_f64 v[140:141], v[140:141], v[142:143], v[140:141]
	v_fma_f64 v[142:143], -v[138:139], v[140:141], 1.0
	v_fma_f64 v[140:141], v[140:141], v[142:143], v[140:141]
	v_mul_f64 v[142:143], v[144:145], v[140:141]
	v_fma_f64 v[138:139], -v[138:139], v[142:143], v[144:145]
	v_div_fmas_f64 v[138:139], v[138:139], v[140:141], v[142:143]
	v_div_fixup_f64 v[140:141], v[138:139], v[134:135], v[136:137]
	v_fma_f64 v[134:135], v[136:137], v[140:141], v[134:135]
	v_div_scale_f64 v[136:137], null, v[134:135], v[134:135], 1.0
	v_rcp_f64_e32 v[138:139], v[136:137]
	v_fma_f64 v[142:143], -v[136:137], v[138:139], 1.0
	v_fma_f64 v[138:139], v[138:139], v[142:143], v[138:139]
	v_fma_f64 v[142:143], -v[136:137], v[138:139], 1.0
	v_fma_f64 v[138:139], v[138:139], v[142:143], v[138:139]
	v_div_scale_f64 v[142:143], vcc_lo, 1.0, v[134:135], 1.0
	v_mul_f64 v[144:145], v[142:143], v[138:139]
	v_fma_f64 v[136:137], -v[136:137], v[144:145], v[142:143]
	v_div_fmas_f64 v[136:137], v[136:137], v[138:139], v[144:145]
	v_div_fixup_f64 v[138:139], v[136:137], v[134:135], 1.0
	v_mul_f64 v[140:141], v[140:141], -v[138:139]
.LBB55_52:
	s_or_b32 exec_lo, exec_lo, s1
	ds_write2_b64 v1, v[138:139], v[140:141] offset1:1
.LBB55_53:
	s_or_b32 exec_lo, exec_lo, s2
	s_waitcnt lgkmcnt(0)
	s_barrier
	buffer_gl0_inv
	ds_read2_b64 v[134:137], v1 offset1:1
	s_mov_b32 s1, exec_lo
	v_cmpx_lt_u32_e32 5, v0
	s_cbranch_execz .LBB55_55
; %bb.54:
	s_waitcnt lgkmcnt(0)
	v_mul_f64 v[138:139], v[136:137], v[92:93]
	v_mul_f64 v[92:93], v[134:135], v[92:93]
	ds_read2_b64 v[140:143], v254 offset0:12 offset1:13
	v_fma_f64 v[138:139], v[134:135], v[90:91], -v[138:139]
	v_fma_f64 v[92:93], v[136:137], v[90:91], v[92:93]
	s_waitcnt lgkmcnt(0)
	v_mul_f64 v[90:91], v[142:143], v[92:93]
	v_fma_f64 v[90:91], v[140:141], v[138:139], -v[90:91]
	v_mul_f64 v[140:141], v[140:141], v[92:93]
	v_add_f64 v[86:87], v[86:87], -v[90:91]
	v_fma_f64 v[140:141], v[142:143], v[138:139], v[140:141]
	v_add_f64 v[88:89], v[88:89], -v[140:141]
	ds_read2_b64 v[140:143], v254 offset0:14 offset1:15
	s_waitcnt lgkmcnt(0)
	v_mul_f64 v[90:91], v[142:143], v[92:93]
	v_fma_f64 v[90:91], v[140:141], v[138:139], -v[90:91]
	v_mul_f64 v[140:141], v[140:141], v[92:93]
	v_add_f64 v[82:83], v[82:83], -v[90:91]
	v_fma_f64 v[140:141], v[142:143], v[138:139], v[140:141]
	v_add_f64 v[84:85], v[84:85], -v[140:141]
	ds_read2_b64 v[140:143], v254 offset0:16 offset1:17
	s_waitcnt lgkmcnt(0)
	v_mul_f64 v[90:91], v[142:143], v[92:93]
	v_fma_f64 v[90:91], v[140:141], v[138:139], -v[90:91]
	v_mul_f64 v[140:141], v[140:141], v[92:93]
	v_add_f64 v[78:79], v[78:79], -v[90:91]
	v_fma_f64 v[140:141], v[142:143], v[138:139], v[140:141]
	v_add_f64 v[80:81], v[80:81], -v[140:141]
	ds_read2_b64 v[140:143], v254 offset0:18 offset1:19
	s_waitcnt lgkmcnt(0)
	v_mul_f64 v[90:91], v[142:143], v[92:93]
	v_fma_f64 v[90:91], v[140:141], v[138:139], -v[90:91]
	v_mul_f64 v[140:141], v[140:141], v[92:93]
	v_add_f64 v[74:75], v[74:75], -v[90:91]
	v_fma_f64 v[140:141], v[142:143], v[138:139], v[140:141]
	v_add_f64 v[76:77], v[76:77], -v[140:141]
	ds_read2_b64 v[140:143], v254 offset0:20 offset1:21
	s_waitcnt lgkmcnt(0)
	v_mul_f64 v[90:91], v[142:143], v[92:93]
	v_fma_f64 v[90:91], v[140:141], v[138:139], -v[90:91]
	v_mul_f64 v[140:141], v[140:141], v[92:93]
	v_add_f64 v[70:71], v[70:71], -v[90:91]
	v_fma_f64 v[140:141], v[142:143], v[138:139], v[140:141]
	v_add_f64 v[72:73], v[72:73], -v[140:141]
	ds_read2_b64 v[140:143], v254 offset0:22 offset1:23
	s_waitcnt lgkmcnt(0)
	v_mul_f64 v[90:91], v[142:143], v[92:93]
	v_fma_f64 v[90:91], v[140:141], v[138:139], -v[90:91]
	v_mul_f64 v[140:141], v[140:141], v[92:93]
	v_add_f64 v[66:67], v[66:67], -v[90:91]
	v_fma_f64 v[140:141], v[142:143], v[138:139], v[140:141]
	v_add_f64 v[68:69], v[68:69], -v[140:141]
	ds_read2_b64 v[140:143], v254 offset0:24 offset1:25
	s_waitcnt lgkmcnt(0)
	v_mul_f64 v[90:91], v[142:143], v[92:93]
	v_fma_f64 v[90:91], v[140:141], v[138:139], -v[90:91]
	v_mul_f64 v[140:141], v[140:141], v[92:93]
	v_add_f64 v[62:63], v[62:63], -v[90:91]
	v_fma_f64 v[140:141], v[142:143], v[138:139], v[140:141]
	v_add_f64 v[64:65], v[64:65], -v[140:141]
	ds_read2_b64 v[140:143], v254 offset0:26 offset1:27
	s_waitcnt lgkmcnt(0)
	v_mul_f64 v[90:91], v[142:143], v[92:93]
	v_fma_f64 v[90:91], v[140:141], v[138:139], -v[90:91]
	v_mul_f64 v[140:141], v[140:141], v[92:93]
	v_add_f64 v[58:59], v[58:59], -v[90:91]
	v_fma_f64 v[140:141], v[142:143], v[138:139], v[140:141]
	v_add_f64 v[60:61], v[60:61], -v[140:141]
	ds_read2_b64 v[140:143], v254 offset0:28 offset1:29
	s_waitcnt lgkmcnt(0)
	v_mul_f64 v[90:91], v[142:143], v[92:93]
	v_fma_f64 v[90:91], v[140:141], v[138:139], -v[90:91]
	v_mul_f64 v[140:141], v[140:141], v[92:93]
	v_add_f64 v[54:55], v[54:55], -v[90:91]
	v_fma_f64 v[140:141], v[142:143], v[138:139], v[140:141]
	v_add_f64 v[56:57], v[56:57], -v[140:141]
	ds_read2_b64 v[140:143], v254 offset0:30 offset1:31
	s_waitcnt lgkmcnt(0)
	v_mul_f64 v[90:91], v[142:143], v[92:93]
	v_fma_f64 v[90:91], v[140:141], v[138:139], -v[90:91]
	v_mul_f64 v[140:141], v[140:141], v[92:93]
	v_add_f64 v[50:51], v[50:51], -v[90:91]
	v_fma_f64 v[140:141], v[142:143], v[138:139], v[140:141]
	v_add_f64 v[52:53], v[52:53], -v[140:141]
	ds_read2_b64 v[140:143], v254 offset0:32 offset1:33
	s_waitcnt lgkmcnt(0)
	v_mul_f64 v[90:91], v[142:143], v[92:93]
	v_fma_f64 v[90:91], v[140:141], v[138:139], -v[90:91]
	v_mul_f64 v[140:141], v[140:141], v[92:93]
	v_add_f64 v[46:47], v[46:47], -v[90:91]
	v_fma_f64 v[140:141], v[142:143], v[138:139], v[140:141]
	v_add_f64 v[48:49], v[48:49], -v[140:141]
	ds_read2_b64 v[140:143], v254 offset0:34 offset1:35
	s_waitcnt lgkmcnt(0)
	v_mul_f64 v[90:91], v[142:143], v[92:93]
	v_fma_f64 v[90:91], v[140:141], v[138:139], -v[90:91]
	v_mul_f64 v[140:141], v[140:141], v[92:93]
	v_add_f64 v[42:43], v[42:43], -v[90:91]
	v_fma_f64 v[140:141], v[142:143], v[138:139], v[140:141]
	v_add_f64 v[44:45], v[44:45], -v[140:141]
	ds_read2_b64 v[140:143], v254 offset0:36 offset1:37
	s_waitcnt lgkmcnt(0)
	v_mul_f64 v[90:91], v[142:143], v[92:93]
	v_fma_f64 v[90:91], v[140:141], v[138:139], -v[90:91]
	v_mul_f64 v[140:141], v[140:141], v[92:93]
	v_add_f64 v[38:39], v[38:39], -v[90:91]
	v_fma_f64 v[140:141], v[142:143], v[138:139], v[140:141]
	v_add_f64 v[40:41], v[40:41], -v[140:141]
	ds_read2_b64 v[140:143], v254 offset0:38 offset1:39
	s_waitcnt lgkmcnt(0)
	v_mul_f64 v[90:91], v[142:143], v[92:93]
	v_fma_f64 v[90:91], v[140:141], v[138:139], -v[90:91]
	v_mul_f64 v[140:141], v[140:141], v[92:93]
	v_add_f64 v[34:35], v[34:35], -v[90:91]
	v_fma_f64 v[140:141], v[142:143], v[138:139], v[140:141]
	v_add_f64 v[36:37], v[36:37], -v[140:141]
	ds_read2_b64 v[140:143], v254 offset0:40 offset1:41
	s_waitcnt lgkmcnt(0)
	v_mul_f64 v[90:91], v[142:143], v[92:93]
	v_fma_f64 v[90:91], v[140:141], v[138:139], -v[90:91]
	v_mul_f64 v[140:141], v[140:141], v[92:93]
	v_add_f64 v[30:31], v[30:31], -v[90:91]
	v_fma_f64 v[140:141], v[142:143], v[138:139], v[140:141]
	v_add_f64 v[32:33], v[32:33], -v[140:141]
	ds_read2_b64 v[140:143], v254 offset0:42 offset1:43
	s_waitcnt lgkmcnt(0)
	v_mul_f64 v[90:91], v[142:143], v[92:93]
	v_fma_f64 v[90:91], v[140:141], v[138:139], -v[90:91]
	v_mul_f64 v[140:141], v[140:141], v[92:93]
	v_add_f64 v[26:27], v[26:27], -v[90:91]
	v_fma_f64 v[140:141], v[142:143], v[138:139], v[140:141]
	v_add_f64 v[28:29], v[28:29], -v[140:141]
	ds_read2_b64 v[140:143], v254 offset0:44 offset1:45
	s_waitcnt lgkmcnt(0)
	v_mul_f64 v[90:91], v[142:143], v[92:93]
	v_fma_f64 v[90:91], v[140:141], v[138:139], -v[90:91]
	v_mul_f64 v[140:141], v[140:141], v[92:93]
	v_add_f64 v[22:23], v[22:23], -v[90:91]
	v_fma_f64 v[140:141], v[142:143], v[138:139], v[140:141]
	v_add_f64 v[24:25], v[24:25], -v[140:141]
	ds_read2_b64 v[140:143], v254 offset0:46 offset1:47
	s_waitcnt lgkmcnt(0)
	v_mul_f64 v[90:91], v[142:143], v[92:93]
	v_fma_f64 v[90:91], v[140:141], v[138:139], -v[90:91]
	v_mul_f64 v[140:141], v[140:141], v[92:93]
	v_add_f64 v[18:19], v[18:19], -v[90:91]
	v_fma_f64 v[140:141], v[142:143], v[138:139], v[140:141]
	v_add_f64 v[20:21], v[20:21], -v[140:141]
	ds_read2_b64 v[140:143], v254 offset0:48 offset1:49
	s_waitcnt lgkmcnt(0)
	v_mul_f64 v[90:91], v[142:143], v[92:93]
	v_fma_f64 v[90:91], v[140:141], v[138:139], -v[90:91]
	v_mul_f64 v[140:141], v[140:141], v[92:93]
	v_add_f64 v[14:15], v[14:15], -v[90:91]
	v_fma_f64 v[140:141], v[142:143], v[138:139], v[140:141]
	v_add_f64 v[16:17], v[16:17], -v[140:141]
	ds_read2_b64 v[140:143], v254 offset0:50 offset1:51
	s_waitcnt lgkmcnt(0)
	v_mul_f64 v[90:91], v[142:143], v[92:93]
	v_fma_f64 v[90:91], v[140:141], v[138:139], -v[90:91]
	v_mul_f64 v[140:141], v[140:141], v[92:93]
	v_add_f64 v[10:11], v[10:11], -v[90:91]
	v_fma_f64 v[140:141], v[142:143], v[138:139], v[140:141]
	v_add_f64 v[12:13], v[12:13], -v[140:141]
	ds_read2_b64 v[140:143], v254 offset0:52 offset1:53
	s_waitcnt lgkmcnt(0)
	v_mul_f64 v[90:91], v[142:143], v[92:93]
	v_fma_f64 v[90:91], v[140:141], v[138:139], -v[90:91]
	v_mul_f64 v[140:141], v[140:141], v[92:93]
	v_add_f64 v[6:7], v[6:7], -v[90:91]
	v_fma_f64 v[140:141], v[142:143], v[138:139], v[140:141]
	v_add_f64 v[8:9], v[8:9], -v[140:141]
	ds_read2_b64 v[140:143], v254 offset0:54 offset1:55
	s_waitcnt lgkmcnt(0)
	v_mul_f64 v[90:91], v[142:143], v[92:93]
	v_fma_f64 v[90:91], v[140:141], v[138:139], -v[90:91]
	v_mul_f64 v[140:141], v[140:141], v[92:93]
	v_add_f64 v[2:3], v[2:3], -v[90:91]
	v_fma_f64 v[140:141], v[142:143], v[138:139], v[140:141]
	v_mov_b32_e32 v90, v138
	v_mov_b32_e32 v91, v139
	v_add_f64 v[4:5], v[4:5], -v[140:141]
.LBB55_55:
	s_or_b32 exec_lo, exec_lo, s1
	s_mov_b32 s2, exec_lo
	s_waitcnt lgkmcnt(0)
	s_barrier
	buffer_gl0_inv
	v_cmpx_eq_u32_e32 6, v0
	s_cbranch_execz .LBB55_62
; %bb.56:
	ds_write2_b64 v1, v[86:87], v[88:89] offset1:1
	ds_write2_b64 v254, v[82:83], v[84:85] offset0:14 offset1:15
	ds_write2_b64 v254, v[78:79], v[80:81] offset0:16 offset1:17
	;; [unrolled: 1-line block ×21, first 2 shown]
	ds_read2_b64 v[138:141], v1 offset1:1
	s_waitcnt lgkmcnt(0)
	v_cmp_neq_f64_e32 vcc_lo, 0, v[138:139]
	v_cmp_neq_f64_e64 s1, 0, v[140:141]
	s_or_b32 s1, vcc_lo, s1
	s_and_b32 exec_lo, exec_lo, s1
	s_cbranch_execz .LBB55_62
; %bb.57:
	v_cmp_ngt_f64_e64 s1, |v[138:139]|, |v[140:141]|
                                        ; implicit-def: $vgpr142_vgpr143
	s_and_saveexec_b32 s3, s1
	s_xor_b32 s1, exec_lo, s3
                                        ; implicit-def: $vgpr144_vgpr145
	s_cbranch_execz .LBB55_59
; %bb.58:
	v_div_scale_f64 v[142:143], null, v[140:141], v[140:141], v[138:139]
	v_div_scale_f64 v[148:149], vcc_lo, v[138:139], v[140:141], v[138:139]
	v_rcp_f64_e32 v[144:145], v[142:143]
	v_fma_f64 v[146:147], -v[142:143], v[144:145], 1.0
	v_fma_f64 v[144:145], v[144:145], v[146:147], v[144:145]
	v_fma_f64 v[146:147], -v[142:143], v[144:145], 1.0
	v_fma_f64 v[144:145], v[144:145], v[146:147], v[144:145]
	v_mul_f64 v[146:147], v[148:149], v[144:145]
	v_fma_f64 v[142:143], -v[142:143], v[146:147], v[148:149]
	v_div_fmas_f64 v[142:143], v[142:143], v[144:145], v[146:147]
	v_div_fixup_f64 v[142:143], v[142:143], v[140:141], v[138:139]
	v_fma_f64 v[138:139], v[138:139], v[142:143], v[140:141]
	v_div_scale_f64 v[140:141], null, v[138:139], v[138:139], 1.0
	v_rcp_f64_e32 v[144:145], v[140:141]
	v_fma_f64 v[146:147], -v[140:141], v[144:145], 1.0
	v_fma_f64 v[144:145], v[144:145], v[146:147], v[144:145]
	v_fma_f64 v[146:147], -v[140:141], v[144:145], 1.0
	v_fma_f64 v[144:145], v[144:145], v[146:147], v[144:145]
	v_div_scale_f64 v[146:147], vcc_lo, 1.0, v[138:139], 1.0
	v_mul_f64 v[148:149], v[146:147], v[144:145]
	v_fma_f64 v[140:141], -v[140:141], v[148:149], v[146:147]
	v_div_fmas_f64 v[140:141], v[140:141], v[144:145], v[148:149]
	v_div_fixup_f64 v[144:145], v[140:141], v[138:139], 1.0
                                        ; implicit-def: $vgpr138_vgpr139
	v_mul_f64 v[142:143], v[142:143], v[144:145]
	v_xor_b32_e32 v145, 0x80000000, v145
.LBB55_59:
	s_andn2_saveexec_b32 s1, s1
	s_cbranch_execz .LBB55_61
; %bb.60:
	v_div_scale_f64 v[142:143], null, v[138:139], v[138:139], v[140:141]
	v_div_scale_f64 v[148:149], vcc_lo, v[140:141], v[138:139], v[140:141]
	v_rcp_f64_e32 v[144:145], v[142:143]
	v_fma_f64 v[146:147], -v[142:143], v[144:145], 1.0
	v_fma_f64 v[144:145], v[144:145], v[146:147], v[144:145]
	v_fma_f64 v[146:147], -v[142:143], v[144:145], 1.0
	v_fma_f64 v[144:145], v[144:145], v[146:147], v[144:145]
	v_mul_f64 v[146:147], v[148:149], v[144:145]
	v_fma_f64 v[142:143], -v[142:143], v[146:147], v[148:149]
	v_div_fmas_f64 v[142:143], v[142:143], v[144:145], v[146:147]
	v_div_fixup_f64 v[144:145], v[142:143], v[138:139], v[140:141]
	v_fma_f64 v[138:139], v[140:141], v[144:145], v[138:139]
	v_div_scale_f64 v[140:141], null, v[138:139], v[138:139], 1.0
	v_rcp_f64_e32 v[142:143], v[140:141]
	v_fma_f64 v[146:147], -v[140:141], v[142:143], 1.0
	v_fma_f64 v[142:143], v[142:143], v[146:147], v[142:143]
	v_fma_f64 v[146:147], -v[140:141], v[142:143], 1.0
	v_fma_f64 v[142:143], v[142:143], v[146:147], v[142:143]
	v_div_scale_f64 v[146:147], vcc_lo, 1.0, v[138:139], 1.0
	v_mul_f64 v[148:149], v[146:147], v[142:143]
	v_fma_f64 v[140:141], -v[140:141], v[148:149], v[146:147]
	v_div_fmas_f64 v[140:141], v[140:141], v[142:143], v[148:149]
	v_div_fixup_f64 v[142:143], v[140:141], v[138:139], 1.0
	v_mul_f64 v[144:145], v[144:145], -v[142:143]
.LBB55_61:
	s_or_b32 exec_lo, exec_lo, s1
	ds_write2_b64 v1, v[142:143], v[144:145] offset1:1
.LBB55_62:
	s_or_b32 exec_lo, exec_lo, s2
	s_waitcnt lgkmcnt(0)
	s_barrier
	buffer_gl0_inv
	ds_read2_b64 v[138:141], v1 offset1:1
	s_mov_b32 s1, exec_lo
	v_cmpx_lt_u32_e32 6, v0
	s_cbranch_execz .LBB55_64
; %bb.63:
	s_waitcnt lgkmcnt(0)
	v_mul_f64 v[142:143], v[140:141], v[88:89]
	v_mul_f64 v[88:89], v[138:139], v[88:89]
	ds_read2_b64 v[144:147], v254 offset0:14 offset1:15
	v_fma_f64 v[142:143], v[138:139], v[86:87], -v[142:143]
	v_fma_f64 v[88:89], v[140:141], v[86:87], v[88:89]
	s_waitcnt lgkmcnt(0)
	v_mul_f64 v[86:87], v[146:147], v[88:89]
	v_fma_f64 v[86:87], v[144:145], v[142:143], -v[86:87]
	v_mul_f64 v[144:145], v[144:145], v[88:89]
	v_add_f64 v[82:83], v[82:83], -v[86:87]
	v_fma_f64 v[144:145], v[146:147], v[142:143], v[144:145]
	v_add_f64 v[84:85], v[84:85], -v[144:145]
	ds_read2_b64 v[144:147], v254 offset0:16 offset1:17
	s_waitcnt lgkmcnt(0)
	v_mul_f64 v[86:87], v[146:147], v[88:89]
	v_fma_f64 v[86:87], v[144:145], v[142:143], -v[86:87]
	v_mul_f64 v[144:145], v[144:145], v[88:89]
	v_add_f64 v[78:79], v[78:79], -v[86:87]
	v_fma_f64 v[144:145], v[146:147], v[142:143], v[144:145]
	v_add_f64 v[80:81], v[80:81], -v[144:145]
	ds_read2_b64 v[144:147], v254 offset0:18 offset1:19
	;; [unrolled: 8-line block ×20, first 2 shown]
	s_waitcnt lgkmcnt(0)
	v_mul_f64 v[86:87], v[146:147], v[88:89]
	v_fma_f64 v[86:87], v[144:145], v[142:143], -v[86:87]
	v_mul_f64 v[144:145], v[144:145], v[88:89]
	v_add_f64 v[2:3], v[2:3], -v[86:87]
	v_fma_f64 v[144:145], v[146:147], v[142:143], v[144:145]
	v_mov_b32_e32 v86, v142
	v_mov_b32_e32 v87, v143
	v_add_f64 v[4:5], v[4:5], -v[144:145]
.LBB55_64:
	s_or_b32 exec_lo, exec_lo, s1
	s_mov_b32 s2, exec_lo
	s_waitcnt lgkmcnt(0)
	s_barrier
	buffer_gl0_inv
	v_cmpx_eq_u32_e32 7, v0
	s_cbranch_execz .LBB55_71
; %bb.65:
	ds_write2_b64 v1, v[82:83], v[84:85] offset1:1
	ds_write2_b64 v254, v[78:79], v[80:81] offset0:16 offset1:17
	ds_write2_b64 v254, v[74:75], v[76:77] offset0:18 offset1:19
	;; [unrolled: 1-line block ×20, first 2 shown]
	ds_read2_b64 v[142:145], v1 offset1:1
	s_waitcnt lgkmcnt(0)
	v_cmp_neq_f64_e32 vcc_lo, 0, v[142:143]
	v_cmp_neq_f64_e64 s1, 0, v[144:145]
	s_or_b32 s1, vcc_lo, s1
	s_and_b32 exec_lo, exec_lo, s1
	s_cbranch_execz .LBB55_71
; %bb.66:
	v_cmp_ngt_f64_e64 s1, |v[142:143]|, |v[144:145]|
                                        ; implicit-def: $vgpr146_vgpr147
	s_and_saveexec_b32 s3, s1
	s_xor_b32 s1, exec_lo, s3
                                        ; implicit-def: $vgpr148_vgpr149
	s_cbranch_execz .LBB55_68
; %bb.67:
	v_div_scale_f64 v[146:147], null, v[144:145], v[144:145], v[142:143]
	v_div_scale_f64 v[152:153], vcc_lo, v[142:143], v[144:145], v[142:143]
	v_rcp_f64_e32 v[148:149], v[146:147]
	v_fma_f64 v[150:151], -v[146:147], v[148:149], 1.0
	v_fma_f64 v[148:149], v[148:149], v[150:151], v[148:149]
	v_fma_f64 v[150:151], -v[146:147], v[148:149], 1.0
	v_fma_f64 v[148:149], v[148:149], v[150:151], v[148:149]
	v_mul_f64 v[150:151], v[152:153], v[148:149]
	v_fma_f64 v[146:147], -v[146:147], v[150:151], v[152:153]
	v_div_fmas_f64 v[146:147], v[146:147], v[148:149], v[150:151]
	v_div_fixup_f64 v[146:147], v[146:147], v[144:145], v[142:143]
	v_fma_f64 v[142:143], v[142:143], v[146:147], v[144:145]
	v_div_scale_f64 v[144:145], null, v[142:143], v[142:143], 1.0
	v_rcp_f64_e32 v[148:149], v[144:145]
	v_fma_f64 v[150:151], -v[144:145], v[148:149], 1.0
	v_fma_f64 v[148:149], v[148:149], v[150:151], v[148:149]
	v_fma_f64 v[150:151], -v[144:145], v[148:149], 1.0
	v_fma_f64 v[148:149], v[148:149], v[150:151], v[148:149]
	v_div_scale_f64 v[150:151], vcc_lo, 1.0, v[142:143], 1.0
	v_mul_f64 v[152:153], v[150:151], v[148:149]
	v_fma_f64 v[144:145], -v[144:145], v[152:153], v[150:151]
	v_div_fmas_f64 v[144:145], v[144:145], v[148:149], v[152:153]
	v_div_fixup_f64 v[148:149], v[144:145], v[142:143], 1.0
                                        ; implicit-def: $vgpr142_vgpr143
	v_mul_f64 v[146:147], v[146:147], v[148:149]
	v_xor_b32_e32 v149, 0x80000000, v149
.LBB55_68:
	s_andn2_saveexec_b32 s1, s1
	s_cbranch_execz .LBB55_70
; %bb.69:
	v_div_scale_f64 v[146:147], null, v[142:143], v[142:143], v[144:145]
	v_div_scale_f64 v[152:153], vcc_lo, v[144:145], v[142:143], v[144:145]
	v_rcp_f64_e32 v[148:149], v[146:147]
	v_fma_f64 v[150:151], -v[146:147], v[148:149], 1.0
	v_fma_f64 v[148:149], v[148:149], v[150:151], v[148:149]
	v_fma_f64 v[150:151], -v[146:147], v[148:149], 1.0
	v_fma_f64 v[148:149], v[148:149], v[150:151], v[148:149]
	v_mul_f64 v[150:151], v[152:153], v[148:149]
	v_fma_f64 v[146:147], -v[146:147], v[150:151], v[152:153]
	v_div_fmas_f64 v[146:147], v[146:147], v[148:149], v[150:151]
	v_div_fixup_f64 v[148:149], v[146:147], v[142:143], v[144:145]
	v_fma_f64 v[142:143], v[144:145], v[148:149], v[142:143]
	v_div_scale_f64 v[144:145], null, v[142:143], v[142:143], 1.0
	v_rcp_f64_e32 v[146:147], v[144:145]
	v_fma_f64 v[150:151], -v[144:145], v[146:147], 1.0
	v_fma_f64 v[146:147], v[146:147], v[150:151], v[146:147]
	v_fma_f64 v[150:151], -v[144:145], v[146:147], 1.0
	v_fma_f64 v[146:147], v[146:147], v[150:151], v[146:147]
	v_div_scale_f64 v[150:151], vcc_lo, 1.0, v[142:143], 1.0
	v_mul_f64 v[152:153], v[150:151], v[146:147]
	v_fma_f64 v[144:145], -v[144:145], v[152:153], v[150:151]
	v_div_fmas_f64 v[144:145], v[144:145], v[146:147], v[152:153]
	v_div_fixup_f64 v[146:147], v[144:145], v[142:143], 1.0
	v_mul_f64 v[148:149], v[148:149], -v[146:147]
.LBB55_70:
	s_or_b32 exec_lo, exec_lo, s1
	ds_write2_b64 v1, v[146:147], v[148:149] offset1:1
.LBB55_71:
	s_or_b32 exec_lo, exec_lo, s2
	s_waitcnt lgkmcnt(0)
	s_barrier
	buffer_gl0_inv
	ds_read2_b64 v[142:145], v1 offset1:1
	s_mov_b32 s1, exec_lo
	v_cmpx_lt_u32_e32 7, v0
	s_cbranch_execz .LBB55_73
; %bb.72:
	s_waitcnt lgkmcnt(0)
	v_mul_f64 v[146:147], v[144:145], v[84:85]
	v_mul_f64 v[84:85], v[142:143], v[84:85]
	ds_read2_b64 v[148:151], v254 offset0:16 offset1:17
	v_fma_f64 v[146:147], v[142:143], v[82:83], -v[146:147]
	v_fma_f64 v[84:85], v[144:145], v[82:83], v[84:85]
	s_waitcnt lgkmcnt(0)
	v_mul_f64 v[82:83], v[150:151], v[84:85]
	v_fma_f64 v[82:83], v[148:149], v[146:147], -v[82:83]
	v_mul_f64 v[148:149], v[148:149], v[84:85]
	v_add_f64 v[78:79], v[78:79], -v[82:83]
	v_fma_f64 v[148:149], v[150:151], v[146:147], v[148:149]
	v_add_f64 v[80:81], v[80:81], -v[148:149]
	ds_read2_b64 v[148:151], v254 offset0:18 offset1:19
	s_waitcnt lgkmcnt(0)
	v_mul_f64 v[82:83], v[150:151], v[84:85]
	v_fma_f64 v[82:83], v[148:149], v[146:147], -v[82:83]
	v_mul_f64 v[148:149], v[148:149], v[84:85]
	v_add_f64 v[74:75], v[74:75], -v[82:83]
	v_fma_f64 v[148:149], v[150:151], v[146:147], v[148:149]
	v_add_f64 v[76:77], v[76:77], -v[148:149]
	ds_read2_b64 v[148:151], v254 offset0:20 offset1:21
	;; [unrolled: 8-line block ×19, first 2 shown]
	s_waitcnt lgkmcnt(0)
	v_mul_f64 v[82:83], v[150:151], v[84:85]
	v_fma_f64 v[82:83], v[148:149], v[146:147], -v[82:83]
	v_mul_f64 v[148:149], v[148:149], v[84:85]
	v_add_f64 v[2:3], v[2:3], -v[82:83]
	v_fma_f64 v[148:149], v[150:151], v[146:147], v[148:149]
	v_mov_b32_e32 v82, v146
	v_mov_b32_e32 v83, v147
	v_add_f64 v[4:5], v[4:5], -v[148:149]
.LBB55_73:
	s_or_b32 exec_lo, exec_lo, s1
	s_mov_b32 s2, exec_lo
	s_waitcnt lgkmcnt(0)
	s_barrier
	buffer_gl0_inv
	v_cmpx_eq_u32_e32 8, v0
	s_cbranch_execz .LBB55_80
; %bb.74:
	ds_write2_b64 v1, v[78:79], v[80:81] offset1:1
	ds_write2_b64 v254, v[74:75], v[76:77] offset0:18 offset1:19
	ds_write2_b64 v254, v[70:71], v[72:73] offset0:20 offset1:21
	;; [unrolled: 1-line block ×19, first 2 shown]
	ds_read2_b64 v[146:149], v1 offset1:1
	s_waitcnt lgkmcnt(0)
	v_cmp_neq_f64_e32 vcc_lo, 0, v[146:147]
	v_cmp_neq_f64_e64 s1, 0, v[148:149]
	s_or_b32 s1, vcc_lo, s1
	s_and_b32 exec_lo, exec_lo, s1
	s_cbranch_execz .LBB55_80
; %bb.75:
	v_cmp_ngt_f64_e64 s1, |v[146:147]|, |v[148:149]|
                                        ; implicit-def: $vgpr150_vgpr151
	s_and_saveexec_b32 s3, s1
	s_xor_b32 s1, exec_lo, s3
                                        ; implicit-def: $vgpr152_vgpr153
	s_cbranch_execz .LBB55_77
; %bb.76:
	v_div_scale_f64 v[150:151], null, v[148:149], v[148:149], v[146:147]
	v_div_scale_f64 v[156:157], vcc_lo, v[146:147], v[148:149], v[146:147]
	v_rcp_f64_e32 v[152:153], v[150:151]
	v_fma_f64 v[154:155], -v[150:151], v[152:153], 1.0
	v_fma_f64 v[152:153], v[152:153], v[154:155], v[152:153]
	v_fma_f64 v[154:155], -v[150:151], v[152:153], 1.0
	v_fma_f64 v[152:153], v[152:153], v[154:155], v[152:153]
	v_mul_f64 v[154:155], v[156:157], v[152:153]
	v_fma_f64 v[150:151], -v[150:151], v[154:155], v[156:157]
	v_div_fmas_f64 v[150:151], v[150:151], v[152:153], v[154:155]
	v_div_fixup_f64 v[150:151], v[150:151], v[148:149], v[146:147]
	v_fma_f64 v[146:147], v[146:147], v[150:151], v[148:149]
	v_div_scale_f64 v[148:149], null, v[146:147], v[146:147], 1.0
	v_rcp_f64_e32 v[152:153], v[148:149]
	v_fma_f64 v[154:155], -v[148:149], v[152:153], 1.0
	v_fma_f64 v[152:153], v[152:153], v[154:155], v[152:153]
	v_fma_f64 v[154:155], -v[148:149], v[152:153], 1.0
	v_fma_f64 v[152:153], v[152:153], v[154:155], v[152:153]
	v_div_scale_f64 v[154:155], vcc_lo, 1.0, v[146:147], 1.0
	v_mul_f64 v[156:157], v[154:155], v[152:153]
	v_fma_f64 v[148:149], -v[148:149], v[156:157], v[154:155]
	v_div_fmas_f64 v[148:149], v[148:149], v[152:153], v[156:157]
	v_div_fixup_f64 v[152:153], v[148:149], v[146:147], 1.0
                                        ; implicit-def: $vgpr146_vgpr147
	v_mul_f64 v[150:151], v[150:151], v[152:153]
	v_xor_b32_e32 v153, 0x80000000, v153
.LBB55_77:
	s_andn2_saveexec_b32 s1, s1
	s_cbranch_execz .LBB55_79
; %bb.78:
	v_div_scale_f64 v[150:151], null, v[146:147], v[146:147], v[148:149]
	v_div_scale_f64 v[156:157], vcc_lo, v[148:149], v[146:147], v[148:149]
	v_rcp_f64_e32 v[152:153], v[150:151]
	v_fma_f64 v[154:155], -v[150:151], v[152:153], 1.0
	v_fma_f64 v[152:153], v[152:153], v[154:155], v[152:153]
	v_fma_f64 v[154:155], -v[150:151], v[152:153], 1.0
	v_fma_f64 v[152:153], v[152:153], v[154:155], v[152:153]
	v_mul_f64 v[154:155], v[156:157], v[152:153]
	v_fma_f64 v[150:151], -v[150:151], v[154:155], v[156:157]
	v_div_fmas_f64 v[150:151], v[150:151], v[152:153], v[154:155]
	v_div_fixup_f64 v[152:153], v[150:151], v[146:147], v[148:149]
	v_fma_f64 v[146:147], v[148:149], v[152:153], v[146:147]
	v_div_scale_f64 v[148:149], null, v[146:147], v[146:147], 1.0
	v_rcp_f64_e32 v[150:151], v[148:149]
	v_fma_f64 v[154:155], -v[148:149], v[150:151], 1.0
	v_fma_f64 v[150:151], v[150:151], v[154:155], v[150:151]
	v_fma_f64 v[154:155], -v[148:149], v[150:151], 1.0
	v_fma_f64 v[150:151], v[150:151], v[154:155], v[150:151]
	v_div_scale_f64 v[154:155], vcc_lo, 1.0, v[146:147], 1.0
	v_mul_f64 v[156:157], v[154:155], v[150:151]
	v_fma_f64 v[148:149], -v[148:149], v[156:157], v[154:155]
	v_div_fmas_f64 v[148:149], v[148:149], v[150:151], v[156:157]
	v_div_fixup_f64 v[150:151], v[148:149], v[146:147], 1.0
	v_mul_f64 v[152:153], v[152:153], -v[150:151]
.LBB55_79:
	s_or_b32 exec_lo, exec_lo, s1
	ds_write2_b64 v1, v[150:151], v[152:153] offset1:1
.LBB55_80:
	s_or_b32 exec_lo, exec_lo, s2
	s_waitcnt lgkmcnt(0)
	s_barrier
	buffer_gl0_inv
	ds_read2_b64 v[146:149], v1 offset1:1
	s_mov_b32 s1, exec_lo
	v_cmpx_lt_u32_e32 8, v0
	s_cbranch_execz .LBB55_82
; %bb.81:
	s_waitcnt lgkmcnt(0)
	v_mul_f64 v[150:151], v[148:149], v[80:81]
	v_mul_f64 v[80:81], v[146:147], v[80:81]
	ds_read2_b64 v[152:155], v254 offset0:18 offset1:19
	v_fma_f64 v[150:151], v[146:147], v[78:79], -v[150:151]
	v_fma_f64 v[80:81], v[148:149], v[78:79], v[80:81]
	s_waitcnt lgkmcnt(0)
	v_mul_f64 v[78:79], v[154:155], v[80:81]
	v_fma_f64 v[78:79], v[152:153], v[150:151], -v[78:79]
	v_mul_f64 v[152:153], v[152:153], v[80:81]
	v_add_f64 v[74:75], v[74:75], -v[78:79]
	v_fma_f64 v[152:153], v[154:155], v[150:151], v[152:153]
	v_add_f64 v[76:77], v[76:77], -v[152:153]
	ds_read2_b64 v[152:155], v254 offset0:20 offset1:21
	s_waitcnt lgkmcnt(0)
	v_mul_f64 v[78:79], v[154:155], v[80:81]
	v_fma_f64 v[78:79], v[152:153], v[150:151], -v[78:79]
	v_mul_f64 v[152:153], v[152:153], v[80:81]
	v_add_f64 v[70:71], v[70:71], -v[78:79]
	v_fma_f64 v[152:153], v[154:155], v[150:151], v[152:153]
	v_add_f64 v[72:73], v[72:73], -v[152:153]
	ds_read2_b64 v[152:155], v254 offset0:22 offset1:23
	;; [unrolled: 8-line block ×18, first 2 shown]
	s_waitcnt lgkmcnt(0)
	v_mul_f64 v[78:79], v[154:155], v[80:81]
	v_fma_f64 v[78:79], v[152:153], v[150:151], -v[78:79]
	v_mul_f64 v[152:153], v[152:153], v[80:81]
	v_add_f64 v[2:3], v[2:3], -v[78:79]
	v_fma_f64 v[152:153], v[154:155], v[150:151], v[152:153]
	v_mov_b32_e32 v78, v150
	v_mov_b32_e32 v79, v151
	v_add_f64 v[4:5], v[4:5], -v[152:153]
.LBB55_82:
	s_or_b32 exec_lo, exec_lo, s1
	s_mov_b32 s2, exec_lo
	s_waitcnt lgkmcnt(0)
	s_barrier
	buffer_gl0_inv
	v_cmpx_eq_u32_e32 9, v0
	s_cbranch_execz .LBB55_89
; %bb.83:
	ds_write2_b64 v1, v[74:75], v[76:77] offset1:1
	ds_write2_b64 v254, v[70:71], v[72:73] offset0:20 offset1:21
	ds_write2_b64 v254, v[66:67], v[68:69] offset0:22 offset1:23
	;; [unrolled: 1-line block ×18, first 2 shown]
	ds_read2_b64 v[150:153], v1 offset1:1
	s_waitcnt lgkmcnt(0)
	v_cmp_neq_f64_e32 vcc_lo, 0, v[150:151]
	v_cmp_neq_f64_e64 s1, 0, v[152:153]
	s_or_b32 s1, vcc_lo, s1
	s_and_b32 exec_lo, exec_lo, s1
	s_cbranch_execz .LBB55_89
; %bb.84:
	v_cmp_ngt_f64_e64 s1, |v[150:151]|, |v[152:153]|
                                        ; implicit-def: $vgpr154_vgpr155
	s_and_saveexec_b32 s3, s1
	s_xor_b32 s1, exec_lo, s3
                                        ; implicit-def: $vgpr156_vgpr157
	s_cbranch_execz .LBB55_86
; %bb.85:
	v_div_scale_f64 v[154:155], null, v[152:153], v[152:153], v[150:151]
	v_div_scale_f64 v[160:161], vcc_lo, v[150:151], v[152:153], v[150:151]
	v_rcp_f64_e32 v[156:157], v[154:155]
	v_fma_f64 v[158:159], -v[154:155], v[156:157], 1.0
	v_fma_f64 v[156:157], v[156:157], v[158:159], v[156:157]
	v_fma_f64 v[158:159], -v[154:155], v[156:157], 1.0
	v_fma_f64 v[156:157], v[156:157], v[158:159], v[156:157]
	v_mul_f64 v[158:159], v[160:161], v[156:157]
	v_fma_f64 v[154:155], -v[154:155], v[158:159], v[160:161]
	v_div_fmas_f64 v[154:155], v[154:155], v[156:157], v[158:159]
	v_div_fixup_f64 v[154:155], v[154:155], v[152:153], v[150:151]
	v_fma_f64 v[150:151], v[150:151], v[154:155], v[152:153]
	v_div_scale_f64 v[152:153], null, v[150:151], v[150:151], 1.0
	v_rcp_f64_e32 v[156:157], v[152:153]
	v_fma_f64 v[158:159], -v[152:153], v[156:157], 1.0
	v_fma_f64 v[156:157], v[156:157], v[158:159], v[156:157]
	v_fma_f64 v[158:159], -v[152:153], v[156:157], 1.0
	v_fma_f64 v[156:157], v[156:157], v[158:159], v[156:157]
	v_div_scale_f64 v[158:159], vcc_lo, 1.0, v[150:151], 1.0
	v_mul_f64 v[160:161], v[158:159], v[156:157]
	v_fma_f64 v[152:153], -v[152:153], v[160:161], v[158:159]
	v_div_fmas_f64 v[152:153], v[152:153], v[156:157], v[160:161]
	v_div_fixup_f64 v[156:157], v[152:153], v[150:151], 1.0
                                        ; implicit-def: $vgpr150_vgpr151
	v_mul_f64 v[154:155], v[154:155], v[156:157]
	v_xor_b32_e32 v157, 0x80000000, v157
.LBB55_86:
	s_andn2_saveexec_b32 s1, s1
	s_cbranch_execz .LBB55_88
; %bb.87:
	v_div_scale_f64 v[154:155], null, v[150:151], v[150:151], v[152:153]
	v_div_scale_f64 v[160:161], vcc_lo, v[152:153], v[150:151], v[152:153]
	v_rcp_f64_e32 v[156:157], v[154:155]
	v_fma_f64 v[158:159], -v[154:155], v[156:157], 1.0
	v_fma_f64 v[156:157], v[156:157], v[158:159], v[156:157]
	v_fma_f64 v[158:159], -v[154:155], v[156:157], 1.0
	v_fma_f64 v[156:157], v[156:157], v[158:159], v[156:157]
	v_mul_f64 v[158:159], v[160:161], v[156:157]
	v_fma_f64 v[154:155], -v[154:155], v[158:159], v[160:161]
	v_div_fmas_f64 v[154:155], v[154:155], v[156:157], v[158:159]
	v_div_fixup_f64 v[156:157], v[154:155], v[150:151], v[152:153]
	v_fma_f64 v[150:151], v[152:153], v[156:157], v[150:151]
	v_div_scale_f64 v[152:153], null, v[150:151], v[150:151], 1.0
	v_rcp_f64_e32 v[154:155], v[152:153]
	v_fma_f64 v[158:159], -v[152:153], v[154:155], 1.0
	v_fma_f64 v[154:155], v[154:155], v[158:159], v[154:155]
	v_fma_f64 v[158:159], -v[152:153], v[154:155], 1.0
	v_fma_f64 v[154:155], v[154:155], v[158:159], v[154:155]
	v_div_scale_f64 v[158:159], vcc_lo, 1.0, v[150:151], 1.0
	v_mul_f64 v[160:161], v[158:159], v[154:155]
	v_fma_f64 v[152:153], -v[152:153], v[160:161], v[158:159]
	v_div_fmas_f64 v[152:153], v[152:153], v[154:155], v[160:161]
	v_div_fixup_f64 v[154:155], v[152:153], v[150:151], 1.0
	v_mul_f64 v[156:157], v[156:157], -v[154:155]
.LBB55_88:
	s_or_b32 exec_lo, exec_lo, s1
	ds_write2_b64 v1, v[154:155], v[156:157] offset1:1
.LBB55_89:
	s_or_b32 exec_lo, exec_lo, s2
	s_waitcnt lgkmcnt(0)
	s_barrier
	buffer_gl0_inv
	ds_read2_b64 v[150:153], v1 offset1:1
	s_mov_b32 s1, exec_lo
	v_cmpx_lt_u32_e32 9, v0
	s_cbranch_execz .LBB55_91
; %bb.90:
	s_waitcnt lgkmcnt(0)
	v_mul_f64 v[154:155], v[152:153], v[76:77]
	v_mul_f64 v[76:77], v[150:151], v[76:77]
	ds_read2_b64 v[156:159], v254 offset0:20 offset1:21
	v_fma_f64 v[154:155], v[150:151], v[74:75], -v[154:155]
	v_fma_f64 v[76:77], v[152:153], v[74:75], v[76:77]
	s_waitcnt lgkmcnt(0)
	v_mul_f64 v[74:75], v[158:159], v[76:77]
	v_fma_f64 v[74:75], v[156:157], v[154:155], -v[74:75]
	v_mul_f64 v[156:157], v[156:157], v[76:77]
	v_add_f64 v[70:71], v[70:71], -v[74:75]
	v_fma_f64 v[156:157], v[158:159], v[154:155], v[156:157]
	v_add_f64 v[72:73], v[72:73], -v[156:157]
	ds_read2_b64 v[156:159], v254 offset0:22 offset1:23
	s_waitcnt lgkmcnt(0)
	v_mul_f64 v[74:75], v[158:159], v[76:77]
	v_fma_f64 v[74:75], v[156:157], v[154:155], -v[74:75]
	v_mul_f64 v[156:157], v[156:157], v[76:77]
	v_add_f64 v[66:67], v[66:67], -v[74:75]
	v_fma_f64 v[156:157], v[158:159], v[154:155], v[156:157]
	v_add_f64 v[68:69], v[68:69], -v[156:157]
	ds_read2_b64 v[156:159], v254 offset0:24 offset1:25
	;; [unrolled: 8-line block ×17, first 2 shown]
	s_waitcnt lgkmcnt(0)
	v_mul_f64 v[74:75], v[158:159], v[76:77]
	v_fma_f64 v[74:75], v[156:157], v[154:155], -v[74:75]
	v_mul_f64 v[156:157], v[156:157], v[76:77]
	v_add_f64 v[2:3], v[2:3], -v[74:75]
	v_fma_f64 v[156:157], v[158:159], v[154:155], v[156:157]
	v_mov_b32_e32 v74, v154
	v_mov_b32_e32 v75, v155
	v_add_f64 v[4:5], v[4:5], -v[156:157]
.LBB55_91:
	s_or_b32 exec_lo, exec_lo, s1
	s_mov_b32 s2, exec_lo
	s_waitcnt lgkmcnt(0)
	s_barrier
	buffer_gl0_inv
	v_cmpx_eq_u32_e32 10, v0
	s_cbranch_execz .LBB55_98
; %bb.92:
	ds_write2_b64 v1, v[70:71], v[72:73] offset1:1
	ds_write2_b64 v254, v[66:67], v[68:69] offset0:22 offset1:23
	ds_write2_b64 v254, v[62:63], v[64:65] offset0:24 offset1:25
	;; [unrolled: 1-line block ×17, first 2 shown]
	ds_read2_b64 v[154:157], v1 offset1:1
	s_waitcnt lgkmcnt(0)
	v_cmp_neq_f64_e32 vcc_lo, 0, v[154:155]
	v_cmp_neq_f64_e64 s1, 0, v[156:157]
	s_or_b32 s1, vcc_lo, s1
	s_and_b32 exec_lo, exec_lo, s1
	s_cbranch_execz .LBB55_98
; %bb.93:
	v_cmp_ngt_f64_e64 s1, |v[154:155]|, |v[156:157]|
                                        ; implicit-def: $vgpr158_vgpr159
	s_and_saveexec_b32 s3, s1
	s_xor_b32 s1, exec_lo, s3
                                        ; implicit-def: $vgpr160_vgpr161
	s_cbranch_execz .LBB55_95
; %bb.94:
	v_div_scale_f64 v[158:159], null, v[156:157], v[156:157], v[154:155]
	v_div_scale_f64 v[164:165], vcc_lo, v[154:155], v[156:157], v[154:155]
	v_rcp_f64_e32 v[160:161], v[158:159]
	v_fma_f64 v[162:163], -v[158:159], v[160:161], 1.0
	v_fma_f64 v[160:161], v[160:161], v[162:163], v[160:161]
	v_fma_f64 v[162:163], -v[158:159], v[160:161], 1.0
	v_fma_f64 v[160:161], v[160:161], v[162:163], v[160:161]
	v_mul_f64 v[162:163], v[164:165], v[160:161]
	v_fma_f64 v[158:159], -v[158:159], v[162:163], v[164:165]
	v_div_fmas_f64 v[158:159], v[158:159], v[160:161], v[162:163]
	v_div_fixup_f64 v[158:159], v[158:159], v[156:157], v[154:155]
	v_fma_f64 v[154:155], v[154:155], v[158:159], v[156:157]
	v_div_scale_f64 v[156:157], null, v[154:155], v[154:155], 1.0
	v_rcp_f64_e32 v[160:161], v[156:157]
	v_fma_f64 v[162:163], -v[156:157], v[160:161], 1.0
	v_fma_f64 v[160:161], v[160:161], v[162:163], v[160:161]
	v_fma_f64 v[162:163], -v[156:157], v[160:161], 1.0
	v_fma_f64 v[160:161], v[160:161], v[162:163], v[160:161]
	v_div_scale_f64 v[162:163], vcc_lo, 1.0, v[154:155], 1.0
	v_mul_f64 v[164:165], v[162:163], v[160:161]
	v_fma_f64 v[156:157], -v[156:157], v[164:165], v[162:163]
	v_div_fmas_f64 v[156:157], v[156:157], v[160:161], v[164:165]
	v_div_fixup_f64 v[160:161], v[156:157], v[154:155], 1.0
                                        ; implicit-def: $vgpr154_vgpr155
	v_mul_f64 v[158:159], v[158:159], v[160:161]
	v_xor_b32_e32 v161, 0x80000000, v161
.LBB55_95:
	s_andn2_saveexec_b32 s1, s1
	s_cbranch_execz .LBB55_97
; %bb.96:
	v_div_scale_f64 v[158:159], null, v[154:155], v[154:155], v[156:157]
	v_div_scale_f64 v[164:165], vcc_lo, v[156:157], v[154:155], v[156:157]
	v_rcp_f64_e32 v[160:161], v[158:159]
	v_fma_f64 v[162:163], -v[158:159], v[160:161], 1.0
	v_fma_f64 v[160:161], v[160:161], v[162:163], v[160:161]
	v_fma_f64 v[162:163], -v[158:159], v[160:161], 1.0
	v_fma_f64 v[160:161], v[160:161], v[162:163], v[160:161]
	v_mul_f64 v[162:163], v[164:165], v[160:161]
	v_fma_f64 v[158:159], -v[158:159], v[162:163], v[164:165]
	v_div_fmas_f64 v[158:159], v[158:159], v[160:161], v[162:163]
	v_div_fixup_f64 v[160:161], v[158:159], v[154:155], v[156:157]
	v_fma_f64 v[154:155], v[156:157], v[160:161], v[154:155]
	v_div_scale_f64 v[156:157], null, v[154:155], v[154:155], 1.0
	v_rcp_f64_e32 v[158:159], v[156:157]
	v_fma_f64 v[162:163], -v[156:157], v[158:159], 1.0
	v_fma_f64 v[158:159], v[158:159], v[162:163], v[158:159]
	v_fma_f64 v[162:163], -v[156:157], v[158:159], 1.0
	v_fma_f64 v[158:159], v[158:159], v[162:163], v[158:159]
	v_div_scale_f64 v[162:163], vcc_lo, 1.0, v[154:155], 1.0
	v_mul_f64 v[164:165], v[162:163], v[158:159]
	v_fma_f64 v[156:157], -v[156:157], v[164:165], v[162:163]
	v_div_fmas_f64 v[156:157], v[156:157], v[158:159], v[164:165]
	v_div_fixup_f64 v[158:159], v[156:157], v[154:155], 1.0
	v_mul_f64 v[160:161], v[160:161], -v[158:159]
.LBB55_97:
	s_or_b32 exec_lo, exec_lo, s1
	ds_write2_b64 v1, v[158:159], v[160:161] offset1:1
.LBB55_98:
	s_or_b32 exec_lo, exec_lo, s2
	s_waitcnt lgkmcnt(0)
	s_barrier
	buffer_gl0_inv
	ds_read2_b64 v[154:157], v1 offset1:1
	s_mov_b32 s1, exec_lo
	v_cmpx_lt_u32_e32 10, v0
	s_cbranch_execz .LBB55_100
; %bb.99:
	s_waitcnt lgkmcnt(0)
	v_mul_f64 v[158:159], v[156:157], v[72:73]
	v_mul_f64 v[72:73], v[154:155], v[72:73]
	ds_read2_b64 v[160:163], v254 offset0:22 offset1:23
	v_fma_f64 v[158:159], v[154:155], v[70:71], -v[158:159]
	v_fma_f64 v[72:73], v[156:157], v[70:71], v[72:73]
	s_waitcnt lgkmcnt(0)
	v_mul_f64 v[70:71], v[162:163], v[72:73]
	v_fma_f64 v[70:71], v[160:161], v[158:159], -v[70:71]
	v_mul_f64 v[160:161], v[160:161], v[72:73]
	v_add_f64 v[66:67], v[66:67], -v[70:71]
	v_fma_f64 v[160:161], v[162:163], v[158:159], v[160:161]
	v_add_f64 v[68:69], v[68:69], -v[160:161]
	ds_read2_b64 v[160:163], v254 offset0:24 offset1:25
	s_waitcnt lgkmcnt(0)
	v_mul_f64 v[70:71], v[162:163], v[72:73]
	v_fma_f64 v[70:71], v[160:161], v[158:159], -v[70:71]
	v_mul_f64 v[160:161], v[160:161], v[72:73]
	v_add_f64 v[62:63], v[62:63], -v[70:71]
	v_fma_f64 v[160:161], v[162:163], v[158:159], v[160:161]
	v_add_f64 v[64:65], v[64:65], -v[160:161]
	ds_read2_b64 v[160:163], v254 offset0:26 offset1:27
	;; [unrolled: 8-line block ×16, first 2 shown]
	s_waitcnt lgkmcnt(0)
	v_mul_f64 v[70:71], v[162:163], v[72:73]
	v_fma_f64 v[70:71], v[160:161], v[158:159], -v[70:71]
	v_mul_f64 v[160:161], v[160:161], v[72:73]
	v_add_f64 v[2:3], v[2:3], -v[70:71]
	v_fma_f64 v[160:161], v[162:163], v[158:159], v[160:161]
	v_mov_b32_e32 v70, v158
	v_mov_b32_e32 v71, v159
	v_add_f64 v[4:5], v[4:5], -v[160:161]
.LBB55_100:
	s_or_b32 exec_lo, exec_lo, s1
	s_mov_b32 s2, exec_lo
	s_waitcnt lgkmcnt(0)
	s_barrier
	buffer_gl0_inv
	v_cmpx_eq_u32_e32 11, v0
	s_cbranch_execz .LBB55_107
; %bb.101:
	ds_write2_b64 v1, v[66:67], v[68:69] offset1:1
	ds_write2_b64 v254, v[62:63], v[64:65] offset0:24 offset1:25
	ds_write2_b64 v254, v[58:59], v[60:61] offset0:26 offset1:27
	;; [unrolled: 1-line block ×16, first 2 shown]
	ds_read2_b64 v[158:161], v1 offset1:1
	s_waitcnt lgkmcnt(0)
	v_cmp_neq_f64_e32 vcc_lo, 0, v[158:159]
	v_cmp_neq_f64_e64 s1, 0, v[160:161]
	s_or_b32 s1, vcc_lo, s1
	s_and_b32 exec_lo, exec_lo, s1
	s_cbranch_execz .LBB55_107
; %bb.102:
	v_cmp_ngt_f64_e64 s1, |v[158:159]|, |v[160:161]|
                                        ; implicit-def: $vgpr162_vgpr163
	s_and_saveexec_b32 s3, s1
	s_xor_b32 s1, exec_lo, s3
                                        ; implicit-def: $vgpr164_vgpr165
	s_cbranch_execz .LBB55_104
; %bb.103:
	v_div_scale_f64 v[162:163], null, v[160:161], v[160:161], v[158:159]
	v_div_scale_f64 v[168:169], vcc_lo, v[158:159], v[160:161], v[158:159]
	v_rcp_f64_e32 v[164:165], v[162:163]
	v_fma_f64 v[166:167], -v[162:163], v[164:165], 1.0
	v_fma_f64 v[164:165], v[164:165], v[166:167], v[164:165]
	v_fma_f64 v[166:167], -v[162:163], v[164:165], 1.0
	v_fma_f64 v[164:165], v[164:165], v[166:167], v[164:165]
	v_mul_f64 v[166:167], v[168:169], v[164:165]
	v_fma_f64 v[162:163], -v[162:163], v[166:167], v[168:169]
	v_div_fmas_f64 v[162:163], v[162:163], v[164:165], v[166:167]
	v_div_fixup_f64 v[162:163], v[162:163], v[160:161], v[158:159]
	v_fma_f64 v[158:159], v[158:159], v[162:163], v[160:161]
	v_div_scale_f64 v[160:161], null, v[158:159], v[158:159], 1.0
	v_rcp_f64_e32 v[164:165], v[160:161]
	v_fma_f64 v[166:167], -v[160:161], v[164:165], 1.0
	v_fma_f64 v[164:165], v[164:165], v[166:167], v[164:165]
	v_fma_f64 v[166:167], -v[160:161], v[164:165], 1.0
	v_fma_f64 v[164:165], v[164:165], v[166:167], v[164:165]
	v_div_scale_f64 v[166:167], vcc_lo, 1.0, v[158:159], 1.0
	v_mul_f64 v[168:169], v[166:167], v[164:165]
	v_fma_f64 v[160:161], -v[160:161], v[168:169], v[166:167]
	v_div_fmas_f64 v[160:161], v[160:161], v[164:165], v[168:169]
	v_div_fixup_f64 v[164:165], v[160:161], v[158:159], 1.0
                                        ; implicit-def: $vgpr158_vgpr159
	v_mul_f64 v[162:163], v[162:163], v[164:165]
	v_xor_b32_e32 v165, 0x80000000, v165
.LBB55_104:
	s_andn2_saveexec_b32 s1, s1
	s_cbranch_execz .LBB55_106
; %bb.105:
	v_div_scale_f64 v[162:163], null, v[158:159], v[158:159], v[160:161]
	v_div_scale_f64 v[168:169], vcc_lo, v[160:161], v[158:159], v[160:161]
	v_rcp_f64_e32 v[164:165], v[162:163]
	v_fma_f64 v[166:167], -v[162:163], v[164:165], 1.0
	v_fma_f64 v[164:165], v[164:165], v[166:167], v[164:165]
	v_fma_f64 v[166:167], -v[162:163], v[164:165], 1.0
	v_fma_f64 v[164:165], v[164:165], v[166:167], v[164:165]
	v_mul_f64 v[166:167], v[168:169], v[164:165]
	v_fma_f64 v[162:163], -v[162:163], v[166:167], v[168:169]
	v_div_fmas_f64 v[162:163], v[162:163], v[164:165], v[166:167]
	v_div_fixup_f64 v[164:165], v[162:163], v[158:159], v[160:161]
	v_fma_f64 v[158:159], v[160:161], v[164:165], v[158:159]
	v_div_scale_f64 v[160:161], null, v[158:159], v[158:159], 1.0
	v_rcp_f64_e32 v[162:163], v[160:161]
	v_fma_f64 v[166:167], -v[160:161], v[162:163], 1.0
	v_fma_f64 v[162:163], v[162:163], v[166:167], v[162:163]
	v_fma_f64 v[166:167], -v[160:161], v[162:163], 1.0
	v_fma_f64 v[162:163], v[162:163], v[166:167], v[162:163]
	v_div_scale_f64 v[166:167], vcc_lo, 1.0, v[158:159], 1.0
	v_mul_f64 v[168:169], v[166:167], v[162:163]
	v_fma_f64 v[160:161], -v[160:161], v[168:169], v[166:167]
	v_div_fmas_f64 v[160:161], v[160:161], v[162:163], v[168:169]
	v_div_fixup_f64 v[162:163], v[160:161], v[158:159], 1.0
	v_mul_f64 v[164:165], v[164:165], -v[162:163]
.LBB55_106:
	s_or_b32 exec_lo, exec_lo, s1
	ds_write2_b64 v1, v[162:163], v[164:165] offset1:1
.LBB55_107:
	s_or_b32 exec_lo, exec_lo, s2
	s_waitcnt lgkmcnt(0)
	s_barrier
	buffer_gl0_inv
	ds_read2_b64 v[158:161], v1 offset1:1
	s_mov_b32 s1, exec_lo
	v_cmpx_lt_u32_e32 11, v0
	s_cbranch_execz .LBB55_109
; %bb.108:
	s_waitcnt lgkmcnt(0)
	v_mul_f64 v[162:163], v[158:159], v[68:69]
	v_mul_f64 v[68:69], v[160:161], v[68:69]
	ds_read2_b64 v[164:167], v254 offset0:24 offset1:25
	v_fma_f64 v[162:163], v[160:161], v[66:67], v[162:163]
	v_fma_f64 v[66:67], v[158:159], v[66:67], -v[68:69]
	s_waitcnt lgkmcnt(0)
	v_mul_f64 v[68:69], v[166:167], v[162:163]
	v_fma_f64 v[68:69], v[164:165], v[66:67], -v[68:69]
	v_mul_f64 v[164:165], v[164:165], v[162:163]
	v_add_f64 v[62:63], v[62:63], -v[68:69]
	v_fma_f64 v[164:165], v[166:167], v[66:67], v[164:165]
	v_add_f64 v[64:65], v[64:65], -v[164:165]
	ds_read2_b64 v[164:167], v254 offset0:26 offset1:27
	s_waitcnt lgkmcnt(0)
	v_mul_f64 v[68:69], v[166:167], v[162:163]
	v_fma_f64 v[68:69], v[164:165], v[66:67], -v[68:69]
	v_mul_f64 v[164:165], v[164:165], v[162:163]
	v_add_f64 v[58:59], v[58:59], -v[68:69]
	v_fma_f64 v[164:165], v[166:167], v[66:67], v[164:165]
	v_add_f64 v[60:61], v[60:61], -v[164:165]
	ds_read2_b64 v[164:167], v254 offset0:28 offset1:29
	;; [unrolled: 8-line block ×15, first 2 shown]
	s_waitcnt lgkmcnt(0)
	v_mul_f64 v[68:69], v[166:167], v[162:163]
	v_fma_f64 v[68:69], v[164:165], v[66:67], -v[68:69]
	v_mul_f64 v[164:165], v[164:165], v[162:163]
	v_add_f64 v[2:3], v[2:3], -v[68:69]
	v_fma_f64 v[164:165], v[166:167], v[66:67], v[164:165]
	v_mov_b32_e32 v68, v162
	v_mov_b32_e32 v69, v163
	v_add_f64 v[4:5], v[4:5], -v[164:165]
.LBB55_109:
	s_or_b32 exec_lo, exec_lo, s1
	s_mov_b32 s2, exec_lo
	s_waitcnt lgkmcnt(0)
	s_barrier
	buffer_gl0_inv
	v_cmpx_eq_u32_e32 12, v0
	s_cbranch_execz .LBB55_116
; %bb.110:
	ds_write2_b64 v1, v[62:63], v[64:65] offset1:1
	ds_write2_b64 v254, v[58:59], v[60:61] offset0:26 offset1:27
	ds_write2_b64 v254, v[54:55], v[56:57] offset0:28 offset1:29
	;; [unrolled: 1-line block ×15, first 2 shown]
	ds_read2_b64 v[162:165], v1 offset1:1
	s_waitcnt lgkmcnt(0)
	v_cmp_neq_f64_e32 vcc_lo, 0, v[162:163]
	v_cmp_neq_f64_e64 s1, 0, v[164:165]
	s_or_b32 s1, vcc_lo, s1
	s_and_b32 exec_lo, exec_lo, s1
	s_cbranch_execz .LBB55_116
; %bb.111:
	v_cmp_ngt_f64_e64 s1, |v[162:163]|, |v[164:165]|
                                        ; implicit-def: $vgpr166_vgpr167
	s_and_saveexec_b32 s3, s1
	s_xor_b32 s1, exec_lo, s3
                                        ; implicit-def: $vgpr168_vgpr169
	s_cbranch_execz .LBB55_113
; %bb.112:
	v_div_scale_f64 v[166:167], null, v[164:165], v[164:165], v[162:163]
	v_div_scale_f64 v[172:173], vcc_lo, v[162:163], v[164:165], v[162:163]
	v_rcp_f64_e32 v[168:169], v[166:167]
	v_fma_f64 v[170:171], -v[166:167], v[168:169], 1.0
	v_fma_f64 v[168:169], v[168:169], v[170:171], v[168:169]
	v_fma_f64 v[170:171], -v[166:167], v[168:169], 1.0
	v_fma_f64 v[168:169], v[168:169], v[170:171], v[168:169]
	v_mul_f64 v[170:171], v[172:173], v[168:169]
	v_fma_f64 v[166:167], -v[166:167], v[170:171], v[172:173]
	v_div_fmas_f64 v[166:167], v[166:167], v[168:169], v[170:171]
	v_div_fixup_f64 v[166:167], v[166:167], v[164:165], v[162:163]
	v_fma_f64 v[162:163], v[162:163], v[166:167], v[164:165]
	v_div_scale_f64 v[164:165], null, v[162:163], v[162:163], 1.0
	v_rcp_f64_e32 v[168:169], v[164:165]
	v_fma_f64 v[170:171], -v[164:165], v[168:169], 1.0
	v_fma_f64 v[168:169], v[168:169], v[170:171], v[168:169]
	v_fma_f64 v[170:171], -v[164:165], v[168:169], 1.0
	v_fma_f64 v[168:169], v[168:169], v[170:171], v[168:169]
	v_div_scale_f64 v[170:171], vcc_lo, 1.0, v[162:163], 1.0
	v_mul_f64 v[172:173], v[170:171], v[168:169]
	v_fma_f64 v[164:165], -v[164:165], v[172:173], v[170:171]
	v_div_fmas_f64 v[164:165], v[164:165], v[168:169], v[172:173]
	v_div_fixup_f64 v[168:169], v[164:165], v[162:163], 1.0
                                        ; implicit-def: $vgpr162_vgpr163
	v_mul_f64 v[166:167], v[166:167], v[168:169]
	v_xor_b32_e32 v169, 0x80000000, v169
.LBB55_113:
	s_andn2_saveexec_b32 s1, s1
	s_cbranch_execz .LBB55_115
; %bb.114:
	v_div_scale_f64 v[166:167], null, v[162:163], v[162:163], v[164:165]
	v_div_scale_f64 v[172:173], vcc_lo, v[164:165], v[162:163], v[164:165]
	v_rcp_f64_e32 v[168:169], v[166:167]
	v_fma_f64 v[170:171], -v[166:167], v[168:169], 1.0
	v_fma_f64 v[168:169], v[168:169], v[170:171], v[168:169]
	v_fma_f64 v[170:171], -v[166:167], v[168:169], 1.0
	v_fma_f64 v[168:169], v[168:169], v[170:171], v[168:169]
	v_mul_f64 v[170:171], v[172:173], v[168:169]
	v_fma_f64 v[166:167], -v[166:167], v[170:171], v[172:173]
	v_div_fmas_f64 v[166:167], v[166:167], v[168:169], v[170:171]
	v_div_fixup_f64 v[168:169], v[166:167], v[162:163], v[164:165]
	v_fma_f64 v[162:163], v[164:165], v[168:169], v[162:163]
	v_div_scale_f64 v[164:165], null, v[162:163], v[162:163], 1.0
	v_rcp_f64_e32 v[166:167], v[164:165]
	v_fma_f64 v[170:171], -v[164:165], v[166:167], 1.0
	v_fma_f64 v[166:167], v[166:167], v[170:171], v[166:167]
	v_fma_f64 v[170:171], -v[164:165], v[166:167], 1.0
	v_fma_f64 v[166:167], v[166:167], v[170:171], v[166:167]
	v_div_scale_f64 v[170:171], vcc_lo, 1.0, v[162:163], 1.0
	v_mul_f64 v[172:173], v[170:171], v[166:167]
	v_fma_f64 v[164:165], -v[164:165], v[172:173], v[170:171]
	v_div_fmas_f64 v[164:165], v[164:165], v[166:167], v[172:173]
	v_div_fixup_f64 v[166:167], v[164:165], v[162:163], 1.0
	v_mul_f64 v[168:169], v[168:169], -v[166:167]
.LBB55_115:
	s_or_b32 exec_lo, exec_lo, s1
	ds_write2_b64 v1, v[166:167], v[168:169] offset1:1
.LBB55_116:
	s_or_b32 exec_lo, exec_lo, s2
	s_waitcnt lgkmcnt(0)
	s_barrier
	buffer_gl0_inv
	ds_read2_b64 v[162:165], v1 offset1:1
	s_mov_b32 s1, exec_lo
	v_cmpx_lt_u32_e32 12, v0
	s_cbranch_execz .LBB55_118
; %bb.117:
	s_waitcnt lgkmcnt(0)
	v_mul_f64 v[166:167], v[162:163], v[64:65]
	v_mul_f64 v[64:65], v[164:165], v[64:65]
	ds_read2_b64 v[168:171], v254 offset0:26 offset1:27
	v_fma_f64 v[166:167], v[164:165], v[62:63], v[166:167]
	v_fma_f64 v[62:63], v[162:163], v[62:63], -v[64:65]
	s_waitcnt lgkmcnt(0)
	v_mul_f64 v[64:65], v[170:171], v[166:167]
	v_fma_f64 v[64:65], v[168:169], v[62:63], -v[64:65]
	v_mul_f64 v[168:169], v[168:169], v[166:167]
	v_add_f64 v[58:59], v[58:59], -v[64:65]
	v_fma_f64 v[168:169], v[170:171], v[62:63], v[168:169]
	v_add_f64 v[60:61], v[60:61], -v[168:169]
	ds_read2_b64 v[168:171], v254 offset0:28 offset1:29
	s_waitcnt lgkmcnt(0)
	v_mul_f64 v[64:65], v[170:171], v[166:167]
	v_fma_f64 v[64:65], v[168:169], v[62:63], -v[64:65]
	v_mul_f64 v[168:169], v[168:169], v[166:167]
	v_add_f64 v[54:55], v[54:55], -v[64:65]
	v_fma_f64 v[168:169], v[170:171], v[62:63], v[168:169]
	v_add_f64 v[56:57], v[56:57], -v[168:169]
	ds_read2_b64 v[168:171], v254 offset0:30 offset1:31
	;; [unrolled: 8-line block ×14, first 2 shown]
	s_waitcnt lgkmcnt(0)
	v_mul_f64 v[64:65], v[170:171], v[166:167]
	v_fma_f64 v[64:65], v[168:169], v[62:63], -v[64:65]
	v_mul_f64 v[168:169], v[168:169], v[166:167]
	v_add_f64 v[2:3], v[2:3], -v[64:65]
	v_fma_f64 v[168:169], v[170:171], v[62:63], v[168:169]
	v_mov_b32_e32 v64, v166
	v_mov_b32_e32 v65, v167
	v_add_f64 v[4:5], v[4:5], -v[168:169]
.LBB55_118:
	s_or_b32 exec_lo, exec_lo, s1
	s_mov_b32 s2, exec_lo
	s_waitcnt lgkmcnt(0)
	s_barrier
	buffer_gl0_inv
	v_cmpx_eq_u32_e32 13, v0
	s_cbranch_execz .LBB55_125
; %bb.119:
	ds_write2_b64 v1, v[58:59], v[60:61] offset1:1
	ds_write2_b64 v254, v[54:55], v[56:57] offset0:28 offset1:29
	ds_write2_b64 v254, v[50:51], v[52:53] offset0:30 offset1:31
	;; [unrolled: 1-line block ×14, first 2 shown]
	ds_read2_b64 v[166:169], v1 offset1:1
	s_waitcnt lgkmcnt(0)
	v_cmp_neq_f64_e32 vcc_lo, 0, v[166:167]
	v_cmp_neq_f64_e64 s1, 0, v[168:169]
	s_or_b32 s1, vcc_lo, s1
	s_and_b32 exec_lo, exec_lo, s1
	s_cbranch_execz .LBB55_125
; %bb.120:
	v_cmp_ngt_f64_e64 s1, |v[166:167]|, |v[168:169]|
                                        ; implicit-def: $vgpr170_vgpr171
	s_and_saveexec_b32 s3, s1
	s_xor_b32 s1, exec_lo, s3
                                        ; implicit-def: $vgpr172_vgpr173
	s_cbranch_execz .LBB55_122
; %bb.121:
	v_div_scale_f64 v[170:171], null, v[168:169], v[168:169], v[166:167]
	v_div_scale_f64 v[176:177], vcc_lo, v[166:167], v[168:169], v[166:167]
	v_rcp_f64_e32 v[172:173], v[170:171]
	v_fma_f64 v[174:175], -v[170:171], v[172:173], 1.0
	v_fma_f64 v[172:173], v[172:173], v[174:175], v[172:173]
	v_fma_f64 v[174:175], -v[170:171], v[172:173], 1.0
	v_fma_f64 v[172:173], v[172:173], v[174:175], v[172:173]
	v_mul_f64 v[174:175], v[176:177], v[172:173]
	v_fma_f64 v[170:171], -v[170:171], v[174:175], v[176:177]
	v_div_fmas_f64 v[170:171], v[170:171], v[172:173], v[174:175]
	v_div_fixup_f64 v[170:171], v[170:171], v[168:169], v[166:167]
	v_fma_f64 v[166:167], v[166:167], v[170:171], v[168:169]
	v_div_scale_f64 v[168:169], null, v[166:167], v[166:167], 1.0
	v_rcp_f64_e32 v[172:173], v[168:169]
	v_fma_f64 v[174:175], -v[168:169], v[172:173], 1.0
	v_fma_f64 v[172:173], v[172:173], v[174:175], v[172:173]
	v_fma_f64 v[174:175], -v[168:169], v[172:173], 1.0
	v_fma_f64 v[172:173], v[172:173], v[174:175], v[172:173]
	v_div_scale_f64 v[174:175], vcc_lo, 1.0, v[166:167], 1.0
	v_mul_f64 v[176:177], v[174:175], v[172:173]
	v_fma_f64 v[168:169], -v[168:169], v[176:177], v[174:175]
	v_div_fmas_f64 v[168:169], v[168:169], v[172:173], v[176:177]
	v_div_fixup_f64 v[172:173], v[168:169], v[166:167], 1.0
                                        ; implicit-def: $vgpr166_vgpr167
	v_mul_f64 v[170:171], v[170:171], v[172:173]
	v_xor_b32_e32 v173, 0x80000000, v173
.LBB55_122:
	s_andn2_saveexec_b32 s1, s1
	s_cbranch_execz .LBB55_124
; %bb.123:
	v_div_scale_f64 v[170:171], null, v[166:167], v[166:167], v[168:169]
	v_div_scale_f64 v[176:177], vcc_lo, v[168:169], v[166:167], v[168:169]
	v_rcp_f64_e32 v[172:173], v[170:171]
	v_fma_f64 v[174:175], -v[170:171], v[172:173], 1.0
	v_fma_f64 v[172:173], v[172:173], v[174:175], v[172:173]
	v_fma_f64 v[174:175], -v[170:171], v[172:173], 1.0
	v_fma_f64 v[172:173], v[172:173], v[174:175], v[172:173]
	v_mul_f64 v[174:175], v[176:177], v[172:173]
	v_fma_f64 v[170:171], -v[170:171], v[174:175], v[176:177]
	v_div_fmas_f64 v[170:171], v[170:171], v[172:173], v[174:175]
	v_div_fixup_f64 v[172:173], v[170:171], v[166:167], v[168:169]
	v_fma_f64 v[166:167], v[168:169], v[172:173], v[166:167]
	v_div_scale_f64 v[168:169], null, v[166:167], v[166:167], 1.0
	v_rcp_f64_e32 v[170:171], v[168:169]
	v_fma_f64 v[174:175], -v[168:169], v[170:171], 1.0
	v_fma_f64 v[170:171], v[170:171], v[174:175], v[170:171]
	v_fma_f64 v[174:175], -v[168:169], v[170:171], 1.0
	v_fma_f64 v[170:171], v[170:171], v[174:175], v[170:171]
	v_div_scale_f64 v[174:175], vcc_lo, 1.0, v[166:167], 1.0
	v_mul_f64 v[176:177], v[174:175], v[170:171]
	v_fma_f64 v[168:169], -v[168:169], v[176:177], v[174:175]
	v_div_fmas_f64 v[168:169], v[168:169], v[170:171], v[176:177]
	v_div_fixup_f64 v[170:171], v[168:169], v[166:167], 1.0
	v_mul_f64 v[172:173], v[172:173], -v[170:171]
.LBB55_124:
	s_or_b32 exec_lo, exec_lo, s1
	ds_write2_b64 v1, v[170:171], v[172:173] offset1:1
.LBB55_125:
	s_or_b32 exec_lo, exec_lo, s2
	s_waitcnt lgkmcnt(0)
	s_barrier
	buffer_gl0_inv
	ds_read2_b64 v[166:169], v1 offset1:1
	s_mov_b32 s1, exec_lo
	v_cmpx_lt_u32_e32 13, v0
	s_cbranch_execz .LBB55_127
; %bb.126:
	s_waitcnt lgkmcnt(0)
	v_mul_f64 v[170:171], v[166:167], v[60:61]
	v_mul_f64 v[60:61], v[168:169], v[60:61]
	ds_read2_b64 v[172:175], v254 offset0:28 offset1:29
	v_fma_f64 v[170:171], v[168:169], v[58:59], v[170:171]
	v_fma_f64 v[58:59], v[166:167], v[58:59], -v[60:61]
	s_waitcnt lgkmcnt(0)
	v_mul_f64 v[60:61], v[174:175], v[170:171]
	v_fma_f64 v[60:61], v[172:173], v[58:59], -v[60:61]
	v_mul_f64 v[172:173], v[172:173], v[170:171]
	v_add_f64 v[54:55], v[54:55], -v[60:61]
	v_fma_f64 v[172:173], v[174:175], v[58:59], v[172:173]
	v_add_f64 v[56:57], v[56:57], -v[172:173]
	ds_read2_b64 v[172:175], v254 offset0:30 offset1:31
	s_waitcnt lgkmcnt(0)
	v_mul_f64 v[60:61], v[174:175], v[170:171]
	v_fma_f64 v[60:61], v[172:173], v[58:59], -v[60:61]
	v_mul_f64 v[172:173], v[172:173], v[170:171]
	v_add_f64 v[50:51], v[50:51], -v[60:61]
	v_fma_f64 v[172:173], v[174:175], v[58:59], v[172:173]
	v_add_f64 v[52:53], v[52:53], -v[172:173]
	ds_read2_b64 v[172:175], v254 offset0:32 offset1:33
	;; [unrolled: 8-line block ×13, first 2 shown]
	s_waitcnt lgkmcnt(0)
	v_mul_f64 v[60:61], v[174:175], v[170:171]
	v_fma_f64 v[60:61], v[172:173], v[58:59], -v[60:61]
	v_mul_f64 v[172:173], v[172:173], v[170:171]
	v_add_f64 v[2:3], v[2:3], -v[60:61]
	v_fma_f64 v[172:173], v[174:175], v[58:59], v[172:173]
	v_mov_b32_e32 v60, v170
	v_mov_b32_e32 v61, v171
	v_add_f64 v[4:5], v[4:5], -v[172:173]
.LBB55_127:
	s_or_b32 exec_lo, exec_lo, s1
	s_mov_b32 s2, exec_lo
	s_waitcnt lgkmcnt(0)
	s_barrier
	buffer_gl0_inv
	v_cmpx_eq_u32_e32 14, v0
	s_cbranch_execz .LBB55_134
; %bb.128:
	ds_write2_b64 v1, v[54:55], v[56:57] offset1:1
	ds_write2_b64 v254, v[50:51], v[52:53] offset0:30 offset1:31
	ds_write2_b64 v254, v[46:47], v[48:49] offset0:32 offset1:33
	;; [unrolled: 1-line block ×13, first 2 shown]
	ds_read2_b64 v[170:173], v1 offset1:1
	s_waitcnt lgkmcnt(0)
	v_cmp_neq_f64_e32 vcc_lo, 0, v[170:171]
	v_cmp_neq_f64_e64 s1, 0, v[172:173]
	s_or_b32 s1, vcc_lo, s1
	s_and_b32 exec_lo, exec_lo, s1
	s_cbranch_execz .LBB55_134
; %bb.129:
	v_cmp_ngt_f64_e64 s1, |v[170:171]|, |v[172:173]|
                                        ; implicit-def: $vgpr174_vgpr175
	s_and_saveexec_b32 s3, s1
	s_xor_b32 s1, exec_lo, s3
                                        ; implicit-def: $vgpr176_vgpr177
	s_cbranch_execz .LBB55_131
; %bb.130:
	v_div_scale_f64 v[174:175], null, v[172:173], v[172:173], v[170:171]
	v_div_scale_f64 v[180:181], vcc_lo, v[170:171], v[172:173], v[170:171]
	v_rcp_f64_e32 v[176:177], v[174:175]
	v_fma_f64 v[178:179], -v[174:175], v[176:177], 1.0
	v_fma_f64 v[176:177], v[176:177], v[178:179], v[176:177]
	v_fma_f64 v[178:179], -v[174:175], v[176:177], 1.0
	v_fma_f64 v[176:177], v[176:177], v[178:179], v[176:177]
	v_mul_f64 v[178:179], v[180:181], v[176:177]
	v_fma_f64 v[174:175], -v[174:175], v[178:179], v[180:181]
	v_div_fmas_f64 v[174:175], v[174:175], v[176:177], v[178:179]
	v_div_fixup_f64 v[174:175], v[174:175], v[172:173], v[170:171]
	v_fma_f64 v[170:171], v[170:171], v[174:175], v[172:173]
	v_div_scale_f64 v[172:173], null, v[170:171], v[170:171], 1.0
	v_rcp_f64_e32 v[176:177], v[172:173]
	v_fma_f64 v[178:179], -v[172:173], v[176:177], 1.0
	v_fma_f64 v[176:177], v[176:177], v[178:179], v[176:177]
	v_fma_f64 v[178:179], -v[172:173], v[176:177], 1.0
	v_fma_f64 v[176:177], v[176:177], v[178:179], v[176:177]
	v_div_scale_f64 v[178:179], vcc_lo, 1.0, v[170:171], 1.0
	v_mul_f64 v[180:181], v[178:179], v[176:177]
	v_fma_f64 v[172:173], -v[172:173], v[180:181], v[178:179]
	v_div_fmas_f64 v[172:173], v[172:173], v[176:177], v[180:181]
	v_div_fixup_f64 v[176:177], v[172:173], v[170:171], 1.0
                                        ; implicit-def: $vgpr170_vgpr171
	v_mul_f64 v[174:175], v[174:175], v[176:177]
	v_xor_b32_e32 v177, 0x80000000, v177
.LBB55_131:
	s_andn2_saveexec_b32 s1, s1
	s_cbranch_execz .LBB55_133
; %bb.132:
	v_div_scale_f64 v[174:175], null, v[170:171], v[170:171], v[172:173]
	v_div_scale_f64 v[180:181], vcc_lo, v[172:173], v[170:171], v[172:173]
	v_rcp_f64_e32 v[176:177], v[174:175]
	v_fma_f64 v[178:179], -v[174:175], v[176:177], 1.0
	v_fma_f64 v[176:177], v[176:177], v[178:179], v[176:177]
	v_fma_f64 v[178:179], -v[174:175], v[176:177], 1.0
	v_fma_f64 v[176:177], v[176:177], v[178:179], v[176:177]
	v_mul_f64 v[178:179], v[180:181], v[176:177]
	v_fma_f64 v[174:175], -v[174:175], v[178:179], v[180:181]
	v_div_fmas_f64 v[174:175], v[174:175], v[176:177], v[178:179]
	v_div_fixup_f64 v[176:177], v[174:175], v[170:171], v[172:173]
	v_fma_f64 v[170:171], v[172:173], v[176:177], v[170:171]
	v_div_scale_f64 v[172:173], null, v[170:171], v[170:171], 1.0
	v_rcp_f64_e32 v[174:175], v[172:173]
	v_fma_f64 v[178:179], -v[172:173], v[174:175], 1.0
	v_fma_f64 v[174:175], v[174:175], v[178:179], v[174:175]
	v_fma_f64 v[178:179], -v[172:173], v[174:175], 1.0
	v_fma_f64 v[174:175], v[174:175], v[178:179], v[174:175]
	v_div_scale_f64 v[178:179], vcc_lo, 1.0, v[170:171], 1.0
	v_mul_f64 v[180:181], v[178:179], v[174:175]
	v_fma_f64 v[172:173], -v[172:173], v[180:181], v[178:179]
	v_div_fmas_f64 v[172:173], v[172:173], v[174:175], v[180:181]
	v_div_fixup_f64 v[174:175], v[172:173], v[170:171], 1.0
	v_mul_f64 v[176:177], v[176:177], -v[174:175]
.LBB55_133:
	s_or_b32 exec_lo, exec_lo, s1
	ds_write2_b64 v1, v[174:175], v[176:177] offset1:1
.LBB55_134:
	s_or_b32 exec_lo, exec_lo, s2
	s_waitcnt lgkmcnt(0)
	s_barrier
	buffer_gl0_inv
	ds_read2_b64 v[170:173], v1 offset1:1
	s_mov_b32 s1, exec_lo
	v_cmpx_lt_u32_e32 14, v0
	s_cbranch_execz .LBB55_136
; %bb.135:
	s_waitcnt lgkmcnt(0)
	v_mul_f64 v[174:175], v[170:171], v[56:57]
	v_mul_f64 v[56:57], v[172:173], v[56:57]
	v_fma_f64 v[178:179], v[172:173], v[54:55], v[174:175]
	ds_read2_b64 v[174:177], v254 offset0:30 offset1:31
	v_fma_f64 v[54:55], v[170:171], v[54:55], -v[56:57]
	s_waitcnt lgkmcnt(0)
	v_mul_f64 v[56:57], v[176:177], v[178:179]
	v_fma_f64 v[56:57], v[174:175], v[54:55], -v[56:57]
	v_mul_f64 v[174:175], v[174:175], v[178:179]
	v_add_f64 v[50:51], v[50:51], -v[56:57]
	v_fma_f64 v[174:175], v[176:177], v[54:55], v[174:175]
	v_add_f64 v[52:53], v[52:53], -v[174:175]
	ds_read2_b64 v[174:177], v254 offset0:32 offset1:33
	s_waitcnt lgkmcnt(0)
	v_mul_f64 v[56:57], v[176:177], v[178:179]
	v_fma_f64 v[56:57], v[174:175], v[54:55], -v[56:57]
	v_mul_f64 v[174:175], v[174:175], v[178:179]
	v_add_f64 v[46:47], v[46:47], -v[56:57]
	v_fma_f64 v[174:175], v[176:177], v[54:55], v[174:175]
	v_add_f64 v[48:49], v[48:49], -v[174:175]
	ds_read2_b64 v[174:177], v254 offset0:34 offset1:35
	;; [unrolled: 8-line block ×12, first 2 shown]
	s_waitcnt lgkmcnt(0)
	v_mul_f64 v[56:57], v[176:177], v[178:179]
	v_fma_f64 v[56:57], v[174:175], v[54:55], -v[56:57]
	v_mul_f64 v[174:175], v[174:175], v[178:179]
	v_add_f64 v[2:3], v[2:3], -v[56:57]
	v_fma_f64 v[174:175], v[176:177], v[54:55], v[174:175]
	v_mov_b32_e32 v56, v178
	v_mov_b32_e32 v57, v179
	v_add_f64 v[4:5], v[4:5], -v[174:175]
.LBB55_136:
	s_or_b32 exec_lo, exec_lo, s1
	s_mov_b32 s2, exec_lo
	s_waitcnt lgkmcnt(0)
	s_barrier
	buffer_gl0_inv
	v_cmpx_eq_u32_e32 15, v0
	s_cbranch_execz .LBB55_143
; %bb.137:
	ds_write2_b64 v1, v[50:51], v[52:53] offset1:1
	ds_write2_b64 v254, v[46:47], v[48:49] offset0:32 offset1:33
	ds_write2_b64 v254, v[42:43], v[44:45] offset0:34 offset1:35
	;; [unrolled: 1-line block ×12, first 2 shown]
	ds_read2_b64 v[174:177], v1 offset1:1
	s_waitcnt lgkmcnt(0)
	v_cmp_neq_f64_e32 vcc_lo, 0, v[174:175]
	v_cmp_neq_f64_e64 s1, 0, v[176:177]
	s_or_b32 s1, vcc_lo, s1
	s_and_b32 exec_lo, exec_lo, s1
	s_cbranch_execz .LBB55_143
; %bb.138:
	v_cmp_ngt_f64_e64 s1, |v[174:175]|, |v[176:177]|
                                        ; implicit-def: $vgpr178_vgpr179
	s_and_saveexec_b32 s3, s1
	s_xor_b32 s1, exec_lo, s3
                                        ; implicit-def: $vgpr180_vgpr181
	s_cbranch_execz .LBB55_140
; %bb.139:
	v_div_scale_f64 v[178:179], null, v[176:177], v[176:177], v[174:175]
	v_div_scale_f64 v[184:185], vcc_lo, v[174:175], v[176:177], v[174:175]
	v_rcp_f64_e32 v[180:181], v[178:179]
	v_fma_f64 v[182:183], -v[178:179], v[180:181], 1.0
	v_fma_f64 v[180:181], v[180:181], v[182:183], v[180:181]
	v_fma_f64 v[182:183], -v[178:179], v[180:181], 1.0
	v_fma_f64 v[180:181], v[180:181], v[182:183], v[180:181]
	v_mul_f64 v[182:183], v[184:185], v[180:181]
	v_fma_f64 v[178:179], -v[178:179], v[182:183], v[184:185]
	v_div_fmas_f64 v[178:179], v[178:179], v[180:181], v[182:183]
	v_div_fixup_f64 v[178:179], v[178:179], v[176:177], v[174:175]
	v_fma_f64 v[174:175], v[174:175], v[178:179], v[176:177]
	v_div_scale_f64 v[176:177], null, v[174:175], v[174:175], 1.0
	v_rcp_f64_e32 v[180:181], v[176:177]
	v_fma_f64 v[182:183], -v[176:177], v[180:181], 1.0
	v_fma_f64 v[180:181], v[180:181], v[182:183], v[180:181]
	v_fma_f64 v[182:183], -v[176:177], v[180:181], 1.0
	v_fma_f64 v[180:181], v[180:181], v[182:183], v[180:181]
	v_div_scale_f64 v[182:183], vcc_lo, 1.0, v[174:175], 1.0
	v_mul_f64 v[184:185], v[182:183], v[180:181]
	v_fma_f64 v[176:177], -v[176:177], v[184:185], v[182:183]
	v_div_fmas_f64 v[176:177], v[176:177], v[180:181], v[184:185]
	v_div_fixup_f64 v[180:181], v[176:177], v[174:175], 1.0
                                        ; implicit-def: $vgpr174_vgpr175
	v_mul_f64 v[178:179], v[178:179], v[180:181]
	v_xor_b32_e32 v181, 0x80000000, v181
.LBB55_140:
	s_andn2_saveexec_b32 s1, s1
	s_cbranch_execz .LBB55_142
; %bb.141:
	v_div_scale_f64 v[178:179], null, v[174:175], v[174:175], v[176:177]
	v_div_scale_f64 v[184:185], vcc_lo, v[176:177], v[174:175], v[176:177]
	v_rcp_f64_e32 v[180:181], v[178:179]
	v_fma_f64 v[182:183], -v[178:179], v[180:181], 1.0
	v_fma_f64 v[180:181], v[180:181], v[182:183], v[180:181]
	v_fma_f64 v[182:183], -v[178:179], v[180:181], 1.0
	v_fma_f64 v[180:181], v[180:181], v[182:183], v[180:181]
	v_mul_f64 v[182:183], v[184:185], v[180:181]
	v_fma_f64 v[178:179], -v[178:179], v[182:183], v[184:185]
	v_div_fmas_f64 v[178:179], v[178:179], v[180:181], v[182:183]
	v_div_fixup_f64 v[180:181], v[178:179], v[174:175], v[176:177]
	v_fma_f64 v[174:175], v[176:177], v[180:181], v[174:175]
	v_div_scale_f64 v[176:177], null, v[174:175], v[174:175], 1.0
	v_rcp_f64_e32 v[178:179], v[176:177]
	v_fma_f64 v[182:183], -v[176:177], v[178:179], 1.0
	v_fma_f64 v[178:179], v[178:179], v[182:183], v[178:179]
	v_fma_f64 v[182:183], -v[176:177], v[178:179], 1.0
	v_fma_f64 v[178:179], v[178:179], v[182:183], v[178:179]
	v_div_scale_f64 v[182:183], vcc_lo, 1.0, v[174:175], 1.0
	v_mul_f64 v[184:185], v[182:183], v[178:179]
	v_fma_f64 v[176:177], -v[176:177], v[184:185], v[182:183]
	v_div_fmas_f64 v[176:177], v[176:177], v[178:179], v[184:185]
	v_div_fixup_f64 v[178:179], v[176:177], v[174:175], 1.0
	v_mul_f64 v[180:181], v[180:181], -v[178:179]
.LBB55_142:
	s_or_b32 exec_lo, exec_lo, s1
	ds_write2_b64 v1, v[178:179], v[180:181] offset1:1
.LBB55_143:
	s_or_b32 exec_lo, exec_lo, s2
	s_waitcnt lgkmcnt(0)
	s_barrier
	buffer_gl0_inv
	ds_read2_b64 v[174:177], v1 offset1:1
	s_mov_b32 s1, exec_lo
	v_cmpx_lt_u32_e32 15, v0
	s_cbranch_execz .LBB55_145
; %bb.144:
	s_waitcnt lgkmcnt(0)
	v_mul_f64 v[178:179], v[174:175], v[52:53]
	v_mul_f64 v[52:53], v[176:177], v[52:53]
	v_fma_f64 v[182:183], v[176:177], v[50:51], v[178:179]
	ds_read2_b64 v[178:181], v254 offset0:32 offset1:33
	v_fma_f64 v[50:51], v[174:175], v[50:51], -v[52:53]
	s_waitcnt lgkmcnt(0)
	v_mul_f64 v[52:53], v[180:181], v[182:183]
	v_fma_f64 v[52:53], v[178:179], v[50:51], -v[52:53]
	v_mul_f64 v[178:179], v[178:179], v[182:183]
	v_add_f64 v[46:47], v[46:47], -v[52:53]
	v_fma_f64 v[178:179], v[180:181], v[50:51], v[178:179]
	v_add_f64 v[48:49], v[48:49], -v[178:179]
	ds_read2_b64 v[178:181], v254 offset0:34 offset1:35
	s_waitcnt lgkmcnt(0)
	v_mul_f64 v[52:53], v[180:181], v[182:183]
	v_fma_f64 v[52:53], v[178:179], v[50:51], -v[52:53]
	v_mul_f64 v[178:179], v[178:179], v[182:183]
	v_add_f64 v[42:43], v[42:43], -v[52:53]
	v_fma_f64 v[178:179], v[180:181], v[50:51], v[178:179]
	v_add_f64 v[44:45], v[44:45], -v[178:179]
	ds_read2_b64 v[178:181], v254 offset0:36 offset1:37
	;; [unrolled: 8-line block ×11, first 2 shown]
	s_waitcnt lgkmcnt(0)
	v_mul_f64 v[52:53], v[180:181], v[182:183]
	v_fma_f64 v[52:53], v[178:179], v[50:51], -v[52:53]
	v_mul_f64 v[178:179], v[178:179], v[182:183]
	v_add_f64 v[2:3], v[2:3], -v[52:53]
	v_fma_f64 v[178:179], v[180:181], v[50:51], v[178:179]
	v_mov_b32_e32 v52, v182
	v_mov_b32_e32 v53, v183
	v_add_f64 v[4:5], v[4:5], -v[178:179]
.LBB55_145:
	s_or_b32 exec_lo, exec_lo, s1
	s_mov_b32 s2, exec_lo
	s_waitcnt lgkmcnt(0)
	s_barrier
	buffer_gl0_inv
	v_cmpx_eq_u32_e32 16, v0
	s_cbranch_execz .LBB55_152
; %bb.146:
	ds_write2_b64 v1, v[46:47], v[48:49] offset1:1
	ds_write2_b64 v254, v[42:43], v[44:45] offset0:34 offset1:35
	ds_write2_b64 v254, v[38:39], v[40:41] offset0:36 offset1:37
	;; [unrolled: 1-line block ×11, first 2 shown]
	ds_read2_b64 v[178:181], v1 offset1:1
	s_waitcnt lgkmcnt(0)
	v_cmp_neq_f64_e32 vcc_lo, 0, v[178:179]
	v_cmp_neq_f64_e64 s1, 0, v[180:181]
	s_or_b32 s1, vcc_lo, s1
	s_and_b32 exec_lo, exec_lo, s1
	s_cbranch_execz .LBB55_152
; %bb.147:
	v_cmp_ngt_f64_e64 s1, |v[178:179]|, |v[180:181]|
                                        ; implicit-def: $vgpr182_vgpr183
	s_and_saveexec_b32 s3, s1
	s_xor_b32 s1, exec_lo, s3
                                        ; implicit-def: $vgpr184_vgpr185
	s_cbranch_execz .LBB55_149
; %bb.148:
	v_div_scale_f64 v[182:183], null, v[180:181], v[180:181], v[178:179]
	v_div_scale_f64 v[188:189], vcc_lo, v[178:179], v[180:181], v[178:179]
	v_rcp_f64_e32 v[184:185], v[182:183]
	v_fma_f64 v[186:187], -v[182:183], v[184:185], 1.0
	v_fma_f64 v[184:185], v[184:185], v[186:187], v[184:185]
	v_fma_f64 v[186:187], -v[182:183], v[184:185], 1.0
	v_fma_f64 v[184:185], v[184:185], v[186:187], v[184:185]
	v_mul_f64 v[186:187], v[188:189], v[184:185]
	v_fma_f64 v[182:183], -v[182:183], v[186:187], v[188:189]
	v_div_fmas_f64 v[182:183], v[182:183], v[184:185], v[186:187]
	v_div_fixup_f64 v[182:183], v[182:183], v[180:181], v[178:179]
	v_fma_f64 v[178:179], v[178:179], v[182:183], v[180:181]
	v_div_scale_f64 v[180:181], null, v[178:179], v[178:179], 1.0
	v_rcp_f64_e32 v[184:185], v[180:181]
	v_fma_f64 v[186:187], -v[180:181], v[184:185], 1.0
	v_fma_f64 v[184:185], v[184:185], v[186:187], v[184:185]
	v_fma_f64 v[186:187], -v[180:181], v[184:185], 1.0
	v_fma_f64 v[184:185], v[184:185], v[186:187], v[184:185]
	v_div_scale_f64 v[186:187], vcc_lo, 1.0, v[178:179], 1.0
	v_mul_f64 v[188:189], v[186:187], v[184:185]
	v_fma_f64 v[180:181], -v[180:181], v[188:189], v[186:187]
	v_div_fmas_f64 v[180:181], v[180:181], v[184:185], v[188:189]
	v_div_fixup_f64 v[184:185], v[180:181], v[178:179], 1.0
                                        ; implicit-def: $vgpr178_vgpr179
	v_mul_f64 v[182:183], v[182:183], v[184:185]
	v_xor_b32_e32 v185, 0x80000000, v185
.LBB55_149:
	s_andn2_saveexec_b32 s1, s1
	s_cbranch_execz .LBB55_151
; %bb.150:
	v_div_scale_f64 v[182:183], null, v[178:179], v[178:179], v[180:181]
	v_div_scale_f64 v[188:189], vcc_lo, v[180:181], v[178:179], v[180:181]
	v_rcp_f64_e32 v[184:185], v[182:183]
	v_fma_f64 v[186:187], -v[182:183], v[184:185], 1.0
	v_fma_f64 v[184:185], v[184:185], v[186:187], v[184:185]
	v_fma_f64 v[186:187], -v[182:183], v[184:185], 1.0
	v_fma_f64 v[184:185], v[184:185], v[186:187], v[184:185]
	v_mul_f64 v[186:187], v[188:189], v[184:185]
	v_fma_f64 v[182:183], -v[182:183], v[186:187], v[188:189]
	v_div_fmas_f64 v[182:183], v[182:183], v[184:185], v[186:187]
	v_div_fixup_f64 v[184:185], v[182:183], v[178:179], v[180:181]
	v_fma_f64 v[178:179], v[180:181], v[184:185], v[178:179]
	v_div_scale_f64 v[180:181], null, v[178:179], v[178:179], 1.0
	v_rcp_f64_e32 v[182:183], v[180:181]
	v_fma_f64 v[186:187], -v[180:181], v[182:183], 1.0
	v_fma_f64 v[182:183], v[182:183], v[186:187], v[182:183]
	v_fma_f64 v[186:187], -v[180:181], v[182:183], 1.0
	v_fma_f64 v[182:183], v[182:183], v[186:187], v[182:183]
	v_div_scale_f64 v[186:187], vcc_lo, 1.0, v[178:179], 1.0
	v_mul_f64 v[188:189], v[186:187], v[182:183]
	v_fma_f64 v[180:181], -v[180:181], v[188:189], v[186:187]
	v_div_fmas_f64 v[180:181], v[180:181], v[182:183], v[188:189]
	v_div_fixup_f64 v[182:183], v[180:181], v[178:179], 1.0
	v_mul_f64 v[184:185], v[184:185], -v[182:183]
.LBB55_151:
	s_or_b32 exec_lo, exec_lo, s1
	ds_write2_b64 v1, v[182:183], v[184:185] offset1:1
.LBB55_152:
	s_or_b32 exec_lo, exec_lo, s2
	s_waitcnt lgkmcnt(0)
	s_barrier
	buffer_gl0_inv
	ds_read2_b64 v[178:181], v1 offset1:1
	s_mov_b32 s1, exec_lo
	v_cmpx_lt_u32_e32 16, v0
	s_cbranch_execz .LBB55_154
; %bb.153:
	s_waitcnt lgkmcnt(0)
	v_mul_f64 v[182:183], v[178:179], v[48:49]
	v_mul_f64 v[48:49], v[180:181], v[48:49]
	v_fma_f64 v[186:187], v[180:181], v[46:47], v[182:183]
	ds_read2_b64 v[182:185], v254 offset0:34 offset1:35
	v_fma_f64 v[46:47], v[178:179], v[46:47], -v[48:49]
	s_waitcnt lgkmcnt(0)
	v_mul_f64 v[48:49], v[184:185], v[186:187]
	v_fma_f64 v[48:49], v[182:183], v[46:47], -v[48:49]
	v_mul_f64 v[182:183], v[182:183], v[186:187]
	v_add_f64 v[42:43], v[42:43], -v[48:49]
	v_fma_f64 v[182:183], v[184:185], v[46:47], v[182:183]
	v_add_f64 v[44:45], v[44:45], -v[182:183]
	ds_read2_b64 v[182:185], v254 offset0:36 offset1:37
	s_waitcnt lgkmcnt(0)
	v_mul_f64 v[48:49], v[184:185], v[186:187]
	v_fma_f64 v[48:49], v[182:183], v[46:47], -v[48:49]
	v_mul_f64 v[182:183], v[182:183], v[186:187]
	v_add_f64 v[38:39], v[38:39], -v[48:49]
	v_fma_f64 v[182:183], v[184:185], v[46:47], v[182:183]
	v_add_f64 v[40:41], v[40:41], -v[182:183]
	ds_read2_b64 v[182:185], v254 offset0:38 offset1:39
	;; [unrolled: 8-line block ×10, first 2 shown]
	s_waitcnt lgkmcnt(0)
	v_mul_f64 v[48:49], v[184:185], v[186:187]
	v_fma_f64 v[48:49], v[182:183], v[46:47], -v[48:49]
	v_mul_f64 v[182:183], v[182:183], v[186:187]
	v_add_f64 v[2:3], v[2:3], -v[48:49]
	v_fma_f64 v[182:183], v[184:185], v[46:47], v[182:183]
	v_mov_b32_e32 v48, v186
	v_mov_b32_e32 v49, v187
	v_add_f64 v[4:5], v[4:5], -v[182:183]
.LBB55_154:
	s_or_b32 exec_lo, exec_lo, s1
	s_mov_b32 s2, exec_lo
	s_waitcnt lgkmcnt(0)
	s_barrier
	buffer_gl0_inv
	v_cmpx_eq_u32_e32 17, v0
	s_cbranch_execz .LBB55_161
; %bb.155:
	ds_write2_b64 v1, v[42:43], v[44:45] offset1:1
	ds_write2_b64 v254, v[38:39], v[40:41] offset0:36 offset1:37
	ds_write2_b64 v254, v[34:35], v[36:37] offset0:38 offset1:39
	;; [unrolled: 1-line block ×10, first 2 shown]
	ds_read2_b64 v[182:185], v1 offset1:1
	s_waitcnt lgkmcnt(0)
	v_cmp_neq_f64_e32 vcc_lo, 0, v[182:183]
	v_cmp_neq_f64_e64 s1, 0, v[184:185]
	s_or_b32 s1, vcc_lo, s1
	s_and_b32 exec_lo, exec_lo, s1
	s_cbranch_execz .LBB55_161
; %bb.156:
	v_cmp_ngt_f64_e64 s1, |v[182:183]|, |v[184:185]|
                                        ; implicit-def: $vgpr186_vgpr187
	s_and_saveexec_b32 s3, s1
	s_xor_b32 s1, exec_lo, s3
                                        ; implicit-def: $vgpr188_vgpr189
	s_cbranch_execz .LBB55_158
; %bb.157:
	v_div_scale_f64 v[186:187], null, v[184:185], v[184:185], v[182:183]
	v_div_scale_f64 v[192:193], vcc_lo, v[182:183], v[184:185], v[182:183]
	v_rcp_f64_e32 v[188:189], v[186:187]
	v_fma_f64 v[190:191], -v[186:187], v[188:189], 1.0
	v_fma_f64 v[188:189], v[188:189], v[190:191], v[188:189]
	v_fma_f64 v[190:191], -v[186:187], v[188:189], 1.0
	v_fma_f64 v[188:189], v[188:189], v[190:191], v[188:189]
	v_mul_f64 v[190:191], v[192:193], v[188:189]
	v_fma_f64 v[186:187], -v[186:187], v[190:191], v[192:193]
	v_div_fmas_f64 v[186:187], v[186:187], v[188:189], v[190:191]
	v_div_fixup_f64 v[186:187], v[186:187], v[184:185], v[182:183]
	v_fma_f64 v[182:183], v[182:183], v[186:187], v[184:185]
	v_div_scale_f64 v[184:185], null, v[182:183], v[182:183], 1.0
	v_rcp_f64_e32 v[188:189], v[184:185]
	v_fma_f64 v[190:191], -v[184:185], v[188:189], 1.0
	v_fma_f64 v[188:189], v[188:189], v[190:191], v[188:189]
	v_fma_f64 v[190:191], -v[184:185], v[188:189], 1.0
	v_fma_f64 v[188:189], v[188:189], v[190:191], v[188:189]
	v_div_scale_f64 v[190:191], vcc_lo, 1.0, v[182:183], 1.0
	v_mul_f64 v[192:193], v[190:191], v[188:189]
	v_fma_f64 v[184:185], -v[184:185], v[192:193], v[190:191]
	v_div_fmas_f64 v[184:185], v[184:185], v[188:189], v[192:193]
	v_div_fixup_f64 v[188:189], v[184:185], v[182:183], 1.0
                                        ; implicit-def: $vgpr182_vgpr183
	v_mul_f64 v[186:187], v[186:187], v[188:189]
	v_xor_b32_e32 v189, 0x80000000, v189
.LBB55_158:
	s_andn2_saveexec_b32 s1, s1
	s_cbranch_execz .LBB55_160
; %bb.159:
	v_div_scale_f64 v[186:187], null, v[182:183], v[182:183], v[184:185]
	v_div_scale_f64 v[192:193], vcc_lo, v[184:185], v[182:183], v[184:185]
	v_rcp_f64_e32 v[188:189], v[186:187]
	v_fma_f64 v[190:191], -v[186:187], v[188:189], 1.0
	v_fma_f64 v[188:189], v[188:189], v[190:191], v[188:189]
	v_fma_f64 v[190:191], -v[186:187], v[188:189], 1.0
	v_fma_f64 v[188:189], v[188:189], v[190:191], v[188:189]
	v_mul_f64 v[190:191], v[192:193], v[188:189]
	v_fma_f64 v[186:187], -v[186:187], v[190:191], v[192:193]
	v_div_fmas_f64 v[186:187], v[186:187], v[188:189], v[190:191]
	v_div_fixup_f64 v[188:189], v[186:187], v[182:183], v[184:185]
	v_fma_f64 v[182:183], v[184:185], v[188:189], v[182:183]
	v_div_scale_f64 v[184:185], null, v[182:183], v[182:183], 1.0
	v_rcp_f64_e32 v[186:187], v[184:185]
	v_fma_f64 v[190:191], -v[184:185], v[186:187], 1.0
	v_fma_f64 v[186:187], v[186:187], v[190:191], v[186:187]
	v_fma_f64 v[190:191], -v[184:185], v[186:187], 1.0
	v_fma_f64 v[186:187], v[186:187], v[190:191], v[186:187]
	v_div_scale_f64 v[190:191], vcc_lo, 1.0, v[182:183], 1.0
	v_mul_f64 v[192:193], v[190:191], v[186:187]
	v_fma_f64 v[184:185], -v[184:185], v[192:193], v[190:191]
	v_div_fmas_f64 v[184:185], v[184:185], v[186:187], v[192:193]
	v_div_fixup_f64 v[186:187], v[184:185], v[182:183], 1.0
	v_mul_f64 v[188:189], v[188:189], -v[186:187]
.LBB55_160:
	s_or_b32 exec_lo, exec_lo, s1
	ds_write2_b64 v1, v[186:187], v[188:189] offset1:1
.LBB55_161:
	s_or_b32 exec_lo, exec_lo, s2
	s_waitcnt lgkmcnt(0)
	s_barrier
	buffer_gl0_inv
	ds_read2_b64 v[182:185], v1 offset1:1
	s_mov_b32 s1, exec_lo
	v_cmpx_lt_u32_e32 17, v0
	s_cbranch_execz .LBB55_163
; %bb.162:
	s_waitcnt lgkmcnt(0)
	v_mul_f64 v[186:187], v[182:183], v[44:45]
	v_mul_f64 v[44:45], v[184:185], v[44:45]
	v_fma_f64 v[190:191], v[184:185], v[42:43], v[186:187]
	ds_read2_b64 v[186:189], v254 offset0:36 offset1:37
	v_fma_f64 v[42:43], v[182:183], v[42:43], -v[44:45]
	s_waitcnt lgkmcnt(0)
	v_mul_f64 v[44:45], v[188:189], v[190:191]
	v_fma_f64 v[44:45], v[186:187], v[42:43], -v[44:45]
	v_mul_f64 v[186:187], v[186:187], v[190:191]
	v_add_f64 v[38:39], v[38:39], -v[44:45]
	v_fma_f64 v[186:187], v[188:189], v[42:43], v[186:187]
	v_add_f64 v[40:41], v[40:41], -v[186:187]
	ds_read2_b64 v[186:189], v254 offset0:38 offset1:39
	s_waitcnt lgkmcnt(0)
	v_mul_f64 v[44:45], v[188:189], v[190:191]
	v_fma_f64 v[44:45], v[186:187], v[42:43], -v[44:45]
	v_mul_f64 v[186:187], v[186:187], v[190:191]
	v_add_f64 v[34:35], v[34:35], -v[44:45]
	v_fma_f64 v[186:187], v[188:189], v[42:43], v[186:187]
	v_add_f64 v[36:37], v[36:37], -v[186:187]
	ds_read2_b64 v[186:189], v254 offset0:40 offset1:41
	;; [unrolled: 8-line block ×9, first 2 shown]
	s_waitcnt lgkmcnt(0)
	v_mul_f64 v[44:45], v[188:189], v[190:191]
	v_fma_f64 v[44:45], v[186:187], v[42:43], -v[44:45]
	v_mul_f64 v[186:187], v[186:187], v[190:191]
	v_add_f64 v[2:3], v[2:3], -v[44:45]
	v_fma_f64 v[186:187], v[188:189], v[42:43], v[186:187]
	v_mov_b32_e32 v44, v190
	v_mov_b32_e32 v45, v191
	v_add_f64 v[4:5], v[4:5], -v[186:187]
.LBB55_163:
	s_or_b32 exec_lo, exec_lo, s1
	s_mov_b32 s2, exec_lo
	s_waitcnt lgkmcnt(0)
	s_barrier
	buffer_gl0_inv
	v_cmpx_eq_u32_e32 18, v0
	s_cbranch_execz .LBB55_170
; %bb.164:
	ds_write2_b64 v1, v[38:39], v[40:41] offset1:1
	ds_write2_b64 v254, v[34:35], v[36:37] offset0:38 offset1:39
	ds_write2_b64 v254, v[30:31], v[32:33] offset0:40 offset1:41
	;; [unrolled: 1-line block ×9, first 2 shown]
	ds_read2_b64 v[186:189], v1 offset1:1
	s_waitcnt lgkmcnt(0)
	v_cmp_neq_f64_e32 vcc_lo, 0, v[186:187]
	v_cmp_neq_f64_e64 s1, 0, v[188:189]
	s_or_b32 s1, vcc_lo, s1
	s_and_b32 exec_lo, exec_lo, s1
	s_cbranch_execz .LBB55_170
; %bb.165:
	v_cmp_ngt_f64_e64 s1, |v[186:187]|, |v[188:189]|
                                        ; implicit-def: $vgpr190_vgpr191
	s_and_saveexec_b32 s3, s1
	s_xor_b32 s1, exec_lo, s3
                                        ; implicit-def: $vgpr192_vgpr193
	s_cbranch_execz .LBB55_167
; %bb.166:
	v_div_scale_f64 v[190:191], null, v[188:189], v[188:189], v[186:187]
	v_div_scale_f64 v[196:197], vcc_lo, v[186:187], v[188:189], v[186:187]
	v_rcp_f64_e32 v[192:193], v[190:191]
	v_fma_f64 v[194:195], -v[190:191], v[192:193], 1.0
	v_fma_f64 v[192:193], v[192:193], v[194:195], v[192:193]
	v_fma_f64 v[194:195], -v[190:191], v[192:193], 1.0
	v_fma_f64 v[192:193], v[192:193], v[194:195], v[192:193]
	v_mul_f64 v[194:195], v[196:197], v[192:193]
	v_fma_f64 v[190:191], -v[190:191], v[194:195], v[196:197]
	v_div_fmas_f64 v[190:191], v[190:191], v[192:193], v[194:195]
	v_div_fixup_f64 v[190:191], v[190:191], v[188:189], v[186:187]
	v_fma_f64 v[186:187], v[186:187], v[190:191], v[188:189]
	v_div_scale_f64 v[188:189], null, v[186:187], v[186:187], 1.0
	v_rcp_f64_e32 v[192:193], v[188:189]
	v_fma_f64 v[194:195], -v[188:189], v[192:193], 1.0
	v_fma_f64 v[192:193], v[192:193], v[194:195], v[192:193]
	v_fma_f64 v[194:195], -v[188:189], v[192:193], 1.0
	v_fma_f64 v[192:193], v[192:193], v[194:195], v[192:193]
	v_div_scale_f64 v[194:195], vcc_lo, 1.0, v[186:187], 1.0
	v_mul_f64 v[196:197], v[194:195], v[192:193]
	v_fma_f64 v[188:189], -v[188:189], v[196:197], v[194:195]
	v_div_fmas_f64 v[188:189], v[188:189], v[192:193], v[196:197]
	v_div_fixup_f64 v[192:193], v[188:189], v[186:187], 1.0
                                        ; implicit-def: $vgpr186_vgpr187
	v_mul_f64 v[190:191], v[190:191], v[192:193]
	v_xor_b32_e32 v193, 0x80000000, v193
.LBB55_167:
	s_andn2_saveexec_b32 s1, s1
	s_cbranch_execz .LBB55_169
; %bb.168:
	v_div_scale_f64 v[190:191], null, v[186:187], v[186:187], v[188:189]
	v_div_scale_f64 v[196:197], vcc_lo, v[188:189], v[186:187], v[188:189]
	v_rcp_f64_e32 v[192:193], v[190:191]
	v_fma_f64 v[194:195], -v[190:191], v[192:193], 1.0
	v_fma_f64 v[192:193], v[192:193], v[194:195], v[192:193]
	v_fma_f64 v[194:195], -v[190:191], v[192:193], 1.0
	v_fma_f64 v[192:193], v[192:193], v[194:195], v[192:193]
	v_mul_f64 v[194:195], v[196:197], v[192:193]
	v_fma_f64 v[190:191], -v[190:191], v[194:195], v[196:197]
	v_div_fmas_f64 v[190:191], v[190:191], v[192:193], v[194:195]
	v_div_fixup_f64 v[192:193], v[190:191], v[186:187], v[188:189]
	v_fma_f64 v[186:187], v[188:189], v[192:193], v[186:187]
	v_div_scale_f64 v[188:189], null, v[186:187], v[186:187], 1.0
	v_rcp_f64_e32 v[190:191], v[188:189]
	v_fma_f64 v[194:195], -v[188:189], v[190:191], 1.0
	v_fma_f64 v[190:191], v[190:191], v[194:195], v[190:191]
	v_fma_f64 v[194:195], -v[188:189], v[190:191], 1.0
	v_fma_f64 v[190:191], v[190:191], v[194:195], v[190:191]
	v_div_scale_f64 v[194:195], vcc_lo, 1.0, v[186:187], 1.0
	v_mul_f64 v[196:197], v[194:195], v[190:191]
	v_fma_f64 v[188:189], -v[188:189], v[196:197], v[194:195]
	v_div_fmas_f64 v[188:189], v[188:189], v[190:191], v[196:197]
	v_div_fixup_f64 v[190:191], v[188:189], v[186:187], 1.0
	v_mul_f64 v[192:193], v[192:193], -v[190:191]
.LBB55_169:
	s_or_b32 exec_lo, exec_lo, s1
	ds_write2_b64 v1, v[190:191], v[192:193] offset1:1
.LBB55_170:
	s_or_b32 exec_lo, exec_lo, s2
	s_waitcnt lgkmcnt(0)
	s_barrier
	buffer_gl0_inv
	ds_read2_b64 v[186:189], v1 offset1:1
	s_mov_b32 s1, exec_lo
	v_cmpx_lt_u32_e32 18, v0
	s_cbranch_execz .LBB55_172
; %bb.171:
	s_waitcnt lgkmcnt(0)
	v_mul_f64 v[190:191], v[186:187], v[40:41]
	v_mul_f64 v[40:41], v[188:189], v[40:41]
	v_fma_f64 v[194:195], v[188:189], v[38:39], v[190:191]
	ds_read2_b64 v[190:193], v254 offset0:38 offset1:39
	v_fma_f64 v[38:39], v[186:187], v[38:39], -v[40:41]
	s_waitcnt lgkmcnt(0)
	v_mul_f64 v[40:41], v[192:193], v[194:195]
	v_fma_f64 v[40:41], v[190:191], v[38:39], -v[40:41]
	v_mul_f64 v[190:191], v[190:191], v[194:195]
	v_add_f64 v[34:35], v[34:35], -v[40:41]
	v_fma_f64 v[190:191], v[192:193], v[38:39], v[190:191]
	v_add_f64 v[36:37], v[36:37], -v[190:191]
	ds_read2_b64 v[190:193], v254 offset0:40 offset1:41
	s_waitcnt lgkmcnt(0)
	v_mul_f64 v[40:41], v[192:193], v[194:195]
	v_fma_f64 v[40:41], v[190:191], v[38:39], -v[40:41]
	v_mul_f64 v[190:191], v[190:191], v[194:195]
	v_add_f64 v[30:31], v[30:31], -v[40:41]
	v_fma_f64 v[190:191], v[192:193], v[38:39], v[190:191]
	v_add_f64 v[32:33], v[32:33], -v[190:191]
	ds_read2_b64 v[190:193], v254 offset0:42 offset1:43
	s_waitcnt lgkmcnt(0)
	v_mul_f64 v[40:41], v[192:193], v[194:195]
	v_fma_f64 v[40:41], v[190:191], v[38:39], -v[40:41]
	v_mul_f64 v[190:191], v[190:191], v[194:195]
	v_add_f64 v[26:27], v[26:27], -v[40:41]
	v_fma_f64 v[190:191], v[192:193], v[38:39], v[190:191]
	v_add_f64 v[28:29], v[28:29], -v[190:191]
	ds_read2_b64 v[190:193], v254 offset0:44 offset1:45
	s_waitcnt lgkmcnt(0)
	v_mul_f64 v[40:41], v[192:193], v[194:195]
	v_fma_f64 v[40:41], v[190:191], v[38:39], -v[40:41]
	v_mul_f64 v[190:191], v[190:191], v[194:195]
	v_add_f64 v[22:23], v[22:23], -v[40:41]
	v_fma_f64 v[190:191], v[192:193], v[38:39], v[190:191]
	v_add_f64 v[24:25], v[24:25], -v[190:191]
	ds_read2_b64 v[190:193], v254 offset0:46 offset1:47
	s_waitcnt lgkmcnt(0)
	v_mul_f64 v[40:41], v[192:193], v[194:195]
	v_fma_f64 v[40:41], v[190:191], v[38:39], -v[40:41]
	v_mul_f64 v[190:191], v[190:191], v[194:195]
	v_add_f64 v[18:19], v[18:19], -v[40:41]
	v_fma_f64 v[190:191], v[192:193], v[38:39], v[190:191]
	v_add_f64 v[20:21], v[20:21], -v[190:191]
	ds_read2_b64 v[190:193], v254 offset0:48 offset1:49
	s_waitcnt lgkmcnt(0)
	v_mul_f64 v[40:41], v[192:193], v[194:195]
	v_fma_f64 v[40:41], v[190:191], v[38:39], -v[40:41]
	v_mul_f64 v[190:191], v[190:191], v[194:195]
	v_add_f64 v[14:15], v[14:15], -v[40:41]
	v_fma_f64 v[190:191], v[192:193], v[38:39], v[190:191]
	v_add_f64 v[16:17], v[16:17], -v[190:191]
	ds_read2_b64 v[190:193], v254 offset0:50 offset1:51
	s_waitcnt lgkmcnt(0)
	v_mul_f64 v[40:41], v[192:193], v[194:195]
	v_fma_f64 v[40:41], v[190:191], v[38:39], -v[40:41]
	v_mul_f64 v[190:191], v[190:191], v[194:195]
	v_add_f64 v[10:11], v[10:11], -v[40:41]
	v_fma_f64 v[190:191], v[192:193], v[38:39], v[190:191]
	v_add_f64 v[12:13], v[12:13], -v[190:191]
	ds_read2_b64 v[190:193], v254 offset0:52 offset1:53
	s_waitcnt lgkmcnt(0)
	v_mul_f64 v[40:41], v[192:193], v[194:195]
	v_fma_f64 v[40:41], v[190:191], v[38:39], -v[40:41]
	v_mul_f64 v[190:191], v[190:191], v[194:195]
	v_add_f64 v[6:7], v[6:7], -v[40:41]
	v_fma_f64 v[190:191], v[192:193], v[38:39], v[190:191]
	v_add_f64 v[8:9], v[8:9], -v[190:191]
	ds_read2_b64 v[190:193], v254 offset0:54 offset1:55
	s_waitcnt lgkmcnt(0)
	v_mul_f64 v[40:41], v[192:193], v[194:195]
	v_fma_f64 v[40:41], v[190:191], v[38:39], -v[40:41]
	v_mul_f64 v[190:191], v[190:191], v[194:195]
	v_add_f64 v[2:3], v[2:3], -v[40:41]
	v_fma_f64 v[190:191], v[192:193], v[38:39], v[190:191]
	v_mov_b32_e32 v40, v194
	v_mov_b32_e32 v41, v195
	v_add_f64 v[4:5], v[4:5], -v[190:191]
.LBB55_172:
	s_or_b32 exec_lo, exec_lo, s1
	s_mov_b32 s2, exec_lo
	s_waitcnt lgkmcnt(0)
	s_barrier
	buffer_gl0_inv
	v_cmpx_eq_u32_e32 19, v0
	s_cbranch_execz .LBB55_179
; %bb.173:
	ds_write2_b64 v1, v[34:35], v[36:37] offset1:1
	ds_write2_b64 v254, v[30:31], v[32:33] offset0:40 offset1:41
	ds_write2_b64 v254, v[26:27], v[28:29] offset0:42 offset1:43
	;; [unrolled: 1-line block ×8, first 2 shown]
	ds_read2_b64 v[190:193], v1 offset1:1
	s_waitcnt lgkmcnt(0)
	v_cmp_neq_f64_e32 vcc_lo, 0, v[190:191]
	v_cmp_neq_f64_e64 s1, 0, v[192:193]
	s_or_b32 s1, vcc_lo, s1
	s_and_b32 exec_lo, exec_lo, s1
	s_cbranch_execz .LBB55_179
; %bb.174:
	v_cmp_ngt_f64_e64 s1, |v[190:191]|, |v[192:193]|
                                        ; implicit-def: $vgpr194_vgpr195
	s_and_saveexec_b32 s3, s1
	s_xor_b32 s1, exec_lo, s3
                                        ; implicit-def: $vgpr196_vgpr197
	s_cbranch_execz .LBB55_176
; %bb.175:
	v_div_scale_f64 v[194:195], null, v[192:193], v[192:193], v[190:191]
	v_div_scale_f64 v[200:201], vcc_lo, v[190:191], v[192:193], v[190:191]
	v_rcp_f64_e32 v[196:197], v[194:195]
	v_fma_f64 v[198:199], -v[194:195], v[196:197], 1.0
	v_fma_f64 v[196:197], v[196:197], v[198:199], v[196:197]
	v_fma_f64 v[198:199], -v[194:195], v[196:197], 1.0
	v_fma_f64 v[196:197], v[196:197], v[198:199], v[196:197]
	v_mul_f64 v[198:199], v[200:201], v[196:197]
	v_fma_f64 v[194:195], -v[194:195], v[198:199], v[200:201]
	v_div_fmas_f64 v[194:195], v[194:195], v[196:197], v[198:199]
	v_div_fixup_f64 v[194:195], v[194:195], v[192:193], v[190:191]
	v_fma_f64 v[190:191], v[190:191], v[194:195], v[192:193]
	v_div_scale_f64 v[192:193], null, v[190:191], v[190:191], 1.0
	v_rcp_f64_e32 v[196:197], v[192:193]
	v_fma_f64 v[198:199], -v[192:193], v[196:197], 1.0
	v_fma_f64 v[196:197], v[196:197], v[198:199], v[196:197]
	v_fma_f64 v[198:199], -v[192:193], v[196:197], 1.0
	v_fma_f64 v[196:197], v[196:197], v[198:199], v[196:197]
	v_div_scale_f64 v[198:199], vcc_lo, 1.0, v[190:191], 1.0
	v_mul_f64 v[200:201], v[198:199], v[196:197]
	v_fma_f64 v[192:193], -v[192:193], v[200:201], v[198:199]
	v_div_fmas_f64 v[192:193], v[192:193], v[196:197], v[200:201]
	v_div_fixup_f64 v[196:197], v[192:193], v[190:191], 1.0
                                        ; implicit-def: $vgpr190_vgpr191
	v_mul_f64 v[194:195], v[194:195], v[196:197]
	v_xor_b32_e32 v197, 0x80000000, v197
.LBB55_176:
	s_andn2_saveexec_b32 s1, s1
	s_cbranch_execz .LBB55_178
; %bb.177:
	v_div_scale_f64 v[194:195], null, v[190:191], v[190:191], v[192:193]
	v_div_scale_f64 v[200:201], vcc_lo, v[192:193], v[190:191], v[192:193]
	v_rcp_f64_e32 v[196:197], v[194:195]
	v_fma_f64 v[198:199], -v[194:195], v[196:197], 1.0
	v_fma_f64 v[196:197], v[196:197], v[198:199], v[196:197]
	v_fma_f64 v[198:199], -v[194:195], v[196:197], 1.0
	v_fma_f64 v[196:197], v[196:197], v[198:199], v[196:197]
	v_mul_f64 v[198:199], v[200:201], v[196:197]
	v_fma_f64 v[194:195], -v[194:195], v[198:199], v[200:201]
	v_div_fmas_f64 v[194:195], v[194:195], v[196:197], v[198:199]
	v_div_fixup_f64 v[196:197], v[194:195], v[190:191], v[192:193]
	v_fma_f64 v[190:191], v[192:193], v[196:197], v[190:191]
	v_div_scale_f64 v[192:193], null, v[190:191], v[190:191], 1.0
	v_rcp_f64_e32 v[194:195], v[192:193]
	v_fma_f64 v[198:199], -v[192:193], v[194:195], 1.0
	v_fma_f64 v[194:195], v[194:195], v[198:199], v[194:195]
	v_fma_f64 v[198:199], -v[192:193], v[194:195], 1.0
	v_fma_f64 v[194:195], v[194:195], v[198:199], v[194:195]
	v_div_scale_f64 v[198:199], vcc_lo, 1.0, v[190:191], 1.0
	v_mul_f64 v[200:201], v[198:199], v[194:195]
	v_fma_f64 v[192:193], -v[192:193], v[200:201], v[198:199]
	v_div_fmas_f64 v[192:193], v[192:193], v[194:195], v[200:201]
	v_div_fixup_f64 v[194:195], v[192:193], v[190:191], 1.0
	v_mul_f64 v[196:197], v[196:197], -v[194:195]
.LBB55_178:
	s_or_b32 exec_lo, exec_lo, s1
	ds_write2_b64 v1, v[194:195], v[196:197] offset1:1
.LBB55_179:
	s_or_b32 exec_lo, exec_lo, s2
	s_waitcnt lgkmcnt(0)
	s_barrier
	buffer_gl0_inv
	ds_read2_b64 v[190:193], v1 offset1:1
	s_mov_b32 s1, exec_lo
	v_cmpx_lt_u32_e32 19, v0
	s_cbranch_execz .LBB55_181
; %bb.180:
	s_waitcnt lgkmcnt(0)
	v_mul_f64 v[194:195], v[190:191], v[36:37]
	v_mul_f64 v[36:37], v[192:193], v[36:37]
	v_fma_f64 v[198:199], v[192:193], v[34:35], v[194:195]
	ds_read2_b64 v[194:197], v254 offset0:40 offset1:41
	v_fma_f64 v[34:35], v[190:191], v[34:35], -v[36:37]
	s_waitcnt lgkmcnt(0)
	v_mul_f64 v[36:37], v[196:197], v[198:199]
	v_fma_f64 v[36:37], v[194:195], v[34:35], -v[36:37]
	v_mul_f64 v[194:195], v[194:195], v[198:199]
	v_add_f64 v[30:31], v[30:31], -v[36:37]
	v_fma_f64 v[194:195], v[196:197], v[34:35], v[194:195]
	v_add_f64 v[32:33], v[32:33], -v[194:195]
	ds_read2_b64 v[194:197], v254 offset0:42 offset1:43
	s_waitcnt lgkmcnt(0)
	v_mul_f64 v[36:37], v[196:197], v[198:199]
	v_fma_f64 v[36:37], v[194:195], v[34:35], -v[36:37]
	v_mul_f64 v[194:195], v[194:195], v[198:199]
	v_add_f64 v[26:27], v[26:27], -v[36:37]
	v_fma_f64 v[194:195], v[196:197], v[34:35], v[194:195]
	v_add_f64 v[28:29], v[28:29], -v[194:195]
	ds_read2_b64 v[194:197], v254 offset0:44 offset1:45
	;; [unrolled: 8-line block ×7, first 2 shown]
	s_waitcnt lgkmcnt(0)
	v_mul_f64 v[36:37], v[196:197], v[198:199]
	v_fma_f64 v[36:37], v[194:195], v[34:35], -v[36:37]
	v_mul_f64 v[194:195], v[194:195], v[198:199]
	v_add_f64 v[2:3], v[2:3], -v[36:37]
	v_fma_f64 v[194:195], v[196:197], v[34:35], v[194:195]
	v_mov_b32_e32 v36, v198
	v_mov_b32_e32 v37, v199
	v_add_f64 v[4:5], v[4:5], -v[194:195]
.LBB55_181:
	s_or_b32 exec_lo, exec_lo, s1
	s_mov_b32 s2, exec_lo
	s_waitcnt lgkmcnt(0)
	s_barrier
	buffer_gl0_inv
	v_cmpx_eq_u32_e32 20, v0
	s_cbranch_execz .LBB55_188
; %bb.182:
	ds_write2_b64 v1, v[30:31], v[32:33] offset1:1
	ds_write2_b64 v254, v[26:27], v[28:29] offset0:42 offset1:43
	ds_write2_b64 v254, v[22:23], v[24:25] offset0:44 offset1:45
	;; [unrolled: 1-line block ×7, first 2 shown]
	ds_read2_b64 v[194:197], v1 offset1:1
	s_waitcnt lgkmcnt(0)
	v_cmp_neq_f64_e32 vcc_lo, 0, v[194:195]
	v_cmp_neq_f64_e64 s1, 0, v[196:197]
	s_or_b32 s1, vcc_lo, s1
	s_and_b32 exec_lo, exec_lo, s1
	s_cbranch_execz .LBB55_188
; %bb.183:
	v_cmp_ngt_f64_e64 s1, |v[194:195]|, |v[196:197]|
                                        ; implicit-def: $vgpr198_vgpr199
	s_and_saveexec_b32 s3, s1
	s_xor_b32 s1, exec_lo, s3
                                        ; implicit-def: $vgpr200_vgpr201
	s_cbranch_execz .LBB55_185
; %bb.184:
	v_div_scale_f64 v[198:199], null, v[196:197], v[196:197], v[194:195]
	v_div_scale_f64 v[204:205], vcc_lo, v[194:195], v[196:197], v[194:195]
	v_rcp_f64_e32 v[200:201], v[198:199]
	v_fma_f64 v[202:203], -v[198:199], v[200:201], 1.0
	v_fma_f64 v[200:201], v[200:201], v[202:203], v[200:201]
	v_fma_f64 v[202:203], -v[198:199], v[200:201], 1.0
	v_fma_f64 v[200:201], v[200:201], v[202:203], v[200:201]
	v_mul_f64 v[202:203], v[204:205], v[200:201]
	v_fma_f64 v[198:199], -v[198:199], v[202:203], v[204:205]
	v_div_fmas_f64 v[198:199], v[198:199], v[200:201], v[202:203]
	v_div_fixup_f64 v[198:199], v[198:199], v[196:197], v[194:195]
	v_fma_f64 v[194:195], v[194:195], v[198:199], v[196:197]
	v_div_scale_f64 v[196:197], null, v[194:195], v[194:195], 1.0
	v_rcp_f64_e32 v[200:201], v[196:197]
	v_fma_f64 v[202:203], -v[196:197], v[200:201], 1.0
	v_fma_f64 v[200:201], v[200:201], v[202:203], v[200:201]
	v_fma_f64 v[202:203], -v[196:197], v[200:201], 1.0
	v_fma_f64 v[200:201], v[200:201], v[202:203], v[200:201]
	v_div_scale_f64 v[202:203], vcc_lo, 1.0, v[194:195], 1.0
	v_mul_f64 v[204:205], v[202:203], v[200:201]
	v_fma_f64 v[196:197], -v[196:197], v[204:205], v[202:203]
	v_div_fmas_f64 v[196:197], v[196:197], v[200:201], v[204:205]
	v_div_fixup_f64 v[200:201], v[196:197], v[194:195], 1.0
                                        ; implicit-def: $vgpr194_vgpr195
	v_mul_f64 v[198:199], v[198:199], v[200:201]
	v_xor_b32_e32 v201, 0x80000000, v201
.LBB55_185:
	s_andn2_saveexec_b32 s1, s1
	s_cbranch_execz .LBB55_187
; %bb.186:
	v_div_scale_f64 v[198:199], null, v[194:195], v[194:195], v[196:197]
	v_div_scale_f64 v[204:205], vcc_lo, v[196:197], v[194:195], v[196:197]
	v_rcp_f64_e32 v[200:201], v[198:199]
	v_fma_f64 v[202:203], -v[198:199], v[200:201], 1.0
	v_fma_f64 v[200:201], v[200:201], v[202:203], v[200:201]
	v_fma_f64 v[202:203], -v[198:199], v[200:201], 1.0
	v_fma_f64 v[200:201], v[200:201], v[202:203], v[200:201]
	v_mul_f64 v[202:203], v[204:205], v[200:201]
	v_fma_f64 v[198:199], -v[198:199], v[202:203], v[204:205]
	v_div_fmas_f64 v[198:199], v[198:199], v[200:201], v[202:203]
	v_div_fixup_f64 v[200:201], v[198:199], v[194:195], v[196:197]
	v_fma_f64 v[194:195], v[196:197], v[200:201], v[194:195]
	v_div_scale_f64 v[196:197], null, v[194:195], v[194:195], 1.0
	v_rcp_f64_e32 v[198:199], v[196:197]
	v_fma_f64 v[202:203], -v[196:197], v[198:199], 1.0
	v_fma_f64 v[198:199], v[198:199], v[202:203], v[198:199]
	v_fma_f64 v[202:203], -v[196:197], v[198:199], 1.0
	v_fma_f64 v[198:199], v[198:199], v[202:203], v[198:199]
	v_div_scale_f64 v[202:203], vcc_lo, 1.0, v[194:195], 1.0
	v_mul_f64 v[204:205], v[202:203], v[198:199]
	v_fma_f64 v[196:197], -v[196:197], v[204:205], v[202:203]
	v_div_fmas_f64 v[196:197], v[196:197], v[198:199], v[204:205]
	v_div_fixup_f64 v[198:199], v[196:197], v[194:195], 1.0
	v_mul_f64 v[200:201], v[200:201], -v[198:199]
.LBB55_187:
	s_or_b32 exec_lo, exec_lo, s1
	ds_write2_b64 v1, v[198:199], v[200:201] offset1:1
.LBB55_188:
	s_or_b32 exec_lo, exec_lo, s2
	s_waitcnt lgkmcnt(0)
	s_barrier
	buffer_gl0_inv
	ds_read2_b64 v[194:197], v1 offset1:1
	s_mov_b32 s1, exec_lo
	v_cmpx_lt_u32_e32 20, v0
	s_cbranch_execz .LBB55_190
; %bb.189:
	s_waitcnt lgkmcnt(0)
	v_mul_f64 v[198:199], v[194:195], v[32:33]
	v_mul_f64 v[32:33], v[196:197], v[32:33]
	v_fma_f64 v[202:203], v[196:197], v[30:31], v[198:199]
	ds_read2_b64 v[198:201], v254 offset0:42 offset1:43
	v_fma_f64 v[30:31], v[194:195], v[30:31], -v[32:33]
	s_waitcnt lgkmcnt(0)
	v_mul_f64 v[32:33], v[200:201], v[202:203]
	v_fma_f64 v[32:33], v[198:199], v[30:31], -v[32:33]
	v_mul_f64 v[198:199], v[198:199], v[202:203]
	v_add_f64 v[26:27], v[26:27], -v[32:33]
	v_fma_f64 v[198:199], v[200:201], v[30:31], v[198:199]
	v_add_f64 v[28:29], v[28:29], -v[198:199]
	ds_read2_b64 v[198:201], v254 offset0:44 offset1:45
	s_waitcnt lgkmcnt(0)
	v_mul_f64 v[32:33], v[200:201], v[202:203]
	v_fma_f64 v[32:33], v[198:199], v[30:31], -v[32:33]
	v_mul_f64 v[198:199], v[198:199], v[202:203]
	v_add_f64 v[22:23], v[22:23], -v[32:33]
	v_fma_f64 v[198:199], v[200:201], v[30:31], v[198:199]
	v_add_f64 v[24:25], v[24:25], -v[198:199]
	ds_read2_b64 v[198:201], v254 offset0:46 offset1:47
	;; [unrolled: 8-line block ×6, first 2 shown]
	s_waitcnt lgkmcnt(0)
	v_mul_f64 v[32:33], v[200:201], v[202:203]
	v_fma_f64 v[32:33], v[198:199], v[30:31], -v[32:33]
	v_mul_f64 v[198:199], v[198:199], v[202:203]
	v_add_f64 v[2:3], v[2:3], -v[32:33]
	v_fma_f64 v[198:199], v[200:201], v[30:31], v[198:199]
	v_mov_b32_e32 v32, v202
	v_mov_b32_e32 v33, v203
	v_add_f64 v[4:5], v[4:5], -v[198:199]
.LBB55_190:
	s_or_b32 exec_lo, exec_lo, s1
	s_mov_b32 s2, exec_lo
	s_waitcnt lgkmcnt(0)
	s_barrier
	buffer_gl0_inv
	v_cmpx_eq_u32_e32 21, v0
	s_cbranch_execz .LBB55_197
; %bb.191:
	ds_write2_b64 v1, v[26:27], v[28:29] offset1:1
	ds_write2_b64 v254, v[22:23], v[24:25] offset0:44 offset1:45
	ds_write2_b64 v254, v[18:19], v[20:21] offset0:46 offset1:47
	;; [unrolled: 1-line block ×6, first 2 shown]
	ds_read2_b64 v[198:201], v1 offset1:1
	s_waitcnt lgkmcnt(0)
	v_cmp_neq_f64_e32 vcc_lo, 0, v[198:199]
	v_cmp_neq_f64_e64 s1, 0, v[200:201]
	s_or_b32 s1, vcc_lo, s1
	s_and_b32 exec_lo, exec_lo, s1
	s_cbranch_execz .LBB55_197
; %bb.192:
	v_cmp_ngt_f64_e64 s1, |v[198:199]|, |v[200:201]|
                                        ; implicit-def: $vgpr202_vgpr203
	s_and_saveexec_b32 s3, s1
	s_xor_b32 s1, exec_lo, s3
                                        ; implicit-def: $vgpr204_vgpr205
	s_cbranch_execz .LBB55_194
; %bb.193:
	v_div_scale_f64 v[202:203], null, v[200:201], v[200:201], v[198:199]
	v_div_scale_f64 v[208:209], vcc_lo, v[198:199], v[200:201], v[198:199]
	v_rcp_f64_e32 v[204:205], v[202:203]
	v_fma_f64 v[206:207], -v[202:203], v[204:205], 1.0
	v_fma_f64 v[204:205], v[204:205], v[206:207], v[204:205]
	v_fma_f64 v[206:207], -v[202:203], v[204:205], 1.0
	v_fma_f64 v[204:205], v[204:205], v[206:207], v[204:205]
	v_mul_f64 v[206:207], v[208:209], v[204:205]
	v_fma_f64 v[202:203], -v[202:203], v[206:207], v[208:209]
	v_div_fmas_f64 v[202:203], v[202:203], v[204:205], v[206:207]
	v_div_fixup_f64 v[202:203], v[202:203], v[200:201], v[198:199]
	v_fma_f64 v[198:199], v[198:199], v[202:203], v[200:201]
	v_div_scale_f64 v[200:201], null, v[198:199], v[198:199], 1.0
	v_rcp_f64_e32 v[204:205], v[200:201]
	v_fma_f64 v[206:207], -v[200:201], v[204:205], 1.0
	v_fma_f64 v[204:205], v[204:205], v[206:207], v[204:205]
	v_fma_f64 v[206:207], -v[200:201], v[204:205], 1.0
	v_fma_f64 v[204:205], v[204:205], v[206:207], v[204:205]
	v_div_scale_f64 v[206:207], vcc_lo, 1.0, v[198:199], 1.0
	v_mul_f64 v[208:209], v[206:207], v[204:205]
	v_fma_f64 v[200:201], -v[200:201], v[208:209], v[206:207]
	v_div_fmas_f64 v[200:201], v[200:201], v[204:205], v[208:209]
	v_div_fixup_f64 v[204:205], v[200:201], v[198:199], 1.0
                                        ; implicit-def: $vgpr198_vgpr199
	v_mul_f64 v[202:203], v[202:203], v[204:205]
	v_xor_b32_e32 v205, 0x80000000, v205
.LBB55_194:
	s_andn2_saveexec_b32 s1, s1
	s_cbranch_execz .LBB55_196
; %bb.195:
	v_div_scale_f64 v[202:203], null, v[198:199], v[198:199], v[200:201]
	v_div_scale_f64 v[208:209], vcc_lo, v[200:201], v[198:199], v[200:201]
	v_rcp_f64_e32 v[204:205], v[202:203]
	v_fma_f64 v[206:207], -v[202:203], v[204:205], 1.0
	v_fma_f64 v[204:205], v[204:205], v[206:207], v[204:205]
	v_fma_f64 v[206:207], -v[202:203], v[204:205], 1.0
	v_fma_f64 v[204:205], v[204:205], v[206:207], v[204:205]
	v_mul_f64 v[206:207], v[208:209], v[204:205]
	v_fma_f64 v[202:203], -v[202:203], v[206:207], v[208:209]
	v_div_fmas_f64 v[202:203], v[202:203], v[204:205], v[206:207]
	v_div_fixup_f64 v[204:205], v[202:203], v[198:199], v[200:201]
	v_fma_f64 v[198:199], v[200:201], v[204:205], v[198:199]
	v_div_scale_f64 v[200:201], null, v[198:199], v[198:199], 1.0
	v_rcp_f64_e32 v[202:203], v[200:201]
	v_fma_f64 v[206:207], -v[200:201], v[202:203], 1.0
	v_fma_f64 v[202:203], v[202:203], v[206:207], v[202:203]
	v_fma_f64 v[206:207], -v[200:201], v[202:203], 1.0
	v_fma_f64 v[202:203], v[202:203], v[206:207], v[202:203]
	v_div_scale_f64 v[206:207], vcc_lo, 1.0, v[198:199], 1.0
	v_mul_f64 v[208:209], v[206:207], v[202:203]
	v_fma_f64 v[200:201], -v[200:201], v[208:209], v[206:207]
	v_div_fmas_f64 v[200:201], v[200:201], v[202:203], v[208:209]
	v_div_fixup_f64 v[202:203], v[200:201], v[198:199], 1.0
	v_mul_f64 v[204:205], v[204:205], -v[202:203]
.LBB55_196:
	s_or_b32 exec_lo, exec_lo, s1
	ds_write2_b64 v1, v[202:203], v[204:205] offset1:1
.LBB55_197:
	s_or_b32 exec_lo, exec_lo, s2
	s_waitcnt lgkmcnt(0)
	s_barrier
	buffer_gl0_inv
	ds_read2_b64 v[198:201], v1 offset1:1
	s_mov_b32 s1, exec_lo
	v_cmpx_lt_u32_e32 21, v0
	s_cbranch_execz .LBB55_199
; %bb.198:
	s_waitcnt lgkmcnt(0)
	v_mul_f64 v[202:203], v[198:199], v[28:29]
	v_mul_f64 v[28:29], v[200:201], v[28:29]
	v_fma_f64 v[206:207], v[200:201], v[26:27], v[202:203]
	ds_read2_b64 v[202:205], v254 offset0:44 offset1:45
	v_fma_f64 v[26:27], v[198:199], v[26:27], -v[28:29]
	s_waitcnt lgkmcnt(0)
	v_mul_f64 v[28:29], v[204:205], v[206:207]
	v_fma_f64 v[28:29], v[202:203], v[26:27], -v[28:29]
	v_mul_f64 v[202:203], v[202:203], v[206:207]
	v_add_f64 v[22:23], v[22:23], -v[28:29]
	v_fma_f64 v[202:203], v[204:205], v[26:27], v[202:203]
	v_add_f64 v[24:25], v[24:25], -v[202:203]
	ds_read2_b64 v[202:205], v254 offset0:46 offset1:47
	s_waitcnt lgkmcnt(0)
	v_mul_f64 v[28:29], v[204:205], v[206:207]
	v_fma_f64 v[28:29], v[202:203], v[26:27], -v[28:29]
	v_mul_f64 v[202:203], v[202:203], v[206:207]
	v_add_f64 v[18:19], v[18:19], -v[28:29]
	v_fma_f64 v[202:203], v[204:205], v[26:27], v[202:203]
	v_add_f64 v[20:21], v[20:21], -v[202:203]
	ds_read2_b64 v[202:205], v254 offset0:48 offset1:49
	;; [unrolled: 8-line block ×5, first 2 shown]
	s_waitcnt lgkmcnt(0)
	v_mul_f64 v[28:29], v[204:205], v[206:207]
	v_fma_f64 v[28:29], v[202:203], v[26:27], -v[28:29]
	v_mul_f64 v[202:203], v[202:203], v[206:207]
	v_add_f64 v[2:3], v[2:3], -v[28:29]
	v_fma_f64 v[202:203], v[204:205], v[26:27], v[202:203]
	v_mov_b32_e32 v28, v206
	v_mov_b32_e32 v29, v207
	v_add_f64 v[4:5], v[4:5], -v[202:203]
.LBB55_199:
	s_or_b32 exec_lo, exec_lo, s1
	s_mov_b32 s2, exec_lo
	s_waitcnt lgkmcnt(0)
	s_barrier
	buffer_gl0_inv
	v_cmpx_eq_u32_e32 22, v0
	s_cbranch_execz .LBB55_206
; %bb.200:
	ds_write2_b64 v1, v[22:23], v[24:25] offset1:1
	ds_write2_b64 v254, v[18:19], v[20:21] offset0:46 offset1:47
	ds_write2_b64 v254, v[14:15], v[16:17] offset0:48 offset1:49
	;; [unrolled: 1-line block ×5, first 2 shown]
	ds_read2_b64 v[202:205], v1 offset1:1
	s_waitcnt lgkmcnt(0)
	v_cmp_neq_f64_e32 vcc_lo, 0, v[202:203]
	v_cmp_neq_f64_e64 s1, 0, v[204:205]
	s_or_b32 s1, vcc_lo, s1
	s_and_b32 exec_lo, exec_lo, s1
	s_cbranch_execz .LBB55_206
; %bb.201:
	v_cmp_ngt_f64_e64 s1, |v[202:203]|, |v[204:205]|
                                        ; implicit-def: $vgpr206_vgpr207
	s_and_saveexec_b32 s3, s1
	s_xor_b32 s1, exec_lo, s3
                                        ; implicit-def: $vgpr208_vgpr209
	s_cbranch_execz .LBB55_203
; %bb.202:
	v_div_scale_f64 v[206:207], null, v[204:205], v[204:205], v[202:203]
	v_div_scale_f64 v[212:213], vcc_lo, v[202:203], v[204:205], v[202:203]
	v_rcp_f64_e32 v[208:209], v[206:207]
	v_fma_f64 v[210:211], -v[206:207], v[208:209], 1.0
	v_fma_f64 v[208:209], v[208:209], v[210:211], v[208:209]
	v_fma_f64 v[210:211], -v[206:207], v[208:209], 1.0
	v_fma_f64 v[208:209], v[208:209], v[210:211], v[208:209]
	v_mul_f64 v[210:211], v[212:213], v[208:209]
	v_fma_f64 v[206:207], -v[206:207], v[210:211], v[212:213]
	v_div_fmas_f64 v[206:207], v[206:207], v[208:209], v[210:211]
	v_div_fixup_f64 v[206:207], v[206:207], v[204:205], v[202:203]
	v_fma_f64 v[202:203], v[202:203], v[206:207], v[204:205]
	v_div_scale_f64 v[204:205], null, v[202:203], v[202:203], 1.0
	v_rcp_f64_e32 v[208:209], v[204:205]
	v_fma_f64 v[210:211], -v[204:205], v[208:209], 1.0
	v_fma_f64 v[208:209], v[208:209], v[210:211], v[208:209]
	v_fma_f64 v[210:211], -v[204:205], v[208:209], 1.0
	v_fma_f64 v[208:209], v[208:209], v[210:211], v[208:209]
	v_div_scale_f64 v[210:211], vcc_lo, 1.0, v[202:203], 1.0
	v_mul_f64 v[212:213], v[210:211], v[208:209]
	v_fma_f64 v[204:205], -v[204:205], v[212:213], v[210:211]
	v_div_fmas_f64 v[204:205], v[204:205], v[208:209], v[212:213]
	v_div_fixup_f64 v[208:209], v[204:205], v[202:203], 1.0
                                        ; implicit-def: $vgpr202_vgpr203
	v_mul_f64 v[206:207], v[206:207], v[208:209]
	v_xor_b32_e32 v209, 0x80000000, v209
.LBB55_203:
	s_andn2_saveexec_b32 s1, s1
	s_cbranch_execz .LBB55_205
; %bb.204:
	v_div_scale_f64 v[206:207], null, v[202:203], v[202:203], v[204:205]
	v_div_scale_f64 v[212:213], vcc_lo, v[204:205], v[202:203], v[204:205]
	v_rcp_f64_e32 v[208:209], v[206:207]
	v_fma_f64 v[210:211], -v[206:207], v[208:209], 1.0
	v_fma_f64 v[208:209], v[208:209], v[210:211], v[208:209]
	v_fma_f64 v[210:211], -v[206:207], v[208:209], 1.0
	v_fma_f64 v[208:209], v[208:209], v[210:211], v[208:209]
	v_mul_f64 v[210:211], v[212:213], v[208:209]
	v_fma_f64 v[206:207], -v[206:207], v[210:211], v[212:213]
	v_div_fmas_f64 v[206:207], v[206:207], v[208:209], v[210:211]
	v_div_fixup_f64 v[208:209], v[206:207], v[202:203], v[204:205]
	v_fma_f64 v[202:203], v[204:205], v[208:209], v[202:203]
	v_div_scale_f64 v[204:205], null, v[202:203], v[202:203], 1.0
	v_rcp_f64_e32 v[206:207], v[204:205]
	v_fma_f64 v[210:211], -v[204:205], v[206:207], 1.0
	v_fma_f64 v[206:207], v[206:207], v[210:211], v[206:207]
	v_fma_f64 v[210:211], -v[204:205], v[206:207], 1.0
	v_fma_f64 v[206:207], v[206:207], v[210:211], v[206:207]
	v_div_scale_f64 v[210:211], vcc_lo, 1.0, v[202:203], 1.0
	v_mul_f64 v[212:213], v[210:211], v[206:207]
	v_fma_f64 v[204:205], -v[204:205], v[212:213], v[210:211]
	v_div_fmas_f64 v[204:205], v[204:205], v[206:207], v[212:213]
	v_div_fixup_f64 v[206:207], v[204:205], v[202:203], 1.0
	v_mul_f64 v[208:209], v[208:209], -v[206:207]
.LBB55_205:
	s_or_b32 exec_lo, exec_lo, s1
	ds_write2_b64 v1, v[206:207], v[208:209] offset1:1
.LBB55_206:
	s_or_b32 exec_lo, exec_lo, s2
	s_waitcnt lgkmcnt(0)
	s_barrier
	buffer_gl0_inv
	ds_read2_b64 v[202:205], v1 offset1:1
	s_mov_b32 s1, exec_lo
	v_cmpx_lt_u32_e32 22, v0
	s_cbranch_execz .LBB55_208
; %bb.207:
	s_waitcnt lgkmcnt(0)
	v_mul_f64 v[206:207], v[202:203], v[24:25]
	v_mul_f64 v[24:25], v[204:205], v[24:25]
	v_fma_f64 v[210:211], v[204:205], v[22:23], v[206:207]
	ds_read2_b64 v[206:209], v254 offset0:46 offset1:47
	v_fma_f64 v[22:23], v[202:203], v[22:23], -v[24:25]
	s_waitcnt lgkmcnt(0)
	v_mul_f64 v[24:25], v[208:209], v[210:211]
	v_fma_f64 v[24:25], v[206:207], v[22:23], -v[24:25]
	v_mul_f64 v[206:207], v[206:207], v[210:211]
	v_add_f64 v[18:19], v[18:19], -v[24:25]
	v_fma_f64 v[206:207], v[208:209], v[22:23], v[206:207]
	v_add_f64 v[20:21], v[20:21], -v[206:207]
	ds_read2_b64 v[206:209], v254 offset0:48 offset1:49
	s_waitcnt lgkmcnt(0)
	v_mul_f64 v[24:25], v[208:209], v[210:211]
	v_fma_f64 v[24:25], v[206:207], v[22:23], -v[24:25]
	v_mul_f64 v[206:207], v[206:207], v[210:211]
	v_add_f64 v[14:15], v[14:15], -v[24:25]
	v_fma_f64 v[206:207], v[208:209], v[22:23], v[206:207]
	v_add_f64 v[16:17], v[16:17], -v[206:207]
	ds_read2_b64 v[206:209], v254 offset0:50 offset1:51
	;; [unrolled: 8-line block ×4, first 2 shown]
	s_waitcnt lgkmcnt(0)
	v_mul_f64 v[24:25], v[208:209], v[210:211]
	v_fma_f64 v[24:25], v[206:207], v[22:23], -v[24:25]
	v_mul_f64 v[206:207], v[206:207], v[210:211]
	v_add_f64 v[2:3], v[2:3], -v[24:25]
	v_fma_f64 v[206:207], v[208:209], v[22:23], v[206:207]
	v_mov_b32_e32 v24, v210
	v_mov_b32_e32 v25, v211
	v_add_f64 v[4:5], v[4:5], -v[206:207]
.LBB55_208:
	s_or_b32 exec_lo, exec_lo, s1
	s_mov_b32 s2, exec_lo
	s_waitcnt lgkmcnt(0)
	s_barrier
	buffer_gl0_inv
	v_cmpx_eq_u32_e32 23, v0
	s_cbranch_execz .LBB55_215
; %bb.209:
	ds_write2_b64 v1, v[18:19], v[20:21] offset1:1
	ds_write2_b64 v254, v[14:15], v[16:17] offset0:48 offset1:49
	ds_write2_b64 v254, v[10:11], v[12:13] offset0:50 offset1:51
	;; [unrolled: 1-line block ×4, first 2 shown]
	ds_read2_b64 v[206:209], v1 offset1:1
	s_waitcnt lgkmcnt(0)
	v_cmp_neq_f64_e32 vcc_lo, 0, v[206:207]
	v_cmp_neq_f64_e64 s1, 0, v[208:209]
	s_or_b32 s1, vcc_lo, s1
	s_and_b32 exec_lo, exec_lo, s1
	s_cbranch_execz .LBB55_215
; %bb.210:
	v_cmp_ngt_f64_e64 s1, |v[206:207]|, |v[208:209]|
                                        ; implicit-def: $vgpr210_vgpr211
	s_and_saveexec_b32 s3, s1
	s_xor_b32 s1, exec_lo, s3
                                        ; implicit-def: $vgpr212_vgpr213
	s_cbranch_execz .LBB55_212
; %bb.211:
	v_div_scale_f64 v[210:211], null, v[208:209], v[208:209], v[206:207]
	v_div_scale_f64 v[216:217], vcc_lo, v[206:207], v[208:209], v[206:207]
	v_rcp_f64_e32 v[212:213], v[210:211]
	v_fma_f64 v[214:215], -v[210:211], v[212:213], 1.0
	v_fma_f64 v[212:213], v[212:213], v[214:215], v[212:213]
	v_fma_f64 v[214:215], -v[210:211], v[212:213], 1.0
	v_fma_f64 v[212:213], v[212:213], v[214:215], v[212:213]
	v_mul_f64 v[214:215], v[216:217], v[212:213]
	v_fma_f64 v[210:211], -v[210:211], v[214:215], v[216:217]
	v_div_fmas_f64 v[210:211], v[210:211], v[212:213], v[214:215]
	v_div_fixup_f64 v[210:211], v[210:211], v[208:209], v[206:207]
	v_fma_f64 v[206:207], v[206:207], v[210:211], v[208:209]
	v_div_scale_f64 v[208:209], null, v[206:207], v[206:207], 1.0
	v_rcp_f64_e32 v[212:213], v[208:209]
	v_fma_f64 v[214:215], -v[208:209], v[212:213], 1.0
	v_fma_f64 v[212:213], v[212:213], v[214:215], v[212:213]
	v_fma_f64 v[214:215], -v[208:209], v[212:213], 1.0
	v_fma_f64 v[212:213], v[212:213], v[214:215], v[212:213]
	v_div_scale_f64 v[214:215], vcc_lo, 1.0, v[206:207], 1.0
	v_mul_f64 v[216:217], v[214:215], v[212:213]
	v_fma_f64 v[208:209], -v[208:209], v[216:217], v[214:215]
	v_div_fmas_f64 v[208:209], v[208:209], v[212:213], v[216:217]
	v_div_fixup_f64 v[212:213], v[208:209], v[206:207], 1.0
                                        ; implicit-def: $vgpr206_vgpr207
	v_mul_f64 v[210:211], v[210:211], v[212:213]
	v_xor_b32_e32 v213, 0x80000000, v213
.LBB55_212:
	s_andn2_saveexec_b32 s1, s1
	s_cbranch_execz .LBB55_214
; %bb.213:
	v_div_scale_f64 v[210:211], null, v[206:207], v[206:207], v[208:209]
	v_div_scale_f64 v[216:217], vcc_lo, v[208:209], v[206:207], v[208:209]
	v_rcp_f64_e32 v[212:213], v[210:211]
	v_fma_f64 v[214:215], -v[210:211], v[212:213], 1.0
	v_fma_f64 v[212:213], v[212:213], v[214:215], v[212:213]
	v_fma_f64 v[214:215], -v[210:211], v[212:213], 1.0
	v_fma_f64 v[212:213], v[212:213], v[214:215], v[212:213]
	v_mul_f64 v[214:215], v[216:217], v[212:213]
	v_fma_f64 v[210:211], -v[210:211], v[214:215], v[216:217]
	v_div_fmas_f64 v[210:211], v[210:211], v[212:213], v[214:215]
	v_div_fixup_f64 v[212:213], v[210:211], v[206:207], v[208:209]
	v_fma_f64 v[206:207], v[208:209], v[212:213], v[206:207]
	v_div_scale_f64 v[208:209], null, v[206:207], v[206:207], 1.0
	v_rcp_f64_e32 v[210:211], v[208:209]
	v_fma_f64 v[214:215], -v[208:209], v[210:211], 1.0
	v_fma_f64 v[210:211], v[210:211], v[214:215], v[210:211]
	v_fma_f64 v[214:215], -v[208:209], v[210:211], 1.0
	v_fma_f64 v[210:211], v[210:211], v[214:215], v[210:211]
	v_div_scale_f64 v[214:215], vcc_lo, 1.0, v[206:207], 1.0
	v_mul_f64 v[216:217], v[214:215], v[210:211]
	v_fma_f64 v[208:209], -v[208:209], v[216:217], v[214:215]
	v_div_fmas_f64 v[208:209], v[208:209], v[210:211], v[216:217]
	v_div_fixup_f64 v[210:211], v[208:209], v[206:207], 1.0
	v_mul_f64 v[212:213], v[212:213], -v[210:211]
.LBB55_214:
	s_or_b32 exec_lo, exec_lo, s1
	ds_write2_b64 v1, v[210:211], v[212:213] offset1:1
.LBB55_215:
	s_or_b32 exec_lo, exec_lo, s2
	s_waitcnt lgkmcnt(0)
	s_barrier
	buffer_gl0_inv
	ds_read2_b64 v[206:209], v1 offset1:1
	s_mov_b32 s1, exec_lo
	v_cmpx_lt_u32_e32 23, v0
	s_cbranch_execz .LBB55_217
; %bb.216:
	s_waitcnt lgkmcnt(0)
	v_mul_f64 v[210:211], v[206:207], v[20:21]
	v_mul_f64 v[20:21], v[208:209], v[20:21]
	v_fma_f64 v[214:215], v[208:209], v[18:19], v[210:211]
	ds_read2_b64 v[210:213], v254 offset0:48 offset1:49
	v_fma_f64 v[18:19], v[206:207], v[18:19], -v[20:21]
	s_waitcnt lgkmcnt(0)
	v_mul_f64 v[20:21], v[212:213], v[214:215]
	v_fma_f64 v[20:21], v[210:211], v[18:19], -v[20:21]
	v_mul_f64 v[210:211], v[210:211], v[214:215]
	v_add_f64 v[14:15], v[14:15], -v[20:21]
	v_fma_f64 v[210:211], v[212:213], v[18:19], v[210:211]
	v_add_f64 v[16:17], v[16:17], -v[210:211]
	ds_read2_b64 v[210:213], v254 offset0:50 offset1:51
	s_waitcnt lgkmcnt(0)
	v_mul_f64 v[20:21], v[212:213], v[214:215]
	v_fma_f64 v[20:21], v[210:211], v[18:19], -v[20:21]
	v_mul_f64 v[210:211], v[210:211], v[214:215]
	v_add_f64 v[10:11], v[10:11], -v[20:21]
	v_fma_f64 v[210:211], v[212:213], v[18:19], v[210:211]
	v_add_f64 v[12:13], v[12:13], -v[210:211]
	ds_read2_b64 v[210:213], v254 offset0:52 offset1:53
	;; [unrolled: 8-line block ×3, first 2 shown]
	s_waitcnt lgkmcnt(0)
	v_mul_f64 v[20:21], v[212:213], v[214:215]
	v_fma_f64 v[20:21], v[210:211], v[18:19], -v[20:21]
	v_mul_f64 v[210:211], v[210:211], v[214:215]
	v_add_f64 v[2:3], v[2:3], -v[20:21]
	v_fma_f64 v[210:211], v[212:213], v[18:19], v[210:211]
	v_mov_b32_e32 v20, v214
	v_mov_b32_e32 v21, v215
	v_add_f64 v[4:5], v[4:5], -v[210:211]
.LBB55_217:
	s_or_b32 exec_lo, exec_lo, s1
	s_mov_b32 s2, exec_lo
	s_waitcnt lgkmcnt(0)
	s_barrier
	buffer_gl0_inv
	v_cmpx_eq_u32_e32 24, v0
	s_cbranch_execz .LBB55_224
; %bb.218:
	ds_write2_b64 v1, v[14:15], v[16:17] offset1:1
	ds_write2_b64 v254, v[10:11], v[12:13] offset0:50 offset1:51
	ds_write2_b64 v254, v[6:7], v[8:9] offset0:52 offset1:53
	;; [unrolled: 1-line block ×3, first 2 shown]
	ds_read2_b64 v[210:213], v1 offset1:1
	s_waitcnt lgkmcnt(0)
	v_cmp_neq_f64_e32 vcc_lo, 0, v[210:211]
	v_cmp_neq_f64_e64 s1, 0, v[212:213]
	s_or_b32 s1, vcc_lo, s1
	s_and_b32 exec_lo, exec_lo, s1
	s_cbranch_execz .LBB55_224
; %bb.219:
	v_cmp_ngt_f64_e64 s1, |v[210:211]|, |v[212:213]|
                                        ; implicit-def: $vgpr214_vgpr215
	s_and_saveexec_b32 s3, s1
	s_xor_b32 s1, exec_lo, s3
                                        ; implicit-def: $vgpr216_vgpr217
	s_cbranch_execz .LBB55_221
; %bb.220:
	v_div_scale_f64 v[214:215], null, v[212:213], v[212:213], v[210:211]
	v_div_scale_f64 v[220:221], vcc_lo, v[210:211], v[212:213], v[210:211]
	v_rcp_f64_e32 v[216:217], v[214:215]
	v_fma_f64 v[218:219], -v[214:215], v[216:217], 1.0
	v_fma_f64 v[216:217], v[216:217], v[218:219], v[216:217]
	v_fma_f64 v[218:219], -v[214:215], v[216:217], 1.0
	v_fma_f64 v[216:217], v[216:217], v[218:219], v[216:217]
	v_mul_f64 v[218:219], v[220:221], v[216:217]
	v_fma_f64 v[214:215], -v[214:215], v[218:219], v[220:221]
	v_div_fmas_f64 v[214:215], v[214:215], v[216:217], v[218:219]
	v_div_fixup_f64 v[214:215], v[214:215], v[212:213], v[210:211]
	v_fma_f64 v[210:211], v[210:211], v[214:215], v[212:213]
	v_div_scale_f64 v[212:213], null, v[210:211], v[210:211], 1.0
	v_rcp_f64_e32 v[216:217], v[212:213]
	v_fma_f64 v[218:219], -v[212:213], v[216:217], 1.0
	v_fma_f64 v[216:217], v[216:217], v[218:219], v[216:217]
	v_fma_f64 v[218:219], -v[212:213], v[216:217], 1.0
	v_fma_f64 v[216:217], v[216:217], v[218:219], v[216:217]
	v_div_scale_f64 v[218:219], vcc_lo, 1.0, v[210:211], 1.0
	v_mul_f64 v[220:221], v[218:219], v[216:217]
	v_fma_f64 v[212:213], -v[212:213], v[220:221], v[218:219]
	v_div_fmas_f64 v[212:213], v[212:213], v[216:217], v[220:221]
	v_div_fixup_f64 v[216:217], v[212:213], v[210:211], 1.0
                                        ; implicit-def: $vgpr210_vgpr211
	v_mul_f64 v[214:215], v[214:215], v[216:217]
	v_xor_b32_e32 v217, 0x80000000, v217
.LBB55_221:
	s_andn2_saveexec_b32 s1, s1
	s_cbranch_execz .LBB55_223
; %bb.222:
	v_div_scale_f64 v[214:215], null, v[210:211], v[210:211], v[212:213]
	v_div_scale_f64 v[220:221], vcc_lo, v[212:213], v[210:211], v[212:213]
	v_rcp_f64_e32 v[216:217], v[214:215]
	v_fma_f64 v[218:219], -v[214:215], v[216:217], 1.0
	v_fma_f64 v[216:217], v[216:217], v[218:219], v[216:217]
	v_fma_f64 v[218:219], -v[214:215], v[216:217], 1.0
	v_fma_f64 v[216:217], v[216:217], v[218:219], v[216:217]
	v_mul_f64 v[218:219], v[220:221], v[216:217]
	v_fma_f64 v[214:215], -v[214:215], v[218:219], v[220:221]
	v_div_fmas_f64 v[214:215], v[214:215], v[216:217], v[218:219]
	v_div_fixup_f64 v[216:217], v[214:215], v[210:211], v[212:213]
	v_fma_f64 v[210:211], v[212:213], v[216:217], v[210:211]
	v_div_scale_f64 v[212:213], null, v[210:211], v[210:211], 1.0
	v_rcp_f64_e32 v[214:215], v[212:213]
	v_fma_f64 v[218:219], -v[212:213], v[214:215], 1.0
	v_fma_f64 v[214:215], v[214:215], v[218:219], v[214:215]
	v_fma_f64 v[218:219], -v[212:213], v[214:215], 1.0
	v_fma_f64 v[214:215], v[214:215], v[218:219], v[214:215]
	v_div_scale_f64 v[218:219], vcc_lo, 1.0, v[210:211], 1.0
	v_mul_f64 v[220:221], v[218:219], v[214:215]
	v_fma_f64 v[212:213], -v[212:213], v[220:221], v[218:219]
	v_div_fmas_f64 v[212:213], v[212:213], v[214:215], v[220:221]
	v_div_fixup_f64 v[214:215], v[212:213], v[210:211], 1.0
	v_mul_f64 v[216:217], v[216:217], -v[214:215]
.LBB55_223:
	s_or_b32 exec_lo, exec_lo, s1
	ds_write2_b64 v1, v[214:215], v[216:217] offset1:1
.LBB55_224:
	s_or_b32 exec_lo, exec_lo, s2
	s_waitcnt lgkmcnt(0)
	s_barrier
	buffer_gl0_inv
	ds_read2_b64 v[210:213], v1 offset1:1
	s_mov_b32 s1, exec_lo
	v_cmpx_lt_u32_e32 24, v0
	s_cbranch_execz .LBB55_226
; %bb.225:
	s_waitcnt lgkmcnt(0)
	v_mul_f64 v[214:215], v[210:211], v[16:17]
	v_mul_f64 v[16:17], v[212:213], v[16:17]
	v_fma_f64 v[218:219], v[212:213], v[14:15], v[214:215]
	ds_read2_b64 v[214:217], v254 offset0:50 offset1:51
	v_fma_f64 v[14:15], v[210:211], v[14:15], -v[16:17]
	s_waitcnt lgkmcnt(0)
	v_mul_f64 v[16:17], v[216:217], v[218:219]
	v_fma_f64 v[16:17], v[214:215], v[14:15], -v[16:17]
	v_mul_f64 v[214:215], v[214:215], v[218:219]
	v_add_f64 v[10:11], v[10:11], -v[16:17]
	v_fma_f64 v[214:215], v[216:217], v[14:15], v[214:215]
	v_add_f64 v[12:13], v[12:13], -v[214:215]
	ds_read2_b64 v[214:217], v254 offset0:52 offset1:53
	s_waitcnt lgkmcnt(0)
	v_mul_f64 v[16:17], v[216:217], v[218:219]
	v_fma_f64 v[16:17], v[214:215], v[14:15], -v[16:17]
	v_mul_f64 v[214:215], v[214:215], v[218:219]
	v_add_f64 v[6:7], v[6:7], -v[16:17]
	v_fma_f64 v[214:215], v[216:217], v[14:15], v[214:215]
	v_add_f64 v[8:9], v[8:9], -v[214:215]
	ds_read2_b64 v[214:217], v254 offset0:54 offset1:55
	s_waitcnt lgkmcnt(0)
	v_mul_f64 v[16:17], v[216:217], v[218:219]
	v_fma_f64 v[16:17], v[214:215], v[14:15], -v[16:17]
	v_mul_f64 v[214:215], v[214:215], v[218:219]
	v_add_f64 v[2:3], v[2:3], -v[16:17]
	v_fma_f64 v[214:215], v[216:217], v[14:15], v[214:215]
	v_mov_b32_e32 v16, v218
	v_mov_b32_e32 v17, v219
	v_add_f64 v[4:5], v[4:5], -v[214:215]
.LBB55_226:
	s_or_b32 exec_lo, exec_lo, s1
	s_mov_b32 s2, exec_lo
	s_waitcnt lgkmcnt(0)
	s_barrier
	buffer_gl0_inv
	v_cmpx_eq_u32_e32 25, v0
	s_cbranch_execz .LBB55_233
; %bb.227:
	ds_write2_b64 v1, v[10:11], v[12:13] offset1:1
	ds_write2_b64 v254, v[6:7], v[8:9] offset0:52 offset1:53
	ds_write2_b64 v254, v[2:3], v[4:5] offset0:54 offset1:55
	ds_read2_b64 v[214:217], v1 offset1:1
	s_waitcnt lgkmcnt(0)
	v_cmp_neq_f64_e32 vcc_lo, 0, v[214:215]
	v_cmp_neq_f64_e64 s1, 0, v[216:217]
	s_or_b32 s1, vcc_lo, s1
	s_and_b32 exec_lo, exec_lo, s1
	s_cbranch_execz .LBB55_233
; %bb.228:
	v_cmp_ngt_f64_e64 s1, |v[214:215]|, |v[216:217]|
                                        ; implicit-def: $vgpr218_vgpr219
	s_and_saveexec_b32 s3, s1
	s_xor_b32 s1, exec_lo, s3
                                        ; implicit-def: $vgpr220_vgpr221
	s_cbranch_execz .LBB55_230
; %bb.229:
	v_div_scale_f64 v[218:219], null, v[216:217], v[216:217], v[214:215]
	v_div_scale_f64 v[224:225], vcc_lo, v[214:215], v[216:217], v[214:215]
	v_rcp_f64_e32 v[220:221], v[218:219]
	v_fma_f64 v[222:223], -v[218:219], v[220:221], 1.0
	v_fma_f64 v[220:221], v[220:221], v[222:223], v[220:221]
	v_fma_f64 v[222:223], -v[218:219], v[220:221], 1.0
	v_fma_f64 v[220:221], v[220:221], v[222:223], v[220:221]
	v_mul_f64 v[222:223], v[224:225], v[220:221]
	v_fma_f64 v[218:219], -v[218:219], v[222:223], v[224:225]
	v_div_fmas_f64 v[218:219], v[218:219], v[220:221], v[222:223]
	v_div_fixup_f64 v[218:219], v[218:219], v[216:217], v[214:215]
	v_fma_f64 v[214:215], v[214:215], v[218:219], v[216:217]
	v_div_scale_f64 v[216:217], null, v[214:215], v[214:215], 1.0
	v_rcp_f64_e32 v[220:221], v[216:217]
	v_fma_f64 v[222:223], -v[216:217], v[220:221], 1.0
	v_fma_f64 v[220:221], v[220:221], v[222:223], v[220:221]
	v_fma_f64 v[222:223], -v[216:217], v[220:221], 1.0
	v_fma_f64 v[220:221], v[220:221], v[222:223], v[220:221]
	v_div_scale_f64 v[222:223], vcc_lo, 1.0, v[214:215], 1.0
	v_mul_f64 v[224:225], v[222:223], v[220:221]
	v_fma_f64 v[216:217], -v[216:217], v[224:225], v[222:223]
	v_div_fmas_f64 v[216:217], v[216:217], v[220:221], v[224:225]
	v_div_fixup_f64 v[220:221], v[216:217], v[214:215], 1.0
                                        ; implicit-def: $vgpr214_vgpr215
	v_mul_f64 v[218:219], v[218:219], v[220:221]
	v_xor_b32_e32 v221, 0x80000000, v221
.LBB55_230:
	s_andn2_saveexec_b32 s1, s1
	s_cbranch_execz .LBB55_232
; %bb.231:
	v_div_scale_f64 v[218:219], null, v[214:215], v[214:215], v[216:217]
	v_div_scale_f64 v[224:225], vcc_lo, v[216:217], v[214:215], v[216:217]
	v_rcp_f64_e32 v[220:221], v[218:219]
	v_fma_f64 v[222:223], -v[218:219], v[220:221], 1.0
	v_fma_f64 v[220:221], v[220:221], v[222:223], v[220:221]
	v_fma_f64 v[222:223], -v[218:219], v[220:221], 1.0
	v_fma_f64 v[220:221], v[220:221], v[222:223], v[220:221]
	v_mul_f64 v[222:223], v[224:225], v[220:221]
	v_fma_f64 v[218:219], -v[218:219], v[222:223], v[224:225]
	v_div_fmas_f64 v[218:219], v[218:219], v[220:221], v[222:223]
	v_div_fixup_f64 v[220:221], v[218:219], v[214:215], v[216:217]
	v_fma_f64 v[214:215], v[216:217], v[220:221], v[214:215]
	v_div_scale_f64 v[216:217], null, v[214:215], v[214:215], 1.0
	v_rcp_f64_e32 v[218:219], v[216:217]
	v_fma_f64 v[222:223], -v[216:217], v[218:219], 1.0
	v_fma_f64 v[218:219], v[218:219], v[222:223], v[218:219]
	v_fma_f64 v[222:223], -v[216:217], v[218:219], 1.0
	v_fma_f64 v[218:219], v[218:219], v[222:223], v[218:219]
	v_div_scale_f64 v[222:223], vcc_lo, 1.0, v[214:215], 1.0
	v_mul_f64 v[224:225], v[222:223], v[218:219]
	v_fma_f64 v[216:217], -v[216:217], v[224:225], v[222:223]
	v_div_fmas_f64 v[216:217], v[216:217], v[218:219], v[224:225]
	v_div_fixup_f64 v[218:219], v[216:217], v[214:215], 1.0
	v_mul_f64 v[220:221], v[220:221], -v[218:219]
.LBB55_232:
	s_or_b32 exec_lo, exec_lo, s1
	ds_write2_b64 v1, v[218:219], v[220:221] offset1:1
.LBB55_233:
	s_or_b32 exec_lo, exec_lo, s2
	s_waitcnt lgkmcnt(0)
	s_barrier
	buffer_gl0_inv
	ds_read2_b64 v[214:217], v1 offset1:1
	s_mov_b32 s1, exec_lo
	v_cmpx_lt_u32_e32 25, v0
	s_cbranch_execz .LBB55_235
; %bb.234:
	s_waitcnt lgkmcnt(0)
	v_mul_f64 v[218:219], v[214:215], v[12:13]
	v_mul_f64 v[12:13], v[216:217], v[12:13]
	v_fma_f64 v[222:223], v[216:217], v[10:11], v[218:219]
	ds_read2_b64 v[218:221], v254 offset0:52 offset1:53
	v_fma_f64 v[10:11], v[214:215], v[10:11], -v[12:13]
	s_waitcnt lgkmcnt(0)
	v_mul_f64 v[12:13], v[220:221], v[222:223]
	v_fma_f64 v[12:13], v[218:219], v[10:11], -v[12:13]
	v_mul_f64 v[218:219], v[218:219], v[222:223]
	v_add_f64 v[6:7], v[6:7], -v[12:13]
	v_fma_f64 v[218:219], v[220:221], v[10:11], v[218:219]
	v_add_f64 v[8:9], v[8:9], -v[218:219]
	ds_read2_b64 v[218:221], v254 offset0:54 offset1:55
	s_waitcnt lgkmcnt(0)
	v_mul_f64 v[12:13], v[220:221], v[222:223]
	v_fma_f64 v[12:13], v[218:219], v[10:11], -v[12:13]
	v_mul_f64 v[218:219], v[218:219], v[222:223]
	v_add_f64 v[2:3], v[2:3], -v[12:13]
	v_fma_f64 v[218:219], v[220:221], v[10:11], v[218:219]
	v_mov_b32_e32 v12, v222
	v_mov_b32_e32 v13, v223
	v_add_f64 v[4:5], v[4:5], -v[218:219]
.LBB55_235:
	s_or_b32 exec_lo, exec_lo, s1
	s_mov_b32 s2, exec_lo
	s_waitcnt lgkmcnt(0)
	s_barrier
	buffer_gl0_inv
	v_cmpx_eq_u32_e32 26, v0
	s_cbranch_execz .LBB55_242
; %bb.236:
	ds_write2_b64 v1, v[6:7], v[8:9] offset1:1
	ds_write2_b64 v254, v[2:3], v[4:5] offset0:54 offset1:55
	ds_read2_b64 v[218:221], v1 offset1:1
	s_waitcnt lgkmcnt(0)
	v_cmp_neq_f64_e32 vcc_lo, 0, v[218:219]
	v_cmp_neq_f64_e64 s1, 0, v[220:221]
	s_or_b32 s1, vcc_lo, s1
	s_and_b32 exec_lo, exec_lo, s1
	s_cbranch_execz .LBB55_242
; %bb.237:
	v_cmp_ngt_f64_e64 s1, |v[218:219]|, |v[220:221]|
                                        ; implicit-def: $vgpr222_vgpr223
	s_and_saveexec_b32 s3, s1
	s_xor_b32 s1, exec_lo, s3
                                        ; implicit-def: $vgpr224_vgpr225
	s_cbranch_execz .LBB55_239
; %bb.238:
	v_div_scale_f64 v[222:223], null, v[220:221], v[220:221], v[218:219]
	v_rcp_f64_e32 v[224:225], v[222:223]
	v_fma_f64 v[114:115], -v[222:223], v[224:225], 1.0
	v_fma_f64 v[114:115], v[224:225], v[114:115], v[224:225]
	v_div_scale_f64 v[224:225], vcc_lo, v[218:219], v[220:221], v[218:219]
	v_fma_f64 v[116:117], -v[222:223], v[114:115], 1.0
	v_fma_f64 v[114:115], v[114:115], v[116:117], v[114:115]
	v_mul_f64 v[116:117], v[224:225], v[114:115]
	v_fma_f64 v[222:223], -v[222:223], v[116:117], v[224:225]
	v_div_fmas_f64 v[114:115], v[222:223], v[114:115], v[116:117]
	v_div_fixup_f64 v[114:115], v[114:115], v[220:221], v[218:219]
	v_fma_f64 v[116:117], v[218:219], v[114:115], v[220:221]
	v_div_scale_f64 v[218:219], null, v[116:117], v[116:117], 1.0
	v_rcp_f64_e32 v[220:221], v[218:219]
	v_fma_f64 v[222:223], -v[218:219], v[220:221], 1.0
	v_fma_f64 v[220:221], v[220:221], v[222:223], v[220:221]
	v_fma_f64 v[222:223], -v[218:219], v[220:221], 1.0
	v_fma_f64 v[220:221], v[220:221], v[222:223], v[220:221]
	v_div_scale_f64 v[222:223], vcc_lo, 1.0, v[116:117], 1.0
	v_mul_f64 v[224:225], v[222:223], v[220:221]
	v_fma_f64 v[218:219], -v[218:219], v[224:225], v[222:223]
	v_div_fmas_f64 v[218:219], v[218:219], v[220:221], v[224:225]
	v_div_fixup_f64 v[224:225], v[218:219], v[116:117], 1.0
                                        ; implicit-def: $vgpr218_vgpr219
	v_mul_f64 v[222:223], v[114:115], v[224:225]
	v_xor_b32_e32 v225, 0x80000000, v225
.LBB55_239:
	s_andn2_saveexec_b32 s1, s1
	s_cbranch_execz .LBB55_241
; %bb.240:
	v_div_scale_f64 v[114:115], null, v[218:219], v[218:219], v[220:221]
	v_div_scale_f64 v[224:225], vcc_lo, v[220:221], v[218:219], v[220:221]
	v_rcp_f64_e32 v[116:117], v[114:115]
	v_fma_f64 v[222:223], -v[114:115], v[116:117], 1.0
	v_fma_f64 v[116:117], v[116:117], v[222:223], v[116:117]
	v_fma_f64 v[222:223], -v[114:115], v[116:117], 1.0
	v_fma_f64 v[116:117], v[116:117], v[222:223], v[116:117]
	v_mul_f64 v[222:223], v[224:225], v[116:117]
	v_fma_f64 v[114:115], -v[114:115], v[222:223], v[224:225]
	v_div_fmas_f64 v[114:115], v[114:115], v[116:117], v[222:223]
	v_div_fixup_f64 v[114:115], v[114:115], v[218:219], v[220:221]
	v_fma_f64 v[116:117], v[220:221], v[114:115], v[218:219]
	v_div_scale_f64 v[218:219], null, v[116:117], v[116:117], 1.0
	v_rcp_f64_e32 v[220:221], v[218:219]
	v_fma_f64 v[222:223], -v[218:219], v[220:221], 1.0
	v_fma_f64 v[220:221], v[220:221], v[222:223], v[220:221]
	v_fma_f64 v[222:223], -v[218:219], v[220:221], 1.0
	v_fma_f64 v[220:221], v[220:221], v[222:223], v[220:221]
	v_div_scale_f64 v[222:223], vcc_lo, 1.0, v[116:117], 1.0
	v_mul_f64 v[224:225], v[222:223], v[220:221]
	v_fma_f64 v[218:219], -v[218:219], v[224:225], v[222:223]
	v_div_fmas_f64 v[218:219], v[218:219], v[220:221], v[224:225]
	v_div_fixup_f64 v[222:223], v[218:219], v[116:117], 1.0
	v_mul_f64 v[224:225], v[114:115], -v[222:223]
.LBB55_241:
	s_or_b32 exec_lo, exec_lo, s1
	ds_write2_b64 v1, v[222:223], v[224:225] offset1:1
.LBB55_242:
	s_or_b32 exec_lo, exec_lo, s2
	s_waitcnt lgkmcnt(0)
	s_barrier
	buffer_gl0_inv
	ds_read2_b64 v[218:221], v1 offset1:1
	s_mov_b32 s1, exec_lo
	v_cmpx_lt_u32_e32 26, v0
	s_cbranch_execz .LBB55_244
; %bb.243:
	s_waitcnt lgkmcnt(0)
	v_mul_f64 v[114:115], v[218:219], v[8:9]
	v_mul_f64 v[8:9], v[220:221], v[8:9]
	ds_read2_b64 v[222:225], v254 offset0:54 offset1:55
	v_fma_f64 v[114:115], v[220:221], v[6:7], v[114:115]
	v_fma_f64 v[6:7], v[218:219], v[6:7], -v[8:9]
	s_waitcnt lgkmcnt(0)
	v_mul_f64 v[8:9], v[224:225], v[114:115]
	v_mul_f64 v[116:117], v[222:223], v[114:115]
	v_fma_f64 v[8:9], v[222:223], v[6:7], -v[8:9]
	v_fma_f64 v[116:117], v[224:225], v[6:7], v[116:117]
	v_add_f64 v[2:3], v[2:3], -v[8:9]
	v_add_f64 v[4:5], v[4:5], -v[116:117]
	v_mov_b32_e32 v8, v114
	v_mov_b32_e32 v9, v115
.LBB55_244:
	s_or_b32 exec_lo, exec_lo, s1
	s_mov_b32 s2, exec_lo
	s_waitcnt lgkmcnt(0)
	s_barrier
	buffer_gl0_inv
	v_cmpx_eq_u32_e32 27, v0
	s_cbranch_execz .LBB55_251
; %bb.245:
	v_cmp_neq_f64_e32 vcc_lo, 0, v[2:3]
	v_cmp_neq_f64_e64 s1, 0, v[4:5]
	ds_write2_b64 v1, v[2:3], v[4:5] offset1:1
	s_or_b32 s1, vcc_lo, s1
	s_and_b32 exec_lo, exec_lo, s1
	s_cbranch_execz .LBB55_251
; %bb.246:
	v_cmp_ngt_f64_e64 s1, |v[2:3]|, |v[4:5]|
                                        ; implicit-def: $vgpr222_vgpr223
	s_and_saveexec_b32 s3, s1
	s_xor_b32 s1, exec_lo, s3
                                        ; implicit-def: $vgpr224_vgpr225
	s_cbranch_execz .LBB55_248
; %bb.247:
	v_div_scale_f64 v[114:115], null, v[4:5], v[4:5], v[2:3]
	v_div_scale_f64 v[224:225], vcc_lo, v[2:3], v[4:5], v[2:3]
	v_mov_b32_e32 v235, v133
	v_mov_b32_e32 v234, v132
	;; [unrolled: 1-line block ×18, first 2 shown]
	v_rcp_f64_e32 v[116:117], v[114:115]
	v_mov_b32_e32 v126, v250
	v_mov_b32_e32 v127, v251
	;; [unrolled: 1-line block ×19, first 2 shown]
	v_fma_f64 v[222:223], -v[114:115], v[116:117], 1.0
	v_mov_b32_e32 v250, v126
	v_fma_f64 v[116:117], v[116:117], v[222:223], v[116:117]
	v_fma_f64 v[222:223], -v[114:115], v[116:117], 1.0
	v_fma_f64 v[116:117], v[116:117], v[222:223], v[116:117]
	v_mul_f64 v[222:223], v[224:225], v[116:117]
	v_fma_f64 v[114:115], -v[114:115], v[222:223], v[224:225]
	v_div_fmas_f64 v[114:115], v[114:115], v[116:117], v[222:223]
	v_div_fixup_f64 v[114:115], v[114:115], v[4:5], v[2:3]
	v_fma_f64 v[116:117], v[2:3], v[114:115], v[4:5]
	v_div_scale_f64 v[222:223], null, v[116:117], v[116:117], 1.0
	v_rcp_f64_e32 v[224:225], v[222:223]
	v_fma_f64 v[254:255], -v[222:223], v[224:225], 1.0
	v_fma_f64 v[224:225], v[224:225], v[254:255], v[224:225]
	v_fma_f64 v[254:255], -v[222:223], v[224:225], 1.0
	v_fma_f64 v[224:225], v[224:225], v[254:255], v[224:225]
	v_div_scale_f64 v[254:255], vcc_lo, 1.0, v[116:117], 1.0
	v_mul_f64 v[118:119], v[254:255], v[224:225]
	v_fma_f64 v[120:121], -v[222:223], v[118:119], v[254:255]
	v_div_fmas_f64 v[118:119], v[120:121], v[224:225], v[118:119]
	v_div_fixup_f64 v[224:225], v[118:119], v[116:117], 1.0
	v_mov_b32_e32 v118, v122
	v_mov_b32_e32 v119, v123
	;; [unrolled: 1-line block ×18, first 2 shown]
	v_mul_f64 v[222:223], v[114:115], v[224:225]
	v_xor_b32_e32 v225, 0x80000000, v225
.LBB55_248:
	s_andn2_saveexec_b32 s1, s1
	s_cbranch_execz .LBB55_250
; %bb.249:
	v_div_scale_f64 v[114:115], null, v[2:3], v[2:3], v[4:5]
	v_mov_b32_e32 v255, v231
	v_mov_b32_e32 v254, v230
	;; [unrolled: 1-line block ×16, first 2 shown]
	v_div_scale_f64 v[120:121], vcc_lo, v[4:5], v[2:3], v[4:5]
	v_rcp_f64_e32 v[116:117], v[114:115]
	v_fma_f64 v[118:119], -v[114:115], v[116:117], 1.0
	v_fma_f64 v[116:117], v[116:117], v[118:119], v[116:117]
	v_fma_f64 v[118:119], -v[114:115], v[116:117], 1.0
	v_fma_f64 v[116:117], v[116:117], v[118:119], v[116:117]
	v_mul_f64 v[118:119], v[120:121], v[116:117]
	v_fma_f64 v[114:115], -v[114:115], v[118:119], v[120:121]
	v_div_fmas_f64 v[114:115], v[114:115], v[116:117], v[118:119]
	v_div_fixup_f64 v[114:115], v[114:115], v[2:3], v[4:5]
	v_fma_f64 v[116:117], v[4:5], v[114:115], v[2:3]
	v_div_scale_f64 v[118:119], null, v[116:117], v[116:117], 1.0
	v_rcp_f64_e32 v[120:121], v[118:119]
	v_fma_f64 v[222:223], -v[118:119], v[120:121], 1.0
	v_fma_f64 v[120:121], v[120:121], v[222:223], v[120:121]
	v_fma_f64 v[222:223], -v[118:119], v[120:121], 1.0
	v_fma_f64 v[120:121], v[120:121], v[222:223], v[120:121]
	v_div_scale_f64 v[222:223], vcc_lo, 1.0, v[116:117], 1.0
	v_mul_f64 v[224:225], v[222:223], v[120:121]
	v_fma_f64 v[118:119], -v[118:119], v[224:225], v[222:223]
	v_div_fmas_f64 v[118:119], v[118:119], v[120:121], v[224:225]
	v_div_fixup_f64 v[222:223], v[118:119], v[116:117], 1.0
	v_mov_b32_e32 v118, v122
	v_mov_b32_e32 v119, v123
	;; [unrolled: 1-line block ×16, first 2 shown]
	v_mul_f64 v[224:225], v[114:115], -v[222:223]
.LBB55_250:
	s_or_b32 exec_lo, exec_lo, s1
	ds_write2_b64 v1, v[222:223], v[224:225] offset1:1
.LBB55_251:
	s_or_b32 exec_lo, exec_lo, s2
	s_waitcnt lgkmcnt(0)
	s_barrier
	buffer_gl0_inv
	ds_read2_b64 v[222:225], v1 offset1:1
	s_mov_b32 s1, exec_lo
	v_cmpx_lt_u32_e32 27, v0
	s_cbranch_execz .LBB55_253
; %bb.252:
	s_waitcnt lgkmcnt(0)
	v_mul_f64 v[0:1], v[224:225], v[4:5]
	v_mul_f64 v[4:5], v[222:223], v[4:5]
	v_fma_f64 v[0:1], v[222:223], v[2:3], -v[0:1]
	v_fma_f64 v[4:5], v[224:225], v[2:3], v[4:5]
	v_mov_b32_e32 v3, v1
	v_mov_b32_e32 v2, v0
.LBB55_253:
	s_or_b32 exec_lo, exec_lo, s1
	s_waitcnt lgkmcnt(0)
	s_barrier
	buffer_gl0_inv
	s_and_saveexec_b32 s24, s0
	s_cbranch_execz .LBB55_256
; %bb.254:
	s_clause 0x3
	buffer_load_dword v114, off, s[36:39], 0 offset:120
	buffer_load_dword v115, off, s[36:39], 0 offset:124
	;; [unrolled: 1-line block ×4, first 2 shown]
	v_cmp_neq_f64_e64 s21, 0, v[118:119]
	v_cmp_neq_f64_e64 s22, 0, v[120:121]
	v_lshlrev_b64 v[0:1], 2, v[252:253]
	v_cmp_eq_f64_e32 vcc_lo, 0, v[122:123]
	v_cmp_eq_f64_e64 s0, 0, v[124:125]
	v_cmp_eq_f64_e64 s2, 0, v[126:127]
	;; [unrolled: 1-line block ×4, first 2 shown]
	v_add_co_u32 v0, s23, s26, v0
	v_add_co_ci_u32_e64 v1, null, s27, v1, s23
	v_cmp_eq_f64_e64 s6, 0, v[132:133]
	v_cmp_eq_f64_e64 s7, 0, v[134:135]
	v_cmp_eq_f64_e64 s8, 0, v[136:137]
	v_cmp_eq_f64_e64 s10, 0, v[138:139]
	v_cmp_eq_f64_e64 s12, 0, v[140:141]
	v_cmp_eq_f64_e64 s13, 0, v[142:143]
	v_cmp_eq_f64_e64 s16, 0, v[144:145]
	v_cmp_eq_f64_e64 s14, 0, v[146:147]
	v_cmp_eq_f64_e64 s17, 0, v[148:149]
	v_cmp_eq_f64_e64 s15, 0, v[150:151]
	v_cmp_eq_f64_e64 s18, 0, v[152:153]
	v_cmp_eq_f64_e64 s9, 0, v[154:155]
	v_cmp_eq_f64_e64 s11, 0, v[156:157]
	v_cmp_eq_f64_e64 s1, 0, v[158:159]
	s_and_b32 s0, vcc_lo, s0
	v_cmp_eq_f64_e64 s3, 0, v[160:161]
	s_and_b32 s3, s1, s3
	v_cmp_eq_f64_e64 s1, 0, v[168:169]
	s_waitcnt vmcnt(2)
	v_cmp_eq_f64_e64 s19, 0, v[114:115]
	global_load_dword v115, v[0:1], off
	s_waitcnt vmcnt(1)
	v_cmp_eq_f64_e64 s20, 0, v[116:117]
	s_and_b32 s19, s19, s20
	s_or_b32 s20, s21, s22
	v_cndmask_b32_e64 v114, 0, 1, s19
	s_or_b32 s19, s20, s19
	v_cndmask_b32_e64 v114, 2, v114, s19
	v_cmp_eq_u32_e64 s19, 0, v114
	s_and_b32 s0, s0, s19
	v_cndmask_b32_e64 v114, v114, 3, s0
	s_and_b32 s0, s2, s4
	s_and_b32 s4, s9, s11
	v_cmp_eq_f64_e64 s2, 0, v[164:165]
	v_cmp_eq_u32_e32 vcc_lo, 0, v114
	s_and_b32 s0, s0, vcc_lo
	v_cndmask_b32_e64 v114, v114, 4, s0
	s_and_b32 s0, s5, s6
	v_cmp_eq_u32_e32 vcc_lo, 0, v114
	s_and_b32 s0, s0, vcc_lo
	v_cndmask_b32_e64 v114, v114, 5, s0
	s_and_b32 s0, s7, s8
	;; [unrolled: 4-line block ×6, first 2 shown]
	v_cmp_eq_u32_e32 vcc_lo, 0, v114
	s_and_b32 s0, s0, vcc_lo
	v_cndmask_b32_e64 v114, v114, 10, s0
	v_cmp_eq_f64_e64 s0, 0, v[162:163]
	v_cmp_eq_u32_e32 vcc_lo, 0, v114
	s_and_b32 s4, s4, vcc_lo
	v_cndmask_b32_e64 v114, v114, 11, s4
	v_cmp_eq_f64_e64 s4, 0, v[166:167]
	v_cmp_eq_u32_e32 vcc_lo, 0, v114
	s_and_b32 s3, s3, vcc_lo
	s_and_b32 s2, s0, s2
	v_cndmask_b32_e64 v114, v114, 12, s3
	v_cmp_eq_f64_e64 s3, 0, v[170:171]
	v_cmp_eq_f64_e64 s0, 0, v[172:173]
	v_cmp_eq_u32_e32 vcc_lo, 0, v114
	s_and_b32 s2, s2, vcc_lo
	s_and_b32 s4, s4, s1
	v_cndmask_b32_e64 v114, v114, 13, s2
	v_cmp_eq_f64_e64 s2, 0, v[174:175]
	;; [unrolled: 6-line block ×4, first 2 shown]
	v_cmp_eq_f64_e64 s1, 0, v[184:185]
	v_cmp_eq_u32_e32 vcc_lo, 0, v114
	s_and_b32 s2, s2, vcc_lo
	v_cndmask_b32_e64 v114, v114, 16, s2
	s_and_b32 s4, s4, s0
	v_cmp_eq_f64_e64 s2, 0, v[186:187]
	v_cmp_eq_f64_e64 s0, 0, v[188:189]
	v_cmp_eq_u32_e32 vcc_lo, 0, v114
	s_and_b32 s4, s4, vcc_lo
	v_cndmask_b32_e64 v114, v114, 17, s4
	s_and_b32 s3, s3, s1
	v_cmp_eq_f64_e64 s4, 0, v[190:191]
	;; [unrolled: 6-line block ×9, first 2 shown]
	v_cmp_eq_u32_e32 vcc_lo, 0, v114
	s_and_b32 s2, s2, vcc_lo
	v_cmp_eq_f64_e32 vcc_lo, 0, v[220:221]
	v_cndmask_b32_e64 v114, v114, 25, s2
	s_and_b32 s3, s4, s1
	v_cmp_eq_f64_e64 s1, 0, v[222:223]
	v_cmp_eq_u32_e64 s2, 0, v114
	s_and_b32 s3, s3, s2
	v_cmp_eq_f64_e64 s2, 0, v[224:225]
	v_cndmask_b32_e64 v114, v114, 26, s3
	v_cmp_eq_u32_e64 s3, 0, v114
	s_and_b32 s0, s0, vcc_lo
	s_and_b32 s0, s0, s3
	v_cndmask_b32_e64 v114, v114, 27, s0
	v_cmp_eq_u32_e32 vcc_lo, 0, v114
	s_and_b32 s0, s1, s2
	s_and_b32 s0, s0, vcc_lo
	s_waitcnt vmcnt(0)
	v_cmp_eq_u32_e32 vcc_lo, 0, v115
	v_cndmask_b32_e64 v114, v114, 28, s0
	v_cmp_ne_u32_e64 s0, 0, v114
	s_and_b32 s0, vcc_lo, s0
	s_and_b32 exec_lo, exec_lo, s0
	s_cbranch_execz .LBB55_256
; %bb.255:
	v_add_nc_u32_e32 v114, s29, v114
	global_store_dword v[0:1], v114, off
.LBB55_256:
	s_or_b32 exec_lo, exec_lo, s24
	global_store_dwordx4 v[248:249], v[110:113], off
	global_store_dwordx4 v[228:229], v[106:109], off
	s_clause 0x1
	buffer_load_dword v0, off, s[36:39], 0 offset:16
	buffer_load_dword v1, off, s[36:39], 0 offset:20
	s_waitcnt vmcnt(0)
	global_store_dwordx4 v[0:1], v[102:105], off
	s_clause 0x1
	buffer_load_dword v0, off, s[36:39], 0 offset:8
	buffer_load_dword v1, off, s[36:39], 0 offset:12
	s_waitcnt vmcnt(0)
	global_store_dwordx4 v[0:1], v[98:101], off
	s_clause 0x1
	buffer_load_dword v0, off, s[36:39], 0
	buffer_load_dword v1, off, s[36:39], 0 offset:4
	s_waitcnt vmcnt(0)
	global_store_dwordx4 v[0:1], v[94:97], off
	s_clause 0x1
	buffer_load_dword v0, off, s[36:39], 0 offset:24
	buffer_load_dword v1, off, s[36:39], 0 offset:28
	s_waitcnt vmcnt(0)
	global_store_dwordx4 v[0:1], v[90:93], off
	s_clause 0x1
	buffer_load_dword v0, off, s[36:39], 0 offset:32
	;; [unrolled: 5-line block ×12, first 2 shown]
	buffer_load_dword v1, off, s[36:39], 0 offset:116
	s_waitcnt vmcnt(0)
	global_store_dwordx4 v[0:1], v[46:49], off
	global_store_dwordx4 v[230:231], v[42:45], off
	s_clause 0x1
	buffer_load_dword v0, off, s[36:39], 0 offset:144
	buffer_load_dword v1, off, s[36:39], 0 offset:148
	s_waitcnt vmcnt(0)
	global_store_dwordx4 v[0:1], v[38:41], off
	s_clause 0x1
	buffer_load_dword v0, off, s[36:39], 0 offset:136
	buffer_load_dword v1, off, s[36:39], 0 offset:140
	s_waitcnt vmcnt(0)
	;; [unrolled: 5-line block ×3, first 2 shown]
	global_store_dwordx4 v[0:1], v[30:33], off
	global_store_dwordx4 v[236:237], v[26:29], off
	;; [unrolled: 1-line block ×8, first 2 shown]
.LBB55_257:
	s_endpgm
	.section	.rodata,"a",@progbits
	.p2align	6, 0x0
	.amdhsa_kernel _ZN9rocsolver6v33100L23getf2_npvt_small_kernelILi28E19rocblas_complex_numIdEiiPS3_EEvT1_T3_lS5_lPT2_S5_S5_
		.amdhsa_group_segment_fixed_size 0
		.amdhsa_private_segment_fixed_size 164
		.amdhsa_kernarg_size 312
		.amdhsa_user_sgpr_count 6
		.amdhsa_user_sgpr_private_segment_buffer 1
		.amdhsa_user_sgpr_dispatch_ptr 0
		.amdhsa_user_sgpr_queue_ptr 0
		.amdhsa_user_sgpr_kernarg_segment_ptr 1
		.amdhsa_user_sgpr_dispatch_id 0
		.amdhsa_user_sgpr_flat_scratch_init 0
		.amdhsa_user_sgpr_private_segment_size 0
		.amdhsa_wavefront_size32 1
		.amdhsa_uses_dynamic_stack 0
		.amdhsa_system_sgpr_private_segment_wavefront_offset 1
		.amdhsa_system_sgpr_workgroup_id_x 1
		.amdhsa_system_sgpr_workgroup_id_y 1
		.amdhsa_system_sgpr_workgroup_id_z 0
		.amdhsa_system_sgpr_workgroup_info 0
		.amdhsa_system_vgpr_workitem_id 1
		.amdhsa_next_free_vgpr 256
		.amdhsa_next_free_sgpr 40
		.amdhsa_reserve_vcc 1
		.amdhsa_reserve_flat_scratch 0
		.amdhsa_float_round_mode_32 0
		.amdhsa_float_round_mode_16_64 0
		.amdhsa_float_denorm_mode_32 3
		.amdhsa_float_denorm_mode_16_64 3
		.amdhsa_dx10_clamp 1
		.amdhsa_ieee_mode 1
		.amdhsa_fp16_overflow 0
		.amdhsa_workgroup_processor_mode 1
		.amdhsa_memory_ordered 1
		.amdhsa_forward_progress 1
		.amdhsa_shared_vgpr_count 0
		.amdhsa_exception_fp_ieee_invalid_op 0
		.amdhsa_exception_fp_denorm_src 0
		.amdhsa_exception_fp_ieee_div_zero 0
		.amdhsa_exception_fp_ieee_overflow 0
		.amdhsa_exception_fp_ieee_underflow 0
		.amdhsa_exception_fp_ieee_inexact 0
		.amdhsa_exception_int_div_zero 0
	.end_amdhsa_kernel
	.section	.text._ZN9rocsolver6v33100L23getf2_npvt_small_kernelILi28E19rocblas_complex_numIdEiiPS3_EEvT1_T3_lS5_lPT2_S5_S5_,"axG",@progbits,_ZN9rocsolver6v33100L23getf2_npvt_small_kernelILi28E19rocblas_complex_numIdEiiPS3_EEvT1_T3_lS5_lPT2_S5_S5_,comdat
.Lfunc_end55:
	.size	_ZN9rocsolver6v33100L23getf2_npvt_small_kernelILi28E19rocblas_complex_numIdEiiPS3_EEvT1_T3_lS5_lPT2_S5_S5_, .Lfunc_end55-_ZN9rocsolver6v33100L23getf2_npvt_small_kernelILi28E19rocblas_complex_numIdEiiPS3_EEvT1_T3_lS5_lPT2_S5_S5_
                                        ; -- End function
	.set _ZN9rocsolver6v33100L23getf2_npvt_small_kernelILi28E19rocblas_complex_numIdEiiPS3_EEvT1_T3_lS5_lPT2_S5_S5_.num_vgpr, 256
	.set _ZN9rocsolver6v33100L23getf2_npvt_small_kernelILi28E19rocblas_complex_numIdEiiPS3_EEvT1_T3_lS5_lPT2_S5_S5_.num_agpr, 0
	.set _ZN9rocsolver6v33100L23getf2_npvt_small_kernelILi28E19rocblas_complex_numIdEiiPS3_EEvT1_T3_lS5_lPT2_S5_S5_.numbered_sgpr, 40
	.set _ZN9rocsolver6v33100L23getf2_npvt_small_kernelILi28E19rocblas_complex_numIdEiiPS3_EEvT1_T3_lS5_lPT2_S5_S5_.num_named_barrier, 0
	.set _ZN9rocsolver6v33100L23getf2_npvt_small_kernelILi28E19rocblas_complex_numIdEiiPS3_EEvT1_T3_lS5_lPT2_S5_S5_.private_seg_size, 164
	.set _ZN9rocsolver6v33100L23getf2_npvt_small_kernelILi28E19rocblas_complex_numIdEiiPS3_EEvT1_T3_lS5_lPT2_S5_S5_.uses_vcc, 1
	.set _ZN9rocsolver6v33100L23getf2_npvt_small_kernelILi28E19rocblas_complex_numIdEiiPS3_EEvT1_T3_lS5_lPT2_S5_S5_.uses_flat_scratch, 0
	.set _ZN9rocsolver6v33100L23getf2_npvt_small_kernelILi28E19rocblas_complex_numIdEiiPS3_EEvT1_T3_lS5_lPT2_S5_S5_.has_dyn_sized_stack, 0
	.set _ZN9rocsolver6v33100L23getf2_npvt_small_kernelILi28E19rocblas_complex_numIdEiiPS3_EEvT1_T3_lS5_lPT2_S5_S5_.has_recursion, 0
	.set _ZN9rocsolver6v33100L23getf2_npvt_small_kernelILi28E19rocblas_complex_numIdEiiPS3_EEvT1_T3_lS5_lPT2_S5_S5_.has_indirect_call, 0
	.section	.AMDGPU.csdata,"",@progbits
; Kernel info:
; codeLenInByte = 45748
; TotalNumSgprs: 42
; NumVgprs: 256
; ScratchSize: 164
; MemoryBound: 1
; FloatMode: 240
; IeeeMode: 1
; LDSByteSize: 0 bytes/workgroup (compile time only)
; SGPRBlocks: 0
; VGPRBlocks: 31
; NumSGPRsForWavesPerEU: 42
; NumVGPRsForWavesPerEU: 256
; Occupancy: 4
; WaveLimiterHint : 0
; COMPUTE_PGM_RSRC2:SCRATCH_EN: 1
; COMPUTE_PGM_RSRC2:USER_SGPR: 6
; COMPUTE_PGM_RSRC2:TRAP_HANDLER: 0
; COMPUTE_PGM_RSRC2:TGID_X_EN: 1
; COMPUTE_PGM_RSRC2:TGID_Y_EN: 1
; COMPUTE_PGM_RSRC2:TGID_Z_EN: 0
; COMPUTE_PGM_RSRC2:TIDIG_COMP_CNT: 1
	.section	.text._ZN9rocsolver6v33100L18getf2_small_kernelILi29E19rocblas_complex_numIdEiiPS3_EEvT1_T3_lS5_lPS5_llPT2_S5_S5_S7_l,"axG",@progbits,_ZN9rocsolver6v33100L18getf2_small_kernelILi29E19rocblas_complex_numIdEiiPS3_EEvT1_T3_lS5_lPS5_llPT2_S5_S5_S7_l,comdat
	.globl	_ZN9rocsolver6v33100L18getf2_small_kernelILi29E19rocblas_complex_numIdEiiPS3_EEvT1_T3_lS5_lPS5_llPT2_S5_S5_S7_l ; -- Begin function _ZN9rocsolver6v33100L18getf2_small_kernelILi29E19rocblas_complex_numIdEiiPS3_EEvT1_T3_lS5_lPS5_llPT2_S5_S5_S7_l
	.p2align	8
	.type	_ZN9rocsolver6v33100L18getf2_small_kernelILi29E19rocblas_complex_numIdEiiPS3_EEvT1_T3_lS5_lPS5_llPT2_S5_S5_S7_l,@function
_ZN9rocsolver6v33100L18getf2_small_kernelILi29E19rocblas_complex_numIdEiiPS3_EEvT1_T3_lS5_lPS5_llPT2_S5_S5_S7_l: ; @_ZN9rocsolver6v33100L18getf2_small_kernelILi29E19rocblas_complex_numIdEiiPS3_EEvT1_T3_lS5_lPS5_llPT2_S5_S5_S7_l
; %bb.0:
	s_clause 0x1
	s_load_dword s0, s[4:5], 0x6c
	s_load_dwordx2 s[16:17], s[4:5], 0x48
	s_waitcnt lgkmcnt(0)
	s_lshr_b32 s0, s0, 16
	v_mad_u64_u32 v[122:123], null, s7, s0, v[1:2]
	s_mov_b32 s0, exec_lo
	v_cmpx_gt_i32_e64 s16, v122
	s_cbranch_execz .LBB56_612
; %bb.1:
	s_load_dwordx4 s[0:3], s[4:5], 0x50
	v_mov_b32_e32 v124, 0
	v_ashrrev_i32_e32 v123, 31, v122
	v_mov_b32_e32 v125, 0
	s_waitcnt lgkmcnt(0)
	s_cmp_eq_u64 s[0:1], 0
	s_cselect_b32 s16, -1, 0
	s_and_b32 vcc_lo, exec_lo, s16
	s_cbranch_vccnz .LBB56_3
; %bb.2:
	v_mul_lo_u32 v4, s3, v122
	v_mul_lo_u32 v5, s2, v123
	v_mad_u64_u32 v[2:3], null, s2, v122, 0
	v_add3_u32 v3, v3, v5, v4
	v_lshlrev_b64 v[2:3], 2, v[2:3]
	v_add_co_u32 v124, vcc_lo, s0, v2
	v_add_co_ci_u32_e64 v125, null, s1, v3, vcc_lo
.LBB56_3:
	s_clause 0x2
	s_load_dwordx8 s[8:15], s[4:5], 0x20
	s_load_dword s6, s[4:5], 0x18
	s_load_dwordx4 s[0:3], s[4:5], 0x8
	v_lshlrev_b32_e32 v128, 4, v0
	s_clause 0x1
	s_load_dword s18, s[4:5], 0x0
	s_load_dwordx2 s[4:5], s[4:5], 0x40
	s_waitcnt lgkmcnt(0)
	v_mul_lo_u32 v5, s9, v122
	v_mul_lo_u32 v7, s8, v123
	v_mad_u64_u32 v[2:3], null, s8, v122, 0
	v_add3_u32 v4, s6, s6, v0
	s_lshl_b64 s[2:3], s[2:3], 4
	s_ashr_i32 s7, s6, 31
	s_lshl_b64 s[8:9], s[6:7], 4
	v_add_nc_u32_e32 v6, s6, v4
	v_add3_u32 v3, v3, v7, v5
	v_ashrrev_i32_e32 v5, 31, v4
	v_add_nc_u32_e32 v8, s6, v6
	v_lshlrev_b64 v[2:3], 4, v[2:3]
	v_ashrrev_i32_e32 v7, 31, v6
	v_lshlrev_b64 v[4:5], 4, v[4:5]
	v_ashrrev_i32_e32 v9, 31, v8
	v_add_nc_u32_e32 v10, s6, v8
	v_add_co_u32 v12, vcc_lo, s0, v2
	v_add_co_ci_u32_e64 v13, null, s1, v3, vcc_lo
	v_lshlrev_b64 v[2:3], 4, v[8:9]
	v_add_nc_u32_e32 v8, s6, v10
	v_add_co_u32 v129, vcc_lo, v12, s2
	v_ashrrev_i32_e32 v11, 31, v10
	v_lshlrev_b64 v[6:7], 4, v[6:7]
	v_add_nc_u32_e32 v12, s6, v8
	v_add_co_ci_u32_e64 v130, null, s3, v13, vcc_lo
	v_ashrrev_i32_e32 v9, 31, v8
	v_lshlrev_b64 v[10:11], 4, v[10:11]
	v_add_nc_u32_e32 v14, s6, v12
	v_ashrrev_i32_e32 v13, 31, v12
	v_add_co_u32 v4, vcc_lo, v129, v4
	v_add_co_ci_u32_e64 v5, null, v130, v5, vcc_lo
	v_add_nc_u32_e32 v16, s6, v14
	v_ashrrev_i32_e32 v15, 31, v14
	v_add_co_u32 v6, vcc_lo, v129, v6
	v_lshlrev_b64 v[8:9], 4, v[8:9]
	v_add_nc_u32_e32 v18, s6, v16
	v_ashrrev_i32_e32 v17, 31, v16
	v_add_co_ci_u32_e64 v7, null, v130, v7, vcc_lo
	v_add_co_u32 v2, vcc_lo, v129, v2
	v_add_nc_u32_e32 v20, s6, v18
	v_lshlrev_b64 v[12:13], 4, v[12:13]
	v_ashrrev_i32_e32 v19, 31, v18
	v_add_co_ci_u32_e64 v3, null, v130, v3, vcc_lo
	v_add_nc_u32_e32 v22, s6, v20
	v_add_co_u32 v10, vcc_lo, v129, v10
	v_lshlrev_b64 v[14:15], 4, v[14:15]
	v_ashrrev_i32_e32 v21, 31, v20
	v_add_nc_u32_e32 v24, s6, v22
	v_add_co_ci_u32_e64 v11, null, v130, v11, vcc_lo
	v_add_co_u32 v8, vcc_lo, v129, v8
	v_add_nc_u32_e32 v26, s6, v24
	v_lshlrev_b64 v[16:17], 4, v[16:17]
	v_ashrrev_i32_e32 v23, 31, v22
	v_add_co_ci_u32_e64 v9, null, v130, v9, vcc_lo
	v_add_nc_u32_e32 v28, s6, v26
	v_add_co_u32 v12, vcc_lo, v129, v12
	v_lshlrev_b64 v[18:19], 4, v[18:19]
	v_ashrrev_i32_e32 v25, 31, v24
	v_add_nc_u32_e32 v30, s6, v28
	;; [unrolled: 11-line block ×3, first 2 shown]
	v_add_co_ci_u32_e64 v17, null, v130, v17, vcc_lo
	v_add_co_u32 v18, vcc_lo, v129, v18
	v_lshlrev_b64 v[24:25], 4, v[24:25]
	v_ashrrev_i32_e32 v31, 31, v30
	v_add_co_ci_u32_e64 v19, null, v130, v19, vcc_lo
	v_add_co_u32 v20, vcc_lo, v129, v20
	v_lshlrev_b64 v[26:27], 4, v[26:27]
	v_add_nc_u32_e32 v38, s6, v36
	v_ashrrev_i32_e32 v33, 31, v32
	v_add_co_ci_u32_e64 v21, null, v130, v21, vcc_lo
	v_add_co_u32 v22, vcc_lo, v129, v22
	v_lshlrev_b64 v[28:29], 4, v[28:29]
	v_ashrrev_i32_e32 v35, 31, v34
	v_add_co_ci_u32_e64 v23, null, v130, v23, vcc_lo
	v_add_co_u32 v24, vcc_lo, v129, v24
	v_lshlrev_b64 v[30:31], 4, v[30:31]
	v_ashrrev_i32_e32 v37, 31, v36
	v_add_nc_u32_e32 v40, s6, v38
	v_add_co_ci_u32_e64 v25, null, v130, v25, vcc_lo
	v_add_co_u32 v26, vcc_lo, v129, v26
	v_lshlrev_b64 v[32:33], 4, v[32:33]
	v_ashrrev_i32_e32 v39, 31, v38
	v_add_co_ci_u32_e64 v27, null, v130, v27, vcc_lo
	v_add_co_u32 v28, vcc_lo, v129, v28
	v_lshlrev_b64 v[34:35], 4, v[34:35]
	v_add_co_ci_u32_e64 v29, null, v130, v29, vcc_lo
	v_add_co_u32 v30, vcc_lo, v129, v30
	v_lshlrev_b64 v[36:37], 4, v[36:37]
	v_add_nc_u32_e32 v42, s6, v40
	v_add_co_ci_u32_e64 v31, null, v130, v31, vcc_lo
	v_add_co_u32 v32, vcc_lo, v129, v32
	v_lshlrev_b64 v[38:39], 4, v[38:39]
	v_ashrrev_i32_e32 v41, 31, v40
	v_add_co_ci_u32_e64 v33, null, v130, v33, vcc_lo
	v_add_co_u32 v34, vcc_lo, v129, v34
	v_ashrrev_i32_e32 v43, 31, v42
	v_add_nc_u32_e32 v44, s6, v42
	v_add_co_ci_u32_e64 v35, null, v130, v35, vcc_lo
	v_add_co_u32 v36, vcc_lo, v129, v36
	v_lshlrev_b64 v[40:41], 4, v[40:41]
	v_add_co_ci_u32_e64 v37, null, v130, v37, vcc_lo
	v_add_co_u32 v118, vcc_lo, v129, v38
	v_add_co_ci_u32_e64 v119, null, v130, v39, vcc_lo
	v_lshlrev_b64 v[38:39], 4, v[42:43]
	v_ashrrev_i32_e32 v45, 31, v44
	v_add_nc_u32_e32 v42, s6, v44
	v_add_co_u32 v120, vcc_lo, v129, v40
	v_add_co_ci_u32_e64 v121, null, v130, v41, vcc_lo
	v_lshlrev_b64 v[40:41], 4, v[44:45]
	v_ashrrev_i32_e32 v43, 31, v42
	v_add_nc_u32_e32 v44, s6, v42
	;; [unrolled: 5-line block ×3, first 2 shown]
	v_add_co_u32 v131, vcc_lo, v129, v40
	v_add_co_ci_u32_e64 v132, null, v130, v41, vcc_lo
	v_lshlrev_b64 v[40:41], 4, v[44:45]
	v_add_nc_u32_e32 v44, s6, v42
	v_ashrrev_i32_e32 v43, 31, v42
	v_add_co_u32 v133, vcc_lo, v129, v38
	v_add_co_ci_u32_e64 v134, null, v130, v39, vcc_lo
	v_ashrrev_i32_e32 v45, 31, v44
	v_lshlrev_b64 v[38:39], 4, v[42:43]
	v_add_co_u32 v135, vcc_lo, v129, v40
	v_add_co_ci_u32_e64 v136, null, v130, v41, vcc_lo
	v_lshlrev_b64 v[40:41], 4, v[44:45]
	v_add_nc_u32_e32 v42, s6, v44
	v_add_co_u32 v137, vcc_lo, v129, v38
	v_add_co_ci_u32_e64 v138, null, v130, v39, vcc_lo
	v_ashrrev_i32_e32 v43, 31, v42
	v_add_co_u32 v139, vcc_lo, v129, v40
	v_add_co_ci_u32_e64 v140, null, v130, v41, vcc_lo
	v_add_co_u32 v40, vcc_lo, v129, v128
	v_add_co_ci_u32_e64 v41, null, 0, v130, vcc_lo
	v_lshlrev_b64 v[38:39], 4, v[42:43]
	v_add_co_u32 v42, vcc_lo, v40, s8
	v_add_co_ci_u32_e64 v43, null, s9, v41, vcc_lo
	s_max_i32 s0, s18, 29
	v_add_co_u32 v141, vcc_lo, v129, v38
	v_add_co_ci_u32_e64 v142, null, v130, v39, vcc_lo
	s_clause 0x1c
	global_load_dwordx4 v[114:117], v[40:41], off
	global_load_dwordx4 v[110:113], v[42:43], off
	;; [unrolled: 1-line block ×29, first 2 shown]
	v_mul_lo_u32 v126, s0, v1
	s_cmp_lt_i32 s18, 2
	v_lshl_add_u32 v1, v126, 4, 0
	v_add_nc_u32_e32 v118, v1, v128
	v_lshlrev_b32_e32 v128, 4, v126
	v_mov_b32_e32 v126, 0
	s_waitcnt vmcnt(28)
	ds_write2_b64 v118, v[114:115], v[116:117] offset1:1
	s_waitcnt vmcnt(0) lgkmcnt(0)
	s_barrier
	buffer_gl0_inv
	ds_read2_b64 v[118:121], v1 offset1:1
	s_cbranch_scc1 .LBB56_6
; %bb.4:
	v_add3_u32 v127, v128, 0, 16
	v_mov_b32_e32 v126, 0
	s_mov_b32 s1, 1
	s_inst_prefetch 0x1
	.p2align	6
.LBB56_5:                               ; =>This Inner Loop Header: Depth=1
	s_waitcnt lgkmcnt(0)
	v_cmp_gt_f64_e32 vcc_lo, 0, v[120:121]
	v_cmp_gt_f64_e64 s0, 0, v[118:119]
	ds_read2_b64 v[131:134], v127 offset1:1
	v_xor_b32_e32 v136, 0x80000000, v119
	v_xor_b32_e32 v138, 0x80000000, v121
	v_mov_b32_e32 v135, v118
	v_mov_b32_e32 v137, v120
	v_add_nc_u32_e32 v127, 16, v127
	s_waitcnt lgkmcnt(0)
	v_xor_b32_e32 v140, 0x80000000, v134
	v_cndmask_b32_e64 v136, v119, v136, s0
	v_cndmask_b32_e32 v138, v121, v138, vcc_lo
	v_cmp_gt_f64_e32 vcc_lo, 0, v[133:134]
	v_cmp_gt_f64_e64 s0, 0, v[131:132]
	v_mov_b32_e32 v139, v133
	v_add_f64 v[135:136], v[135:136], v[137:138]
	v_xor_b32_e32 v138, 0x80000000, v132
	v_mov_b32_e32 v137, v131
	v_cndmask_b32_e32 v140, v134, v140, vcc_lo
	v_cndmask_b32_e64 v138, v132, v138, s0
	v_add_f64 v[137:138], v[137:138], v[139:140]
	v_cmp_lt_f64_e32 vcc_lo, v[135:136], v[137:138]
	v_cndmask_b32_e32 v119, v119, v132, vcc_lo
	v_cndmask_b32_e32 v118, v118, v131, vcc_lo
	;; [unrolled: 1-line block ×4, first 2 shown]
	v_cndmask_b32_e64 v126, v126, s1, vcc_lo
	s_add_i32 s1, s1, 1
	s_cmp_eq_u32 s18, s1
	s_cbranch_scc0 .LBB56_5
.LBB56_6:
	s_inst_prefetch 0x2
	s_waitcnt lgkmcnt(0)
	v_cmp_neq_f64_e32 vcc_lo, 0, v[118:119]
	v_cmp_neq_f64_e64 s0, 0, v[120:121]
	v_mov_b32_e32 v131, 1
	v_mov_b32_e32 v133, 1
	s_or_b32 s1, vcc_lo, s0
	s_and_saveexec_b32 s0, s1
	s_cbranch_execz .LBB56_12
; %bb.7:
	v_cmp_ngt_f64_e64 s1, |v[118:119]|, |v[120:121]|
	s_and_saveexec_b32 s2, s1
	s_xor_b32 s1, exec_lo, s2
	s_cbranch_execz .LBB56_9
; %bb.8:
	v_div_scale_f64 v[131:132], null, v[120:121], v[120:121], v[118:119]
	v_div_scale_f64 v[137:138], vcc_lo, v[118:119], v[120:121], v[118:119]
	v_rcp_f64_e32 v[133:134], v[131:132]
	v_fma_f64 v[135:136], -v[131:132], v[133:134], 1.0
	v_fma_f64 v[133:134], v[133:134], v[135:136], v[133:134]
	v_fma_f64 v[135:136], -v[131:132], v[133:134], 1.0
	v_fma_f64 v[133:134], v[133:134], v[135:136], v[133:134]
	v_mul_f64 v[135:136], v[137:138], v[133:134]
	v_fma_f64 v[131:132], -v[131:132], v[135:136], v[137:138]
	v_div_fmas_f64 v[131:132], v[131:132], v[133:134], v[135:136]
	v_div_fixup_f64 v[131:132], v[131:132], v[120:121], v[118:119]
	v_fma_f64 v[118:119], v[118:119], v[131:132], v[120:121]
	v_div_scale_f64 v[120:121], null, v[118:119], v[118:119], 1.0
	v_rcp_f64_e32 v[133:134], v[120:121]
	v_fma_f64 v[135:136], -v[120:121], v[133:134], 1.0
	v_fma_f64 v[133:134], v[133:134], v[135:136], v[133:134]
	v_fma_f64 v[135:136], -v[120:121], v[133:134], 1.0
	v_fma_f64 v[133:134], v[133:134], v[135:136], v[133:134]
	v_div_scale_f64 v[135:136], vcc_lo, 1.0, v[118:119], 1.0
	v_mul_f64 v[137:138], v[135:136], v[133:134]
	v_fma_f64 v[120:121], -v[120:121], v[137:138], v[135:136]
	v_div_fmas_f64 v[120:121], v[120:121], v[133:134], v[137:138]
	v_div_fixup_f64 v[120:121], v[120:121], v[118:119], 1.0
	v_mul_f64 v[118:119], v[131:132], v[120:121]
	v_xor_b32_e32 v121, 0x80000000, v121
.LBB56_9:
	s_andn2_saveexec_b32 s1, s1
	s_cbranch_execz .LBB56_11
; %bb.10:
	v_div_scale_f64 v[131:132], null, v[118:119], v[118:119], v[120:121]
	v_div_scale_f64 v[137:138], vcc_lo, v[120:121], v[118:119], v[120:121]
	v_rcp_f64_e32 v[133:134], v[131:132]
	v_fma_f64 v[135:136], -v[131:132], v[133:134], 1.0
	v_fma_f64 v[133:134], v[133:134], v[135:136], v[133:134]
	v_fma_f64 v[135:136], -v[131:132], v[133:134], 1.0
	v_fma_f64 v[133:134], v[133:134], v[135:136], v[133:134]
	v_mul_f64 v[135:136], v[137:138], v[133:134]
	v_fma_f64 v[131:132], -v[131:132], v[135:136], v[137:138]
	v_div_fmas_f64 v[131:132], v[131:132], v[133:134], v[135:136]
	v_div_fixup_f64 v[131:132], v[131:132], v[118:119], v[120:121]
	v_fma_f64 v[118:119], v[120:121], v[131:132], v[118:119]
	v_div_scale_f64 v[120:121], null, v[118:119], v[118:119], 1.0
	v_rcp_f64_e32 v[133:134], v[120:121]
	v_fma_f64 v[135:136], -v[120:121], v[133:134], 1.0
	v_fma_f64 v[133:134], v[133:134], v[135:136], v[133:134]
	v_fma_f64 v[135:136], -v[120:121], v[133:134], 1.0
	v_fma_f64 v[133:134], v[133:134], v[135:136], v[133:134]
	v_div_scale_f64 v[135:136], vcc_lo, 1.0, v[118:119], 1.0
	v_mul_f64 v[137:138], v[135:136], v[133:134]
	v_fma_f64 v[120:121], -v[120:121], v[137:138], v[135:136]
	v_div_fmas_f64 v[120:121], v[120:121], v[133:134], v[137:138]
	v_div_fixup_f64 v[118:119], v[120:121], v[118:119], 1.0
	v_mul_f64 v[120:121], v[131:132], -v[118:119]
.LBB56_11:
	s_or_b32 exec_lo, exec_lo, s1
	v_mov_b32_e32 v133, 0
	v_mov_b32_e32 v131, 2
.LBB56_12:
	s_or_b32 exec_lo, exec_lo, s0
	s_mov_b32 s0, exec_lo
	v_cmpx_ne_u32_e64 v0, v126
	s_xor_b32 s0, exec_lo, s0
	s_cbranch_execz .LBB56_18
; %bb.13:
	s_mov_b32 s1, exec_lo
	v_cmpx_eq_u32_e32 0, v0
	s_cbranch_execz .LBB56_17
; %bb.14:
	v_cmp_ne_u32_e32 vcc_lo, 0, v126
	s_xor_b32 s2, s16, -1
	s_and_b32 s3, s2, vcc_lo
	s_and_saveexec_b32 s2, s3
	s_cbranch_execz .LBB56_16
; %bb.15:
	v_ashrrev_i32_e32 v127, 31, v126
	v_lshlrev_b64 v[134:135], 2, v[126:127]
	v_add_co_u32 v134, vcc_lo, v124, v134
	v_add_co_ci_u32_e64 v135, null, v125, v135, vcc_lo
	s_clause 0x1
	global_load_dword v0, v[134:135], off
	global_load_dword v127, v[124:125], off
	s_waitcnt vmcnt(1)
	global_store_dword v[124:125], v0, off
	s_waitcnt vmcnt(0)
	global_store_dword v[134:135], v127, off
.LBB56_16:
	s_or_b32 exec_lo, exec_lo, s2
	v_mov_b32_e32 v0, v126
.LBB56_17:
	s_or_b32 exec_lo, exec_lo, s1
.LBB56_18:
	s_or_saveexec_b32 s0, s0
	v_mov_b32_e32 v132, v0
	s_xor_b32 exec_lo, exec_lo, s0
	s_cbranch_execz .LBB56_20
; %bb.19:
	v_mov_b32_e32 v132, 0
	ds_write2_b64 v1, v[110:111], v[112:113] offset0:2 offset1:3
	ds_write2_b64 v1, v[106:107], v[108:109] offset0:4 offset1:5
	;; [unrolled: 1-line block ×28, first 2 shown]
.LBB56_20:
	s_or_b32 exec_lo, exec_lo, s0
	s_mov_b32 s0, exec_lo
	s_waitcnt lgkmcnt(0)
	s_waitcnt_vscnt null, 0x0
	s_barrier
	buffer_gl0_inv
	v_cmpx_lt_i32_e32 0, v132
	s_cbranch_execz .LBB56_22
; %bb.21:
	v_mul_f64 v[126:127], v[120:121], v[116:117]
	v_mul_f64 v[116:117], v[118:119], v[116:117]
	v_fma_f64 v[126:127], v[118:119], v[114:115], -v[126:127]
	v_fma_f64 v[116:117], v[120:121], v[114:115], v[116:117]
	ds_read2_b64 v[118:121], v1 offset0:2 offset1:3
	s_waitcnt lgkmcnt(0)
	v_mul_f64 v[114:115], v[120:121], v[116:117]
	v_fma_f64 v[114:115], v[118:119], v[126:127], -v[114:115]
	v_mul_f64 v[118:119], v[118:119], v[116:117]
	v_add_f64 v[110:111], v[110:111], -v[114:115]
	v_fma_f64 v[118:119], v[120:121], v[126:127], v[118:119]
	v_add_f64 v[112:113], v[112:113], -v[118:119]
	ds_read2_b64 v[118:121], v1 offset0:4 offset1:5
	s_waitcnt lgkmcnt(0)
	v_mul_f64 v[114:115], v[120:121], v[116:117]
	v_fma_f64 v[114:115], v[118:119], v[126:127], -v[114:115]
	v_mul_f64 v[118:119], v[118:119], v[116:117]
	v_add_f64 v[106:107], v[106:107], -v[114:115]
	v_fma_f64 v[118:119], v[120:121], v[126:127], v[118:119]
	v_add_f64 v[108:109], v[108:109], -v[118:119]
	;; [unrolled: 8-line block ×27, first 2 shown]
	ds_read2_b64 v[118:121], v1 offset0:56 offset1:57
	s_waitcnt lgkmcnt(0)
	v_mul_f64 v[114:115], v[120:121], v[116:117]
	v_fma_f64 v[114:115], v[118:119], v[126:127], -v[114:115]
	v_mul_f64 v[118:119], v[118:119], v[116:117]
	v_add_f64 v[2:3], v[2:3], -v[114:115]
	v_fma_f64 v[118:119], v[120:121], v[126:127], v[118:119]
	v_mov_b32_e32 v114, v126
	v_mov_b32_e32 v115, v127
	v_add_f64 v[4:5], v[4:5], -v[118:119]
.LBB56_22:
	s_or_b32 exec_lo, exec_lo, s0
	v_lshl_add_u32 v118, v132, 4, v1
	s_barrier
	buffer_gl0_inv
	v_mov_b32_e32 v126, 1
	ds_write2_b64 v118, v[110:111], v[112:113] offset1:1
	s_waitcnt lgkmcnt(0)
	s_barrier
	buffer_gl0_inv
	ds_read2_b64 v[118:121], v1 offset0:2 offset1:3
	s_cmp_lt_i32 s18, 3
	s_cbranch_scc1 .LBB56_25
; %bb.23:
	v_add3_u32 v127, v128, 0, 32
	v_mov_b32_e32 v126, 1
	s_mov_b32 s3, 2
	s_inst_prefetch 0x1
	.p2align	6
.LBB56_24:                              ; =>This Inner Loop Header: Depth=1
	ds_read2_b64 v[134:137], v127 offset1:1
	s_waitcnt lgkmcnt(1)
	v_cmp_gt_f64_e32 vcc_lo, 0, v[118:119]
	v_cmp_gt_f64_e64 s0, 0, v[120:121]
	v_xor_b32_e32 v139, 0x80000000, v119
	v_xor_b32_e32 v141, 0x80000000, v121
	v_mov_b32_e32 v138, v118
	v_mov_b32_e32 v140, v120
	v_add_nc_u32_e32 v127, 16, v127
	s_waitcnt lgkmcnt(0)
	v_cmp_gt_f64_e64 s1, 0, v[134:135]
	v_cmp_gt_f64_e64 s2, 0, v[136:137]
	v_xor_b32_e32 v143, 0x80000000, v135
	v_xor_b32_e32 v145, 0x80000000, v137
	v_mov_b32_e32 v142, v134
	v_mov_b32_e32 v144, v136
	v_cndmask_b32_e32 v139, v119, v139, vcc_lo
	v_cndmask_b32_e64 v141, v121, v141, s0
	v_add_f64 v[138:139], v[138:139], v[140:141]
	v_cndmask_b32_e64 v143, v135, v143, s1
	v_cndmask_b32_e64 v145, v137, v145, s2
	v_add_f64 v[140:141], v[142:143], v[144:145]
	v_cmp_lt_f64_e32 vcc_lo, v[138:139], v[140:141]
	v_cndmask_b32_e32 v119, v119, v135, vcc_lo
	v_cndmask_b32_e32 v118, v118, v134, vcc_lo
	v_cndmask_b32_e32 v121, v121, v137, vcc_lo
	v_cndmask_b32_e32 v120, v120, v136, vcc_lo
	v_cndmask_b32_e64 v126, v126, s3, vcc_lo
	s_add_i32 s3, s3, 1
	s_cmp_lg_u32 s18, s3
	s_cbranch_scc1 .LBB56_24
.LBB56_25:
	s_inst_prefetch 0x2
	s_waitcnt lgkmcnt(0)
	v_cmp_neq_f64_e32 vcc_lo, 0, v[118:119]
	v_cmp_neq_f64_e64 s0, 0, v[120:121]
	s_or_b32 s1, vcc_lo, s0
	s_and_saveexec_b32 s0, s1
	s_cbranch_execz .LBB56_31
; %bb.26:
	v_cmp_ngt_f64_e64 s1, |v[118:119]|, |v[120:121]|
	s_and_saveexec_b32 s2, s1
	s_xor_b32 s1, exec_lo, s2
	s_cbranch_execz .LBB56_28
; %bb.27:
	v_div_scale_f64 v[134:135], null, v[120:121], v[120:121], v[118:119]
	v_div_scale_f64 v[140:141], vcc_lo, v[118:119], v[120:121], v[118:119]
	v_rcp_f64_e32 v[136:137], v[134:135]
	v_fma_f64 v[138:139], -v[134:135], v[136:137], 1.0
	v_fma_f64 v[136:137], v[136:137], v[138:139], v[136:137]
	v_fma_f64 v[138:139], -v[134:135], v[136:137], 1.0
	v_fma_f64 v[136:137], v[136:137], v[138:139], v[136:137]
	v_mul_f64 v[138:139], v[140:141], v[136:137]
	v_fma_f64 v[134:135], -v[134:135], v[138:139], v[140:141]
	v_div_fmas_f64 v[134:135], v[134:135], v[136:137], v[138:139]
	v_div_fixup_f64 v[134:135], v[134:135], v[120:121], v[118:119]
	v_fma_f64 v[118:119], v[118:119], v[134:135], v[120:121]
	v_div_scale_f64 v[120:121], null, v[118:119], v[118:119], 1.0
	v_rcp_f64_e32 v[136:137], v[120:121]
	v_fma_f64 v[138:139], -v[120:121], v[136:137], 1.0
	v_fma_f64 v[136:137], v[136:137], v[138:139], v[136:137]
	v_fma_f64 v[138:139], -v[120:121], v[136:137], 1.0
	v_fma_f64 v[136:137], v[136:137], v[138:139], v[136:137]
	v_div_scale_f64 v[138:139], vcc_lo, 1.0, v[118:119], 1.0
	v_mul_f64 v[140:141], v[138:139], v[136:137]
	v_fma_f64 v[120:121], -v[120:121], v[140:141], v[138:139]
	v_div_fmas_f64 v[120:121], v[120:121], v[136:137], v[140:141]
	v_div_fixup_f64 v[120:121], v[120:121], v[118:119], 1.0
	v_mul_f64 v[118:119], v[134:135], v[120:121]
	v_xor_b32_e32 v121, 0x80000000, v121
.LBB56_28:
	s_andn2_saveexec_b32 s1, s1
	s_cbranch_execz .LBB56_30
; %bb.29:
	v_div_scale_f64 v[134:135], null, v[118:119], v[118:119], v[120:121]
	v_div_scale_f64 v[140:141], vcc_lo, v[120:121], v[118:119], v[120:121]
	v_rcp_f64_e32 v[136:137], v[134:135]
	v_fma_f64 v[138:139], -v[134:135], v[136:137], 1.0
	v_fma_f64 v[136:137], v[136:137], v[138:139], v[136:137]
	v_fma_f64 v[138:139], -v[134:135], v[136:137], 1.0
	v_fma_f64 v[136:137], v[136:137], v[138:139], v[136:137]
	v_mul_f64 v[138:139], v[140:141], v[136:137]
	v_fma_f64 v[134:135], -v[134:135], v[138:139], v[140:141]
	v_div_fmas_f64 v[134:135], v[134:135], v[136:137], v[138:139]
	v_div_fixup_f64 v[134:135], v[134:135], v[118:119], v[120:121]
	v_fma_f64 v[118:119], v[120:121], v[134:135], v[118:119]
	v_div_scale_f64 v[120:121], null, v[118:119], v[118:119], 1.0
	v_rcp_f64_e32 v[136:137], v[120:121]
	v_fma_f64 v[138:139], -v[120:121], v[136:137], 1.0
	v_fma_f64 v[136:137], v[136:137], v[138:139], v[136:137]
	v_fma_f64 v[138:139], -v[120:121], v[136:137], 1.0
	v_fma_f64 v[136:137], v[136:137], v[138:139], v[136:137]
	v_div_scale_f64 v[138:139], vcc_lo, 1.0, v[118:119], 1.0
	v_mul_f64 v[140:141], v[138:139], v[136:137]
	v_fma_f64 v[120:121], -v[120:121], v[140:141], v[138:139]
	v_div_fmas_f64 v[120:121], v[120:121], v[136:137], v[140:141]
	v_div_fixup_f64 v[118:119], v[120:121], v[118:119], 1.0
	v_mul_f64 v[120:121], v[134:135], -v[118:119]
.LBB56_30:
	s_or_b32 exec_lo, exec_lo, s1
	v_mov_b32_e32 v131, v133
.LBB56_31:
	s_or_b32 exec_lo, exec_lo, s0
	s_mov_b32 s0, exec_lo
	v_cmpx_ne_u32_e64 v132, v126
	s_xor_b32 s0, exec_lo, s0
	s_cbranch_execz .LBB56_37
; %bb.32:
	s_mov_b32 s1, exec_lo
	v_cmpx_eq_u32_e32 1, v132
	s_cbranch_execz .LBB56_36
; %bb.33:
	v_cmp_ne_u32_e32 vcc_lo, 1, v126
	s_xor_b32 s2, s16, -1
	s_and_b32 s3, s2, vcc_lo
	s_and_saveexec_b32 s2, s3
	s_cbranch_execz .LBB56_35
; %bb.34:
	v_ashrrev_i32_e32 v127, 31, v126
	v_lshlrev_b64 v[132:133], 2, v[126:127]
	v_add_co_u32 v132, vcc_lo, v124, v132
	v_add_co_ci_u32_e64 v133, null, v125, v133, vcc_lo
	s_clause 0x1
	global_load_dword v0, v[132:133], off
	global_load_dword v127, v[124:125], off offset:4
	s_waitcnt vmcnt(1)
	global_store_dword v[124:125], v0, off offset:4
	s_waitcnt vmcnt(0)
	global_store_dword v[132:133], v127, off
.LBB56_35:
	s_or_b32 exec_lo, exec_lo, s2
	v_mov_b32_e32 v132, v126
	v_mov_b32_e32 v0, v126
.LBB56_36:
	s_or_b32 exec_lo, exec_lo, s1
.LBB56_37:
	s_andn2_saveexec_b32 s0, s0
	s_cbranch_execz .LBB56_39
; %bb.38:
	v_mov_b32_e32 v132, 1
	ds_write2_b64 v1, v[106:107], v[108:109] offset0:4 offset1:5
	ds_write2_b64 v1, v[102:103], v[104:105] offset0:6 offset1:7
	;; [unrolled: 1-line block ×27, first 2 shown]
.LBB56_39:
	s_or_b32 exec_lo, exec_lo, s0
	s_mov_b32 s0, exec_lo
	s_waitcnt lgkmcnt(0)
	s_waitcnt_vscnt null, 0x0
	s_barrier
	buffer_gl0_inv
	v_cmpx_lt_i32_e32 1, v132
	s_cbranch_execz .LBB56_41
; %bb.40:
	v_mul_f64 v[126:127], v[120:121], v[112:113]
	v_mul_f64 v[112:113], v[118:119], v[112:113]
	v_fma_f64 v[126:127], v[118:119], v[110:111], -v[126:127]
	v_fma_f64 v[112:113], v[120:121], v[110:111], v[112:113]
	ds_read2_b64 v[118:121], v1 offset0:4 offset1:5
	s_waitcnt lgkmcnt(0)
	v_mul_f64 v[110:111], v[120:121], v[112:113]
	v_fma_f64 v[110:111], v[118:119], v[126:127], -v[110:111]
	v_mul_f64 v[118:119], v[118:119], v[112:113]
	v_add_f64 v[106:107], v[106:107], -v[110:111]
	v_fma_f64 v[118:119], v[120:121], v[126:127], v[118:119]
	v_add_f64 v[108:109], v[108:109], -v[118:119]
	ds_read2_b64 v[118:121], v1 offset0:6 offset1:7
	s_waitcnt lgkmcnt(0)
	v_mul_f64 v[110:111], v[120:121], v[112:113]
	v_fma_f64 v[110:111], v[118:119], v[126:127], -v[110:111]
	v_mul_f64 v[118:119], v[118:119], v[112:113]
	v_add_f64 v[102:103], v[102:103], -v[110:111]
	v_fma_f64 v[118:119], v[120:121], v[126:127], v[118:119]
	v_add_f64 v[104:105], v[104:105], -v[118:119]
	;; [unrolled: 8-line block ×26, first 2 shown]
	ds_read2_b64 v[118:121], v1 offset0:56 offset1:57
	s_waitcnt lgkmcnt(0)
	v_mul_f64 v[110:111], v[120:121], v[112:113]
	v_fma_f64 v[110:111], v[118:119], v[126:127], -v[110:111]
	v_mul_f64 v[118:119], v[118:119], v[112:113]
	v_add_f64 v[2:3], v[2:3], -v[110:111]
	v_fma_f64 v[118:119], v[120:121], v[126:127], v[118:119]
	v_mov_b32_e32 v110, v126
	v_mov_b32_e32 v111, v127
	v_add_f64 v[4:5], v[4:5], -v[118:119]
.LBB56_41:
	s_or_b32 exec_lo, exec_lo, s0
	v_lshl_add_u32 v118, v132, 4, v1
	s_barrier
	buffer_gl0_inv
	v_mov_b32_e32 v126, 2
	ds_write2_b64 v118, v[106:107], v[108:109] offset1:1
	s_waitcnt lgkmcnt(0)
	s_barrier
	buffer_gl0_inv
	ds_read2_b64 v[118:121], v1 offset0:4 offset1:5
	s_cmp_lt_i32 s18, 4
	s_cbranch_scc1 .LBB56_44
; %bb.42:
	v_add3_u32 v127, v128, 0, 48
	v_mov_b32_e32 v126, 2
	s_mov_b32 s1, 3
	s_inst_prefetch 0x1
	.p2align	6
.LBB56_43:                              ; =>This Inner Loop Header: Depth=1
	s_waitcnt lgkmcnt(0)
	v_cmp_gt_f64_e32 vcc_lo, 0, v[120:121]
	v_cmp_gt_f64_e64 s0, 0, v[118:119]
	ds_read2_b64 v[133:136], v127 offset1:1
	v_xor_b32_e32 v138, 0x80000000, v119
	v_xor_b32_e32 v140, 0x80000000, v121
	v_mov_b32_e32 v137, v118
	v_mov_b32_e32 v139, v120
	v_add_nc_u32_e32 v127, 16, v127
	s_waitcnt lgkmcnt(0)
	v_xor_b32_e32 v142, 0x80000000, v136
	v_cndmask_b32_e64 v138, v119, v138, s0
	v_cndmask_b32_e32 v140, v121, v140, vcc_lo
	v_cmp_gt_f64_e32 vcc_lo, 0, v[135:136]
	v_cmp_gt_f64_e64 s0, 0, v[133:134]
	v_mov_b32_e32 v141, v135
	v_add_f64 v[137:138], v[137:138], v[139:140]
	v_xor_b32_e32 v140, 0x80000000, v134
	v_mov_b32_e32 v139, v133
	v_cndmask_b32_e32 v142, v136, v142, vcc_lo
	v_cndmask_b32_e64 v140, v134, v140, s0
	v_add_f64 v[139:140], v[139:140], v[141:142]
	v_cmp_lt_f64_e32 vcc_lo, v[137:138], v[139:140]
	v_cndmask_b32_e32 v119, v119, v134, vcc_lo
	v_cndmask_b32_e32 v118, v118, v133, vcc_lo
	;; [unrolled: 1-line block ×4, first 2 shown]
	v_cndmask_b32_e64 v126, v126, s1, vcc_lo
	s_add_i32 s1, s1, 1
	s_cmp_lg_u32 s18, s1
	s_cbranch_scc1 .LBB56_43
.LBB56_44:
	s_inst_prefetch 0x2
	s_waitcnt lgkmcnt(0)
	v_cmp_eq_f64_e32 vcc_lo, 0, v[118:119]
	v_cmp_eq_f64_e64 s0, 0, v[120:121]
	s_and_b32 s0, vcc_lo, s0
	s_and_saveexec_b32 s1, s0
	s_xor_b32 s0, exec_lo, s1
; %bb.45:
	v_cmp_ne_u32_e32 vcc_lo, 0, v131
	v_cndmask_b32_e32 v131, 3, v131, vcc_lo
; %bb.46:
	s_andn2_saveexec_b32 s0, s0
	s_cbranch_execz .LBB56_52
; %bb.47:
	v_cmp_ngt_f64_e64 s1, |v[118:119]|, |v[120:121]|
	s_and_saveexec_b32 s2, s1
	s_xor_b32 s1, exec_lo, s2
	s_cbranch_execz .LBB56_49
; %bb.48:
	v_div_scale_f64 v[133:134], null, v[120:121], v[120:121], v[118:119]
	v_div_scale_f64 v[139:140], vcc_lo, v[118:119], v[120:121], v[118:119]
	v_rcp_f64_e32 v[135:136], v[133:134]
	v_fma_f64 v[137:138], -v[133:134], v[135:136], 1.0
	v_fma_f64 v[135:136], v[135:136], v[137:138], v[135:136]
	v_fma_f64 v[137:138], -v[133:134], v[135:136], 1.0
	v_fma_f64 v[135:136], v[135:136], v[137:138], v[135:136]
	v_mul_f64 v[137:138], v[139:140], v[135:136]
	v_fma_f64 v[133:134], -v[133:134], v[137:138], v[139:140]
	v_div_fmas_f64 v[133:134], v[133:134], v[135:136], v[137:138]
	v_div_fixup_f64 v[133:134], v[133:134], v[120:121], v[118:119]
	v_fma_f64 v[118:119], v[118:119], v[133:134], v[120:121]
	v_div_scale_f64 v[120:121], null, v[118:119], v[118:119], 1.0
	v_rcp_f64_e32 v[135:136], v[120:121]
	v_fma_f64 v[137:138], -v[120:121], v[135:136], 1.0
	v_fma_f64 v[135:136], v[135:136], v[137:138], v[135:136]
	v_fma_f64 v[137:138], -v[120:121], v[135:136], 1.0
	v_fma_f64 v[135:136], v[135:136], v[137:138], v[135:136]
	v_div_scale_f64 v[137:138], vcc_lo, 1.0, v[118:119], 1.0
	v_mul_f64 v[139:140], v[137:138], v[135:136]
	v_fma_f64 v[120:121], -v[120:121], v[139:140], v[137:138]
	v_div_fmas_f64 v[120:121], v[120:121], v[135:136], v[139:140]
	v_div_fixup_f64 v[120:121], v[120:121], v[118:119], 1.0
	v_mul_f64 v[118:119], v[133:134], v[120:121]
	v_xor_b32_e32 v121, 0x80000000, v121
.LBB56_49:
	s_andn2_saveexec_b32 s1, s1
	s_cbranch_execz .LBB56_51
; %bb.50:
	v_div_scale_f64 v[133:134], null, v[118:119], v[118:119], v[120:121]
	v_div_scale_f64 v[139:140], vcc_lo, v[120:121], v[118:119], v[120:121]
	v_rcp_f64_e32 v[135:136], v[133:134]
	v_fma_f64 v[137:138], -v[133:134], v[135:136], 1.0
	v_fma_f64 v[135:136], v[135:136], v[137:138], v[135:136]
	v_fma_f64 v[137:138], -v[133:134], v[135:136], 1.0
	v_fma_f64 v[135:136], v[135:136], v[137:138], v[135:136]
	v_mul_f64 v[137:138], v[139:140], v[135:136]
	v_fma_f64 v[133:134], -v[133:134], v[137:138], v[139:140]
	v_div_fmas_f64 v[133:134], v[133:134], v[135:136], v[137:138]
	v_div_fixup_f64 v[133:134], v[133:134], v[118:119], v[120:121]
	v_fma_f64 v[118:119], v[120:121], v[133:134], v[118:119]
	v_div_scale_f64 v[120:121], null, v[118:119], v[118:119], 1.0
	v_rcp_f64_e32 v[135:136], v[120:121]
	v_fma_f64 v[137:138], -v[120:121], v[135:136], 1.0
	v_fma_f64 v[135:136], v[135:136], v[137:138], v[135:136]
	v_fma_f64 v[137:138], -v[120:121], v[135:136], 1.0
	v_fma_f64 v[135:136], v[135:136], v[137:138], v[135:136]
	v_div_scale_f64 v[137:138], vcc_lo, 1.0, v[118:119], 1.0
	v_mul_f64 v[139:140], v[137:138], v[135:136]
	v_fma_f64 v[120:121], -v[120:121], v[139:140], v[137:138]
	v_div_fmas_f64 v[120:121], v[120:121], v[135:136], v[139:140]
	v_div_fixup_f64 v[118:119], v[120:121], v[118:119], 1.0
	v_mul_f64 v[120:121], v[133:134], -v[118:119]
.LBB56_51:
	s_or_b32 exec_lo, exec_lo, s1
.LBB56_52:
	s_or_b32 exec_lo, exec_lo, s0
	s_mov_b32 s0, exec_lo
	v_cmpx_ne_u32_e64 v132, v126
	s_xor_b32 s0, exec_lo, s0
	s_cbranch_execz .LBB56_58
; %bb.53:
	s_mov_b32 s1, exec_lo
	v_cmpx_eq_u32_e32 2, v132
	s_cbranch_execz .LBB56_57
; %bb.54:
	v_cmp_ne_u32_e32 vcc_lo, 2, v126
	s_xor_b32 s2, s16, -1
	s_and_b32 s3, s2, vcc_lo
	s_and_saveexec_b32 s2, s3
	s_cbranch_execz .LBB56_56
; %bb.55:
	v_ashrrev_i32_e32 v127, 31, v126
	v_lshlrev_b64 v[132:133], 2, v[126:127]
	v_add_co_u32 v132, vcc_lo, v124, v132
	v_add_co_ci_u32_e64 v133, null, v125, v133, vcc_lo
	s_clause 0x1
	global_load_dword v0, v[132:133], off
	global_load_dword v127, v[124:125], off offset:8
	s_waitcnt vmcnt(1)
	global_store_dword v[124:125], v0, off offset:8
	s_waitcnt vmcnt(0)
	global_store_dword v[132:133], v127, off
.LBB56_56:
	s_or_b32 exec_lo, exec_lo, s2
	v_mov_b32_e32 v132, v126
	v_mov_b32_e32 v0, v126
.LBB56_57:
	s_or_b32 exec_lo, exec_lo, s1
.LBB56_58:
	s_andn2_saveexec_b32 s0, s0
	s_cbranch_execz .LBB56_60
; %bb.59:
	v_mov_b32_e32 v132, 2
	ds_write2_b64 v1, v[102:103], v[104:105] offset0:6 offset1:7
	ds_write2_b64 v1, v[98:99], v[100:101] offset0:8 offset1:9
	;; [unrolled: 1-line block ×26, first 2 shown]
.LBB56_60:
	s_or_b32 exec_lo, exec_lo, s0
	s_mov_b32 s0, exec_lo
	s_waitcnt lgkmcnt(0)
	s_waitcnt_vscnt null, 0x0
	s_barrier
	buffer_gl0_inv
	v_cmpx_lt_i32_e32 2, v132
	s_cbranch_execz .LBB56_62
; %bb.61:
	v_mul_f64 v[126:127], v[120:121], v[108:109]
	v_mul_f64 v[108:109], v[118:119], v[108:109]
	v_fma_f64 v[126:127], v[118:119], v[106:107], -v[126:127]
	v_fma_f64 v[108:109], v[120:121], v[106:107], v[108:109]
	ds_read2_b64 v[118:121], v1 offset0:6 offset1:7
	s_waitcnt lgkmcnt(0)
	v_mul_f64 v[106:107], v[120:121], v[108:109]
	v_fma_f64 v[106:107], v[118:119], v[126:127], -v[106:107]
	v_mul_f64 v[118:119], v[118:119], v[108:109]
	v_add_f64 v[102:103], v[102:103], -v[106:107]
	v_fma_f64 v[118:119], v[120:121], v[126:127], v[118:119]
	v_add_f64 v[104:105], v[104:105], -v[118:119]
	ds_read2_b64 v[118:121], v1 offset0:8 offset1:9
	s_waitcnt lgkmcnt(0)
	v_mul_f64 v[106:107], v[120:121], v[108:109]
	v_fma_f64 v[106:107], v[118:119], v[126:127], -v[106:107]
	v_mul_f64 v[118:119], v[118:119], v[108:109]
	v_add_f64 v[98:99], v[98:99], -v[106:107]
	v_fma_f64 v[118:119], v[120:121], v[126:127], v[118:119]
	v_add_f64 v[100:101], v[100:101], -v[118:119]
	;; [unrolled: 8-line block ×25, first 2 shown]
	ds_read2_b64 v[118:121], v1 offset0:56 offset1:57
	s_waitcnt lgkmcnt(0)
	v_mul_f64 v[106:107], v[120:121], v[108:109]
	v_fma_f64 v[106:107], v[118:119], v[126:127], -v[106:107]
	v_mul_f64 v[118:119], v[118:119], v[108:109]
	v_add_f64 v[2:3], v[2:3], -v[106:107]
	v_fma_f64 v[118:119], v[120:121], v[126:127], v[118:119]
	v_mov_b32_e32 v106, v126
	v_mov_b32_e32 v107, v127
	v_add_f64 v[4:5], v[4:5], -v[118:119]
.LBB56_62:
	s_or_b32 exec_lo, exec_lo, s0
	v_lshl_add_u32 v118, v132, 4, v1
	s_barrier
	buffer_gl0_inv
	v_mov_b32_e32 v126, 3
	ds_write2_b64 v118, v[102:103], v[104:105] offset1:1
	s_waitcnt lgkmcnt(0)
	s_barrier
	buffer_gl0_inv
	ds_read2_b64 v[118:121], v1 offset0:6 offset1:7
	s_cmp_lt_i32 s18, 5
	s_mov_b32 s1, 4
	s_cbranch_scc1 .LBB56_65
; %bb.63:
	v_add3_u32 v127, v128, 0, 64
	v_mov_b32_e32 v126, 3
	s_inst_prefetch 0x1
	.p2align	6
.LBB56_64:                              ; =>This Inner Loop Header: Depth=1
	s_waitcnt lgkmcnt(0)
	v_cmp_gt_f64_e32 vcc_lo, 0, v[120:121]
	v_cmp_gt_f64_e64 s0, 0, v[118:119]
	ds_read2_b64 v[133:136], v127 offset1:1
	v_xor_b32_e32 v138, 0x80000000, v119
	v_xor_b32_e32 v140, 0x80000000, v121
	v_mov_b32_e32 v137, v118
	v_mov_b32_e32 v139, v120
	v_add_nc_u32_e32 v127, 16, v127
	s_waitcnt lgkmcnt(0)
	v_xor_b32_e32 v142, 0x80000000, v136
	v_cndmask_b32_e64 v138, v119, v138, s0
	v_cndmask_b32_e32 v140, v121, v140, vcc_lo
	v_cmp_gt_f64_e32 vcc_lo, 0, v[135:136]
	v_cmp_gt_f64_e64 s0, 0, v[133:134]
	v_mov_b32_e32 v141, v135
	v_add_f64 v[137:138], v[137:138], v[139:140]
	v_xor_b32_e32 v140, 0x80000000, v134
	v_mov_b32_e32 v139, v133
	v_cndmask_b32_e32 v142, v136, v142, vcc_lo
	v_cndmask_b32_e64 v140, v134, v140, s0
	v_add_f64 v[139:140], v[139:140], v[141:142]
	v_cmp_lt_f64_e32 vcc_lo, v[137:138], v[139:140]
	v_cndmask_b32_e32 v119, v119, v134, vcc_lo
	v_cndmask_b32_e32 v118, v118, v133, vcc_lo
	;; [unrolled: 1-line block ×4, first 2 shown]
	v_cndmask_b32_e64 v126, v126, s1, vcc_lo
	s_add_i32 s1, s1, 1
	s_cmp_lg_u32 s18, s1
	s_cbranch_scc1 .LBB56_64
.LBB56_65:
	s_inst_prefetch 0x2
	s_waitcnt lgkmcnt(0)
	v_cmp_eq_f64_e32 vcc_lo, 0, v[118:119]
	v_cmp_eq_f64_e64 s0, 0, v[120:121]
	s_and_b32 s0, vcc_lo, s0
	s_and_saveexec_b32 s1, s0
	s_xor_b32 s0, exec_lo, s1
; %bb.66:
	v_cmp_ne_u32_e32 vcc_lo, 0, v131
	v_cndmask_b32_e32 v131, 4, v131, vcc_lo
; %bb.67:
	s_andn2_saveexec_b32 s0, s0
	s_cbranch_execz .LBB56_73
; %bb.68:
	v_cmp_ngt_f64_e64 s1, |v[118:119]|, |v[120:121]|
	s_and_saveexec_b32 s2, s1
	s_xor_b32 s1, exec_lo, s2
	s_cbranch_execz .LBB56_70
; %bb.69:
	v_div_scale_f64 v[133:134], null, v[120:121], v[120:121], v[118:119]
	v_div_scale_f64 v[139:140], vcc_lo, v[118:119], v[120:121], v[118:119]
	v_rcp_f64_e32 v[135:136], v[133:134]
	v_fma_f64 v[137:138], -v[133:134], v[135:136], 1.0
	v_fma_f64 v[135:136], v[135:136], v[137:138], v[135:136]
	v_fma_f64 v[137:138], -v[133:134], v[135:136], 1.0
	v_fma_f64 v[135:136], v[135:136], v[137:138], v[135:136]
	v_mul_f64 v[137:138], v[139:140], v[135:136]
	v_fma_f64 v[133:134], -v[133:134], v[137:138], v[139:140]
	v_div_fmas_f64 v[133:134], v[133:134], v[135:136], v[137:138]
	v_div_fixup_f64 v[133:134], v[133:134], v[120:121], v[118:119]
	v_fma_f64 v[118:119], v[118:119], v[133:134], v[120:121]
	v_div_scale_f64 v[120:121], null, v[118:119], v[118:119], 1.0
	v_rcp_f64_e32 v[135:136], v[120:121]
	v_fma_f64 v[137:138], -v[120:121], v[135:136], 1.0
	v_fma_f64 v[135:136], v[135:136], v[137:138], v[135:136]
	v_fma_f64 v[137:138], -v[120:121], v[135:136], 1.0
	v_fma_f64 v[135:136], v[135:136], v[137:138], v[135:136]
	v_div_scale_f64 v[137:138], vcc_lo, 1.0, v[118:119], 1.0
	v_mul_f64 v[139:140], v[137:138], v[135:136]
	v_fma_f64 v[120:121], -v[120:121], v[139:140], v[137:138]
	v_div_fmas_f64 v[120:121], v[120:121], v[135:136], v[139:140]
	v_div_fixup_f64 v[120:121], v[120:121], v[118:119], 1.0
	v_mul_f64 v[118:119], v[133:134], v[120:121]
	v_xor_b32_e32 v121, 0x80000000, v121
.LBB56_70:
	s_andn2_saveexec_b32 s1, s1
	s_cbranch_execz .LBB56_72
; %bb.71:
	v_div_scale_f64 v[133:134], null, v[118:119], v[118:119], v[120:121]
	v_div_scale_f64 v[139:140], vcc_lo, v[120:121], v[118:119], v[120:121]
	v_rcp_f64_e32 v[135:136], v[133:134]
	v_fma_f64 v[137:138], -v[133:134], v[135:136], 1.0
	v_fma_f64 v[135:136], v[135:136], v[137:138], v[135:136]
	v_fma_f64 v[137:138], -v[133:134], v[135:136], 1.0
	v_fma_f64 v[135:136], v[135:136], v[137:138], v[135:136]
	v_mul_f64 v[137:138], v[139:140], v[135:136]
	v_fma_f64 v[133:134], -v[133:134], v[137:138], v[139:140]
	v_div_fmas_f64 v[133:134], v[133:134], v[135:136], v[137:138]
	v_div_fixup_f64 v[133:134], v[133:134], v[118:119], v[120:121]
	v_fma_f64 v[118:119], v[120:121], v[133:134], v[118:119]
	v_div_scale_f64 v[120:121], null, v[118:119], v[118:119], 1.0
	v_rcp_f64_e32 v[135:136], v[120:121]
	v_fma_f64 v[137:138], -v[120:121], v[135:136], 1.0
	v_fma_f64 v[135:136], v[135:136], v[137:138], v[135:136]
	v_fma_f64 v[137:138], -v[120:121], v[135:136], 1.0
	v_fma_f64 v[135:136], v[135:136], v[137:138], v[135:136]
	v_div_scale_f64 v[137:138], vcc_lo, 1.0, v[118:119], 1.0
	v_mul_f64 v[139:140], v[137:138], v[135:136]
	v_fma_f64 v[120:121], -v[120:121], v[139:140], v[137:138]
	v_div_fmas_f64 v[120:121], v[120:121], v[135:136], v[139:140]
	v_div_fixup_f64 v[118:119], v[120:121], v[118:119], 1.0
	v_mul_f64 v[120:121], v[133:134], -v[118:119]
.LBB56_72:
	s_or_b32 exec_lo, exec_lo, s1
.LBB56_73:
	s_or_b32 exec_lo, exec_lo, s0
	s_mov_b32 s0, exec_lo
	v_cmpx_ne_u32_e64 v132, v126
	s_xor_b32 s0, exec_lo, s0
	s_cbranch_execz .LBB56_79
; %bb.74:
	s_mov_b32 s1, exec_lo
	v_cmpx_eq_u32_e32 3, v132
	s_cbranch_execz .LBB56_78
; %bb.75:
	v_cmp_ne_u32_e32 vcc_lo, 3, v126
	s_xor_b32 s2, s16, -1
	s_and_b32 s3, s2, vcc_lo
	s_and_saveexec_b32 s2, s3
	s_cbranch_execz .LBB56_77
; %bb.76:
	v_ashrrev_i32_e32 v127, 31, v126
	v_lshlrev_b64 v[132:133], 2, v[126:127]
	v_add_co_u32 v132, vcc_lo, v124, v132
	v_add_co_ci_u32_e64 v133, null, v125, v133, vcc_lo
	s_clause 0x1
	global_load_dword v0, v[132:133], off
	global_load_dword v127, v[124:125], off offset:12
	s_waitcnt vmcnt(1)
	global_store_dword v[124:125], v0, off offset:12
	s_waitcnt vmcnt(0)
	global_store_dword v[132:133], v127, off
.LBB56_77:
	s_or_b32 exec_lo, exec_lo, s2
	v_mov_b32_e32 v132, v126
	v_mov_b32_e32 v0, v126
.LBB56_78:
	s_or_b32 exec_lo, exec_lo, s1
.LBB56_79:
	s_andn2_saveexec_b32 s0, s0
	s_cbranch_execz .LBB56_81
; %bb.80:
	v_mov_b32_e32 v132, 3
	ds_write2_b64 v1, v[98:99], v[100:101] offset0:8 offset1:9
	ds_write2_b64 v1, v[94:95], v[96:97] offset0:10 offset1:11
	;; [unrolled: 1-line block ×25, first 2 shown]
.LBB56_81:
	s_or_b32 exec_lo, exec_lo, s0
	s_mov_b32 s0, exec_lo
	s_waitcnt lgkmcnt(0)
	s_waitcnt_vscnt null, 0x0
	s_barrier
	buffer_gl0_inv
	v_cmpx_lt_i32_e32 3, v132
	s_cbranch_execz .LBB56_83
; %bb.82:
	v_mul_f64 v[126:127], v[120:121], v[104:105]
	v_mul_f64 v[104:105], v[118:119], v[104:105]
	v_fma_f64 v[126:127], v[118:119], v[102:103], -v[126:127]
	v_fma_f64 v[104:105], v[120:121], v[102:103], v[104:105]
	ds_read2_b64 v[118:121], v1 offset0:8 offset1:9
	s_waitcnt lgkmcnt(0)
	v_mul_f64 v[102:103], v[120:121], v[104:105]
	v_fma_f64 v[102:103], v[118:119], v[126:127], -v[102:103]
	v_mul_f64 v[118:119], v[118:119], v[104:105]
	v_add_f64 v[98:99], v[98:99], -v[102:103]
	v_fma_f64 v[118:119], v[120:121], v[126:127], v[118:119]
	v_add_f64 v[100:101], v[100:101], -v[118:119]
	ds_read2_b64 v[118:121], v1 offset0:10 offset1:11
	s_waitcnt lgkmcnt(0)
	v_mul_f64 v[102:103], v[120:121], v[104:105]
	v_fma_f64 v[102:103], v[118:119], v[126:127], -v[102:103]
	v_mul_f64 v[118:119], v[118:119], v[104:105]
	v_add_f64 v[94:95], v[94:95], -v[102:103]
	v_fma_f64 v[118:119], v[120:121], v[126:127], v[118:119]
	v_add_f64 v[96:97], v[96:97], -v[118:119]
	;; [unrolled: 8-line block ×24, first 2 shown]
	ds_read2_b64 v[118:121], v1 offset0:56 offset1:57
	s_waitcnt lgkmcnt(0)
	v_mul_f64 v[102:103], v[120:121], v[104:105]
	v_fma_f64 v[102:103], v[118:119], v[126:127], -v[102:103]
	v_mul_f64 v[118:119], v[118:119], v[104:105]
	v_add_f64 v[2:3], v[2:3], -v[102:103]
	v_fma_f64 v[118:119], v[120:121], v[126:127], v[118:119]
	v_mov_b32_e32 v102, v126
	v_mov_b32_e32 v103, v127
	v_add_f64 v[4:5], v[4:5], -v[118:119]
.LBB56_83:
	s_or_b32 exec_lo, exec_lo, s0
	v_lshl_add_u32 v118, v132, 4, v1
	s_barrier
	buffer_gl0_inv
	v_mov_b32_e32 v126, 4
	ds_write2_b64 v118, v[98:99], v[100:101] offset1:1
	s_waitcnt lgkmcnt(0)
	s_barrier
	buffer_gl0_inv
	ds_read2_b64 v[118:121], v1 offset0:8 offset1:9
	s_cmp_lt_i32 s18, 6
	s_cbranch_scc1 .LBB56_86
; %bb.84:
	v_mov_b32_e32 v126, 4
	v_add3_u32 v127, v128, 0, 0x50
	s_mov_b32 s1, 5
	s_inst_prefetch 0x1
	.p2align	6
.LBB56_85:                              ; =>This Inner Loop Header: Depth=1
	s_waitcnt lgkmcnt(0)
	v_cmp_gt_f64_e32 vcc_lo, 0, v[120:121]
	v_cmp_gt_f64_e64 s0, 0, v[118:119]
	ds_read2_b64 v[133:136], v127 offset1:1
	v_xor_b32_e32 v138, 0x80000000, v119
	v_xor_b32_e32 v140, 0x80000000, v121
	v_mov_b32_e32 v137, v118
	v_mov_b32_e32 v139, v120
	v_add_nc_u32_e32 v127, 16, v127
	s_waitcnt lgkmcnt(0)
	v_xor_b32_e32 v142, 0x80000000, v136
	v_cndmask_b32_e64 v138, v119, v138, s0
	v_cndmask_b32_e32 v140, v121, v140, vcc_lo
	v_cmp_gt_f64_e32 vcc_lo, 0, v[135:136]
	v_cmp_gt_f64_e64 s0, 0, v[133:134]
	v_mov_b32_e32 v141, v135
	v_add_f64 v[137:138], v[137:138], v[139:140]
	v_xor_b32_e32 v140, 0x80000000, v134
	v_mov_b32_e32 v139, v133
	v_cndmask_b32_e32 v142, v136, v142, vcc_lo
	v_cndmask_b32_e64 v140, v134, v140, s0
	v_add_f64 v[139:140], v[139:140], v[141:142]
	v_cmp_lt_f64_e32 vcc_lo, v[137:138], v[139:140]
	v_cndmask_b32_e32 v119, v119, v134, vcc_lo
	v_cndmask_b32_e32 v118, v118, v133, vcc_lo
	;; [unrolled: 1-line block ×4, first 2 shown]
	v_cndmask_b32_e64 v126, v126, s1, vcc_lo
	s_add_i32 s1, s1, 1
	s_cmp_lg_u32 s18, s1
	s_cbranch_scc1 .LBB56_85
.LBB56_86:
	s_inst_prefetch 0x2
	s_waitcnt lgkmcnt(0)
	v_cmp_eq_f64_e32 vcc_lo, 0, v[118:119]
	v_cmp_eq_f64_e64 s0, 0, v[120:121]
	s_and_b32 s0, vcc_lo, s0
	s_and_saveexec_b32 s1, s0
	s_xor_b32 s0, exec_lo, s1
; %bb.87:
	v_cmp_ne_u32_e32 vcc_lo, 0, v131
	v_cndmask_b32_e32 v131, 5, v131, vcc_lo
; %bb.88:
	s_andn2_saveexec_b32 s0, s0
	s_cbranch_execz .LBB56_94
; %bb.89:
	v_cmp_ngt_f64_e64 s1, |v[118:119]|, |v[120:121]|
	s_and_saveexec_b32 s2, s1
	s_xor_b32 s1, exec_lo, s2
	s_cbranch_execz .LBB56_91
; %bb.90:
	v_div_scale_f64 v[133:134], null, v[120:121], v[120:121], v[118:119]
	v_div_scale_f64 v[139:140], vcc_lo, v[118:119], v[120:121], v[118:119]
	v_rcp_f64_e32 v[135:136], v[133:134]
	v_fma_f64 v[137:138], -v[133:134], v[135:136], 1.0
	v_fma_f64 v[135:136], v[135:136], v[137:138], v[135:136]
	v_fma_f64 v[137:138], -v[133:134], v[135:136], 1.0
	v_fma_f64 v[135:136], v[135:136], v[137:138], v[135:136]
	v_mul_f64 v[137:138], v[139:140], v[135:136]
	v_fma_f64 v[133:134], -v[133:134], v[137:138], v[139:140]
	v_div_fmas_f64 v[133:134], v[133:134], v[135:136], v[137:138]
	v_div_fixup_f64 v[133:134], v[133:134], v[120:121], v[118:119]
	v_fma_f64 v[118:119], v[118:119], v[133:134], v[120:121]
	v_div_scale_f64 v[120:121], null, v[118:119], v[118:119], 1.0
	v_rcp_f64_e32 v[135:136], v[120:121]
	v_fma_f64 v[137:138], -v[120:121], v[135:136], 1.0
	v_fma_f64 v[135:136], v[135:136], v[137:138], v[135:136]
	v_fma_f64 v[137:138], -v[120:121], v[135:136], 1.0
	v_fma_f64 v[135:136], v[135:136], v[137:138], v[135:136]
	v_div_scale_f64 v[137:138], vcc_lo, 1.0, v[118:119], 1.0
	v_mul_f64 v[139:140], v[137:138], v[135:136]
	v_fma_f64 v[120:121], -v[120:121], v[139:140], v[137:138]
	v_div_fmas_f64 v[120:121], v[120:121], v[135:136], v[139:140]
	v_div_fixup_f64 v[120:121], v[120:121], v[118:119], 1.0
	v_mul_f64 v[118:119], v[133:134], v[120:121]
	v_xor_b32_e32 v121, 0x80000000, v121
.LBB56_91:
	s_andn2_saveexec_b32 s1, s1
	s_cbranch_execz .LBB56_93
; %bb.92:
	v_div_scale_f64 v[133:134], null, v[118:119], v[118:119], v[120:121]
	v_div_scale_f64 v[139:140], vcc_lo, v[120:121], v[118:119], v[120:121]
	v_rcp_f64_e32 v[135:136], v[133:134]
	v_fma_f64 v[137:138], -v[133:134], v[135:136], 1.0
	v_fma_f64 v[135:136], v[135:136], v[137:138], v[135:136]
	v_fma_f64 v[137:138], -v[133:134], v[135:136], 1.0
	v_fma_f64 v[135:136], v[135:136], v[137:138], v[135:136]
	v_mul_f64 v[137:138], v[139:140], v[135:136]
	v_fma_f64 v[133:134], -v[133:134], v[137:138], v[139:140]
	v_div_fmas_f64 v[133:134], v[133:134], v[135:136], v[137:138]
	v_div_fixup_f64 v[133:134], v[133:134], v[118:119], v[120:121]
	v_fma_f64 v[118:119], v[120:121], v[133:134], v[118:119]
	v_div_scale_f64 v[120:121], null, v[118:119], v[118:119], 1.0
	v_rcp_f64_e32 v[135:136], v[120:121]
	v_fma_f64 v[137:138], -v[120:121], v[135:136], 1.0
	v_fma_f64 v[135:136], v[135:136], v[137:138], v[135:136]
	v_fma_f64 v[137:138], -v[120:121], v[135:136], 1.0
	v_fma_f64 v[135:136], v[135:136], v[137:138], v[135:136]
	v_div_scale_f64 v[137:138], vcc_lo, 1.0, v[118:119], 1.0
	v_mul_f64 v[139:140], v[137:138], v[135:136]
	v_fma_f64 v[120:121], -v[120:121], v[139:140], v[137:138]
	v_div_fmas_f64 v[120:121], v[120:121], v[135:136], v[139:140]
	v_div_fixup_f64 v[118:119], v[120:121], v[118:119], 1.0
	v_mul_f64 v[120:121], v[133:134], -v[118:119]
.LBB56_93:
	s_or_b32 exec_lo, exec_lo, s1
.LBB56_94:
	s_or_b32 exec_lo, exec_lo, s0
	s_mov_b32 s0, exec_lo
	v_cmpx_ne_u32_e64 v132, v126
	s_xor_b32 s0, exec_lo, s0
	s_cbranch_execz .LBB56_100
; %bb.95:
	s_mov_b32 s1, exec_lo
	v_cmpx_eq_u32_e32 4, v132
	s_cbranch_execz .LBB56_99
; %bb.96:
	v_cmp_ne_u32_e32 vcc_lo, 4, v126
	s_xor_b32 s2, s16, -1
	s_and_b32 s3, s2, vcc_lo
	s_and_saveexec_b32 s2, s3
	s_cbranch_execz .LBB56_98
; %bb.97:
	v_ashrrev_i32_e32 v127, 31, v126
	v_lshlrev_b64 v[132:133], 2, v[126:127]
	v_add_co_u32 v132, vcc_lo, v124, v132
	v_add_co_ci_u32_e64 v133, null, v125, v133, vcc_lo
	s_clause 0x1
	global_load_dword v0, v[132:133], off
	global_load_dword v127, v[124:125], off offset:16
	s_waitcnt vmcnt(1)
	global_store_dword v[124:125], v0, off offset:16
	s_waitcnt vmcnt(0)
	global_store_dword v[132:133], v127, off
.LBB56_98:
	s_or_b32 exec_lo, exec_lo, s2
	v_mov_b32_e32 v132, v126
	v_mov_b32_e32 v0, v126
.LBB56_99:
	s_or_b32 exec_lo, exec_lo, s1
.LBB56_100:
	s_andn2_saveexec_b32 s0, s0
	s_cbranch_execz .LBB56_102
; %bb.101:
	v_mov_b32_e32 v132, 4
	ds_write2_b64 v1, v[94:95], v[96:97] offset0:10 offset1:11
	ds_write2_b64 v1, v[90:91], v[92:93] offset0:12 offset1:13
	;; [unrolled: 1-line block ×24, first 2 shown]
.LBB56_102:
	s_or_b32 exec_lo, exec_lo, s0
	s_mov_b32 s0, exec_lo
	s_waitcnt lgkmcnt(0)
	s_waitcnt_vscnt null, 0x0
	s_barrier
	buffer_gl0_inv
	v_cmpx_lt_i32_e32 4, v132
	s_cbranch_execz .LBB56_104
; %bb.103:
	v_mul_f64 v[126:127], v[120:121], v[100:101]
	v_mul_f64 v[100:101], v[118:119], v[100:101]
	v_fma_f64 v[126:127], v[118:119], v[98:99], -v[126:127]
	v_fma_f64 v[100:101], v[120:121], v[98:99], v[100:101]
	ds_read2_b64 v[118:121], v1 offset0:10 offset1:11
	s_waitcnt lgkmcnt(0)
	v_mul_f64 v[98:99], v[120:121], v[100:101]
	v_fma_f64 v[98:99], v[118:119], v[126:127], -v[98:99]
	v_mul_f64 v[118:119], v[118:119], v[100:101]
	v_add_f64 v[94:95], v[94:95], -v[98:99]
	v_fma_f64 v[118:119], v[120:121], v[126:127], v[118:119]
	v_add_f64 v[96:97], v[96:97], -v[118:119]
	ds_read2_b64 v[118:121], v1 offset0:12 offset1:13
	s_waitcnt lgkmcnt(0)
	v_mul_f64 v[98:99], v[120:121], v[100:101]
	v_fma_f64 v[98:99], v[118:119], v[126:127], -v[98:99]
	v_mul_f64 v[118:119], v[118:119], v[100:101]
	v_add_f64 v[90:91], v[90:91], -v[98:99]
	v_fma_f64 v[118:119], v[120:121], v[126:127], v[118:119]
	v_add_f64 v[92:93], v[92:93], -v[118:119]
	;; [unrolled: 8-line block ×23, first 2 shown]
	ds_read2_b64 v[118:121], v1 offset0:56 offset1:57
	s_waitcnt lgkmcnt(0)
	v_mul_f64 v[98:99], v[120:121], v[100:101]
	v_fma_f64 v[98:99], v[118:119], v[126:127], -v[98:99]
	v_mul_f64 v[118:119], v[118:119], v[100:101]
	v_add_f64 v[2:3], v[2:3], -v[98:99]
	v_fma_f64 v[118:119], v[120:121], v[126:127], v[118:119]
	v_mov_b32_e32 v98, v126
	v_mov_b32_e32 v99, v127
	v_add_f64 v[4:5], v[4:5], -v[118:119]
.LBB56_104:
	s_or_b32 exec_lo, exec_lo, s0
	v_lshl_add_u32 v118, v132, 4, v1
	s_barrier
	buffer_gl0_inv
	v_mov_b32_e32 v126, 5
	ds_write2_b64 v118, v[94:95], v[96:97] offset1:1
	s_waitcnt lgkmcnt(0)
	s_barrier
	buffer_gl0_inv
	ds_read2_b64 v[118:121], v1 offset0:10 offset1:11
	s_cmp_lt_i32 s18, 7
	s_cbranch_scc1 .LBB56_107
; %bb.105:
	v_add3_u32 v127, v128, 0, 0x60
	v_mov_b32_e32 v126, 5
	s_mov_b32 s1, 6
	s_inst_prefetch 0x1
	.p2align	6
.LBB56_106:                             ; =>This Inner Loop Header: Depth=1
	s_waitcnt lgkmcnt(0)
	v_cmp_gt_f64_e32 vcc_lo, 0, v[120:121]
	v_cmp_gt_f64_e64 s0, 0, v[118:119]
	ds_read2_b64 v[133:136], v127 offset1:1
	v_xor_b32_e32 v138, 0x80000000, v119
	v_xor_b32_e32 v140, 0x80000000, v121
	v_mov_b32_e32 v137, v118
	v_mov_b32_e32 v139, v120
	v_add_nc_u32_e32 v127, 16, v127
	s_waitcnt lgkmcnt(0)
	v_xor_b32_e32 v142, 0x80000000, v136
	v_cndmask_b32_e64 v138, v119, v138, s0
	v_cndmask_b32_e32 v140, v121, v140, vcc_lo
	v_cmp_gt_f64_e32 vcc_lo, 0, v[135:136]
	v_cmp_gt_f64_e64 s0, 0, v[133:134]
	v_mov_b32_e32 v141, v135
	v_add_f64 v[137:138], v[137:138], v[139:140]
	v_xor_b32_e32 v140, 0x80000000, v134
	v_mov_b32_e32 v139, v133
	v_cndmask_b32_e32 v142, v136, v142, vcc_lo
	v_cndmask_b32_e64 v140, v134, v140, s0
	v_add_f64 v[139:140], v[139:140], v[141:142]
	v_cmp_lt_f64_e32 vcc_lo, v[137:138], v[139:140]
	v_cndmask_b32_e32 v119, v119, v134, vcc_lo
	v_cndmask_b32_e32 v118, v118, v133, vcc_lo
	;; [unrolled: 1-line block ×4, first 2 shown]
	v_cndmask_b32_e64 v126, v126, s1, vcc_lo
	s_add_i32 s1, s1, 1
	s_cmp_lg_u32 s18, s1
	s_cbranch_scc1 .LBB56_106
.LBB56_107:
	s_inst_prefetch 0x2
	s_waitcnt lgkmcnt(0)
	v_cmp_eq_f64_e32 vcc_lo, 0, v[118:119]
	v_cmp_eq_f64_e64 s0, 0, v[120:121]
	s_and_b32 s0, vcc_lo, s0
	s_and_saveexec_b32 s1, s0
	s_xor_b32 s0, exec_lo, s1
; %bb.108:
	v_cmp_ne_u32_e32 vcc_lo, 0, v131
	v_cndmask_b32_e32 v131, 6, v131, vcc_lo
; %bb.109:
	s_andn2_saveexec_b32 s0, s0
	s_cbranch_execz .LBB56_115
; %bb.110:
	v_cmp_ngt_f64_e64 s1, |v[118:119]|, |v[120:121]|
	s_and_saveexec_b32 s2, s1
	s_xor_b32 s1, exec_lo, s2
	s_cbranch_execz .LBB56_112
; %bb.111:
	v_div_scale_f64 v[133:134], null, v[120:121], v[120:121], v[118:119]
	v_div_scale_f64 v[139:140], vcc_lo, v[118:119], v[120:121], v[118:119]
	v_rcp_f64_e32 v[135:136], v[133:134]
	v_fma_f64 v[137:138], -v[133:134], v[135:136], 1.0
	v_fma_f64 v[135:136], v[135:136], v[137:138], v[135:136]
	v_fma_f64 v[137:138], -v[133:134], v[135:136], 1.0
	v_fma_f64 v[135:136], v[135:136], v[137:138], v[135:136]
	v_mul_f64 v[137:138], v[139:140], v[135:136]
	v_fma_f64 v[133:134], -v[133:134], v[137:138], v[139:140]
	v_div_fmas_f64 v[133:134], v[133:134], v[135:136], v[137:138]
	v_div_fixup_f64 v[133:134], v[133:134], v[120:121], v[118:119]
	v_fma_f64 v[118:119], v[118:119], v[133:134], v[120:121]
	v_div_scale_f64 v[120:121], null, v[118:119], v[118:119], 1.0
	v_rcp_f64_e32 v[135:136], v[120:121]
	v_fma_f64 v[137:138], -v[120:121], v[135:136], 1.0
	v_fma_f64 v[135:136], v[135:136], v[137:138], v[135:136]
	v_fma_f64 v[137:138], -v[120:121], v[135:136], 1.0
	v_fma_f64 v[135:136], v[135:136], v[137:138], v[135:136]
	v_div_scale_f64 v[137:138], vcc_lo, 1.0, v[118:119], 1.0
	v_mul_f64 v[139:140], v[137:138], v[135:136]
	v_fma_f64 v[120:121], -v[120:121], v[139:140], v[137:138]
	v_div_fmas_f64 v[120:121], v[120:121], v[135:136], v[139:140]
	v_div_fixup_f64 v[120:121], v[120:121], v[118:119], 1.0
	v_mul_f64 v[118:119], v[133:134], v[120:121]
	v_xor_b32_e32 v121, 0x80000000, v121
.LBB56_112:
	s_andn2_saveexec_b32 s1, s1
	s_cbranch_execz .LBB56_114
; %bb.113:
	v_div_scale_f64 v[133:134], null, v[118:119], v[118:119], v[120:121]
	v_div_scale_f64 v[139:140], vcc_lo, v[120:121], v[118:119], v[120:121]
	v_rcp_f64_e32 v[135:136], v[133:134]
	v_fma_f64 v[137:138], -v[133:134], v[135:136], 1.0
	v_fma_f64 v[135:136], v[135:136], v[137:138], v[135:136]
	v_fma_f64 v[137:138], -v[133:134], v[135:136], 1.0
	v_fma_f64 v[135:136], v[135:136], v[137:138], v[135:136]
	v_mul_f64 v[137:138], v[139:140], v[135:136]
	v_fma_f64 v[133:134], -v[133:134], v[137:138], v[139:140]
	v_div_fmas_f64 v[133:134], v[133:134], v[135:136], v[137:138]
	v_div_fixup_f64 v[133:134], v[133:134], v[118:119], v[120:121]
	v_fma_f64 v[118:119], v[120:121], v[133:134], v[118:119]
	v_div_scale_f64 v[120:121], null, v[118:119], v[118:119], 1.0
	v_rcp_f64_e32 v[135:136], v[120:121]
	v_fma_f64 v[137:138], -v[120:121], v[135:136], 1.0
	v_fma_f64 v[135:136], v[135:136], v[137:138], v[135:136]
	v_fma_f64 v[137:138], -v[120:121], v[135:136], 1.0
	v_fma_f64 v[135:136], v[135:136], v[137:138], v[135:136]
	v_div_scale_f64 v[137:138], vcc_lo, 1.0, v[118:119], 1.0
	v_mul_f64 v[139:140], v[137:138], v[135:136]
	v_fma_f64 v[120:121], -v[120:121], v[139:140], v[137:138]
	v_div_fmas_f64 v[120:121], v[120:121], v[135:136], v[139:140]
	v_div_fixup_f64 v[118:119], v[120:121], v[118:119], 1.0
	v_mul_f64 v[120:121], v[133:134], -v[118:119]
.LBB56_114:
	s_or_b32 exec_lo, exec_lo, s1
.LBB56_115:
	s_or_b32 exec_lo, exec_lo, s0
	s_mov_b32 s0, exec_lo
	v_cmpx_ne_u32_e64 v132, v126
	s_xor_b32 s0, exec_lo, s0
	s_cbranch_execz .LBB56_121
; %bb.116:
	s_mov_b32 s1, exec_lo
	v_cmpx_eq_u32_e32 5, v132
	s_cbranch_execz .LBB56_120
; %bb.117:
	v_cmp_ne_u32_e32 vcc_lo, 5, v126
	s_xor_b32 s2, s16, -1
	s_and_b32 s3, s2, vcc_lo
	s_and_saveexec_b32 s2, s3
	s_cbranch_execz .LBB56_119
; %bb.118:
	v_ashrrev_i32_e32 v127, 31, v126
	v_lshlrev_b64 v[132:133], 2, v[126:127]
	v_add_co_u32 v132, vcc_lo, v124, v132
	v_add_co_ci_u32_e64 v133, null, v125, v133, vcc_lo
	s_clause 0x1
	global_load_dword v0, v[132:133], off
	global_load_dword v127, v[124:125], off offset:20
	s_waitcnt vmcnt(1)
	global_store_dword v[124:125], v0, off offset:20
	s_waitcnt vmcnt(0)
	global_store_dword v[132:133], v127, off
.LBB56_119:
	s_or_b32 exec_lo, exec_lo, s2
	v_mov_b32_e32 v132, v126
	v_mov_b32_e32 v0, v126
.LBB56_120:
	s_or_b32 exec_lo, exec_lo, s1
.LBB56_121:
	s_andn2_saveexec_b32 s0, s0
	s_cbranch_execz .LBB56_123
; %bb.122:
	v_mov_b32_e32 v132, 5
	ds_write2_b64 v1, v[90:91], v[92:93] offset0:12 offset1:13
	ds_write2_b64 v1, v[86:87], v[88:89] offset0:14 offset1:15
	;; [unrolled: 1-line block ×23, first 2 shown]
.LBB56_123:
	s_or_b32 exec_lo, exec_lo, s0
	s_mov_b32 s0, exec_lo
	s_waitcnt lgkmcnt(0)
	s_waitcnt_vscnt null, 0x0
	s_barrier
	buffer_gl0_inv
	v_cmpx_lt_i32_e32 5, v132
	s_cbranch_execz .LBB56_125
; %bb.124:
	v_mul_f64 v[126:127], v[120:121], v[96:97]
	v_mul_f64 v[96:97], v[118:119], v[96:97]
	v_fma_f64 v[126:127], v[118:119], v[94:95], -v[126:127]
	v_fma_f64 v[96:97], v[120:121], v[94:95], v[96:97]
	ds_read2_b64 v[118:121], v1 offset0:12 offset1:13
	s_waitcnt lgkmcnt(0)
	v_mul_f64 v[94:95], v[120:121], v[96:97]
	v_fma_f64 v[94:95], v[118:119], v[126:127], -v[94:95]
	v_mul_f64 v[118:119], v[118:119], v[96:97]
	v_add_f64 v[90:91], v[90:91], -v[94:95]
	v_fma_f64 v[118:119], v[120:121], v[126:127], v[118:119]
	v_add_f64 v[92:93], v[92:93], -v[118:119]
	ds_read2_b64 v[118:121], v1 offset0:14 offset1:15
	s_waitcnt lgkmcnt(0)
	v_mul_f64 v[94:95], v[120:121], v[96:97]
	v_fma_f64 v[94:95], v[118:119], v[126:127], -v[94:95]
	v_mul_f64 v[118:119], v[118:119], v[96:97]
	v_add_f64 v[86:87], v[86:87], -v[94:95]
	v_fma_f64 v[118:119], v[120:121], v[126:127], v[118:119]
	v_add_f64 v[88:89], v[88:89], -v[118:119]
	;; [unrolled: 8-line block ×22, first 2 shown]
	ds_read2_b64 v[118:121], v1 offset0:56 offset1:57
	s_waitcnt lgkmcnt(0)
	v_mul_f64 v[94:95], v[120:121], v[96:97]
	v_fma_f64 v[94:95], v[118:119], v[126:127], -v[94:95]
	v_mul_f64 v[118:119], v[118:119], v[96:97]
	v_add_f64 v[2:3], v[2:3], -v[94:95]
	v_fma_f64 v[118:119], v[120:121], v[126:127], v[118:119]
	v_mov_b32_e32 v94, v126
	v_mov_b32_e32 v95, v127
	v_add_f64 v[4:5], v[4:5], -v[118:119]
.LBB56_125:
	s_or_b32 exec_lo, exec_lo, s0
	v_lshl_add_u32 v118, v132, 4, v1
	s_barrier
	buffer_gl0_inv
	v_mov_b32_e32 v126, 6
	ds_write2_b64 v118, v[90:91], v[92:93] offset1:1
	s_waitcnt lgkmcnt(0)
	s_barrier
	buffer_gl0_inv
	ds_read2_b64 v[118:121], v1 offset0:12 offset1:13
	s_cmp_lt_i32 s18, 8
	s_cbranch_scc1 .LBB56_128
; %bb.126:
	v_add3_u32 v127, v128, 0, 0x70
	v_mov_b32_e32 v126, 6
	s_mov_b32 s1, 7
	s_inst_prefetch 0x1
	.p2align	6
.LBB56_127:                             ; =>This Inner Loop Header: Depth=1
	s_waitcnt lgkmcnt(0)
	v_cmp_gt_f64_e32 vcc_lo, 0, v[120:121]
	v_cmp_gt_f64_e64 s0, 0, v[118:119]
	ds_read2_b64 v[133:136], v127 offset1:1
	v_xor_b32_e32 v138, 0x80000000, v119
	v_xor_b32_e32 v140, 0x80000000, v121
	v_mov_b32_e32 v137, v118
	v_mov_b32_e32 v139, v120
	v_add_nc_u32_e32 v127, 16, v127
	s_waitcnt lgkmcnt(0)
	v_xor_b32_e32 v142, 0x80000000, v136
	v_cndmask_b32_e64 v138, v119, v138, s0
	v_cndmask_b32_e32 v140, v121, v140, vcc_lo
	v_cmp_gt_f64_e32 vcc_lo, 0, v[135:136]
	v_cmp_gt_f64_e64 s0, 0, v[133:134]
	v_mov_b32_e32 v141, v135
	v_add_f64 v[137:138], v[137:138], v[139:140]
	v_xor_b32_e32 v140, 0x80000000, v134
	v_mov_b32_e32 v139, v133
	v_cndmask_b32_e32 v142, v136, v142, vcc_lo
	v_cndmask_b32_e64 v140, v134, v140, s0
	v_add_f64 v[139:140], v[139:140], v[141:142]
	v_cmp_lt_f64_e32 vcc_lo, v[137:138], v[139:140]
	v_cndmask_b32_e32 v119, v119, v134, vcc_lo
	v_cndmask_b32_e32 v118, v118, v133, vcc_lo
	;; [unrolled: 1-line block ×4, first 2 shown]
	v_cndmask_b32_e64 v126, v126, s1, vcc_lo
	s_add_i32 s1, s1, 1
	s_cmp_lg_u32 s18, s1
	s_cbranch_scc1 .LBB56_127
.LBB56_128:
	s_inst_prefetch 0x2
	s_waitcnt lgkmcnt(0)
	v_cmp_eq_f64_e32 vcc_lo, 0, v[118:119]
	v_cmp_eq_f64_e64 s0, 0, v[120:121]
	s_and_b32 s0, vcc_lo, s0
	s_and_saveexec_b32 s1, s0
	s_xor_b32 s0, exec_lo, s1
; %bb.129:
	v_cmp_ne_u32_e32 vcc_lo, 0, v131
	v_cndmask_b32_e32 v131, 7, v131, vcc_lo
; %bb.130:
	s_andn2_saveexec_b32 s0, s0
	s_cbranch_execz .LBB56_136
; %bb.131:
	v_cmp_ngt_f64_e64 s1, |v[118:119]|, |v[120:121]|
	s_and_saveexec_b32 s2, s1
	s_xor_b32 s1, exec_lo, s2
	s_cbranch_execz .LBB56_133
; %bb.132:
	v_div_scale_f64 v[133:134], null, v[120:121], v[120:121], v[118:119]
	v_div_scale_f64 v[139:140], vcc_lo, v[118:119], v[120:121], v[118:119]
	v_rcp_f64_e32 v[135:136], v[133:134]
	v_fma_f64 v[137:138], -v[133:134], v[135:136], 1.0
	v_fma_f64 v[135:136], v[135:136], v[137:138], v[135:136]
	v_fma_f64 v[137:138], -v[133:134], v[135:136], 1.0
	v_fma_f64 v[135:136], v[135:136], v[137:138], v[135:136]
	v_mul_f64 v[137:138], v[139:140], v[135:136]
	v_fma_f64 v[133:134], -v[133:134], v[137:138], v[139:140]
	v_div_fmas_f64 v[133:134], v[133:134], v[135:136], v[137:138]
	v_div_fixup_f64 v[133:134], v[133:134], v[120:121], v[118:119]
	v_fma_f64 v[118:119], v[118:119], v[133:134], v[120:121]
	v_div_scale_f64 v[120:121], null, v[118:119], v[118:119], 1.0
	v_rcp_f64_e32 v[135:136], v[120:121]
	v_fma_f64 v[137:138], -v[120:121], v[135:136], 1.0
	v_fma_f64 v[135:136], v[135:136], v[137:138], v[135:136]
	v_fma_f64 v[137:138], -v[120:121], v[135:136], 1.0
	v_fma_f64 v[135:136], v[135:136], v[137:138], v[135:136]
	v_div_scale_f64 v[137:138], vcc_lo, 1.0, v[118:119], 1.0
	v_mul_f64 v[139:140], v[137:138], v[135:136]
	v_fma_f64 v[120:121], -v[120:121], v[139:140], v[137:138]
	v_div_fmas_f64 v[120:121], v[120:121], v[135:136], v[139:140]
	v_div_fixup_f64 v[120:121], v[120:121], v[118:119], 1.0
	v_mul_f64 v[118:119], v[133:134], v[120:121]
	v_xor_b32_e32 v121, 0x80000000, v121
.LBB56_133:
	s_andn2_saveexec_b32 s1, s1
	s_cbranch_execz .LBB56_135
; %bb.134:
	v_div_scale_f64 v[133:134], null, v[118:119], v[118:119], v[120:121]
	v_div_scale_f64 v[139:140], vcc_lo, v[120:121], v[118:119], v[120:121]
	v_rcp_f64_e32 v[135:136], v[133:134]
	v_fma_f64 v[137:138], -v[133:134], v[135:136], 1.0
	v_fma_f64 v[135:136], v[135:136], v[137:138], v[135:136]
	v_fma_f64 v[137:138], -v[133:134], v[135:136], 1.0
	v_fma_f64 v[135:136], v[135:136], v[137:138], v[135:136]
	v_mul_f64 v[137:138], v[139:140], v[135:136]
	v_fma_f64 v[133:134], -v[133:134], v[137:138], v[139:140]
	v_div_fmas_f64 v[133:134], v[133:134], v[135:136], v[137:138]
	v_div_fixup_f64 v[133:134], v[133:134], v[118:119], v[120:121]
	v_fma_f64 v[118:119], v[120:121], v[133:134], v[118:119]
	v_div_scale_f64 v[120:121], null, v[118:119], v[118:119], 1.0
	v_rcp_f64_e32 v[135:136], v[120:121]
	v_fma_f64 v[137:138], -v[120:121], v[135:136], 1.0
	v_fma_f64 v[135:136], v[135:136], v[137:138], v[135:136]
	v_fma_f64 v[137:138], -v[120:121], v[135:136], 1.0
	v_fma_f64 v[135:136], v[135:136], v[137:138], v[135:136]
	v_div_scale_f64 v[137:138], vcc_lo, 1.0, v[118:119], 1.0
	v_mul_f64 v[139:140], v[137:138], v[135:136]
	v_fma_f64 v[120:121], -v[120:121], v[139:140], v[137:138]
	v_div_fmas_f64 v[120:121], v[120:121], v[135:136], v[139:140]
	v_div_fixup_f64 v[118:119], v[120:121], v[118:119], 1.0
	v_mul_f64 v[120:121], v[133:134], -v[118:119]
.LBB56_135:
	s_or_b32 exec_lo, exec_lo, s1
.LBB56_136:
	s_or_b32 exec_lo, exec_lo, s0
	s_mov_b32 s0, exec_lo
	v_cmpx_ne_u32_e64 v132, v126
	s_xor_b32 s0, exec_lo, s0
	s_cbranch_execz .LBB56_142
; %bb.137:
	s_mov_b32 s1, exec_lo
	v_cmpx_eq_u32_e32 6, v132
	s_cbranch_execz .LBB56_141
; %bb.138:
	v_cmp_ne_u32_e32 vcc_lo, 6, v126
	s_xor_b32 s2, s16, -1
	s_and_b32 s3, s2, vcc_lo
	s_and_saveexec_b32 s2, s3
	s_cbranch_execz .LBB56_140
; %bb.139:
	v_ashrrev_i32_e32 v127, 31, v126
	v_lshlrev_b64 v[132:133], 2, v[126:127]
	v_add_co_u32 v132, vcc_lo, v124, v132
	v_add_co_ci_u32_e64 v133, null, v125, v133, vcc_lo
	s_clause 0x1
	global_load_dword v0, v[132:133], off
	global_load_dword v127, v[124:125], off offset:24
	s_waitcnt vmcnt(1)
	global_store_dword v[124:125], v0, off offset:24
	s_waitcnt vmcnt(0)
	global_store_dword v[132:133], v127, off
.LBB56_140:
	s_or_b32 exec_lo, exec_lo, s2
	v_mov_b32_e32 v132, v126
	v_mov_b32_e32 v0, v126
.LBB56_141:
	s_or_b32 exec_lo, exec_lo, s1
.LBB56_142:
	s_andn2_saveexec_b32 s0, s0
	s_cbranch_execz .LBB56_144
; %bb.143:
	v_mov_b32_e32 v132, 6
	ds_write2_b64 v1, v[86:87], v[88:89] offset0:14 offset1:15
	ds_write2_b64 v1, v[82:83], v[84:85] offset0:16 offset1:17
	;; [unrolled: 1-line block ×22, first 2 shown]
.LBB56_144:
	s_or_b32 exec_lo, exec_lo, s0
	s_mov_b32 s0, exec_lo
	s_waitcnt lgkmcnt(0)
	s_waitcnt_vscnt null, 0x0
	s_barrier
	buffer_gl0_inv
	v_cmpx_lt_i32_e32 6, v132
	s_cbranch_execz .LBB56_146
; %bb.145:
	v_mul_f64 v[126:127], v[120:121], v[92:93]
	v_mul_f64 v[92:93], v[118:119], v[92:93]
	v_fma_f64 v[126:127], v[118:119], v[90:91], -v[126:127]
	v_fma_f64 v[92:93], v[120:121], v[90:91], v[92:93]
	ds_read2_b64 v[118:121], v1 offset0:14 offset1:15
	s_waitcnt lgkmcnt(0)
	v_mul_f64 v[90:91], v[120:121], v[92:93]
	v_fma_f64 v[90:91], v[118:119], v[126:127], -v[90:91]
	v_mul_f64 v[118:119], v[118:119], v[92:93]
	v_add_f64 v[86:87], v[86:87], -v[90:91]
	v_fma_f64 v[118:119], v[120:121], v[126:127], v[118:119]
	v_add_f64 v[88:89], v[88:89], -v[118:119]
	ds_read2_b64 v[118:121], v1 offset0:16 offset1:17
	s_waitcnt lgkmcnt(0)
	v_mul_f64 v[90:91], v[120:121], v[92:93]
	v_fma_f64 v[90:91], v[118:119], v[126:127], -v[90:91]
	v_mul_f64 v[118:119], v[118:119], v[92:93]
	v_add_f64 v[82:83], v[82:83], -v[90:91]
	v_fma_f64 v[118:119], v[120:121], v[126:127], v[118:119]
	v_add_f64 v[84:85], v[84:85], -v[118:119]
	;; [unrolled: 8-line block ×21, first 2 shown]
	ds_read2_b64 v[118:121], v1 offset0:56 offset1:57
	s_waitcnt lgkmcnt(0)
	v_mul_f64 v[90:91], v[120:121], v[92:93]
	v_fma_f64 v[90:91], v[118:119], v[126:127], -v[90:91]
	v_mul_f64 v[118:119], v[118:119], v[92:93]
	v_add_f64 v[2:3], v[2:3], -v[90:91]
	v_fma_f64 v[118:119], v[120:121], v[126:127], v[118:119]
	v_mov_b32_e32 v90, v126
	v_mov_b32_e32 v91, v127
	v_add_f64 v[4:5], v[4:5], -v[118:119]
.LBB56_146:
	s_or_b32 exec_lo, exec_lo, s0
	v_lshl_add_u32 v118, v132, 4, v1
	s_barrier
	buffer_gl0_inv
	v_mov_b32_e32 v126, 7
	ds_write2_b64 v118, v[86:87], v[88:89] offset1:1
	s_waitcnt lgkmcnt(0)
	s_barrier
	buffer_gl0_inv
	ds_read2_b64 v[118:121], v1 offset0:14 offset1:15
	s_cmp_lt_i32 s18, 9
	s_cbranch_scc1 .LBB56_149
; %bb.147:
	v_add3_u32 v127, v128, 0, 0x80
	v_mov_b32_e32 v126, 7
	s_mov_b32 s1, 8
	s_inst_prefetch 0x1
	.p2align	6
.LBB56_148:                             ; =>This Inner Loop Header: Depth=1
	s_waitcnt lgkmcnt(0)
	v_cmp_gt_f64_e32 vcc_lo, 0, v[120:121]
	v_cmp_gt_f64_e64 s0, 0, v[118:119]
	ds_read2_b64 v[133:136], v127 offset1:1
	v_xor_b32_e32 v138, 0x80000000, v119
	v_xor_b32_e32 v140, 0x80000000, v121
	v_mov_b32_e32 v137, v118
	v_mov_b32_e32 v139, v120
	v_add_nc_u32_e32 v127, 16, v127
	s_waitcnt lgkmcnt(0)
	v_xor_b32_e32 v142, 0x80000000, v136
	v_cndmask_b32_e64 v138, v119, v138, s0
	v_cndmask_b32_e32 v140, v121, v140, vcc_lo
	v_cmp_gt_f64_e32 vcc_lo, 0, v[135:136]
	v_cmp_gt_f64_e64 s0, 0, v[133:134]
	v_mov_b32_e32 v141, v135
	v_add_f64 v[137:138], v[137:138], v[139:140]
	v_xor_b32_e32 v140, 0x80000000, v134
	v_mov_b32_e32 v139, v133
	v_cndmask_b32_e32 v142, v136, v142, vcc_lo
	v_cndmask_b32_e64 v140, v134, v140, s0
	v_add_f64 v[139:140], v[139:140], v[141:142]
	v_cmp_lt_f64_e32 vcc_lo, v[137:138], v[139:140]
	v_cndmask_b32_e32 v119, v119, v134, vcc_lo
	v_cndmask_b32_e32 v118, v118, v133, vcc_lo
	;; [unrolled: 1-line block ×4, first 2 shown]
	v_cndmask_b32_e64 v126, v126, s1, vcc_lo
	s_add_i32 s1, s1, 1
	s_cmp_lg_u32 s18, s1
	s_cbranch_scc1 .LBB56_148
.LBB56_149:
	s_inst_prefetch 0x2
	s_waitcnt lgkmcnt(0)
	v_cmp_eq_f64_e32 vcc_lo, 0, v[118:119]
	v_cmp_eq_f64_e64 s0, 0, v[120:121]
	s_and_b32 s0, vcc_lo, s0
	s_and_saveexec_b32 s1, s0
	s_xor_b32 s0, exec_lo, s1
; %bb.150:
	v_cmp_ne_u32_e32 vcc_lo, 0, v131
	v_cndmask_b32_e32 v131, 8, v131, vcc_lo
; %bb.151:
	s_andn2_saveexec_b32 s0, s0
	s_cbranch_execz .LBB56_157
; %bb.152:
	v_cmp_ngt_f64_e64 s1, |v[118:119]|, |v[120:121]|
	s_and_saveexec_b32 s2, s1
	s_xor_b32 s1, exec_lo, s2
	s_cbranch_execz .LBB56_154
; %bb.153:
	v_div_scale_f64 v[133:134], null, v[120:121], v[120:121], v[118:119]
	v_div_scale_f64 v[139:140], vcc_lo, v[118:119], v[120:121], v[118:119]
	v_rcp_f64_e32 v[135:136], v[133:134]
	v_fma_f64 v[137:138], -v[133:134], v[135:136], 1.0
	v_fma_f64 v[135:136], v[135:136], v[137:138], v[135:136]
	v_fma_f64 v[137:138], -v[133:134], v[135:136], 1.0
	v_fma_f64 v[135:136], v[135:136], v[137:138], v[135:136]
	v_mul_f64 v[137:138], v[139:140], v[135:136]
	v_fma_f64 v[133:134], -v[133:134], v[137:138], v[139:140]
	v_div_fmas_f64 v[133:134], v[133:134], v[135:136], v[137:138]
	v_div_fixup_f64 v[133:134], v[133:134], v[120:121], v[118:119]
	v_fma_f64 v[118:119], v[118:119], v[133:134], v[120:121]
	v_div_scale_f64 v[120:121], null, v[118:119], v[118:119], 1.0
	v_rcp_f64_e32 v[135:136], v[120:121]
	v_fma_f64 v[137:138], -v[120:121], v[135:136], 1.0
	v_fma_f64 v[135:136], v[135:136], v[137:138], v[135:136]
	v_fma_f64 v[137:138], -v[120:121], v[135:136], 1.0
	v_fma_f64 v[135:136], v[135:136], v[137:138], v[135:136]
	v_div_scale_f64 v[137:138], vcc_lo, 1.0, v[118:119], 1.0
	v_mul_f64 v[139:140], v[137:138], v[135:136]
	v_fma_f64 v[120:121], -v[120:121], v[139:140], v[137:138]
	v_div_fmas_f64 v[120:121], v[120:121], v[135:136], v[139:140]
	v_div_fixup_f64 v[120:121], v[120:121], v[118:119], 1.0
	v_mul_f64 v[118:119], v[133:134], v[120:121]
	v_xor_b32_e32 v121, 0x80000000, v121
.LBB56_154:
	s_andn2_saveexec_b32 s1, s1
	s_cbranch_execz .LBB56_156
; %bb.155:
	v_div_scale_f64 v[133:134], null, v[118:119], v[118:119], v[120:121]
	v_div_scale_f64 v[139:140], vcc_lo, v[120:121], v[118:119], v[120:121]
	v_rcp_f64_e32 v[135:136], v[133:134]
	v_fma_f64 v[137:138], -v[133:134], v[135:136], 1.0
	v_fma_f64 v[135:136], v[135:136], v[137:138], v[135:136]
	v_fma_f64 v[137:138], -v[133:134], v[135:136], 1.0
	v_fma_f64 v[135:136], v[135:136], v[137:138], v[135:136]
	v_mul_f64 v[137:138], v[139:140], v[135:136]
	v_fma_f64 v[133:134], -v[133:134], v[137:138], v[139:140]
	v_div_fmas_f64 v[133:134], v[133:134], v[135:136], v[137:138]
	v_div_fixup_f64 v[133:134], v[133:134], v[118:119], v[120:121]
	v_fma_f64 v[118:119], v[120:121], v[133:134], v[118:119]
	v_div_scale_f64 v[120:121], null, v[118:119], v[118:119], 1.0
	v_rcp_f64_e32 v[135:136], v[120:121]
	v_fma_f64 v[137:138], -v[120:121], v[135:136], 1.0
	v_fma_f64 v[135:136], v[135:136], v[137:138], v[135:136]
	v_fma_f64 v[137:138], -v[120:121], v[135:136], 1.0
	v_fma_f64 v[135:136], v[135:136], v[137:138], v[135:136]
	v_div_scale_f64 v[137:138], vcc_lo, 1.0, v[118:119], 1.0
	v_mul_f64 v[139:140], v[137:138], v[135:136]
	v_fma_f64 v[120:121], -v[120:121], v[139:140], v[137:138]
	v_div_fmas_f64 v[120:121], v[120:121], v[135:136], v[139:140]
	v_div_fixup_f64 v[118:119], v[120:121], v[118:119], 1.0
	v_mul_f64 v[120:121], v[133:134], -v[118:119]
.LBB56_156:
	s_or_b32 exec_lo, exec_lo, s1
.LBB56_157:
	s_or_b32 exec_lo, exec_lo, s0
	s_mov_b32 s0, exec_lo
	v_cmpx_ne_u32_e64 v132, v126
	s_xor_b32 s0, exec_lo, s0
	s_cbranch_execz .LBB56_163
; %bb.158:
	s_mov_b32 s1, exec_lo
	v_cmpx_eq_u32_e32 7, v132
	s_cbranch_execz .LBB56_162
; %bb.159:
	v_cmp_ne_u32_e32 vcc_lo, 7, v126
	s_xor_b32 s2, s16, -1
	s_and_b32 s3, s2, vcc_lo
	s_and_saveexec_b32 s2, s3
	s_cbranch_execz .LBB56_161
; %bb.160:
	v_ashrrev_i32_e32 v127, 31, v126
	v_lshlrev_b64 v[132:133], 2, v[126:127]
	v_add_co_u32 v132, vcc_lo, v124, v132
	v_add_co_ci_u32_e64 v133, null, v125, v133, vcc_lo
	s_clause 0x1
	global_load_dword v0, v[132:133], off
	global_load_dword v127, v[124:125], off offset:28
	s_waitcnt vmcnt(1)
	global_store_dword v[124:125], v0, off offset:28
	s_waitcnt vmcnt(0)
	global_store_dword v[132:133], v127, off
.LBB56_161:
	s_or_b32 exec_lo, exec_lo, s2
	v_mov_b32_e32 v132, v126
	v_mov_b32_e32 v0, v126
.LBB56_162:
	s_or_b32 exec_lo, exec_lo, s1
.LBB56_163:
	s_andn2_saveexec_b32 s0, s0
	s_cbranch_execz .LBB56_165
; %bb.164:
	v_mov_b32_e32 v132, 7
	ds_write2_b64 v1, v[82:83], v[84:85] offset0:16 offset1:17
	ds_write2_b64 v1, v[78:79], v[80:81] offset0:18 offset1:19
	;; [unrolled: 1-line block ×21, first 2 shown]
.LBB56_165:
	s_or_b32 exec_lo, exec_lo, s0
	s_mov_b32 s0, exec_lo
	s_waitcnt lgkmcnt(0)
	s_waitcnt_vscnt null, 0x0
	s_barrier
	buffer_gl0_inv
	v_cmpx_lt_i32_e32 7, v132
	s_cbranch_execz .LBB56_167
; %bb.166:
	v_mul_f64 v[126:127], v[120:121], v[88:89]
	v_mul_f64 v[88:89], v[118:119], v[88:89]
	v_fma_f64 v[126:127], v[118:119], v[86:87], -v[126:127]
	v_fma_f64 v[88:89], v[120:121], v[86:87], v[88:89]
	ds_read2_b64 v[118:121], v1 offset0:16 offset1:17
	s_waitcnt lgkmcnt(0)
	v_mul_f64 v[86:87], v[120:121], v[88:89]
	v_fma_f64 v[86:87], v[118:119], v[126:127], -v[86:87]
	v_mul_f64 v[118:119], v[118:119], v[88:89]
	v_add_f64 v[82:83], v[82:83], -v[86:87]
	v_fma_f64 v[118:119], v[120:121], v[126:127], v[118:119]
	v_add_f64 v[84:85], v[84:85], -v[118:119]
	ds_read2_b64 v[118:121], v1 offset0:18 offset1:19
	s_waitcnt lgkmcnt(0)
	v_mul_f64 v[86:87], v[120:121], v[88:89]
	v_fma_f64 v[86:87], v[118:119], v[126:127], -v[86:87]
	v_mul_f64 v[118:119], v[118:119], v[88:89]
	v_add_f64 v[78:79], v[78:79], -v[86:87]
	v_fma_f64 v[118:119], v[120:121], v[126:127], v[118:119]
	v_add_f64 v[80:81], v[80:81], -v[118:119]
	;; [unrolled: 8-line block ×20, first 2 shown]
	ds_read2_b64 v[118:121], v1 offset0:56 offset1:57
	s_waitcnt lgkmcnt(0)
	v_mul_f64 v[86:87], v[120:121], v[88:89]
	v_fma_f64 v[86:87], v[118:119], v[126:127], -v[86:87]
	v_mul_f64 v[118:119], v[118:119], v[88:89]
	v_add_f64 v[2:3], v[2:3], -v[86:87]
	v_fma_f64 v[118:119], v[120:121], v[126:127], v[118:119]
	v_mov_b32_e32 v86, v126
	v_mov_b32_e32 v87, v127
	v_add_f64 v[4:5], v[4:5], -v[118:119]
.LBB56_167:
	s_or_b32 exec_lo, exec_lo, s0
	v_lshl_add_u32 v118, v132, 4, v1
	s_barrier
	buffer_gl0_inv
	v_mov_b32_e32 v126, 8
	ds_write2_b64 v118, v[82:83], v[84:85] offset1:1
	s_waitcnt lgkmcnt(0)
	s_barrier
	buffer_gl0_inv
	ds_read2_b64 v[118:121], v1 offset0:16 offset1:17
	s_cmp_lt_i32 s18, 10
	s_cbranch_scc1 .LBB56_170
; %bb.168:
	v_add3_u32 v127, v128, 0, 0x90
	v_mov_b32_e32 v126, 8
	s_mov_b32 s1, 9
	s_inst_prefetch 0x1
	.p2align	6
.LBB56_169:                             ; =>This Inner Loop Header: Depth=1
	s_waitcnt lgkmcnt(0)
	v_cmp_gt_f64_e32 vcc_lo, 0, v[120:121]
	v_cmp_gt_f64_e64 s0, 0, v[118:119]
	ds_read2_b64 v[133:136], v127 offset1:1
	v_xor_b32_e32 v138, 0x80000000, v119
	v_xor_b32_e32 v140, 0x80000000, v121
	v_mov_b32_e32 v137, v118
	v_mov_b32_e32 v139, v120
	v_add_nc_u32_e32 v127, 16, v127
	s_waitcnt lgkmcnt(0)
	v_xor_b32_e32 v142, 0x80000000, v136
	v_cndmask_b32_e64 v138, v119, v138, s0
	v_cndmask_b32_e32 v140, v121, v140, vcc_lo
	v_cmp_gt_f64_e32 vcc_lo, 0, v[135:136]
	v_cmp_gt_f64_e64 s0, 0, v[133:134]
	v_mov_b32_e32 v141, v135
	v_add_f64 v[137:138], v[137:138], v[139:140]
	v_xor_b32_e32 v140, 0x80000000, v134
	v_mov_b32_e32 v139, v133
	v_cndmask_b32_e32 v142, v136, v142, vcc_lo
	v_cndmask_b32_e64 v140, v134, v140, s0
	v_add_f64 v[139:140], v[139:140], v[141:142]
	v_cmp_lt_f64_e32 vcc_lo, v[137:138], v[139:140]
	v_cndmask_b32_e32 v119, v119, v134, vcc_lo
	v_cndmask_b32_e32 v118, v118, v133, vcc_lo
	;; [unrolled: 1-line block ×4, first 2 shown]
	v_cndmask_b32_e64 v126, v126, s1, vcc_lo
	s_add_i32 s1, s1, 1
	s_cmp_lg_u32 s18, s1
	s_cbranch_scc1 .LBB56_169
.LBB56_170:
	s_inst_prefetch 0x2
	s_waitcnt lgkmcnt(0)
	v_cmp_eq_f64_e32 vcc_lo, 0, v[118:119]
	v_cmp_eq_f64_e64 s0, 0, v[120:121]
	s_and_b32 s0, vcc_lo, s0
	s_and_saveexec_b32 s1, s0
	s_xor_b32 s0, exec_lo, s1
; %bb.171:
	v_cmp_ne_u32_e32 vcc_lo, 0, v131
	v_cndmask_b32_e32 v131, 9, v131, vcc_lo
; %bb.172:
	s_andn2_saveexec_b32 s0, s0
	s_cbranch_execz .LBB56_178
; %bb.173:
	v_cmp_ngt_f64_e64 s1, |v[118:119]|, |v[120:121]|
	s_and_saveexec_b32 s2, s1
	s_xor_b32 s1, exec_lo, s2
	s_cbranch_execz .LBB56_175
; %bb.174:
	v_div_scale_f64 v[133:134], null, v[120:121], v[120:121], v[118:119]
	v_div_scale_f64 v[139:140], vcc_lo, v[118:119], v[120:121], v[118:119]
	v_rcp_f64_e32 v[135:136], v[133:134]
	v_fma_f64 v[137:138], -v[133:134], v[135:136], 1.0
	v_fma_f64 v[135:136], v[135:136], v[137:138], v[135:136]
	v_fma_f64 v[137:138], -v[133:134], v[135:136], 1.0
	v_fma_f64 v[135:136], v[135:136], v[137:138], v[135:136]
	v_mul_f64 v[137:138], v[139:140], v[135:136]
	v_fma_f64 v[133:134], -v[133:134], v[137:138], v[139:140]
	v_div_fmas_f64 v[133:134], v[133:134], v[135:136], v[137:138]
	v_div_fixup_f64 v[133:134], v[133:134], v[120:121], v[118:119]
	v_fma_f64 v[118:119], v[118:119], v[133:134], v[120:121]
	v_div_scale_f64 v[120:121], null, v[118:119], v[118:119], 1.0
	v_rcp_f64_e32 v[135:136], v[120:121]
	v_fma_f64 v[137:138], -v[120:121], v[135:136], 1.0
	v_fma_f64 v[135:136], v[135:136], v[137:138], v[135:136]
	v_fma_f64 v[137:138], -v[120:121], v[135:136], 1.0
	v_fma_f64 v[135:136], v[135:136], v[137:138], v[135:136]
	v_div_scale_f64 v[137:138], vcc_lo, 1.0, v[118:119], 1.0
	v_mul_f64 v[139:140], v[137:138], v[135:136]
	v_fma_f64 v[120:121], -v[120:121], v[139:140], v[137:138]
	v_div_fmas_f64 v[120:121], v[120:121], v[135:136], v[139:140]
	v_div_fixup_f64 v[120:121], v[120:121], v[118:119], 1.0
	v_mul_f64 v[118:119], v[133:134], v[120:121]
	v_xor_b32_e32 v121, 0x80000000, v121
.LBB56_175:
	s_andn2_saveexec_b32 s1, s1
	s_cbranch_execz .LBB56_177
; %bb.176:
	v_div_scale_f64 v[133:134], null, v[118:119], v[118:119], v[120:121]
	v_div_scale_f64 v[139:140], vcc_lo, v[120:121], v[118:119], v[120:121]
	v_rcp_f64_e32 v[135:136], v[133:134]
	v_fma_f64 v[137:138], -v[133:134], v[135:136], 1.0
	v_fma_f64 v[135:136], v[135:136], v[137:138], v[135:136]
	v_fma_f64 v[137:138], -v[133:134], v[135:136], 1.0
	v_fma_f64 v[135:136], v[135:136], v[137:138], v[135:136]
	v_mul_f64 v[137:138], v[139:140], v[135:136]
	v_fma_f64 v[133:134], -v[133:134], v[137:138], v[139:140]
	v_div_fmas_f64 v[133:134], v[133:134], v[135:136], v[137:138]
	v_div_fixup_f64 v[133:134], v[133:134], v[118:119], v[120:121]
	v_fma_f64 v[118:119], v[120:121], v[133:134], v[118:119]
	v_div_scale_f64 v[120:121], null, v[118:119], v[118:119], 1.0
	v_rcp_f64_e32 v[135:136], v[120:121]
	v_fma_f64 v[137:138], -v[120:121], v[135:136], 1.0
	v_fma_f64 v[135:136], v[135:136], v[137:138], v[135:136]
	v_fma_f64 v[137:138], -v[120:121], v[135:136], 1.0
	v_fma_f64 v[135:136], v[135:136], v[137:138], v[135:136]
	v_div_scale_f64 v[137:138], vcc_lo, 1.0, v[118:119], 1.0
	v_mul_f64 v[139:140], v[137:138], v[135:136]
	v_fma_f64 v[120:121], -v[120:121], v[139:140], v[137:138]
	v_div_fmas_f64 v[120:121], v[120:121], v[135:136], v[139:140]
	v_div_fixup_f64 v[118:119], v[120:121], v[118:119], 1.0
	v_mul_f64 v[120:121], v[133:134], -v[118:119]
.LBB56_177:
	s_or_b32 exec_lo, exec_lo, s1
.LBB56_178:
	s_or_b32 exec_lo, exec_lo, s0
	s_mov_b32 s0, exec_lo
	v_cmpx_ne_u32_e64 v132, v126
	s_xor_b32 s0, exec_lo, s0
	s_cbranch_execz .LBB56_184
; %bb.179:
	s_mov_b32 s1, exec_lo
	v_cmpx_eq_u32_e32 8, v132
	s_cbranch_execz .LBB56_183
; %bb.180:
	v_cmp_ne_u32_e32 vcc_lo, 8, v126
	s_xor_b32 s2, s16, -1
	s_and_b32 s3, s2, vcc_lo
	s_and_saveexec_b32 s2, s3
	s_cbranch_execz .LBB56_182
; %bb.181:
	v_ashrrev_i32_e32 v127, 31, v126
	v_lshlrev_b64 v[132:133], 2, v[126:127]
	v_add_co_u32 v132, vcc_lo, v124, v132
	v_add_co_ci_u32_e64 v133, null, v125, v133, vcc_lo
	s_clause 0x1
	global_load_dword v0, v[132:133], off
	global_load_dword v127, v[124:125], off offset:32
	s_waitcnt vmcnt(1)
	global_store_dword v[124:125], v0, off offset:32
	s_waitcnt vmcnt(0)
	global_store_dword v[132:133], v127, off
.LBB56_182:
	s_or_b32 exec_lo, exec_lo, s2
	v_mov_b32_e32 v132, v126
	v_mov_b32_e32 v0, v126
.LBB56_183:
	s_or_b32 exec_lo, exec_lo, s1
.LBB56_184:
	s_andn2_saveexec_b32 s0, s0
	s_cbranch_execz .LBB56_186
; %bb.185:
	v_mov_b32_e32 v132, 8
	ds_write2_b64 v1, v[78:79], v[80:81] offset0:18 offset1:19
	ds_write2_b64 v1, v[74:75], v[76:77] offset0:20 offset1:21
	ds_write2_b64 v1, v[70:71], v[72:73] offset0:22 offset1:23
	ds_write2_b64 v1, v[66:67], v[68:69] offset0:24 offset1:25
	ds_write2_b64 v1, v[62:63], v[64:65] offset0:26 offset1:27
	ds_write2_b64 v1, v[58:59], v[60:61] offset0:28 offset1:29
	ds_write2_b64 v1, v[54:55], v[56:57] offset0:30 offset1:31
	ds_write2_b64 v1, v[50:51], v[52:53] offset0:32 offset1:33
	ds_write2_b64 v1, v[46:47], v[48:49] offset0:34 offset1:35
	ds_write2_b64 v1, v[42:43], v[44:45] offset0:36 offset1:37
	ds_write2_b64 v1, v[38:39], v[40:41] offset0:38 offset1:39
	ds_write2_b64 v1, v[34:35], v[36:37] offset0:40 offset1:41
	ds_write2_b64 v1, v[30:31], v[32:33] offset0:42 offset1:43
	ds_write2_b64 v1, v[26:27], v[28:29] offset0:44 offset1:45
	ds_write2_b64 v1, v[22:23], v[24:25] offset0:46 offset1:47
	ds_write2_b64 v1, v[18:19], v[20:21] offset0:48 offset1:49
	ds_write2_b64 v1, v[14:15], v[16:17] offset0:50 offset1:51
	ds_write2_b64 v1, v[10:11], v[12:13] offset0:52 offset1:53
	ds_write2_b64 v1, v[6:7], v[8:9] offset0:54 offset1:55
	ds_write2_b64 v1, v[2:3], v[4:5] offset0:56 offset1:57
.LBB56_186:
	s_or_b32 exec_lo, exec_lo, s0
	s_mov_b32 s0, exec_lo
	s_waitcnt lgkmcnt(0)
	s_waitcnt_vscnt null, 0x0
	s_barrier
	buffer_gl0_inv
	v_cmpx_lt_i32_e32 8, v132
	s_cbranch_execz .LBB56_188
; %bb.187:
	v_mul_f64 v[126:127], v[120:121], v[84:85]
	v_mul_f64 v[84:85], v[118:119], v[84:85]
	v_fma_f64 v[126:127], v[118:119], v[82:83], -v[126:127]
	v_fma_f64 v[84:85], v[120:121], v[82:83], v[84:85]
	ds_read2_b64 v[118:121], v1 offset0:18 offset1:19
	s_waitcnt lgkmcnt(0)
	v_mul_f64 v[82:83], v[120:121], v[84:85]
	v_fma_f64 v[82:83], v[118:119], v[126:127], -v[82:83]
	v_mul_f64 v[118:119], v[118:119], v[84:85]
	v_add_f64 v[78:79], v[78:79], -v[82:83]
	v_fma_f64 v[118:119], v[120:121], v[126:127], v[118:119]
	v_add_f64 v[80:81], v[80:81], -v[118:119]
	ds_read2_b64 v[118:121], v1 offset0:20 offset1:21
	s_waitcnt lgkmcnt(0)
	v_mul_f64 v[82:83], v[120:121], v[84:85]
	v_fma_f64 v[82:83], v[118:119], v[126:127], -v[82:83]
	v_mul_f64 v[118:119], v[118:119], v[84:85]
	v_add_f64 v[74:75], v[74:75], -v[82:83]
	v_fma_f64 v[118:119], v[120:121], v[126:127], v[118:119]
	v_add_f64 v[76:77], v[76:77], -v[118:119]
	;; [unrolled: 8-line block ×19, first 2 shown]
	ds_read2_b64 v[118:121], v1 offset0:56 offset1:57
	s_waitcnt lgkmcnt(0)
	v_mul_f64 v[82:83], v[120:121], v[84:85]
	v_fma_f64 v[82:83], v[118:119], v[126:127], -v[82:83]
	v_mul_f64 v[118:119], v[118:119], v[84:85]
	v_add_f64 v[2:3], v[2:3], -v[82:83]
	v_fma_f64 v[118:119], v[120:121], v[126:127], v[118:119]
	v_mov_b32_e32 v82, v126
	v_mov_b32_e32 v83, v127
	v_add_f64 v[4:5], v[4:5], -v[118:119]
.LBB56_188:
	s_or_b32 exec_lo, exec_lo, s0
	v_lshl_add_u32 v118, v132, 4, v1
	s_barrier
	buffer_gl0_inv
	v_mov_b32_e32 v126, 9
	ds_write2_b64 v118, v[78:79], v[80:81] offset1:1
	s_waitcnt lgkmcnt(0)
	s_barrier
	buffer_gl0_inv
	ds_read2_b64 v[118:121], v1 offset0:18 offset1:19
	s_cmp_lt_i32 s18, 11
	s_cbranch_scc1 .LBB56_191
; %bb.189:
	v_add3_u32 v127, v128, 0, 0xa0
	v_mov_b32_e32 v126, 9
	s_mov_b32 s1, 10
	s_inst_prefetch 0x1
	.p2align	6
.LBB56_190:                             ; =>This Inner Loop Header: Depth=1
	s_waitcnt lgkmcnt(0)
	v_cmp_gt_f64_e32 vcc_lo, 0, v[120:121]
	v_cmp_gt_f64_e64 s0, 0, v[118:119]
	ds_read2_b64 v[133:136], v127 offset1:1
	v_xor_b32_e32 v138, 0x80000000, v119
	v_xor_b32_e32 v140, 0x80000000, v121
	v_mov_b32_e32 v137, v118
	v_mov_b32_e32 v139, v120
	v_add_nc_u32_e32 v127, 16, v127
	s_waitcnt lgkmcnt(0)
	v_xor_b32_e32 v142, 0x80000000, v136
	v_cndmask_b32_e64 v138, v119, v138, s0
	v_cndmask_b32_e32 v140, v121, v140, vcc_lo
	v_cmp_gt_f64_e32 vcc_lo, 0, v[135:136]
	v_cmp_gt_f64_e64 s0, 0, v[133:134]
	v_mov_b32_e32 v141, v135
	v_add_f64 v[137:138], v[137:138], v[139:140]
	v_xor_b32_e32 v140, 0x80000000, v134
	v_mov_b32_e32 v139, v133
	v_cndmask_b32_e32 v142, v136, v142, vcc_lo
	v_cndmask_b32_e64 v140, v134, v140, s0
	v_add_f64 v[139:140], v[139:140], v[141:142]
	v_cmp_lt_f64_e32 vcc_lo, v[137:138], v[139:140]
	v_cndmask_b32_e32 v119, v119, v134, vcc_lo
	v_cndmask_b32_e32 v118, v118, v133, vcc_lo
	;; [unrolled: 1-line block ×4, first 2 shown]
	v_cndmask_b32_e64 v126, v126, s1, vcc_lo
	s_add_i32 s1, s1, 1
	s_cmp_lg_u32 s18, s1
	s_cbranch_scc1 .LBB56_190
.LBB56_191:
	s_inst_prefetch 0x2
	s_waitcnt lgkmcnt(0)
	v_cmp_eq_f64_e32 vcc_lo, 0, v[118:119]
	v_cmp_eq_f64_e64 s0, 0, v[120:121]
	s_and_b32 s0, vcc_lo, s0
	s_and_saveexec_b32 s1, s0
	s_xor_b32 s0, exec_lo, s1
; %bb.192:
	v_cmp_ne_u32_e32 vcc_lo, 0, v131
	v_cndmask_b32_e32 v131, 10, v131, vcc_lo
; %bb.193:
	s_andn2_saveexec_b32 s0, s0
	s_cbranch_execz .LBB56_199
; %bb.194:
	v_cmp_ngt_f64_e64 s1, |v[118:119]|, |v[120:121]|
	s_and_saveexec_b32 s2, s1
	s_xor_b32 s1, exec_lo, s2
	s_cbranch_execz .LBB56_196
; %bb.195:
	v_div_scale_f64 v[133:134], null, v[120:121], v[120:121], v[118:119]
	v_div_scale_f64 v[139:140], vcc_lo, v[118:119], v[120:121], v[118:119]
	v_rcp_f64_e32 v[135:136], v[133:134]
	v_fma_f64 v[137:138], -v[133:134], v[135:136], 1.0
	v_fma_f64 v[135:136], v[135:136], v[137:138], v[135:136]
	v_fma_f64 v[137:138], -v[133:134], v[135:136], 1.0
	v_fma_f64 v[135:136], v[135:136], v[137:138], v[135:136]
	v_mul_f64 v[137:138], v[139:140], v[135:136]
	v_fma_f64 v[133:134], -v[133:134], v[137:138], v[139:140]
	v_div_fmas_f64 v[133:134], v[133:134], v[135:136], v[137:138]
	v_div_fixup_f64 v[133:134], v[133:134], v[120:121], v[118:119]
	v_fma_f64 v[118:119], v[118:119], v[133:134], v[120:121]
	v_div_scale_f64 v[120:121], null, v[118:119], v[118:119], 1.0
	v_rcp_f64_e32 v[135:136], v[120:121]
	v_fma_f64 v[137:138], -v[120:121], v[135:136], 1.0
	v_fma_f64 v[135:136], v[135:136], v[137:138], v[135:136]
	v_fma_f64 v[137:138], -v[120:121], v[135:136], 1.0
	v_fma_f64 v[135:136], v[135:136], v[137:138], v[135:136]
	v_div_scale_f64 v[137:138], vcc_lo, 1.0, v[118:119], 1.0
	v_mul_f64 v[139:140], v[137:138], v[135:136]
	v_fma_f64 v[120:121], -v[120:121], v[139:140], v[137:138]
	v_div_fmas_f64 v[120:121], v[120:121], v[135:136], v[139:140]
	v_div_fixup_f64 v[120:121], v[120:121], v[118:119], 1.0
	v_mul_f64 v[118:119], v[133:134], v[120:121]
	v_xor_b32_e32 v121, 0x80000000, v121
.LBB56_196:
	s_andn2_saveexec_b32 s1, s1
	s_cbranch_execz .LBB56_198
; %bb.197:
	v_div_scale_f64 v[133:134], null, v[118:119], v[118:119], v[120:121]
	v_div_scale_f64 v[139:140], vcc_lo, v[120:121], v[118:119], v[120:121]
	v_rcp_f64_e32 v[135:136], v[133:134]
	v_fma_f64 v[137:138], -v[133:134], v[135:136], 1.0
	v_fma_f64 v[135:136], v[135:136], v[137:138], v[135:136]
	v_fma_f64 v[137:138], -v[133:134], v[135:136], 1.0
	v_fma_f64 v[135:136], v[135:136], v[137:138], v[135:136]
	v_mul_f64 v[137:138], v[139:140], v[135:136]
	v_fma_f64 v[133:134], -v[133:134], v[137:138], v[139:140]
	v_div_fmas_f64 v[133:134], v[133:134], v[135:136], v[137:138]
	v_div_fixup_f64 v[133:134], v[133:134], v[118:119], v[120:121]
	v_fma_f64 v[118:119], v[120:121], v[133:134], v[118:119]
	v_div_scale_f64 v[120:121], null, v[118:119], v[118:119], 1.0
	v_rcp_f64_e32 v[135:136], v[120:121]
	v_fma_f64 v[137:138], -v[120:121], v[135:136], 1.0
	v_fma_f64 v[135:136], v[135:136], v[137:138], v[135:136]
	v_fma_f64 v[137:138], -v[120:121], v[135:136], 1.0
	v_fma_f64 v[135:136], v[135:136], v[137:138], v[135:136]
	v_div_scale_f64 v[137:138], vcc_lo, 1.0, v[118:119], 1.0
	v_mul_f64 v[139:140], v[137:138], v[135:136]
	v_fma_f64 v[120:121], -v[120:121], v[139:140], v[137:138]
	v_div_fmas_f64 v[120:121], v[120:121], v[135:136], v[139:140]
	v_div_fixup_f64 v[118:119], v[120:121], v[118:119], 1.0
	v_mul_f64 v[120:121], v[133:134], -v[118:119]
.LBB56_198:
	s_or_b32 exec_lo, exec_lo, s1
.LBB56_199:
	s_or_b32 exec_lo, exec_lo, s0
	s_mov_b32 s0, exec_lo
	v_cmpx_ne_u32_e64 v132, v126
	s_xor_b32 s0, exec_lo, s0
	s_cbranch_execz .LBB56_205
; %bb.200:
	s_mov_b32 s1, exec_lo
	v_cmpx_eq_u32_e32 9, v132
	s_cbranch_execz .LBB56_204
; %bb.201:
	v_cmp_ne_u32_e32 vcc_lo, 9, v126
	s_xor_b32 s2, s16, -1
	s_and_b32 s3, s2, vcc_lo
	s_and_saveexec_b32 s2, s3
	s_cbranch_execz .LBB56_203
; %bb.202:
	v_ashrrev_i32_e32 v127, 31, v126
	v_lshlrev_b64 v[132:133], 2, v[126:127]
	v_add_co_u32 v132, vcc_lo, v124, v132
	v_add_co_ci_u32_e64 v133, null, v125, v133, vcc_lo
	s_clause 0x1
	global_load_dword v0, v[132:133], off
	global_load_dword v127, v[124:125], off offset:36
	s_waitcnt vmcnt(1)
	global_store_dword v[124:125], v0, off offset:36
	s_waitcnt vmcnt(0)
	global_store_dword v[132:133], v127, off
.LBB56_203:
	s_or_b32 exec_lo, exec_lo, s2
	v_mov_b32_e32 v132, v126
	v_mov_b32_e32 v0, v126
.LBB56_204:
	s_or_b32 exec_lo, exec_lo, s1
.LBB56_205:
	s_andn2_saveexec_b32 s0, s0
	s_cbranch_execz .LBB56_207
; %bb.206:
	v_mov_b32_e32 v132, 9
	ds_write2_b64 v1, v[74:75], v[76:77] offset0:20 offset1:21
	ds_write2_b64 v1, v[70:71], v[72:73] offset0:22 offset1:23
	;; [unrolled: 1-line block ×19, first 2 shown]
.LBB56_207:
	s_or_b32 exec_lo, exec_lo, s0
	s_mov_b32 s0, exec_lo
	s_waitcnt lgkmcnt(0)
	s_waitcnt_vscnt null, 0x0
	s_barrier
	buffer_gl0_inv
	v_cmpx_lt_i32_e32 9, v132
	s_cbranch_execz .LBB56_209
; %bb.208:
	v_mul_f64 v[126:127], v[120:121], v[80:81]
	v_mul_f64 v[80:81], v[118:119], v[80:81]
	v_fma_f64 v[126:127], v[118:119], v[78:79], -v[126:127]
	v_fma_f64 v[80:81], v[120:121], v[78:79], v[80:81]
	ds_read2_b64 v[118:121], v1 offset0:20 offset1:21
	s_waitcnt lgkmcnt(0)
	v_mul_f64 v[78:79], v[120:121], v[80:81]
	v_fma_f64 v[78:79], v[118:119], v[126:127], -v[78:79]
	v_mul_f64 v[118:119], v[118:119], v[80:81]
	v_add_f64 v[74:75], v[74:75], -v[78:79]
	v_fma_f64 v[118:119], v[120:121], v[126:127], v[118:119]
	v_add_f64 v[76:77], v[76:77], -v[118:119]
	ds_read2_b64 v[118:121], v1 offset0:22 offset1:23
	s_waitcnt lgkmcnt(0)
	v_mul_f64 v[78:79], v[120:121], v[80:81]
	v_fma_f64 v[78:79], v[118:119], v[126:127], -v[78:79]
	v_mul_f64 v[118:119], v[118:119], v[80:81]
	v_add_f64 v[70:71], v[70:71], -v[78:79]
	v_fma_f64 v[118:119], v[120:121], v[126:127], v[118:119]
	v_add_f64 v[72:73], v[72:73], -v[118:119]
	ds_read2_b64 v[118:121], v1 offset0:24 offset1:25
	s_waitcnt lgkmcnt(0)
	v_mul_f64 v[78:79], v[120:121], v[80:81]
	v_fma_f64 v[78:79], v[118:119], v[126:127], -v[78:79]
	v_mul_f64 v[118:119], v[118:119], v[80:81]
	v_add_f64 v[66:67], v[66:67], -v[78:79]
	v_fma_f64 v[118:119], v[120:121], v[126:127], v[118:119]
	v_add_f64 v[68:69], v[68:69], -v[118:119]
	ds_read2_b64 v[118:121], v1 offset0:26 offset1:27
	s_waitcnt lgkmcnt(0)
	v_mul_f64 v[78:79], v[120:121], v[80:81]
	v_fma_f64 v[78:79], v[118:119], v[126:127], -v[78:79]
	v_mul_f64 v[118:119], v[118:119], v[80:81]
	v_add_f64 v[62:63], v[62:63], -v[78:79]
	v_fma_f64 v[118:119], v[120:121], v[126:127], v[118:119]
	v_add_f64 v[64:65], v[64:65], -v[118:119]
	ds_read2_b64 v[118:121], v1 offset0:28 offset1:29
	s_waitcnt lgkmcnt(0)
	v_mul_f64 v[78:79], v[120:121], v[80:81]
	v_fma_f64 v[78:79], v[118:119], v[126:127], -v[78:79]
	v_mul_f64 v[118:119], v[118:119], v[80:81]
	v_add_f64 v[58:59], v[58:59], -v[78:79]
	v_fma_f64 v[118:119], v[120:121], v[126:127], v[118:119]
	v_add_f64 v[60:61], v[60:61], -v[118:119]
	ds_read2_b64 v[118:121], v1 offset0:30 offset1:31
	s_waitcnt lgkmcnt(0)
	v_mul_f64 v[78:79], v[120:121], v[80:81]
	v_fma_f64 v[78:79], v[118:119], v[126:127], -v[78:79]
	v_mul_f64 v[118:119], v[118:119], v[80:81]
	v_add_f64 v[54:55], v[54:55], -v[78:79]
	v_fma_f64 v[118:119], v[120:121], v[126:127], v[118:119]
	v_add_f64 v[56:57], v[56:57], -v[118:119]
	ds_read2_b64 v[118:121], v1 offset0:32 offset1:33
	s_waitcnt lgkmcnt(0)
	v_mul_f64 v[78:79], v[120:121], v[80:81]
	v_fma_f64 v[78:79], v[118:119], v[126:127], -v[78:79]
	v_mul_f64 v[118:119], v[118:119], v[80:81]
	v_add_f64 v[50:51], v[50:51], -v[78:79]
	v_fma_f64 v[118:119], v[120:121], v[126:127], v[118:119]
	v_add_f64 v[52:53], v[52:53], -v[118:119]
	ds_read2_b64 v[118:121], v1 offset0:34 offset1:35
	s_waitcnt lgkmcnt(0)
	v_mul_f64 v[78:79], v[120:121], v[80:81]
	v_fma_f64 v[78:79], v[118:119], v[126:127], -v[78:79]
	v_mul_f64 v[118:119], v[118:119], v[80:81]
	v_add_f64 v[46:47], v[46:47], -v[78:79]
	v_fma_f64 v[118:119], v[120:121], v[126:127], v[118:119]
	v_add_f64 v[48:49], v[48:49], -v[118:119]
	ds_read2_b64 v[118:121], v1 offset0:36 offset1:37
	s_waitcnt lgkmcnt(0)
	v_mul_f64 v[78:79], v[120:121], v[80:81]
	v_fma_f64 v[78:79], v[118:119], v[126:127], -v[78:79]
	v_mul_f64 v[118:119], v[118:119], v[80:81]
	v_add_f64 v[42:43], v[42:43], -v[78:79]
	v_fma_f64 v[118:119], v[120:121], v[126:127], v[118:119]
	v_add_f64 v[44:45], v[44:45], -v[118:119]
	ds_read2_b64 v[118:121], v1 offset0:38 offset1:39
	s_waitcnt lgkmcnt(0)
	v_mul_f64 v[78:79], v[120:121], v[80:81]
	v_fma_f64 v[78:79], v[118:119], v[126:127], -v[78:79]
	v_mul_f64 v[118:119], v[118:119], v[80:81]
	v_add_f64 v[38:39], v[38:39], -v[78:79]
	v_fma_f64 v[118:119], v[120:121], v[126:127], v[118:119]
	v_add_f64 v[40:41], v[40:41], -v[118:119]
	ds_read2_b64 v[118:121], v1 offset0:40 offset1:41
	s_waitcnt lgkmcnt(0)
	v_mul_f64 v[78:79], v[120:121], v[80:81]
	v_fma_f64 v[78:79], v[118:119], v[126:127], -v[78:79]
	v_mul_f64 v[118:119], v[118:119], v[80:81]
	v_add_f64 v[34:35], v[34:35], -v[78:79]
	v_fma_f64 v[118:119], v[120:121], v[126:127], v[118:119]
	v_add_f64 v[36:37], v[36:37], -v[118:119]
	ds_read2_b64 v[118:121], v1 offset0:42 offset1:43
	s_waitcnt lgkmcnt(0)
	v_mul_f64 v[78:79], v[120:121], v[80:81]
	v_fma_f64 v[78:79], v[118:119], v[126:127], -v[78:79]
	v_mul_f64 v[118:119], v[118:119], v[80:81]
	v_add_f64 v[30:31], v[30:31], -v[78:79]
	v_fma_f64 v[118:119], v[120:121], v[126:127], v[118:119]
	v_add_f64 v[32:33], v[32:33], -v[118:119]
	ds_read2_b64 v[118:121], v1 offset0:44 offset1:45
	s_waitcnt lgkmcnt(0)
	v_mul_f64 v[78:79], v[120:121], v[80:81]
	v_fma_f64 v[78:79], v[118:119], v[126:127], -v[78:79]
	v_mul_f64 v[118:119], v[118:119], v[80:81]
	v_add_f64 v[26:27], v[26:27], -v[78:79]
	v_fma_f64 v[118:119], v[120:121], v[126:127], v[118:119]
	v_add_f64 v[28:29], v[28:29], -v[118:119]
	ds_read2_b64 v[118:121], v1 offset0:46 offset1:47
	s_waitcnt lgkmcnt(0)
	v_mul_f64 v[78:79], v[120:121], v[80:81]
	v_fma_f64 v[78:79], v[118:119], v[126:127], -v[78:79]
	v_mul_f64 v[118:119], v[118:119], v[80:81]
	v_add_f64 v[22:23], v[22:23], -v[78:79]
	v_fma_f64 v[118:119], v[120:121], v[126:127], v[118:119]
	v_add_f64 v[24:25], v[24:25], -v[118:119]
	ds_read2_b64 v[118:121], v1 offset0:48 offset1:49
	s_waitcnt lgkmcnt(0)
	v_mul_f64 v[78:79], v[120:121], v[80:81]
	v_fma_f64 v[78:79], v[118:119], v[126:127], -v[78:79]
	v_mul_f64 v[118:119], v[118:119], v[80:81]
	v_add_f64 v[18:19], v[18:19], -v[78:79]
	v_fma_f64 v[118:119], v[120:121], v[126:127], v[118:119]
	v_add_f64 v[20:21], v[20:21], -v[118:119]
	ds_read2_b64 v[118:121], v1 offset0:50 offset1:51
	s_waitcnt lgkmcnt(0)
	v_mul_f64 v[78:79], v[120:121], v[80:81]
	v_fma_f64 v[78:79], v[118:119], v[126:127], -v[78:79]
	v_mul_f64 v[118:119], v[118:119], v[80:81]
	v_add_f64 v[14:15], v[14:15], -v[78:79]
	v_fma_f64 v[118:119], v[120:121], v[126:127], v[118:119]
	v_add_f64 v[16:17], v[16:17], -v[118:119]
	ds_read2_b64 v[118:121], v1 offset0:52 offset1:53
	s_waitcnt lgkmcnt(0)
	v_mul_f64 v[78:79], v[120:121], v[80:81]
	v_fma_f64 v[78:79], v[118:119], v[126:127], -v[78:79]
	v_mul_f64 v[118:119], v[118:119], v[80:81]
	v_add_f64 v[10:11], v[10:11], -v[78:79]
	v_fma_f64 v[118:119], v[120:121], v[126:127], v[118:119]
	v_add_f64 v[12:13], v[12:13], -v[118:119]
	ds_read2_b64 v[118:121], v1 offset0:54 offset1:55
	s_waitcnt lgkmcnt(0)
	v_mul_f64 v[78:79], v[120:121], v[80:81]
	v_fma_f64 v[78:79], v[118:119], v[126:127], -v[78:79]
	v_mul_f64 v[118:119], v[118:119], v[80:81]
	v_add_f64 v[6:7], v[6:7], -v[78:79]
	v_fma_f64 v[118:119], v[120:121], v[126:127], v[118:119]
	v_add_f64 v[8:9], v[8:9], -v[118:119]
	ds_read2_b64 v[118:121], v1 offset0:56 offset1:57
	s_waitcnt lgkmcnt(0)
	v_mul_f64 v[78:79], v[120:121], v[80:81]
	v_fma_f64 v[78:79], v[118:119], v[126:127], -v[78:79]
	v_mul_f64 v[118:119], v[118:119], v[80:81]
	v_add_f64 v[2:3], v[2:3], -v[78:79]
	v_fma_f64 v[118:119], v[120:121], v[126:127], v[118:119]
	v_mov_b32_e32 v78, v126
	v_mov_b32_e32 v79, v127
	v_add_f64 v[4:5], v[4:5], -v[118:119]
.LBB56_209:
	s_or_b32 exec_lo, exec_lo, s0
	v_lshl_add_u32 v118, v132, 4, v1
	s_barrier
	buffer_gl0_inv
	v_mov_b32_e32 v126, 10
	ds_write2_b64 v118, v[74:75], v[76:77] offset1:1
	s_waitcnt lgkmcnt(0)
	s_barrier
	buffer_gl0_inv
	ds_read2_b64 v[118:121], v1 offset0:20 offset1:21
	s_cmp_lt_i32 s18, 12
	s_cbranch_scc1 .LBB56_212
; %bb.210:
	v_add3_u32 v127, v128, 0, 0xb0
	v_mov_b32_e32 v126, 10
	s_mov_b32 s1, 11
	s_inst_prefetch 0x1
	.p2align	6
.LBB56_211:                             ; =>This Inner Loop Header: Depth=1
	s_waitcnt lgkmcnt(0)
	v_cmp_gt_f64_e32 vcc_lo, 0, v[120:121]
	v_cmp_gt_f64_e64 s0, 0, v[118:119]
	ds_read2_b64 v[133:136], v127 offset1:1
	v_xor_b32_e32 v138, 0x80000000, v119
	v_xor_b32_e32 v140, 0x80000000, v121
	v_mov_b32_e32 v137, v118
	v_mov_b32_e32 v139, v120
	v_add_nc_u32_e32 v127, 16, v127
	s_waitcnt lgkmcnt(0)
	v_xor_b32_e32 v142, 0x80000000, v136
	v_cndmask_b32_e64 v138, v119, v138, s0
	v_cndmask_b32_e32 v140, v121, v140, vcc_lo
	v_cmp_gt_f64_e32 vcc_lo, 0, v[135:136]
	v_cmp_gt_f64_e64 s0, 0, v[133:134]
	v_mov_b32_e32 v141, v135
	v_add_f64 v[137:138], v[137:138], v[139:140]
	v_xor_b32_e32 v140, 0x80000000, v134
	v_mov_b32_e32 v139, v133
	v_cndmask_b32_e32 v142, v136, v142, vcc_lo
	v_cndmask_b32_e64 v140, v134, v140, s0
	v_add_f64 v[139:140], v[139:140], v[141:142]
	v_cmp_lt_f64_e32 vcc_lo, v[137:138], v[139:140]
	v_cndmask_b32_e32 v119, v119, v134, vcc_lo
	v_cndmask_b32_e32 v118, v118, v133, vcc_lo
	;; [unrolled: 1-line block ×4, first 2 shown]
	v_cndmask_b32_e64 v126, v126, s1, vcc_lo
	s_add_i32 s1, s1, 1
	s_cmp_lg_u32 s18, s1
	s_cbranch_scc1 .LBB56_211
.LBB56_212:
	s_inst_prefetch 0x2
	s_waitcnt lgkmcnt(0)
	v_cmp_eq_f64_e32 vcc_lo, 0, v[118:119]
	v_cmp_eq_f64_e64 s0, 0, v[120:121]
	s_and_b32 s0, vcc_lo, s0
	s_and_saveexec_b32 s1, s0
	s_xor_b32 s0, exec_lo, s1
; %bb.213:
	v_cmp_ne_u32_e32 vcc_lo, 0, v131
	v_cndmask_b32_e32 v131, 11, v131, vcc_lo
; %bb.214:
	s_andn2_saveexec_b32 s0, s0
	s_cbranch_execz .LBB56_220
; %bb.215:
	v_cmp_ngt_f64_e64 s1, |v[118:119]|, |v[120:121]|
	s_and_saveexec_b32 s2, s1
	s_xor_b32 s1, exec_lo, s2
	s_cbranch_execz .LBB56_217
; %bb.216:
	v_div_scale_f64 v[133:134], null, v[120:121], v[120:121], v[118:119]
	v_div_scale_f64 v[139:140], vcc_lo, v[118:119], v[120:121], v[118:119]
	v_rcp_f64_e32 v[135:136], v[133:134]
	v_fma_f64 v[137:138], -v[133:134], v[135:136], 1.0
	v_fma_f64 v[135:136], v[135:136], v[137:138], v[135:136]
	v_fma_f64 v[137:138], -v[133:134], v[135:136], 1.0
	v_fma_f64 v[135:136], v[135:136], v[137:138], v[135:136]
	v_mul_f64 v[137:138], v[139:140], v[135:136]
	v_fma_f64 v[133:134], -v[133:134], v[137:138], v[139:140]
	v_div_fmas_f64 v[133:134], v[133:134], v[135:136], v[137:138]
	v_div_fixup_f64 v[133:134], v[133:134], v[120:121], v[118:119]
	v_fma_f64 v[118:119], v[118:119], v[133:134], v[120:121]
	v_div_scale_f64 v[120:121], null, v[118:119], v[118:119], 1.0
	v_rcp_f64_e32 v[135:136], v[120:121]
	v_fma_f64 v[137:138], -v[120:121], v[135:136], 1.0
	v_fma_f64 v[135:136], v[135:136], v[137:138], v[135:136]
	v_fma_f64 v[137:138], -v[120:121], v[135:136], 1.0
	v_fma_f64 v[135:136], v[135:136], v[137:138], v[135:136]
	v_div_scale_f64 v[137:138], vcc_lo, 1.0, v[118:119], 1.0
	v_mul_f64 v[139:140], v[137:138], v[135:136]
	v_fma_f64 v[120:121], -v[120:121], v[139:140], v[137:138]
	v_div_fmas_f64 v[120:121], v[120:121], v[135:136], v[139:140]
	v_div_fixup_f64 v[120:121], v[120:121], v[118:119], 1.0
	v_mul_f64 v[118:119], v[133:134], v[120:121]
	v_xor_b32_e32 v121, 0x80000000, v121
.LBB56_217:
	s_andn2_saveexec_b32 s1, s1
	s_cbranch_execz .LBB56_219
; %bb.218:
	v_div_scale_f64 v[133:134], null, v[118:119], v[118:119], v[120:121]
	v_div_scale_f64 v[139:140], vcc_lo, v[120:121], v[118:119], v[120:121]
	v_rcp_f64_e32 v[135:136], v[133:134]
	v_fma_f64 v[137:138], -v[133:134], v[135:136], 1.0
	v_fma_f64 v[135:136], v[135:136], v[137:138], v[135:136]
	v_fma_f64 v[137:138], -v[133:134], v[135:136], 1.0
	v_fma_f64 v[135:136], v[135:136], v[137:138], v[135:136]
	v_mul_f64 v[137:138], v[139:140], v[135:136]
	v_fma_f64 v[133:134], -v[133:134], v[137:138], v[139:140]
	v_div_fmas_f64 v[133:134], v[133:134], v[135:136], v[137:138]
	v_div_fixup_f64 v[133:134], v[133:134], v[118:119], v[120:121]
	v_fma_f64 v[118:119], v[120:121], v[133:134], v[118:119]
	v_div_scale_f64 v[120:121], null, v[118:119], v[118:119], 1.0
	v_rcp_f64_e32 v[135:136], v[120:121]
	v_fma_f64 v[137:138], -v[120:121], v[135:136], 1.0
	v_fma_f64 v[135:136], v[135:136], v[137:138], v[135:136]
	v_fma_f64 v[137:138], -v[120:121], v[135:136], 1.0
	v_fma_f64 v[135:136], v[135:136], v[137:138], v[135:136]
	v_div_scale_f64 v[137:138], vcc_lo, 1.0, v[118:119], 1.0
	v_mul_f64 v[139:140], v[137:138], v[135:136]
	v_fma_f64 v[120:121], -v[120:121], v[139:140], v[137:138]
	v_div_fmas_f64 v[120:121], v[120:121], v[135:136], v[139:140]
	v_div_fixup_f64 v[118:119], v[120:121], v[118:119], 1.0
	v_mul_f64 v[120:121], v[133:134], -v[118:119]
.LBB56_219:
	s_or_b32 exec_lo, exec_lo, s1
.LBB56_220:
	s_or_b32 exec_lo, exec_lo, s0
	s_mov_b32 s0, exec_lo
	v_cmpx_ne_u32_e64 v132, v126
	s_xor_b32 s0, exec_lo, s0
	s_cbranch_execz .LBB56_226
; %bb.221:
	s_mov_b32 s1, exec_lo
	v_cmpx_eq_u32_e32 10, v132
	s_cbranch_execz .LBB56_225
; %bb.222:
	v_cmp_ne_u32_e32 vcc_lo, 10, v126
	s_xor_b32 s2, s16, -1
	s_and_b32 s3, s2, vcc_lo
	s_and_saveexec_b32 s2, s3
	s_cbranch_execz .LBB56_224
; %bb.223:
	v_ashrrev_i32_e32 v127, 31, v126
	v_lshlrev_b64 v[132:133], 2, v[126:127]
	v_add_co_u32 v132, vcc_lo, v124, v132
	v_add_co_ci_u32_e64 v133, null, v125, v133, vcc_lo
	s_clause 0x1
	global_load_dword v0, v[132:133], off
	global_load_dword v127, v[124:125], off offset:40
	s_waitcnt vmcnt(1)
	global_store_dword v[124:125], v0, off offset:40
	s_waitcnt vmcnt(0)
	global_store_dword v[132:133], v127, off
.LBB56_224:
	s_or_b32 exec_lo, exec_lo, s2
	v_mov_b32_e32 v132, v126
	v_mov_b32_e32 v0, v126
.LBB56_225:
	s_or_b32 exec_lo, exec_lo, s1
.LBB56_226:
	s_andn2_saveexec_b32 s0, s0
	s_cbranch_execz .LBB56_228
; %bb.227:
	v_mov_b32_e32 v132, 10
	ds_write2_b64 v1, v[70:71], v[72:73] offset0:22 offset1:23
	ds_write2_b64 v1, v[66:67], v[68:69] offset0:24 offset1:25
	;; [unrolled: 1-line block ×18, first 2 shown]
.LBB56_228:
	s_or_b32 exec_lo, exec_lo, s0
	s_mov_b32 s0, exec_lo
	s_waitcnt lgkmcnt(0)
	s_waitcnt_vscnt null, 0x0
	s_barrier
	buffer_gl0_inv
	v_cmpx_lt_i32_e32 10, v132
	s_cbranch_execz .LBB56_230
; %bb.229:
	v_mul_f64 v[126:127], v[120:121], v[76:77]
	v_mul_f64 v[76:77], v[118:119], v[76:77]
	v_fma_f64 v[126:127], v[118:119], v[74:75], -v[126:127]
	v_fma_f64 v[76:77], v[120:121], v[74:75], v[76:77]
	ds_read2_b64 v[118:121], v1 offset0:22 offset1:23
	s_waitcnt lgkmcnt(0)
	v_mul_f64 v[74:75], v[120:121], v[76:77]
	v_fma_f64 v[74:75], v[118:119], v[126:127], -v[74:75]
	v_mul_f64 v[118:119], v[118:119], v[76:77]
	v_add_f64 v[70:71], v[70:71], -v[74:75]
	v_fma_f64 v[118:119], v[120:121], v[126:127], v[118:119]
	v_add_f64 v[72:73], v[72:73], -v[118:119]
	ds_read2_b64 v[118:121], v1 offset0:24 offset1:25
	s_waitcnt lgkmcnt(0)
	v_mul_f64 v[74:75], v[120:121], v[76:77]
	v_fma_f64 v[74:75], v[118:119], v[126:127], -v[74:75]
	v_mul_f64 v[118:119], v[118:119], v[76:77]
	v_add_f64 v[66:67], v[66:67], -v[74:75]
	v_fma_f64 v[118:119], v[120:121], v[126:127], v[118:119]
	v_add_f64 v[68:69], v[68:69], -v[118:119]
	ds_read2_b64 v[118:121], v1 offset0:26 offset1:27
	s_waitcnt lgkmcnt(0)
	v_mul_f64 v[74:75], v[120:121], v[76:77]
	v_fma_f64 v[74:75], v[118:119], v[126:127], -v[74:75]
	v_mul_f64 v[118:119], v[118:119], v[76:77]
	v_add_f64 v[62:63], v[62:63], -v[74:75]
	v_fma_f64 v[118:119], v[120:121], v[126:127], v[118:119]
	v_add_f64 v[64:65], v[64:65], -v[118:119]
	ds_read2_b64 v[118:121], v1 offset0:28 offset1:29
	s_waitcnt lgkmcnt(0)
	v_mul_f64 v[74:75], v[120:121], v[76:77]
	v_fma_f64 v[74:75], v[118:119], v[126:127], -v[74:75]
	v_mul_f64 v[118:119], v[118:119], v[76:77]
	v_add_f64 v[58:59], v[58:59], -v[74:75]
	v_fma_f64 v[118:119], v[120:121], v[126:127], v[118:119]
	v_add_f64 v[60:61], v[60:61], -v[118:119]
	ds_read2_b64 v[118:121], v1 offset0:30 offset1:31
	s_waitcnt lgkmcnt(0)
	v_mul_f64 v[74:75], v[120:121], v[76:77]
	v_fma_f64 v[74:75], v[118:119], v[126:127], -v[74:75]
	v_mul_f64 v[118:119], v[118:119], v[76:77]
	v_add_f64 v[54:55], v[54:55], -v[74:75]
	v_fma_f64 v[118:119], v[120:121], v[126:127], v[118:119]
	v_add_f64 v[56:57], v[56:57], -v[118:119]
	ds_read2_b64 v[118:121], v1 offset0:32 offset1:33
	s_waitcnt lgkmcnt(0)
	v_mul_f64 v[74:75], v[120:121], v[76:77]
	v_fma_f64 v[74:75], v[118:119], v[126:127], -v[74:75]
	v_mul_f64 v[118:119], v[118:119], v[76:77]
	v_add_f64 v[50:51], v[50:51], -v[74:75]
	v_fma_f64 v[118:119], v[120:121], v[126:127], v[118:119]
	v_add_f64 v[52:53], v[52:53], -v[118:119]
	ds_read2_b64 v[118:121], v1 offset0:34 offset1:35
	s_waitcnt lgkmcnt(0)
	v_mul_f64 v[74:75], v[120:121], v[76:77]
	v_fma_f64 v[74:75], v[118:119], v[126:127], -v[74:75]
	v_mul_f64 v[118:119], v[118:119], v[76:77]
	v_add_f64 v[46:47], v[46:47], -v[74:75]
	v_fma_f64 v[118:119], v[120:121], v[126:127], v[118:119]
	v_add_f64 v[48:49], v[48:49], -v[118:119]
	ds_read2_b64 v[118:121], v1 offset0:36 offset1:37
	s_waitcnt lgkmcnt(0)
	v_mul_f64 v[74:75], v[120:121], v[76:77]
	v_fma_f64 v[74:75], v[118:119], v[126:127], -v[74:75]
	v_mul_f64 v[118:119], v[118:119], v[76:77]
	v_add_f64 v[42:43], v[42:43], -v[74:75]
	v_fma_f64 v[118:119], v[120:121], v[126:127], v[118:119]
	v_add_f64 v[44:45], v[44:45], -v[118:119]
	ds_read2_b64 v[118:121], v1 offset0:38 offset1:39
	s_waitcnt lgkmcnt(0)
	v_mul_f64 v[74:75], v[120:121], v[76:77]
	v_fma_f64 v[74:75], v[118:119], v[126:127], -v[74:75]
	v_mul_f64 v[118:119], v[118:119], v[76:77]
	v_add_f64 v[38:39], v[38:39], -v[74:75]
	v_fma_f64 v[118:119], v[120:121], v[126:127], v[118:119]
	v_add_f64 v[40:41], v[40:41], -v[118:119]
	ds_read2_b64 v[118:121], v1 offset0:40 offset1:41
	s_waitcnt lgkmcnt(0)
	v_mul_f64 v[74:75], v[120:121], v[76:77]
	v_fma_f64 v[74:75], v[118:119], v[126:127], -v[74:75]
	v_mul_f64 v[118:119], v[118:119], v[76:77]
	v_add_f64 v[34:35], v[34:35], -v[74:75]
	v_fma_f64 v[118:119], v[120:121], v[126:127], v[118:119]
	v_add_f64 v[36:37], v[36:37], -v[118:119]
	ds_read2_b64 v[118:121], v1 offset0:42 offset1:43
	s_waitcnt lgkmcnt(0)
	v_mul_f64 v[74:75], v[120:121], v[76:77]
	v_fma_f64 v[74:75], v[118:119], v[126:127], -v[74:75]
	v_mul_f64 v[118:119], v[118:119], v[76:77]
	v_add_f64 v[30:31], v[30:31], -v[74:75]
	v_fma_f64 v[118:119], v[120:121], v[126:127], v[118:119]
	v_add_f64 v[32:33], v[32:33], -v[118:119]
	ds_read2_b64 v[118:121], v1 offset0:44 offset1:45
	s_waitcnt lgkmcnt(0)
	v_mul_f64 v[74:75], v[120:121], v[76:77]
	v_fma_f64 v[74:75], v[118:119], v[126:127], -v[74:75]
	v_mul_f64 v[118:119], v[118:119], v[76:77]
	v_add_f64 v[26:27], v[26:27], -v[74:75]
	v_fma_f64 v[118:119], v[120:121], v[126:127], v[118:119]
	v_add_f64 v[28:29], v[28:29], -v[118:119]
	ds_read2_b64 v[118:121], v1 offset0:46 offset1:47
	s_waitcnt lgkmcnt(0)
	v_mul_f64 v[74:75], v[120:121], v[76:77]
	v_fma_f64 v[74:75], v[118:119], v[126:127], -v[74:75]
	v_mul_f64 v[118:119], v[118:119], v[76:77]
	v_add_f64 v[22:23], v[22:23], -v[74:75]
	v_fma_f64 v[118:119], v[120:121], v[126:127], v[118:119]
	v_add_f64 v[24:25], v[24:25], -v[118:119]
	ds_read2_b64 v[118:121], v1 offset0:48 offset1:49
	s_waitcnt lgkmcnt(0)
	v_mul_f64 v[74:75], v[120:121], v[76:77]
	v_fma_f64 v[74:75], v[118:119], v[126:127], -v[74:75]
	v_mul_f64 v[118:119], v[118:119], v[76:77]
	v_add_f64 v[18:19], v[18:19], -v[74:75]
	v_fma_f64 v[118:119], v[120:121], v[126:127], v[118:119]
	v_add_f64 v[20:21], v[20:21], -v[118:119]
	ds_read2_b64 v[118:121], v1 offset0:50 offset1:51
	s_waitcnt lgkmcnt(0)
	v_mul_f64 v[74:75], v[120:121], v[76:77]
	v_fma_f64 v[74:75], v[118:119], v[126:127], -v[74:75]
	v_mul_f64 v[118:119], v[118:119], v[76:77]
	v_add_f64 v[14:15], v[14:15], -v[74:75]
	v_fma_f64 v[118:119], v[120:121], v[126:127], v[118:119]
	v_add_f64 v[16:17], v[16:17], -v[118:119]
	ds_read2_b64 v[118:121], v1 offset0:52 offset1:53
	s_waitcnt lgkmcnt(0)
	v_mul_f64 v[74:75], v[120:121], v[76:77]
	v_fma_f64 v[74:75], v[118:119], v[126:127], -v[74:75]
	v_mul_f64 v[118:119], v[118:119], v[76:77]
	v_add_f64 v[10:11], v[10:11], -v[74:75]
	v_fma_f64 v[118:119], v[120:121], v[126:127], v[118:119]
	v_add_f64 v[12:13], v[12:13], -v[118:119]
	ds_read2_b64 v[118:121], v1 offset0:54 offset1:55
	s_waitcnt lgkmcnt(0)
	v_mul_f64 v[74:75], v[120:121], v[76:77]
	v_fma_f64 v[74:75], v[118:119], v[126:127], -v[74:75]
	v_mul_f64 v[118:119], v[118:119], v[76:77]
	v_add_f64 v[6:7], v[6:7], -v[74:75]
	v_fma_f64 v[118:119], v[120:121], v[126:127], v[118:119]
	v_add_f64 v[8:9], v[8:9], -v[118:119]
	ds_read2_b64 v[118:121], v1 offset0:56 offset1:57
	s_waitcnt lgkmcnt(0)
	v_mul_f64 v[74:75], v[120:121], v[76:77]
	v_fma_f64 v[74:75], v[118:119], v[126:127], -v[74:75]
	v_mul_f64 v[118:119], v[118:119], v[76:77]
	v_add_f64 v[2:3], v[2:3], -v[74:75]
	v_fma_f64 v[118:119], v[120:121], v[126:127], v[118:119]
	v_mov_b32_e32 v74, v126
	v_mov_b32_e32 v75, v127
	v_add_f64 v[4:5], v[4:5], -v[118:119]
.LBB56_230:
	s_or_b32 exec_lo, exec_lo, s0
	v_lshl_add_u32 v118, v132, 4, v1
	s_barrier
	buffer_gl0_inv
	v_mov_b32_e32 v126, 11
	ds_write2_b64 v118, v[70:71], v[72:73] offset1:1
	s_waitcnt lgkmcnt(0)
	s_barrier
	buffer_gl0_inv
	ds_read2_b64 v[118:121], v1 offset0:22 offset1:23
	s_cmp_lt_i32 s18, 13
	s_cbranch_scc1 .LBB56_233
; %bb.231:
	v_add3_u32 v127, v128, 0, 0xc0
	v_mov_b32_e32 v126, 11
	s_mov_b32 s1, 12
	s_inst_prefetch 0x1
	.p2align	6
.LBB56_232:                             ; =>This Inner Loop Header: Depth=1
	s_waitcnt lgkmcnt(0)
	v_cmp_gt_f64_e32 vcc_lo, 0, v[120:121]
	v_cmp_gt_f64_e64 s0, 0, v[118:119]
	ds_read2_b64 v[133:136], v127 offset1:1
	v_xor_b32_e32 v138, 0x80000000, v119
	v_xor_b32_e32 v140, 0x80000000, v121
	v_mov_b32_e32 v137, v118
	v_mov_b32_e32 v139, v120
	v_add_nc_u32_e32 v127, 16, v127
	s_waitcnt lgkmcnt(0)
	v_xor_b32_e32 v142, 0x80000000, v136
	v_cndmask_b32_e64 v138, v119, v138, s0
	v_cndmask_b32_e32 v140, v121, v140, vcc_lo
	v_cmp_gt_f64_e32 vcc_lo, 0, v[135:136]
	v_cmp_gt_f64_e64 s0, 0, v[133:134]
	v_mov_b32_e32 v141, v135
	v_add_f64 v[137:138], v[137:138], v[139:140]
	v_xor_b32_e32 v140, 0x80000000, v134
	v_mov_b32_e32 v139, v133
	v_cndmask_b32_e32 v142, v136, v142, vcc_lo
	v_cndmask_b32_e64 v140, v134, v140, s0
	v_add_f64 v[139:140], v[139:140], v[141:142]
	v_cmp_lt_f64_e32 vcc_lo, v[137:138], v[139:140]
	v_cndmask_b32_e32 v119, v119, v134, vcc_lo
	v_cndmask_b32_e32 v118, v118, v133, vcc_lo
	;; [unrolled: 1-line block ×4, first 2 shown]
	v_cndmask_b32_e64 v126, v126, s1, vcc_lo
	s_add_i32 s1, s1, 1
	s_cmp_lg_u32 s18, s1
	s_cbranch_scc1 .LBB56_232
.LBB56_233:
	s_inst_prefetch 0x2
	s_waitcnt lgkmcnt(0)
	v_cmp_eq_f64_e32 vcc_lo, 0, v[118:119]
	v_cmp_eq_f64_e64 s0, 0, v[120:121]
	s_and_b32 s0, vcc_lo, s0
	s_and_saveexec_b32 s1, s0
	s_xor_b32 s0, exec_lo, s1
; %bb.234:
	v_cmp_ne_u32_e32 vcc_lo, 0, v131
	v_cndmask_b32_e32 v131, 12, v131, vcc_lo
; %bb.235:
	s_andn2_saveexec_b32 s0, s0
	s_cbranch_execz .LBB56_241
; %bb.236:
	v_cmp_ngt_f64_e64 s1, |v[118:119]|, |v[120:121]|
	s_and_saveexec_b32 s2, s1
	s_xor_b32 s1, exec_lo, s2
	s_cbranch_execz .LBB56_238
; %bb.237:
	v_div_scale_f64 v[133:134], null, v[120:121], v[120:121], v[118:119]
	v_div_scale_f64 v[139:140], vcc_lo, v[118:119], v[120:121], v[118:119]
	v_rcp_f64_e32 v[135:136], v[133:134]
	v_fma_f64 v[137:138], -v[133:134], v[135:136], 1.0
	v_fma_f64 v[135:136], v[135:136], v[137:138], v[135:136]
	v_fma_f64 v[137:138], -v[133:134], v[135:136], 1.0
	v_fma_f64 v[135:136], v[135:136], v[137:138], v[135:136]
	v_mul_f64 v[137:138], v[139:140], v[135:136]
	v_fma_f64 v[133:134], -v[133:134], v[137:138], v[139:140]
	v_div_fmas_f64 v[133:134], v[133:134], v[135:136], v[137:138]
	v_div_fixup_f64 v[133:134], v[133:134], v[120:121], v[118:119]
	v_fma_f64 v[118:119], v[118:119], v[133:134], v[120:121]
	v_div_scale_f64 v[120:121], null, v[118:119], v[118:119], 1.0
	v_rcp_f64_e32 v[135:136], v[120:121]
	v_fma_f64 v[137:138], -v[120:121], v[135:136], 1.0
	v_fma_f64 v[135:136], v[135:136], v[137:138], v[135:136]
	v_fma_f64 v[137:138], -v[120:121], v[135:136], 1.0
	v_fma_f64 v[135:136], v[135:136], v[137:138], v[135:136]
	v_div_scale_f64 v[137:138], vcc_lo, 1.0, v[118:119], 1.0
	v_mul_f64 v[139:140], v[137:138], v[135:136]
	v_fma_f64 v[120:121], -v[120:121], v[139:140], v[137:138]
	v_div_fmas_f64 v[120:121], v[120:121], v[135:136], v[139:140]
	v_div_fixup_f64 v[120:121], v[120:121], v[118:119], 1.0
	v_mul_f64 v[118:119], v[133:134], v[120:121]
	v_xor_b32_e32 v121, 0x80000000, v121
.LBB56_238:
	s_andn2_saveexec_b32 s1, s1
	s_cbranch_execz .LBB56_240
; %bb.239:
	v_div_scale_f64 v[133:134], null, v[118:119], v[118:119], v[120:121]
	v_div_scale_f64 v[139:140], vcc_lo, v[120:121], v[118:119], v[120:121]
	v_rcp_f64_e32 v[135:136], v[133:134]
	v_fma_f64 v[137:138], -v[133:134], v[135:136], 1.0
	v_fma_f64 v[135:136], v[135:136], v[137:138], v[135:136]
	v_fma_f64 v[137:138], -v[133:134], v[135:136], 1.0
	v_fma_f64 v[135:136], v[135:136], v[137:138], v[135:136]
	v_mul_f64 v[137:138], v[139:140], v[135:136]
	v_fma_f64 v[133:134], -v[133:134], v[137:138], v[139:140]
	v_div_fmas_f64 v[133:134], v[133:134], v[135:136], v[137:138]
	v_div_fixup_f64 v[133:134], v[133:134], v[118:119], v[120:121]
	v_fma_f64 v[118:119], v[120:121], v[133:134], v[118:119]
	v_div_scale_f64 v[120:121], null, v[118:119], v[118:119], 1.0
	v_rcp_f64_e32 v[135:136], v[120:121]
	v_fma_f64 v[137:138], -v[120:121], v[135:136], 1.0
	v_fma_f64 v[135:136], v[135:136], v[137:138], v[135:136]
	v_fma_f64 v[137:138], -v[120:121], v[135:136], 1.0
	v_fma_f64 v[135:136], v[135:136], v[137:138], v[135:136]
	v_div_scale_f64 v[137:138], vcc_lo, 1.0, v[118:119], 1.0
	v_mul_f64 v[139:140], v[137:138], v[135:136]
	v_fma_f64 v[120:121], -v[120:121], v[139:140], v[137:138]
	v_div_fmas_f64 v[120:121], v[120:121], v[135:136], v[139:140]
	v_div_fixup_f64 v[118:119], v[120:121], v[118:119], 1.0
	v_mul_f64 v[120:121], v[133:134], -v[118:119]
.LBB56_240:
	s_or_b32 exec_lo, exec_lo, s1
.LBB56_241:
	s_or_b32 exec_lo, exec_lo, s0
	s_mov_b32 s0, exec_lo
	v_cmpx_ne_u32_e64 v132, v126
	s_xor_b32 s0, exec_lo, s0
	s_cbranch_execz .LBB56_247
; %bb.242:
	s_mov_b32 s1, exec_lo
	v_cmpx_eq_u32_e32 11, v132
	s_cbranch_execz .LBB56_246
; %bb.243:
	v_cmp_ne_u32_e32 vcc_lo, 11, v126
	s_xor_b32 s2, s16, -1
	s_and_b32 s3, s2, vcc_lo
	s_and_saveexec_b32 s2, s3
	s_cbranch_execz .LBB56_245
; %bb.244:
	v_ashrrev_i32_e32 v127, 31, v126
	v_lshlrev_b64 v[132:133], 2, v[126:127]
	v_add_co_u32 v132, vcc_lo, v124, v132
	v_add_co_ci_u32_e64 v133, null, v125, v133, vcc_lo
	s_clause 0x1
	global_load_dword v0, v[132:133], off
	global_load_dword v127, v[124:125], off offset:44
	s_waitcnt vmcnt(1)
	global_store_dword v[124:125], v0, off offset:44
	s_waitcnt vmcnt(0)
	global_store_dword v[132:133], v127, off
.LBB56_245:
	s_or_b32 exec_lo, exec_lo, s2
	v_mov_b32_e32 v132, v126
	v_mov_b32_e32 v0, v126
.LBB56_246:
	s_or_b32 exec_lo, exec_lo, s1
.LBB56_247:
	s_andn2_saveexec_b32 s0, s0
	s_cbranch_execz .LBB56_249
; %bb.248:
	v_mov_b32_e32 v132, 11
	ds_write2_b64 v1, v[66:67], v[68:69] offset0:24 offset1:25
	ds_write2_b64 v1, v[62:63], v[64:65] offset0:26 offset1:27
	;; [unrolled: 1-line block ×17, first 2 shown]
.LBB56_249:
	s_or_b32 exec_lo, exec_lo, s0
	s_mov_b32 s0, exec_lo
	s_waitcnt lgkmcnt(0)
	s_waitcnt_vscnt null, 0x0
	s_barrier
	buffer_gl0_inv
	v_cmpx_lt_i32_e32 11, v132
	s_cbranch_execz .LBB56_251
; %bb.250:
	v_mul_f64 v[126:127], v[120:121], v[72:73]
	v_mul_f64 v[72:73], v[118:119], v[72:73]
	v_fma_f64 v[126:127], v[118:119], v[70:71], -v[126:127]
	v_fma_f64 v[72:73], v[120:121], v[70:71], v[72:73]
	ds_read2_b64 v[118:121], v1 offset0:24 offset1:25
	s_waitcnt lgkmcnt(0)
	v_mul_f64 v[70:71], v[120:121], v[72:73]
	v_fma_f64 v[70:71], v[118:119], v[126:127], -v[70:71]
	v_mul_f64 v[118:119], v[118:119], v[72:73]
	v_add_f64 v[66:67], v[66:67], -v[70:71]
	v_fma_f64 v[118:119], v[120:121], v[126:127], v[118:119]
	v_add_f64 v[68:69], v[68:69], -v[118:119]
	ds_read2_b64 v[118:121], v1 offset0:26 offset1:27
	s_waitcnt lgkmcnt(0)
	v_mul_f64 v[70:71], v[120:121], v[72:73]
	v_fma_f64 v[70:71], v[118:119], v[126:127], -v[70:71]
	v_mul_f64 v[118:119], v[118:119], v[72:73]
	v_add_f64 v[62:63], v[62:63], -v[70:71]
	v_fma_f64 v[118:119], v[120:121], v[126:127], v[118:119]
	v_add_f64 v[64:65], v[64:65], -v[118:119]
	;; [unrolled: 8-line block ×16, first 2 shown]
	ds_read2_b64 v[118:121], v1 offset0:56 offset1:57
	s_waitcnt lgkmcnt(0)
	v_mul_f64 v[70:71], v[120:121], v[72:73]
	v_fma_f64 v[70:71], v[118:119], v[126:127], -v[70:71]
	v_mul_f64 v[118:119], v[118:119], v[72:73]
	v_add_f64 v[2:3], v[2:3], -v[70:71]
	v_fma_f64 v[118:119], v[120:121], v[126:127], v[118:119]
	v_mov_b32_e32 v70, v126
	v_mov_b32_e32 v71, v127
	v_add_f64 v[4:5], v[4:5], -v[118:119]
.LBB56_251:
	s_or_b32 exec_lo, exec_lo, s0
	v_lshl_add_u32 v118, v132, 4, v1
	s_barrier
	buffer_gl0_inv
	v_mov_b32_e32 v126, 12
	ds_write2_b64 v118, v[66:67], v[68:69] offset1:1
	s_waitcnt lgkmcnt(0)
	s_barrier
	buffer_gl0_inv
	ds_read2_b64 v[118:121], v1 offset0:24 offset1:25
	s_cmp_lt_i32 s18, 14
	s_cbranch_scc1 .LBB56_254
; %bb.252:
	v_add3_u32 v127, v128, 0, 0xd0
	v_mov_b32_e32 v126, 12
	s_mov_b32 s1, 13
	s_inst_prefetch 0x1
	.p2align	6
.LBB56_253:                             ; =>This Inner Loop Header: Depth=1
	s_waitcnt lgkmcnt(0)
	v_cmp_gt_f64_e32 vcc_lo, 0, v[120:121]
	v_cmp_gt_f64_e64 s0, 0, v[118:119]
	ds_read2_b64 v[133:136], v127 offset1:1
	v_xor_b32_e32 v138, 0x80000000, v119
	v_xor_b32_e32 v140, 0x80000000, v121
	v_mov_b32_e32 v137, v118
	v_mov_b32_e32 v139, v120
	v_add_nc_u32_e32 v127, 16, v127
	s_waitcnt lgkmcnt(0)
	v_xor_b32_e32 v142, 0x80000000, v136
	v_cndmask_b32_e64 v138, v119, v138, s0
	v_cndmask_b32_e32 v140, v121, v140, vcc_lo
	v_cmp_gt_f64_e32 vcc_lo, 0, v[135:136]
	v_cmp_gt_f64_e64 s0, 0, v[133:134]
	v_mov_b32_e32 v141, v135
	v_add_f64 v[137:138], v[137:138], v[139:140]
	v_xor_b32_e32 v140, 0x80000000, v134
	v_mov_b32_e32 v139, v133
	v_cndmask_b32_e32 v142, v136, v142, vcc_lo
	v_cndmask_b32_e64 v140, v134, v140, s0
	v_add_f64 v[139:140], v[139:140], v[141:142]
	v_cmp_lt_f64_e32 vcc_lo, v[137:138], v[139:140]
	v_cndmask_b32_e32 v119, v119, v134, vcc_lo
	v_cndmask_b32_e32 v118, v118, v133, vcc_lo
	;; [unrolled: 1-line block ×4, first 2 shown]
	v_cndmask_b32_e64 v126, v126, s1, vcc_lo
	s_add_i32 s1, s1, 1
	s_cmp_lg_u32 s18, s1
	s_cbranch_scc1 .LBB56_253
.LBB56_254:
	s_inst_prefetch 0x2
	s_waitcnt lgkmcnt(0)
	v_cmp_eq_f64_e32 vcc_lo, 0, v[118:119]
	v_cmp_eq_f64_e64 s0, 0, v[120:121]
	s_and_b32 s0, vcc_lo, s0
	s_and_saveexec_b32 s1, s0
	s_xor_b32 s0, exec_lo, s1
; %bb.255:
	v_cmp_ne_u32_e32 vcc_lo, 0, v131
	v_cndmask_b32_e32 v131, 13, v131, vcc_lo
; %bb.256:
	s_andn2_saveexec_b32 s0, s0
	s_cbranch_execz .LBB56_262
; %bb.257:
	v_cmp_ngt_f64_e64 s1, |v[118:119]|, |v[120:121]|
	s_and_saveexec_b32 s2, s1
	s_xor_b32 s1, exec_lo, s2
	s_cbranch_execz .LBB56_259
; %bb.258:
	v_div_scale_f64 v[133:134], null, v[120:121], v[120:121], v[118:119]
	v_div_scale_f64 v[139:140], vcc_lo, v[118:119], v[120:121], v[118:119]
	v_rcp_f64_e32 v[135:136], v[133:134]
	v_fma_f64 v[137:138], -v[133:134], v[135:136], 1.0
	v_fma_f64 v[135:136], v[135:136], v[137:138], v[135:136]
	v_fma_f64 v[137:138], -v[133:134], v[135:136], 1.0
	v_fma_f64 v[135:136], v[135:136], v[137:138], v[135:136]
	v_mul_f64 v[137:138], v[139:140], v[135:136]
	v_fma_f64 v[133:134], -v[133:134], v[137:138], v[139:140]
	v_div_fmas_f64 v[133:134], v[133:134], v[135:136], v[137:138]
	v_div_fixup_f64 v[133:134], v[133:134], v[120:121], v[118:119]
	v_fma_f64 v[118:119], v[118:119], v[133:134], v[120:121]
	v_div_scale_f64 v[120:121], null, v[118:119], v[118:119], 1.0
	v_rcp_f64_e32 v[135:136], v[120:121]
	v_fma_f64 v[137:138], -v[120:121], v[135:136], 1.0
	v_fma_f64 v[135:136], v[135:136], v[137:138], v[135:136]
	v_fma_f64 v[137:138], -v[120:121], v[135:136], 1.0
	v_fma_f64 v[135:136], v[135:136], v[137:138], v[135:136]
	v_div_scale_f64 v[137:138], vcc_lo, 1.0, v[118:119], 1.0
	v_mul_f64 v[139:140], v[137:138], v[135:136]
	v_fma_f64 v[120:121], -v[120:121], v[139:140], v[137:138]
	v_div_fmas_f64 v[120:121], v[120:121], v[135:136], v[139:140]
	v_div_fixup_f64 v[120:121], v[120:121], v[118:119], 1.0
	v_mul_f64 v[118:119], v[133:134], v[120:121]
	v_xor_b32_e32 v121, 0x80000000, v121
.LBB56_259:
	s_andn2_saveexec_b32 s1, s1
	s_cbranch_execz .LBB56_261
; %bb.260:
	v_div_scale_f64 v[133:134], null, v[118:119], v[118:119], v[120:121]
	v_div_scale_f64 v[139:140], vcc_lo, v[120:121], v[118:119], v[120:121]
	v_rcp_f64_e32 v[135:136], v[133:134]
	v_fma_f64 v[137:138], -v[133:134], v[135:136], 1.0
	v_fma_f64 v[135:136], v[135:136], v[137:138], v[135:136]
	v_fma_f64 v[137:138], -v[133:134], v[135:136], 1.0
	v_fma_f64 v[135:136], v[135:136], v[137:138], v[135:136]
	v_mul_f64 v[137:138], v[139:140], v[135:136]
	v_fma_f64 v[133:134], -v[133:134], v[137:138], v[139:140]
	v_div_fmas_f64 v[133:134], v[133:134], v[135:136], v[137:138]
	v_div_fixup_f64 v[133:134], v[133:134], v[118:119], v[120:121]
	v_fma_f64 v[118:119], v[120:121], v[133:134], v[118:119]
	v_div_scale_f64 v[120:121], null, v[118:119], v[118:119], 1.0
	v_rcp_f64_e32 v[135:136], v[120:121]
	v_fma_f64 v[137:138], -v[120:121], v[135:136], 1.0
	v_fma_f64 v[135:136], v[135:136], v[137:138], v[135:136]
	v_fma_f64 v[137:138], -v[120:121], v[135:136], 1.0
	v_fma_f64 v[135:136], v[135:136], v[137:138], v[135:136]
	v_div_scale_f64 v[137:138], vcc_lo, 1.0, v[118:119], 1.0
	v_mul_f64 v[139:140], v[137:138], v[135:136]
	v_fma_f64 v[120:121], -v[120:121], v[139:140], v[137:138]
	v_div_fmas_f64 v[120:121], v[120:121], v[135:136], v[139:140]
	v_div_fixup_f64 v[118:119], v[120:121], v[118:119], 1.0
	v_mul_f64 v[120:121], v[133:134], -v[118:119]
.LBB56_261:
	s_or_b32 exec_lo, exec_lo, s1
.LBB56_262:
	s_or_b32 exec_lo, exec_lo, s0
	s_mov_b32 s0, exec_lo
	v_cmpx_ne_u32_e64 v132, v126
	s_xor_b32 s0, exec_lo, s0
	s_cbranch_execz .LBB56_268
; %bb.263:
	s_mov_b32 s1, exec_lo
	v_cmpx_eq_u32_e32 12, v132
	s_cbranch_execz .LBB56_267
; %bb.264:
	v_cmp_ne_u32_e32 vcc_lo, 12, v126
	s_xor_b32 s2, s16, -1
	s_and_b32 s3, s2, vcc_lo
	s_and_saveexec_b32 s2, s3
	s_cbranch_execz .LBB56_266
; %bb.265:
	v_ashrrev_i32_e32 v127, 31, v126
	v_lshlrev_b64 v[132:133], 2, v[126:127]
	v_add_co_u32 v132, vcc_lo, v124, v132
	v_add_co_ci_u32_e64 v133, null, v125, v133, vcc_lo
	s_clause 0x1
	global_load_dword v0, v[132:133], off
	global_load_dword v127, v[124:125], off offset:48
	s_waitcnt vmcnt(1)
	global_store_dword v[124:125], v0, off offset:48
	s_waitcnt vmcnt(0)
	global_store_dword v[132:133], v127, off
.LBB56_266:
	s_or_b32 exec_lo, exec_lo, s2
	v_mov_b32_e32 v132, v126
	v_mov_b32_e32 v0, v126
.LBB56_267:
	s_or_b32 exec_lo, exec_lo, s1
.LBB56_268:
	s_andn2_saveexec_b32 s0, s0
	s_cbranch_execz .LBB56_270
; %bb.269:
	v_mov_b32_e32 v132, 12
	ds_write2_b64 v1, v[62:63], v[64:65] offset0:26 offset1:27
	ds_write2_b64 v1, v[58:59], v[60:61] offset0:28 offset1:29
	;; [unrolled: 1-line block ×16, first 2 shown]
.LBB56_270:
	s_or_b32 exec_lo, exec_lo, s0
	s_mov_b32 s0, exec_lo
	s_waitcnt lgkmcnt(0)
	s_waitcnt_vscnt null, 0x0
	s_barrier
	buffer_gl0_inv
	v_cmpx_lt_i32_e32 12, v132
	s_cbranch_execz .LBB56_272
; %bb.271:
	v_mul_f64 v[126:127], v[118:119], v[68:69]
	v_mul_f64 v[68:69], v[120:121], v[68:69]
	v_fma_f64 v[126:127], v[120:121], v[66:67], v[126:127]
	v_fma_f64 v[66:67], v[118:119], v[66:67], -v[68:69]
	ds_read2_b64 v[118:121], v1 offset0:26 offset1:27
	s_waitcnt lgkmcnt(0)
	v_mul_f64 v[68:69], v[120:121], v[126:127]
	v_fma_f64 v[68:69], v[118:119], v[66:67], -v[68:69]
	v_mul_f64 v[118:119], v[118:119], v[126:127]
	v_add_f64 v[62:63], v[62:63], -v[68:69]
	v_fma_f64 v[118:119], v[120:121], v[66:67], v[118:119]
	v_add_f64 v[64:65], v[64:65], -v[118:119]
	ds_read2_b64 v[118:121], v1 offset0:28 offset1:29
	s_waitcnt lgkmcnt(0)
	v_mul_f64 v[68:69], v[120:121], v[126:127]
	v_fma_f64 v[68:69], v[118:119], v[66:67], -v[68:69]
	v_mul_f64 v[118:119], v[118:119], v[126:127]
	v_add_f64 v[58:59], v[58:59], -v[68:69]
	v_fma_f64 v[118:119], v[120:121], v[66:67], v[118:119]
	v_add_f64 v[60:61], v[60:61], -v[118:119]
	;; [unrolled: 8-line block ×15, first 2 shown]
	ds_read2_b64 v[118:121], v1 offset0:56 offset1:57
	s_waitcnt lgkmcnt(0)
	v_mul_f64 v[68:69], v[120:121], v[126:127]
	v_fma_f64 v[68:69], v[118:119], v[66:67], -v[68:69]
	v_mul_f64 v[118:119], v[118:119], v[126:127]
	v_add_f64 v[2:3], v[2:3], -v[68:69]
	v_fma_f64 v[118:119], v[120:121], v[66:67], v[118:119]
	v_mov_b32_e32 v68, v126
	v_mov_b32_e32 v69, v127
	v_add_f64 v[4:5], v[4:5], -v[118:119]
.LBB56_272:
	s_or_b32 exec_lo, exec_lo, s0
	v_lshl_add_u32 v118, v132, 4, v1
	s_barrier
	buffer_gl0_inv
	v_mov_b32_e32 v126, 13
	ds_write2_b64 v118, v[62:63], v[64:65] offset1:1
	s_waitcnt lgkmcnt(0)
	s_barrier
	buffer_gl0_inv
	ds_read2_b64 v[118:121], v1 offset0:26 offset1:27
	s_cmp_lt_i32 s18, 15
	s_cbranch_scc1 .LBB56_275
; %bb.273:
	v_add3_u32 v127, v128, 0, 0xe0
	v_mov_b32_e32 v126, 13
	s_mov_b32 s1, 14
	s_inst_prefetch 0x1
	.p2align	6
.LBB56_274:                             ; =>This Inner Loop Header: Depth=1
	s_waitcnt lgkmcnt(0)
	v_cmp_gt_f64_e32 vcc_lo, 0, v[120:121]
	v_cmp_gt_f64_e64 s0, 0, v[118:119]
	ds_read2_b64 v[133:136], v127 offset1:1
	v_xor_b32_e32 v138, 0x80000000, v119
	v_xor_b32_e32 v140, 0x80000000, v121
	v_mov_b32_e32 v137, v118
	v_mov_b32_e32 v139, v120
	v_add_nc_u32_e32 v127, 16, v127
	s_waitcnt lgkmcnt(0)
	v_xor_b32_e32 v142, 0x80000000, v136
	v_cndmask_b32_e64 v138, v119, v138, s0
	v_cndmask_b32_e32 v140, v121, v140, vcc_lo
	v_cmp_gt_f64_e32 vcc_lo, 0, v[135:136]
	v_cmp_gt_f64_e64 s0, 0, v[133:134]
	v_mov_b32_e32 v141, v135
	v_add_f64 v[137:138], v[137:138], v[139:140]
	v_xor_b32_e32 v140, 0x80000000, v134
	v_mov_b32_e32 v139, v133
	v_cndmask_b32_e32 v142, v136, v142, vcc_lo
	v_cndmask_b32_e64 v140, v134, v140, s0
	v_add_f64 v[139:140], v[139:140], v[141:142]
	v_cmp_lt_f64_e32 vcc_lo, v[137:138], v[139:140]
	v_cndmask_b32_e32 v119, v119, v134, vcc_lo
	v_cndmask_b32_e32 v118, v118, v133, vcc_lo
	;; [unrolled: 1-line block ×4, first 2 shown]
	v_cndmask_b32_e64 v126, v126, s1, vcc_lo
	s_add_i32 s1, s1, 1
	s_cmp_lg_u32 s18, s1
	s_cbranch_scc1 .LBB56_274
.LBB56_275:
	s_inst_prefetch 0x2
	s_waitcnt lgkmcnt(0)
	v_cmp_eq_f64_e32 vcc_lo, 0, v[118:119]
	v_cmp_eq_f64_e64 s0, 0, v[120:121]
	s_and_b32 s0, vcc_lo, s0
	s_and_saveexec_b32 s1, s0
	s_xor_b32 s0, exec_lo, s1
; %bb.276:
	v_cmp_ne_u32_e32 vcc_lo, 0, v131
	v_cndmask_b32_e32 v131, 14, v131, vcc_lo
; %bb.277:
	s_andn2_saveexec_b32 s0, s0
	s_cbranch_execz .LBB56_283
; %bb.278:
	v_cmp_ngt_f64_e64 s1, |v[118:119]|, |v[120:121]|
	s_and_saveexec_b32 s2, s1
	s_xor_b32 s1, exec_lo, s2
	s_cbranch_execz .LBB56_280
; %bb.279:
	v_div_scale_f64 v[133:134], null, v[120:121], v[120:121], v[118:119]
	v_div_scale_f64 v[139:140], vcc_lo, v[118:119], v[120:121], v[118:119]
	v_rcp_f64_e32 v[135:136], v[133:134]
	v_fma_f64 v[137:138], -v[133:134], v[135:136], 1.0
	v_fma_f64 v[135:136], v[135:136], v[137:138], v[135:136]
	v_fma_f64 v[137:138], -v[133:134], v[135:136], 1.0
	v_fma_f64 v[135:136], v[135:136], v[137:138], v[135:136]
	v_mul_f64 v[137:138], v[139:140], v[135:136]
	v_fma_f64 v[133:134], -v[133:134], v[137:138], v[139:140]
	v_div_fmas_f64 v[133:134], v[133:134], v[135:136], v[137:138]
	v_div_fixup_f64 v[133:134], v[133:134], v[120:121], v[118:119]
	v_fma_f64 v[118:119], v[118:119], v[133:134], v[120:121]
	v_div_scale_f64 v[120:121], null, v[118:119], v[118:119], 1.0
	v_rcp_f64_e32 v[135:136], v[120:121]
	v_fma_f64 v[137:138], -v[120:121], v[135:136], 1.0
	v_fma_f64 v[135:136], v[135:136], v[137:138], v[135:136]
	v_fma_f64 v[137:138], -v[120:121], v[135:136], 1.0
	v_fma_f64 v[135:136], v[135:136], v[137:138], v[135:136]
	v_div_scale_f64 v[137:138], vcc_lo, 1.0, v[118:119], 1.0
	v_mul_f64 v[139:140], v[137:138], v[135:136]
	v_fma_f64 v[120:121], -v[120:121], v[139:140], v[137:138]
	v_div_fmas_f64 v[120:121], v[120:121], v[135:136], v[139:140]
	v_div_fixup_f64 v[120:121], v[120:121], v[118:119], 1.0
	v_mul_f64 v[118:119], v[133:134], v[120:121]
	v_xor_b32_e32 v121, 0x80000000, v121
.LBB56_280:
	s_andn2_saveexec_b32 s1, s1
	s_cbranch_execz .LBB56_282
; %bb.281:
	v_div_scale_f64 v[133:134], null, v[118:119], v[118:119], v[120:121]
	v_div_scale_f64 v[139:140], vcc_lo, v[120:121], v[118:119], v[120:121]
	v_rcp_f64_e32 v[135:136], v[133:134]
	v_fma_f64 v[137:138], -v[133:134], v[135:136], 1.0
	v_fma_f64 v[135:136], v[135:136], v[137:138], v[135:136]
	v_fma_f64 v[137:138], -v[133:134], v[135:136], 1.0
	v_fma_f64 v[135:136], v[135:136], v[137:138], v[135:136]
	v_mul_f64 v[137:138], v[139:140], v[135:136]
	v_fma_f64 v[133:134], -v[133:134], v[137:138], v[139:140]
	v_div_fmas_f64 v[133:134], v[133:134], v[135:136], v[137:138]
	v_div_fixup_f64 v[133:134], v[133:134], v[118:119], v[120:121]
	v_fma_f64 v[118:119], v[120:121], v[133:134], v[118:119]
	v_div_scale_f64 v[120:121], null, v[118:119], v[118:119], 1.0
	v_rcp_f64_e32 v[135:136], v[120:121]
	v_fma_f64 v[137:138], -v[120:121], v[135:136], 1.0
	v_fma_f64 v[135:136], v[135:136], v[137:138], v[135:136]
	v_fma_f64 v[137:138], -v[120:121], v[135:136], 1.0
	v_fma_f64 v[135:136], v[135:136], v[137:138], v[135:136]
	v_div_scale_f64 v[137:138], vcc_lo, 1.0, v[118:119], 1.0
	v_mul_f64 v[139:140], v[137:138], v[135:136]
	v_fma_f64 v[120:121], -v[120:121], v[139:140], v[137:138]
	v_div_fmas_f64 v[120:121], v[120:121], v[135:136], v[139:140]
	v_div_fixup_f64 v[118:119], v[120:121], v[118:119], 1.0
	v_mul_f64 v[120:121], v[133:134], -v[118:119]
.LBB56_282:
	s_or_b32 exec_lo, exec_lo, s1
.LBB56_283:
	s_or_b32 exec_lo, exec_lo, s0
	s_mov_b32 s0, exec_lo
	v_cmpx_ne_u32_e64 v132, v126
	s_xor_b32 s0, exec_lo, s0
	s_cbranch_execz .LBB56_289
; %bb.284:
	s_mov_b32 s1, exec_lo
	v_cmpx_eq_u32_e32 13, v132
	s_cbranch_execz .LBB56_288
; %bb.285:
	v_cmp_ne_u32_e32 vcc_lo, 13, v126
	s_xor_b32 s2, s16, -1
	s_and_b32 s3, s2, vcc_lo
	s_and_saveexec_b32 s2, s3
	s_cbranch_execz .LBB56_287
; %bb.286:
	v_ashrrev_i32_e32 v127, 31, v126
	v_lshlrev_b64 v[132:133], 2, v[126:127]
	v_add_co_u32 v132, vcc_lo, v124, v132
	v_add_co_ci_u32_e64 v133, null, v125, v133, vcc_lo
	s_clause 0x1
	global_load_dword v0, v[132:133], off
	global_load_dword v127, v[124:125], off offset:52
	s_waitcnt vmcnt(1)
	global_store_dword v[124:125], v0, off offset:52
	s_waitcnt vmcnt(0)
	global_store_dword v[132:133], v127, off
.LBB56_287:
	s_or_b32 exec_lo, exec_lo, s2
	v_mov_b32_e32 v132, v126
	v_mov_b32_e32 v0, v126
.LBB56_288:
	s_or_b32 exec_lo, exec_lo, s1
.LBB56_289:
	s_andn2_saveexec_b32 s0, s0
	s_cbranch_execz .LBB56_291
; %bb.290:
	v_mov_b32_e32 v132, 13
	ds_write2_b64 v1, v[58:59], v[60:61] offset0:28 offset1:29
	ds_write2_b64 v1, v[54:55], v[56:57] offset0:30 offset1:31
	ds_write2_b64 v1, v[50:51], v[52:53] offset0:32 offset1:33
	ds_write2_b64 v1, v[46:47], v[48:49] offset0:34 offset1:35
	ds_write2_b64 v1, v[42:43], v[44:45] offset0:36 offset1:37
	ds_write2_b64 v1, v[38:39], v[40:41] offset0:38 offset1:39
	ds_write2_b64 v1, v[34:35], v[36:37] offset0:40 offset1:41
	ds_write2_b64 v1, v[30:31], v[32:33] offset0:42 offset1:43
	ds_write2_b64 v1, v[26:27], v[28:29] offset0:44 offset1:45
	ds_write2_b64 v1, v[22:23], v[24:25] offset0:46 offset1:47
	ds_write2_b64 v1, v[18:19], v[20:21] offset0:48 offset1:49
	ds_write2_b64 v1, v[14:15], v[16:17] offset0:50 offset1:51
	ds_write2_b64 v1, v[10:11], v[12:13] offset0:52 offset1:53
	ds_write2_b64 v1, v[6:7], v[8:9] offset0:54 offset1:55
	ds_write2_b64 v1, v[2:3], v[4:5] offset0:56 offset1:57
.LBB56_291:
	s_or_b32 exec_lo, exec_lo, s0
	s_mov_b32 s0, exec_lo
	s_waitcnt lgkmcnt(0)
	s_waitcnt_vscnt null, 0x0
	s_barrier
	buffer_gl0_inv
	v_cmpx_lt_i32_e32 13, v132
	s_cbranch_execz .LBB56_293
; %bb.292:
	v_mul_f64 v[126:127], v[118:119], v[64:65]
	v_mul_f64 v[64:65], v[120:121], v[64:65]
	v_fma_f64 v[126:127], v[120:121], v[62:63], v[126:127]
	v_fma_f64 v[62:63], v[118:119], v[62:63], -v[64:65]
	ds_read2_b64 v[118:121], v1 offset0:28 offset1:29
	s_waitcnt lgkmcnt(0)
	v_mul_f64 v[64:65], v[120:121], v[126:127]
	v_fma_f64 v[64:65], v[118:119], v[62:63], -v[64:65]
	v_mul_f64 v[118:119], v[118:119], v[126:127]
	v_add_f64 v[58:59], v[58:59], -v[64:65]
	v_fma_f64 v[118:119], v[120:121], v[62:63], v[118:119]
	v_add_f64 v[60:61], v[60:61], -v[118:119]
	ds_read2_b64 v[118:121], v1 offset0:30 offset1:31
	s_waitcnt lgkmcnt(0)
	v_mul_f64 v[64:65], v[120:121], v[126:127]
	v_fma_f64 v[64:65], v[118:119], v[62:63], -v[64:65]
	v_mul_f64 v[118:119], v[118:119], v[126:127]
	v_add_f64 v[54:55], v[54:55], -v[64:65]
	v_fma_f64 v[118:119], v[120:121], v[62:63], v[118:119]
	v_add_f64 v[56:57], v[56:57], -v[118:119]
	;; [unrolled: 8-line block ×14, first 2 shown]
	ds_read2_b64 v[118:121], v1 offset0:56 offset1:57
	s_waitcnt lgkmcnt(0)
	v_mul_f64 v[64:65], v[120:121], v[126:127]
	v_fma_f64 v[64:65], v[118:119], v[62:63], -v[64:65]
	v_mul_f64 v[118:119], v[118:119], v[126:127]
	v_add_f64 v[2:3], v[2:3], -v[64:65]
	v_fma_f64 v[118:119], v[120:121], v[62:63], v[118:119]
	v_mov_b32_e32 v64, v126
	v_mov_b32_e32 v65, v127
	v_add_f64 v[4:5], v[4:5], -v[118:119]
.LBB56_293:
	s_or_b32 exec_lo, exec_lo, s0
	v_lshl_add_u32 v118, v132, 4, v1
	s_barrier
	buffer_gl0_inv
	v_mov_b32_e32 v126, 14
	ds_write2_b64 v118, v[58:59], v[60:61] offset1:1
	s_waitcnt lgkmcnt(0)
	s_barrier
	buffer_gl0_inv
	ds_read2_b64 v[118:121], v1 offset0:28 offset1:29
	s_cmp_lt_i32 s18, 16
	s_cbranch_scc1 .LBB56_296
; %bb.294:
	v_add3_u32 v127, v128, 0, 0xf0
	v_mov_b32_e32 v126, 14
	s_mov_b32 s1, 15
	s_inst_prefetch 0x1
	.p2align	6
.LBB56_295:                             ; =>This Inner Loop Header: Depth=1
	s_waitcnt lgkmcnt(0)
	v_cmp_gt_f64_e32 vcc_lo, 0, v[120:121]
	v_cmp_gt_f64_e64 s0, 0, v[118:119]
	ds_read2_b64 v[133:136], v127 offset1:1
	v_xor_b32_e32 v138, 0x80000000, v119
	v_xor_b32_e32 v140, 0x80000000, v121
	v_mov_b32_e32 v137, v118
	v_mov_b32_e32 v139, v120
	v_add_nc_u32_e32 v127, 16, v127
	s_waitcnt lgkmcnt(0)
	v_xor_b32_e32 v142, 0x80000000, v136
	v_cndmask_b32_e64 v138, v119, v138, s0
	v_cndmask_b32_e32 v140, v121, v140, vcc_lo
	v_cmp_gt_f64_e32 vcc_lo, 0, v[135:136]
	v_cmp_gt_f64_e64 s0, 0, v[133:134]
	v_mov_b32_e32 v141, v135
	v_add_f64 v[137:138], v[137:138], v[139:140]
	v_xor_b32_e32 v140, 0x80000000, v134
	v_mov_b32_e32 v139, v133
	v_cndmask_b32_e32 v142, v136, v142, vcc_lo
	v_cndmask_b32_e64 v140, v134, v140, s0
	v_add_f64 v[139:140], v[139:140], v[141:142]
	v_cmp_lt_f64_e32 vcc_lo, v[137:138], v[139:140]
	v_cndmask_b32_e32 v119, v119, v134, vcc_lo
	v_cndmask_b32_e32 v118, v118, v133, vcc_lo
	;; [unrolled: 1-line block ×4, first 2 shown]
	v_cndmask_b32_e64 v126, v126, s1, vcc_lo
	s_add_i32 s1, s1, 1
	s_cmp_lg_u32 s18, s1
	s_cbranch_scc1 .LBB56_295
.LBB56_296:
	s_inst_prefetch 0x2
	s_waitcnt lgkmcnt(0)
	v_cmp_eq_f64_e32 vcc_lo, 0, v[118:119]
	v_cmp_eq_f64_e64 s0, 0, v[120:121]
	s_and_b32 s0, vcc_lo, s0
	s_and_saveexec_b32 s1, s0
	s_xor_b32 s0, exec_lo, s1
; %bb.297:
	v_cmp_ne_u32_e32 vcc_lo, 0, v131
	v_cndmask_b32_e32 v131, 15, v131, vcc_lo
; %bb.298:
	s_andn2_saveexec_b32 s0, s0
	s_cbranch_execz .LBB56_304
; %bb.299:
	v_cmp_ngt_f64_e64 s1, |v[118:119]|, |v[120:121]|
	s_and_saveexec_b32 s2, s1
	s_xor_b32 s1, exec_lo, s2
	s_cbranch_execz .LBB56_301
; %bb.300:
	v_div_scale_f64 v[133:134], null, v[120:121], v[120:121], v[118:119]
	v_div_scale_f64 v[139:140], vcc_lo, v[118:119], v[120:121], v[118:119]
	v_rcp_f64_e32 v[135:136], v[133:134]
	v_fma_f64 v[137:138], -v[133:134], v[135:136], 1.0
	v_fma_f64 v[135:136], v[135:136], v[137:138], v[135:136]
	v_fma_f64 v[137:138], -v[133:134], v[135:136], 1.0
	v_fma_f64 v[135:136], v[135:136], v[137:138], v[135:136]
	v_mul_f64 v[137:138], v[139:140], v[135:136]
	v_fma_f64 v[133:134], -v[133:134], v[137:138], v[139:140]
	v_div_fmas_f64 v[133:134], v[133:134], v[135:136], v[137:138]
	v_div_fixup_f64 v[133:134], v[133:134], v[120:121], v[118:119]
	v_fma_f64 v[118:119], v[118:119], v[133:134], v[120:121]
	v_div_scale_f64 v[120:121], null, v[118:119], v[118:119], 1.0
	v_rcp_f64_e32 v[135:136], v[120:121]
	v_fma_f64 v[137:138], -v[120:121], v[135:136], 1.0
	v_fma_f64 v[135:136], v[135:136], v[137:138], v[135:136]
	v_fma_f64 v[137:138], -v[120:121], v[135:136], 1.0
	v_fma_f64 v[135:136], v[135:136], v[137:138], v[135:136]
	v_div_scale_f64 v[137:138], vcc_lo, 1.0, v[118:119], 1.0
	v_mul_f64 v[139:140], v[137:138], v[135:136]
	v_fma_f64 v[120:121], -v[120:121], v[139:140], v[137:138]
	v_div_fmas_f64 v[120:121], v[120:121], v[135:136], v[139:140]
	v_div_fixup_f64 v[120:121], v[120:121], v[118:119], 1.0
	v_mul_f64 v[118:119], v[133:134], v[120:121]
	v_xor_b32_e32 v121, 0x80000000, v121
.LBB56_301:
	s_andn2_saveexec_b32 s1, s1
	s_cbranch_execz .LBB56_303
; %bb.302:
	v_div_scale_f64 v[133:134], null, v[118:119], v[118:119], v[120:121]
	v_div_scale_f64 v[139:140], vcc_lo, v[120:121], v[118:119], v[120:121]
	v_rcp_f64_e32 v[135:136], v[133:134]
	v_fma_f64 v[137:138], -v[133:134], v[135:136], 1.0
	v_fma_f64 v[135:136], v[135:136], v[137:138], v[135:136]
	v_fma_f64 v[137:138], -v[133:134], v[135:136], 1.0
	v_fma_f64 v[135:136], v[135:136], v[137:138], v[135:136]
	v_mul_f64 v[137:138], v[139:140], v[135:136]
	v_fma_f64 v[133:134], -v[133:134], v[137:138], v[139:140]
	v_div_fmas_f64 v[133:134], v[133:134], v[135:136], v[137:138]
	v_div_fixup_f64 v[133:134], v[133:134], v[118:119], v[120:121]
	v_fma_f64 v[118:119], v[120:121], v[133:134], v[118:119]
	v_div_scale_f64 v[120:121], null, v[118:119], v[118:119], 1.0
	v_rcp_f64_e32 v[135:136], v[120:121]
	v_fma_f64 v[137:138], -v[120:121], v[135:136], 1.0
	v_fma_f64 v[135:136], v[135:136], v[137:138], v[135:136]
	v_fma_f64 v[137:138], -v[120:121], v[135:136], 1.0
	v_fma_f64 v[135:136], v[135:136], v[137:138], v[135:136]
	v_div_scale_f64 v[137:138], vcc_lo, 1.0, v[118:119], 1.0
	v_mul_f64 v[139:140], v[137:138], v[135:136]
	v_fma_f64 v[120:121], -v[120:121], v[139:140], v[137:138]
	v_div_fmas_f64 v[120:121], v[120:121], v[135:136], v[139:140]
	v_div_fixup_f64 v[118:119], v[120:121], v[118:119], 1.0
	v_mul_f64 v[120:121], v[133:134], -v[118:119]
.LBB56_303:
	s_or_b32 exec_lo, exec_lo, s1
.LBB56_304:
	s_or_b32 exec_lo, exec_lo, s0
	s_mov_b32 s0, exec_lo
	v_cmpx_ne_u32_e64 v132, v126
	s_xor_b32 s0, exec_lo, s0
	s_cbranch_execz .LBB56_310
; %bb.305:
	s_mov_b32 s1, exec_lo
	v_cmpx_eq_u32_e32 14, v132
	s_cbranch_execz .LBB56_309
; %bb.306:
	v_cmp_ne_u32_e32 vcc_lo, 14, v126
	s_xor_b32 s2, s16, -1
	s_and_b32 s3, s2, vcc_lo
	s_and_saveexec_b32 s2, s3
	s_cbranch_execz .LBB56_308
; %bb.307:
	v_ashrrev_i32_e32 v127, 31, v126
	v_lshlrev_b64 v[132:133], 2, v[126:127]
	v_add_co_u32 v132, vcc_lo, v124, v132
	v_add_co_ci_u32_e64 v133, null, v125, v133, vcc_lo
	s_clause 0x1
	global_load_dword v0, v[132:133], off
	global_load_dword v127, v[124:125], off offset:56
	s_waitcnt vmcnt(1)
	global_store_dword v[124:125], v0, off offset:56
	s_waitcnt vmcnt(0)
	global_store_dword v[132:133], v127, off
.LBB56_308:
	s_or_b32 exec_lo, exec_lo, s2
	v_mov_b32_e32 v132, v126
	v_mov_b32_e32 v0, v126
.LBB56_309:
	s_or_b32 exec_lo, exec_lo, s1
.LBB56_310:
	s_andn2_saveexec_b32 s0, s0
	s_cbranch_execz .LBB56_312
; %bb.311:
	v_mov_b32_e32 v132, 14
	ds_write2_b64 v1, v[54:55], v[56:57] offset0:30 offset1:31
	ds_write2_b64 v1, v[50:51], v[52:53] offset0:32 offset1:33
	;; [unrolled: 1-line block ×14, first 2 shown]
.LBB56_312:
	s_or_b32 exec_lo, exec_lo, s0
	s_mov_b32 s0, exec_lo
	s_waitcnt lgkmcnt(0)
	s_waitcnt_vscnt null, 0x0
	s_barrier
	buffer_gl0_inv
	v_cmpx_lt_i32_e32 14, v132
	s_cbranch_execz .LBB56_314
; %bb.313:
	v_mul_f64 v[126:127], v[118:119], v[60:61]
	v_mul_f64 v[60:61], v[120:121], v[60:61]
	v_fma_f64 v[126:127], v[120:121], v[58:59], v[126:127]
	v_fma_f64 v[58:59], v[118:119], v[58:59], -v[60:61]
	ds_read2_b64 v[118:121], v1 offset0:30 offset1:31
	s_waitcnt lgkmcnt(0)
	v_mul_f64 v[60:61], v[120:121], v[126:127]
	v_fma_f64 v[60:61], v[118:119], v[58:59], -v[60:61]
	v_mul_f64 v[118:119], v[118:119], v[126:127]
	v_add_f64 v[54:55], v[54:55], -v[60:61]
	v_fma_f64 v[118:119], v[120:121], v[58:59], v[118:119]
	v_add_f64 v[56:57], v[56:57], -v[118:119]
	ds_read2_b64 v[118:121], v1 offset0:32 offset1:33
	s_waitcnt lgkmcnt(0)
	v_mul_f64 v[60:61], v[120:121], v[126:127]
	v_fma_f64 v[60:61], v[118:119], v[58:59], -v[60:61]
	v_mul_f64 v[118:119], v[118:119], v[126:127]
	v_add_f64 v[50:51], v[50:51], -v[60:61]
	v_fma_f64 v[118:119], v[120:121], v[58:59], v[118:119]
	v_add_f64 v[52:53], v[52:53], -v[118:119]
	;; [unrolled: 8-line block ×13, first 2 shown]
	ds_read2_b64 v[118:121], v1 offset0:56 offset1:57
	s_waitcnt lgkmcnt(0)
	v_mul_f64 v[60:61], v[120:121], v[126:127]
	v_fma_f64 v[60:61], v[118:119], v[58:59], -v[60:61]
	v_mul_f64 v[118:119], v[118:119], v[126:127]
	v_add_f64 v[2:3], v[2:3], -v[60:61]
	v_fma_f64 v[118:119], v[120:121], v[58:59], v[118:119]
	v_mov_b32_e32 v60, v126
	v_mov_b32_e32 v61, v127
	v_add_f64 v[4:5], v[4:5], -v[118:119]
.LBB56_314:
	s_or_b32 exec_lo, exec_lo, s0
	v_lshl_add_u32 v118, v132, 4, v1
	s_barrier
	buffer_gl0_inv
	v_mov_b32_e32 v126, 15
	ds_write2_b64 v118, v[54:55], v[56:57] offset1:1
	s_waitcnt lgkmcnt(0)
	s_barrier
	buffer_gl0_inv
	ds_read2_b64 v[118:121], v1 offset0:30 offset1:31
	s_cmp_lt_i32 s18, 17
	s_cbranch_scc1 .LBB56_317
; %bb.315:
	v_add3_u32 v127, v128, 0, 0x100
	v_mov_b32_e32 v126, 15
	s_mov_b32 s1, 16
	s_inst_prefetch 0x1
	.p2align	6
.LBB56_316:                             ; =>This Inner Loop Header: Depth=1
	s_waitcnt lgkmcnt(0)
	v_cmp_gt_f64_e32 vcc_lo, 0, v[120:121]
	v_cmp_gt_f64_e64 s0, 0, v[118:119]
	ds_read2_b64 v[133:136], v127 offset1:1
	v_xor_b32_e32 v138, 0x80000000, v119
	v_xor_b32_e32 v140, 0x80000000, v121
	v_mov_b32_e32 v137, v118
	v_mov_b32_e32 v139, v120
	v_add_nc_u32_e32 v127, 16, v127
	s_waitcnt lgkmcnt(0)
	v_xor_b32_e32 v142, 0x80000000, v136
	v_cndmask_b32_e64 v138, v119, v138, s0
	v_cndmask_b32_e32 v140, v121, v140, vcc_lo
	v_cmp_gt_f64_e32 vcc_lo, 0, v[135:136]
	v_cmp_gt_f64_e64 s0, 0, v[133:134]
	v_mov_b32_e32 v141, v135
	v_add_f64 v[137:138], v[137:138], v[139:140]
	v_xor_b32_e32 v140, 0x80000000, v134
	v_mov_b32_e32 v139, v133
	v_cndmask_b32_e32 v142, v136, v142, vcc_lo
	v_cndmask_b32_e64 v140, v134, v140, s0
	v_add_f64 v[139:140], v[139:140], v[141:142]
	v_cmp_lt_f64_e32 vcc_lo, v[137:138], v[139:140]
	v_cndmask_b32_e32 v119, v119, v134, vcc_lo
	v_cndmask_b32_e32 v118, v118, v133, vcc_lo
	v_cndmask_b32_e32 v121, v121, v136, vcc_lo
	v_cndmask_b32_e32 v120, v120, v135, vcc_lo
	v_cndmask_b32_e64 v126, v126, s1, vcc_lo
	s_add_i32 s1, s1, 1
	s_cmp_lg_u32 s18, s1
	s_cbranch_scc1 .LBB56_316
.LBB56_317:
	s_inst_prefetch 0x2
	s_waitcnt lgkmcnt(0)
	v_cmp_eq_f64_e32 vcc_lo, 0, v[118:119]
	v_cmp_eq_f64_e64 s0, 0, v[120:121]
	s_and_b32 s0, vcc_lo, s0
	s_and_saveexec_b32 s1, s0
	s_xor_b32 s0, exec_lo, s1
; %bb.318:
	v_cmp_ne_u32_e32 vcc_lo, 0, v131
	v_cndmask_b32_e32 v131, 16, v131, vcc_lo
; %bb.319:
	s_andn2_saveexec_b32 s0, s0
	s_cbranch_execz .LBB56_325
; %bb.320:
	v_cmp_ngt_f64_e64 s1, |v[118:119]|, |v[120:121]|
	s_and_saveexec_b32 s2, s1
	s_xor_b32 s1, exec_lo, s2
	s_cbranch_execz .LBB56_322
; %bb.321:
	v_div_scale_f64 v[133:134], null, v[120:121], v[120:121], v[118:119]
	v_div_scale_f64 v[139:140], vcc_lo, v[118:119], v[120:121], v[118:119]
	v_rcp_f64_e32 v[135:136], v[133:134]
	v_fma_f64 v[137:138], -v[133:134], v[135:136], 1.0
	v_fma_f64 v[135:136], v[135:136], v[137:138], v[135:136]
	v_fma_f64 v[137:138], -v[133:134], v[135:136], 1.0
	v_fma_f64 v[135:136], v[135:136], v[137:138], v[135:136]
	v_mul_f64 v[137:138], v[139:140], v[135:136]
	v_fma_f64 v[133:134], -v[133:134], v[137:138], v[139:140]
	v_div_fmas_f64 v[133:134], v[133:134], v[135:136], v[137:138]
	v_div_fixup_f64 v[133:134], v[133:134], v[120:121], v[118:119]
	v_fma_f64 v[118:119], v[118:119], v[133:134], v[120:121]
	v_div_scale_f64 v[120:121], null, v[118:119], v[118:119], 1.0
	v_rcp_f64_e32 v[135:136], v[120:121]
	v_fma_f64 v[137:138], -v[120:121], v[135:136], 1.0
	v_fma_f64 v[135:136], v[135:136], v[137:138], v[135:136]
	v_fma_f64 v[137:138], -v[120:121], v[135:136], 1.0
	v_fma_f64 v[135:136], v[135:136], v[137:138], v[135:136]
	v_div_scale_f64 v[137:138], vcc_lo, 1.0, v[118:119], 1.0
	v_mul_f64 v[139:140], v[137:138], v[135:136]
	v_fma_f64 v[120:121], -v[120:121], v[139:140], v[137:138]
	v_div_fmas_f64 v[120:121], v[120:121], v[135:136], v[139:140]
	v_div_fixup_f64 v[120:121], v[120:121], v[118:119], 1.0
	v_mul_f64 v[118:119], v[133:134], v[120:121]
	v_xor_b32_e32 v121, 0x80000000, v121
.LBB56_322:
	s_andn2_saveexec_b32 s1, s1
	s_cbranch_execz .LBB56_324
; %bb.323:
	v_div_scale_f64 v[133:134], null, v[118:119], v[118:119], v[120:121]
	v_div_scale_f64 v[139:140], vcc_lo, v[120:121], v[118:119], v[120:121]
	v_rcp_f64_e32 v[135:136], v[133:134]
	v_fma_f64 v[137:138], -v[133:134], v[135:136], 1.0
	v_fma_f64 v[135:136], v[135:136], v[137:138], v[135:136]
	v_fma_f64 v[137:138], -v[133:134], v[135:136], 1.0
	v_fma_f64 v[135:136], v[135:136], v[137:138], v[135:136]
	v_mul_f64 v[137:138], v[139:140], v[135:136]
	v_fma_f64 v[133:134], -v[133:134], v[137:138], v[139:140]
	v_div_fmas_f64 v[133:134], v[133:134], v[135:136], v[137:138]
	v_div_fixup_f64 v[133:134], v[133:134], v[118:119], v[120:121]
	v_fma_f64 v[118:119], v[120:121], v[133:134], v[118:119]
	v_div_scale_f64 v[120:121], null, v[118:119], v[118:119], 1.0
	v_rcp_f64_e32 v[135:136], v[120:121]
	v_fma_f64 v[137:138], -v[120:121], v[135:136], 1.0
	v_fma_f64 v[135:136], v[135:136], v[137:138], v[135:136]
	v_fma_f64 v[137:138], -v[120:121], v[135:136], 1.0
	v_fma_f64 v[135:136], v[135:136], v[137:138], v[135:136]
	v_div_scale_f64 v[137:138], vcc_lo, 1.0, v[118:119], 1.0
	v_mul_f64 v[139:140], v[137:138], v[135:136]
	v_fma_f64 v[120:121], -v[120:121], v[139:140], v[137:138]
	v_div_fmas_f64 v[120:121], v[120:121], v[135:136], v[139:140]
	v_div_fixup_f64 v[118:119], v[120:121], v[118:119], 1.0
	v_mul_f64 v[120:121], v[133:134], -v[118:119]
.LBB56_324:
	s_or_b32 exec_lo, exec_lo, s1
.LBB56_325:
	s_or_b32 exec_lo, exec_lo, s0
	s_mov_b32 s0, exec_lo
	v_cmpx_ne_u32_e64 v132, v126
	s_xor_b32 s0, exec_lo, s0
	s_cbranch_execz .LBB56_331
; %bb.326:
	s_mov_b32 s1, exec_lo
	v_cmpx_eq_u32_e32 15, v132
	s_cbranch_execz .LBB56_330
; %bb.327:
	v_cmp_ne_u32_e32 vcc_lo, 15, v126
	s_xor_b32 s2, s16, -1
	s_and_b32 s3, s2, vcc_lo
	s_and_saveexec_b32 s2, s3
	s_cbranch_execz .LBB56_329
; %bb.328:
	v_ashrrev_i32_e32 v127, 31, v126
	v_lshlrev_b64 v[132:133], 2, v[126:127]
	v_add_co_u32 v132, vcc_lo, v124, v132
	v_add_co_ci_u32_e64 v133, null, v125, v133, vcc_lo
	s_clause 0x1
	global_load_dword v0, v[132:133], off
	global_load_dword v127, v[124:125], off offset:60
	s_waitcnt vmcnt(1)
	global_store_dword v[124:125], v0, off offset:60
	s_waitcnt vmcnt(0)
	global_store_dword v[132:133], v127, off
.LBB56_329:
	s_or_b32 exec_lo, exec_lo, s2
	v_mov_b32_e32 v132, v126
	v_mov_b32_e32 v0, v126
.LBB56_330:
	s_or_b32 exec_lo, exec_lo, s1
.LBB56_331:
	s_andn2_saveexec_b32 s0, s0
	s_cbranch_execz .LBB56_333
; %bb.332:
	v_mov_b32_e32 v132, 15
	ds_write2_b64 v1, v[50:51], v[52:53] offset0:32 offset1:33
	ds_write2_b64 v1, v[46:47], v[48:49] offset0:34 offset1:35
	;; [unrolled: 1-line block ×13, first 2 shown]
.LBB56_333:
	s_or_b32 exec_lo, exec_lo, s0
	s_mov_b32 s0, exec_lo
	s_waitcnt lgkmcnt(0)
	s_waitcnt_vscnt null, 0x0
	s_barrier
	buffer_gl0_inv
	v_cmpx_lt_i32_e32 15, v132
	s_cbranch_execz .LBB56_335
; %bb.334:
	v_mul_f64 v[126:127], v[118:119], v[56:57]
	v_mul_f64 v[56:57], v[120:121], v[56:57]
	v_fma_f64 v[126:127], v[120:121], v[54:55], v[126:127]
	v_fma_f64 v[54:55], v[118:119], v[54:55], -v[56:57]
	ds_read2_b64 v[118:121], v1 offset0:32 offset1:33
	s_waitcnt lgkmcnt(0)
	v_mul_f64 v[56:57], v[120:121], v[126:127]
	v_fma_f64 v[56:57], v[118:119], v[54:55], -v[56:57]
	v_mul_f64 v[118:119], v[118:119], v[126:127]
	v_add_f64 v[50:51], v[50:51], -v[56:57]
	v_fma_f64 v[118:119], v[120:121], v[54:55], v[118:119]
	v_add_f64 v[52:53], v[52:53], -v[118:119]
	ds_read2_b64 v[118:121], v1 offset0:34 offset1:35
	s_waitcnt lgkmcnt(0)
	v_mul_f64 v[56:57], v[120:121], v[126:127]
	v_fma_f64 v[56:57], v[118:119], v[54:55], -v[56:57]
	v_mul_f64 v[118:119], v[118:119], v[126:127]
	v_add_f64 v[46:47], v[46:47], -v[56:57]
	v_fma_f64 v[118:119], v[120:121], v[54:55], v[118:119]
	v_add_f64 v[48:49], v[48:49], -v[118:119]
	;; [unrolled: 8-line block ×12, first 2 shown]
	ds_read2_b64 v[118:121], v1 offset0:56 offset1:57
	s_waitcnt lgkmcnt(0)
	v_mul_f64 v[56:57], v[120:121], v[126:127]
	v_fma_f64 v[56:57], v[118:119], v[54:55], -v[56:57]
	v_mul_f64 v[118:119], v[118:119], v[126:127]
	v_add_f64 v[2:3], v[2:3], -v[56:57]
	v_fma_f64 v[118:119], v[120:121], v[54:55], v[118:119]
	v_mov_b32_e32 v56, v126
	v_mov_b32_e32 v57, v127
	v_add_f64 v[4:5], v[4:5], -v[118:119]
.LBB56_335:
	s_or_b32 exec_lo, exec_lo, s0
	v_lshl_add_u32 v118, v132, 4, v1
	s_barrier
	buffer_gl0_inv
	v_mov_b32_e32 v126, 16
	ds_write2_b64 v118, v[50:51], v[52:53] offset1:1
	s_waitcnt lgkmcnt(0)
	s_barrier
	buffer_gl0_inv
	ds_read2_b64 v[118:121], v1 offset0:32 offset1:33
	s_cmp_lt_i32 s18, 18
	s_cbranch_scc1 .LBB56_338
; %bb.336:
	v_add3_u32 v127, v128, 0, 0x110
	v_mov_b32_e32 v126, 16
	s_mov_b32 s1, 17
	s_inst_prefetch 0x1
	.p2align	6
.LBB56_337:                             ; =>This Inner Loop Header: Depth=1
	s_waitcnt lgkmcnt(0)
	v_cmp_gt_f64_e32 vcc_lo, 0, v[120:121]
	v_cmp_gt_f64_e64 s0, 0, v[118:119]
	ds_read2_b64 v[133:136], v127 offset1:1
	v_xor_b32_e32 v138, 0x80000000, v119
	v_xor_b32_e32 v140, 0x80000000, v121
	v_mov_b32_e32 v137, v118
	v_mov_b32_e32 v139, v120
	v_add_nc_u32_e32 v127, 16, v127
	s_waitcnt lgkmcnt(0)
	v_xor_b32_e32 v142, 0x80000000, v136
	v_cndmask_b32_e64 v138, v119, v138, s0
	v_cndmask_b32_e32 v140, v121, v140, vcc_lo
	v_cmp_gt_f64_e32 vcc_lo, 0, v[135:136]
	v_cmp_gt_f64_e64 s0, 0, v[133:134]
	v_mov_b32_e32 v141, v135
	v_add_f64 v[137:138], v[137:138], v[139:140]
	v_xor_b32_e32 v140, 0x80000000, v134
	v_mov_b32_e32 v139, v133
	v_cndmask_b32_e32 v142, v136, v142, vcc_lo
	v_cndmask_b32_e64 v140, v134, v140, s0
	v_add_f64 v[139:140], v[139:140], v[141:142]
	v_cmp_lt_f64_e32 vcc_lo, v[137:138], v[139:140]
	v_cndmask_b32_e32 v119, v119, v134, vcc_lo
	v_cndmask_b32_e32 v118, v118, v133, vcc_lo
	;; [unrolled: 1-line block ×4, first 2 shown]
	v_cndmask_b32_e64 v126, v126, s1, vcc_lo
	s_add_i32 s1, s1, 1
	s_cmp_lg_u32 s18, s1
	s_cbranch_scc1 .LBB56_337
.LBB56_338:
	s_inst_prefetch 0x2
	s_waitcnt lgkmcnt(0)
	v_cmp_eq_f64_e32 vcc_lo, 0, v[118:119]
	v_cmp_eq_f64_e64 s0, 0, v[120:121]
	s_and_b32 s0, vcc_lo, s0
	s_and_saveexec_b32 s1, s0
	s_xor_b32 s0, exec_lo, s1
; %bb.339:
	v_cmp_ne_u32_e32 vcc_lo, 0, v131
	v_cndmask_b32_e32 v131, 17, v131, vcc_lo
; %bb.340:
	s_andn2_saveexec_b32 s0, s0
	s_cbranch_execz .LBB56_346
; %bb.341:
	v_cmp_ngt_f64_e64 s1, |v[118:119]|, |v[120:121]|
	s_and_saveexec_b32 s2, s1
	s_xor_b32 s1, exec_lo, s2
	s_cbranch_execz .LBB56_343
; %bb.342:
	v_div_scale_f64 v[133:134], null, v[120:121], v[120:121], v[118:119]
	v_div_scale_f64 v[139:140], vcc_lo, v[118:119], v[120:121], v[118:119]
	v_rcp_f64_e32 v[135:136], v[133:134]
	v_fma_f64 v[137:138], -v[133:134], v[135:136], 1.0
	v_fma_f64 v[135:136], v[135:136], v[137:138], v[135:136]
	v_fma_f64 v[137:138], -v[133:134], v[135:136], 1.0
	v_fma_f64 v[135:136], v[135:136], v[137:138], v[135:136]
	v_mul_f64 v[137:138], v[139:140], v[135:136]
	v_fma_f64 v[133:134], -v[133:134], v[137:138], v[139:140]
	v_div_fmas_f64 v[133:134], v[133:134], v[135:136], v[137:138]
	v_div_fixup_f64 v[133:134], v[133:134], v[120:121], v[118:119]
	v_fma_f64 v[118:119], v[118:119], v[133:134], v[120:121]
	v_div_scale_f64 v[120:121], null, v[118:119], v[118:119], 1.0
	v_rcp_f64_e32 v[135:136], v[120:121]
	v_fma_f64 v[137:138], -v[120:121], v[135:136], 1.0
	v_fma_f64 v[135:136], v[135:136], v[137:138], v[135:136]
	v_fma_f64 v[137:138], -v[120:121], v[135:136], 1.0
	v_fma_f64 v[135:136], v[135:136], v[137:138], v[135:136]
	v_div_scale_f64 v[137:138], vcc_lo, 1.0, v[118:119], 1.0
	v_mul_f64 v[139:140], v[137:138], v[135:136]
	v_fma_f64 v[120:121], -v[120:121], v[139:140], v[137:138]
	v_div_fmas_f64 v[120:121], v[120:121], v[135:136], v[139:140]
	v_div_fixup_f64 v[120:121], v[120:121], v[118:119], 1.0
	v_mul_f64 v[118:119], v[133:134], v[120:121]
	v_xor_b32_e32 v121, 0x80000000, v121
.LBB56_343:
	s_andn2_saveexec_b32 s1, s1
	s_cbranch_execz .LBB56_345
; %bb.344:
	v_div_scale_f64 v[133:134], null, v[118:119], v[118:119], v[120:121]
	v_div_scale_f64 v[139:140], vcc_lo, v[120:121], v[118:119], v[120:121]
	v_rcp_f64_e32 v[135:136], v[133:134]
	v_fma_f64 v[137:138], -v[133:134], v[135:136], 1.0
	v_fma_f64 v[135:136], v[135:136], v[137:138], v[135:136]
	v_fma_f64 v[137:138], -v[133:134], v[135:136], 1.0
	v_fma_f64 v[135:136], v[135:136], v[137:138], v[135:136]
	v_mul_f64 v[137:138], v[139:140], v[135:136]
	v_fma_f64 v[133:134], -v[133:134], v[137:138], v[139:140]
	v_div_fmas_f64 v[133:134], v[133:134], v[135:136], v[137:138]
	v_div_fixup_f64 v[133:134], v[133:134], v[118:119], v[120:121]
	v_fma_f64 v[118:119], v[120:121], v[133:134], v[118:119]
	v_div_scale_f64 v[120:121], null, v[118:119], v[118:119], 1.0
	v_rcp_f64_e32 v[135:136], v[120:121]
	v_fma_f64 v[137:138], -v[120:121], v[135:136], 1.0
	v_fma_f64 v[135:136], v[135:136], v[137:138], v[135:136]
	v_fma_f64 v[137:138], -v[120:121], v[135:136], 1.0
	v_fma_f64 v[135:136], v[135:136], v[137:138], v[135:136]
	v_div_scale_f64 v[137:138], vcc_lo, 1.0, v[118:119], 1.0
	v_mul_f64 v[139:140], v[137:138], v[135:136]
	v_fma_f64 v[120:121], -v[120:121], v[139:140], v[137:138]
	v_div_fmas_f64 v[120:121], v[120:121], v[135:136], v[139:140]
	v_div_fixup_f64 v[118:119], v[120:121], v[118:119], 1.0
	v_mul_f64 v[120:121], v[133:134], -v[118:119]
.LBB56_345:
	s_or_b32 exec_lo, exec_lo, s1
.LBB56_346:
	s_or_b32 exec_lo, exec_lo, s0
	s_mov_b32 s0, exec_lo
	v_cmpx_ne_u32_e64 v132, v126
	s_xor_b32 s0, exec_lo, s0
	s_cbranch_execz .LBB56_352
; %bb.347:
	s_mov_b32 s1, exec_lo
	v_cmpx_eq_u32_e32 16, v132
	s_cbranch_execz .LBB56_351
; %bb.348:
	v_cmp_ne_u32_e32 vcc_lo, 16, v126
	s_xor_b32 s2, s16, -1
	s_and_b32 s3, s2, vcc_lo
	s_and_saveexec_b32 s2, s3
	s_cbranch_execz .LBB56_350
; %bb.349:
	v_ashrrev_i32_e32 v127, 31, v126
	v_lshlrev_b64 v[132:133], 2, v[126:127]
	v_add_co_u32 v132, vcc_lo, v124, v132
	v_add_co_ci_u32_e64 v133, null, v125, v133, vcc_lo
	s_clause 0x1
	global_load_dword v0, v[132:133], off
	global_load_dword v127, v[124:125], off offset:64
	s_waitcnt vmcnt(1)
	global_store_dword v[124:125], v0, off offset:64
	s_waitcnt vmcnt(0)
	global_store_dword v[132:133], v127, off
.LBB56_350:
	s_or_b32 exec_lo, exec_lo, s2
	v_mov_b32_e32 v132, v126
	v_mov_b32_e32 v0, v126
.LBB56_351:
	s_or_b32 exec_lo, exec_lo, s1
.LBB56_352:
	s_andn2_saveexec_b32 s0, s0
	s_cbranch_execz .LBB56_354
; %bb.353:
	v_mov_b32_e32 v132, 16
	ds_write2_b64 v1, v[46:47], v[48:49] offset0:34 offset1:35
	ds_write2_b64 v1, v[42:43], v[44:45] offset0:36 offset1:37
	;; [unrolled: 1-line block ×12, first 2 shown]
.LBB56_354:
	s_or_b32 exec_lo, exec_lo, s0
	s_mov_b32 s0, exec_lo
	s_waitcnt lgkmcnt(0)
	s_waitcnt_vscnt null, 0x0
	s_barrier
	buffer_gl0_inv
	v_cmpx_lt_i32_e32 16, v132
	s_cbranch_execz .LBB56_356
; %bb.355:
	v_mul_f64 v[126:127], v[118:119], v[52:53]
	v_mul_f64 v[52:53], v[120:121], v[52:53]
	v_fma_f64 v[126:127], v[120:121], v[50:51], v[126:127]
	v_fma_f64 v[50:51], v[118:119], v[50:51], -v[52:53]
	ds_read2_b64 v[118:121], v1 offset0:34 offset1:35
	s_waitcnt lgkmcnt(0)
	v_mul_f64 v[52:53], v[120:121], v[126:127]
	v_fma_f64 v[52:53], v[118:119], v[50:51], -v[52:53]
	v_mul_f64 v[118:119], v[118:119], v[126:127]
	v_add_f64 v[46:47], v[46:47], -v[52:53]
	v_fma_f64 v[118:119], v[120:121], v[50:51], v[118:119]
	v_add_f64 v[48:49], v[48:49], -v[118:119]
	ds_read2_b64 v[118:121], v1 offset0:36 offset1:37
	s_waitcnt lgkmcnt(0)
	v_mul_f64 v[52:53], v[120:121], v[126:127]
	v_fma_f64 v[52:53], v[118:119], v[50:51], -v[52:53]
	v_mul_f64 v[118:119], v[118:119], v[126:127]
	v_add_f64 v[42:43], v[42:43], -v[52:53]
	v_fma_f64 v[118:119], v[120:121], v[50:51], v[118:119]
	v_add_f64 v[44:45], v[44:45], -v[118:119]
	;; [unrolled: 8-line block ×11, first 2 shown]
	ds_read2_b64 v[118:121], v1 offset0:56 offset1:57
	s_waitcnt lgkmcnt(0)
	v_mul_f64 v[52:53], v[120:121], v[126:127]
	v_fma_f64 v[52:53], v[118:119], v[50:51], -v[52:53]
	v_mul_f64 v[118:119], v[118:119], v[126:127]
	v_add_f64 v[2:3], v[2:3], -v[52:53]
	v_fma_f64 v[118:119], v[120:121], v[50:51], v[118:119]
	v_mov_b32_e32 v52, v126
	v_mov_b32_e32 v53, v127
	v_add_f64 v[4:5], v[4:5], -v[118:119]
.LBB56_356:
	s_or_b32 exec_lo, exec_lo, s0
	v_lshl_add_u32 v118, v132, 4, v1
	s_barrier
	buffer_gl0_inv
	v_mov_b32_e32 v126, 17
	ds_write2_b64 v118, v[46:47], v[48:49] offset1:1
	s_waitcnt lgkmcnt(0)
	s_barrier
	buffer_gl0_inv
	ds_read2_b64 v[118:121], v1 offset0:34 offset1:35
	s_cmp_lt_i32 s18, 19
	s_cbranch_scc1 .LBB56_359
; %bb.357:
	v_add3_u32 v127, v128, 0, 0x120
	v_mov_b32_e32 v126, 17
	s_mov_b32 s1, 18
	s_inst_prefetch 0x1
	.p2align	6
.LBB56_358:                             ; =>This Inner Loop Header: Depth=1
	s_waitcnt lgkmcnt(0)
	v_cmp_gt_f64_e32 vcc_lo, 0, v[120:121]
	v_cmp_gt_f64_e64 s0, 0, v[118:119]
	ds_read2_b64 v[133:136], v127 offset1:1
	v_xor_b32_e32 v138, 0x80000000, v119
	v_xor_b32_e32 v140, 0x80000000, v121
	v_mov_b32_e32 v137, v118
	v_mov_b32_e32 v139, v120
	v_add_nc_u32_e32 v127, 16, v127
	s_waitcnt lgkmcnt(0)
	v_xor_b32_e32 v142, 0x80000000, v136
	v_cndmask_b32_e64 v138, v119, v138, s0
	v_cndmask_b32_e32 v140, v121, v140, vcc_lo
	v_cmp_gt_f64_e32 vcc_lo, 0, v[135:136]
	v_cmp_gt_f64_e64 s0, 0, v[133:134]
	v_mov_b32_e32 v141, v135
	v_add_f64 v[137:138], v[137:138], v[139:140]
	v_xor_b32_e32 v140, 0x80000000, v134
	v_mov_b32_e32 v139, v133
	v_cndmask_b32_e32 v142, v136, v142, vcc_lo
	v_cndmask_b32_e64 v140, v134, v140, s0
	v_add_f64 v[139:140], v[139:140], v[141:142]
	v_cmp_lt_f64_e32 vcc_lo, v[137:138], v[139:140]
	v_cndmask_b32_e32 v119, v119, v134, vcc_lo
	v_cndmask_b32_e32 v118, v118, v133, vcc_lo
	;; [unrolled: 1-line block ×4, first 2 shown]
	v_cndmask_b32_e64 v126, v126, s1, vcc_lo
	s_add_i32 s1, s1, 1
	s_cmp_lg_u32 s18, s1
	s_cbranch_scc1 .LBB56_358
.LBB56_359:
	s_inst_prefetch 0x2
	s_waitcnt lgkmcnt(0)
	v_cmp_eq_f64_e32 vcc_lo, 0, v[118:119]
	v_cmp_eq_f64_e64 s0, 0, v[120:121]
	s_and_b32 s0, vcc_lo, s0
	s_and_saveexec_b32 s1, s0
	s_xor_b32 s0, exec_lo, s1
; %bb.360:
	v_cmp_ne_u32_e32 vcc_lo, 0, v131
	v_cndmask_b32_e32 v131, 18, v131, vcc_lo
; %bb.361:
	s_andn2_saveexec_b32 s0, s0
	s_cbranch_execz .LBB56_367
; %bb.362:
	v_cmp_ngt_f64_e64 s1, |v[118:119]|, |v[120:121]|
	s_and_saveexec_b32 s2, s1
	s_xor_b32 s1, exec_lo, s2
	s_cbranch_execz .LBB56_364
; %bb.363:
	v_div_scale_f64 v[133:134], null, v[120:121], v[120:121], v[118:119]
	v_div_scale_f64 v[139:140], vcc_lo, v[118:119], v[120:121], v[118:119]
	v_rcp_f64_e32 v[135:136], v[133:134]
	v_fma_f64 v[137:138], -v[133:134], v[135:136], 1.0
	v_fma_f64 v[135:136], v[135:136], v[137:138], v[135:136]
	v_fma_f64 v[137:138], -v[133:134], v[135:136], 1.0
	v_fma_f64 v[135:136], v[135:136], v[137:138], v[135:136]
	v_mul_f64 v[137:138], v[139:140], v[135:136]
	v_fma_f64 v[133:134], -v[133:134], v[137:138], v[139:140]
	v_div_fmas_f64 v[133:134], v[133:134], v[135:136], v[137:138]
	v_div_fixup_f64 v[133:134], v[133:134], v[120:121], v[118:119]
	v_fma_f64 v[118:119], v[118:119], v[133:134], v[120:121]
	v_div_scale_f64 v[120:121], null, v[118:119], v[118:119], 1.0
	v_rcp_f64_e32 v[135:136], v[120:121]
	v_fma_f64 v[137:138], -v[120:121], v[135:136], 1.0
	v_fma_f64 v[135:136], v[135:136], v[137:138], v[135:136]
	v_fma_f64 v[137:138], -v[120:121], v[135:136], 1.0
	v_fma_f64 v[135:136], v[135:136], v[137:138], v[135:136]
	v_div_scale_f64 v[137:138], vcc_lo, 1.0, v[118:119], 1.0
	v_mul_f64 v[139:140], v[137:138], v[135:136]
	v_fma_f64 v[120:121], -v[120:121], v[139:140], v[137:138]
	v_div_fmas_f64 v[120:121], v[120:121], v[135:136], v[139:140]
	v_div_fixup_f64 v[120:121], v[120:121], v[118:119], 1.0
	v_mul_f64 v[118:119], v[133:134], v[120:121]
	v_xor_b32_e32 v121, 0x80000000, v121
.LBB56_364:
	s_andn2_saveexec_b32 s1, s1
	s_cbranch_execz .LBB56_366
; %bb.365:
	v_div_scale_f64 v[133:134], null, v[118:119], v[118:119], v[120:121]
	v_div_scale_f64 v[139:140], vcc_lo, v[120:121], v[118:119], v[120:121]
	v_rcp_f64_e32 v[135:136], v[133:134]
	v_fma_f64 v[137:138], -v[133:134], v[135:136], 1.0
	v_fma_f64 v[135:136], v[135:136], v[137:138], v[135:136]
	v_fma_f64 v[137:138], -v[133:134], v[135:136], 1.0
	v_fma_f64 v[135:136], v[135:136], v[137:138], v[135:136]
	v_mul_f64 v[137:138], v[139:140], v[135:136]
	v_fma_f64 v[133:134], -v[133:134], v[137:138], v[139:140]
	v_div_fmas_f64 v[133:134], v[133:134], v[135:136], v[137:138]
	v_div_fixup_f64 v[133:134], v[133:134], v[118:119], v[120:121]
	v_fma_f64 v[118:119], v[120:121], v[133:134], v[118:119]
	v_div_scale_f64 v[120:121], null, v[118:119], v[118:119], 1.0
	v_rcp_f64_e32 v[135:136], v[120:121]
	v_fma_f64 v[137:138], -v[120:121], v[135:136], 1.0
	v_fma_f64 v[135:136], v[135:136], v[137:138], v[135:136]
	v_fma_f64 v[137:138], -v[120:121], v[135:136], 1.0
	v_fma_f64 v[135:136], v[135:136], v[137:138], v[135:136]
	v_div_scale_f64 v[137:138], vcc_lo, 1.0, v[118:119], 1.0
	v_mul_f64 v[139:140], v[137:138], v[135:136]
	v_fma_f64 v[120:121], -v[120:121], v[139:140], v[137:138]
	v_div_fmas_f64 v[120:121], v[120:121], v[135:136], v[139:140]
	v_div_fixup_f64 v[118:119], v[120:121], v[118:119], 1.0
	v_mul_f64 v[120:121], v[133:134], -v[118:119]
.LBB56_366:
	s_or_b32 exec_lo, exec_lo, s1
.LBB56_367:
	s_or_b32 exec_lo, exec_lo, s0
	s_mov_b32 s0, exec_lo
	v_cmpx_ne_u32_e64 v132, v126
	s_xor_b32 s0, exec_lo, s0
	s_cbranch_execz .LBB56_373
; %bb.368:
	s_mov_b32 s1, exec_lo
	v_cmpx_eq_u32_e32 17, v132
	s_cbranch_execz .LBB56_372
; %bb.369:
	v_cmp_ne_u32_e32 vcc_lo, 17, v126
	s_xor_b32 s2, s16, -1
	s_and_b32 s3, s2, vcc_lo
	s_and_saveexec_b32 s2, s3
	s_cbranch_execz .LBB56_371
; %bb.370:
	v_ashrrev_i32_e32 v127, 31, v126
	v_lshlrev_b64 v[132:133], 2, v[126:127]
	v_add_co_u32 v132, vcc_lo, v124, v132
	v_add_co_ci_u32_e64 v133, null, v125, v133, vcc_lo
	s_clause 0x1
	global_load_dword v0, v[132:133], off
	global_load_dword v127, v[124:125], off offset:68
	s_waitcnt vmcnt(1)
	global_store_dword v[124:125], v0, off offset:68
	s_waitcnt vmcnt(0)
	global_store_dword v[132:133], v127, off
.LBB56_371:
	s_or_b32 exec_lo, exec_lo, s2
	v_mov_b32_e32 v132, v126
	v_mov_b32_e32 v0, v126
.LBB56_372:
	s_or_b32 exec_lo, exec_lo, s1
.LBB56_373:
	s_andn2_saveexec_b32 s0, s0
	s_cbranch_execz .LBB56_375
; %bb.374:
	v_mov_b32_e32 v132, 17
	ds_write2_b64 v1, v[42:43], v[44:45] offset0:36 offset1:37
	ds_write2_b64 v1, v[38:39], v[40:41] offset0:38 offset1:39
	;; [unrolled: 1-line block ×11, first 2 shown]
.LBB56_375:
	s_or_b32 exec_lo, exec_lo, s0
	s_mov_b32 s0, exec_lo
	s_waitcnt lgkmcnt(0)
	s_waitcnt_vscnt null, 0x0
	s_barrier
	buffer_gl0_inv
	v_cmpx_lt_i32_e32 17, v132
	s_cbranch_execz .LBB56_377
; %bb.376:
	v_mul_f64 v[126:127], v[118:119], v[48:49]
	v_mul_f64 v[48:49], v[120:121], v[48:49]
	v_fma_f64 v[126:127], v[120:121], v[46:47], v[126:127]
	v_fma_f64 v[46:47], v[118:119], v[46:47], -v[48:49]
	ds_read2_b64 v[118:121], v1 offset0:36 offset1:37
	s_waitcnt lgkmcnt(0)
	v_mul_f64 v[48:49], v[120:121], v[126:127]
	v_fma_f64 v[48:49], v[118:119], v[46:47], -v[48:49]
	v_mul_f64 v[118:119], v[118:119], v[126:127]
	v_add_f64 v[42:43], v[42:43], -v[48:49]
	v_fma_f64 v[118:119], v[120:121], v[46:47], v[118:119]
	v_add_f64 v[44:45], v[44:45], -v[118:119]
	ds_read2_b64 v[118:121], v1 offset0:38 offset1:39
	s_waitcnt lgkmcnt(0)
	v_mul_f64 v[48:49], v[120:121], v[126:127]
	v_fma_f64 v[48:49], v[118:119], v[46:47], -v[48:49]
	v_mul_f64 v[118:119], v[118:119], v[126:127]
	v_add_f64 v[38:39], v[38:39], -v[48:49]
	v_fma_f64 v[118:119], v[120:121], v[46:47], v[118:119]
	v_add_f64 v[40:41], v[40:41], -v[118:119]
	ds_read2_b64 v[118:121], v1 offset0:40 offset1:41
	s_waitcnt lgkmcnt(0)
	v_mul_f64 v[48:49], v[120:121], v[126:127]
	v_fma_f64 v[48:49], v[118:119], v[46:47], -v[48:49]
	v_mul_f64 v[118:119], v[118:119], v[126:127]
	v_add_f64 v[34:35], v[34:35], -v[48:49]
	v_fma_f64 v[118:119], v[120:121], v[46:47], v[118:119]
	v_add_f64 v[36:37], v[36:37], -v[118:119]
	ds_read2_b64 v[118:121], v1 offset0:42 offset1:43
	s_waitcnt lgkmcnt(0)
	v_mul_f64 v[48:49], v[120:121], v[126:127]
	v_fma_f64 v[48:49], v[118:119], v[46:47], -v[48:49]
	v_mul_f64 v[118:119], v[118:119], v[126:127]
	v_add_f64 v[30:31], v[30:31], -v[48:49]
	v_fma_f64 v[118:119], v[120:121], v[46:47], v[118:119]
	v_add_f64 v[32:33], v[32:33], -v[118:119]
	ds_read2_b64 v[118:121], v1 offset0:44 offset1:45
	s_waitcnt lgkmcnt(0)
	v_mul_f64 v[48:49], v[120:121], v[126:127]
	v_fma_f64 v[48:49], v[118:119], v[46:47], -v[48:49]
	v_mul_f64 v[118:119], v[118:119], v[126:127]
	v_add_f64 v[26:27], v[26:27], -v[48:49]
	v_fma_f64 v[118:119], v[120:121], v[46:47], v[118:119]
	v_add_f64 v[28:29], v[28:29], -v[118:119]
	ds_read2_b64 v[118:121], v1 offset0:46 offset1:47
	s_waitcnt lgkmcnt(0)
	v_mul_f64 v[48:49], v[120:121], v[126:127]
	v_fma_f64 v[48:49], v[118:119], v[46:47], -v[48:49]
	v_mul_f64 v[118:119], v[118:119], v[126:127]
	v_add_f64 v[22:23], v[22:23], -v[48:49]
	v_fma_f64 v[118:119], v[120:121], v[46:47], v[118:119]
	v_add_f64 v[24:25], v[24:25], -v[118:119]
	ds_read2_b64 v[118:121], v1 offset0:48 offset1:49
	s_waitcnt lgkmcnt(0)
	v_mul_f64 v[48:49], v[120:121], v[126:127]
	v_fma_f64 v[48:49], v[118:119], v[46:47], -v[48:49]
	v_mul_f64 v[118:119], v[118:119], v[126:127]
	v_add_f64 v[18:19], v[18:19], -v[48:49]
	v_fma_f64 v[118:119], v[120:121], v[46:47], v[118:119]
	v_add_f64 v[20:21], v[20:21], -v[118:119]
	ds_read2_b64 v[118:121], v1 offset0:50 offset1:51
	s_waitcnt lgkmcnt(0)
	v_mul_f64 v[48:49], v[120:121], v[126:127]
	v_fma_f64 v[48:49], v[118:119], v[46:47], -v[48:49]
	v_mul_f64 v[118:119], v[118:119], v[126:127]
	v_add_f64 v[14:15], v[14:15], -v[48:49]
	v_fma_f64 v[118:119], v[120:121], v[46:47], v[118:119]
	v_add_f64 v[16:17], v[16:17], -v[118:119]
	ds_read2_b64 v[118:121], v1 offset0:52 offset1:53
	s_waitcnt lgkmcnt(0)
	v_mul_f64 v[48:49], v[120:121], v[126:127]
	v_fma_f64 v[48:49], v[118:119], v[46:47], -v[48:49]
	v_mul_f64 v[118:119], v[118:119], v[126:127]
	v_add_f64 v[10:11], v[10:11], -v[48:49]
	v_fma_f64 v[118:119], v[120:121], v[46:47], v[118:119]
	v_add_f64 v[12:13], v[12:13], -v[118:119]
	ds_read2_b64 v[118:121], v1 offset0:54 offset1:55
	s_waitcnt lgkmcnt(0)
	v_mul_f64 v[48:49], v[120:121], v[126:127]
	v_fma_f64 v[48:49], v[118:119], v[46:47], -v[48:49]
	v_mul_f64 v[118:119], v[118:119], v[126:127]
	v_add_f64 v[6:7], v[6:7], -v[48:49]
	v_fma_f64 v[118:119], v[120:121], v[46:47], v[118:119]
	v_add_f64 v[8:9], v[8:9], -v[118:119]
	ds_read2_b64 v[118:121], v1 offset0:56 offset1:57
	s_waitcnt lgkmcnt(0)
	v_mul_f64 v[48:49], v[120:121], v[126:127]
	v_fma_f64 v[48:49], v[118:119], v[46:47], -v[48:49]
	v_mul_f64 v[118:119], v[118:119], v[126:127]
	v_add_f64 v[2:3], v[2:3], -v[48:49]
	v_fma_f64 v[118:119], v[120:121], v[46:47], v[118:119]
	v_mov_b32_e32 v48, v126
	v_mov_b32_e32 v49, v127
	v_add_f64 v[4:5], v[4:5], -v[118:119]
.LBB56_377:
	s_or_b32 exec_lo, exec_lo, s0
	v_lshl_add_u32 v118, v132, 4, v1
	s_barrier
	buffer_gl0_inv
	v_mov_b32_e32 v126, 18
	ds_write2_b64 v118, v[42:43], v[44:45] offset1:1
	s_waitcnt lgkmcnt(0)
	s_barrier
	buffer_gl0_inv
	ds_read2_b64 v[118:121], v1 offset0:36 offset1:37
	s_cmp_lt_i32 s18, 20
	s_cbranch_scc1 .LBB56_380
; %bb.378:
	v_add3_u32 v127, v128, 0, 0x130
	v_mov_b32_e32 v126, 18
	s_mov_b32 s1, 19
	s_inst_prefetch 0x1
	.p2align	6
.LBB56_379:                             ; =>This Inner Loop Header: Depth=1
	s_waitcnt lgkmcnt(0)
	v_cmp_gt_f64_e32 vcc_lo, 0, v[120:121]
	v_cmp_gt_f64_e64 s0, 0, v[118:119]
	ds_read2_b64 v[133:136], v127 offset1:1
	v_xor_b32_e32 v138, 0x80000000, v119
	v_xor_b32_e32 v140, 0x80000000, v121
	v_mov_b32_e32 v137, v118
	v_mov_b32_e32 v139, v120
	v_add_nc_u32_e32 v127, 16, v127
	s_waitcnt lgkmcnt(0)
	v_xor_b32_e32 v142, 0x80000000, v136
	v_cndmask_b32_e64 v138, v119, v138, s0
	v_cndmask_b32_e32 v140, v121, v140, vcc_lo
	v_cmp_gt_f64_e32 vcc_lo, 0, v[135:136]
	v_cmp_gt_f64_e64 s0, 0, v[133:134]
	v_mov_b32_e32 v141, v135
	v_add_f64 v[137:138], v[137:138], v[139:140]
	v_xor_b32_e32 v140, 0x80000000, v134
	v_mov_b32_e32 v139, v133
	v_cndmask_b32_e32 v142, v136, v142, vcc_lo
	v_cndmask_b32_e64 v140, v134, v140, s0
	v_add_f64 v[139:140], v[139:140], v[141:142]
	v_cmp_lt_f64_e32 vcc_lo, v[137:138], v[139:140]
	v_cndmask_b32_e32 v119, v119, v134, vcc_lo
	v_cndmask_b32_e32 v118, v118, v133, vcc_lo
	v_cndmask_b32_e32 v121, v121, v136, vcc_lo
	v_cndmask_b32_e32 v120, v120, v135, vcc_lo
	v_cndmask_b32_e64 v126, v126, s1, vcc_lo
	s_add_i32 s1, s1, 1
	s_cmp_lg_u32 s18, s1
	s_cbranch_scc1 .LBB56_379
.LBB56_380:
	s_inst_prefetch 0x2
	s_waitcnt lgkmcnt(0)
	v_cmp_eq_f64_e32 vcc_lo, 0, v[118:119]
	v_cmp_eq_f64_e64 s0, 0, v[120:121]
	s_and_b32 s0, vcc_lo, s0
	s_and_saveexec_b32 s1, s0
	s_xor_b32 s0, exec_lo, s1
; %bb.381:
	v_cmp_ne_u32_e32 vcc_lo, 0, v131
	v_cndmask_b32_e32 v131, 19, v131, vcc_lo
; %bb.382:
	s_andn2_saveexec_b32 s0, s0
	s_cbranch_execz .LBB56_388
; %bb.383:
	v_cmp_ngt_f64_e64 s1, |v[118:119]|, |v[120:121]|
	s_and_saveexec_b32 s2, s1
	s_xor_b32 s1, exec_lo, s2
	s_cbranch_execz .LBB56_385
; %bb.384:
	v_div_scale_f64 v[133:134], null, v[120:121], v[120:121], v[118:119]
	v_div_scale_f64 v[139:140], vcc_lo, v[118:119], v[120:121], v[118:119]
	v_rcp_f64_e32 v[135:136], v[133:134]
	v_fma_f64 v[137:138], -v[133:134], v[135:136], 1.0
	v_fma_f64 v[135:136], v[135:136], v[137:138], v[135:136]
	v_fma_f64 v[137:138], -v[133:134], v[135:136], 1.0
	v_fma_f64 v[135:136], v[135:136], v[137:138], v[135:136]
	v_mul_f64 v[137:138], v[139:140], v[135:136]
	v_fma_f64 v[133:134], -v[133:134], v[137:138], v[139:140]
	v_div_fmas_f64 v[133:134], v[133:134], v[135:136], v[137:138]
	v_div_fixup_f64 v[133:134], v[133:134], v[120:121], v[118:119]
	v_fma_f64 v[118:119], v[118:119], v[133:134], v[120:121]
	v_div_scale_f64 v[120:121], null, v[118:119], v[118:119], 1.0
	v_rcp_f64_e32 v[135:136], v[120:121]
	v_fma_f64 v[137:138], -v[120:121], v[135:136], 1.0
	v_fma_f64 v[135:136], v[135:136], v[137:138], v[135:136]
	v_fma_f64 v[137:138], -v[120:121], v[135:136], 1.0
	v_fma_f64 v[135:136], v[135:136], v[137:138], v[135:136]
	v_div_scale_f64 v[137:138], vcc_lo, 1.0, v[118:119], 1.0
	v_mul_f64 v[139:140], v[137:138], v[135:136]
	v_fma_f64 v[120:121], -v[120:121], v[139:140], v[137:138]
	v_div_fmas_f64 v[120:121], v[120:121], v[135:136], v[139:140]
	v_div_fixup_f64 v[120:121], v[120:121], v[118:119], 1.0
	v_mul_f64 v[118:119], v[133:134], v[120:121]
	v_xor_b32_e32 v121, 0x80000000, v121
.LBB56_385:
	s_andn2_saveexec_b32 s1, s1
	s_cbranch_execz .LBB56_387
; %bb.386:
	v_div_scale_f64 v[133:134], null, v[118:119], v[118:119], v[120:121]
	v_div_scale_f64 v[139:140], vcc_lo, v[120:121], v[118:119], v[120:121]
	v_rcp_f64_e32 v[135:136], v[133:134]
	v_fma_f64 v[137:138], -v[133:134], v[135:136], 1.0
	v_fma_f64 v[135:136], v[135:136], v[137:138], v[135:136]
	v_fma_f64 v[137:138], -v[133:134], v[135:136], 1.0
	v_fma_f64 v[135:136], v[135:136], v[137:138], v[135:136]
	v_mul_f64 v[137:138], v[139:140], v[135:136]
	v_fma_f64 v[133:134], -v[133:134], v[137:138], v[139:140]
	v_div_fmas_f64 v[133:134], v[133:134], v[135:136], v[137:138]
	v_div_fixup_f64 v[133:134], v[133:134], v[118:119], v[120:121]
	v_fma_f64 v[118:119], v[120:121], v[133:134], v[118:119]
	v_div_scale_f64 v[120:121], null, v[118:119], v[118:119], 1.0
	v_rcp_f64_e32 v[135:136], v[120:121]
	v_fma_f64 v[137:138], -v[120:121], v[135:136], 1.0
	v_fma_f64 v[135:136], v[135:136], v[137:138], v[135:136]
	v_fma_f64 v[137:138], -v[120:121], v[135:136], 1.0
	v_fma_f64 v[135:136], v[135:136], v[137:138], v[135:136]
	v_div_scale_f64 v[137:138], vcc_lo, 1.0, v[118:119], 1.0
	v_mul_f64 v[139:140], v[137:138], v[135:136]
	v_fma_f64 v[120:121], -v[120:121], v[139:140], v[137:138]
	v_div_fmas_f64 v[120:121], v[120:121], v[135:136], v[139:140]
	v_div_fixup_f64 v[118:119], v[120:121], v[118:119], 1.0
	v_mul_f64 v[120:121], v[133:134], -v[118:119]
.LBB56_387:
	s_or_b32 exec_lo, exec_lo, s1
.LBB56_388:
	s_or_b32 exec_lo, exec_lo, s0
	s_mov_b32 s0, exec_lo
	v_cmpx_ne_u32_e64 v132, v126
	s_xor_b32 s0, exec_lo, s0
	s_cbranch_execz .LBB56_394
; %bb.389:
	s_mov_b32 s1, exec_lo
	v_cmpx_eq_u32_e32 18, v132
	s_cbranch_execz .LBB56_393
; %bb.390:
	v_cmp_ne_u32_e32 vcc_lo, 18, v126
	s_xor_b32 s2, s16, -1
	s_and_b32 s3, s2, vcc_lo
	s_and_saveexec_b32 s2, s3
	s_cbranch_execz .LBB56_392
; %bb.391:
	v_ashrrev_i32_e32 v127, 31, v126
	v_lshlrev_b64 v[132:133], 2, v[126:127]
	v_add_co_u32 v132, vcc_lo, v124, v132
	v_add_co_ci_u32_e64 v133, null, v125, v133, vcc_lo
	s_clause 0x1
	global_load_dword v0, v[132:133], off
	global_load_dword v127, v[124:125], off offset:72
	s_waitcnt vmcnt(1)
	global_store_dword v[124:125], v0, off offset:72
	s_waitcnt vmcnt(0)
	global_store_dword v[132:133], v127, off
.LBB56_392:
	s_or_b32 exec_lo, exec_lo, s2
	v_mov_b32_e32 v132, v126
	v_mov_b32_e32 v0, v126
.LBB56_393:
	s_or_b32 exec_lo, exec_lo, s1
.LBB56_394:
	s_andn2_saveexec_b32 s0, s0
	s_cbranch_execz .LBB56_396
; %bb.395:
	v_mov_b32_e32 v132, 18
	ds_write2_b64 v1, v[38:39], v[40:41] offset0:38 offset1:39
	ds_write2_b64 v1, v[34:35], v[36:37] offset0:40 offset1:41
	;; [unrolled: 1-line block ×10, first 2 shown]
.LBB56_396:
	s_or_b32 exec_lo, exec_lo, s0
	s_mov_b32 s0, exec_lo
	s_waitcnt lgkmcnt(0)
	s_waitcnt_vscnt null, 0x0
	s_barrier
	buffer_gl0_inv
	v_cmpx_lt_i32_e32 18, v132
	s_cbranch_execz .LBB56_398
; %bb.397:
	v_mul_f64 v[126:127], v[118:119], v[44:45]
	v_mul_f64 v[44:45], v[120:121], v[44:45]
	v_fma_f64 v[126:127], v[120:121], v[42:43], v[126:127]
	v_fma_f64 v[42:43], v[118:119], v[42:43], -v[44:45]
	ds_read2_b64 v[118:121], v1 offset0:38 offset1:39
	s_waitcnt lgkmcnt(0)
	v_mul_f64 v[44:45], v[120:121], v[126:127]
	v_fma_f64 v[44:45], v[118:119], v[42:43], -v[44:45]
	v_mul_f64 v[118:119], v[118:119], v[126:127]
	v_add_f64 v[38:39], v[38:39], -v[44:45]
	v_fma_f64 v[118:119], v[120:121], v[42:43], v[118:119]
	v_add_f64 v[40:41], v[40:41], -v[118:119]
	ds_read2_b64 v[118:121], v1 offset0:40 offset1:41
	s_waitcnt lgkmcnt(0)
	v_mul_f64 v[44:45], v[120:121], v[126:127]
	v_fma_f64 v[44:45], v[118:119], v[42:43], -v[44:45]
	v_mul_f64 v[118:119], v[118:119], v[126:127]
	v_add_f64 v[34:35], v[34:35], -v[44:45]
	v_fma_f64 v[118:119], v[120:121], v[42:43], v[118:119]
	v_add_f64 v[36:37], v[36:37], -v[118:119]
	;; [unrolled: 8-line block ×9, first 2 shown]
	ds_read2_b64 v[118:121], v1 offset0:56 offset1:57
	s_waitcnt lgkmcnt(0)
	v_mul_f64 v[44:45], v[120:121], v[126:127]
	v_fma_f64 v[44:45], v[118:119], v[42:43], -v[44:45]
	v_mul_f64 v[118:119], v[118:119], v[126:127]
	v_add_f64 v[2:3], v[2:3], -v[44:45]
	v_fma_f64 v[118:119], v[120:121], v[42:43], v[118:119]
	v_mov_b32_e32 v44, v126
	v_mov_b32_e32 v45, v127
	v_add_f64 v[4:5], v[4:5], -v[118:119]
.LBB56_398:
	s_or_b32 exec_lo, exec_lo, s0
	v_lshl_add_u32 v118, v132, 4, v1
	s_barrier
	buffer_gl0_inv
	v_mov_b32_e32 v126, 19
	ds_write2_b64 v118, v[38:39], v[40:41] offset1:1
	s_waitcnt lgkmcnt(0)
	s_barrier
	buffer_gl0_inv
	ds_read2_b64 v[118:121], v1 offset0:38 offset1:39
	s_cmp_lt_i32 s18, 21
	s_cbranch_scc1 .LBB56_401
; %bb.399:
	v_add3_u32 v127, v128, 0, 0x140
	v_mov_b32_e32 v126, 19
	s_mov_b32 s1, 20
	s_inst_prefetch 0x1
	.p2align	6
.LBB56_400:                             ; =>This Inner Loop Header: Depth=1
	s_waitcnt lgkmcnt(0)
	v_cmp_gt_f64_e32 vcc_lo, 0, v[120:121]
	v_cmp_gt_f64_e64 s0, 0, v[118:119]
	ds_read2_b64 v[133:136], v127 offset1:1
	v_xor_b32_e32 v138, 0x80000000, v119
	v_xor_b32_e32 v140, 0x80000000, v121
	v_mov_b32_e32 v137, v118
	v_mov_b32_e32 v139, v120
	v_add_nc_u32_e32 v127, 16, v127
	s_waitcnt lgkmcnt(0)
	v_xor_b32_e32 v142, 0x80000000, v136
	v_cndmask_b32_e64 v138, v119, v138, s0
	v_cndmask_b32_e32 v140, v121, v140, vcc_lo
	v_cmp_gt_f64_e32 vcc_lo, 0, v[135:136]
	v_cmp_gt_f64_e64 s0, 0, v[133:134]
	v_mov_b32_e32 v141, v135
	v_add_f64 v[137:138], v[137:138], v[139:140]
	v_xor_b32_e32 v140, 0x80000000, v134
	v_mov_b32_e32 v139, v133
	v_cndmask_b32_e32 v142, v136, v142, vcc_lo
	v_cndmask_b32_e64 v140, v134, v140, s0
	v_add_f64 v[139:140], v[139:140], v[141:142]
	v_cmp_lt_f64_e32 vcc_lo, v[137:138], v[139:140]
	v_cndmask_b32_e32 v119, v119, v134, vcc_lo
	v_cndmask_b32_e32 v118, v118, v133, vcc_lo
	;; [unrolled: 1-line block ×4, first 2 shown]
	v_cndmask_b32_e64 v126, v126, s1, vcc_lo
	s_add_i32 s1, s1, 1
	s_cmp_lg_u32 s18, s1
	s_cbranch_scc1 .LBB56_400
.LBB56_401:
	s_inst_prefetch 0x2
	s_waitcnt lgkmcnt(0)
	v_cmp_eq_f64_e32 vcc_lo, 0, v[118:119]
	v_cmp_eq_f64_e64 s0, 0, v[120:121]
	s_and_b32 s0, vcc_lo, s0
	s_and_saveexec_b32 s1, s0
	s_xor_b32 s0, exec_lo, s1
; %bb.402:
	v_cmp_ne_u32_e32 vcc_lo, 0, v131
	v_cndmask_b32_e32 v131, 20, v131, vcc_lo
; %bb.403:
	s_andn2_saveexec_b32 s0, s0
	s_cbranch_execz .LBB56_409
; %bb.404:
	v_cmp_ngt_f64_e64 s1, |v[118:119]|, |v[120:121]|
	s_and_saveexec_b32 s2, s1
	s_xor_b32 s1, exec_lo, s2
	s_cbranch_execz .LBB56_406
; %bb.405:
	v_div_scale_f64 v[133:134], null, v[120:121], v[120:121], v[118:119]
	v_div_scale_f64 v[139:140], vcc_lo, v[118:119], v[120:121], v[118:119]
	v_rcp_f64_e32 v[135:136], v[133:134]
	v_fma_f64 v[137:138], -v[133:134], v[135:136], 1.0
	v_fma_f64 v[135:136], v[135:136], v[137:138], v[135:136]
	v_fma_f64 v[137:138], -v[133:134], v[135:136], 1.0
	v_fma_f64 v[135:136], v[135:136], v[137:138], v[135:136]
	v_mul_f64 v[137:138], v[139:140], v[135:136]
	v_fma_f64 v[133:134], -v[133:134], v[137:138], v[139:140]
	v_div_fmas_f64 v[133:134], v[133:134], v[135:136], v[137:138]
	v_div_fixup_f64 v[133:134], v[133:134], v[120:121], v[118:119]
	v_fma_f64 v[118:119], v[118:119], v[133:134], v[120:121]
	v_div_scale_f64 v[120:121], null, v[118:119], v[118:119], 1.0
	v_rcp_f64_e32 v[135:136], v[120:121]
	v_fma_f64 v[137:138], -v[120:121], v[135:136], 1.0
	v_fma_f64 v[135:136], v[135:136], v[137:138], v[135:136]
	v_fma_f64 v[137:138], -v[120:121], v[135:136], 1.0
	v_fma_f64 v[135:136], v[135:136], v[137:138], v[135:136]
	v_div_scale_f64 v[137:138], vcc_lo, 1.0, v[118:119], 1.0
	v_mul_f64 v[139:140], v[137:138], v[135:136]
	v_fma_f64 v[120:121], -v[120:121], v[139:140], v[137:138]
	v_div_fmas_f64 v[120:121], v[120:121], v[135:136], v[139:140]
	v_div_fixup_f64 v[120:121], v[120:121], v[118:119], 1.0
	v_mul_f64 v[118:119], v[133:134], v[120:121]
	v_xor_b32_e32 v121, 0x80000000, v121
.LBB56_406:
	s_andn2_saveexec_b32 s1, s1
	s_cbranch_execz .LBB56_408
; %bb.407:
	v_div_scale_f64 v[133:134], null, v[118:119], v[118:119], v[120:121]
	v_div_scale_f64 v[139:140], vcc_lo, v[120:121], v[118:119], v[120:121]
	v_rcp_f64_e32 v[135:136], v[133:134]
	v_fma_f64 v[137:138], -v[133:134], v[135:136], 1.0
	v_fma_f64 v[135:136], v[135:136], v[137:138], v[135:136]
	v_fma_f64 v[137:138], -v[133:134], v[135:136], 1.0
	v_fma_f64 v[135:136], v[135:136], v[137:138], v[135:136]
	v_mul_f64 v[137:138], v[139:140], v[135:136]
	v_fma_f64 v[133:134], -v[133:134], v[137:138], v[139:140]
	v_div_fmas_f64 v[133:134], v[133:134], v[135:136], v[137:138]
	v_div_fixup_f64 v[133:134], v[133:134], v[118:119], v[120:121]
	v_fma_f64 v[118:119], v[120:121], v[133:134], v[118:119]
	v_div_scale_f64 v[120:121], null, v[118:119], v[118:119], 1.0
	v_rcp_f64_e32 v[135:136], v[120:121]
	v_fma_f64 v[137:138], -v[120:121], v[135:136], 1.0
	v_fma_f64 v[135:136], v[135:136], v[137:138], v[135:136]
	v_fma_f64 v[137:138], -v[120:121], v[135:136], 1.0
	v_fma_f64 v[135:136], v[135:136], v[137:138], v[135:136]
	v_div_scale_f64 v[137:138], vcc_lo, 1.0, v[118:119], 1.0
	v_mul_f64 v[139:140], v[137:138], v[135:136]
	v_fma_f64 v[120:121], -v[120:121], v[139:140], v[137:138]
	v_div_fmas_f64 v[120:121], v[120:121], v[135:136], v[139:140]
	v_div_fixup_f64 v[118:119], v[120:121], v[118:119], 1.0
	v_mul_f64 v[120:121], v[133:134], -v[118:119]
.LBB56_408:
	s_or_b32 exec_lo, exec_lo, s1
.LBB56_409:
	s_or_b32 exec_lo, exec_lo, s0
	s_mov_b32 s0, exec_lo
	v_cmpx_ne_u32_e64 v132, v126
	s_xor_b32 s0, exec_lo, s0
	s_cbranch_execz .LBB56_415
; %bb.410:
	s_mov_b32 s1, exec_lo
	v_cmpx_eq_u32_e32 19, v132
	s_cbranch_execz .LBB56_414
; %bb.411:
	v_cmp_ne_u32_e32 vcc_lo, 19, v126
	s_xor_b32 s2, s16, -1
	s_and_b32 s3, s2, vcc_lo
	s_and_saveexec_b32 s2, s3
	s_cbranch_execz .LBB56_413
; %bb.412:
	v_ashrrev_i32_e32 v127, 31, v126
	v_lshlrev_b64 v[132:133], 2, v[126:127]
	v_add_co_u32 v132, vcc_lo, v124, v132
	v_add_co_ci_u32_e64 v133, null, v125, v133, vcc_lo
	s_clause 0x1
	global_load_dword v0, v[132:133], off
	global_load_dword v127, v[124:125], off offset:76
	s_waitcnt vmcnt(1)
	global_store_dword v[124:125], v0, off offset:76
	s_waitcnt vmcnt(0)
	global_store_dword v[132:133], v127, off
.LBB56_413:
	s_or_b32 exec_lo, exec_lo, s2
	v_mov_b32_e32 v132, v126
	v_mov_b32_e32 v0, v126
.LBB56_414:
	s_or_b32 exec_lo, exec_lo, s1
.LBB56_415:
	s_andn2_saveexec_b32 s0, s0
	s_cbranch_execz .LBB56_417
; %bb.416:
	v_mov_b32_e32 v132, 19
	ds_write2_b64 v1, v[34:35], v[36:37] offset0:40 offset1:41
	ds_write2_b64 v1, v[30:31], v[32:33] offset0:42 offset1:43
	ds_write2_b64 v1, v[26:27], v[28:29] offset0:44 offset1:45
	ds_write2_b64 v1, v[22:23], v[24:25] offset0:46 offset1:47
	ds_write2_b64 v1, v[18:19], v[20:21] offset0:48 offset1:49
	ds_write2_b64 v1, v[14:15], v[16:17] offset0:50 offset1:51
	ds_write2_b64 v1, v[10:11], v[12:13] offset0:52 offset1:53
	ds_write2_b64 v1, v[6:7], v[8:9] offset0:54 offset1:55
	ds_write2_b64 v1, v[2:3], v[4:5] offset0:56 offset1:57
.LBB56_417:
	s_or_b32 exec_lo, exec_lo, s0
	s_mov_b32 s0, exec_lo
	s_waitcnt lgkmcnt(0)
	s_waitcnt_vscnt null, 0x0
	s_barrier
	buffer_gl0_inv
	v_cmpx_lt_i32_e32 19, v132
	s_cbranch_execz .LBB56_419
; %bb.418:
	v_mul_f64 v[126:127], v[118:119], v[40:41]
	v_mul_f64 v[40:41], v[120:121], v[40:41]
	v_fma_f64 v[126:127], v[120:121], v[38:39], v[126:127]
	v_fma_f64 v[38:39], v[118:119], v[38:39], -v[40:41]
	ds_read2_b64 v[118:121], v1 offset0:40 offset1:41
	s_waitcnt lgkmcnt(0)
	v_mul_f64 v[40:41], v[120:121], v[126:127]
	v_fma_f64 v[40:41], v[118:119], v[38:39], -v[40:41]
	v_mul_f64 v[118:119], v[118:119], v[126:127]
	v_add_f64 v[34:35], v[34:35], -v[40:41]
	v_fma_f64 v[118:119], v[120:121], v[38:39], v[118:119]
	v_add_f64 v[36:37], v[36:37], -v[118:119]
	ds_read2_b64 v[118:121], v1 offset0:42 offset1:43
	s_waitcnt lgkmcnt(0)
	v_mul_f64 v[40:41], v[120:121], v[126:127]
	v_fma_f64 v[40:41], v[118:119], v[38:39], -v[40:41]
	v_mul_f64 v[118:119], v[118:119], v[126:127]
	v_add_f64 v[30:31], v[30:31], -v[40:41]
	v_fma_f64 v[118:119], v[120:121], v[38:39], v[118:119]
	v_add_f64 v[32:33], v[32:33], -v[118:119]
	;; [unrolled: 8-line block ×8, first 2 shown]
	ds_read2_b64 v[118:121], v1 offset0:56 offset1:57
	s_waitcnt lgkmcnt(0)
	v_mul_f64 v[40:41], v[120:121], v[126:127]
	v_fma_f64 v[40:41], v[118:119], v[38:39], -v[40:41]
	v_mul_f64 v[118:119], v[118:119], v[126:127]
	v_add_f64 v[2:3], v[2:3], -v[40:41]
	v_fma_f64 v[118:119], v[120:121], v[38:39], v[118:119]
	v_mov_b32_e32 v40, v126
	v_mov_b32_e32 v41, v127
	v_add_f64 v[4:5], v[4:5], -v[118:119]
.LBB56_419:
	s_or_b32 exec_lo, exec_lo, s0
	v_lshl_add_u32 v118, v132, 4, v1
	s_barrier
	buffer_gl0_inv
	v_mov_b32_e32 v126, 20
	ds_write2_b64 v118, v[34:35], v[36:37] offset1:1
	s_waitcnt lgkmcnt(0)
	s_barrier
	buffer_gl0_inv
	ds_read2_b64 v[118:121], v1 offset0:40 offset1:41
	s_cmp_lt_i32 s18, 22
	s_cbranch_scc1 .LBB56_422
; %bb.420:
	v_add3_u32 v127, v128, 0, 0x150
	v_mov_b32_e32 v126, 20
	s_mov_b32 s1, 21
	s_inst_prefetch 0x1
	.p2align	6
.LBB56_421:                             ; =>This Inner Loop Header: Depth=1
	s_waitcnt lgkmcnt(0)
	v_cmp_gt_f64_e32 vcc_lo, 0, v[120:121]
	v_cmp_gt_f64_e64 s0, 0, v[118:119]
	ds_read2_b64 v[133:136], v127 offset1:1
	v_xor_b32_e32 v138, 0x80000000, v119
	v_xor_b32_e32 v140, 0x80000000, v121
	v_mov_b32_e32 v137, v118
	v_mov_b32_e32 v139, v120
	v_add_nc_u32_e32 v127, 16, v127
	s_waitcnt lgkmcnt(0)
	v_xor_b32_e32 v142, 0x80000000, v136
	v_cndmask_b32_e64 v138, v119, v138, s0
	v_cndmask_b32_e32 v140, v121, v140, vcc_lo
	v_cmp_gt_f64_e32 vcc_lo, 0, v[135:136]
	v_cmp_gt_f64_e64 s0, 0, v[133:134]
	v_mov_b32_e32 v141, v135
	v_add_f64 v[137:138], v[137:138], v[139:140]
	v_xor_b32_e32 v140, 0x80000000, v134
	v_mov_b32_e32 v139, v133
	v_cndmask_b32_e32 v142, v136, v142, vcc_lo
	v_cndmask_b32_e64 v140, v134, v140, s0
	v_add_f64 v[139:140], v[139:140], v[141:142]
	v_cmp_lt_f64_e32 vcc_lo, v[137:138], v[139:140]
	v_cndmask_b32_e32 v119, v119, v134, vcc_lo
	v_cndmask_b32_e32 v118, v118, v133, vcc_lo
	;; [unrolled: 1-line block ×4, first 2 shown]
	v_cndmask_b32_e64 v126, v126, s1, vcc_lo
	s_add_i32 s1, s1, 1
	s_cmp_lg_u32 s18, s1
	s_cbranch_scc1 .LBB56_421
.LBB56_422:
	s_inst_prefetch 0x2
	s_waitcnt lgkmcnt(0)
	v_cmp_eq_f64_e32 vcc_lo, 0, v[118:119]
	v_cmp_eq_f64_e64 s0, 0, v[120:121]
	s_and_b32 s0, vcc_lo, s0
	s_and_saveexec_b32 s1, s0
	s_xor_b32 s0, exec_lo, s1
; %bb.423:
	v_cmp_ne_u32_e32 vcc_lo, 0, v131
	v_cndmask_b32_e32 v131, 21, v131, vcc_lo
; %bb.424:
	s_andn2_saveexec_b32 s0, s0
	s_cbranch_execz .LBB56_430
; %bb.425:
	v_cmp_ngt_f64_e64 s1, |v[118:119]|, |v[120:121]|
	s_and_saveexec_b32 s2, s1
	s_xor_b32 s1, exec_lo, s2
	s_cbranch_execz .LBB56_427
; %bb.426:
	v_div_scale_f64 v[133:134], null, v[120:121], v[120:121], v[118:119]
	v_div_scale_f64 v[139:140], vcc_lo, v[118:119], v[120:121], v[118:119]
	v_rcp_f64_e32 v[135:136], v[133:134]
	v_fma_f64 v[137:138], -v[133:134], v[135:136], 1.0
	v_fma_f64 v[135:136], v[135:136], v[137:138], v[135:136]
	v_fma_f64 v[137:138], -v[133:134], v[135:136], 1.0
	v_fma_f64 v[135:136], v[135:136], v[137:138], v[135:136]
	v_mul_f64 v[137:138], v[139:140], v[135:136]
	v_fma_f64 v[133:134], -v[133:134], v[137:138], v[139:140]
	v_div_fmas_f64 v[133:134], v[133:134], v[135:136], v[137:138]
	v_div_fixup_f64 v[133:134], v[133:134], v[120:121], v[118:119]
	v_fma_f64 v[118:119], v[118:119], v[133:134], v[120:121]
	v_div_scale_f64 v[120:121], null, v[118:119], v[118:119], 1.0
	v_rcp_f64_e32 v[135:136], v[120:121]
	v_fma_f64 v[137:138], -v[120:121], v[135:136], 1.0
	v_fma_f64 v[135:136], v[135:136], v[137:138], v[135:136]
	v_fma_f64 v[137:138], -v[120:121], v[135:136], 1.0
	v_fma_f64 v[135:136], v[135:136], v[137:138], v[135:136]
	v_div_scale_f64 v[137:138], vcc_lo, 1.0, v[118:119], 1.0
	v_mul_f64 v[139:140], v[137:138], v[135:136]
	v_fma_f64 v[120:121], -v[120:121], v[139:140], v[137:138]
	v_div_fmas_f64 v[120:121], v[120:121], v[135:136], v[139:140]
	v_div_fixup_f64 v[120:121], v[120:121], v[118:119], 1.0
	v_mul_f64 v[118:119], v[133:134], v[120:121]
	v_xor_b32_e32 v121, 0x80000000, v121
.LBB56_427:
	s_andn2_saveexec_b32 s1, s1
	s_cbranch_execz .LBB56_429
; %bb.428:
	v_div_scale_f64 v[133:134], null, v[118:119], v[118:119], v[120:121]
	v_div_scale_f64 v[139:140], vcc_lo, v[120:121], v[118:119], v[120:121]
	v_rcp_f64_e32 v[135:136], v[133:134]
	v_fma_f64 v[137:138], -v[133:134], v[135:136], 1.0
	v_fma_f64 v[135:136], v[135:136], v[137:138], v[135:136]
	v_fma_f64 v[137:138], -v[133:134], v[135:136], 1.0
	v_fma_f64 v[135:136], v[135:136], v[137:138], v[135:136]
	v_mul_f64 v[137:138], v[139:140], v[135:136]
	v_fma_f64 v[133:134], -v[133:134], v[137:138], v[139:140]
	v_div_fmas_f64 v[133:134], v[133:134], v[135:136], v[137:138]
	v_div_fixup_f64 v[133:134], v[133:134], v[118:119], v[120:121]
	v_fma_f64 v[118:119], v[120:121], v[133:134], v[118:119]
	v_div_scale_f64 v[120:121], null, v[118:119], v[118:119], 1.0
	v_rcp_f64_e32 v[135:136], v[120:121]
	v_fma_f64 v[137:138], -v[120:121], v[135:136], 1.0
	v_fma_f64 v[135:136], v[135:136], v[137:138], v[135:136]
	v_fma_f64 v[137:138], -v[120:121], v[135:136], 1.0
	v_fma_f64 v[135:136], v[135:136], v[137:138], v[135:136]
	v_div_scale_f64 v[137:138], vcc_lo, 1.0, v[118:119], 1.0
	v_mul_f64 v[139:140], v[137:138], v[135:136]
	v_fma_f64 v[120:121], -v[120:121], v[139:140], v[137:138]
	v_div_fmas_f64 v[120:121], v[120:121], v[135:136], v[139:140]
	v_div_fixup_f64 v[118:119], v[120:121], v[118:119], 1.0
	v_mul_f64 v[120:121], v[133:134], -v[118:119]
.LBB56_429:
	s_or_b32 exec_lo, exec_lo, s1
.LBB56_430:
	s_or_b32 exec_lo, exec_lo, s0
	s_mov_b32 s0, exec_lo
	v_cmpx_ne_u32_e64 v132, v126
	s_xor_b32 s0, exec_lo, s0
	s_cbranch_execz .LBB56_436
; %bb.431:
	s_mov_b32 s1, exec_lo
	v_cmpx_eq_u32_e32 20, v132
	s_cbranch_execz .LBB56_435
; %bb.432:
	v_cmp_ne_u32_e32 vcc_lo, 20, v126
	s_xor_b32 s2, s16, -1
	s_and_b32 s3, s2, vcc_lo
	s_and_saveexec_b32 s2, s3
	s_cbranch_execz .LBB56_434
; %bb.433:
	v_ashrrev_i32_e32 v127, 31, v126
	v_lshlrev_b64 v[132:133], 2, v[126:127]
	v_add_co_u32 v132, vcc_lo, v124, v132
	v_add_co_ci_u32_e64 v133, null, v125, v133, vcc_lo
	s_clause 0x1
	global_load_dword v0, v[132:133], off
	global_load_dword v127, v[124:125], off offset:80
	s_waitcnt vmcnt(1)
	global_store_dword v[124:125], v0, off offset:80
	s_waitcnt vmcnt(0)
	global_store_dword v[132:133], v127, off
.LBB56_434:
	s_or_b32 exec_lo, exec_lo, s2
	v_mov_b32_e32 v132, v126
	v_mov_b32_e32 v0, v126
.LBB56_435:
	s_or_b32 exec_lo, exec_lo, s1
.LBB56_436:
	s_andn2_saveexec_b32 s0, s0
	s_cbranch_execz .LBB56_438
; %bb.437:
	v_mov_b32_e32 v132, 20
	ds_write2_b64 v1, v[30:31], v[32:33] offset0:42 offset1:43
	ds_write2_b64 v1, v[26:27], v[28:29] offset0:44 offset1:45
	ds_write2_b64 v1, v[22:23], v[24:25] offset0:46 offset1:47
	ds_write2_b64 v1, v[18:19], v[20:21] offset0:48 offset1:49
	ds_write2_b64 v1, v[14:15], v[16:17] offset0:50 offset1:51
	ds_write2_b64 v1, v[10:11], v[12:13] offset0:52 offset1:53
	ds_write2_b64 v1, v[6:7], v[8:9] offset0:54 offset1:55
	ds_write2_b64 v1, v[2:3], v[4:5] offset0:56 offset1:57
.LBB56_438:
	s_or_b32 exec_lo, exec_lo, s0
	s_mov_b32 s0, exec_lo
	s_waitcnt lgkmcnt(0)
	s_waitcnt_vscnt null, 0x0
	s_barrier
	buffer_gl0_inv
	v_cmpx_lt_i32_e32 20, v132
	s_cbranch_execz .LBB56_440
; %bb.439:
	v_mul_f64 v[126:127], v[118:119], v[36:37]
	v_mul_f64 v[36:37], v[120:121], v[36:37]
	v_fma_f64 v[126:127], v[120:121], v[34:35], v[126:127]
	v_fma_f64 v[34:35], v[118:119], v[34:35], -v[36:37]
	ds_read2_b64 v[118:121], v1 offset0:42 offset1:43
	s_waitcnt lgkmcnt(0)
	v_mul_f64 v[36:37], v[120:121], v[126:127]
	v_fma_f64 v[36:37], v[118:119], v[34:35], -v[36:37]
	v_mul_f64 v[118:119], v[118:119], v[126:127]
	v_add_f64 v[30:31], v[30:31], -v[36:37]
	v_fma_f64 v[118:119], v[120:121], v[34:35], v[118:119]
	v_add_f64 v[32:33], v[32:33], -v[118:119]
	ds_read2_b64 v[118:121], v1 offset0:44 offset1:45
	s_waitcnt lgkmcnt(0)
	v_mul_f64 v[36:37], v[120:121], v[126:127]
	v_fma_f64 v[36:37], v[118:119], v[34:35], -v[36:37]
	v_mul_f64 v[118:119], v[118:119], v[126:127]
	v_add_f64 v[26:27], v[26:27], -v[36:37]
	v_fma_f64 v[118:119], v[120:121], v[34:35], v[118:119]
	v_add_f64 v[28:29], v[28:29], -v[118:119]
	;; [unrolled: 8-line block ×7, first 2 shown]
	ds_read2_b64 v[118:121], v1 offset0:56 offset1:57
	s_waitcnt lgkmcnt(0)
	v_mul_f64 v[36:37], v[120:121], v[126:127]
	v_fma_f64 v[36:37], v[118:119], v[34:35], -v[36:37]
	v_mul_f64 v[118:119], v[118:119], v[126:127]
	v_add_f64 v[2:3], v[2:3], -v[36:37]
	v_fma_f64 v[118:119], v[120:121], v[34:35], v[118:119]
	v_mov_b32_e32 v36, v126
	v_mov_b32_e32 v37, v127
	v_add_f64 v[4:5], v[4:5], -v[118:119]
.LBB56_440:
	s_or_b32 exec_lo, exec_lo, s0
	v_lshl_add_u32 v118, v132, 4, v1
	s_barrier
	buffer_gl0_inv
	v_mov_b32_e32 v126, 21
	ds_write2_b64 v118, v[30:31], v[32:33] offset1:1
	s_waitcnt lgkmcnt(0)
	s_barrier
	buffer_gl0_inv
	ds_read2_b64 v[118:121], v1 offset0:42 offset1:43
	s_cmp_lt_i32 s18, 23
	s_cbranch_scc1 .LBB56_443
; %bb.441:
	v_add3_u32 v127, v128, 0, 0x160
	v_mov_b32_e32 v126, 21
	s_mov_b32 s1, 22
	s_inst_prefetch 0x1
	.p2align	6
.LBB56_442:                             ; =>This Inner Loop Header: Depth=1
	s_waitcnt lgkmcnt(0)
	v_cmp_gt_f64_e32 vcc_lo, 0, v[120:121]
	v_cmp_gt_f64_e64 s0, 0, v[118:119]
	ds_read2_b64 v[133:136], v127 offset1:1
	v_xor_b32_e32 v138, 0x80000000, v119
	v_xor_b32_e32 v140, 0x80000000, v121
	v_mov_b32_e32 v137, v118
	v_mov_b32_e32 v139, v120
	v_add_nc_u32_e32 v127, 16, v127
	s_waitcnt lgkmcnt(0)
	v_xor_b32_e32 v142, 0x80000000, v136
	v_cndmask_b32_e64 v138, v119, v138, s0
	v_cndmask_b32_e32 v140, v121, v140, vcc_lo
	v_cmp_gt_f64_e32 vcc_lo, 0, v[135:136]
	v_cmp_gt_f64_e64 s0, 0, v[133:134]
	v_mov_b32_e32 v141, v135
	v_add_f64 v[137:138], v[137:138], v[139:140]
	v_xor_b32_e32 v140, 0x80000000, v134
	v_mov_b32_e32 v139, v133
	v_cndmask_b32_e32 v142, v136, v142, vcc_lo
	v_cndmask_b32_e64 v140, v134, v140, s0
	v_add_f64 v[139:140], v[139:140], v[141:142]
	v_cmp_lt_f64_e32 vcc_lo, v[137:138], v[139:140]
	v_cndmask_b32_e32 v119, v119, v134, vcc_lo
	v_cndmask_b32_e32 v118, v118, v133, vcc_lo
	v_cndmask_b32_e32 v121, v121, v136, vcc_lo
	v_cndmask_b32_e32 v120, v120, v135, vcc_lo
	v_cndmask_b32_e64 v126, v126, s1, vcc_lo
	s_add_i32 s1, s1, 1
	s_cmp_lg_u32 s18, s1
	s_cbranch_scc1 .LBB56_442
.LBB56_443:
	s_inst_prefetch 0x2
	s_waitcnt lgkmcnt(0)
	v_cmp_eq_f64_e32 vcc_lo, 0, v[118:119]
	v_cmp_eq_f64_e64 s0, 0, v[120:121]
	s_and_b32 s0, vcc_lo, s0
	s_and_saveexec_b32 s1, s0
	s_xor_b32 s0, exec_lo, s1
; %bb.444:
	v_cmp_ne_u32_e32 vcc_lo, 0, v131
	v_cndmask_b32_e32 v131, 22, v131, vcc_lo
; %bb.445:
	s_andn2_saveexec_b32 s0, s0
	s_cbranch_execz .LBB56_451
; %bb.446:
	v_cmp_ngt_f64_e64 s1, |v[118:119]|, |v[120:121]|
	s_and_saveexec_b32 s2, s1
	s_xor_b32 s1, exec_lo, s2
	s_cbranch_execz .LBB56_448
; %bb.447:
	v_div_scale_f64 v[133:134], null, v[120:121], v[120:121], v[118:119]
	v_div_scale_f64 v[139:140], vcc_lo, v[118:119], v[120:121], v[118:119]
	v_rcp_f64_e32 v[135:136], v[133:134]
	v_fma_f64 v[137:138], -v[133:134], v[135:136], 1.0
	v_fma_f64 v[135:136], v[135:136], v[137:138], v[135:136]
	v_fma_f64 v[137:138], -v[133:134], v[135:136], 1.0
	v_fma_f64 v[135:136], v[135:136], v[137:138], v[135:136]
	v_mul_f64 v[137:138], v[139:140], v[135:136]
	v_fma_f64 v[133:134], -v[133:134], v[137:138], v[139:140]
	v_div_fmas_f64 v[133:134], v[133:134], v[135:136], v[137:138]
	v_div_fixup_f64 v[133:134], v[133:134], v[120:121], v[118:119]
	v_fma_f64 v[118:119], v[118:119], v[133:134], v[120:121]
	v_div_scale_f64 v[120:121], null, v[118:119], v[118:119], 1.0
	v_rcp_f64_e32 v[135:136], v[120:121]
	v_fma_f64 v[137:138], -v[120:121], v[135:136], 1.0
	v_fma_f64 v[135:136], v[135:136], v[137:138], v[135:136]
	v_fma_f64 v[137:138], -v[120:121], v[135:136], 1.0
	v_fma_f64 v[135:136], v[135:136], v[137:138], v[135:136]
	v_div_scale_f64 v[137:138], vcc_lo, 1.0, v[118:119], 1.0
	v_mul_f64 v[139:140], v[137:138], v[135:136]
	v_fma_f64 v[120:121], -v[120:121], v[139:140], v[137:138]
	v_div_fmas_f64 v[120:121], v[120:121], v[135:136], v[139:140]
	v_div_fixup_f64 v[120:121], v[120:121], v[118:119], 1.0
	v_mul_f64 v[118:119], v[133:134], v[120:121]
	v_xor_b32_e32 v121, 0x80000000, v121
.LBB56_448:
	s_andn2_saveexec_b32 s1, s1
	s_cbranch_execz .LBB56_450
; %bb.449:
	v_div_scale_f64 v[133:134], null, v[118:119], v[118:119], v[120:121]
	v_div_scale_f64 v[139:140], vcc_lo, v[120:121], v[118:119], v[120:121]
	v_rcp_f64_e32 v[135:136], v[133:134]
	v_fma_f64 v[137:138], -v[133:134], v[135:136], 1.0
	v_fma_f64 v[135:136], v[135:136], v[137:138], v[135:136]
	v_fma_f64 v[137:138], -v[133:134], v[135:136], 1.0
	v_fma_f64 v[135:136], v[135:136], v[137:138], v[135:136]
	v_mul_f64 v[137:138], v[139:140], v[135:136]
	v_fma_f64 v[133:134], -v[133:134], v[137:138], v[139:140]
	v_div_fmas_f64 v[133:134], v[133:134], v[135:136], v[137:138]
	v_div_fixup_f64 v[133:134], v[133:134], v[118:119], v[120:121]
	v_fma_f64 v[118:119], v[120:121], v[133:134], v[118:119]
	v_div_scale_f64 v[120:121], null, v[118:119], v[118:119], 1.0
	v_rcp_f64_e32 v[135:136], v[120:121]
	v_fma_f64 v[137:138], -v[120:121], v[135:136], 1.0
	v_fma_f64 v[135:136], v[135:136], v[137:138], v[135:136]
	v_fma_f64 v[137:138], -v[120:121], v[135:136], 1.0
	v_fma_f64 v[135:136], v[135:136], v[137:138], v[135:136]
	v_div_scale_f64 v[137:138], vcc_lo, 1.0, v[118:119], 1.0
	v_mul_f64 v[139:140], v[137:138], v[135:136]
	v_fma_f64 v[120:121], -v[120:121], v[139:140], v[137:138]
	v_div_fmas_f64 v[120:121], v[120:121], v[135:136], v[139:140]
	v_div_fixup_f64 v[118:119], v[120:121], v[118:119], 1.0
	v_mul_f64 v[120:121], v[133:134], -v[118:119]
.LBB56_450:
	s_or_b32 exec_lo, exec_lo, s1
.LBB56_451:
	s_or_b32 exec_lo, exec_lo, s0
	s_mov_b32 s0, exec_lo
	v_cmpx_ne_u32_e64 v132, v126
	s_xor_b32 s0, exec_lo, s0
	s_cbranch_execz .LBB56_457
; %bb.452:
	s_mov_b32 s1, exec_lo
	v_cmpx_eq_u32_e32 21, v132
	s_cbranch_execz .LBB56_456
; %bb.453:
	v_cmp_ne_u32_e32 vcc_lo, 21, v126
	s_xor_b32 s2, s16, -1
	s_and_b32 s3, s2, vcc_lo
	s_and_saveexec_b32 s2, s3
	s_cbranch_execz .LBB56_455
; %bb.454:
	v_ashrrev_i32_e32 v127, 31, v126
	v_lshlrev_b64 v[132:133], 2, v[126:127]
	v_add_co_u32 v132, vcc_lo, v124, v132
	v_add_co_ci_u32_e64 v133, null, v125, v133, vcc_lo
	s_clause 0x1
	global_load_dword v0, v[132:133], off
	global_load_dword v127, v[124:125], off offset:84
	s_waitcnt vmcnt(1)
	global_store_dword v[124:125], v0, off offset:84
	s_waitcnt vmcnt(0)
	global_store_dword v[132:133], v127, off
.LBB56_455:
	s_or_b32 exec_lo, exec_lo, s2
	v_mov_b32_e32 v132, v126
	v_mov_b32_e32 v0, v126
.LBB56_456:
	s_or_b32 exec_lo, exec_lo, s1
.LBB56_457:
	s_andn2_saveexec_b32 s0, s0
	s_cbranch_execz .LBB56_459
; %bb.458:
	v_mov_b32_e32 v132, 21
	ds_write2_b64 v1, v[26:27], v[28:29] offset0:44 offset1:45
	ds_write2_b64 v1, v[22:23], v[24:25] offset0:46 offset1:47
	ds_write2_b64 v1, v[18:19], v[20:21] offset0:48 offset1:49
	ds_write2_b64 v1, v[14:15], v[16:17] offset0:50 offset1:51
	ds_write2_b64 v1, v[10:11], v[12:13] offset0:52 offset1:53
	ds_write2_b64 v1, v[6:7], v[8:9] offset0:54 offset1:55
	ds_write2_b64 v1, v[2:3], v[4:5] offset0:56 offset1:57
.LBB56_459:
	s_or_b32 exec_lo, exec_lo, s0
	s_mov_b32 s0, exec_lo
	s_waitcnt lgkmcnt(0)
	s_waitcnt_vscnt null, 0x0
	s_barrier
	buffer_gl0_inv
	v_cmpx_lt_i32_e32 21, v132
	s_cbranch_execz .LBB56_461
; %bb.460:
	v_mul_f64 v[126:127], v[118:119], v[32:33]
	v_mul_f64 v[32:33], v[120:121], v[32:33]
	v_fma_f64 v[126:127], v[120:121], v[30:31], v[126:127]
	v_fma_f64 v[30:31], v[118:119], v[30:31], -v[32:33]
	ds_read2_b64 v[118:121], v1 offset0:44 offset1:45
	s_waitcnt lgkmcnt(0)
	v_mul_f64 v[32:33], v[120:121], v[126:127]
	v_fma_f64 v[32:33], v[118:119], v[30:31], -v[32:33]
	v_mul_f64 v[118:119], v[118:119], v[126:127]
	v_add_f64 v[26:27], v[26:27], -v[32:33]
	v_fma_f64 v[118:119], v[120:121], v[30:31], v[118:119]
	v_add_f64 v[28:29], v[28:29], -v[118:119]
	ds_read2_b64 v[118:121], v1 offset0:46 offset1:47
	s_waitcnt lgkmcnt(0)
	v_mul_f64 v[32:33], v[120:121], v[126:127]
	v_fma_f64 v[32:33], v[118:119], v[30:31], -v[32:33]
	v_mul_f64 v[118:119], v[118:119], v[126:127]
	v_add_f64 v[22:23], v[22:23], -v[32:33]
	v_fma_f64 v[118:119], v[120:121], v[30:31], v[118:119]
	v_add_f64 v[24:25], v[24:25], -v[118:119]
	;; [unrolled: 8-line block ×6, first 2 shown]
	ds_read2_b64 v[118:121], v1 offset0:56 offset1:57
	s_waitcnt lgkmcnt(0)
	v_mul_f64 v[32:33], v[120:121], v[126:127]
	v_fma_f64 v[32:33], v[118:119], v[30:31], -v[32:33]
	v_mul_f64 v[118:119], v[118:119], v[126:127]
	v_add_f64 v[2:3], v[2:3], -v[32:33]
	v_fma_f64 v[118:119], v[120:121], v[30:31], v[118:119]
	v_mov_b32_e32 v32, v126
	v_mov_b32_e32 v33, v127
	v_add_f64 v[4:5], v[4:5], -v[118:119]
.LBB56_461:
	s_or_b32 exec_lo, exec_lo, s0
	v_lshl_add_u32 v118, v132, 4, v1
	s_barrier
	buffer_gl0_inv
	v_mov_b32_e32 v126, 22
	ds_write2_b64 v118, v[26:27], v[28:29] offset1:1
	s_waitcnt lgkmcnt(0)
	s_barrier
	buffer_gl0_inv
	ds_read2_b64 v[118:121], v1 offset0:44 offset1:45
	s_cmp_lt_i32 s18, 24
	s_cbranch_scc1 .LBB56_464
; %bb.462:
	v_add3_u32 v127, v128, 0, 0x170
	v_mov_b32_e32 v126, 22
	s_mov_b32 s1, 23
	s_inst_prefetch 0x1
	.p2align	6
.LBB56_463:                             ; =>This Inner Loop Header: Depth=1
	s_waitcnt lgkmcnt(0)
	v_cmp_gt_f64_e32 vcc_lo, 0, v[120:121]
	v_cmp_gt_f64_e64 s0, 0, v[118:119]
	ds_read2_b64 v[133:136], v127 offset1:1
	v_xor_b32_e32 v138, 0x80000000, v119
	v_xor_b32_e32 v140, 0x80000000, v121
	v_mov_b32_e32 v137, v118
	v_mov_b32_e32 v139, v120
	v_add_nc_u32_e32 v127, 16, v127
	s_waitcnt lgkmcnt(0)
	v_xor_b32_e32 v142, 0x80000000, v136
	v_cndmask_b32_e64 v138, v119, v138, s0
	v_cndmask_b32_e32 v140, v121, v140, vcc_lo
	v_cmp_gt_f64_e32 vcc_lo, 0, v[135:136]
	v_cmp_gt_f64_e64 s0, 0, v[133:134]
	v_mov_b32_e32 v141, v135
	v_add_f64 v[137:138], v[137:138], v[139:140]
	v_xor_b32_e32 v140, 0x80000000, v134
	v_mov_b32_e32 v139, v133
	v_cndmask_b32_e32 v142, v136, v142, vcc_lo
	v_cndmask_b32_e64 v140, v134, v140, s0
	v_add_f64 v[139:140], v[139:140], v[141:142]
	v_cmp_lt_f64_e32 vcc_lo, v[137:138], v[139:140]
	v_cndmask_b32_e32 v119, v119, v134, vcc_lo
	v_cndmask_b32_e32 v118, v118, v133, vcc_lo
	;; [unrolled: 1-line block ×4, first 2 shown]
	v_cndmask_b32_e64 v126, v126, s1, vcc_lo
	s_add_i32 s1, s1, 1
	s_cmp_lg_u32 s18, s1
	s_cbranch_scc1 .LBB56_463
.LBB56_464:
	s_inst_prefetch 0x2
	s_waitcnt lgkmcnt(0)
	v_cmp_eq_f64_e32 vcc_lo, 0, v[118:119]
	v_cmp_eq_f64_e64 s0, 0, v[120:121]
	s_and_b32 s0, vcc_lo, s0
	s_and_saveexec_b32 s1, s0
	s_xor_b32 s0, exec_lo, s1
; %bb.465:
	v_cmp_ne_u32_e32 vcc_lo, 0, v131
	v_cndmask_b32_e32 v131, 23, v131, vcc_lo
; %bb.466:
	s_andn2_saveexec_b32 s0, s0
	s_cbranch_execz .LBB56_472
; %bb.467:
	v_cmp_ngt_f64_e64 s1, |v[118:119]|, |v[120:121]|
	s_and_saveexec_b32 s2, s1
	s_xor_b32 s1, exec_lo, s2
	s_cbranch_execz .LBB56_469
; %bb.468:
	v_div_scale_f64 v[133:134], null, v[120:121], v[120:121], v[118:119]
	v_div_scale_f64 v[139:140], vcc_lo, v[118:119], v[120:121], v[118:119]
	v_rcp_f64_e32 v[135:136], v[133:134]
	v_fma_f64 v[137:138], -v[133:134], v[135:136], 1.0
	v_fma_f64 v[135:136], v[135:136], v[137:138], v[135:136]
	v_fma_f64 v[137:138], -v[133:134], v[135:136], 1.0
	v_fma_f64 v[135:136], v[135:136], v[137:138], v[135:136]
	v_mul_f64 v[137:138], v[139:140], v[135:136]
	v_fma_f64 v[133:134], -v[133:134], v[137:138], v[139:140]
	v_div_fmas_f64 v[133:134], v[133:134], v[135:136], v[137:138]
	v_div_fixup_f64 v[133:134], v[133:134], v[120:121], v[118:119]
	v_fma_f64 v[118:119], v[118:119], v[133:134], v[120:121]
	v_div_scale_f64 v[120:121], null, v[118:119], v[118:119], 1.0
	v_rcp_f64_e32 v[135:136], v[120:121]
	v_fma_f64 v[137:138], -v[120:121], v[135:136], 1.0
	v_fma_f64 v[135:136], v[135:136], v[137:138], v[135:136]
	v_fma_f64 v[137:138], -v[120:121], v[135:136], 1.0
	v_fma_f64 v[135:136], v[135:136], v[137:138], v[135:136]
	v_div_scale_f64 v[137:138], vcc_lo, 1.0, v[118:119], 1.0
	v_mul_f64 v[139:140], v[137:138], v[135:136]
	v_fma_f64 v[120:121], -v[120:121], v[139:140], v[137:138]
	v_div_fmas_f64 v[120:121], v[120:121], v[135:136], v[139:140]
	v_div_fixup_f64 v[120:121], v[120:121], v[118:119], 1.0
	v_mul_f64 v[118:119], v[133:134], v[120:121]
	v_xor_b32_e32 v121, 0x80000000, v121
.LBB56_469:
	s_andn2_saveexec_b32 s1, s1
	s_cbranch_execz .LBB56_471
; %bb.470:
	v_div_scale_f64 v[133:134], null, v[118:119], v[118:119], v[120:121]
	v_div_scale_f64 v[139:140], vcc_lo, v[120:121], v[118:119], v[120:121]
	v_rcp_f64_e32 v[135:136], v[133:134]
	v_fma_f64 v[137:138], -v[133:134], v[135:136], 1.0
	v_fma_f64 v[135:136], v[135:136], v[137:138], v[135:136]
	v_fma_f64 v[137:138], -v[133:134], v[135:136], 1.0
	v_fma_f64 v[135:136], v[135:136], v[137:138], v[135:136]
	v_mul_f64 v[137:138], v[139:140], v[135:136]
	v_fma_f64 v[133:134], -v[133:134], v[137:138], v[139:140]
	v_div_fmas_f64 v[133:134], v[133:134], v[135:136], v[137:138]
	v_div_fixup_f64 v[133:134], v[133:134], v[118:119], v[120:121]
	v_fma_f64 v[118:119], v[120:121], v[133:134], v[118:119]
	v_div_scale_f64 v[120:121], null, v[118:119], v[118:119], 1.0
	v_rcp_f64_e32 v[135:136], v[120:121]
	v_fma_f64 v[137:138], -v[120:121], v[135:136], 1.0
	v_fma_f64 v[135:136], v[135:136], v[137:138], v[135:136]
	v_fma_f64 v[137:138], -v[120:121], v[135:136], 1.0
	v_fma_f64 v[135:136], v[135:136], v[137:138], v[135:136]
	v_div_scale_f64 v[137:138], vcc_lo, 1.0, v[118:119], 1.0
	v_mul_f64 v[139:140], v[137:138], v[135:136]
	v_fma_f64 v[120:121], -v[120:121], v[139:140], v[137:138]
	v_div_fmas_f64 v[120:121], v[120:121], v[135:136], v[139:140]
	v_div_fixup_f64 v[118:119], v[120:121], v[118:119], 1.0
	v_mul_f64 v[120:121], v[133:134], -v[118:119]
.LBB56_471:
	s_or_b32 exec_lo, exec_lo, s1
.LBB56_472:
	s_or_b32 exec_lo, exec_lo, s0
	s_mov_b32 s0, exec_lo
	v_cmpx_ne_u32_e64 v132, v126
	s_xor_b32 s0, exec_lo, s0
	s_cbranch_execz .LBB56_478
; %bb.473:
	s_mov_b32 s1, exec_lo
	v_cmpx_eq_u32_e32 22, v132
	s_cbranch_execz .LBB56_477
; %bb.474:
	v_cmp_ne_u32_e32 vcc_lo, 22, v126
	s_xor_b32 s2, s16, -1
	s_and_b32 s3, s2, vcc_lo
	s_and_saveexec_b32 s2, s3
	s_cbranch_execz .LBB56_476
; %bb.475:
	v_ashrrev_i32_e32 v127, 31, v126
	v_lshlrev_b64 v[132:133], 2, v[126:127]
	v_add_co_u32 v132, vcc_lo, v124, v132
	v_add_co_ci_u32_e64 v133, null, v125, v133, vcc_lo
	s_clause 0x1
	global_load_dword v0, v[132:133], off
	global_load_dword v127, v[124:125], off offset:88
	s_waitcnt vmcnt(1)
	global_store_dword v[124:125], v0, off offset:88
	s_waitcnt vmcnt(0)
	global_store_dword v[132:133], v127, off
.LBB56_476:
	s_or_b32 exec_lo, exec_lo, s2
	v_mov_b32_e32 v132, v126
	v_mov_b32_e32 v0, v126
.LBB56_477:
	s_or_b32 exec_lo, exec_lo, s1
.LBB56_478:
	s_andn2_saveexec_b32 s0, s0
	s_cbranch_execz .LBB56_480
; %bb.479:
	v_mov_b32_e32 v132, 22
	ds_write2_b64 v1, v[22:23], v[24:25] offset0:46 offset1:47
	ds_write2_b64 v1, v[18:19], v[20:21] offset0:48 offset1:49
	;; [unrolled: 1-line block ×6, first 2 shown]
.LBB56_480:
	s_or_b32 exec_lo, exec_lo, s0
	s_mov_b32 s0, exec_lo
	s_waitcnt lgkmcnt(0)
	s_waitcnt_vscnt null, 0x0
	s_barrier
	buffer_gl0_inv
	v_cmpx_lt_i32_e32 22, v132
	s_cbranch_execz .LBB56_482
; %bb.481:
	v_mul_f64 v[126:127], v[118:119], v[28:29]
	v_mul_f64 v[28:29], v[120:121], v[28:29]
	v_fma_f64 v[126:127], v[120:121], v[26:27], v[126:127]
	v_fma_f64 v[26:27], v[118:119], v[26:27], -v[28:29]
	ds_read2_b64 v[118:121], v1 offset0:46 offset1:47
	s_waitcnt lgkmcnt(0)
	v_mul_f64 v[28:29], v[120:121], v[126:127]
	v_fma_f64 v[28:29], v[118:119], v[26:27], -v[28:29]
	v_mul_f64 v[118:119], v[118:119], v[126:127]
	v_add_f64 v[22:23], v[22:23], -v[28:29]
	v_fma_f64 v[118:119], v[120:121], v[26:27], v[118:119]
	v_add_f64 v[24:25], v[24:25], -v[118:119]
	ds_read2_b64 v[118:121], v1 offset0:48 offset1:49
	s_waitcnt lgkmcnt(0)
	v_mul_f64 v[28:29], v[120:121], v[126:127]
	v_fma_f64 v[28:29], v[118:119], v[26:27], -v[28:29]
	v_mul_f64 v[118:119], v[118:119], v[126:127]
	v_add_f64 v[18:19], v[18:19], -v[28:29]
	v_fma_f64 v[118:119], v[120:121], v[26:27], v[118:119]
	v_add_f64 v[20:21], v[20:21], -v[118:119]
	;; [unrolled: 8-line block ×5, first 2 shown]
	ds_read2_b64 v[118:121], v1 offset0:56 offset1:57
	s_waitcnt lgkmcnt(0)
	v_mul_f64 v[28:29], v[120:121], v[126:127]
	v_fma_f64 v[28:29], v[118:119], v[26:27], -v[28:29]
	v_mul_f64 v[118:119], v[118:119], v[126:127]
	v_add_f64 v[2:3], v[2:3], -v[28:29]
	v_fma_f64 v[118:119], v[120:121], v[26:27], v[118:119]
	v_mov_b32_e32 v28, v126
	v_mov_b32_e32 v29, v127
	v_add_f64 v[4:5], v[4:5], -v[118:119]
.LBB56_482:
	s_or_b32 exec_lo, exec_lo, s0
	v_lshl_add_u32 v118, v132, 4, v1
	s_barrier
	buffer_gl0_inv
	v_mov_b32_e32 v126, 23
	ds_write2_b64 v118, v[22:23], v[24:25] offset1:1
	s_waitcnt lgkmcnt(0)
	s_barrier
	buffer_gl0_inv
	ds_read2_b64 v[118:121], v1 offset0:46 offset1:47
	s_cmp_lt_i32 s18, 25
	s_cbranch_scc1 .LBB56_485
; %bb.483:
	v_add3_u32 v127, v128, 0, 0x180
	v_mov_b32_e32 v126, 23
	s_mov_b32 s1, 24
	s_inst_prefetch 0x1
	.p2align	6
.LBB56_484:                             ; =>This Inner Loop Header: Depth=1
	s_waitcnt lgkmcnt(0)
	v_cmp_gt_f64_e32 vcc_lo, 0, v[120:121]
	v_cmp_gt_f64_e64 s0, 0, v[118:119]
	ds_read2_b64 v[133:136], v127 offset1:1
	v_xor_b32_e32 v138, 0x80000000, v119
	v_xor_b32_e32 v140, 0x80000000, v121
	v_mov_b32_e32 v137, v118
	v_mov_b32_e32 v139, v120
	v_add_nc_u32_e32 v127, 16, v127
	s_waitcnt lgkmcnt(0)
	v_xor_b32_e32 v142, 0x80000000, v136
	v_cndmask_b32_e64 v138, v119, v138, s0
	v_cndmask_b32_e32 v140, v121, v140, vcc_lo
	v_cmp_gt_f64_e32 vcc_lo, 0, v[135:136]
	v_cmp_gt_f64_e64 s0, 0, v[133:134]
	v_mov_b32_e32 v141, v135
	v_add_f64 v[137:138], v[137:138], v[139:140]
	v_xor_b32_e32 v140, 0x80000000, v134
	v_mov_b32_e32 v139, v133
	v_cndmask_b32_e32 v142, v136, v142, vcc_lo
	v_cndmask_b32_e64 v140, v134, v140, s0
	v_add_f64 v[139:140], v[139:140], v[141:142]
	v_cmp_lt_f64_e32 vcc_lo, v[137:138], v[139:140]
	v_cndmask_b32_e32 v119, v119, v134, vcc_lo
	v_cndmask_b32_e32 v118, v118, v133, vcc_lo
	;; [unrolled: 1-line block ×4, first 2 shown]
	v_cndmask_b32_e64 v126, v126, s1, vcc_lo
	s_add_i32 s1, s1, 1
	s_cmp_lg_u32 s18, s1
	s_cbranch_scc1 .LBB56_484
.LBB56_485:
	s_inst_prefetch 0x2
	s_waitcnt lgkmcnt(0)
	v_cmp_eq_f64_e32 vcc_lo, 0, v[118:119]
	v_cmp_eq_f64_e64 s0, 0, v[120:121]
	s_and_b32 s0, vcc_lo, s0
	s_and_saveexec_b32 s1, s0
	s_xor_b32 s0, exec_lo, s1
; %bb.486:
	v_cmp_ne_u32_e32 vcc_lo, 0, v131
	v_cndmask_b32_e32 v131, 24, v131, vcc_lo
; %bb.487:
	s_andn2_saveexec_b32 s0, s0
	s_cbranch_execz .LBB56_493
; %bb.488:
	v_cmp_ngt_f64_e64 s1, |v[118:119]|, |v[120:121]|
	s_and_saveexec_b32 s2, s1
	s_xor_b32 s1, exec_lo, s2
	s_cbranch_execz .LBB56_490
; %bb.489:
	v_div_scale_f64 v[133:134], null, v[120:121], v[120:121], v[118:119]
	v_div_scale_f64 v[139:140], vcc_lo, v[118:119], v[120:121], v[118:119]
	v_rcp_f64_e32 v[135:136], v[133:134]
	v_fma_f64 v[137:138], -v[133:134], v[135:136], 1.0
	v_fma_f64 v[135:136], v[135:136], v[137:138], v[135:136]
	v_fma_f64 v[137:138], -v[133:134], v[135:136], 1.0
	v_fma_f64 v[135:136], v[135:136], v[137:138], v[135:136]
	v_mul_f64 v[137:138], v[139:140], v[135:136]
	v_fma_f64 v[133:134], -v[133:134], v[137:138], v[139:140]
	v_div_fmas_f64 v[133:134], v[133:134], v[135:136], v[137:138]
	v_div_fixup_f64 v[133:134], v[133:134], v[120:121], v[118:119]
	v_fma_f64 v[118:119], v[118:119], v[133:134], v[120:121]
	v_div_scale_f64 v[120:121], null, v[118:119], v[118:119], 1.0
	v_rcp_f64_e32 v[135:136], v[120:121]
	v_fma_f64 v[137:138], -v[120:121], v[135:136], 1.0
	v_fma_f64 v[135:136], v[135:136], v[137:138], v[135:136]
	v_fma_f64 v[137:138], -v[120:121], v[135:136], 1.0
	v_fma_f64 v[135:136], v[135:136], v[137:138], v[135:136]
	v_div_scale_f64 v[137:138], vcc_lo, 1.0, v[118:119], 1.0
	v_mul_f64 v[139:140], v[137:138], v[135:136]
	v_fma_f64 v[120:121], -v[120:121], v[139:140], v[137:138]
	v_div_fmas_f64 v[120:121], v[120:121], v[135:136], v[139:140]
	v_div_fixup_f64 v[120:121], v[120:121], v[118:119], 1.0
	v_mul_f64 v[118:119], v[133:134], v[120:121]
	v_xor_b32_e32 v121, 0x80000000, v121
.LBB56_490:
	s_andn2_saveexec_b32 s1, s1
	s_cbranch_execz .LBB56_492
; %bb.491:
	v_div_scale_f64 v[133:134], null, v[118:119], v[118:119], v[120:121]
	v_div_scale_f64 v[139:140], vcc_lo, v[120:121], v[118:119], v[120:121]
	v_rcp_f64_e32 v[135:136], v[133:134]
	v_fma_f64 v[137:138], -v[133:134], v[135:136], 1.0
	v_fma_f64 v[135:136], v[135:136], v[137:138], v[135:136]
	v_fma_f64 v[137:138], -v[133:134], v[135:136], 1.0
	v_fma_f64 v[135:136], v[135:136], v[137:138], v[135:136]
	v_mul_f64 v[137:138], v[139:140], v[135:136]
	v_fma_f64 v[133:134], -v[133:134], v[137:138], v[139:140]
	v_div_fmas_f64 v[133:134], v[133:134], v[135:136], v[137:138]
	v_div_fixup_f64 v[133:134], v[133:134], v[118:119], v[120:121]
	v_fma_f64 v[118:119], v[120:121], v[133:134], v[118:119]
	v_div_scale_f64 v[120:121], null, v[118:119], v[118:119], 1.0
	v_rcp_f64_e32 v[135:136], v[120:121]
	v_fma_f64 v[137:138], -v[120:121], v[135:136], 1.0
	v_fma_f64 v[135:136], v[135:136], v[137:138], v[135:136]
	v_fma_f64 v[137:138], -v[120:121], v[135:136], 1.0
	v_fma_f64 v[135:136], v[135:136], v[137:138], v[135:136]
	v_div_scale_f64 v[137:138], vcc_lo, 1.0, v[118:119], 1.0
	v_mul_f64 v[139:140], v[137:138], v[135:136]
	v_fma_f64 v[120:121], -v[120:121], v[139:140], v[137:138]
	v_div_fmas_f64 v[120:121], v[120:121], v[135:136], v[139:140]
	v_div_fixup_f64 v[118:119], v[120:121], v[118:119], 1.0
	v_mul_f64 v[120:121], v[133:134], -v[118:119]
.LBB56_492:
	s_or_b32 exec_lo, exec_lo, s1
.LBB56_493:
	s_or_b32 exec_lo, exec_lo, s0
	s_mov_b32 s0, exec_lo
	v_cmpx_ne_u32_e64 v132, v126
	s_xor_b32 s0, exec_lo, s0
	s_cbranch_execz .LBB56_499
; %bb.494:
	s_mov_b32 s1, exec_lo
	v_cmpx_eq_u32_e32 23, v132
	s_cbranch_execz .LBB56_498
; %bb.495:
	v_cmp_ne_u32_e32 vcc_lo, 23, v126
	s_xor_b32 s2, s16, -1
	s_and_b32 s3, s2, vcc_lo
	s_and_saveexec_b32 s2, s3
	s_cbranch_execz .LBB56_497
; %bb.496:
	v_ashrrev_i32_e32 v127, 31, v126
	v_lshlrev_b64 v[132:133], 2, v[126:127]
	v_add_co_u32 v132, vcc_lo, v124, v132
	v_add_co_ci_u32_e64 v133, null, v125, v133, vcc_lo
	s_clause 0x1
	global_load_dword v0, v[132:133], off
	global_load_dword v127, v[124:125], off offset:92
	s_waitcnt vmcnt(1)
	global_store_dword v[124:125], v0, off offset:92
	s_waitcnt vmcnt(0)
	global_store_dword v[132:133], v127, off
.LBB56_497:
	s_or_b32 exec_lo, exec_lo, s2
	v_mov_b32_e32 v132, v126
	v_mov_b32_e32 v0, v126
.LBB56_498:
	s_or_b32 exec_lo, exec_lo, s1
.LBB56_499:
	s_andn2_saveexec_b32 s0, s0
	s_cbranch_execz .LBB56_501
; %bb.500:
	v_mov_b32_e32 v132, 23
	ds_write2_b64 v1, v[18:19], v[20:21] offset0:48 offset1:49
	ds_write2_b64 v1, v[14:15], v[16:17] offset0:50 offset1:51
	;; [unrolled: 1-line block ×5, first 2 shown]
.LBB56_501:
	s_or_b32 exec_lo, exec_lo, s0
	s_mov_b32 s0, exec_lo
	s_waitcnt lgkmcnt(0)
	s_waitcnt_vscnt null, 0x0
	s_barrier
	buffer_gl0_inv
	v_cmpx_lt_i32_e32 23, v132
	s_cbranch_execz .LBB56_503
; %bb.502:
	v_mul_f64 v[126:127], v[118:119], v[24:25]
	v_mul_f64 v[24:25], v[120:121], v[24:25]
	v_fma_f64 v[126:127], v[120:121], v[22:23], v[126:127]
	v_fma_f64 v[22:23], v[118:119], v[22:23], -v[24:25]
	ds_read2_b64 v[118:121], v1 offset0:48 offset1:49
	s_waitcnt lgkmcnt(0)
	v_mul_f64 v[24:25], v[120:121], v[126:127]
	v_fma_f64 v[24:25], v[118:119], v[22:23], -v[24:25]
	v_mul_f64 v[118:119], v[118:119], v[126:127]
	v_add_f64 v[18:19], v[18:19], -v[24:25]
	v_fma_f64 v[118:119], v[120:121], v[22:23], v[118:119]
	v_add_f64 v[20:21], v[20:21], -v[118:119]
	ds_read2_b64 v[118:121], v1 offset0:50 offset1:51
	s_waitcnt lgkmcnt(0)
	v_mul_f64 v[24:25], v[120:121], v[126:127]
	v_fma_f64 v[24:25], v[118:119], v[22:23], -v[24:25]
	v_mul_f64 v[118:119], v[118:119], v[126:127]
	v_add_f64 v[14:15], v[14:15], -v[24:25]
	v_fma_f64 v[118:119], v[120:121], v[22:23], v[118:119]
	v_add_f64 v[16:17], v[16:17], -v[118:119]
	;; [unrolled: 8-line block ×4, first 2 shown]
	ds_read2_b64 v[118:121], v1 offset0:56 offset1:57
	s_waitcnt lgkmcnt(0)
	v_mul_f64 v[24:25], v[120:121], v[126:127]
	v_fma_f64 v[24:25], v[118:119], v[22:23], -v[24:25]
	v_mul_f64 v[118:119], v[118:119], v[126:127]
	v_add_f64 v[2:3], v[2:3], -v[24:25]
	v_fma_f64 v[118:119], v[120:121], v[22:23], v[118:119]
	v_mov_b32_e32 v24, v126
	v_mov_b32_e32 v25, v127
	v_add_f64 v[4:5], v[4:5], -v[118:119]
.LBB56_503:
	s_or_b32 exec_lo, exec_lo, s0
	v_lshl_add_u32 v118, v132, 4, v1
	s_barrier
	buffer_gl0_inv
	v_mov_b32_e32 v126, 24
	ds_write2_b64 v118, v[18:19], v[20:21] offset1:1
	s_waitcnt lgkmcnt(0)
	s_barrier
	buffer_gl0_inv
	ds_read2_b64 v[118:121], v1 offset0:48 offset1:49
	s_cmp_lt_i32 s18, 26
	s_cbranch_scc1 .LBB56_506
; %bb.504:
	v_add3_u32 v127, v128, 0, 0x190
	v_mov_b32_e32 v126, 24
	s_mov_b32 s1, 25
	s_inst_prefetch 0x1
	.p2align	6
.LBB56_505:                             ; =>This Inner Loop Header: Depth=1
	s_waitcnt lgkmcnt(0)
	v_cmp_gt_f64_e32 vcc_lo, 0, v[120:121]
	v_cmp_gt_f64_e64 s0, 0, v[118:119]
	ds_read2_b64 v[133:136], v127 offset1:1
	v_xor_b32_e32 v138, 0x80000000, v119
	v_xor_b32_e32 v140, 0x80000000, v121
	v_mov_b32_e32 v137, v118
	v_mov_b32_e32 v139, v120
	v_add_nc_u32_e32 v127, 16, v127
	s_waitcnt lgkmcnt(0)
	v_xor_b32_e32 v142, 0x80000000, v136
	v_cndmask_b32_e64 v138, v119, v138, s0
	v_cndmask_b32_e32 v140, v121, v140, vcc_lo
	v_cmp_gt_f64_e32 vcc_lo, 0, v[135:136]
	v_cmp_gt_f64_e64 s0, 0, v[133:134]
	v_mov_b32_e32 v141, v135
	v_add_f64 v[137:138], v[137:138], v[139:140]
	v_xor_b32_e32 v140, 0x80000000, v134
	v_mov_b32_e32 v139, v133
	v_cndmask_b32_e32 v142, v136, v142, vcc_lo
	v_cndmask_b32_e64 v140, v134, v140, s0
	v_add_f64 v[139:140], v[139:140], v[141:142]
	v_cmp_lt_f64_e32 vcc_lo, v[137:138], v[139:140]
	v_cndmask_b32_e32 v119, v119, v134, vcc_lo
	v_cndmask_b32_e32 v118, v118, v133, vcc_lo
	;; [unrolled: 1-line block ×4, first 2 shown]
	v_cndmask_b32_e64 v126, v126, s1, vcc_lo
	s_add_i32 s1, s1, 1
	s_cmp_lg_u32 s18, s1
	s_cbranch_scc1 .LBB56_505
.LBB56_506:
	s_inst_prefetch 0x2
	s_waitcnt lgkmcnt(0)
	v_cmp_eq_f64_e32 vcc_lo, 0, v[118:119]
	v_cmp_eq_f64_e64 s0, 0, v[120:121]
	s_and_b32 s0, vcc_lo, s0
	s_and_saveexec_b32 s1, s0
	s_xor_b32 s0, exec_lo, s1
; %bb.507:
	v_cmp_ne_u32_e32 vcc_lo, 0, v131
	v_cndmask_b32_e32 v131, 25, v131, vcc_lo
; %bb.508:
	s_andn2_saveexec_b32 s0, s0
	s_cbranch_execz .LBB56_514
; %bb.509:
	v_cmp_ngt_f64_e64 s1, |v[118:119]|, |v[120:121]|
	s_and_saveexec_b32 s2, s1
	s_xor_b32 s1, exec_lo, s2
	s_cbranch_execz .LBB56_511
; %bb.510:
	v_div_scale_f64 v[133:134], null, v[120:121], v[120:121], v[118:119]
	v_div_scale_f64 v[139:140], vcc_lo, v[118:119], v[120:121], v[118:119]
	v_rcp_f64_e32 v[135:136], v[133:134]
	v_fma_f64 v[137:138], -v[133:134], v[135:136], 1.0
	v_fma_f64 v[135:136], v[135:136], v[137:138], v[135:136]
	v_fma_f64 v[137:138], -v[133:134], v[135:136], 1.0
	v_fma_f64 v[135:136], v[135:136], v[137:138], v[135:136]
	v_mul_f64 v[137:138], v[139:140], v[135:136]
	v_fma_f64 v[133:134], -v[133:134], v[137:138], v[139:140]
	v_div_fmas_f64 v[133:134], v[133:134], v[135:136], v[137:138]
	v_div_fixup_f64 v[133:134], v[133:134], v[120:121], v[118:119]
	v_fma_f64 v[118:119], v[118:119], v[133:134], v[120:121]
	v_div_scale_f64 v[120:121], null, v[118:119], v[118:119], 1.0
	v_rcp_f64_e32 v[135:136], v[120:121]
	v_fma_f64 v[137:138], -v[120:121], v[135:136], 1.0
	v_fma_f64 v[135:136], v[135:136], v[137:138], v[135:136]
	v_fma_f64 v[137:138], -v[120:121], v[135:136], 1.0
	v_fma_f64 v[135:136], v[135:136], v[137:138], v[135:136]
	v_div_scale_f64 v[137:138], vcc_lo, 1.0, v[118:119], 1.0
	v_mul_f64 v[139:140], v[137:138], v[135:136]
	v_fma_f64 v[120:121], -v[120:121], v[139:140], v[137:138]
	v_div_fmas_f64 v[120:121], v[120:121], v[135:136], v[139:140]
	v_div_fixup_f64 v[120:121], v[120:121], v[118:119], 1.0
	v_mul_f64 v[118:119], v[133:134], v[120:121]
	v_xor_b32_e32 v121, 0x80000000, v121
.LBB56_511:
	s_andn2_saveexec_b32 s1, s1
	s_cbranch_execz .LBB56_513
; %bb.512:
	v_div_scale_f64 v[133:134], null, v[118:119], v[118:119], v[120:121]
	v_div_scale_f64 v[139:140], vcc_lo, v[120:121], v[118:119], v[120:121]
	v_rcp_f64_e32 v[135:136], v[133:134]
	v_fma_f64 v[137:138], -v[133:134], v[135:136], 1.0
	v_fma_f64 v[135:136], v[135:136], v[137:138], v[135:136]
	v_fma_f64 v[137:138], -v[133:134], v[135:136], 1.0
	v_fma_f64 v[135:136], v[135:136], v[137:138], v[135:136]
	v_mul_f64 v[137:138], v[139:140], v[135:136]
	v_fma_f64 v[133:134], -v[133:134], v[137:138], v[139:140]
	v_div_fmas_f64 v[133:134], v[133:134], v[135:136], v[137:138]
	v_div_fixup_f64 v[133:134], v[133:134], v[118:119], v[120:121]
	v_fma_f64 v[118:119], v[120:121], v[133:134], v[118:119]
	v_div_scale_f64 v[120:121], null, v[118:119], v[118:119], 1.0
	v_rcp_f64_e32 v[135:136], v[120:121]
	v_fma_f64 v[137:138], -v[120:121], v[135:136], 1.0
	v_fma_f64 v[135:136], v[135:136], v[137:138], v[135:136]
	v_fma_f64 v[137:138], -v[120:121], v[135:136], 1.0
	v_fma_f64 v[135:136], v[135:136], v[137:138], v[135:136]
	v_div_scale_f64 v[137:138], vcc_lo, 1.0, v[118:119], 1.0
	v_mul_f64 v[139:140], v[137:138], v[135:136]
	v_fma_f64 v[120:121], -v[120:121], v[139:140], v[137:138]
	v_div_fmas_f64 v[120:121], v[120:121], v[135:136], v[139:140]
	v_div_fixup_f64 v[118:119], v[120:121], v[118:119], 1.0
	v_mul_f64 v[120:121], v[133:134], -v[118:119]
.LBB56_513:
	s_or_b32 exec_lo, exec_lo, s1
.LBB56_514:
	s_or_b32 exec_lo, exec_lo, s0
	s_mov_b32 s0, exec_lo
	v_cmpx_ne_u32_e64 v132, v126
	s_xor_b32 s0, exec_lo, s0
	s_cbranch_execz .LBB56_520
; %bb.515:
	s_mov_b32 s1, exec_lo
	v_cmpx_eq_u32_e32 24, v132
	s_cbranch_execz .LBB56_519
; %bb.516:
	v_cmp_ne_u32_e32 vcc_lo, 24, v126
	s_xor_b32 s2, s16, -1
	s_and_b32 s3, s2, vcc_lo
	s_and_saveexec_b32 s2, s3
	s_cbranch_execz .LBB56_518
; %bb.517:
	v_ashrrev_i32_e32 v127, 31, v126
	v_lshlrev_b64 v[132:133], 2, v[126:127]
	v_add_co_u32 v132, vcc_lo, v124, v132
	v_add_co_ci_u32_e64 v133, null, v125, v133, vcc_lo
	s_clause 0x1
	global_load_dword v0, v[132:133], off
	global_load_dword v127, v[124:125], off offset:96
	s_waitcnt vmcnt(1)
	global_store_dword v[124:125], v0, off offset:96
	s_waitcnt vmcnt(0)
	global_store_dword v[132:133], v127, off
.LBB56_518:
	s_or_b32 exec_lo, exec_lo, s2
	v_mov_b32_e32 v132, v126
	v_mov_b32_e32 v0, v126
.LBB56_519:
	s_or_b32 exec_lo, exec_lo, s1
.LBB56_520:
	s_andn2_saveexec_b32 s0, s0
	s_cbranch_execz .LBB56_522
; %bb.521:
	v_mov_b32_e32 v132, 24
	ds_write2_b64 v1, v[14:15], v[16:17] offset0:50 offset1:51
	ds_write2_b64 v1, v[10:11], v[12:13] offset0:52 offset1:53
	;; [unrolled: 1-line block ×4, first 2 shown]
.LBB56_522:
	s_or_b32 exec_lo, exec_lo, s0
	s_mov_b32 s0, exec_lo
	s_waitcnt lgkmcnt(0)
	s_waitcnt_vscnt null, 0x0
	s_barrier
	buffer_gl0_inv
	v_cmpx_lt_i32_e32 24, v132
	s_cbranch_execz .LBB56_524
; %bb.523:
	v_mul_f64 v[126:127], v[118:119], v[20:21]
	v_mul_f64 v[20:21], v[120:121], v[20:21]
	v_fma_f64 v[126:127], v[120:121], v[18:19], v[126:127]
	v_fma_f64 v[18:19], v[118:119], v[18:19], -v[20:21]
	ds_read2_b64 v[118:121], v1 offset0:50 offset1:51
	s_waitcnt lgkmcnt(0)
	v_mul_f64 v[20:21], v[120:121], v[126:127]
	v_fma_f64 v[20:21], v[118:119], v[18:19], -v[20:21]
	v_mul_f64 v[118:119], v[118:119], v[126:127]
	v_add_f64 v[14:15], v[14:15], -v[20:21]
	v_fma_f64 v[118:119], v[120:121], v[18:19], v[118:119]
	v_add_f64 v[16:17], v[16:17], -v[118:119]
	ds_read2_b64 v[118:121], v1 offset0:52 offset1:53
	s_waitcnt lgkmcnt(0)
	v_mul_f64 v[20:21], v[120:121], v[126:127]
	v_fma_f64 v[20:21], v[118:119], v[18:19], -v[20:21]
	v_mul_f64 v[118:119], v[118:119], v[126:127]
	v_add_f64 v[10:11], v[10:11], -v[20:21]
	v_fma_f64 v[118:119], v[120:121], v[18:19], v[118:119]
	v_add_f64 v[12:13], v[12:13], -v[118:119]
	;; [unrolled: 8-line block ×3, first 2 shown]
	ds_read2_b64 v[118:121], v1 offset0:56 offset1:57
	s_waitcnt lgkmcnt(0)
	v_mul_f64 v[20:21], v[120:121], v[126:127]
	v_fma_f64 v[20:21], v[118:119], v[18:19], -v[20:21]
	v_mul_f64 v[118:119], v[118:119], v[126:127]
	v_add_f64 v[2:3], v[2:3], -v[20:21]
	v_fma_f64 v[118:119], v[120:121], v[18:19], v[118:119]
	v_mov_b32_e32 v20, v126
	v_mov_b32_e32 v21, v127
	v_add_f64 v[4:5], v[4:5], -v[118:119]
.LBB56_524:
	s_or_b32 exec_lo, exec_lo, s0
	v_lshl_add_u32 v118, v132, 4, v1
	s_barrier
	buffer_gl0_inv
	v_mov_b32_e32 v126, 25
	ds_write2_b64 v118, v[14:15], v[16:17] offset1:1
	s_waitcnt lgkmcnt(0)
	s_barrier
	buffer_gl0_inv
	ds_read2_b64 v[118:121], v1 offset0:50 offset1:51
	s_cmp_lt_i32 s18, 27
	s_cbranch_scc1 .LBB56_527
; %bb.525:
	v_add3_u32 v127, v128, 0, 0x1a0
	v_mov_b32_e32 v126, 25
	s_mov_b32 s1, 26
	s_inst_prefetch 0x1
	.p2align	6
.LBB56_526:                             ; =>This Inner Loop Header: Depth=1
	s_waitcnt lgkmcnt(0)
	v_cmp_gt_f64_e32 vcc_lo, 0, v[120:121]
	v_cmp_gt_f64_e64 s0, 0, v[118:119]
	ds_read2_b64 v[133:136], v127 offset1:1
	v_xor_b32_e32 v138, 0x80000000, v119
	v_xor_b32_e32 v140, 0x80000000, v121
	v_mov_b32_e32 v137, v118
	v_mov_b32_e32 v139, v120
	v_add_nc_u32_e32 v127, 16, v127
	s_waitcnt lgkmcnt(0)
	v_xor_b32_e32 v142, 0x80000000, v136
	v_cndmask_b32_e64 v138, v119, v138, s0
	v_cndmask_b32_e32 v140, v121, v140, vcc_lo
	v_cmp_gt_f64_e32 vcc_lo, 0, v[135:136]
	v_cmp_gt_f64_e64 s0, 0, v[133:134]
	v_mov_b32_e32 v141, v135
	v_add_f64 v[137:138], v[137:138], v[139:140]
	v_xor_b32_e32 v140, 0x80000000, v134
	v_mov_b32_e32 v139, v133
	v_cndmask_b32_e32 v142, v136, v142, vcc_lo
	v_cndmask_b32_e64 v140, v134, v140, s0
	v_add_f64 v[139:140], v[139:140], v[141:142]
	v_cmp_lt_f64_e32 vcc_lo, v[137:138], v[139:140]
	v_cndmask_b32_e32 v119, v119, v134, vcc_lo
	v_cndmask_b32_e32 v118, v118, v133, vcc_lo
	;; [unrolled: 1-line block ×4, first 2 shown]
	v_cndmask_b32_e64 v126, v126, s1, vcc_lo
	s_add_i32 s1, s1, 1
	s_cmp_lg_u32 s18, s1
	s_cbranch_scc1 .LBB56_526
.LBB56_527:
	s_inst_prefetch 0x2
	s_waitcnt lgkmcnt(0)
	v_cmp_eq_f64_e32 vcc_lo, 0, v[118:119]
	v_cmp_eq_f64_e64 s0, 0, v[120:121]
	s_and_b32 s0, vcc_lo, s0
	s_and_saveexec_b32 s1, s0
	s_xor_b32 s0, exec_lo, s1
; %bb.528:
	v_cmp_ne_u32_e32 vcc_lo, 0, v131
	v_cndmask_b32_e32 v131, 26, v131, vcc_lo
; %bb.529:
	s_andn2_saveexec_b32 s0, s0
	s_cbranch_execz .LBB56_535
; %bb.530:
	v_cmp_ngt_f64_e64 s1, |v[118:119]|, |v[120:121]|
	s_and_saveexec_b32 s2, s1
	s_xor_b32 s1, exec_lo, s2
	s_cbranch_execz .LBB56_532
; %bb.531:
	v_div_scale_f64 v[133:134], null, v[120:121], v[120:121], v[118:119]
	v_div_scale_f64 v[139:140], vcc_lo, v[118:119], v[120:121], v[118:119]
	v_rcp_f64_e32 v[135:136], v[133:134]
	v_fma_f64 v[137:138], -v[133:134], v[135:136], 1.0
	v_fma_f64 v[135:136], v[135:136], v[137:138], v[135:136]
	v_fma_f64 v[137:138], -v[133:134], v[135:136], 1.0
	v_fma_f64 v[135:136], v[135:136], v[137:138], v[135:136]
	v_mul_f64 v[137:138], v[139:140], v[135:136]
	v_fma_f64 v[133:134], -v[133:134], v[137:138], v[139:140]
	v_div_fmas_f64 v[133:134], v[133:134], v[135:136], v[137:138]
	v_div_fixup_f64 v[133:134], v[133:134], v[120:121], v[118:119]
	v_fma_f64 v[118:119], v[118:119], v[133:134], v[120:121]
	v_div_scale_f64 v[120:121], null, v[118:119], v[118:119], 1.0
	v_rcp_f64_e32 v[135:136], v[120:121]
	v_fma_f64 v[137:138], -v[120:121], v[135:136], 1.0
	v_fma_f64 v[135:136], v[135:136], v[137:138], v[135:136]
	v_fma_f64 v[137:138], -v[120:121], v[135:136], 1.0
	v_fma_f64 v[135:136], v[135:136], v[137:138], v[135:136]
	v_div_scale_f64 v[137:138], vcc_lo, 1.0, v[118:119], 1.0
	v_mul_f64 v[139:140], v[137:138], v[135:136]
	v_fma_f64 v[120:121], -v[120:121], v[139:140], v[137:138]
	v_div_fmas_f64 v[120:121], v[120:121], v[135:136], v[139:140]
	v_div_fixup_f64 v[120:121], v[120:121], v[118:119], 1.0
	v_mul_f64 v[118:119], v[133:134], v[120:121]
	v_xor_b32_e32 v121, 0x80000000, v121
.LBB56_532:
	s_andn2_saveexec_b32 s1, s1
	s_cbranch_execz .LBB56_534
; %bb.533:
	v_div_scale_f64 v[133:134], null, v[118:119], v[118:119], v[120:121]
	v_div_scale_f64 v[139:140], vcc_lo, v[120:121], v[118:119], v[120:121]
	v_rcp_f64_e32 v[135:136], v[133:134]
	v_fma_f64 v[137:138], -v[133:134], v[135:136], 1.0
	v_fma_f64 v[135:136], v[135:136], v[137:138], v[135:136]
	v_fma_f64 v[137:138], -v[133:134], v[135:136], 1.0
	v_fma_f64 v[135:136], v[135:136], v[137:138], v[135:136]
	v_mul_f64 v[137:138], v[139:140], v[135:136]
	v_fma_f64 v[133:134], -v[133:134], v[137:138], v[139:140]
	v_div_fmas_f64 v[133:134], v[133:134], v[135:136], v[137:138]
	v_div_fixup_f64 v[133:134], v[133:134], v[118:119], v[120:121]
	v_fma_f64 v[118:119], v[120:121], v[133:134], v[118:119]
	v_div_scale_f64 v[120:121], null, v[118:119], v[118:119], 1.0
	v_rcp_f64_e32 v[135:136], v[120:121]
	v_fma_f64 v[137:138], -v[120:121], v[135:136], 1.0
	v_fma_f64 v[135:136], v[135:136], v[137:138], v[135:136]
	v_fma_f64 v[137:138], -v[120:121], v[135:136], 1.0
	v_fma_f64 v[135:136], v[135:136], v[137:138], v[135:136]
	v_div_scale_f64 v[137:138], vcc_lo, 1.0, v[118:119], 1.0
	v_mul_f64 v[139:140], v[137:138], v[135:136]
	v_fma_f64 v[120:121], -v[120:121], v[139:140], v[137:138]
	v_div_fmas_f64 v[120:121], v[120:121], v[135:136], v[139:140]
	v_div_fixup_f64 v[118:119], v[120:121], v[118:119], 1.0
	v_mul_f64 v[120:121], v[133:134], -v[118:119]
.LBB56_534:
	s_or_b32 exec_lo, exec_lo, s1
.LBB56_535:
	s_or_b32 exec_lo, exec_lo, s0
	s_mov_b32 s0, exec_lo
	v_cmpx_ne_u32_e64 v132, v126
	s_xor_b32 s0, exec_lo, s0
	s_cbranch_execz .LBB56_541
; %bb.536:
	s_mov_b32 s1, exec_lo
	v_cmpx_eq_u32_e32 25, v132
	s_cbranch_execz .LBB56_540
; %bb.537:
	v_cmp_ne_u32_e32 vcc_lo, 25, v126
	s_xor_b32 s2, s16, -1
	s_and_b32 s3, s2, vcc_lo
	s_and_saveexec_b32 s2, s3
	s_cbranch_execz .LBB56_539
; %bb.538:
	v_ashrrev_i32_e32 v127, 31, v126
	v_lshlrev_b64 v[132:133], 2, v[126:127]
	v_add_co_u32 v132, vcc_lo, v124, v132
	v_add_co_ci_u32_e64 v133, null, v125, v133, vcc_lo
	s_clause 0x1
	global_load_dword v0, v[132:133], off
	global_load_dword v127, v[124:125], off offset:100
	s_waitcnt vmcnt(1)
	global_store_dword v[124:125], v0, off offset:100
	s_waitcnt vmcnt(0)
	global_store_dword v[132:133], v127, off
.LBB56_539:
	s_or_b32 exec_lo, exec_lo, s2
	v_mov_b32_e32 v132, v126
	v_mov_b32_e32 v0, v126
.LBB56_540:
	s_or_b32 exec_lo, exec_lo, s1
.LBB56_541:
	s_andn2_saveexec_b32 s0, s0
	s_cbranch_execz .LBB56_543
; %bb.542:
	v_mov_b32_e32 v132, 25
	ds_write2_b64 v1, v[10:11], v[12:13] offset0:52 offset1:53
	ds_write2_b64 v1, v[6:7], v[8:9] offset0:54 offset1:55
	;; [unrolled: 1-line block ×3, first 2 shown]
.LBB56_543:
	s_or_b32 exec_lo, exec_lo, s0
	s_mov_b32 s0, exec_lo
	s_waitcnt lgkmcnt(0)
	s_waitcnt_vscnt null, 0x0
	s_barrier
	buffer_gl0_inv
	v_cmpx_lt_i32_e32 25, v132
	s_cbranch_execz .LBB56_545
; %bb.544:
	v_mul_f64 v[126:127], v[118:119], v[16:17]
	v_mul_f64 v[16:17], v[120:121], v[16:17]
	ds_read2_b64 v[133:136], v1 offset0:52 offset1:53
	ds_read2_b64 v[137:140], v1 offset0:54 offset1:55
	;; [unrolled: 1-line block ×3, first 2 shown]
	v_fma_f64 v[120:121], v[120:121], v[14:15], v[126:127]
	v_fma_f64 v[14:15], v[118:119], v[14:15], -v[16:17]
	s_waitcnt lgkmcnt(2)
	v_mul_f64 v[16:17], v[135:136], v[120:121]
	v_mul_f64 v[118:119], v[133:134], v[120:121]
	s_waitcnt lgkmcnt(1)
	v_mul_f64 v[126:127], v[139:140], v[120:121]
	v_mul_f64 v[145:146], v[137:138], v[120:121]
	;; [unrolled: 3-line block ×3, first 2 shown]
	v_fma_f64 v[16:17], v[133:134], v[14:15], -v[16:17]
	v_fma_f64 v[118:119], v[135:136], v[14:15], v[118:119]
	v_fma_f64 v[126:127], v[137:138], v[14:15], -v[126:127]
	v_fma_f64 v[133:134], v[139:140], v[14:15], v[145:146]
	;; [unrolled: 2-line block ×3, first 2 shown]
	v_add_f64 v[10:11], v[10:11], -v[16:17]
	v_add_f64 v[12:13], v[12:13], -v[118:119]
	;; [unrolled: 1-line block ×6, first 2 shown]
	v_mov_b32_e32 v16, v120
	v_mov_b32_e32 v17, v121
.LBB56_545:
	s_or_b32 exec_lo, exec_lo, s0
	v_lshl_add_u32 v118, v132, 4, v1
	s_barrier
	buffer_gl0_inv
	v_mov_b32_e32 v126, 26
	ds_write2_b64 v118, v[10:11], v[12:13] offset1:1
	s_waitcnt lgkmcnt(0)
	s_barrier
	buffer_gl0_inv
	ds_read2_b64 v[118:121], v1 offset0:52 offset1:53
	s_cmp_lt_i32 s18, 28
	s_cbranch_scc1 .LBB56_548
; %bb.546:
	v_add3_u32 v127, v128, 0, 0x1b0
	v_mov_b32_e32 v126, 26
	s_mov_b32 s1, 27
	s_inst_prefetch 0x1
	.p2align	6
.LBB56_547:                             ; =>This Inner Loop Header: Depth=1
	s_waitcnt lgkmcnt(0)
	v_cmp_gt_f64_e32 vcc_lo, 0, v[120:121]
	v_cmp_gt_f64_e64 s0, 0, v[118:119]
	ds_read2_b64 v[133:136], v127 offset1:1
	v_xor_b32_e32 v138, 0x80000000, v119
	v_xor_b32_e32 v140, 0x80000000, v121
	v_mov_b32_e32 v137, v118
	v_mov_b32_e32 v139, v120
	v_add_nc_u32_e32 v127, 16, v127
	s_waitcnt lgkmcnt(0)
	v_xor_b32_e32 v142, 0x80000000, v136
	v_cndmask_b32_e64 v138, v119, v138, s0
	v_cndmask_b32_e32 v140, v121, v140, vcc_lo
	v_cmp_gt_f64_e32 vcc_lo, 0, v[135:136]
	v_cmp_gt_f64_e64 s0, 0, v[133:134]
	v_mov_b32_e32 v141, v135
	v_add_f64 v[137:138], v[137:138], v[139:140]
	v_xor_b32_e32 v140, 0x80000000, v134
	v_mov_b32_e32 v139, v133
	v_cndmask_b32_e32 v142, v136, v142, vcc_lo
	v_cndmask_b32_e64 v140, v134, v140, s0
	v_add_f64 v[139:140], v[139:140], v[141:142]
	v_cmp_lt_f64_e32 vcc_lo, v[137:138], v[139:140]
	v_cndmask_b32_e32 v119, v119, v134, vcc_lo
	v_cndmask_b32_e32 v118, v118, v133, vcc_lo
	;; [unrolled: 1-line block ×4, first 2 shown]
	v_cndmask_b32_e64 v126, v126, s1, vcc_lo
	s_add_i32 s1, s1, 1
	s_cmp_lg_u32 s18, s1
	s_cbranch_scc1 .LBB56_547
.LBB56_548:
	s_inst_prefetch 0x2
	s_waitcnt lgkmcnt(0)
	v_cmp_eq_f64_e32 vcc_lo, 0, v[118:119]
	v_cmp_eq_f64_e64 s0, 0, v[120:121]
	s_and_b32 s0, vcc_lo, s0
	s_and_saveexec_b32 s1, s0
	s_xor_b32 s0, exec_lo, s1
; %bb.549:
	v_cmp_ne_u32_e32 vcc_lo, 0, v131
	v_cndmask_b32_e32 v131, 27, v131, vcc_lo
; %bb.550:
	s_andn2_saveexec_b32 s0, s0
	s_cbranch_execz .LBB56_556
; %bb.551:
	v_cmp_ngt_f64_e64 s1, |v[118:119]|, |v[120:121]|
	s_and_saveexec_b32 s2, s1
	s_xor_b32 s1, exec_lo, s2
	s_cbranch_execz .LBB56_553
; %bb.552:
	v_div_scale_f64 v[133:134], null, v[120:121], v[120:121], v[118:119]
	v_div_scale_f64 v[139:140], vcc_lo, v[118:119], v[120:121], v[118:119]
	v_rcp_f64_e32 v[135:136], v[133:134]
	v_fma_f64 v[137:138], -v[133:134], v[135:136], 1.0
	v_fma_f64 v[135:136], v[135:136], v[137:138], v[135:136]
	v_fma_f64 v[137:138], -v[133:134], v[135:136], 1.0
	v_fma_f64 v[135:136], v[135:136], v[137:138], v[135:136]
	v_mul_f64 v[137:138], v[139:140], v[135:136]
	v_fma_f64 v[133:134], -v[133:134], v[137:138], v[139:140]
	v_div_fmas_f64 v[133:134], v[133:134], v[135:136], v[137:138]
	v_div_fixup_f64 v[133:134], v[133:134], v[120:121], v[118:119]
	v_fma_f64 v[118:119], v[118:119], v[133:134], v[120:121]
	v_div_scale_f64 v[120:121], null, v[118:119], v[118:119], 1.0
	v_rcp_f64_e32 v[135:136], v[120:121]
	v_fma_f64 v[137:138], -v[120:121], v[135:136], 1.0
	v_fma_f64 v[135:136], v[135:136], v[137:138], v[135:136]
	v_fma_f64 v[137:138], -v[120:121], v[135:136], 1.0
	v_fma_f64 v[135:136], v[135:136], v[137:138], v[135:136]
	v_div_scale_f64 v[137:138], vcc_lo, 1.0, v[118:119], 1.0
	v_mul_f64 v[139:140], v[137:138], v[135:136]
	v_fma_f64 v[120:121], -v[120:121], v[139:140], v[137:138]
	v_div_fmas_f64 v[120:121], v[120:121], v[135:136], v[139:140]
	v_div_fixup_f64 v[120:121], v[120:121], v[118:119], 1.0
	v_mul_f64 v[118:119], v[133:134], v[120:121]
	v_xor_b32_e32 v121, 0x80000000, v121
.LBB56_553:
	s_andn2_saveexec_b32 s1, s1
	s_cbranch_execz .LBB56_555
; %bb.554:
	v_div_scale_f64 v[133:134], null, v[118:119], v[118:119], v[120:121]
	v_div_scale_f64 v[139:140], vcc_lo, v[120:121], v[118:119], v[120:121]
	v_rcp_f64_e32 v[135:136], v[133:134]
	v_fma_f64 v[137:138], -v[133:134], v[135:136], 1.0
	v_fma_f64 v[135:136], v[135:136], v[137:138], v[135:136]
	v_fma_f64 v[137:138], -v[133:134], v[135:136], 1.0
	v_fma_f64 v[135:136], v[135:136], v[137:138], v[135:136]
	v_mul_f64 v[137:138], v[139:140], v[135:136]
	v_fma_f64 v[133:134], -v[133:134], v[137:138], v[139:140]
	v_div_fmas_f64 v[133:134], v[133:134], v[135:136], v[137:138]
	v_div_fixup_f64 v[133:134], v[133:134], v[118:119], v[120:121]
	v_fma_f64 v[118:119], v[120:121], v[133:134], v[118:119]
	v_div_scale_f64 v[120:121], null, v[118:119], v[118:119], 1.0
	v_rcp_f64_e32 v[135:136], v[120:121]
	v_fma_f64 v[137:138], -v[120:121], v[135:136], 1.0
	v_fma_f64 v[135:136], v[135:136], v[137:138], v[135:136]
	v_fma_f64 v[137:138], -v[120:121], v[135:136], 1.0
	v_fma_f64 v[135:136], v[135:136], v[137:138], v[135:136]
	v_div_scale_f64 v[137:138], vcc_lo, 1.0, v[118:119], 1.0
	v_mul_f64 v[139:140], v[137:138], v[135:136]
	v_fma_f64 v[120:121], -v[120:121], v[139:140], v[137:138]
	v_div_fmas_f64 v[120:121], v[120:121], v[135:136], v[139:140]
	v_div_fixup_f64 v[118:119], v[120:121], v[118:119], 1.0
	v_mul_f64 v[120:121], v[133:134], -v[118:119]
.LBB56_555:
	s_or_b32 exec_lo, exec_lo, s1
.LBB56_556:
	s_or_b32 exec_lo, exec_lo, s0
	s_mov_b32 s0, exec_lo
	v_cmpx_ne_u32_e64 v132, v126
	s_xor_b32 s0, exec_lo, s0
	s_cbranch_execz .LBB56_562
; %bb.557:
	s_mov_b32 s1, exec_lo
	v_cmpx_eq_u32_e32 26, v132
	s_cbranch_execz .LBB56_561
; %bb.558:
	v_cmp_ne_u32_e32 vcc_lo, 26, v126
	s_xor_b32 s2, s16, -1
	s_and_b32 s3, s2, vcc_lo
	s_and_saveexec_b32 s2, s3
	s_cbranch_execz .LBB56_560
; %bb.559:
	v_ashrrev_i32_e32 v127, 31, v126
	v_lshlrev_b64 v[132:133], 2, v[126:127]
	v_add_co_u32 v132, vcc_lo, v124, v132
	v_add_co_ci_u32_e64 v133, null, v125, v133, vcc_lo
	s_clause 0x1
	global_load_dword v0, v[132:133], off
	global_load_dword v127, v[124:125], off offset:104
	s_waitcnt vmcnt(1)
	global_store_dword v[124:125], v0, off offset:104
	s_waitcnt vmcnt(0)
	global_store_dword v[132:133], v127, off
.LBB56_560:
	s_or_b32 exec_lo, exec_lo, s2
	v_mov_b32_e32 v132, v126
	v_mov_b32_e32 v0, v126
.LBB56_561:
	s_or_b32 exec_lo, exec_lo, s1
.LBB56_562:
	s_andn2_saveexec_b32 s0, s0
	s_cbranch_execz .LBB56_564
; %bb.563:
	v_mov_b32_e32 v132, 26
	ds_write2_b64 v1, v[6:7], v[8:9] offset0:54 offset1:55
	ds_write2_b64 v1, v[2:3], v[4:5] offset0:56 offset1:57
.LBB56_564:
	s_or_b32 exec_lo, exec_lo, s0
	s_mov_b32 s0, exec_lo
	s_waitcnt lgkmcnt(0)
	s_waitcnt_vscnt null, 0x0
	s_barrier
	buffer_gl0_inv
	v_cmpx_lt_i32_e32 26, v132
	s_cbranch_execz .LBB56_566
; %bb.565:
	v_mul_f64 v[126:127], v[118:119], v[12:13]
	v_mul_f64 v[12:13], v[120:121], v[12:13]
	ds_read2_b64 v[133:136], v1 offset0:54 offset1:55
	ds_read2_b64 v[137:140], v1 offset0:56 offset1:57
	v_fma_f64 v[120:121], v[120:121], v[10:11], v[126:127]
	v_fma_f64 v[10:11], v[118:119], v[10:11], -v[12:13]
	s_waitcnt lgkmcnt(1)
	v_mul_f64 v[12:13], v[135:136], v[120:121]
	v_mul_f64 v[118:119], v[133:134], v[120:121]
	s_waitcnt lgkmcnt(0)
	v_mul_f64 v[126:127], v[139:140], v[120:121]
	v_mul_f64 v[141:142], v[137:138], v[120:121]
	v_fma_f64 v[12:13], v[133:134], v[10:11], -v[12:13]
	v_fma_f64 v[118:119], v[135:136], v[10:11], v[118:119]
	v_fma_f64 v[126:127], v[137:138], v[10:11], -v[126:127]
	v_fma_f64 v[133:134], v[139:140], v[10:11], v[141:142]
	v_add_f64 v[6:7], v[6:7], -v[12:13]
	v_add_f64 v[8:9], v[8:9], -v[118:119]
	;; [unrolled: 1-line block ×4, first 2 shown]
	v_mov_b32_e32 v12, v120
	v_mov_b32_e32 v13, v121
.LBB56_566:
	s_or_b32 exec_lo, exec_lo, s0
	v_lshl_add_u32 v118, v132, 4, v1
	s_barrier
	buffer_gl0_inv
	v_mov_b32_e32 v126, 27
	ds_write2_b64 v118, v[6:7], v[8:9] offset1:1
	s_waitcnt lgkmcnt(0)
	s_barrier
	buffer_gl0_inv
	ds_read2_b64 v[118:121], v1 offset0:54 offset1:55
	s_cmp_lt_i32 s18, 29
	s_cbranch_scc1 .LBB56_569
; %bb.567:
	v_add3_u32 v127, v128, 0, 0x1c0
	v_mov_b32_e32 v126, 27
	s_mov_b32 s1, 28
	s_inst_prefetch 0x1
	.p2align	6
.LBB56_568:                             ; =>This Inner Loop Header: Depth=1
	s_waitcnt lgkmcnt(0)
	v_cmp_gt_f64_e32 vcc_lo, 0, v[120:121]
	v_cmp_gt_f64_e64 s0, 0, v[118:119]
	ds_read2_b64 v[133:136], v127 offset1:1
	v_xor_b32_e32 v138, 0x80000000, v119
	v_xor_b32_e32 v140, 0x80000000, v121
	v_mov_b32_e32 v137, v118
	v_mov_b32_e32 v139, v120
	v_add_nc_u32_e32 v127, 16, v127
	s_waitcnt lgkmcnt(0)
	v_xor_b32_e32 v142, 0x80000000, v136
	v_cndmask_b32_e64 v138, v119, v138, s0
	v_cndmask_b32_e32 v140, v121, v140, vcc_lo
	v_cmp_gt_f64_e32 vcc_lo, 0, v[135:136]
	v_cmp_gt_f64_e64 s0, 0, v[133:134]
	v_mov_b32_e32 v141, v135
	v_add_f64 v[137:138], v[137:138], v[139:140]
	v_xor_b32_e32 v140, 0x80000000, v134
	v_mov_b32_e32 v139, v133
	v_cndmask_b32_e32 v142, v136, v142, vcc_lo
	v_cndmask_b32_e64 v140, v134, v140, s0
	v_add_f64 v[139:140], v[139:140], v[141:142]
	v_cmp_lt_f64_e32 vcc_lo, v[137:138], v[139:140]
	v_cndmask_b32_e32 v119, v119, v134, vcc_lo
	v_cndmask_b32_e32 v118, v118, v133, vcc_lo
	;; [unrolled: 1-line block ×4, first 2 shown]
	v_cndmask_b32_e64 v126, v126, s1, vcc_lo
	s_add_i32 s1, s1, 1
	s_cmp_lg_u32 s18, s1
	s_cbranch_scc1 .LBB56_568
.LBB56_569:
	s_inst_prefetch 0x2
	s_waitcnt lgkmcnt(0)
	v_cmp_eq_f64_e32 vcc_lo, 0, v[118:119]
	v_cmp_eq_f64_e64 s0, 0, v[120:121]
	s_and_b32 s0, vcc_lo, s0
	s_and_saveexec_b32 s1, s0
	s_xor_b32 s0, exec_lo, s1
; %bb.570:
	v_cmp_ne_u32_e32 vcc_lo, 0, v131
	v_cndmask_b32_e32 v131, 28, v131, vcc_lo
; %bb.571:
	s_andn2_saveexec_b32 s0, s0
	s_cbranch_execz .LBB56_577
; %bb.572:
	v_cmp_ngt_f64_e64 s1, |v[118:119]|, |v[120:121]|
	s_and_saveexec_b32 s2, s1
	s_xor_b32 s1, exec_lo, s2
	s_cbranch_execz .LBB56_574
; %bb.573:
	v_div_scale_f64 v[133:134], null, v[120:121], v[120:121], v[118:119]
	v_div_scale_f64 v[139:140], vcc_lo, v[118:119], v[120:121], v[118:119]
	v_rcp_f64_e32 v[135:136], v[133:134]
	v_fma_f64 v[137:138], -v[133:134], v[135:136], 1.0
	v_fma_f64 v[135:136], v[135:136], v[137:138], v[135:136]
	v_fma_f64 v[137:138], -v[133:134], v[135:136], 1.0
	v_fma_f64 v[135:136], v[135:136], v[137:138], v[135:136]
	v_mul_f64 v[137:138], v[139:140], v[135:136]
	v_fma_f64 v[133:134], -v[133:134], v[137:138], v[139:140]
	v_div_fmas_f64 v[133:134], v[133:134], v[135:136], v[137:138]
	v_div_fixup_f64 v[133:134], v[133:134], v[120:121], v[118:119]
	v_fma_f64 v[118:119], v[118:119], v[133:134], v[120:121]
	v_div_scale_f64 v[120:121], null, v[118:119], v[118:119], 1.0
	v_rcp_f64_e32 v[135:136], v[120:121]
	v_fma_f64 v[137:138], -v[120:121], v[135:136], 1.0
	v_fma_f64 v[135:136], v[135:136], v[137:138], v[135:136]
	v_fma_f64 v[137:138], -v[120:121], v[135:136], 1.0
	v_fma_f64 v[135:136], v[135:136], v[137:138], v[135:136]
	v_div_scale_f64 v[137:138], vcc_lo, 1.0, v[118:119], 1.0
	v_mul_f64 v[139:140], v[137:138], v[135:136]
	v_fma_f64 v[120:121], -v[120:121], v[139:140], v[137:138]
	v_div_fmas_f64 v[120:121], v[120:121], v[135:136], v[139:140]
	v_div_fixup_f64 v[120:121], v[120:121], v[118:119], 1.0
	v_mul_f64 v[118:119], v[133:134], v[120:121]
	v_xor_b32_e32 v121, 0x80000000, v121
.LBB56_574:
	s_andn2_saveexec_b32 s1, s1
	s_cbranch_execz .LBB56_576
; %bb.575:
	v_div_scale_f64 v[133:134], null, v[118:119], v[118:119], v[120:121]
	v_div_scale_f64 v[139:140], vcc_lo, v[120:121], v[118:119], v[120:121]
	v_rcp_f64_e32 v[135:136], v[133:134]
	v_fma_f64 v[137:138], -v[133:134], v[135:136], 1.0
	v_fma_f64 v[135:136], v[135:136], v[137:138], v[135:136]
	v_fma_f64 v[137:138], -v[133:134], v[135:136], 1.0
	v_fma_f64 v[135:136], v[135:136], v[137:138], v[135:136]
	v_mul_f64 v[137:138], v[139:140], v[135:136]
	v_fma_f64 v[133:134], -v[133:134], v[137:138], v[139:140]
	v_div_fmas_f64 v[133:134], v[133:134], v[135:136], v[137:138]
	v_div_fixup_f64 v[133:134], v[133:134], v[118:119], v[120:121]
	v_fma_f64 v[118:119], v[120:121], v[133:134], v[118:119]
	v_div_scale_f64 v[120:121], null, v[118:119], v[118:119], 1.0
	v_rcp_f64_e32 v[135:136], v[120:121]
	v_fma_f64 v[137:138], -v[120:121], v[135:136], 1.0
	v_fma_f64 v[135:136], v[135:136], v[137:138], v[135:136]
	v_fma_f64 v[137:138], -v[120:121], v[135:136], 1.0
	v_fma_f64 v[135:136], v[135:136], v[137:138], v[135:136]
	v_div_scale_f64 v[137:138], vcc_lo, 1.0, v[118:119], 1.0
	v_mul_f64 v[139:140], v[137:138], v[135:136]
	v_fma_f64 v[120:121], -v[120:121], v[139:140], v[137:138]
	v_div_fmas_f64 v[120:121], v[120:121], v[135:136], v[139:140]
	v_div_fixup_f64 v[118:119], v[120:121], v[118:119], 1.0
	v_mul_f64 v[120:121], v[133:134], -v[118:119]
.LBB56_576:
	s_or_b32 exec_lo, exec_lo, s1
.LBB56_577:
	s_or_b32 exec_lo, exec_lo, s0
	s_mov_b32 s0, exec_lo
	v_cmpx_ne_u32_e64 v132, v126
	s_xor_b32 s0, exec_lo, s0
	s_cbranch_execz .LBB56_583
; %bb.578:
	s_mov_b32 s1, exec_lo
	v_cmpx_eq_u32_e32 27, v132
	s_cbranch_execz .LBB56_582
; %bb.579:
	v_cmp_ne_u32_e32 vcc_lo, 27, v126
	s_xor_b32 s2, s16, -1
	s_and_b32 s3, s2, vcc_lo
	s_and_saveexec_b32 s2, s3
	s_cbranch_execz .LBB56_581
; %bb.580:
	v_ashrrev_i32_e32 v127, 31, v126
	v_lshlrev_b64 v[132:133], 2, v[126:127]
	v_add_co_u32 v132, vcc_lo, v124, v132
	v_add_co_ci_u32_e64 v133, null, v125, v133, vcc_lo
	s_clause 0x1
	global_load_dword v0, v[132:133], off
	global_load_dword v127, v[124:125], off offset:108
	s_waitcnt vmcnt(1)
	global_store_dword v[124:125], v0, off offset:108
	s_waitcnt vmcnt(0)
	global_store_dword v[132:133], v127, off
.LBB56_581:
	s_or_b32 exec_lo, exec_lo, s2
	v_mov_b32_e32 v132, v126
	v_mov_b32_e32 v0, v126
.LBB56_582:
	s_or_b32 exec_lo, exec_lo, s1
.LBB56_583:
	s_andn2_saveexec_b32 s0, s0
; %bb.584:
	v_mov_b32_e32 v132, 27
	ds_write2_b64 v1, v[2:3], v[4:5] offset0:56 offset1:57
; %bb.585:
	s_or_b32 exec_lo, exec_lo, s0
	s_mov_b32 s0, exec_lo
	s_waitcnt lgkmcnt(0)
	s_waitcnt_vscnt null, 0x0
	s_barrier
	buffer_gl0_inv
	v_cmpx_lt_i32_e32 27, v132
	s_cbranch_execz .LBB56_587
; %bb.586:
	v_mul_f64 v[126:127], v[118:119], v[8:9]
	v_mul_f64 v[8:9], v[120:121], v[8:9]
	ds_read2_b64 v[133:136], v1 offset0:56 offset1:57
	v_fma_f64 v[120:121], v[120:121], v[6:7], v[126:127]
	v_fma_f64 v[6:7], v[118:119], v[6:7], -v[8:9]
	s_waitcnt lgkmcnt(0)
	v_mul_f64 v[8:9], v[135:136], v[120:121]
	v_mul_f64 v[118:119], v[133:134], v[120:121]
	v_fma_f64 v[8:9], v[133:134], v[6:7], -v[8:9]
	v_fma_f64 v[118:119], v[135:136], v[6:7], v[118:119]
	v_add_f64 v[2:3], v[2:3], -v[8:9]
	v_add_f64 v[4:5], v[4:5], -v[118:119]
	v_mov_b32_e32 v8, v120
	v_mov_b32_e32 v9, v121
.LBB56_587:
	s_or_b32 exec_lo, exec_lo, s0
	v_lshl_add_u32 v118, v132, 4, v1
	s_barrier
	buffer_gl0_inv
	v_mov_b32_e32 v126, 28
	ds_write2_b64 v118, v[2:3], v[4:5] offset1:1
	s_waitcnt lgkmcnt(0)
	s_barrier
	buffer_gl0_inv
	ds_read2_b64 v[118:121], v1 offset0:56 offset1:57
	s_cmp_lt_i32 s18, 30
	s_cbranch_scc1 .LBB56_590
; %bb.588:
	v_add3_u32 v1, v128, 0, 0x1d0
	v_mov_b32_e32 v126, 28
	s_mov_b32 s1, 29
	s_inst_prefetch 0x1
	.p2align	6
.LBB56_589:                             ; =>This Inner Loop Header: Depth=1
	s_waitcnt lgkmcnt(0)
	v_cmp_gt_f64_e32 vcc_lo, 0, v[120:121]
	v_cmp_gt_f64_e64 s0, 0, v[118:119]
	ds_read2_b64 v[133:136], v1 offset1:1
	v_xor_b32_e32 v128, 0x80000000, v119
	v_xor_b32_e32 v138, 0x80000000, v121
	v_mov_b32_e32 v127, v118
	v_mov_b32_e32 v137, v120
	v_add_nc_u32_e32 v1, 16, v1
	s_waitcnt lgkmcnt(0)
	v_xor_b32_e32 v140, 0x80000000, v136
	v_cndmask_b32_e64 v128, v119, v128, s0
	v_cndmask_b32_e32 v138, v121, v138, vcc_lo
	v_cmp_gt_f64_e32 vcc_lo, 0, v[135:136]
	v_cmp_gt_f64_e64 s0, 0, v[133:134]
	v_mov_b32_e32 v139, v135
	v_add_f64 v[127:128], v[127:128], v[137:138]
	v_xor_b32_e32 v138, 0x80000000, v134
	v_mov_b32_e32 v137, v133
	v_cndmask_b32_e32 v140, v136, v140, vcc_lo
	v_cndmask_b32_e64 v138, v134, v138, s0
	v_add_f64 v[137:138], v[137:138], v[139:140]
	v_cmp_lt_f64_e32 vcc_lo, v[127:128], v[137:138]
	v_cndmask_b32_e32 v119, v119, v134, vcc_lo
	v_cndmask_b32_e32 v118, v118, v133, vcc_lo
	;; [unrolled: 1-line block ×4, first 2 shown]
	v_cndmask_b32_e64 v126, v126, s1, vcc_lo
	s_add_i32 s1, s1, 1
	s_cmp_lg_u32 s18, s1
	s_cbranch_scc1 .LBB56_589
.LBB56_590:
	s_inst_prefetch 0x2
	s_waitcnt lgkmcnt(0)
	v_cmp_eq_f64_e32 vcc_lo, 0, v[118:119]
	v_cmp_eq_f64_e64 s0, 0, v[120:121]
	s_and_b32 s0, vcc_lo, s0
	s_and_saveexec_b32 s1, s0
	s_xor_b32 s0, exec_lo, s1
; %bb.591:
	v_cmp_ne_u32_e32 vcc_lo, 0, v131
	v_cndmask_b32_e32 v131, 29, v131, vcc_lo
; %bb.592:
	s_andn2_saveexec_b32 s0, s0
	s_cbranch_execz .LBB56_598
; %bb.593:
	v_cmp_ngt_f64_e64 s1, |v[118:119]|, |v[120:121]|
	s_and_saveexec_b32 s2, s1
	s_xor_b32 s1, exec_lo, s2
	s_cbranch_execz .LBB56_595
; %bb.594:
	v_div_scale_f64 v[127:128], null, v[120:121], v[120:121], v[118:119]
	v_div_scale_f64 v[137:138], vcc_lo, v[118:119], v[120:121], v[118:119]
	v_rcp_f64_e32 v[133:134], v[127:128]
	v_fma_f64 v[135:136], -v[127:128], v[133:134], 1.0
	v_fma_f64 v[133:134], v[133:134], v[135:136], v[133:134]
	v_fma_f64 v[135:136], -v[127:128], v[133:134], 1.0
	v_fma_f64 v[133:134], v[133:134], v[135:136], v[133:134]
	v_mul_f64 v[135:136], v[137:138], v[133:134]
	v_fma_f64 v[127:128], -v[127:128], v[135:136], v[137:138]
	v_div_fmas_f64 v[127:128], v[127:128], v[133:134], v[135:136]
	v_div_fixup_f64 v[127:128], v[127:128], v[120:121], v[118:119]
	v_fma_f64 v[118:119], v[118:119], v[127:128], v[120:121]
	v_div_scale_f64 v[120:121], null, v[118:119], v[118:119], 1.0
	v_rcp_f64_e32 v[133:134], v[120:121]
	v_fma_f64 v[135:136], -v[120:121], v[133:134], 1.0
	v_fma_f64 v[133:134], v[133:134], v[135:136], v[133:134]
	v_fma_f64 v[135:136], -v[120:121], v[133:134], 1.0
	v_fma_f64 v[133:134], v[133:134], v[135:136], v[133:134]
	v_div_scale_f64 v[135:136], vcc_lo, 1.0, v[118:119], 1.0
	v_mul_f64 v[137:138], v[135:136], v[133:134]
	v_fma_f64 v[120:121], -v[120:121], v[137:138], v[135:136]
	v_div_fmas_f64 v[120:121], v[120:121], v[133:134], v[137:138]
	v_div_fixup_f64 v[120:121], v[120:121], v[118:119], 1.0
	v_mul_f64 v[118:119], v[127:128], v[120:121]
	v_xor_b32_e32 v121, 0x80000000, v121
.LBB56_595:
	s_andn2_saveexec_b32 s1, s1
	s_cbranch_execz .LBB56_597
; %bb.596:
	v_div_scale_f64 v[127:128], null, v[118:119], v[118:119], v[120:121]
	v_div_scale_f64 v[137:138], vcc_lo, v[120:121], v[118:119], v[120:121]
	v_rcp_f64_e32 v[133:134], v[127:128]
	v_fma_f64 v[135:136], -v[127:128], v[133:134], 1.0
	v_fma_f64 v[133:134], v[133:134], v[135:136], v[133:134]
	v_fma_f64 v[135:136], -v[127:128], v[133:134], 1.0
	v_fma_f64 v[133:134], v[133:134], v[135:136], v[133:134]
	v_mul_f64 v[135:136], v[137:138], v[133:134]
	v_fma_f64 v[127:128], -v[127:128], v[135:136], v[137:138]
	v_div_fmas_f64 v[127:128], v[127:128], v[133:134], v[135:136]
	v_div_fixup_f64 v[127:128], v[127:128], v[118:119], v[120:121]
	v_fma_f64 v[118:119], v[120:121], v[127:128], v[118:119]
	v_div_scale_f64 v[120:121], null, v[118:119], v[118:119], 1.0
	v_rcp_f64_e32 v[133:134], v[120:121]
	v_fma_f64 v[135:136], -v[120:121], v[133:134], 1.0
	v_fma_f64 v[133:134], v[133:134], v[135:136], v[133:134]
	v_fma_f64 v[135:136], -v[120:121], v[133:134], 1.0
	v_fma_f64 v[133:134], v[133:134], v[135:136], v[133:134]
	v_div_scale_f64 v[135:136], vcc_lo, 1.0, v[118:119], 1.0
	v_mul_f64 v[137:138], v[135:136], v[133:134]
	v_fma_f64 v[120:121], -v[120:121], v[137:138], v[135:136]
	v_div_fmas_f64 v[120:121], v[120:121], v[133:134], v[137:138]
	v_div_fixup_f64 v[118:119], v[120:121], v[118:119], 1.0
	v_mul_f64 v[120:121], v[127:128], -v[118:119]
.LBB56_597:
	s_or_b32 exec_lo, exec_lo, s1
.LBB56_598:
	s_or_b32 exec_lo, exec_lo, s0
	v_mov_b32_e32 v127, 28
	s_mov_b32 s0, exec_lo
	v_cmpx_ne_u32_e64 v132, v126
	s_cbranch_execz .LBB56_604
; %bb.599:
	s_mov_b32 s1, exec_lo
	v_cmpx_eq_u32_e32 28, v132
	s_cbranch_execz .LBB56_603
; %bb.600:
	v_cmp_ne_u32_e32 vcc_lo, 28, v126
	s_xor_b32 s2, s16, -1
	s_and_b32 s3, s2, vcc_lo
	s_and_saveexec_b32 s2, s3
	s_cbranch_execz .LBB56_602
; %bb.601:
	v_ashrrev_i32_e32 v127, 31, v126
	v_lshlrev_b64 v[0:1], 2, v[126:127]
	v_add_co_u32 v0, vcc_lo, v124, v0
	v_add_co_ci_u32_e64 v1, null, v125, v1, vcc_lo
	s_clause 0x1
	global_load_dword v127, v[0:1], off
	global_load_dword v128, v[124:125], off offset:112
	s_waitcnt vmcnt(1)
	global_store_dword v[124:125], v127, off offset:112
	s_waitcnt vmcnt(0)
	global_store_dword v[0:1], v128, off
.LBB56_602:
	s_or_b32 exec_lo, exec_lo, s2
	v_mov_b32_e32 v132, v126
	v_mov_b32_e32 v0, v126
.LBB56_603:
	s_or_b32 exec_lo, exec_lo, s1
	v_mov_b32_e32 v127, v132
.LBB56_604:
	s_or_b32 exec_lo, exec_lo, s0
	s_mov_b32 s0, exec_lo
	s_waitcnt_vscnt null, 0x0
	s_barrier
	buffer_gl0_inv
	v_cmpx_lt_i32_e32 28, v127
	s_cbranch_execz .LBB56_606
; %bb.605:
	v_mul_f64 v[124:125], v[120:121], v[4:5]
	v_mul_f64 v[4:5], v[118:119], v[4:5]
	v_fma_f64 v[118:119], v[118:119], v[2:3], -v[124:125]
	v_fma_f64 v[4:5], v[120:121], v[2:3], v[4:5]
	v_mov_b32_e32 v2, v118
	v_mov_b32_e32 v3, v119
.LBB56_606:
	s_or_b32 exec_lo, exec_lo, s0
	v_ashrrev_i32_e32 v128, 31, v127
	s_mov_b32 s0, exec_lo
	s_barrier
	buffer_gl0_inv
	v_cmpx_gt_i32_e32 29, v127
	s_cbranch_execz .LBB56_608
; %bb.607:
	v_mul_lo_u32 v1, s15, v122
	v_mul_lo_u32 v120, s14, v123
	v_mad_u64_u32 v[118:119], null, s14, v122, 0
	s_lshl_b64 s[2:3], s[12:13], 2
	v_add3_u32 v0, v0, s17, 1
	v_add3_u32 v119, v119, v120, v1
	v_lshlrev_b64 v[118:119], 2, v[118:119]
	v_add_co_u32 v1, vcc_lo, s10, v118
	v_add_co_ci_u32_e64 v120, null, s11, v119, vcc_lo
	v_lshlrev_b64 v[118:119], 2, v[127:128]
	v_add_co_u32 v1, vcc_lo, v1, s2
	v_add_co_ci_u32_e64 v120, null, s3, v120, vcc_lo
	v_add_co_u32 v118, vcc_lo, v1, v118
	v_add_co_ci_u32_e64 v119, null, v120, v119, vcc_lo
	global_store_dword v[118:119], v0, off
.LBB56_608:
	s_or_b32 exec_lo, exec_lo, s0
	s_mov_b32 s1, exec_lo
	v_cmpx_eq_u32_e32 0, v127
	s_cbranch_execz .LBB56_611
; %bb.609:
	v_lshlrev_b64 v[0:1], 2, v[122:123]
	v_cmp_ne_u32_e64 s0, 0, v131
	v_add_co_u32 v0, vcc_lo, s4, v0
	v_add_co_ci_u32_e64 v1, null, s5, v1, vcc_lo
	global_load_dword v118, v[0:1], off
	s_waitcnt vmcnt(0)
	v_cmp_eq_u32_e32 vcc_lo, 0, v118
	s_and_b32 s0, vcc_lo, s0
	s_and_b32 exec_lo, exec_lo, s0
	s_cbranch_execz .LBB56_611
; %bb.610:
	v_add_nc_u32_e32 v118, s17, v131
	global_store_dword v[0:1], v118, off
.LBB56_611:
	s_or_b32 exec_lo, exec_lo, s1
	v_lshlrev_b64 v[118:119], 4, v[127:128]
	v_add3_u32 v0, s6, s6, v127
	v_add_nc_u32_e32 v120, s6, v0
	v_add_co_u32 v118, vcc_lo, v129, v118
	v_add_co_ci_u32_e64 v119, null, v130, v119, vcc_lo
	v_ashrrev_i32_e32 v1, 31, v0
	v_add_co_u32 v122, vcc_lo, v118, s8
	v_add_co_ci_u32_e64 v123, null, s9, v119, vcc_lo
	global_store_dwordx4 v[118:119], v[114:117], off
	v_ashrrev_i32_e32 v121, 31, v120
	v_lshlrev_b64 v[0:1], 4, v[0:1]
	global_store_dwordx4 v[122:123], v[110:113], off
	v_add_nc_u32_e32 v110, s6, v120
	v_lshlrev_b64 v[114:115], 4, v[120:121]
	v_add_co_u32 v0, vcc_lo, v129, v0
	v_add_nc_u32_e32 v112, s6, v110
	v_ashrrev_i32_e32 v111, 31, v110
	v_add_co_ci_u32_e64 v1, null, v130, v1, vcc_lo
	v_add_co_u32 v114, vcc_lo, v129, v114
	v_add_nc_u32_e32 v116, s6, v112
	v_ashrrev_i32_e32 v113, 31, v112
	v_add_co_ci_u32_e64 v115, null, v130, v115, vcc_lo
	v_lshlrev_b64 v[110:111], 4, v[110:111]
	v_ashrrev_i32_e32 v117, 31, v116
	global_store_dwordx4 v[0:1], v[106:109], off
	global_store_dwordx4 v[114:115], v[102:105], off
	v_lshlrev_b64 v[0:1], 4, v[112:113]
	v_add_nc_u32_e32 v106, s6, v116
	v_lshlrev_b64 v[104:105], 4, v[116:117]
	v_add_co_u32 v102, vcc_lo, v129, v110
	v_add_co_ci_u32_e64 v103, null, v130, v111, vcc_lo
	v_add_co_u32 v0, vcc_lo, v129, v0
	v_add_co_ci_u32_e64 v1, null, v130, v1, vcc_lo
	v_add_co_u32 v104, vcc_lo, v129, v104
	v_add_nc_u32_e32 v108, s6, v106
	v_add_co_ci_u32_e64 v105, null, v130, v105, vcc_lo
	v_ashrrev_i32_e32 v107, 31, v106
	global_store_dwordx4 v[102:103], v[98:101], off
	global_store_dwordx4 v[0:1], v[94:97], off
	global_store_dwordx4 v[104:105], v[90:93], off
	v_add_nc_u32_e32 v90, s6, v108
	v_ashrrev_i32_e32 v109, 31, v108
	v_lshlrev_b64 v[98:99], 4, v[106:107]
	v_add_nc_u32_e32 v94, s6, v90
	v_lshlrev_b64 v[0:1], 4, v[108:109]
	v_ashrrev_i32_e32 v91, 31, v90
	v_add_co_u32 v92, vcc_lo, v129, v98
	v_add_nc_u32_e32 v96, s6, v94
	v_add_co_ci_u32_e64 v93, null, v130, v99, vcc_lo
	v_add_co_u32 v0, vcc_lo, v129, v0
	v_ashrrev_i32_e32 v95, 31, v94
	v_add_co_ci_u32_e64 v1, null, v130, v1, vcc_lo
	v_ashrrev_i32_e32 v97, 31, v96
	v_lshlrev_b64 v[90:91], 4, v[90:91]
	global_store_dwordx4 v[92:93], v[86:89], off
	global_store_dwordx4 v[0:1], v[82:85], off
	v_lshlrev_b64 v[0:1], 4, v[94:95]
	v_add_nc_u32_e32 v86, s6, v96
	v_lshlrev_b64 v[84:85], 4, v[96:97]
	v_add_co_u32 v82, vcc_lo, v129, v90
	v_add_co_ci_u32_e64 v83, null, v130, v91, vcc_lo
	v_add_co_u32 v0, vcc_lo, v129, v0
	v_add_co_ci_u32_e64 v1, null, v130, v1, vcc_lo
	v_add_co_u32 v84, vcc_lo, v129, v84
	v_add_nc_u32_e32 v88, s6, v86
	v_add_co_ci_u32_e64 v85, null, v130, v85, vcc_lo
	v_ashrrev_i32_e32 v87, 31, v86
	global_store_dwordx4 v[82:83], v[78:81], off
	global_store_dwordx4 v[0:1], v[74:77], off
	global_store_dwordx4 v[84:85], v[70:73], off
	v_add_nc_u32_e32 v70, s6, v88
	v_ashrrev_i32_e32 v89, 31, v88
	v_lshlrev_b64 v[78:79], 4, v[86:87]
	v_add_nc_u32_e32 v74, s6, v70
	v_lshlrev_b64 v[0:1], 4, v[88:89]
	v_ashrrev_i32_e32 v71, 31, v70
	v_add_co_u32 v72, vcc_lo, v129, v78
	v_add_nc_u32_e32 v76, s6, v74
	v_add_co_ci_u32_e64 v73, null, v130, v79, vcc_lo
	v_add_co_u32 v0, vcc_lo, v129, v0
	v_ashrrev_i32_e32 v75, 31, v74
	v_add_co_ci_u32_e64 v1, null, v130, v1, vcc_lo
	v_ashrrev_i32_e32 v77, 31, v76
	v_lshlrev_b64 v[70:71], 4, v[70:71]
	;; [unrolled: 30-line block ×3, first 2 shown]
	global_store_dwordx4 v[52:53], v[46:49], off
	global_store_dwordx4 v[0:1], v[42:45], off
	v_lshlrev_b64 v[0:1], 4, v[54:55]
	v_add_nc_u32_e32 v46, s6, v56
	v_lshlrev_b64 v[44:45], 4, v[56:57]
	v_add_co_u32 v42, vcc_lo, v129, v50
	v_add_co_ci_u32_e64 v43, null, v130, v51, vcc_lo
	v_add_co_u32 v0, vcc_lo, v129, v0
	v_add_nc_u32_e32 v48, s6, v46
	v_add_co_ci_u32_e64 v1, null, v130, v1, vcc_lo
	v_add_co_u32 v44, vcc_lo, v129, v44
	v_ashrrev_i32_e32 v47, 31, v46
	v_add_co_ci_u32_e64 v45, null, v130, v45, vcc_lo
	v_ashrrev_i32_e32 v49, 31, v48
	global_store_dwordx4 v[42:43], v[38:41], off
	v_lshlrev_b64 v[38:39], 4, v[46:47]
	global_store_dwordx4 v[0:1], v[34:37], off
	global_store_dwordx4 v[44:45], v[30:33], off
	v_add_nc_u32_e32 v30, s6, v48
	v_lshlrev_b64 v[0:1], 4, v[48:49]
	v_add_co_u32 v32, vcc_lo, v129, v38
	v_add_nc_u32_e32 v34, s6, v30
	v_add_co_ci_u32_e64 v33, null, v130, v39, vcc_lo
	v_add_co_u32 v0, vcc_lo, v129, v0
	v_add_co_ci_u32_e64 v1, null, v130, v1, vcc_lo
	v_add_nc_u32_e32 v36, s6, v34
	v_ashrrev_i32_e32 v31, 31, v30
	global_store_dwordx4 v[32:33], v[26:29], off
	global_store_dwordx4 v[0:1], v[22:25], off
	v_ashrrev_i32_e32 v35, 31, v34
	v_add_nc_u32_e32 v22, s6, v36
	v_lshlrev_b64 v[26:27], 4, v[30:31]
	v_ashrrev_i32_e32 v37, 31, v36
	v_lshlrev_b64 v[0:1], 4, v[34:35]
	v_add_nc_u32_e32 v28, s6, v22
	v_ashrrev_i32_e32 v23, 31, v22
	v_add_co_u32 v24, vcc_lo, v129, v26
	v_add_co_ci_u32_e64 v25, null, v130, v27, vcc_lo
	v_ashrrev_i32_e32 v29, 31, v28
	v_lshlrev_b64 v[26:27], 4, v[36:37]
	v_lshlrev_b64 v[22:23], 4, v[22:23]
	v_add_co_u32 v0, vcc_lo, v129, v0
	v_lshlrev_b64 v[28:29], 4, v[28:29]
	v_add_co_ci_u32_e64 v1, null, v130, v1, vcc_lo
	v_add_co_u32 v26, vcc_lo, v129, v26
	v_add_co_ci_u32_e64 v27, null, v130, v27, vcc_lo
	v_add_co_u32 v22, vcc_lo, v129, v22
	;; [unrolled: 2-line block ×3, first 2 shown]
	v_add_co_ci_u32_e64 v29, null, v130, v29, vcc_lo
	global_store_dwordx4 v[24:25], v[18:21], off
	global_store_dwordx4 v[0:1], v[14:17], off
	global_store_dwordx4 v[26:27], v[10:13], off
	global_store_dwordx4 v[22:23], v[6:9], off
	global_store_dwordx4 v[28:29], v[2:5], off
.LBB56_612:
	s_endpgm
	.section	.rodata,"a",@progbits
	.p2align	6, 0x0
	.amdhsa_kernel _ZN9rocsolver6v33100L18getf2_small_kernelILi29E19rocblas_complex_numIdEiiPS3_EEvT1_T3_lS5_lPS5_llPT2_S5_S5_S7_l
		.amdhsa_group_segment_fixed_size 0
		.amdhsa_private_segment_fixed_size 0
		.amdhsa_kernarg_size 352
		.amdhsa_user_sgpr_count 6
		.amdhsa_user_sgpr_private_segment_buffer 1
		.amdhsa_user_sgpr_dispatch_ptr 0
		.amdhsa_user_sgpr_queue_ptr 0
		.amdhsa_user_sgpr_kernarg_segment_ptr 1
		.amdhsa_user_sgpr_dispatch_id 0
		.amdhsa_user_sgpr_flat_scratch_init 0
		.amdhsa_user_sgpr_private_segment_size 0
		.amdhsa_wavefront_size32 1
		.amdhsa_uses_dynamic_stack 0
		.amdhsa_system_sgpr_private_segment_wavefront_offset 0
		.amdhsa_system_sgpr_workgroup_id_x 1
		.amdhsa_system_sgpr_workgroup_id_y 1
		.amdhsa_system_sgpr_workgroup_id_z 0
		.amdhsa_system_sgpr_workgroup_info 0
		.amdhsa_system_vgpr_workitem_id 1
		.amdhsa_next_free_vgpr 151
		.amdhsa_next_free_sgpr 19
		.amdhsa_reserve_vcc 1
		.amdhsa_reserve_flat_scratch 0
		.amdhsa_float_round_mode_32 0
		.amdhsa_float_round_mode_16_64 0
		.amdhsa_float_denorm_mode_32 3
		.amdhsa_float_denorm_mode_16_64 3
		.amdhsa_dx10_clamp 1
		.amdhsa_ieee_mode 1
		.amdhsa_fp16_overflow 0
		.amdhsa_workgroup_processor_mode 1
		.amdhsa_memory_ordered 1
		.amdhsa_forward_progress 1
		.amdhsa_shared_vgpr_count 0
		.amdhsa_exception_fp_ieee_invalid_op 0
		.amdhsa_exception_fp_denorm_src 0
		.amdhsa_exception_fp_ieee_div_zero 0
		.amdhsa_exception_fp_ieee_overflow 0
		.amdhsa_exception_fp_ieee_underflow 0
		.amdhsa_exception_fp_ieee_inexact 0
		.amdhsa_exception_int_div_zero 0
	.end_amdhsa_kernel
	.section	.text._ZN9rocsolver6v33100L18getf2_small_kernelILi29E19rocblas_complex_numIdEiiPS3_EEvT1_T3_lS5_lPS5_llPT2_S5_S5_S7_l,"axG",@progbits,_ZN9rocsolver6v33100L18getf2_small_kernelILi29E19rocblas_complex_numIdEiiPS3_EEvT1_T3_lS5_lPS5_llPT2_S5_S5_S7_l,comdat
.Lfunc_end56:
	.size	_ZN9rocsolver6v33100L18getf2_small_kernelILi29E19rocblas_complex_numIdEiiPS3_EEvT1_T3_lS5_lPS5_llPT2_S5_S5_S7_l, .Lfunc_end56-_ZN9rocsolver6v33100L18getf2_small_kernelILi29E19rocblas_complex_numIdEiiPS3_EEvT1_T3_lS5_lPS5_llPT2_S5_S5_S7_l
                                        ; -- End function
	.set _ZN9rocsolver6v33100L18getf2_small_kernelILi29E19rocblas_complex_numIdEiiPS3_EEvT1_T3_lS5_lPS5_llPT2_S5_S5_S7_l.num_vgpr, 151
	.set _ZN9rocsolver6v33100L18getf2_small_kernelILi29E19rocblas_complex_numIdEiiPS3_EEvT1_T3_lS5_lPS5_llPT2_S5_S5_S7_l.num_agpr, 0
	.set _ZN9rocsolver6v33100L18getf2_small_kernelILi29E19rocblas_complex_numIdEiiPS3_EEvT1_T3_lS5_lPS5_llPT2_S5_S5_S7_l.numbered_sgpr, 19
	.set _ZN9rocsolver6v33100L18getf2_small_kernelILi29E19rocblas_complex_numIdEiiPS3_EEvT1_T3_lS5_lPS5_llPT2_S5_S5_S7_l.num_named_barrier, 0
	.set _ZN9rocsolver6v33100L18getf2_small_kernelILi29E19rocblas_complex_numIdEiiPS3_EEvT1_T3_lS5_lPS5_llPT2_S5_S5_S7_l.private_seg_size, 0
	.set _ZN9rocsolver6v33100L18getf2_small_kernelILi29E19rocblas_complex_numIdEiiPS3_EEvT1_T3_lS5_lPS5_llPT2_S5_S5_S7_l.uses_vcc, 1
	.set _ZN9rocsolver6v33100L18getf2_small_kernelILi29E19rocblas_complex_numIdEiiPS3_EEvT1_T3_lS5_lPS5_llPT2_S5_S5_S7_l.uses_flat_scratch, 0
	.set _ZN9rocsolver6v33100L18getf2_small_kernelILi29E19rocblas_complex_numIdEiiPS3_EEvT1_T3_lS5_lPS5_llPT2_S5_S5_S7_l.has_dyn_sized_stack, 0
	.set _ZN9rocsolver6v33100L18getf2_small_kernelILi29E19rocblas_complex_numIdEiiPS3_EEvT1_T3_lS5_lPS5_llPT2_S5_S5_S7_l.has_recursion, 0
	.set _ZN9rocsolver6v33100L18getf2_small_kernelILi29E19rocblas_complex_numIdEiiPS3_EEvT1_T3_lS5_lPS5_llPT2_S5_S5_S7_l.has_indirect_call, 0
	.section	.AMDGPU.csdata,"",@progbits
; Kernel info:
; codeLenInByte = 58936
; TotalNumSgprs: 21
; NumVgprs: 151
; ScratchSize: 0
; MemoryBound: 0
; FloatMode: 240
; IeeeMode: 1
; LDSByteSize: 0 bytes/workgroup (compile time only)
; SGPRBlocks: 0
; VGPRBlocks: 18
; NumSGPRsForWavesPerEU: 21
; NumVGPRsForWavesPerEU: 151
; Occupancy: 6
; WaveLimiterHint : 0
; COMPUTE_PGM_RSRC2:SCRATCH_EN: 0
; COMPUTE_PGM_RSRC2:USER_SGPR: 6
; COMPUTE_PGM_RSRC2:TRAP_HANDLER: 0
; COMPUTE_PGM_RSRC2:TGID_X_EN: 1
; COMPUTE_PGM_RSRC2:TGID_Y_EN: 1
; COMPUTE_PGM_RSRC2:TGID_Z_EN: 0
; COMPUTE_PGM_RSRC2:TIDIG_COMP_CNT: 1
	.section	.text._ZN9rocsolver6v33100L23getf2_npvt_small_kernelILi29E19rocblas_complex_numIdEiiPS3_EEvT1_T3_lS5_lPT2_S5_S5_,"axG",@progbits,_ZN9rocsolver6v33100L23getf2_npvt_small_kernelILi29E19rocblas_complex_numIdEiiPS3_EEvT1_T3_lS5_lPT2_S5_S5_,comdat
	.globl	_ZN9rocsolver6v33100L23getf2_npvt_small_kernelILi29E19rocblas_complex_numIdEiiPS3_EEvT1_T3_lS5_lPT2_S5_S5_ ; -- Begin function _ZN9rocsolver6v33100L23getf2_npvt_small_kernelILi29E19rocblas_complex_numIdEiiPS3_EEvT1_T3_lS5_lPT2_S5_S5_
	.p2align	8
	.type	_ZN9rocsolver6v33100L23getf2_npvt_small_kernelILi29E19rocblas_complex_numIdEiiPS3_EEvT1_T3_lS5_lPT2_S5_S5_,@function
_ZN9rocsolver6v33100L23getf2_npvt_small_kernelILi29E19rocblas_complex_numIdEiiPS3_EEvT1_T3_lS5_lPT2_S5_S5_: ; @_ZN9rocsolver6v33100L23getf2_npvt_small_kernelILi29E19rocblas_complex_numIdEiiPS3_EEvT1_T3_lS5_lPT2_S5_S5_
; %bb.0:
	s_mov_b64 s[38:39], s[2:3]
	s_mov_b64 s[36:37], s[0:1]
	s_clause 0x1
	s_load_dword s0, s[4:5], 0x44
	s_load_dwordx2 s[28:29], s[4:5], 0x30
	s_add_u32 s36, s36, s8
	s_addc_u32 s37, s37, 0
	s_waitcnt lgkmcnt(0)
	s_lshr_b32 s8, s0, 16
	s_mov_b32 s0, exec_lo
	v_mad_u64_u32 v[234:235], null, s7, s8, v[1:2]
	v_cmpx_gt_i32_e64 s28, v234
	s_cbranch_execz .LBB57_266
; %bb.1:
	s_clause 0x2
	s_load_dwordx4 s[24:27], s[4:5], 0x20
	s_load_dword s6, s[4:5], 0x18
	s_load_dwordx4 s[0:3], s[4:5], 0x8
	v_ashrrev_i32_e32 v235, 31, v234
	s_mulk_i32 s8, 0x1d0
	v_mad_u32_u24 v250, 0x1d0, v1, 0
	s_waitcnt lgkmcnt(0)
	v_mul_lo_u32 v5, s25, v234
	v_mul_lo_u32 v7, s24, v235
	v_mad_u64_u32 v[2:3], null, s24, v234, 0
	v_add3_u32 v4, s6, s6, v0
	s_lshl_b64 s[2:3], s[2:3], 4
	s_ashr_i32 s7, s6, 31
	v_add_nc_u32_e32 v6, s6, v4
	v_add3_u32 v3, v3, v7, v5
	v_ashrrev_i32_e32 v5, 31, v4
	v_add_nc_u32_e32 v8, s6, v6
	v_lshlrev_b64 v[2:3], 4, v[2:3]
	v_ashrrev_i32_e32 v7, 31, v6
	v_lshlrev_b64 v[4:5], 4, v[4:5]
	v_ashrrev_i32_e32 v9, 31, v8
	v_add_nc_u32_e32 v10, s6, v8
	v_add_co_u32 v12, vcc_lo, s0, v2
	v_add_co_ci_u32_e64 v13, null, s1, v3, vcc_lo
	v_lshlrev_b64 v[2:3], 4, v[8:9]
	v_add_nc_u32_e32 v8, s6, v10
	v_add_co_u32 v14, vcc_lo, v12, s2
	v_lshlrev_b64 v[6:7], 4, v[6:7]
	v_add_co_ci_u32_e64 v15, null, s3, v13, vcc_lo
	v_ashrrev_i32_e32 v11, 31, v10
	v_add_nc_u32_e32 v12, s6, v8
	v_add_co_u32 v20, vcc_lo, v14, v4
	v_ashrrev_i32_e32 v9, 31, v8
	v_add_co_ci_u32_e64 v21, null, v15, v5, vcc_lo
	v_add_co_u32 v18, vcc_lo, v14, v6
	v_lshlrev_b64 v[10:11], 4, v[10:11]
	v_add_co_ci_u32_e64 v19, null, v15, v7, vcc_lo
	v_add_co_u32 v16, vcc_lo, v14, v2
	v_add_nc_u32_e32 v4, s6, v12
	v_add_co_ci_u32_e64 v17, null, v15, v3, vcc_lo
	v_lshlrev_b64 v[2:3], 4, v[8:9]
	v_ashrrev_i32_e32 v13, 31, v12
	v_ashrrev_i32_e32 v5, 31, v4
	v_add_nc_u32_e32 v8, s6, v4
	v_add_co_u32 v10, vcc_lo, v14, v10
	v_lshlrev_b64 v[6:7], 4, v[12:13]
	v_add_co_ci_u32_e64 v11, null, v15, v11, vcc_lo
	v_add_co_u32 v12, vcc_lo, v14, v2
	v_add_co_ci_u32_e64 v13, null, v15, v3, vcc_lo
	v_lshlrev_b64 v[2:3], 4, v[4:5]
	v_ashrrev_i32_e32 v9, 31, v8
	v_add_nc_u32_e32 v4, s6, v8
	v_add_co_u32 v22, vcc_lo, v14, v6
	v_add_co_ci_u32_e64 v23, null, v15, v7, vcc_lo
	v_lshlrev_b64 v[6:7], 4, v[8:9]
	v_ashrrev_i32_e32 v5, 31, v4
	v_add_nc_u32_e32 v8, s6, v4
	;; [unrolled: 5-line block ×17, first 2 shown]
	v_add_co_u32 v128, vcc_lo, v14, v6
	v_add_co_ci_u32_e64 v129, null, v15, v7, vcc_lo
	v_lshlrev_b64 v[6:7], 4, v[8:9]
	v_add_nc_u32_e32 v8, s6, v4
	v_ashrrev_i32_e32 v5, 31, v4
	v_add_co_u32 v254, vcc_lo, v14, v2
	v_add_co_ci_u32_e64 v255, null, v15, v3, vcc_lo
	v_ashrrev_i32_e32 v9, 31, v8
	v_lshlrev_b64 v[2:3], 4, v[4:5]
	v_add_co_u32 v126, vcc_lo, v14, v6
	v_add_nc_u32_e32 v6, s6, v8
	v_lshlrev_b64 v[4:5], 4, v[8:9]
	v_lshlrev_b32_e32 v8, 4, v0
	v_add_co_ci_u32_e64 v127, null, v15, v7, vcc_lo
	v_add_co_u32 v240, vcc_lo, v14, v2
	v_add_co_ci_u32_e64 v241, null, v15, v3, vcc_lo
	v_add_co_u32 v242, vcc_lo, v14, v4
	;; [unrolled: 2-line block ×3, first 2 shown]
	v_add_co_ci_u32_e64 v239, null, 0, v15, vcc_lo
	s_lshl_b64 s[0:1], s[6:7], 4
	v_ashrrev_i32_e32 v7, 31, v6
	v_add_co_u32 v251, vcc_lo, v238, s0
	v_add_co_ci_u32_e64 v252, null, s1, v239, vcc_lo
	s_clause 0x1
	global_load_dwordx4 v[114:117], v[238:239], off
	global_load_dwordx4 v[110:113], v[251:252], off
	buffer_store_dword v20, off, s[36:39], 0 offset:16 ; 4-byte Folded Spill
	buffer_store_dword v21, off, s[36:39], 0 offset:20 ; 4-byte Folded Spill
	v_lshlrev_b64 v[2:3], 4, v[6:7]
	v_cmp_ne_u32_e64 s1, 0, v0
	v_cmp_eq_u32_e64 s0, 0, v0
	v_add_co_u32 v244, vcc_lo, v14, v2
	v_add_co_ci_u32_e64 v245, null, v15, v3, vcc_lo
	global_load_dwordx4 v[106:109], v[20:21], off
	buffer_store_dword v18, off, s[36:39], 0 offset:8 ; 4-byte Folded Spill
	buffer_store_dword v19, off, s[36:39], 0 offset:12 ; 4-byte Folded Spill
	global_load_dwordx4 v[102:105], v[18:19], off
	buffer_store_dword v16, off, s[36:39], 0 ; 4-byte Folded Spill
	buffer_store_dword v17, off, s[36:39], 0 offset:4 ; 4-byte Folded Spill
	global_load_dwordx4 v[98:101], v[16:17], off
	buffer_store_dword v10, off, s[36:39], 0 offset:24 ; 4-byte Folded Spill
	buffer_store_dword v11, off, s[36:39], 0 offset:28 ; 4-byte Folded Spill
	global_load_dwordx4 v[94:97], v[10:11], off
	buffer_store_dword v12, off, s[36:39], 0 offset:32 ; 4-byte Folded Spill
	;; [unrolled: 3-line block ×16, first 2 shown]
	buffer_store_dword v121, off, s[36:39], 0 offset:148 ; 4-byte Folded Spill
	v_lshlrev_b32_e32 v118, 4, v1
	v_add3_u32 v1, 0, s8, v118
	global_load_dwordx4 v[34:37], v[120:121], off
	buffer_store_dword v122, off, s[36:39], 0 offset:152 ; 4-byte Folded Spill
	buffer_store_dword v123, off, s[36:39], 0 offset:156 ; 4-byte Folded Spill
	global_load_dwordx4 v[30:33], v[122:123], off
	buffer_store_dword v124, off, s[36:39], 0 offset:184 ; 4-byte Folded Spill
	buffer_store_dword v125, off, s[36:39], 0 offset:188 ; 4-byte Folded Spill
	;; [unrolled: 3-line block ×3, first 2 shown]
	s_clause 0x1
	global_load_dwordx4 v[22:25], v[128:129], off
	global_load_dwordx4 v[18:21], v[254:255], off
	buffer_store_dword v126, off, s[36:39], 0 offset:176 ; 4-byte Folded Spill
	buffer_store_dword v127, off, s[36:39], 0 offset:180 ; 4-byte Folded Spill
	s_clause 0x3
	global_load_dwordx4 v[14:17], v[126:127], off
	global_load_dwordx4 v[10:13], v[240:241], off
	;; [unrolled: 1-line block ×4, first 2 shown]
	s_and_saveexec_b32 s3, s0
	s_cbranch_execz .LBB57_8
; %bb.2:
	s_waitcnt vmcnt(28)
	ds_write2_b64 v1, v[114:115], v[116:117] offset1:1
	s_waitcnt vmcnt(27)
	ds_write2_b64 v250, v[110:111], v[112:113] offset0:2 offset1:3
	s_waitcnt vmcnt(26)
	ds_write2_b64 v250, v[106:107], v[108:109] offset0:4 offset1:5
	;; [unrolled: 2-line block ×28, first 2 shown]
	ds_read2_b64 v[118:121], v1 offset1:1
	s_waitcnt lgkmcnt(0)
	v_cmp_neq_f64_e32 vcc_lo, 0, v[118:119]
	v_cmp_neq_f64_e64 s2, 0, v[120:121]
	s_or_b32 s2, vcc_lo, s2
	s_and_b32 exec_lo, exec_lo, s2
	s_cbranch_execz .LBB57_8
; %bb.3:
	v_cmp_ngt_f64_e64 s2, |v[118:119]|, |v[120:121]|
                                        ; implicit-def: $vgpr122_vgpr123
	s_and_saveexec_b32 s4, s2
	s_xor_b32 s2, exec_lo, s4
                                        ; implicit-def: $vgpr124_vgpr125
	s_cbranch_execz .LBB57_5
; %bb.4:
	v_div_scale_f64 v[122:123], null, v[120:121], v[120:121], v[118:119]
	v_div_scale_f64 v[128:129], vcc_lo, v[118:119], v[120:121], v[118:119]
	v_rcp_f64_e32 v[124:125], v[122:123]
	v_fma_f64 v[126:127], -v[122:123], v[124:125], 1.0
	v_fma_f64 v[124:125], v[124:125], v[126:127], v[124:125]
	v_fma_f64 v[126:127], -v[122:123], v[124:125], 1.0
	v_fma_f64 v[124:125], v[124:125], v[126:127], v[124:125]
	v_mul_f64 v[126:127], v[128:129], v[124:125]
	v_fma_f64 v[122:123], -v[122:123], v[126:127], v[128:129]
	v_div_fmas_f64 v[122:123], v[122:123], v[124:125], v[126:127]
	v_div_fixup_f64 v[122:123], v[122:123], v[120:121], v[118:119]
	v_fma_f64 v[118:119], v[118:119], v[122:123], v[120:121]
	v_div_scale_f64 v[120:121], null, v[118:119], v[118:119], 1.0
	v_rcp_f64_e32 v[124:125], v[120:121]
	v_fma_f64 v[126:127], -v[120:121], v[124:125], 1.0
	v_fma_f64 v[124:125], v[124:125], v[126:127], v[124:125]
	v_fma_f64 v[126:127], -v[120:121], v[124:125], 1.0
	v_fma_f64 v[124:125], v[124:125], v[126:127], v[124:125]
	v_div_scale_f64 v[126:127], vcc_lo, 1.0, v[118:119], 1.0
	v_mul_f64 v[128:129], v[126:127], v[124:125]
	v_fma_f64 v[120:121], -v[120:121], v[128:129], v[126:127]
	v_div_fmas_f64 v[120:121], v[120:121], v[124:125], v[128:129]
	v_div_fixup_f64 v[124:125], v[120:121], v[118:119], 1.0
                                        ; implicit-def: $vgpr118_vgpr119
	v_mul_f64 v[122:123], v[122:123], v[124:125]
	v_xor_b32_e32 v125, 0x80000000, v125
.LBB57_5:
	s_andn2_saveexec_b32 s2, s2
	s_cbranch_execz .LBB57_7
; %bb.6:
	v_div_scale_f64 v[122:123], null, v[118:119], v[118:119], v[120:121]
	v_div_scale_f64 v[128:129], vcc_lo, v[120:121], v[118:119], v[120:121]
	v_rcp_f64_e32 v[124:125], v[122:123]
	v_fma_f64 v[126:127], -v[122:123], v[124:125], 1.0
	v_fma_f64 v[124:125], v[124:125], v[126:127], v[124:125]
	v_fma_f64 v[126:127], -v[122:123], v[124:125], 1.0
	v_fma_f64 v[124:125], v[124:125], v[126:127], v[124:125]
	v_mul_f64 v[126:127], v[128:129], v[124:125]
	v_fma_f64 v[122:123], -v[122:123], v[126:127], v[128:129]
	v_div_fmas_f64 v[122:123], v[122:123], v[124:125], v[126:127]
	v_div_fixup_f64 v[124:125], v[122:123], v[118:119], v[120:121]
	v_fma_f64 v[118:119], v[120:121], v[124:125], v[118:119]
	v_div_scale_f64 v[120:121], null, v[118:119], v[118:119], 1.0
	v_rcp_f64_e32 v[122:123], v[120:121]
	v_fma_f64 v[126:127], -v[120:121], v[122:123], 1.0
	v_fma_f64 v[122:123], v[122:123], v[126:127], v[122:123]
	v_fma_f64 v[126:127], -v[120:121], v[122:123], 1.0
	v_fma_f64 v[122:123], v[122:123], v[126:127], v[122:123]
	v_div_scale_f64 v[126:127], vcc_lo, 1.0, v[118:119], 1.0
	v_mul_f64 v[128:129], v[126:127], v[122:123]
	v_fma_f64 v[120:121], -v[120:121], v[128:129], v[126:127]
	v_div_fmas_f64 v[120:121], v[120:121], v[122:123], v[128:129]
	v_div_fixup_f64 v[122:123], v[120:121], v[118:119], 1.0
	v_mul_f64 v[124:125], v[124:125], -v[122:123]
.LBB57_7:
	s_or_b32 exec_lo, exec_lo, s2
	ds_write2_b64 v1, v[122:123], v[124:125] offset1:1
.LBB57_8:
	s_or_b32 exec_lo, exec_lo, s3
	s_waitcnt vmcnt(0) lgkmcnt(0)
	s_waitcnt_vscnt null, 0x0
	s_barrier
	buffer_gl0_inv
	ds_read2_b64 v[118:121], v1 offset1:1
	s_waitcnt lgkmcnt(0)
	buffer_store_dword v118, off, s[36:39], 0 offset:160 ; 4-byte Folded Spill
	buffer_store_dword v119, off, s[36:39], 0 offset:164 ; 4-byte Folded Spill
	buffer_store_dword v120, off, s[36:39], 0 offset:168 ; 4-byte Folded Spill
	buffer_store_dword v121, off, s[36:39], 0 offset:172 ; 4-byte Folded Spill
	s_and_saveexec_b32 s2, s1
	s_cbranch_execz .LBB57_10
; %bb.9:
	s_clause 0x3
	buffer_load_dword v118, off, s[36:39], 0 offset:160
	buffer_load_dword v119, off, s[36:39], 0 offset:164
	;; [unrolled: 1-line block ×4, first 2 shown]
	ds_read2_b64 v[124:127], v250 offset0:2 offset1:3
	s_waitcnt vmcnt(0)
	v_mul_f64 v[122:123], v[120:121], v[116:117]
	v_mul_f64 v[116:117], v[118:119], v[116:117]
	v_fma_f64 v[122:123], v[118:119], v[114:115], -v[122:123]
	v_fma_f64 v[116:117], v[120:121], v[114:115], v[116:117]
	s_waitcnt lgkmcnt(0)
	v_mul_f64 v[114:115], v[126:127], v[116:117]
	v_fma_f64 v[114:115], v[124:125], v[122:123], -v[114:115]
	v_mul_f64 v[124:125], v[124:125], v[116:117]
	v_add_f64 v[110:111], v[110:111], -v[114:115]
	v_fma_f64 v[124:125], v[126:127], v[122:123], v[124:125]
	v_add_f64 v[112:113], v[112:113], -v[124:125]
	ds_read2_b64 v[124:127], v250 offset0:4 offset1:5
	s_waitcnt lgkmcnt(0)
	v_mul_f64 v[114:115], v[126:127], v[116:117]
	v_fma_f64 v[114:115], v[124:125], v[122:123], -v[114:115]
	v_mul_f64 v[124:125], v[124:125], v[116:117]
	v_add_f64 v[106:107], v[106:107], -v[114:115]
	v_fma_f64 v[124:125], v[126:127], v[122:123], v[124:125]
	v_add_f64 v[108:109], v[108:109], -v[124:125]
	ds_read2_b64 v[124:127], v250 offset0:6 offset1:7
	;; [unrolled: 8-line block ×27, first 2 shown]
	s_waitcnt lgkmcnt(0)
	v_mul_f64 v[114:115], v[126:127], v[116:117]
	v_fma_f64 v[114:115], v[124:125], v[122:123], -v[114:115]
	v_mul_f64 v[124:125], v[124:125], v[116:117]
	v_add_f64 v[2:3], v[2:3], -v[114:115]
	v_fma_f64 v[124:125], v[126:127], v[122:123], v[124:125]
	v_mov_b32_e32 v114, v122
	v_mov_b32_e32 v115, v123
	v_add_f64 v[4:5], v[4:5], -v[124:125]
.LBB57_10:
	s_or_b32 exec_lo, exec_lo, s2
	s_mov_b32 s2, exec_lo
	s_waitcnt_vscnt null, 0x0
	s_barrier
	buffer_gl0_inv
	v_cmpx_eq_u32_e32 1, v0
	s_cbranch_execz .LBB57_17
; %bb.11:
	ds_write2_b64 v1, v[110:111], v[112:113] offset1:1
	ds_write2_b64 v250, v[106:107], v[108:109] offset0:4 offset1:5
	ds_write2_b64 v250, v[102:103], v[104:105] offset0:6 offset1:7
	;; [unrolled: 1-line block ×27, first 2 shown]
	ds_read2_b64 v[122:125], v1 offset1:1
	s_waitcnt lgkmcnt(0)
	v_cmp_neq_f64_e32 vcc_lo, 0, v[122:123]
	v_cmp_neq_f64_e64 s1, 0, v[124:125]
	s_or_b32 s1, vcc_lo, s1
	s_and_b32 exec_lo, exec_lo, s1
	s_cbranch_execz .LBB57_17
; %bb.12:
	v_cmp_ngt_f64_e64 s1, |v[122:123]|, |v[124:125]|
                                        ; implicit-def: $vgpr126_vgpr127
	s_and_saveexec_b32 s3, s1
	s_xor_b32 s1, exec_lo, s3
                                        ; implicit-def: $vgpr128_vgpr129
	s_cbranch_execz .LBB57_14
; %bb.13:
	v_div_scale_f64 v[126:127], null, v[124:125], v[124:125], v[122:123]
	v_div_scale_f64 v[132:133], vcc_lo, v[122:123], v[124:125], v[122:123]
	v_rcp_f64_e32 v[128:129], v[126:127]
	v_fma_f64 v[130:131], -v[126:127], v[128:129], 1.0
	v_fma_f64 v[128:129], v[128:129], v[130:131], v[128:129]
	v_fma_f64 v[130:131], -v[126:127], v[128:129], 1.0
	v_fma_f64 v[128:129], v[128:129], v[130:131], v[128:129]
	v_mul_f64 v[130:131], v[132:133], v[128:129]
	v_fma_f64 v[126:127], -v[126:127], v[130:131], v[132:133]
	v_div_fmas_f64 v[126:127], v[126:127], v[128:129], v[130:131]
	v_div_fixup_f64 v[126:127], v[126:127], v[124:125], v[122:123]
	v_fma_f64 v[122:123], v[122:123], v[126:127], v[124:125]
	v_div_scale_f64 v[124:125], null, v[122:123], v[122:123], 1.0
	v_rcp_f64_e32 v[128:129], v[124:125]
	v_fma_f64 v[130:131], -v[124:125], v[128:129], 1.0
	v_fma_f64 v[128:129], v[128:129], v[130:131], v[128:129]
	v_fma_f64 v[130:131], -v[124:125], v[128:129], 1.0
	v_fma_f64 v[128:129], v[128:129], v[130:131], v[128:129]
	v_div_scale_f64 v[130:131], vcc_lo, 1.0, v[122:123], 1.0
	v_mul_f64 v[132:133], v[130:131], v[128:129]
	v_fma_f64 v[124:125], -v[124:125], v[132:133], v[130:131]
	v_div_fmas_f64 v[124:125], v[124:125], v[128:129], v[132:133]
	v_div_fixup_f64 v[128:129], v[124:125], v[122:123], 1.0
                                        ; implicit-def: $vgpr122_vgpr123
	v_mul_f64 v[126:127], v[126:127], v[128:129]
	v_xor_b32_e32 v129, 0x80000000, v129
.LBB57_14:
	s_andn2_saveexec_b32 s1, s1
	s_cbranch_execz .LBB57_16
; %bb.15:
	v_div_scale_f64 v[126:127], null, v[122:123], v[122:123], v[124:125]
	v_div_scale_f64 v[132:133], vcc_lo, v[124:125], v[122:123], v[124:125]
	v_rcp_f64_e32 v[128:129], v[126:127]
	v_fma_f64 v[130:131], -v[126:127], v[128:129], 1.0
	v_fma_f64 v[128:129], v[128:129], v[130:131], v[128:129]
	v_fma_f64 v[130:131], -v[126:127], v[128:129], 1.0
	v_fma_f64 v[128:129], v[128:129], v[130:131], v[128:129]
	v_mul_f64 v[130:131], v[132:133], v[128:129]
	v_fma_f64 v[126:127], -v[126:127], v[130:131], v[132:133]
	v_div_fmas_f64 v[126:127], v[126:127], v[128:129], v[130:131]
	v_div_fixup_f64 v[128:129], v[126:127], v[122:123], v[124:125]
	v_fma_f64 v[122:123], v[124:125], v[128:129], v[122:123]
	v_div_scale_f64 v[124:125], null, v[122:123], v[122:123], 1.0
	v_rcp_f64_e32 v[126:127], v[124:125]
	v_fma_f64 v[130:131], -v[124:125], v[126:127], 1.0
	v_fma_f64 v[126:127], v[126:127], v[130:131], v[126:127]
	v_fma_f64 v[130:131], -v[124:125], v[126:127], 1.0
	v_fma_f64 v[126:127], v[126:127], v[130:131], v[126:127]
	v_div_scale_f64 v[130:131], vcc_lo, 1.0, v[122:123], 1.0
	v_mul_f64 v[132:133], v[130:131], v[126:127]
	v_fma_f64 v[124:125], -v[124:125], v[132:133], v[130:131]
	v_div_fmas_f64 v[124:125], v[124:125], v[126:127], v[132:133]
	v_div_fixup_f64 v[126:127], v[124:125], v[122:123], 1.0
	v_mul_f64 v[128:129], v[128:129], -v[126:127]
.LBB57_16:
	s_or_b32 exec_lo, exec_lo, s1
	ds_write2_b64 v1, v[126:127], v[128:129] offset1:1
.LBB57_17:
	s_or_b32 exec_lo, exec_lo, s2
	s_waitcnt lgkmcnt(0)
	s_barrier
	buffer_gl0_inv
	ds_read2_b64 v[122:125], v1 offset1:1
	s_mov_b32 s1, exec_lo
	v_cmpx_lt_u32_e32 1, v0
	s_cbranch_execz .LBB57_19
; %bb.18:
	s_waitcnt lgkmcnt(0)
	v_mul_f64 v[126:127], v[124:125], v[112:113]
	v_mul_f64 v[112:113], v[122:123], v[112:113]
	ds_read2_b64 v[128:131], v250 offset0:4 offset1:5
	v_fma_f64 v[126:127], v[122:123], v[110:111], -v[126:127]
	v_fma_f64 v[112:113], v[124:125], v[110:111], v[112:113]
	s_waitcnt lgkmcnt(0)
	v_mul_f64 v[110:111], v[130:131], v[112:113]
	v_fma_f64 v[110:111], v[128:129], v[126:127], -v[110:111]
	v_mul_f64 v[128:129], v[128:129], v[112:113]
	v_add_f64 v[106:107], v[106:107], -v[110:111]
	v_fma_f64 v[128:129], v[130:131], v[126:127], v[128:129]
	v_add_f64 v[108:109], v[108:109], -v[128:129]
	ds_read2_b64 v[128:131], v250 offset0:6 offset1:7
	s_waitcnt lgkmcnt(0)
	v_mul_f64 v[110:111], v[130:131], v[112:113]
	v_fma_f64 v[110:111], v[128:129], v[126:127], -v[110:111]
	v_mul_f64 v[128:129], v[128:129], v[112:113]
	v_add_f64 v[102:103], v[102:103], -v[110:111]
	v_fma_f64 v[128:129], v[130:131], v[126:127], v[128:129]
	v_add_f64 v[104:105], v[104:105], -v[128:129]
	ds_read2_b64 v[128:131], v250 offset0:8 offset1:9
	;; [unrolled: 8-line block ×26, first 2 shown]
	s_waitcnt lgkmcnt(0)
	v_mul_f64 v[110:111], v[130:131], v[112:113]
	v_fma_f64 v[110:111], v[128:129], v[126:127], -v[110:111]
	v_mul_f64 v[128:129], v[128:129], v[112:113]
	v_add_f64 v[2:3], v[2:3], -v[110:111]
	v_fma_f64 v[128:129], v[130:131], v[126:127], v[128:129]
	v_mov_b32_e32 v110, v126
	v_mov_b32_e32 v111, v127
	v_add_f64 v[4:5], v[4:5], -v[128:129]
.LBB57_19:
	s_or_b32 exec_lo, exec_lo, s1
	s_mov_b32 s2, exec_lo
	s_waitcnt lgkmcnt(0)
	s_barrier
	buffer_gl0_inv
	v_cmpx_eq_u32_e32 2, v0
	s_cbranch_execz .LBB57_26
; %bb.20:
	ds_write2_b64 v1, v[106:107], v[108:109] offset1:1
	ds_write2_b64 v250, v[102:103], v[104:105] offset0:6 offset1:7
	ds_write2_b64 v250, v[98:99], v[100:101] offset0:8 offset1:9
	;; [unrolled: 1-line block ×26, first 2 shown]
	ds_read2_b64 v[126:129], v1 offset1:1
	s_waitcnt lgkmcnt(0)
	v_cmp_neq_f64_e32 vcc_lo, 0, v[126:127]
	v_cmp_neq_f64_e64 s1, 0, v[128:129]
	s_or_b32 s1, vcc_lo, s1
	s_and_b32 exec_lo, exec_lo, s1
	s_cbranch_execz .LBB57_26
; %bb.21:
	v_cmp_ngt_f64_e64 s1, |v[126:127]|, |v[128:129]|
                                        ; implicit-def: $vgpr130_vgpr131
	s_and_saveexec_b32 s3, s1
	s_xor_b32 s1, exec_lo, s3
                                        ; implicit-def: $vgpr132_vgpr133
	s_cbranch_execz .LBB57_23
; %bb.22:
	v_div_scale_f64 v[130:131], null, v[128:129], v[128:129], v[126:127]
	v_div_scale_f64 v[136:137], vcc_lo, v[126:127], v[128:129], v[126:127]
	v_rcp_f64_e32 v[132:133], v[130:131]
	v_fma_f64 v[134:135], -v[130:131], v[132:133], 1.0
	v_fma_f64 v[132:133], v[132:133], v[134:135], v[132:133]
	v_fma_f64 v[134:135], -v[130:131], v[132:133], 1.0
	v_fma_f64 v[132:133], v[132:133], v[134:135], v[132:133]
	v_mul_f64 v[134:135], v[136:137], v[132:133]
	v_fma_f64 v[130:131], -v[130:131], v[134:135], v[136:137]
	v_div_fmas_f64 v[130:131], v[130:131], v[132:133], v[134:135]
	v_div_fixup_f64 v[130:131], v[130:131], v[128:129], v[126:127]
	v_fma_f64 v[126:127], v[126:127], v[130:131], v[128:129]
	v_div_scale_f64 v[128:129], null, v[126:127], v[126:127], 1.0
	v_rcp_f64_e32 v[132:133], v[128:129]
	v_fma_f64 v[134:135], -v[128:129], v[132:133], 1.0
	v_fma_f64 v[132:133], v[132:133], v[134:135], v[132:133]
	v_fma_f64 v[134:135], -v[128:129], v[132:133], 1.0
	v_fma_f64 v[132:133], v[132:133], v[134:135], v[132:133]
	v_div_scale_f64 v[134:135], vcc_lo, 1.0, v[126:127], 1.0
	v_mul_f64 v[136:137], v[134:135], v[132:133]
	v_fma_f64 v[128:129], -v[128:129], v[136:137], v[134:135]
	v_div_fmas_f64 v[128:129], v[128:129], v[132:133], v[136:137]
	v_div_fixup_f64 v[132:133], v[128:129], v[126:127], 1.0
                                        ; implicit-def: $vgpr126_vgpr127
	v_mul_f64 v[130:131], v[130:131], v[132:133]
	v_xor_b32_e32 v133, 0x80000000, v133
.LBB57_23:
	s_andn2_saveexec_b32 s1, s1
	s_cbranch_execz .LBB57_25
; %bb.24:
	v_div_scale_f64 v[130:131], null, v[126:127], v[126:127], v[128:129]
	v_div_scale_f64 v[136:137], vcc_lo, v[128:129], v[126:127], v[128:129]
	v_rcp_f64_e32 v[132:133], v[130:131]
	v_fma_f64 v[134:135], -v[130:131], v[132:133], 1.0
	v_fma_f64 v[132:133], v[132:133], v[134:135], v[132:133]
	v_fma_f64 v[134:135], -v[130:131], v[132:133], 1.0
	v_fma_f64 v[132:133], v[132:133], v[134:135], v[132:133]
	v_mul_f64 v[134:135], v[136:137], v[132:133]
	v_fma_f64 v[130:131], -v[130:131], v[134:135], v[136:137]
	v_div_fmas_f64 v[130:131], v[130:131], v[132:133], v[134:135]
	v_div_fixup_f64 v[132:133], v[130:131], v[126:127], v[128:129]
	v_fma_f64 v[126:127], v[128:129], v[132:133], v[126:127]
	v_div_scale_f64 v[128:129], null, v[126:127], v[126:127], 1.0
	v_rcp_f64_e32 v[130:131], v[128:129]
	v_fma_f64 v[134:135], -v[128:129], v[130:131], 1.0
	v_fma_f64 v[130:131], v[130:131], v[134:135], v[130:131]
	v_fma_f64 v[134:135], -v[128:129], v[130:131], 1.0
	v_fma_f64 v[130:131], v[130:131], v[134:135], v[130:131]
	v_div_scale_f64 v[134:135], vcc_lo, 1.0, v[126:127], 1.0
	v_mul_f64 v[136:137], v[134:135], v[130:131]
	v_fma_f64 v[128:129], -v[128:129], v[136:137], v[134:135]
	v_div_fmas_f64 v[128:129], v[128:129], v[130:131], v[136:137]
	v_div_fixup_f64 v[130:131], v[128:129], v[126:127], 1.0
	v_mul_f64 v[132:133], v[132:133], -v[130:131]
.LBB57_25:
	s_or_b32 exec_lo, exec_lo, s1
	ds_write2_b64 v1, v[130:131], v[132:133] offset1:1
.LBB57_26:
	s_or_b32 exec_lo, exec_lo, s2
	s_waitcnt lgkmcnt(0)
	s_barrier
	buffer_gl0_inv
	ds_read2_b64 v[126:129], v1 offset1:1
	s_mov_b32 s1, exec_lo
	v_cmpx_lt_u32_e32 2, v0
	s_cbranch_execz .LBB57_28
; %bb.27:
	s_waitcnt lgkmcnt(0)
	v_mul_f64 v[130:131], v[128:129], v[108:109]
	v_mul_f64 v[108:109], v[126:127], v[108:109]
	ds_read2_b64 v[132:135], v250 offset0:6 offset1:7
	v_fma_f64 v[130:131], v[126:127], v[106:107], -v[130:131]
	v_fma_f64 v[108:109], v[128:129], v[106:107], v[108:109]
	s_waitcnt lgkmcnt(0)
	v_mul_f64 v[106:107], v[134:135], v[108:109]
	v_fma_f64 v[106:107], v[132:133], v[130:131], -v[106:107]
	v_mul_f64 v[132:133], v[132:133], v[108:109]
	v_add_f64 v[102:103], v[102:103], -v[106:107]
	v_fma_f64 v[132:133], v[134:135], v[130:131], v[132:133]
	v_add_f64 v[104:105], v[104:105], -v[132:133]
	ds_read2_b64 v[132:135], v250 offset0:8 offset1:9
	s_waitcnt lgkmcnt(0)
	v_mul_f64 v[106:107], v[134:135], v[108:109]
	v_fma_f64 v[106:107], v[132:133], v[130:131], -v[106:107]
	v_mul_f64 v[132:133], v[132:133], v[108:109]
	v_add_f64 v[98:99], v[98:99], -v[106:107]
	v_fma_f64 v[132:133], v[134:135], v[130:131], v[132:133]
	v_add_f64 v[100:101], v[100:101], -v[132:133]
	ds_read2_b64 v[132:135], v250 offset0:10 offset1:11
	;; [unrolled: 8-line block ×25, first 2 shown]
	s_waitcnt lgkmcnt(0)
	v_mul_f64 v[106:107], v[134:135], v[108:109]
	v_fma_f64 v[106:107], v[132:133], v[130:131], -v[106:107]
	v_mul_f64 v[132:133], v[132:133], v[108:109]
	v_add_f64 v[2:3], v[2:3], -v[106:107]
	v_fma_f64 v[132:133], v[134:135], v[130:131], v[132:133]
	v_mov_b32_e32 v106, v130
	v_mov_b32_e32 v107, v131
	v_add_f64 v[4:5], v[4:5], -v[132:133]
.LBB57_28:
	s_or_b32 exec_lo, exec_lo, s1
	s_mov_b32 s2, exec_lo
	s_waitcnt lgkmcnt(0)
	s_barrier
	buffer_gl0_inv
	v_cmpx_eq_u32_e32 3, v0
	s_cbranch_execz .LBB57_35
; %bb.29:
	ds_write2_b64 v1, v[102:103], v[104:105] offset1:1
	ds_write2_b64 v250, v[98:99], v[100:101] offset0:8 offset1:9
	ds_write2_b64 v250, v[94:95], v[96:97] offset0:10 offset1:11
	;; [unrolled: 1-line block ×25, first 2 shown]
	ds_read2_b64 v[130:133], v1 offset1:1
	s_waitcnt lgkmcnt(0)
	v_cmp_neq_f64_e32 vcc_lo, 0, v[130:131]
	v_cmp_neq_f64_e64 s1, 0, v[132:133]
	s_or_b32 s1, vcc_lo, s1
	s_and_b32 exec_lo, exec_lo, s1
	s_cbranch_execz .LBB57_35
; %bb.30:
	v_cmp_ngt_f64_e64 s1, |v[130:131]|, |v[132:133]|
                                        ; implicit-def: $vgpr134_vgpr135
	s_and_saveexec_b32 s3, s1
	s_xor_b32 s1, exec_lo, s3
                                        ; implicit-def: $vgpr136_vgpr137
	s_cbranch_execz .LBB57_32
; %bb.31:
	v_div_scale_f64 v[134:135], null, v[132:133], v[132:133], v[130:131]
	v_div_scale_f64 v[140:141], vcc_lo, v[130:131], v[132:133], v[130:131]
	v_rcp_f64_e32 v[136:137], v[134:135]
	v_fma_f64 v[138:139], -v[134:135], v[136:137], 1.0
	v_fma_f64 v[136:137], v[136:137], v[138:139], v[136:137]
	v_fma_f64 v[138:139], -v[134:135], v[136:137], 1.0
	v_fma_f64 v[136:137], v[136:137], v[138:139], v[136:137]
	v_mul_f64 v[138:139], v[140:141], v[136:137]
	v_fma_f64 v[134:135], -v[134:135], v[138:139], v[140:141]
	v_div_fmas_f64 v[134:135], v[134:135], v[136:137], v[138:139]
	v_div_fixup_f64 v[134:135], v[134:135], v[132:133], v[130:131]
	v_fma_f64 v[130:131], v[130:131], v[134:135], v[132:133]
	v_div_scale_f64 v[132:133], null, v[130:131], v[130:131], 1.0
	v_rcp_f64_e32 v[136:137], v[132:133]
	v_fma_f64 v[138:139], -v[132:133], v[136:137], 1.0
	v_fma_f64 v[136:137], v[136:137], v[138:139], v[136:137]
	v_fma_f64 v[138:139], -v[132:133], v[136:137], 1.0
	v_fma_f64 v[136:137], v[136:137], v[138:139], v[136:137]
	v_div_scale_f64 v[138:139], vcc_lo, 1.0, v[130:131], 1.0
	v_mul_f64 v[140:141], v[138:139], v[136:137]
	v_fma_f64 v[132:133], -v[132:133], v[140:141], v[138:139]
	v_div_fmas_f64 v[132:133], v[132:133], v[136:137], v[140:141]
	v_div_fixup_f64 v[136:137], v[132:133], v[130:131], 1.0
                                        ; implicit-def: $vgpr130_vgpr131
	v_mul_f64 v[134:135], v[134:135], v[136:137]
	v_xor_b32_e32 v137, 0x80000000, v137
.LBB57_32:
	s_andn2_saveexec_b32 s1, s1
	s_cbranch_execz .LBB57_34
; %bb.33:
	v_div_scale_f64 v[134:135], null, v[130:131], v[130:131], v[132:133]
	v_div_scale_f64 v[140:141], vcc_lo, v[132:133], v[130:131], v[132:133]
	v_rcp_f64_e32 v[136:137], v[134:135]
	v_fma_f64 v[138:139], -v[134:135], v[136:137], 1.0
	v_fma_f64 v[136:137], v[136:137], v[138:139], v[136:137]
	v_fma_f64 v[138:139], -v[134:135], v[136:137], 1.0
	v_fma_f64 v[136:137], v[136:137], v[138:139], v[136:137]
	v_mul_f64 v[138:139], v[140:141], v[136:137]
	v_fma_f64 v[134:135], -v[134:135], v[138:139], v[140:141]
	v_div_fmas_f64 v[134:135], v[134:135], v[136:137], v[138:139]
	v_div_fixup_f64 v[136:137], v[134:135], v[130:131], v[132:133]
	v_fma_f64 v[130:131], v[132:133], v[136:137], v[130:131]
	v_div_scale_f64 v[132:133], null, v[130:131], v[130:131], 1.0
	v_rcp_f64_e32 v[134:135], v[132:133]
	v_fma_f64 v[138:139], -v[132:133], v[134:135], 1.0
	v_fma_f64 v[134:135], v[134:135], v[138:139], v[134:135]
	v_fma_f64 v[138:139], -v[132:133], v[134:135], 1.0
	v_fma_f64 v[134:135], v[134:135], v[138:139], v[134:135]
	v_div_scale_f64 v[138:139], vcc_lo, 1.0, v[130:131], 1.0
	v_mul_f64 v[140:141], v[138:139], v[134:135]
	v_fma_f64 v[132:133], -v[132:133], v[140:141], v[138:139]
	v_div_fmas_f64 v[132:133], v[132:133], v[134:135], v[140:141]
	v_div_fixup_f64 v[134:135], v[132:133], v[130:131], 1.0
	v_mul_f64 v[136:137], v[136:137], -v[134:135]
.LBB57_34:
	s_or_b32 exec_lo, exec_lo, s1
	ds_write2_b64 v1, v[134:135], v[136:137] offset1:1
.LBB57_35:
	s_or_b32 exec_lo, exec_lo, s2
	s_waitcnt lgkmcnt(0)
	s_barrier
	buffer_gl0_inv
	ds_read2_b64 v[130:133], v1 offset1:1
	s_mov_b32 s1, exec_lo
	v_cmpx_lt_u32_e32 3, v0
	s_cbranch_execz .LBB57_37
; %bb.36:
	s_waitcnt lgkmcnt(0)
	v_mul_f64 v[134:135], v[132:133], v[104:105]
	v_mul_f64 v[104:105], v[130:131], v[104:105]
	ds_read2_b64 v[136:139], v250 offset0:8 offset1:9
	v_fma_f64 v[134:135], v[130:131], v[102:103], -v[134:135]
	v_fma_f64 v[104:105], v[132:133], v[102:103], v[104:105]
	s_waitcnt lgkmcnt(0)
	v_mul_f64 v[102:103], v[138:139], v[104:105]
	v_fma_f64 v[102:103], v[136:137], v[134:135], -v[102:103]
	v_mul_f64 v[136:137], v[136:137], v[104:105]
	v_add_f64 v[98:99], v[98:99], -v[102:103]
	v_fma_f64 v[136:137], v[138:139], v[134:135], v[136:137]
	v_add_f64 v[100:101], v[100:101], -v[136:137]
	ds_read2_b64 v[136:139], v250 offset0:10 offset1:11
	s_waitcnt lgkmcnt(0)
	v_mul_f64 v[102:103], v[138:139], v[104:105]
	v_fma_f64 v[102:103], v[136:137], v[134:135], -v[102:103]
	v_mul_f64 v[136:137], v[136:137], v[104:105]
	v_add_f64 v[94:95], v[94:95], -v[102:103]
	v_fma_f64 v[136:137], v[138:139], v[134:135], v[136:137]
	v_add_f64 v[96:97], v[96:97], -v[136:137]
	ds_read2_b64 v[136:139], v250 offset0:12 offset1:13
	;; [unrolled: 8-line block ×24, first 2 shown]
	s_waitcnt lgkmcnt(0)
	v_mul_f64 v[102:103], v[138:139], v[104:105]
	v_fma_f64 v[102:103], v[136:137], v[134:135], -v[102:103]
	v_mul_f64 v[136:137], v[136:137], v[104:105]
	v_add_f64 v[2:3], v[2:3], -v[102:103]
	v_fma_f64 v[136:137], v[138:139], v[134:135], v[136:137]
	v_mov_b32_e32 v102, v134
	v_mov_b32_e32 v103, v135
	v_add_f64 v[4:5], v[4:5], -v[136:137]
.LBB57_37:
	s_or_b32 exec_lo, exec_lo, s1
	s_mov_b32 s2, exec_lo
	s_waitcnt lgkmcnt(0)
	s_barrier
	buffer_gl0_inv
	v_cmpx_eq_u32_e32 4, v0
	s_cbranch_execz .LBB57_44
; %bb.38:
	ds_write2_b64 v1, v[98:99], v[100:101] offset1:1
	ds_write2_b64 v250, v[94:95], v[96:97] offset0:10 offset1:11
	ds_write2_b64 v250, v[90:91], v[92:93] offset0:12 offset1:13
	ds_write2_b64 v250, v[86:87], v[88:89] offset0:14 offset1:15
	ds_write2_b64 v250, v[82:83], v[84:85] offset0:16 offset1:17
	ds_write2_b64 v250, v[78:79], v[80:81] offset0:18 offset1:19
	ds_write2_b64 v250, v[74:75], v[76:77] offset0:20 offset1:21
	ds_write2_b64 v250, v[70:71], v[72:73] offset0:22 offset1:23
	ds_write2_b64 v250, v[66:67], v[68:69] offset0:24 offset1:25
	ds_write2_b64 v250, v[62:63], v[64:65] offset0:26 offset1:27
	ds_write2_b64 v250, v[58:59], v[60:61] offset0:28 offset1:29
	ds_write2_b64 v250, v[54:55], v[56:57] offset0:30 offset1:31
	ds_write2_b64 v250, v[50:51], v[52:53] offset0:32 offset1:33
	ds_write2_b64 v250, v[46:47], v[48:49] offset0:34 offset1:35
	ds_write2_b64 v250, v[42:43], v[44:45] offset0:36 offset1:37
	ds_write2_b64 v250, v[38:39], v[40:41] offset0:38 offset1:39
	ds_write2_b64 v250, v[34:35], v[36:37] offset0:40 offset1:41
	ds_write2_b64 v250, v[30:31], v[32:33] offset0:42 offset1:43
	ds_write2_b64 v250, v[26:27], v[28:29] offset0:44 offset1:45
	ds_write2_b64 v250, v[22:23], v[24:25] offset0:46 offset1:47
	ds_write2_b64 v250, v[18:19], v[20:21] offset0:48 offset1:49
	ds_write2_b64 v250, v[14:15], v[16:17] offset0:50 offset1:51
	ds_write2_b64 v250, v[10:11], v[12:13] offset0:52 offset1:53
	ds_write2_b64 v250, v[6:7], v[8:9] offset0:54 offset1:55
	ds_write2_b64 v250, v[2:3], v[4:5] offset0:56 offset1:57
	ds_read2_b64 v[134:137], v1 offset1:1
	s_waitcnt lgkmcnt(0)
	v_cmp_neq_f64_e32 vcc_lo, 0, v[134:135]
	v_cmp_neq_f64_e64 s1, 0, v[136:137]
	s_or_b32 s1, vcc_lo, s1
	s_and_b32 exec_lo, exec_lo, s1
	s_cbranch_execz .LBB57_44
; %bb.39:
	v_cmp_ngt_f64_e64 s1, |v[134:135]|, |v[136:137]|
                                        ; implicit-def: $vgpr138_vgpr139
	s_and_saveexec_b32 s3, s1
	s_xor_b32 s1, exec_lo, s3
                                        ; implicit-def: $vgpr140_vgpr141
	s_cbranch_execz .LBB57_41
; %bb.40:
	v_div_scale_f64 v[138:139], null, v[136:137], v[136:137], v[134:135]
	v_div_scale_f64 v[144:145], vcc_lo, v[134:135], v[136:137], v[134:135]
	v_rcp_f64_e32 v[140:141], v[138:139]
	v_fma_f64 v[142:143], -v[138:139], v[140:141], 1.0
	v_fma_f64 v[140:141], v[140:141], v[142:143], v[140:141]
	v_fma_f64 v[142:143], -v[138:139], v[140:141], 1.0
	v_fma_f64 v[140:141], v[140:141], v[142:143], v[140:141]
	v_mul_f64 v[142:143], v[144:145], v[140:141]
	v_fma_f64 v[138:139], -v[138:139], v[142:143], v[144:145]
	v_div_fmas_f64 v[138:139], v[138:139], v[140:141], v[142:143]
	v_div_fixup_f64 v[138:139], v[138:139], v[136:137], v[134:135]
	v_fma_f64 v[134:135], v[134:135], v[138:139], v[136:137]
	v_div_scale_f64 v[136:137], null, v[134:135], v[134:135], 1.0
	v_rcp_f64_e32 v[140:141], v[136:137]
	v_fma_f64 v[142:143], -v[136:137], v[140:141], 1.0
	v_fma_f64 v[140:141], v[140:141], v[142:143], v[140:141]
	v_fma_f64 v[142:143], -v[136:137], v[140:141], 1.0
	v_fma_f64 v[140:141], v[140:141], v[142:143], v[140:141]
	v_div_scale_f64 v[142:143], vcc_lo, 1.0, v[134:135], 1.0
	v_mul_f64 v[144:145], v[142:143], v[140:141]
	v_fma_f64 v[136:137], -v[136:137], v[144:145], v[142:143]
	v_div_fmas_f64 v[136:137], v[136:137], v[140:141], v[144:145]
	v_div_fixup_f64 v[140:141], v[136:137], v[134:135], 1.0
                                        ; implicit-def: $vgpr134_vgpr135
	v_mul_f64 v[138:139], v[138:139], v[140:141]
	v_xor_b32_e32 v141, 0x80000000, v141
.LBB57_41:
	s_andn2_saveexec_b32 s1, s1
	s_cbranch_execz .LBB57_43
; %bb.42:
	v_div_scale_f64 v[138:139], null, v[134:135], v[134:135], v[136:137]
	v_div_scale_f64 v[144:145], vcc_lo, v[136:137], v[134:135], v[136:137]
	v_rcp_f64_e32 v[140:141], v[138:139]
	v_fma_f64 v[142:143], -v[138:139], v[140:141], 1.0
	v_fma_f64 v[140:141], v[140:141], v[142:143], v[140:141]
	v_fma_f64 v[142:143], -v[138:139], v[140:141], 1.0
	v_fma_f64 v[140:141], v[140:141], v[142:143], v[140:141]
	v_mul_f64 v[142:143], v[144:145], v[140:141]
	v_fma_f64 v[138:139], -v[138:139], v[142:143], v[144:145]
	v_div_fmas_f64 v[138:139], v[138:139], v[140:141], v[142:143]
	v_div_fixup_f64 v[140:141], v[138:139], v[134:135], v[136:137]
	v_fma_f64 v[134:135], v[136:137], v[140:141], v[134:135]
	v_div_scale_f64 v[136:137], null, v[134:135], v[134:135], 1.0
	v_rcp_f64_e32 v[138:139], v[136:137]
	v_fma_f64 v[142:143], -v[136:137], v[138:139], 1.0
	v_fma_f64 v[138:139], v[138:139], v[142:143], v[138:139]
	v_fma_f64 v[142:143], -v[136:137], v[138:139], 1.0
	v_fma_f64 v[138:139], v[138:139], v[142:143], v[138:139]
	v_div_scale_f64 v[142:143], vcc_lo, 1.0, v[134:135], 1.0
	v_mul_f64 v[144:145], v[142:143], v[138:139]
	v_fma_f64 v[136:137], -v[136:137], v[144:145], v[142:143]
	v_div_fmas_f64 v[136:137], v[136:137], v[138:139], v[144:145]
	v_div_fixup_f64 v[138:139], v[136:137], v[134:135], 1.0
	v_mul_f64 v[140:141], v[140:141], -v[138:139]
.LBB57_43:
	s_or_b32 exec_lo, exec_lo, s1
	ds_write2_b64 v1, v[138:139], v[140:141] offset1:1
.LBB57_44:
	s_or_b32 exec_lo, exec_lo, s2
	s_waitcnt lgkmcnt(0)
	s_barrier
	buffer_gl0_inv
	ds_read2_b64 v[134:137], v1 offset1:1
	s_mov_b32 s1, exec_lo
	v_cmpx_lt_u32_e32 4, v0
	s_cbranch_execz .LBB57_46
; %bb.45:
	s_waitcnt lgkmcnt(0)
	v_mul_f64 v[138:139], v[136:137], v[100:101]
	v_mul_f64 v[100:101], v[134:135], v[100:101]
	ds_read2_b64 v[140:143], v250 offset0:10 offset1:11
	v_fma_f64 v[138:139], v[134:135], v[98:99], -v[138:139]
	v_fma_f64 v[100:101], v[136:137], v[98:99], v[100:101]
	s_waitcnt lgkmcnt(0)
	v_mul_f64 v[98:99], v[142:143], v[100:101]
	v_fma_f64 v[98:99], v[140:141], v[138:139], -v[98:99]
	v_mul_f64 v[140:141], v[140:141], v[100:101]
	v_add_f64 v[94:95], v[94:95], -v[98:99]
	v_fma_f64 v[140:141], v[142:143], v[138:139], v[140:141]
	v_add_f64 v[96:97], v[96:97], -v[140:141]
	ds_read2_b64 v[140:143], v250 offset0:12 offset1:13
	s_waitcnt lgkmcnt(0)
	v_mul_f64 v[98:99], v[142:143], v[100:101]
	v_fma_f64 v[98:99], v[140:141], v[138:139], -v[98:99]
	v_mul_f64 v[140:141], v[140:141], v[100:101]
	v_add_f64 v[90:91], v[90:91], -v[98:99]
	v_fma_f64 v[140:141], v[142:143], v[138:139], v[140:141]
	v_add_f64 v[92:93], v[92:93], -v[140:141]
	ds_read2_b64 v[140:143], v250 offset0:14 offset1:15
	;; [unrolled: 8-line block ×23, first 2 shown]
	s_waitcnt lgkmcnt(0)
	v_mul_f64 v[98:99], v[142:143], v[100:101]
	v_fma_f64 v[98:99], v[140:141], v[138:139], -v[98:99]
	v_mul_f64 v[140:141], v[140:141], v[100:101]
	v_add_f64 v[2:3], v[2:3], -v[98:99]
	v_fma_f64 v[140:141], v[142:143], v[138:139], v[140:141]
	v_mov_b32_e32 v98, v138
	v_mov_b32_e32 v99, v139
	v_add_f64 v[4:5], v[4:5], -v[140:141]
.LBB57_46:
	s_or_b32 exec_lo, exec_lo, s1
	s_mov_b32 s2, exec_lo
	s_waitcnt lgkmcnt(0)
	s_barrier
	buffer_gl0_inv
	v_cmpx_eq_u32_e32 5, v0
	s_cbranch_execz .LBB57_53
; %bb.47:
	ds_write2_b64 v1, v[94:95], v[96:97] offset1:1
	ds_write2_b64 v250, v[90:91], v[92:93] offset0:12 offset1:13
	ds_write2_b64 v250, v[86:87], v[88:89] offset0:14 offset1:15
	;; [unrolled: 1-line block ×23, first 2 shown]
	ds_read2_b64 v[138:141], v1 offset1:1
	s_waitcnt lgkmcnt(0)
	v_cmp_neq_f64_e32 vcc_lo, 0, v[138:139]
	v_cmp_neq_f64_e64 s1, 0, v[140:141]
	s_or_b32 s1, vcc_lo, s1
	s_and_b32 exec_lo, exec_lo, s1
	s_cbranch_execz .LBB57_53
; %bb.48:
	v_cmp_ngt_f64_e64 s1, |v[138:139]|, |v[140:141]|
                                        ; implicit-def: $vgpr142_vgpr143
	s_and_saveexec_b32 s3, s1
	s_xor_b32 s1, exec_lo, s3
                                        ; implicit-def: $vgpr144_vgpr145
	s_cbranch_execz .LBB57_50
; %bb.49:
	v_div_scale_f64 v[142:143], null, v[140:141], v[140:141], v[138:139]
	v_div_scale_f64 v[148:149], vcc_lo, v[138:139], v[140:141], v[138:139]
	v_rcp_f64_e32 v[144:145], v[142:143]
	v_fma_f64 v[146:147], -v[142:143], v[144:145], 1.0
	v_fma_f64 v[144:145], v[144:145], v[146:147], v[144:145]
	v_fma_f64 v[146:147], -v[142:143], v[144:145], 1.0
	v_fma_f64 v[144:145], v[144:145], v[146:147], v[144:145]
	v_mul_f64 v[146:147], v[148:149], v[144:145]
	v_fma_f64 v[142:143], -v[142:143], v[146:147], v[148:149]
	v_div_fmas_f64 v[142:143], v[142:143], v[144:145], v[146:147]
	v_div_fixup_f64 v[142:143], v[142:143], v[140:141], v[138:139]
	v_fma_f64 v[138:139], v[138:139], v[142:143], v[140:141]
	v_div_scale_f64 v[140:141], null, v[138:139], v[138:139], 1.0
	v_rcp_f64_e32 v[144:145], v[140:141]
	v_fma_f64 v[146:147], -v[140:141], v[144:145], 1.0
	v_fma_f64 v[144:145], v[144:145], v[146:147], v[144:145]
	v_fma_f64 v[146:147], -v[140:141], v[144:145], 1.0
	v_fma_f64 v[144:145], v[144:145], v[146:147], v[144:145]
	v_div_scale_f64 v[146:147], vcc_lo, 1.0, v[138:139], 1.0
	v_mul_f64 v[148:149], v[146:147], v[144:145]
	v_fma_f64 v[140:141], -v[140:141], v[148:149], v[146:147]
	v_div_fmas_f64 v[140:141], v[140:141], v[144:145], v[148:149]
	v_div_fixup_f64 v[144:145], v[140:141], v[138:139], 1.0
                                        ; implicit-def: $vgpr138_vgpr139
	v_mul_f64 v[142:143], v[142:143], v[144:145]
	v_xor_b32_e32 v145, 0x80000000, v145
.LBB57_50:
	s_andn2_saveexec_b32 s1, s1
	s_cbranch_execz .LBB57_52
; %bb.51:
	v_div_scale_f64 v[142:143], null, v[138:139], v[138:139], v[140:141]
	v_div_scale_f64 v[148:149], vcc_lo, v[140:141], v[138:139], v[140:141]
	v_rcp_f64_e32 v[144:145], v[142:143]
	v_fma_f64 v[146:147], -v[142:143], v[144:145], 1.0
	v_fma_f64 v[144:145], v[144:145], v[146:147], v[144:145]
	v_fma_f64 v[146:147], -v[142:143], v[144:145], 1.0
	v_fma_f64 v[144:145], v[144:145], v[146:147], v[144:145]
	v_mul_f64 v[146:147], v[148:149], v[144:145]
	v_fma_f64 v[142:143], -v[142:143], v[146:147], v[148:149]
	v_div_fmas_f64 v[142:143], v[142:143], v[144:145], v[146:147]
	v_div_fixup_f64 v[144:145], v[142:143], v[138:139], v[140:141]
	v_fma_f64 v[138:139], v[140:141], v[144:145], v[138:139]
	v_div_scale_f64 v[140:141], null, v[138:139], v[138:139], 1.0
	v_rcp_f64_e32 v[142:143], v[140:141]
	v_fma_f64 v[146:147], -v[140:141], v[142:143], 1.0
	v_fma_f64 v[142:143], v[142:143], v[146:147], v[142:143]
	v_fma_f64 v[146:147], -v[140:141], v[142:143], 1.0
	v_fma_f64 v[142:143], v[142:143], v[146:147], v[142:143]
	v_div_scale_f64 v[146:147], vcc_lo, 1.0, v[138:139], 1.0
	v_mul_f64 v[148:149], v[146:147], v[142:143]
	v_fma_f64 v[140:141], -v[140:141], v[148:149], v[146:147]
	v_div_fmas_f64 v[140:141], v[140:141], v[142:143], v[148:149]
	v_div_fixup_f64 v[142:143], v[140:141], v[138:139], 1.0
	v_mul_f64 v[144:145], v[144:145], -v[142:143]
.LBB57_52:
	s_or_b32 exec_lo, exec_lo, s1
	ds_write2_b64 v1, v[142:143], v[144:145] offset1:1
.LBB57_53:
	s_or_b32 exec_lo, exec_lo, s2
	s_waitcnt lgkmcnt(0)
	s_barrier
	buffer_gl0_inv
	ds_read2_b64 v[138:141], v1 offset1:1
	s_mov_b32 s1, exec_lo
	v_cmpx_lt_u32_e32 5, v0
	s_cbranch_execz .LBB57_55
; %bb.54:
	s_waitcnt lgkmcnt(0)
	v_mul_f64 v[142:143], v[140:141], v[96:97]
	v_mul_f64 v[96:97], v[138:139], v[96:97]
	ds_read2_b64 v[144:147], v250 offset0:12 offset1:13
	v_fma_f64 v[142:143], v[138:139], v[94:95], -v[142:143]
	v_fma_f64 v[96:97], v[140:141], v[94:95], v[96:97]
	s_waitcnt lgkmcnt(0)
	v_mul_f64 v[94:95], v[146:147], v[96:97]
	v_fma_f64 v[94:95], v[144:145], v[142:143], -v[94:95]
	v_mul_f64 v[144:145], v[144:145], v[96:97]
	v_add_f64 v[90:91], v[90:91], -v[94:95]
	v_fma_f64 v[144:145], v[146:147], v[142:143], v[144:145]
	v_add_f64 v[92:93], v[92:93], -v[144:145]
	ds_read2_b64 v[144:147], v250 offset0:14 offset1:15
	s_waitcnt lgkmcnt(0)
	v_mul_f64 v[94:95], v[146:147], v[96:97]
	v_fma_f64 v[94:95], v[144:145], v[142:143], -v[94:95]
	v_mul_f64 v[144:145], v[144:145], v[96:97]
	v_add_f64 v[86:87], v[86:87], -v[94:95]
	v_fma_f64 v[144:145], v[146:147], v[142:143], v[144:145]
	v_add_f64 v[88:89], v[88:89], -v[144:145]
	ds_read2_b64 v[144:147], v250 offset0:16 offset1:17
	;; [unrolled: 8-line block ×22, first 2 shown]
	s_waitcnt lgkmcnt(0)
	v_mul_f64 v[94:95], v[146:147], v[96:97]
	v_fma_f64 v[94:95], v[144:145], v[142:143], -v[94:95]
	v_mul_f64 v[144:145], v[144:145], v[96:97]
	v_add_f64 v[2:3], v[2:3], -v[94:95]
	v_fma_f64 v[144:145], v[146:147], v[142:143], v[144:145]
	v_mov_b32_e32 v94, v142
	v_mov_b32_e32 v95, v143
	v_add_f64 v[4:5], v[4:5], -v[144:145]
.LBB57_55:
	s_or_b32 exec_lo, exec_lo, s1
	s_mov_b32 s2, exec_lo
	s_waitcnt lgkmcnt(0)
	s_barrier
	buffer_gl0_inv
	v_cmpx_eq_u32_e32 6, v0
	s_cbranch_execz .LBB57_62
; %bb.56:
	ds_write2_b64 v1, v[90:91], v[92:93] offset1:1
	ds_write2_b64 v250, v[86:87], v[88:89] offset0:14 offset1:15
	ds_write2_b64 v250, v[82:83], v[84:85] offset0:16 offset1:17
	ds_write2_b64 v250, v[78:79], v[80:81] offset0:18 offset1:19
	ds_write2_b64 v250, v[74:75], v[76:77] offset0:20 offset1:21
	ds_write2_b64 v250, v[70:71], v[72:73] offset0:22 offset1:23
	ds_write2_b64 v250, v[66:67], v[68:69] offset0:24 offset1:25
	ds_write2_b64 v250, v[62:63], v[64:65] offset0:26 offset1:27
	ds_write2_b64 v250, v[58:59], v[60:61] offset0:28 offset1:29
	ds_write2_b64 v250, v[54:55], v[56:57] offset0:30 offset1:31
	ds_write2_b64 v250, v[50:51], v[52:53] offset0:32 offset1:33
	ds_write2_b64 v250, v[46:47], v[48:49] offset0:34 offset1:35
	ds_write2_b64 v250, v[42:43], v[44:45] offset0:36 offset1:37
	ds_write2_b64 v250, v[38:39], v[40:41] offset0:38 offset1:39
	ds_write2_b64 v250, v[34:35], v[36:37] offset0:40 offset1:41
	ds_write2_b64 v250, v[30:31], v[32:33] offset0:42 offset1:43
	ds_write2_b64 v250, v[26:27], v[28:29] offset0:44 offset1:45
	ds_write2_b64 v250, v[22:23], v[24:25] offset0:46 offset1:47
	ds_write2_b64 v250, v[18:19], v[20:21] offset0:48 offset1:49
	ds_write2_b64 v250, v[14:15], v[16:17] offset0:50 offset1:51
	ds_write2_b64 v250, v[10:11], v[12:13] offset0:52 offset1:53
	ds_write2_b64 v250, v[6:7], v[8:9] offset0:54 offset1:55
	ds_write2_b64 v250, v[2:3], v[4:5] offset0:56 offset1:57
	ds_read2_b64 v[142:145], v1 offset1:1
	s_waitcnt lgkmcnt(0)
	v_cmp_neq_f64_e32 vcc_lo, 0, v[142:143]
	v_cmp_neq_f64_e64 s1, 0, v[144:145]
	s_or_b32 s1, vcc_lo, s1
	s_and_b32 exec_lo, exec_lo, s1
	s_cbranch_execz .LBB57_62
; %bb.57:
	v_cmp_ngt_f64_e64 s1, |v[142:143]|, |v[144:145]|
                                        ; implicit-def: $vgpr146_vgpr147
	s_and_saveexec_b32 s3, s1
	s_xor_b32 s1, exec_lo, s3
                                        ; implicit-def: $vgpr148_vgpr149
	s_cbranch_execz .LBB57_59
; %bb.58:
	v_div_scale_f64 v[146:147], null, v[144:145], v[144:145], v[142:143]
	v_div_scale_f64 v[152:153], vcc_lo, v[142:143], v[144:145], v[142:143]
	v_rcp_f64_e32 v[148:149], v[146:147]
	v_fma_f64 v[150:151], -v[146:147], v[148:149], 1.0
	v_fma_f64 v[148:149], v[148:149], v[150:151], v[148:149]
	v_fma_f64 v[150:151], -v[146:147], v[148:149], 1.0
	v_fma_f64 v[148:149], v[148:149], v[150:151], v[148:149]
	v_mul_f64 v[150:151], v[152:153], v[148:149]
	v_fma_f64 v[146:147], -v[146:147], v[150:151], v[152:153]
	v_div_fmas_f64 v[146:147], v[146:147], v[148:149], v[150:151]
	v_div_fixup_f64 v[146:147], v[146:147], v[144:145], v[142:143]
	v_fma_f64 v[142:143], v[142:143], v[146:147], v[144:145]
	v_div_scale_f64 v[144:145], null, v[142:143], v[142:143], 1.0
	v_rcp_f64_e32 v[148:149], v[144:145]
	v_fma_f64 v[150:151], -v[144:145], v[148:149], 1.0
	v_fma_f64 v[148:149], v[148:149], v[150:151], v[148:149]
	v_fma_f64 v[150:151], -v[144:145], v[148:149], 1.0
	v_fma_f64 v[148:149], v[148:149], v[150:151], v[148:149]
	v_div_scale_f64 v[150:151], vcc_lo, 1.0, v[142:143], 1.0
	v_mul_f64 v[152:153], v[150:151], v[148:149]
	v_fma_f64 v[144:145], -v[144:145], v[152:153], v[150:151]
	v_div_fmas_f64 v[144:145], v[144:145], v[148:149], v[152:153]
	v_div_fixup_f64 v[148:149], v[144:145], v[142:143], 1.0
                                        ; implicit-def: $vgpr142_vgpr143
	v_mul_f64 v[146:147], v[146:147], v[148:149]
	v_xor_b32_e32 v149, 0x80000000, v149
.LBB57_59:
	s_andn2_saveexec_b32 s1, s1
	s_cbranch_execz .LBB57_61
; %bb.60:
	v_div_scale_f64 v[146:147], null, v[142:143], v[142:143], v[144:145]
	v_div_scale_f64 v[152:153], vcc_lo, v[144:145], v[142:143], v[144:145]
	v_rcp_f64_e32 v[148:149], v[146:147]
	v_fma_f64 v[150:151], -v[146:147], v[148:149], 1.0
	v_fma_f64 v[148:149], v[148:149], v[150:151], v[148:149]
	v_fma_f64 v[150:151], -v[146:147], v[148:149], 1.0
	v_fma_f64 v[148:149], v[148:149], v[150:151], v[148:149]
	v_mul_f64 v[150:151], v[152:153], v[148:149]
	v_fma_f64 v[146:147], -v[146:147], v[150:151], v[152:153]
	v_div_fmas_f64 v[146:147], v[146:147], v[148:149], v[150:151]
	v_div_fixup_f64 v[148:149], v[146:147], v[142:143], v[144:145]
	v_fma_f64 v[142:143], v[144:145], v[148:149], v[142:143]
	v_div_scale_f64 v[144:145], null, v[142:143], v[142:143], 1.0
	v_rcp_f64_e32 v[146:147], v[144:145]
	v_fma_f64 v[150:151], -v[144:145], v[146:147], 1.0
	v_fma_f64 v[146:147], v[146:147], v[150:151], v[146:147]
	v_fma_f64 v[150:151], -v[144:145], v[146:147], 1.0
	v_fma_f64 v[146:147], v[146:147], v[150:151], v[146:147]
	v_div_scale_f64 v[150:151], vcc_lo, 1.0, v[142:143], 1.0
	v_mul_f64 v[152:153], v[150:151], v[146:147]
	v_fma_f64 v[144:145], -v[144:145], v[152:153], v[150:151]
	v_div_fmas_f64 v[144:145], v[144:145], v[146:147], v[152:153]
	v_div_fixup_f64 v[146:147], v[144:145], v[142:143], 1.0
	v_mul_f64 v[148:149], v[148:149], -v[146:147]
.LBB57_61:
	s_or_b32 exec_lo, exec_lo, s1
	ds_write2_b64 v1, v[146:147], v[148:149] offset1:1
.LBB57_62:
	s_or_b32 exec_lo, exec_lo, s2
	s_waitcnt lgkmcnt(0)
	s_barrier
	buffer_gl0_inv
	ds_read2_b64 v[142:145], v1 offset1:1
	s_mov_b32 s1, exec_lo
	v_cmpx_lt_u32_e32 6, v0
	s_cbranch_execz .LBB57_64
; %bb.63:
	s_waitcnt lgkmcnt(0)
	v_mul_f64 v[146:147], v[144:145], v[92:93]
	v_mul_f64 v[92:93], v[142:143], v[92:93]
	ds_read2_b64 v[148:151], v250 offset0:14 offset1:15
	v_fma_f64 v[146:147], v[142:143], v[90:91], -v[146:147]
	v_fma_f64 v[92:93], v[144:145], v[90:91], v[92:93]
	s_waitcnt lgkmcnt(0)
	v_mul_f64 v[90:91], v[150:151], v[92:93]
	v_fma_f64 v[90:91], v[148:149], v[146:147], -v[90:91]
	v_mul_f64 v[148:149], v[148:149], v[92:93]
	v_add_f64 v[86:87], v[86:87], -v[90:91]
	v_fma_f64 v[148:149], v[150:151], v[146:147], v[148:149]
	v_add_f64 v[88:89], v[88:89], -v[148:149]
	ds_read2_b64 v[148:151], v250 offset0:16 offset1:17
	s_waitcnt lgkmcnt(0)
	v_mul_f64 v[90:91], v[150:151], v[92:93]
	v_fma_f64 v[90:91], v[148:149], v[146:147], -v[90:91]
	v_mul_f64 v[148:149], v[148:149], v[92:93]
	v_add_f64 v[82:83], v[82:83], -v[90:91]
	v_fma_f64 v[148:149], v[150:151], v[146:147], v[148:149]
	v_add_f64 v[84:85], v[84:85], -v[148:149]
	ds_read2_b64 v[148:151], v250 offset0:18 offset1:19
	;; [unrolled: 8-line block ×21, first 2 shown]
	s_waitcnt lgkmcnt(0)
	v_mul_f64 v[90:91], v[150:151], v[92:93]
	v_fma_f64 v[90:91], v[148:149], v[146:147], -v[90:91]
	v_mul_f64 v[148:149], v[148:149], v[92:93]
	v_add_f64 v[2:3], v[2:3], -v[90:91]
	v_fma_f64 v[148:149], v[150:151], v[146:147], v[148:149]
	v_mov_b32_e32 v90, v146
	v_mov_b32_e32 v91, v147
	v_add_f64 v[4:5], v[4:5], -v[148:149]
.LBB57_64:
	s_or_b32 exec_lo, exec_lo, s1
	s_mov_b32 s2, exec_lo
	s_waitcnt lgkmcnt(0)
	s_barrier
	buffer_gl0_inv
	v_cmpx_eq_u32_e32 7, v0
	s_cbranch_execz .LBB57_71
; %bb.65:
	ds_write2_b64 v1, v[86:87], v[88:89] offset1:1
	ds_write2_b64 v250, v[82:83], v[84:85] offset0:16 offset1:17
	ds_write2_b64 v250, v[78:79], v[80:81] offset0:18 offset1:19
	;; [unrolled: 1-line block ×21, first 2 shown]
	ds_read2_b64 v[146:149], v1 offset1:1
	s_waitcnt lgkmcnt(0)
	v_cmp_neq_f64_e32 vcc_lo, 0, v[146:147]
	v_cmp_neq_f64_e64 s1, 0, v[148:149]
	s_or_b32 s1, vcc_lo, s1
	s_and_b32 exec_lo, exec_lo, s1
	s_cbranch_execz .LBB57_71
; %bb.66:
	v_cmp_ngt_f64_e64 s1, |v[146:147]|, |v[148:149]|
                                        ; implicit-def: $vgpr150_vgpr151
	s_and_saveexec_b32 s3, s1
	s_xor_b32 s1, exec_lo, s3
                                        ; implicit-def: $vgpr152_vgpr153
	s_cbranch_execz .LBB57_68
; %bb.67:
	v_div_scale_f64 v[150:151], null, v[148:149], v[148:149], v[146:147]
	v_div_scale_f64 v[156:157], vcc_lo, v[146:147], v[148:149], v[146:147]
	v_rcp_f64_e32 v[152:153], v[150:151]
	v_fma_f64 v[154:155], -v[150:151], v[152:153], 1.0
	v_fma_f64 v[152:153], v[152:153], v[154:155], v[152:153]
	v_fma_f64 v[154:155], -v[150:151], v[152:153], 1.0
	v_fma_f64 v[152:153], v[152:153], v[154:155], v[152:153]
	v_mul_f64 v[154:155], v[156:157], v[152:153]
	v_fma_f64 v[150:151], -v[150:151], v[154:155], v[156:157]
	v_div_fmas_f64 v[150:151], v[150:151], v[152:153], v[154:155]
	v_div_fixup_f64 v[150:151], v[150:151], v[148:149], v[146:147]
	v_fma_f64 v[146:147], v[146:147], v[150:151], v[148:149]
	v_div_scale_f64 v[148:149], null, v[146:147], v[146:147], 1.0
	v_rcp_f64_e32 v[152:153], v[148:149]
	v_fma_f64 v[154:155], -v[148:149], v[152:153], 1.0
	v_fma_f64 v[152:153], v[152:153], v[154:155], v[152:153]
	v_fma_f64 v[154:155], -v[148:149], v[152:153], 1.0
	v_fma_f64 v[152:153], v[152:153], v[154:155], v[152:153]
	v_div_scale_f64 v[154:155], vcc_lo, 1.0, v[146:147], 1.0
	v_mul_f64 v[156:157], v[154:155], v[152:153]
	v_fma_f64 v[148:149], -v[148:149], v[156:157], v[154:155]
	v_div_fmas_f64 v[148:149], v[148:149], v[152:153], v[156:157]
	v_div_fixup_f64 v[152:153], v[148:149], v[146:147], 1.0
                                        ; implicit-def: $vgpr146_vgpr147
	v_mul_f64 v[150:151], v[150:151], v[152:153]
	v_xor_b32_e32 v153, 0x80000000, v153
.LBB57_68:
	s_andn2_saveexec_b32 s1, s1
	s_cbranch_execz .LBB57_70
; %bb.69:
	v_div_scale_f64 v[150:151], null, v[146:147], v[146:147], v[148:149]
	v_div_scale_f64 v[156:157], vcc_lo, v[148:149], v[146:147], v[148:149]
	v_rcp_f64_e32 v[152:153], v[150:151]
	v_fma_f64 v[154:155], -v[150:151], v[152:153], 1.0
	v_fma_f64 v[152:153], v[152:153], v[154:155], v[152:153]
	v_fma_f64 v[154:155], -v[150:151], v[152:153], 1.0
	v_fma_f64 v[152:153], v[152:153], v[154:155], v[152:153]
	v_mul_f64 v[154:155], v[156:157], v[152:153]
	v_fma_f64 v[150:151], -v[150:151], v[154:155], v[156:157]
	v_div_fmas_f64 v[150:151], v[150:151], v[152:153], v[154:155]
	v_div_fixup_f64 v[152:153], v[150:151], v[146:147], v[148:149]
	v_fma_f64 v[146:147], v[148:149], v[152:153], v[146:147]
	v_div_scale_f64 v[148:149], null, v[146:147], v[146:147], 1.0
	v_rcp_f64_e32 v[150:151], v[148:149]
	v_fma_f64 v[154:155], -v[148:149], v[150:151], 1.0
	v_fma_f64 v[150:151], v[150:151], v[154:155], v[150:151]
	v_fma_f64 v[154:155], -v[148:149], v[150:151], 1.0
	v_fma_f64 v[150:151], v[150:151], v[154:155], v[150:151]
	v_div_scale_f64 v[154:155], vcc_lo, 1.0, v[146:147], 1.0
	v_mul_f64 v[156:157], v[154:155], v[150:151]
	v_fma_f64 v[148:149], -v[148:149], v[156:157], v[154:155]
	v_div_fmas_f64 v[148:149], v[148:149], v[150:151], v[156:157]
	v_div_fixup_f64 v[150:151], v[148:149], v[146:147], 1.0
	v_mul_f64 v[152:153], v[152:153], -v[150:151]
.LBB57_70:
	s_or_b32 exec_lo, exec_lo, s1
	ds_write2_b64 v1, v[150:151], v[152:153] offset1:1
.LBB57_71:
	s_or_b32 exec_lo, exec_lo, s2
	s_waitcnt lgkmcnt(0)
	s_barrier
	buffer_gl0_inv
	ds_read2_b64 v[146:149], v1 offset1:1
	s_mov_b32 s1, exec_lo
	v_cmpx_lt_u32_e32 7, v0
	s_cbranch_execz .LBB57_73
; %bb.72:
	s_waitcnt lgkmcnt(0)
	v_mul_f64 v[150:151], v[148:149], v[88:89]
	v_mul_f64 v[88:89], v[146:147], v[88:89]
	ds_read2_b64 v[152:155], v250 offset0:16 offset1:17
	v_fma_f64 v[150:151], v[146:147], v[86:87], -v[150:151]
	v_fma_f64 v[88:89], v[148:149], v[86:87], v[88:89]
	s_waitcnt lgkmcnt(0)
	v_mul_f64 v[86:87], v[154:155], v[88:89]
	v_fma_f64 v[86:87], v[152:153], v[150:151], -v[86:87]
	v_mul_f64 v[152:153], v[152:153], v[88:89]
	v_add_f64 v[82:83], v[82:83], -v[86:87]
	v_fma_f64 v[152:153], v[154:155], v[150:151], v[152:153]
	v_add_f64 v[84:85], v[84:85], -v[152:153]
	ds_read2_b64 v[152:155], v250 offset0:18 offset1:19
	s_waitcnt lgkmcnt(0)
	v_mul_f64 v[86:87], v[154:155], v[88:89]
	v_fma_f64 v[86:87], v[152:153], v[150:151], -v[86:87]
	v_mul_f64 v[152:153], v[152:153], v[88:89]
	v_add_f64 v[78:79], v[78:79], -v[86:87]
	v_fma_f64 v[152:153], v[154:155], v[150:151], v[152:153]
	v_add_f64 v[80:81], v[80:81], -v[152:153]
	ds_read2_b64 v[152:155], v250 offset0:20 offset1:21
	;; [unrolled: 8-line block ×20, first 2 shown]
	s_waitcnt lgkmcnt(0)
	v_mul_f64 v[86:87], v[154:155], v[88:89]
	v_fma_f64 v[86:87], v[152:153], v[150:151], -v[86:87]
	v_mul_f64 v[152:153], v[152:153], v[88:89]
	v_add_f64 v[2:3], v[2:3], -v[86:87]
	v_fma_f64 v[152:153], v[154:155], v[150:151], v[152:153]
	v_mov_b32_e32 v86, v150
	v_mov_b32_e32 v87, v151
	v_add_f64 v[4:5], v[4:5], -v[152:153]
.LBB57_73:
	s_or_b32 exec_lo, exec_lo, s1
	s_mov_b32 s2, exec_lo
	s_waitcnt lgkmcnt(0)
	s_barrier
	buffer_gl0_inv
	v_cmpx_eq_u32_e32 8, v0
	s_cbranch_execz .LBB57_80
; %bb.74:
	ds_write2_b64 v1, v[82:83], v[84:85] offset1:1
	ds_write2_b64 v250, v[78:79], v[80:81] offset0:18 offset1:19
	ds_write2_b64 v250, v[74:75], v[76:77] offset0:20 offset1:21
	;; [unrolled: 1-line block ×20, first 2 shown]
	ds_read2_b64 v[150:153], v1 offset1:1
	s_waitcnt lgkmcnt(0)
	v_cmp_neq_f64_e32 vcc_lo, 0, v[150:151]
	v_cmp_neq_f64_e64 s1, 0, v[152:153]
	s_or_b32 s1, vcc_lo, s1
	s_and_b32 exec_lo, exec_lo, s1
	s_cbranch_execz .LBB57_80
; %bb.75:
	v_cmp_ngt_f64_e64 s1, |v[150:151]|, |v[152:153]|
                                        ; implicit-def: $vgpr154_vgpr155
	s_and_saveexec_b32 s3, s1
	s_xor_b32 s1, exec_lo, s3
                                        ; implicit-def: $vgpr156_vgpr157
	s_cbranch_execz .LBB57_77
; %bb.76:
	v_div_scale_f64 v[154:155], null, v[152:153], v[152:153], v[150:151]
	v_div_scale_f64 v[160:161], vcc_lo, v[150:151], v[152:153], v[150:151]
	v_rcp_f64_e32 v[156:157], v[154:155]
	v_fma_f64 v[158:159], -v[154:155], v[156:157], 1.0
	v_fma_f64 v[156:157], v[156:157], v[158:159], v[156:157]
	v_fma_f64 v[158:159], -v[154:155], v[156:157], 1.0
	v_fma_f64 v[156:157], v[156:157], v[158:159], v[156:157]
	v_mul_f64 v[158:159], v[160:161], v[156:157]
	v_fma_f64 v[154:155], -v[154:155], v[158:159], v[160:161]
	v_div_fmas_f64 v[154:155], v[154:155], v[156:157], v[158:159]
	v_div_fixup_f64 v[154:155], v[154:155], v[152:153], v[150:151]
	v_fma_f64 v[150:151], v[150:151], v[154:155], v[152:153]
	v_div_scale_f64 v[152:153], null, v[150:151], v[150:151], 1.0
	v_rcp_f64_e32 v[156:157], v[152:153]
	v_fma_f64 v[158:159], -v[152:153], v[156:157], 1.0
	v_fma_f64 v[156:157], v[156:157], v[158:159], v[156:157]
	v_fma_f64 v[158:159], -v[152:153], v[156:157], 1.0
	v_fma_f64 v[156:157], v[156:157], v[158:159], v[156:157]
	v_div_scale_f64 v[158:159], vcc_lo, 1.0, v[150:151], 1.0
	v_mul_f64 v[160:161], v[158:159], v[156:157]
	v_fma_f64 v[152:153], -v[152:153], v[160:161], v[158:159]
	v_div_fmas_f64 v[152:153], v[152:153], v[156:157], v[160:161]
	v_div_fixup_f64 v[156:157], v[152:153], v[150:151], 1.0
                                        ; implicit-def: $vgpr150_vgpr151
	v_mul_f64 v[154:155], v[154:155], v[156:157]
	v_xor_b32_e32 v157, 0x80000000, v157
.LBB57_77:
	s_andn2_saveexec_b32 s1, s1
	s_cbranch_execz .LBB57_79
; %bb.78:
	v_div_scale_f64 v[154:155], null, v[150:151], v[150:151], v[152:153]
	v_div_scale_f64 v[160:161], vcc_lo, v[152:153], v[150:151], v[152:153]
	v_rcp_f64_e32 v[156:157], v[154:155]
	v_fma_f64 v[158:159], -v[154:155], v[156:157], 1.0
	v_fma_f64 v[156:157], v[156:157], v[158:159], v[156:157]
	v_fma_f64 v[158:159], -v[154:155], v[156:157], 1.0
	v_fma_f64 v[156:157], v[156:157], v[158:159], v[156:157]
	v_mul_f64 v[158:159], v[160:161], v[156:157]
	v_fma_f64 v[154:155], -v[154:155], v[158:159], v[160:161]
	v_div_fmas_f64 v[154:155], v[154:155], v[156:157], v[158:159]
	v_div_fixup_f64 v[156:157], v[154:155], v[150:151], v[152:153]
	v_fma_f64 v[150:151], v[152:153], v[156:157], v[150:151]
	v_div_scale_f64 v[152:153], null, v[150:151], v[150:151], 1.0
	v_rcp_f64_e32 v[154:155], v[152:153]
	v_fma_f64 v[158:159], -v[152:153], v[154:155], 1.0
	v_fma_f64 v[154:155], v[154:155], v[158:159], v[154:155]
	v_fma_f64 v[158:159], -v[152:153], v[154:155], 1.0
	v_fma_f64 v[154:155], v[154:155], v[158:159], v[154:155]
	v_div_scale_f64 v[158:159], vcc_lo, 1.0, v[150:151], 1.0
	v_mul_f64 v[160:161], v[158:159], v[154:155]
	v_fma_f64 v[152:153], -v[152:153], v[160:161], v[158:159]
	v_div_fmas_f64 v[152:153], v[152:153], v[154:155], v[160:161]
	v_div_fixup_f64 v[154:155], v[152:153], v[150:151], 1.0
	v_mul_f64 v[156:157], v[156:157], -v[154:155]
.LBB57_79:
	s_or_b32 exec_lo, exec_lo, s1
	ds_write2_b64 v1, v[154:155], v[156:157] offset1:1
.LBB57_80:
	s_or_b32 exec_lo, exec_lo, s2
	s_waitcnt lgkmcnt(0)
	s_barrier
	buffer_gl0_inv
	ds_read2_b64 v[150:153], v1 offset1:1
	s_mov_b32 s1, exec_lo
	v_cmpx_lt_u32_e32 8, v0
	s_cbranch_execz .LBB57_82
; %bb.81:
	s_waitcnt lgkmcnt(0)
	v_mul_f64 v[154:155], v[152:153], v[84:85]
	v_mul_f64 v[84:85], v[150:151], v[84:85]
	ds_read2_b64 v[156:159], v250 offset0:18 offset1:19
	v_fma_f64 v[154:155], v[150:151], v[82:83], -v[154:155]
	v_fma_f64 v[84:85], v[152:153], v[82:83], v[84:85]
	s_waitcnt lgkmcnt(0)
	v_mul_f64 v[82:83], v[158:159], v[84:85]
	v_fma_f64 v[82:83], v[156:157], v[154:155], -v[82:83]
	v_mul_f64 v[156:157], v[156:157], v[84:85]
	v_add_f64 v[78:79], v[78:79], -v[82:83]
	v_fma_f64 v[156:157], v[158:159], v[154:155], v[156:157]
	v_add_f64 v[80:81], v[80:81], -v[156:157]
	ds_read2_b64 v[156:159], v250 offset0:20 offset1:21
	s_waitcnt lgkmcnt(0)
	v_mul_f64 v[82:83], v[158:159], v[84:85]
	v_fma_f64 v[82:83], v[156:157], v[154:155], -v[82:83]
	v_mul_f64 v[156:157], v[156:157], v[84:85]
	v_add_f64 v[74:75], v[74:75], -v[82:83]
	v_fma_f64 v[156:157], v[158:159], v[154:155], v[156:157]
	v_add_f64 v[76:77], v[76:77], -v[156:157]
	ds_read2_b64 v[156:159], v250 offset0:22 offset1:23
	;; [unrolled: 8-line block ×19, first 2 shown]
	s_waitcnt lgkmcnt(0)
	v_mul_f64 v[82:83], v[158:159], v[84:85]
	v_fma_f64 v[82:83], v[156:157], v[154:155], -v[82:83]
	v_mul_f64 v[156:157], v[156:157], v[84:85]
	v_add_f64 v[2:3], v[2:3], -v[82:83]
	v_fma_f64 v[156:157], v[158:159], v[154:155], v[156:157]
	v_mov_b32_e32 v82, v154
	v_mov_b32_e32 v83, v155
	v_add_f64 v[4:5], v[4:5], -v[156:157]
.LBB57_82:
	s_or_b32 exec_lo, exec_lo, s1
	s_mov_b32 s2, exec_lo
	s_waitcnt lgkmcnt(0)
	s_barrier
	buffer_gl0_inv
	v_cmpx_eq_u32_e32 9, v0
	s_cbranch_execz .LBB57_89
; %bb.83:
	ds_write2_b64 v1, v[78:79], v[80:81] offset1:1
	ds_write2_b64 v250, v[74:75], v[76:77] offset0:20 offset1:21
	ds_write2_b64 v250, v[70:71], v[72:73] offset0:22 offset1:23
	;; [unrolled: 1-line block ×19, first 2 shown]
	ds_read2_b64 v[154:157], v1 offset1:1
	s_waitcnt lgkmcnt(0)
	v_cmp_neq_f64_e32 vcc_lo, 0, v[154:155]
	v_cmp_neq_f64_e64 s1, 0, v[156:157]
	s_or_b32 s1, vcc_lo, s1
	s_and_b32 exec_lo, exec_lo, s1
	s_cbranch_execz .LBB57_89
; %bb.84:
	v_cmp_ngt_f64_e64 s1, |v[154:155]|, |v[156:157]|
                                        ; implicit-def: $vgpr158_vgpr159
	s_and_saveexec_b32 s3, s1
	s_xor_b32 s1, exec_lo, s3
                                        ; implicit-def: $vgpr160_vgpr161
	s_cbranch_execz .LBB57_86
; %bb.85:
	v_div_scale_f64 v[158:159], null, v[156:157], v[156:157], v[154:155]
	v_div_scale_f64 v[164:165], vcc_lo, v[154:155], v[156:157], v[154:155]
	v_rcp_f64_e32 v[160:161], v[158:159]
	v_fma_f64 v[162:163], -v[158:159], v[160:161], 1.0
	v_fma_f64 v[160:161], v[160:161], v[162:163], v[160:161]
	v_fma_f64 v[162:163], -v[158:159], v[160:161], 1.0
	v_fma_f64 v[160:161], v[160:161], v[162:163], v[160:161]
	v_mul_f64 v[162:163], v[164:165], v[160:161]
	v_fma_f64 v[158:159], -v[158:159], v[162:163], v[164:165]
	v_div_fmas_f64 v[158:159], v[158:159], v[160:161], v[162:163]
	v_div_fixup_f64 v[158:159], v[158:159], v[156:157], v[154:155]
	v_fma_f64 v[154:155], v[154:155], v[158:159], v[156:157]
	v_div_scale_f64 v[156:157], null, v[154:155], v[154:155], 1.0
	v_rcp_f64_e32 v[160:161], v[156:157]
	v_fma_f64 v[162:163], -v[156:157], v[160:161], 1.0
	v_fma_f64 v[160:161], v[160:161], v[162:163], v[160:161]
	v_fma_f64 v[162:163], -v[156:157], v[160:161], 1.0
	v_fma_f64 v[160:161], v[160:161], v[162:163], v[160:161]
	v_div_scale_f64 v[162:163], vcc_lo, 1.0, v[154:155], 1.0
	v_mul_f64 v[164:165], v[162:163], v[160:161]
	v_fma_f64 v[156:157], -v[156:157], v[164:165], v[162:163]
	v_div_fmas_f64 v[156:157], v[156:157], v[160:161], v[164:165]
	v_div_fixup_f64 v[160:161], v[156:157], v[154:155], 1.0
                                        ; implicit-def: $vgpr154_vgpr155
	v_mul_f64 v[158:159], v[158:159], v[160:161]
	v_xor_b32_e32 v161, 0x80000000, v161
.LBB57_86:
	s_andn2_saveexec_b32 s1, s1
	s_cbranch_execz .LBB57_88
; %bb.87:
	v_div_scale_f64 v[158:159], null, v[154:155], v[154:155], v[156:157]
	v_div_scale_f64 v[164:165], vcc_lo, v[156:157], v[154:155], v[156:157]
	v_rcp_f64_e32 v[160:161], v[158:159]
	v_fma_f64 v[162:163], -v[158:159], v[160:161], 1.0
	v_fma_f64 v[160:161], v[160:161], v[162:163], v[160:161]
	v_fma_f64 v[162:163], -v[158:159], v[160:161], 1.0
	v_fma_f64 v[160:161], v[160:161], v[162:163], v[160:161]
	v_mul_f64 v[162:163], v[164:165], v[160:161]
	v_fma_f64 v[158:159], -v[158:159], v[162:163], v[164:165]
	v_div_fmas_f64 v[158:159], v[158:159], v[160:161], v[162:163]
	v_div_fixup_f64 v[160:161], v[158:159], v[154:155], v[156:157]
	v_fma_f64 v[154:155], v[156:157], v[160:161], v[154:155]
	v_div_scale_f64 v[156:157], null, v[154:155], v[154:155], 1.0
	v_rcp_f64_e32 v[158:159], v[156:157]
	v_fma_f64 v[162:163], -v[156:157], v[158:159], 1.0
	v_fma_f64 v[158:159], v[158:159], v[162:163], v[158:159]
	v_fma_f64 v[162:163], -v[156:157], v[158:159], 1.0
	v_fma_f64 v[158:159], v[158:159], v[162:163], v[158:159]
	v_div_scale_f64 v[162:163], vcc_lo, 1.0, v[154:155], 1.0
	v_mul_f64 v[164:165], v[162:163], v[158:159]
	v_fma_f64 v[156:157], -v[156:157], v[164:165], v[162:163]
	v_div_fmas_f64 v[156:157], v[156:157], v[158:159], v[164:165]
	v_div_fixup_f64 v[158:159], v[156:157], v[154:155], 1.0
	v_mul_f64 v[160:161], v[160:161], -v[158:159]
.LBB57_88:
	s_or_b32 exec_lo, exec_lo, s1
	ds_write2_b64 v1, v[158:159], v[160:161] offset1:1
.LBB57_89:
	s_or_b32 exec_lo, exec_lo, s2
	s_waitcnt lgkmcnt(0)
	s_barrier
	buffer_gl0_inv
	ds_read2_b64 v[154:157], v1 offset1:1
	s_mov_b32 s1, exec_lo
	v_cmpx_lt_u32_e32 9, v0
	s_cbranch_execz .LBB57_91
; %bb.90:
	s_waitcnt lgkmcnt(0)
	v_mul_f64 v[158:159], v[156:157], v[80:81]
	v_mul_f64 v[80:81], v[154:155], v[80:81]
	ds_read2_b64 v[160:163], v250 offset0:20 offset1:21
	v_fma_f64 v[158:159], v[154:155], v[78:79], -v[158:159]
	v_fma_f64 v[80:81], v[156:157], v[78:79], v[80:81]
	s_waitcnt lgkmcnt(0)
	v_mul_f64 v[78:79], v[162:163], v[80:81]
	v_fma_f64 v[78:79], v[160:161], v[158:159], -v[78:79]
	v_mul_f64 v[160:161], v[160:161], v[80:81]
	v_add_f64 v[74:75], v[74:75], -v[78:79]
	v_fma_f64 v[160:161], v[162:163], v[158:159], v[160:161]
	v_add_f64 v[76:77], v[76:77], -v[160:161]
	ds_read2_b64 v[160:163], v250 offset0:22 offset1:23
	s_waitcnt lgkmcnt(0)
	v_mul_f64 v[78:79], v[162:163], v[80:81]
	v_fma_f64 v[78:79], v[160:161], v[158:159], -v[78:79]
	v_mul_f64 v[160:161], v[160:161], v[80:81]
	v_add_f64 v[70:71], v[70:71], -v[78:79]
	v_fma_f64 v[160:161], v[162:163], v[158:159], v[160:161]
	v_add_f64 v[72:73], v[72:73], -v[160:161]
	ds_read2_b64 v[160:163], v250 offset0:24 offset1:25
	;; [unrolled: 8-line block ×18, first 2 shown]
	s_waitcnt lgkmcnt(0)
	v_mul_f64 v[78:79], v[162:163], v[80:81]
	v_fma_f64 v[78:79], v[160:161], v[158:159], -v[78:79]
	v_mul_f64 v[160:161], v[160:161], v[80:81]
	v_add_f64 v[2:3], v[2:3], -v[78:79]
	v_fma_f64 v[160:161], v[162:163], v[158:159], v[160:161]
	v_mov_b32_e32 v78, v158
	v_mov_b32_e32 v79, v159
	v_add_f64 v[4:5], v[4:5], -v[160:161]
.LBB57_91:
	s_or_b32 exec_lo, exec_lo, s1
	s_mov_b32 s2, exec_lo
	s_waitcnt lgkmcnt(0)
	s_barrier
	buffer_gl0_inv
	v_cmpx_eq_u32_e32 10, v0
	s_cbranch_execz .LBB57_98
; %bb.92:
	ds_write2_b64 v1, v[74:75], v[76:77] offset1:1
	ds_write2_b64 v250, v[70:71], v[72:73] offset0:22 offset1:23
	ds_write2_b64 v250, v[66:67], v[68:69] offset0:24 offset1:25
	;; [unrolled: 1-line block ×18, first 2 shown]
	ds_read2_b64 v[158:161], v1 offset1:1
	s_waitcnt lgkmcnt(0)
	v_cmp_neq_f64_e32 vcc_lo, 0, v[158:159]
	v_cmp_neq_f64_e64 s1, 0, v[160:161]
	s_or_b32 s1, vcc_lo, s1
	s_and_b32 exec_lo, exec_lo, s1
	s_cbranch_execz .LBB57_98
; %bb.93:
	v_cmp_ngt_f64_e64 s1, |v[158:159]|, |v[160:161]|
                                        ; implicit-def: $vgpr162_vgpr163
	s_and_saveexec_b32 s3, s1
	s_xor_b32 s1, exec_lo, s3
                                        ; implicit-def: $vgpr164_vgpr165
	s_cbranch_execz .LBB57_95
; %bb.94:
	v_div_scale_f64 v[162:163], null, v[160:161], v[160:161], v[158:159]
	v_div_scale_f64 v[168:169], vcc_lo, v[158:159], v[160:161], v[158:159]
	v_rcp_f64_e32 v[164:165], v[162:163]
	v_fma_f64 v[166:167], -v[162:163], v[164:165], 1.0
	v_fma_f64 v[164:165], v[164:165], v[166:167], v[164:165]
	v_fma_f64 v[166:167], -v[162:163], v[164:165], 1.0
	v_fma_f64 v[164:165], v[164:165], v[166:167], v[164:165]
	v_mul_f64 v[166:167], v[168:169], v[164:165]
	v_fma_f64 v[162:163], -v[162:163], v[166:167], v[168:169]
	v_div_fmas_f64 v[162:163], v[162:163], v[164:165], v[166:167]
	v_div_fixup_f64 v[162:163], v[162:163], v[160:161], v[158:159]
	v_fma_f64 v[158:159], v[158:159], v[162:163], v[160:161]
	v_div_scale_f64 v[160:161], null, v[158:159], v[158:159], 1.0
	v_rcp_f64_e32 v[164:165], v[160:161]
	v_fma_f64 v[166:167], -v[160:161], v[164:165], 1.0
	v_fma_f64 v[164:165], v[164:165], v[166:167], v[164:165]
	v_fma_f64 v[166:167], -v[160:161], v[164:165], 1.0
	v_fma_f64 v[164:165], v[164:165], v[166:167], v[164:165]
	v_div_scale_f64 v[166:167], vcc_lo, 1.0, v[158:159], 1.0
	v_mul_f64 v[168:169], v[166:167], v[164:165]
	v_fma_f64 v[160:161], -v[160:161], v[168:169], v[166:167]
	v_div_fmas_f64 v[160:161], v[160:161], v[164:165], v[168:169]
	v_div_fixup_f64 v[164:165], v[160:161], v[158:159], 1.0
                                        ; implicit-def: $vgpr158_vgpr159
	v_mul_f64 v[162:163], v[162:163], v[164:165]
	v_xor_b32_e32 v165, 0x80000000, v165
.LBB57_95:
	s_andn2_saveexec_b32 s1, s1
	s_cbranch_execz .LBB57_97
; %bb.96:
	v_div_scale_f64 v[162:163], null, v[158:159], v[158:159], v[160:161]
	v_div_scale_f64 v[168:169], vcc_lo, v[160:161], v[158:159], v[160:161]
	v_rcp_f64_e32 v[164:165], v[162:163]
	v_fma_f64 v[166:167], -v[162:163], v[164:165], 1.0
	v_fma_f64 v[164:165], v[164:165], v[166:167], v[164:165]
	v_fma_f64 v[166:167], -v[162:163], v[164:165], 1.0
	v_fma_f64 v[164:165], v[164:165], v[166:167], v[164:165]
	v_mul_f64 v[166:167], v[168:169], v[164:165]
	v_fma_f64 v[162:163], -v[162:163], v[166:167], v[168:169]
	v_div_fmas_f64 v[162:163], v[162:163], v[164:165], v[166:167]
	v_div_fixup_f64 v[164:165], v[162:163], v[158:159], v[160:161]
	v_fma_f64 v[158:159], v[160:161], v[164:165], v[158:159]
	v_div_scale_f64 v[160:161], null, v[158:159], v[158:159], 1.0
	v_rcp_f64_e32 v[162:163], v[160:161]
	v_fma_f64 v[166:167], -v[160:161], v[162:163], 1.0
	v_fma_f64 v[162:163], v[162:163], v[166:167], v[162:163]
	v_fma_f64 v[166:167], -v[160:161], v[162:163], 1.0
	v_fma_f64 v[162:163], v[162:163], v[166:167], v[162:163]
	v_div_scale_f64 v[166:167], vcc_lo, 1.0, v[158:159], 1.0
	v_mul_f64 v[168:169], v[166:167], v[162:163]
	v_fma_f64 v[160:161], -v[160:161], v[168:169], v[166:167]
	v_div_fmas_f64 v[160:161], v[160:161], v[162:163], v[168:169]
	v_div_fixup_f64 v[162:163], v[160:161], v[158:159], 1.0
	v_mul_f64 v[164:165], v[164:165], -v[162:163]
.LBB57_97:
	s_or_b32 exec_lo, exec_lo, s1
	ds_write2_b64 v1, v[162:163], v[164:165] offset1:1
.LBB57_98:
	s_or_b32 exec_lo, exec_lo, s2
	s_waitcnt lgkmcnt(0)
	s_barrier
	buffer_gl0_inv
	ds_read2_b64 v[158:161], v1 offset1:1
	s_mov_b32 s1, exec_lo
	v_cmpx_lt_u32_e32 10, v0
	s_cbranch_execz .LBB57_100
; %bb.99:
	s_waitcnt lgkmcnt(0)
	v_mul_f64 v[162:163], v[160:161], v[76:77]
	v_mul_f64 v[76:77], v[158:159], v[76:77]
	ds_read2_b64 v[164:167], v250 offset0:22 offset1:23
	v_fma_f64 v[162:163], v[158:159], v[74:75], -v[162:163]
	v_fma_f64 v[76:77], v[160:161], v[74:75], v[76:77]
	s_waitcnt lgkmcnt(0)
	v_mul_f64 v[74:75], v[166:167], v[76:77]
	v_fma_f64 v[74:75], v[164:165], v[162:163], -v[74:75]
	v_mul_f64 v[164:165], v[164:165], v[76:77]
	v_add_f64 v[70:71], v[70:71], -v[74:75]
	v_fma_f64 v[164:165], v[166:167], v[162:163], v[164:165]
	v_add_f64 v[72:73], v[72:73], -v[164:165]
	ds_read2_b64 v[164:167], v250 offset0:24 offset1:25
	s_waitcnt lgkmcnt(0)
	v_mul_f64 v[74:75], v[166:167], v[76:77]
	v_fma_f64 v[74:75], v[164:165], v[162:163], -v[74:75]
	v_mul_f64 v[164:165], v[164:165], v[76:77]
	v_add_f64 v[66:67], v[66:67], -v[74:75]
	v_fma_f64 v[164:165], v[166:167], v[162:163], v[164:165]
	v_add_f64 v[68:69], v[68:69], -v[164:165]
	ds_read2_b64 v[164:167], v250 offset0:26 offset1:27
	;; [unrolled: 8-line block ×17, first 2 shown]
	s_waitcnt lgkmcnt(0)
	v_mul_f64 v[74:75], v[166:167], v[76:77]
	v_fma_f64 v[74:75], v[164:165], v[162:163], -v[74:75]
	v_mul_f64 v[164:165], v[164:165], v[76:77]
	v_add_f64 v[2:3], v[2:3], -v[74:75]
	v_fma_f64 v[164:165], v[166:167], v[162:163], v[164:165]
	v_mov_b32_e32 v74, v162
	v_mov_b32_e32 v75, v163
	v_add_f64 v[4:5], v[4:5], -v[164:165]
.LBB57_100:
	s_or_b32 exec_lo, exec_lo, s1
	s_mov_b32 s2, exec_lo
	s_waitcnt lgkmcnt(0)
	s_barrier
	buffer_gl0_inv
	v_cmpx_eq_u32_e32 11, v0
	s_cbranch_execz .LBB57_107
; %bb.101:
	ds_write2_b64 v1, v[70:71], v[72:73] offset1:1
	ds_write2_b64 v250, v[66:67], v[68:69] offset0:24 offset1:25
	ds_write2_b64 v250, v[62:63], v[64:65] offset0:26 offset1:27
	;; [unrolled: 1-line block ×17, first 2 shown]
	ds_read2_b64 v[162:165], v1 offset1:1
	s_waitcnt lgkmcnt(0)
	v_cmp_neq_f64_e32 vcc_lo, 0, v[162:163]
	v_cmp_neq_f64_e64 s1, 0, v[164:165]
	s_or_b32 s1, vcc_lo, s1
	s_and_b32 exec_lo, exec_lo, s1
	s_cbranch_execz .LBB57_107
; %bb.102:
	v_cmp_ngt_f64_e64 s1, |v[162:163]|, |v[164:165]|
                                        ; implicit-def: $vgpr166_vgpr167
	s_and_saveexec_b32 s3, s1
	s_xor_b32 s1, exec_lo, s3
                                        ; implicit-def: $vgpr168_vgpr169
	s_cbranch_execz .LBB57_104
; %bb.103:
	v_div_scale_f64 v[166:167], null, v[164:165], v[164:165], v[162:163]
	v_div_scale_f64 v[172:173], vcc_lo, v[162:163], v[164:165], v[162:163]
	v_rcp_f64_e32 v[168:169], v[166:167]
	v_fma_f64 v[170:171], -v[166:167], v[168:169], 1.0
	v_fma_f64 v[168:169], v[168:169], v[170:171], v[168:169]
	v_fma_f64 v[170:171], -v[166:167], v[168:169], 1.0
	v_fma_f64 v[168:169], v[168:169], v[170:171], v[168:169]
	v_mul_f64 v[170:171], v[172:173], v[168:169]
	v_fma_f64 v[166:167], -v[166:167], v[170:171], v[172:173]
	v_div_fmas_f64 v[166:167], v[166:167], v[168:169], v[170:171]
	v_div_fixup_f64 v[166:167], v[166:167], v[164:165], v[162:163]
	v_fma_f64 v[162:163], v[162:163], v[166:167], v[164:165]
	v_div_scale_f64 v[164:165], null, v[162:163], v[162:163], 1.0
	v_rcp_f64_e32 v[168:169], v[164:165]
	v_fma_f64 v[170:171], -v[164:165], v[168:169], 1.0
	v_fma_f64 v[168:169], v[168:169], v[170:171], v[168:169]
	v_fma_f64 v[170:171], -v[164:165], v[168:169], 1.0
	v_fma_f64 v[168:169], v[168:169], v[170:171], v[168:169]
	v_div_scale_f64 v[170:171], vcc_lo, 1.0, v[162:163], 1.0
	v_mul_f64 v[172:173], v[170:171], v[168:169]
	v_fma_f64 v[164:165], -v[164:165], v[172:173], v[170:171]
	v_div_fmas_f64 v[164:165], v[164:165], v[168:169], v[172:173]
	v_div_fixup_f64 v[168:169], v[164:165], v[162:163], 1.0
                                        ; implicit-def: $vgpr162_vgpr163
	v_mul_f64 v[166:167], v[166:167], v[168:169]
	v_xor_b32_e32 v169, 0x80000000, v169
.LBB57_104:
	s_andn2_saveexec_b32 s1, s1
	s_cbranch_execz .LBB57_106
; %bb.105:
	v_div_scale_f64 v[166:167], null, v[162:163], v[162:163], v[164:165]
	v_div_scale_f64 v[172:173], vcc_lo, v[164:165], v[162:163], v[164:165]
	v_rcp_f64_e32 v[168:169], v[166:167]
	v_fma_f64 v[170:171], -v[166:167], v[168:169], 1.0
	v_fma_f64 v[168:169], v[168:169], v[170:171], v[168:169]
	v_fma_f64 v[170:171], -v[166:167], v[168:169], 1.0
	v_fma_f64 v[168:169], v[168:169], v[170:171], v[168:169]
	v_mul_f64 v[170:171], v[172:173], v[168:169]
	v_fma_f64 v[166:167], -v[166:167], v[170:171], v[172:173]
	v_div_fmas_f64 v[166:167], v[166:167], v[168:169], v[170:171]
	v_div_fixup_f64 v[168:169], v[166:167], v[162:163], v[164:165]
	v_fma_f64 v[162:163], v[164:165], v[168:169], v[162:163]
	v_div_scale_f64 v[164:165], null, v[162:163], v[162:163], 1.0
	v_rcp_f64_e32 v[166:167], v[164:165]
	v_fma_f64 v[170:171], -v[164:165], v[166:167], 1.0
	v_fma_f64 v[166:167], v[166:167], v[170:171], v[166:167]
	v_fma_f64 v[170:171], -v[164:165], v[166:167], 1.0
	v_fma_f64 v[166:167], v[166:167], v[170:171], v[166:167]
	v_div_scale_f64 v[170:171], vcc_lo, 1.0, v[162:163], 1.0
	v_mul_f64 v[172:173], v[170:171], v[166:167]
	v_fma_f64 v[164:165], -v[164:165], v[172:173], v[170:171]
	v_div_fmas_f64 v[164:165], v[164:165], v[166:167], v[172:173]
	v_div_fixup_f64 v[166:167], v[164:165], v[162:163], 1.0
	v_mul_f64 v[168:169], v[168:169], -v[166:167]
.LBB57_106:
	s_or_b32 exec_lo, exec_lo, s1
	ds_write2_b64 v1, v[166:167], v[168:169] offset1:1
.LBB57_107:
	s_or_b32 exec_lo, exec_lo, s2
	s_waitcnt lgkmcnt(0)
	s_barrier
	buffer_gl0_inv
	ds_read2_b64 v[162:165], v1 offset1:1
	s_mov_b32 s1, exec_lo
	v_cmpx_lt_u32_e32 11, v0
	s_cbranch_execz .LBB57_109
; %bb.108:
	s_waitcnt lgkmcnt(0)
	v_mul_f64 v[166:167], v[164:165], v[72:73]
	v_mul_f64 v[72:73], v[162:163], v[72:73]
	ds_read2_b64 v[168:171], v250 offset0:24 offset1:25
	v_fma_f64 v[166:167], v[162:163], v[70:71], -v[166:167]
	v_fma_f64 v[72:73], v[164:165], v[70:71], v[72:73]
	s_waitcnt lgkmcnt(0)
	v_mul_f64 v[70:71], v[170:171], v[72:73]
	v_fma_f64 v[70:71], v[168:169], v[166:167], -v[70:71]
	v_mul_f64 v[168:169], v[168:169], v[72:73]
	v_add_f64 v[66:67], v[66:67], -v[70:71]
	v_fma_f64 v[168:169], v[170:171], v[166:167], v[168:169]
	v_add_f64 v[68:69], v[68:69], -v[168:169]
	ds_read2_b64 v[168:171], v250 offset0:26 offset1:27
	s_waitcnt lgkmcnt(0)
	v_mul_f64 v[70:71], v[170:171], v[72:73]
	v_fma_f64 v[70:71], v[168:169], v[166:167], -v[70:71]
	v_mul_f64 v[168:169], v[168:169], v[72:73]
	v_add_f64 v[62:63], v[62:63], -v[70:71]
	v_fma_f64 v[168:169], v[170:171], v[166:167], v[168:169]
	v_add_f64 v[64:65], v[64:65], -v[168:169]
	ds_read2_b64 v[168:171], v250 offset0:28 offset1:29
	;; [unrolled: 8-line block ×16, first 2 shown]
	s_waitcnt lgkmcnt(0)
	v_mul_f64 v[70:71], v[170:171], v[72:73]
	v_fma_f64 v[70:71], v[168:169], v[166:167], -v[70:71]
	v_mul_f64 v[168:169], v[168:169], v[72:73]
	v_add_f64 v[2:3], v[2:3], -v[70:71]
	v_fma_f64 v[168:169], v[170:171], v[166:167], v[168:169]
	v_mov_b32_e32 v70, v166
	v_mov_b32_e32 v71, v167
	v_add_f64 v[4:5], v[4:5], -v[168:169]
.LBB57_109:
	s_or_b32 exec_lo, exec_lo, s1
	s_mov_b32 s2, exec_lo
	s_waitcnt lgkmcnt(0)
	s_barrier
	buffer_gl0_inv
	v_cmpx_eq_u32_e32 12, v0
	s_cbranch_execz .LBB57_116
; %bb.110:
	ds_write2_b64 v1, v[66:67], v[68:69] offset1:1
	ds_write2_b64 v250, v[62:63], v[64:65] offset0:26 offset1:27
	ds_write2_b64 v250, v[58:59], v[60:61] offset0:28 offset1:29
	;; [unrolled: 1-line block ×16, first 2 shown]
	ds_read2_b64 v[166:169], v1 offset1:1
	s_waitcnt lgkmcnt(0)
	v_cmp_neq_f64_e32 vcc_lo, 0, v[166:167]
	v_cmp_neq_f64_e64 s1, 0, v[168:169]
	s_or_b32 s1, vcc_lo, s1
	s_and_b32 exec_lo, exec_lo, s1
	s_cbranch_execz .LBB57_116
; %bb.111:
	v_cmp_ngt_f64_e64 s1, |v[166:167]|, |v[168:169]|
                                        ; implicit-def: $vgpr170_vgpr171
	s_and_saveexec_b32 s3, s1
	s_xor_b32 s1, exec_lo, s3
                                        ; implicit-def: $vgpr172_vgpr173
	s_cbranch_execz .LBB57_113
; %bb.112:
	v_div_scale_f64 v[170:171], null, v[168:169], v[168:169], v[166:167]
	v_div_scale_f64 v[176:177], vcc_lo, v[166:167], v[168:169], v[166:167]
	v_rcp_f64_e32 v[172:173], v[170:171]
	v_fma_f64 v[174:175], -v[170:171], v[172:173], 1.0
	v_fma_f64 v[172:173], v[172:173], v[174:175], v[172:173]
	v_fma_f64 v[174:175], -v[170:171], v[172:173], 1.0
	v_fma_f64 v[172:173], v[172:173], v[174:175], v[172:173]
	v_mul_f64 v[174:175], v[176:177], v[172:173]
	v_fma_f64 v[170:171], -v[170:171], v[174:175], v[176:177]
	v_div_fmas_f64 v[170:171], v[170:171], v[172:173], v[174:175]
	v_div_fixup_f64 v[170:171], v[170:171], v[168:169], v[166:167]
	v_fma_f64 v[166:167], v[166:167], v[170:171], v[168:169]
	v_div_scale_f64 v[168:169], null, v[166:167], v[166:167], 1.0
	v_rcp_f64_e32 v[172:173], v[168:169]
	v_fma_f64 v[174:175], -v[168:169], v[172:173], 1.0
	v_fma_f64 v[172:173], v[172:173], v[174:175], v[172:173]
	v_fma_f64 v[174:175], -v[168:169], v[172:173], 1.0
	v_fma_f64 v[172:173], v[172:173], v[174:175], v[172:173]
	v_div_scale_f64 v[174:175], vcc_lo, 1.0, v[166:167], 1.0
	v_mul_f64 v[176:177], v[174:175], v[172:173]
	v_fma_f64 v[168:169], -v[168:169], v[176:177], v[174:175]
	v_div_fmas_f64 v[168:169], v[168:169], v[172:173], v[176:177]
	v_div_fixup_f64 v[172:173], v[168:169], v[166:167], 1.0
                                        ; implicit-def: $vgpr166_vgpr167
	v_mul_f64 v[170:171], v[170:171], v[172:173]
	v_xor_b32_e32 v173, 0x80000000, v173
.LBB57_113:
	s_andn2_saveexec_b32 s1, s1
	s_cbranch_execz .LBB57_115
; %bb.114:
	v_div_scale_f64 v[170:171], null, v[166:167], v[166:167], v[168:169]
	v_div_scale_f64 v[176:177], vcc_lo, v[168:169], v[166:167], v[168:169]
	v_rcp_f64_e32 v[172:173], v[170:171]
	v_fma_f64 v[174:175], -v[170:171], v[172:173], 1.0
	v_fma_f64 v[172:173], v[172:173], v[174:175], v[172:173]
	v_fma_f64 v[174:175], -v[170:171], v[172:173], 1.0
	v_fma_f64 v[172:173], v[172:173], v[174:175], v[172:173]
	v_mul_f64 v[174:175], v[176:177], v[172:173]
	v_fma_f64 v[170:171], -v[170:171], v[174:175], v[176:177]
	v_div_fmas_f64 v[170:171], v[170:171], v[172:173], v[174:175]
	v_div_fixup_f64 v[172:173], v[170:171], v[166:167], v[168:169]
	v_fma_f64 v[166:167], v[168:169], v[172:173], v[166:167]
	v_div_scale_f64 v[168:169], null, v[166:167], v[166:167], 1.0
	v_rcp_f64_e32 v[170:171], v[168:169]
	v_fma_f64 v[174:175], -v[168:169], v[170:171], 1.0
	v_fma_f64 v[170:171], v[170:171], v[174:175], v[170:171]
	v_fma_f64 v[174:175], -v[168:169], v[170:171], 1.0
	v_fma_f64 v[170:171], v[170:171], v[174:175], v[170:171]
	v_div_scale_f64 v[174:175], vcc_lo, 1.0, v[166:167], 1.0
	v_mul_f64 v[176:177], v[174:175], v[170:171]
	v_fma_f64 v[168:169], -v[168:169], v[176:177], v[174:175]
	v_div_fmas_f64 v[168:169], v[168:169], v[170:171], v[176:177]
	v_div_fixup_f64 v[170:171], v[168:169], v[166:167], 1.0
	v_mul_f64 v[172:173], v[172:173], -v[170:171]
.LBB57_115:
	s_or_b32 exec_lo, exec_lo, s1
	ds_write2_b64 v1, v[170:171], v[172:173] offset1:1
.LBB57_116:
	s_or_b32 exec_lo, exec_lo, s2
	s_waitcnt lgkmcnt(0)
	s_barrier
	buffer_gl0_inv
	ds_read2_b64 v[166:169], v1 offset1:1
	s_mov_b32 s1, exec_lo
	v_cmpx_lt_u32_e32 12, v0
	s_cbranch_execz .LBB57_118
; %bb.117:
	s_waitcnt lgkmcnt(0)
	v_mul_f64 v[170:171], v[166:167], v[68:69]
	v_mul_f64 v[68:69], v[168:169], v[68:69]
	ds_read2_b64 v[172:175], v250 offset0:26 offset1:27
	v_fma_f64 v[170:171], v[168:169], v[66:67], v[170:171]
	v_fma_f64 v[66:67], v[166:167], v[66:67], -v[68:69]
	s_waitcnt lgkmcnt(0)
	v_mul_f64 v[68:69], v[174:175], v[170:171]
	v_fma_f64 v[68:69], v[172:173], v[66:67], -v[68:69]
	v_mul_f64 v[172:173], v[172:173], v[170:171]
	v_add_f64 v[62:63], v[62:63], -v[68:69]
	v_fma_f64 v[172:173], v[174:175], v[66:67], v[172:173]
	v_add_f64 v[64:65], v[64:65], -v[172:173]
	ds_read2_b64 v[172:175], v250 offset0:28 offset1:29
	s_waitcnt lgkmcnt(0)
	v_mul_f64 v[68:69], v[174:175], v[170:171]
	v_fma_f64 v[68:69], v[172:173], v[66:67], -v[68:69]
	v_mul_f64 v[172:173], v[172:173], v[170:171]
	v_add_f64 v[58:59], v[58:59], -v[68:69]
	v_fma_f64 v[172:173], v[174:175], v[66:67], v[172:173]
	v_add_f64 v[60:61], v[60:61], -v[172:173]
	ds_read2_b64 v[172:175], v250 offset0:30 offset1:31
	;; [unrolled: 8-line block ×15, first 2 shown]
	s_waitcnt lgkmcnt(0)
	v_mul_f64 v[68:69], v[174:175], v[170:171]
	v_fma_f64 v[68:69], v[172:173], v[66:67], -v[68:69]
	v_mul_f64 v[172:173], v[172:173], v[170:171]
	v_add_f64 v[2:3], v[2:3], -v[68:69]
	v_fma_f64 v[172:173], v[174:175], v[66:67], v[172:173]
	v_mov_b32_e32 v68, v170
	v_mov_b32_e32 v69, v171
	v_add_f64 v[4:5], v[4:5], -v[172:173]
.LBB57_118:
	s_or_b32 exec_lo, exec_lo, s1
	s_mov_b32 s2, exec_lo
	s_waitcnt lgkmcnt(0)
	s_barrier
	buffer_gl0_inv
	v_cmpx_eq_u32_e32 13, v0
	s_cbranch_execz .LBB57_125
; %bb.119:
	ds_write2_b64 v1, v[62:63], v[64:65] offset1:1
	ds_write2_b64 v250, v[58:59], v[60:61] offset0:28 offset1:29
	ds_write2_b64 v250, v[54:55], v[56:57] offset0:30 offset1:31
	ds_write2_b64 v250, v[50:51], v[52:53] offset0:32 offset1:33
	ds_write2_b64 v250, v[46:47], v[48:49] offset0:34 offset1:35
	ds_write2_b64 v250, v[42:43], v[44:45] offset0:36 offset1:37
	ds_write2_b64 v250, v[38:39], v[40:41] offset0:38 offset1:39
	ds_write2_b64 v250, v[34:35], v[36:37] offset0:40 offset1:41
	ds_write2_b64 v250, v[30:31], v[32:33] offset0:42 offset1:43
	ds_write2_b64 v250, v[26:27], v[28:29] offset0:44 offset1:45
	ds_write2_b64 v250, v[22:23], v[24:25] offset0:46 offset1:47
	ds_write2_b64 v250, v[18:19], v[20:21] offset0:48 offset1:49
	ds_write2_b64 v250, v[14:15], v[16:17] offset0:50 offset1:51
	ds_write2_b64 v250, v[10:11], v[12:13] offset0:52 offset1:53
	ds_write2_b64 v250, v[6:7], v[8:9] offset0:54 offset1:55
	ds_write2_b64 v250, v[2:3], v[4:5] offset0:56 offset1:57
	ds_read2_b64 v[170:173], v1 offset1:1
	s_waitcnt lgkmcnt(0)
	v_cmp_neq_f64_e32 vcc_lo, 0, v[170:171]
	v_cmp_neq_f64_e64 s1, 0, v[172:173]
	s_or_b32 s1, vcc_lo, s1
	s_and_b32 exec_lo, exec_lo, s1
	s_cbranch_execz .LBB57_125
; %bb.120:
	v_cmp_ngt_f64_e64 s1, |v[170:171]|, |v[172:173]|
                                        ; implicit-def: $vgpr174_vgpr175
	s_and_saveexec_b32 s3, s1
	s_xor_b32 s1, exec_lo, s3
                                        ; implicit-def: $vgpr176_vgpr177
	s_cbranch_execz .LBB57_122
; %bb.121:
	v_div_scale_f64 v[174:175], null, v[172:173], v[172:173], v[170:171]
	v_div_scale_f64 v[180:181], vcc_lo, v[170:171], v[172:173], v[170:171]
	v_rcp_f64_e32 v[176:177], v[174:175]
	v_fma_f64 v[178:179], -v[174:175], v[176:177], 1.0
	v_fma_f64 v[176:177], v[176:177], v[178:179], v[176:177]
	v_fma_f64 v[178:179], -v[174:175], v[176:177], 1.0
	v_fma_f64 v[176:177], v[176:177], v[178:179], v[176:177]
	v_mul_f64 v[178:179], v[180:181], v[176:177]
	v_fma_f64 v[174:175], -v[174:175], v[178:179], v[180:181]
	v_div_fmas_f64 v[174:175], v[174:175], v[176:177], v[178:179]
	v_div_fixup_f64 v[174:175], v[174:175], v[172:173], v[170:171]
	v_fma_f64 v[170:171], v[170:171], v[174:175], v[172:173]
	v_div_scale_f64 v[172:173], null, v[170:171], v[170:171], 1.0
	v_rcp_f64_e32 v[176:177], v[172:173]
	v_fma_f64 v[178:179], -v[172:173], v[176:177], 1.0
	v_fma_f64 v[176:177], v[176:177], v[178:179], v[176:177]
	v_fma_f64 v[178:179], -v[172:173], v[176:177], 1.0
	v_fma_f64 v[176:177], v[176:177], v[178:179], v[176:177]
	v_div_scale_f64 v[178:179], vcc_lo, 1.0, v[170:171], 1.0
	v_mul_f64 v[180:181], v[178:179], v[176:177]
	v_fma_f64 v[172:173], -v[172:173], v[180:181], v[178:179]
	v_div_fmas_f64 v[172:173], v[172:173], v[176:177], v[180:181]
	v_div_fixup_f64 v[176:177], v[172:173], v[170:171], 1.0
                                        ; implicit-def: $vgpr170_vgpr171
	v_mul_f64 v[174:175], v[174:175], v[176:177]
	v_xor_b32_e32 v177, 0x80000000, v177
.LBB57_122:
	s_andn2_saveexec_b32 s1, s1
	s_cbranch_execz .LBB57_124
; %bb.123:
	v_div_scale_f64 v[174:175], null, v[170:171], v[170:171], v[172:173]
	v_div_scale_f64 v[180:181], vcc_lo, v[172:173], v[170:171], v[172:173]
	v_rcp_f64_e32 v[176:177], v[174:175]
	v_fma_f64 v[178:179], -v[174:175], v[176:177], 1.0
	v_fma_f64 v[176:177], v[176:177], v[178:179], v[176:177]
	v_fma_f64 v[178:179], -v[174:175], v[176:177], 1.0
	v_fma_f64 v[176:177], v[176:177], v[178:179], v[176:177]
	v_mul_f64 v[178:179], v[180:181], v[176:177]
	v_fma_f64 v[174:175], -v[174:175], v[178:179], v[180:181]
	v_div_fmas_f64 v[174:175], v[174:175], v[176:177], v[178:179]
	v_div_fixup_f64 v[176:177], v[174:175], v[170:171], v[172:173]
	v_fma_f64 v[170:171], v[172:173], v[176:177], v[170:171]
	v_div_scale_f64 v[172:173], null, v[170:171], v[170:171], 1.0
	v_rcp_f64_e32 v[174:175], v[172:173]
	v_fma_f64 v[178:179], -v[172:173], v[174:175], 1.0
	v_fma_f64 v[174:175], v[174:175], v[178:179], v[174:175]
	v_fma_f64 v[178:179], -v[172:173], v[174:175], 1.0
	v_fma_f64 v[174:175], v[174:175], v[178:179], v[174:175]
	v_div_scale_f64 v[178:179], vcc_lo, 1.0, v[170:171], 1.0
	v_mul_f64 v[180:181], v[178:179], v[174:175]
	v_fma_f64 v[172:173], -v[172:173], v[180:181], v[178:179]
	v_div_fmas_f64 v[172:173], v[172:173], v[174:175], v[180:181]
	v_div_fixup_f64 v[174:175], v[172:173], v[170:171], 1.0
	v_mul_f64 v[176:177], v[176:177], -v[174:175]
.LBB57_124:
	s_or_b32 exec_lo, exec_lo, s1
	ds_write2_b64 v1, v[174:175], v[176:177] offset1:1
.LBB57_125:
	s_or_b32 exec_lo, exec_lo, s2
	s_waitcnt lgkmcnt(0)
	s_barrier
	buffer_gl0_inv
	ds_read2_b64 v[170:173], v1 offset1:1
	s_mov_b32 s1, exec_lo
	v_cmpx_lt_u32_e32 13, v0
	s_cbranch_execz .LBB57_127
; %bb.126:
	s_waitcnt lgkmcnt(0)
	v_mul_f64 v[174:175], v[170:171], v[64:65]
	v_mul_f64 v[64:65], v[172:173], v[64:65]
	ds_read2_b64 v[176:179], v250 offset0:28 offset1:29
	v_fma_f64 v[174:175], v[172:173], v[62:63], v[174:175]
	v_fma_f64 v[62:63], v[170:171], v[62:63], -v[64:65]
	s_waitcnt lgkmcnt(0)
	v_mul_f64 v[64:65], v[178:179], v[174:175]
	v_fma_f64 v[64:65], v[176:177], v[62:63], -v[64:65]
	v_mul_f64 v[176:177], v[176:177], v[174:175]
	v_add_f64 v[58:59], v[58:59], -v[64:65]
	v_fma_f64 v[176:177], v[178:179], v[62:63], v[176:177]
	v_add_f64 v[60:61], v[60:61], -v[176:177]
	ds_read2_b64 v[176:179], v250 offset0:30 offset1:31
	s_waitcnt lgkmcnt(0)
	v_mul_f64 v[64:65], v[178:179], v[174:175]
	v_fma_f64 v[64:65], v[176:177], v[62:63], -v[64:65]
	v_mul_f64 v[176:177], v[176:177], v[174:175]
	v_add_f64 v[54:55], v[54:55], -v[64:65]
	v_fma_f64 v[176:177], v[178:179], v[62:63], v[176:177]
	v_add_f64 v[56:57], v[56:57], -v[176:177]
	ds_read2_b64 v[176:179], v250 offset0:32 offset1:33
	;; [unrolled: 8-line block ×14, first 2 shown]
	s_waitcnt lgkmcnt(0)
	v_mul_f64 v[64:65], v[178:179], v[174:175]
	v_fma_f64 v[64:65], v[176:177], v[62:63], -v[64:65]
	v_mul_f64 v[176:177], v[176:177], v[174:175]
	v_add_f64 v[2:3], v[2:3], -v[64:65]
	v_fma_f64 v[176:177], v[178:179], v[62:63], v[176:177]
	v_mov_b32_e32 v64, v174
	v_mov_b32_e32 v65, v175
	v_add_f64 v[4:5], v[4:5], -v[176:177]
.LBB57_127:
	s_or_b32 exec_lo, exec_lo, s1
	s_mov_b32 s2, exec_lo
	s_waitcnt lgkmcnt(0)
	s_barrier
	buffer_gl0_inv
	v_cmpx_eq_u32_e32 14, v0
	s_cbranch_execz .LBB57_134
; %bb.128:
	ds_write2_b64 v1, v[58:59], v[60:61] offset1:1
	ds_write2_b64 v250, v[54:55], v[56:57] offset0:30 offset1:31
	ds_write2_b64 v250, v[50:51], v[52:53] offset0:32 offset1:33
	;; [unrolled: 1-line block ×14, first 2 shown]
	ds_read2_b64 v[174:177], v1 offset1:1
	s_waitcnt lgkmcnt(0)
	v_cmp_neq_f64_e32 vcc_lo, 0, v[174:175]
	v_cmp_neq_f64_e64 s1, 0, v[176:177]
	s_or_b32 s1, vcc_lo, s1
	s_and_b32 exec_lo, exec_lo, s1
	s_cbranch_execz .LBB57_134
; %bb.129:
	v_cmp_ngt_f64_e64 s1, |v[174:175]|, |v[176:177]|
                                        ; implicit-def: $vgpr178_vgpr179
	s_and_saveexec_b32 s3, s1
	s_xor_b32 s1, exec_lo, s3
                                        ; implicit-def: $vgpr180_vgpr181
	s_cbranch_execz .LBB57_131
; %bb.130:
	v_div_scale_f64 v[178:179], null, v[176:177], v[176:177], v[174:175]
	v_div_scale_f64 v[184:185], vcc_lo, v[174:175], v[176:177], v[174:175]
	v_rcp_f64_e32 v[180:181], v[178:179]
	v_fma_f64 v[182:183], -v[178:179], v[180:181], 1.0
	v_fma_f64 v[180:181], v[180:181], v[182:183], v[180:181]
	v_fma_f64 v[182:183], -v[178:179], v[180:181], 1.0
	v_fma_f64 v[180:181], v[180:181], v[182:183], v[180:181]
	v_mul_f64 v[182:183], v[184:185], v[180:181]
	v_fma_f64 v[178:179], -v[178:179], v[182:183], v[184:185]
	v_div_fmas_f64 v[178:179], v[178:179], v[180:181], v[182:183]
	v_div_fixup_f64 v[178:179], v[178:179], v[176:177], v[174:175]
	v_fma_f64 v[174:175], v[174:175], v[178:179], v[176:177]
	v_div_scale_f64 v[176:177], null, v[174:175], v[174:175], 1.0
	v_rcp_f64_e32 v[180:181], v[176:177]
	v_fma_f64 v[182:183], -v[176:177], v[180:181], 1.0
	v_fma_f64 v[180:181], v[180:181], v[182:183], v[180:181]
	v_fma_f64 v[182:183], -v[176:177], v[180:181], 1.0
	v_fma_f64 v[180:181], v[180:181], v[182:183], v[180:181]
	v_div_scale_f64 v[182:183], vcc_lo, 1.0, v[174:175], 1.0
	v_mul_f64 v[184:185], v[182:183], v[180:181]
	v_fma_f64 v[176:177], -v[176:177], v[184:185], v[182:183]
	v_div_fmas_f64 v[176:177], v[176:177], v[180:181], v[184:185]
	v_div_fixup_f64 v[180:181], v[176:177], v[174:175], 1.0
                                        ; implicit-def: $vgpr174_vgpr175
	v_mul_f64 v[178:179], v[178:179], v[180:181]
	v_xor_b32_e32 v181, 0x80000000, v181
.LBB57_131:
	s_andn2_saveexec_b32 s1, s1
	s_cbranch_execz .LBB57_133
; %bb.132:
	v_div_scale_f64 v[178:179], null, v[174:175], v[174:175], v[176:177]
	v_div_scale_f64 v[184:185], vcc_lo, v[176:177], v[174:175], v[176:177]
	v_rcp_f64_e32 v[180:181], v[178:179]
	v_fma_f64 v[182:183], -v[178:179], v[180:181], 1.0
	v_fma_f64 v[180:181], v[180:181], v[182:183], v[180:181]
	v_fma_f64 v[182:183], -v[178:179], v[180:181], 1.0
	v_fma_f64 v[180:181], v[180:181], v[182:183], v[180:181]
	v_mul_f64 v[182:183], v[184:185], v[180:181]
	v_fma_f64 v[178:179], -v[178:179], v[182:183], v[184:185]
	v_div_fmas_f64 v[178:179], v[178:179], v[180:181], v[182:183]
	v_div_fixup_f64 v[180:181], v[178:179], v[174:175], v[176:177]
	v_fma_f64 v[174:175], v[176:177], v[180:181], v[174:175]
	v_div_scale_f64 v[176:177], null, v[174:175], v[174:175], 1.0
	v_rcp_f64_e32 v[178:179], v[176:177]
	v_fma_f64 v[182:183], -v[176:177], v[178:179], 1.0
	v_fma_f64 v[178:179], v[178:179], v[182:183], v[178:179]
	v_fma_f64 v[182:183], -v[176:177], v[178:179], 1.0
	v_fma_f64 v[178:179], v[178:179], v[182:183], v[178:179]
	v_div_scale_f64 v[182:183], vcc_lo, 1.0, v[174:175], 1.0
	v_mul_f64 v[184:185], v[182:183], v[178:179]
	v_fma_f64 v[176:177], -v[176:177], v[184:185], v[182:183]
	v_div_fmas_f64 v[176:177], v[176:177], v[178:179], v[184:185]
	v_div_fixup_f64 v[178:179], v[176:177], v[174:175], 1.0
	v_mul_f64 v[180:181], v[180:181], -v[178:179]
.LBB57_133:
	s_or_b32 exec_lo, exec_lo, s1
	ds_write2_b64 v1, v[178:179], v[180:181] offset1:1
.LBB57_134:
	s_or_b32 exec_lo, exec_lo, s2
	s_waitcnt lgkmcnt(0)
	s_barrier
	buffer_gl0_inv
	ds_read2_b64 v[174:177], v1 offset1:1
	s_mov_b32 s1, exec_lo
	v_cmpx_lt_u32_e32 14, v0
	s_cbranch_execz .LBB57_136
; %bb.135:
	s_waitcnt lgkmcnt(0)
	v_mul_f64 v[178:179], v[174:175], v[60:61]
	v_mul_f64 v[60:61], v[176:177], v[60:61]
	ds_read2_b64 v[180:183], v250 offset0:30 offset1:31
	v_fma_f64 v[178:179], v[176:177], v[58:59], v[178:179]
	v_fma_f64 v[58:59], v[174:175], v[58:59], -v[60:61]
	s_waitcnt lgkmcnt(0)
	v_mul_f64 v[60:61], v[182:183], v[178:179]
	v_fma_f64 v[60:61], v[180:181], v[58:59], -v[60:61]
	v_mul_f64 v[180:181], v[180:181], v[178:179]
	v_add_f64 v[54:55], v[54:55], -v[60:61]
	v_fma_f64 v[180:181], v[182:183], v[58:59], v[180:181]
	v_add_f64 v[56:57], v[56:57], -v[180:181]
	ds_read2_b64 v[180:183], v250 offset0:32 offset1:33
	s_waitcnt lgkmcnt(0)
	v_mul_f64 v[60:61], v[182:183], v[178:179]
	v_fma_f64 v[60:61], v[180:181], v[58:59], -v[60:61]
	v_mul_f64 v[180:181], v[180:181], v[178:179]
	v_add_f64 v[50:51], v[50:51], -v[60:61]
	v_fma_f64 v[180:181], v[182:183], v[58:59], v[180:181]
	v_add_f64 v[52:53], v[52:53], -v[180:181]
	ds_read2_b64 v[180:183], v250 offset0:34 offset1:35
	s_waitcnt lgkmcnt(0)
	v_mul_f64 v[60:61], v[182:183], v[178:179]
	v_fma_f64 v[60:61], v[180:181], v[58:59], -v[60:61]
	v_mul_f64 v[180:181], v[180:181], v[178:179]
	v_add_f64 v[46:47], v[46:47], -v[60:61]
	v_fma_f64 v[180:181], v[182:183], v[58:59], v[180:181]
	v_add_f64 v[48:49], v[48:49], -v[180:181]
	ds_read2_b64 v[180:183], v250 offset0:36 offset1:37
	s_waitcnt lgkmcnt(0)
	v_mul_f64 v[60:61], v[182:183], v[178:179]
	v_fma_f64 v[60:61], v[180:181], v[58:59], -v[60:61]
	v_mul_f64 v[180:181], v[180:181], v[178:179]
	v_add_f64 v[42:43], v[42:43], -v[60:61]
	v_fma_f64 v[180:181], v[182:183], v[58:59], v[180:181]
	v_add_f64 v[44:45], v[44:45], -v[180:181]
	ds_read2_b64 v[180:183], v250 offset0:38 offset1:39
	s_waitcnt lgkmcnt(0)
	v_mul_f64 v[60:61], v[182:183], v[178:179]
	v_fma_f64 v[60:61], v[180:181], v[58:59], -v[60:61]
	v_mul_f64 v[180:181], v[180:181], v[178:179]
	v_add_f64 v[38:39], v[38:39], -v[60:61]
	v_fma_f64 v[180:181], v[182:183], v[58:59], v[180:181]
	v_add_f64 v[40:41], v[40:41], -v[180:181]
	ds_read2_b64 v[180:183], v250 offset0:40 offset1:41
	s_waitcnt lgkmcnt(0)
	v_mul_f64 v[60:61], v[182:183], v[178:179]
	v_fma_f64 v[60:61], v[180:181], v[58:59], -v[60:61]
	v_mul_f64 v[180:181], v[180:181], v[178:179]
	v_add_f64 v[34:35], v[34:35], -v[60:61]
	v_fma_f64 v[180:181], v[182:183], v[58:59], v[180:181]
	v_add_f64 v[36:37], v[36:37], -v[180:181]
	ds_read2_b64 v[180:183], v250 offset0:42 offset1:43
	s_waitcnt lgkmcnt(0)
	v_mul_f64 v[60:61], v[182:183], v[178:179]
	v_fma_f64 v[60:61], v[180:181], v[58:59], -v[60:61]
	v_mul_f64 v[180:181], v[180:181], v[178:179]
	v_add_f64 v[30:31], v[30:31], -v[60:61]
	v_fma_f64 v[180:181], v[182:183], v[58:59], v[180:181]
	v_add_f64 v[32:33], v[32:33], -v[180:181]
	ds_read2_b64 v[180:183], v250 offset0:44 offset1:45
	s_waitcnt lgkmcnt(0)
	v_mul_f64 v[60:61], v[182:183], v[178:179]
	v_fma_f64 v[60:61], v[180:181], v[58:59], -v[60:61]
	v_mul_f64 v[180:181], v[180:181], v[178:179]
	v_add_f64 v[26:27], v[26:27], -v[60:61]
	v_fma_f64 v[180:181], v[182:183], v[58:59], v[180:181]
	v_add_f64 v[28:29], v[28:29], -v[180:181]
	ds_read2_b64 v[180:183], v250 offset0:46 offset1:47
	s_waitcnt lgkmcnt(0)
	v_mul_f64 v[60:61], v[182:183], v[178:179]
	v_fma_f64 v[60:61], v[180:181], v[58:59], -v[60:61]
	v_mul_f64 v[180:181], v[180:181], v[178:179]
	v_add_f64 v[22:23], v[22:23], -v[60:61]
	v_fma_f64 v[180:181], v[182:183], v[58:59], v[180:181]
	v_add_f64 v[24:25], v[24:25], -v[180:181]
	ds_read2_b64 v[180:183], v250 offset0:48 offset1:49
	s_waitcnt lgkmcnt(0)
	v_mul_f64 v[60:61], v[182:183], v[178:179]
	v_fma_f64 v[60:61], v[180:181], v[58:59], -v[60:61]
	v_mul_f64 v[180:181], v[180:181], v[178:179]
	v_add_f64 v[18:19], v[18:19], -v[60:61]
	v_fma_f64 v[180:181], v[182:183], v[58:59], v[180:181]
	v_add_f64 v[20:21], v[20:21], -v[180:181]
	ds_read2_b64 v[180:183], v250 offset0:50 offset1:51
	s_waitcnt lgkmcnt(0)
	v_mul_f64 v[60:61], v[182:183], v[178:179]
	v_fma_f64 v[60:61], v[180:181], v[58:59], -v[60:61]
	v_mul_f64 v[180:181], v[180:181], v[178:179]
	v_add_f64 v[14:15], v[14:15], -v[60:61]
	v_fma_f64 v[180:181], v[182:183], v[58:59], v[180:181]
	v_add_f64 v[16:17], v[16:17], -v[180:181]
	ds_read2_b64 v[180:183], v250 offset0:52 offset1:53
	s_waitcnt lgkmcnt(0)
	v_mul_f64 v[60:61], v[182:183], v[178:179]
	v_fma_f64 v[60:61], v[180:181], v[58:59], -v[60:61]
	v_mul_f64 v[180:181], v[180:181], v[178:179]
	v_add_f64 v[10:11], v[10:11], -v[60:61]
	v_fma_f64 v[180:181], v[182:183], v[58:59], v[180:181]
	v_add_f64 v[12:13], v[12:13], -v[180:181]
	ds_read2_b64 v[180:183], v250 offset0:54 offset1:55
	s_waitcnt lgkmcnt(0)
	v_mul_f64 v[60:61], v[182:183], v[178:179]
	v_fma_f64 v[60:61], v[180:181], v[58:59], -v[60:61]
	v_mul_f64 v[180:181], v[180:181], v[178:179]
	v_add_f64 v[6:7], v[6:7], -v[60:61]
	v_fma_f64 v[180:181], v[182:183], v[58:59], v[180:181]
	v_add_f64 v[8:9], v[8:9], -v[180:181]
	ds_read2_b64 v[180:183], v250 offset0:56 offset1:57
	s_waitcnt lgkmcnt(0)
	v_mul_f64 v[60:61], v[182:183], v[178:179]
	v_fma_f64 v[60:61], v[180:181], v[58:59], -v[60:61]
	v_mul_f64 v[180:181], v[180:181], v[178:179]
	v_add_f64 v[2:3], v[2:3], -v[60:61]
	v_fma_f64 v[180:181], v[182:183], v[58:59], v[180:181]
	v_mov_b32_e32 v60, v178
	v_mov_b32_e32 v61, v179
	v_add_f64 v[4:5], v[4:5], -v[180:181]
.LBB57_136:
	s_or_b32 exec_lo, exec_lo, s1
	s_mov_b32 s2, exec_lo
	s_waitcnt lgkmcnt(0)
	s_barrier
	buffer_gl0_inv
	v_cmpx_eq_u32_e32 15, v0
	s_cbranch_execz .LBB57_143
; %bb.137:
	ds_write2_b64 v1, v[54:55], v[56:57] offset1:1
	ds_write2_b64 v250, v[50:51], v[52:53] offset0:32 offset1:33
	ds_write2_b64 v250, v[46:47], v[48:49] offset0:34 offset1:35
	ds_write2_b64 v250, v[42:43], v[44:45] offset0:36 offset1:37
	ds_write2_b64 v250, v[38:39], v[40:41] offset0:38 offset1:39
	ds_write2_b64 v250, v[34:35], v[36:37] offset0:40 offset1:41
	ds_write2_b64 v250, v[30:31], v[32:33] offset0:42 offset1:43
	ds_write2_b64 v250, v[26:27], v[28:29] offset0:44 offset1:45
	ds_write2_b64 v250, v[22:23], v[24:25] offset0:46 offset1:47
	ds_write2_b64 v250, v[18:19], v[20:21] offset0:48 offset1:49
	ds_write2_b64 v250, v[14:15], v[16:17] offset0:50 offset1:51
	ds_write2_b64 v250, v[10:11], v[12:13] offset0:52 offset1:53
	ds_write2_b64 v250, v[6:7], v[8:9] offset0:54 offset1:55
	ds_write2_b64 v250, v[2:3], v[4:5] offset0:56 offset1:57
	ds_read2_b64 v[178:181], v1 offset1:1
	s_waitcnt lgkmcnt(0)
	v_cmp_neq_f64_e32 vcc_lo, 0, v[178:179]
	v_cmp_neq_f64_e64 s1, 0, v[180:181]
	s_or_b32 s1, vcc_lo, s1
	s_and_b32 exec_lo, exec_lo, s1
	s_cbranch_execz .LBB57_143
; %bb.138:
	v_cmp_ngt_f64_e64 s1, |v[178:179]|, |v[180:181]|
                                        ; implicit-def: $vgpr182_vgpr183
	s_and_saveexec_b32 s3, s1
	s_xor_b32 s1, exec_lo, s3
                                        ; implicit-def: $vgpr184_vgpr185
	s_cbranch_execz .LBB57_140
; %bb.139:
	v_div_scale_f64 v[182:183], null, v[180:181], v[180:181], v[178:179]
	v_div_scale_f64 v[188:189], vcc_lo, v[178:179], v[180:181], v[178:179]
	v_rcp_f64_e32 v[184:185], v[182:183]
	v_fma_f64 v[186:187], -v[182:183], v[184:185], 1.0
	v_fma_f64 v[184:185], v[184:185], v[186:187], v[184:185]
	v_fma_f64 v[186:187], -v[182:183], v[184:185], 1.0
	v_fma_f64 v[184:185], v[184:185], v[186:187], v[184:185]
	v_mul_f64 v[186:187], v[188:189], v[184:185]
	v_fma_f64 v[182:183], -v[182:183], v[186:187], v[188:189]
	v_div_fmas_f64 v[182:183], v[182:183], v[184:185], v[186:187]
	v_div_fixup_f64 v[182:183], v[182:183], v[180:181], v[178:179]
	v_fma_f64 v[178:179], v[178:179], v[182:183], v[180:181]
	v_div_scale_f64 v[180:181], null, v[178:179], v[178:179], 1.0
	v_rcp_f64_e32 v[184:185], v[180:181]
	v_fma_f64 v[186:187], -v[180:181], v[184:185], 1.0
	v_fma_f64 v[184:185], v[184:185], v[186:187], v[184:185]
	v_fma_f64 v[186:187], -v[180:181], v[184:185], 1.0
	v_fma_f64 v[184:185], v[184:185], v[186:187], v[184:185]
	v_div_scale_f64 v[186:187], vcc_lo, 1.0, v[178:179], 1.0
	v_mul_f64 v[188:189], v[186:187], v[184:185]
	v_fma_f64 v[180:181], -v[180:181], v[188:189], v[186:187]
	v_div_fmas_f64 v[180:181], v[180:181], v[184:185], v[188:189]
	v_div_fixup_f64 v[184:185], v[180:181], v[178:179], 1.0
                                        ; implicit-def: $vgpr178_vgpr179
	v_mul_f64 v[182:183], v[182:183], v[184:185]
	v_xor_b32_e32 v185, 0x80000000, v185
.LBB57_140:
	s_andn2_saveexec_b32 s1, s1
	s_cbranch_execz .LBB57_142
; %bb.141:
	v_div_scale_f64 v[182:183], null, v[178:179], v[178:179], v[180:181]
	v_div_scale_f64 v[188:189], vcc_lo, v[180:181], v[178:179], v[180:181]
	v_rcp_f64_e32 v[184:185], v[182:183]
	v_fma_f64 v[186:187], -v[182:183], v[184:185], 1.0
	v_fma_f64 v[184:185], v[184:185], v[186:187], v[184:185]
	v_fma_f64 v[186:187], -v[182:183], v[184:185], 1.0
	v_fma_f64 v[184:185], v[184:185], v[186:187], v[184:185]
	v_mul_f64 v[186:187], v[188:189], v[184:185]
	v_fma_f64 v[182:183], -v[182:183], v[186:187], v[188:189]
	v_div_fmas_f64 v[182:183], v[182:183], v[184:185], v[186:187]
	v_div_fixup_f64 v[184:185], v[182:183], v[178:179], v[180:181]
	v_fma_f64 v[178:179], v[180:181], v[184:185], v[178:179]
	v_div_scale_f64 v[180:181], null, v[178:179], v[178:179], 1.0
	v_rcp_f64_e32 v[182:183], v[180:181]
	v_fma_f64 v[186:187], -v[180:181], v[182:183], 1.0
	v_fma_f64 v[182:183], v[182:183], v[186:187], v[182:183]
	v_fma_f64 v[186:187], -v[180:181], v[182:183], 1.0
	v_fma_f64 v[182:183], v[182:183], v[186:187], v[182:183]
	v_div_scale_f64 v[186:187], vcc_lo, 1.0, v[178:179], 1.0
	v_mul_f64 v[188:189], v[186:187], v[182:183]
	v_fma_f64 v[180:181], -v[180:181], v[188:189], v[186:187]
	v_div_fmas_f64 v[180:181], v[180:181], v[182:183], v[188:189]
	v_div_fixup_f64 v[182:183], v[180:181], v[178:179], 1.0
	v_mul_f64 v[184:185], v[184:185], -v[182:183]
.LBB57_142:
	s_or_b32 exec_lo, exec_lo, s1
	ds_write2_b64 v1, v[182:183], v[184:185] offset1:1
.LBB57_143:
	s_or_b32 exec_lo, exec_lo, s2
	s_waitcnt lgkmcnt(0)
	s_barrier
	buffer_gl0_inv
	ds_read2_b64 v[178:181], v1 offset1:1
	s_mov_b32 s1, exec_lo
	v_cmpx_lt_u32_e32 15, v0
	s_cbranch_execz .LBB57_145
; %bb.144:
	s_waitcnt lgkmcnt(0)
	v_mul_f64 v[182:183], v[178:179], v[56:57]
	v_mul_f64 v[56:57], v[180:181], v[56:57]
	v_fma_f64 v[186:187], v[180:181], v[54:55], v[182:183]
	ds_read2_b64 v[182:185], v250 offset0:32 offset1:33
	v_fma_f64 v[54:55], v[178:179], v[54:55], -v[56:57]
	s_waitcnt lgkmcnt(0)
	v_mul_f64 v[56:57], v[184:185], v[186:187]
	v_fma_f64 v[56:57], v[182:183], v[54:55], -v[56:57]
	v_mul_f64 v[182:183], v[182:183], v[186:187]
	v_add_f64 v[50:51], v[50:51], -v[56:57]
	v_fma_f64 v[182:183], v[184:185], v[54:55], v[182:183]
	v_add_f64 v[52:53], v[52:53], -v[182:183]
	ds_read2_b64 v[182:185], v250 offset0:34 offset1:35
	s_waitcnt lgkmcnt(0)
	v_mul_f64 v[56:57], v[184:185], v[186:187]
	v_fma_f64 v[56:57], v[182:183], v[54:55], -v[56:57]
	v_mul_f64 v[182:183], v[182:183], v[186:187]
	v_add_f64 v[46:47], v[46:47], -v[56:57]
	v_fma_f64 v[182:183], v[184:185], v[54:55], v[182:183]
	v_add_f64 v[48:49], v[48:49], -v[182:183]
	ds_read2_b64 v[182:185], v250 offset0:36 offset1:37
	;; [unrolled: 8-line block ×12, first 2 shown]
	s_waitcnt lgkmcnt(0)
	v_mul_f64 v[56:57], v[184:185], v[186:187]
	v_fma_f64 v[56:57], v[182:183], v[54:55], -v[56:57]
	v_mul_f64 v[182:183], v[182:183], v[186:187]
	v_add_f64 v[2:3], v[2:3], -v[56:57]
	v_fma_f64 v[182:183], v[184:185], v[54:55], v[182:183]
	v_mov_b32_e32 v56, v186
	v_mov_b32_e32 v57, v187
	v_add_f64 v[4:5], v[4:5], -v[182:183]
.LBB57_145:
	s_or_b32 exec_lo, exec_lo, s1
	s_mov_b32 s2, exec_lo
	s_waitcnt lgkmcnt(0)
	s_barrier
	buffer_gl0_inv
	v_cmpx_eq_u32_e32 16, v0
	s_cbranch_execz .LBB57_152
; %bb.146:
	ds_write2_b64 v1, v[50:51], v[52:53] offset1:1
	ds_write2_b64 v250, v[46:47], v[48:49] offset0:34 offset1:35
	ds_write2_b64 v250, v[42:43], v[44:45] offset0:36 offset1:37
	;; [unrolled: 1-line block ×12, first 2 shown]
	ds_read2_b64 v[182:185], v1 offset1:1
	s_waitcnt lgkmcnt(0)
	v_cmp_neq_f64_e32 vcc_lo, 0, v[182:183]
	v_cmp_neq_f64_e64 s1, 0, v[184:185]
	s_or_b32 s1, vcc_lo, s1
	s_and_b32 exec_lo, exec_lo, s1
	s_cbranch_execz .LBB57_152
; %bb.147:
	v_cmp_ngt_f64_e64 s1, |v[182:183]|, |v[184:185]|
                                        ; implicit-def: $vgpr186_vgpr187
	s_and_saveexec_b32 s3, s1
	s_xor_b32 s1, exec_lo, s3
                                        ; implicit-def: $vgpr188_vgpr189
	s_cbranch_execz .LBB57_149
; %bb.148:
	v_div_scale_f64 v[186:187], null, v[184:185], v[184:185], v[182:183]
	v_div_scale_f64 v[192:193], vcc_lo, v[182:183], v[184:185], v[182:183]
	v_rcp_f64_e32 v[188:189], v[186:187]
	v_fma_f64 v[190:191], -v[186:187], v[188:189], 1.0
	v_fma_f64 v[188:189], v[188:189], v[190:191], v[188:189]
	v_fma_f64 v[190:191], -v[186:187], v[188:189], 1.0
	v_fma_f64 v[188:189], v[188:189], v[190:191], v[188:189]
	v_mul_f64 v[190:191], v[192:193], v[188:189]
	v_fma_f64 v[186:187], -v[186:187], v[190:191], v[192:193]
	v_div_fmas_f64 v[186:187], v[186:187], v[188:189], v[190:191]
	v_div_fixup_f64 v[186:187], v[186:187], v[184:185], v[182:183]
	v_fma_f64 v[182:183], v[182:183], v[186:187], v[184:185]
	v_div_scale_f64 v[184:185], null, v[182:183], v[182:183], 1.0
	v_rcp_f64_e32 v[188:189], v[184:185]
	v_fma_f64 v[190:191], -v[184:185], v[188:189], 1.0
	v_fma_f64 v[188:189], v[188:189], v[190:191], v[188:189]
	v_fma_f64 v[190:191], -v[184:185], v[188:189], 1.0
	v_fma_f64 v[188:189], v[188:189], v[190:191], v[188:189]
	v_div_scale_f64 v[190:191], vcc_lo, 1.0, v[182:183], 1.0
	v_mul_f64 v[192:193], v[190:191], v[188:189]
	v_fma_f64 v[184:185], -v[184:185], v[192:193], v[190:191]
	v_div_fmas_f64 v[184:185], v[184:185], v[188:189], v[192:193]
	v_div_fixup_f64 v[188:189], v[184:185], v[182:183], 1.0
                                        ; implicit-def: $vgpr182_vgpr183
	v_mul_f64 v[186:187], v[186:187], v[188:189]
	v_xor_b32_e32 v189, 0x80000000, v189
.LBB57_149:
	s_andn2_saveexec_b32 s1, s1
	s_cbranch_execz .LBB57_151
; %bb.150:
	v_div_scale_f64 v[186:187], null, v[182:183], v[182:183], v[184:185]
	v_div_scale_f64 v[192:193], vcc_lo, v[184:185], v[182:183], v[184:185]
	v_rcp_f64_e32 v[188:189], v[186:187]
	v_fma_f64 v[190:191], -v[186:187], v[188:189], 1.0
	v_fma_f64 v[188:189], v[188:189], v[190:191], v[188:189]
	v_fma_f64 v[190:191], -v[186:187], v[188:189], 1.0
	v_fma_f64 v[188:189], v[188:189], v[190:191], v[188:189]
	v_mul_f64 v[190:191], v[192:193], v[188:189]
	v_fma_f64 v[186:187], -v[186:187], v[190:191], v[192:193]
	v_div_fmas_f64 v[186:187], v[186:187], v[188:189], v[190:191]
	v_div_fixup_f64 v[188:189], v[186:187], v[182:183], v[184:185]
	v_fma_f64 v[182:183], v[184:185], v[188:189], v[182:183]
	v_div_scale_f64 v[184:185], null, v[182:183], v[182:183], 1.0
	v_rcp_f64_e32 v[186:187], v[184:185]
	v_fma_f64 v[190:191], -v[184:185], v[186:187], 1.0
	v_fma_f64 v[186:187], v[186:187], v[190:191], v[186:187]
	v_fma_f64 v[190:191], -v[184:185], v[186:187], 1.0
	v_fma_f64 v[186:187], v[186:187], v[190:191], v[186:187]
	v_div_scale_f64 v[190:191], vcc_lo, 1.0, v[182:183], 1.0
	v_mul_f64 v[192:193], v[190:191], v[186:187]
	v_fma_f64 v[184:185], -v[184:185], v[192:193], v[190:191]
	v_div_fmas_f64 v[184:185], v[184:185], v[186:187], v[192:193]
	v_div_fixup_f64 v[186:187], v[184:185], v[182:183], 1.0
	v_mul_f64 v[188:189], v[188:189], -v[186:187]
.LBB57_151:
	s_or_b32 exec_lo, exec_lo, s1
	ds_write2_b64 v1, v[186:187], v[188:189] offset1:1
.LBB57_152:
	s_or_b32 exec_lo, exec_lo, s2
	s_waitcnt lgkmcnt(0)
	s_barrier
	buffer_gl0_inv
	ds_read2_b64 v[182:185], v1 offset1:1
	s_mov_b32 s1, exec_lo
	v_cmpx_lt_u32_e32 16, v0
	s_cbranch_execz .LBB57_154
; %bb.153:
	s_waitcnt lgkmcnt(0)
	v_mul_f64 v[186:187], v[182:183], v[52:53]
	v_mul_f64 v[52:53], v[184:185], v[52:53]
	v_fma_f64 v[190:191], v[184:185], v[50:51], v[186:187]
	ds_read2_b64 v[186:189], v250 offset0:34 offset1:35
	v_fma_f64 v[50:51], v[182:183], v[50:51], -v[52:53]
	s_waitcnt lgkmcnt(0)
	v_mul_f64 v[52:53], v[188:189], v[190:191]
	v_fma_f64 v[52:53], v[186:187], v[50:51], -v[52:53]
	v_mul_f64 v[186:187], v[186:187], v[190:191]
	v_add_f64 v[46:47], v[46:47], -v[52:53]
	v_fma_f64 v[186:187], v[188:189], v[50:51], v[186:187]
	v_add_f64 v[48:49], v[48:49], -v[186:187]
	ds_read2_b64 v[186:189], v250 offset0:36 offset1:37
	s_waitcnt lgkmcnt(0)
	v_mul_f64 v[52:53], v[188:189], v[190:191]
	v_fma_f64 v[52:53], v[186:187], v[50:51], -v[52:53]
	v_mul_f64 v[186:187], v[186:187], v[190:191]
	v_add_f64 v[42:43], v[42:43], -v[52:53]
	v_fma_f64 v[186:187], v[188:189], v[50:51], v[186:187]
	v_add_f64 v[44:45], v[44:45], -v[186:187]
	ds_read2_b64 v[186:189], v250 offset0:38 offset1:39
	s_waitcnt lgkmcnt(0)
	v_mul_f64 v[52:53], v[188:189], v[190:191]
	v_fma_f64 v[52:53], v[186:187], v[50:51], -v[52:53]
	v_mul_f64 v[186:187], v[186:187], v[190:191]
	v_add_f64 v[38:39], v[38:39], -v[52:53]
	v_fma_f64 v[186:187], v[188:189], v[50:51], v[186:187]
	v_add_f64 v[40:41], v[40:41], -v[186:187]
	ds_read2_b64 v[186:189], v250 offset0:40 offset1:41
	s_waitcnt lgkmcnt(0)
	v_mul_f64 v[52:53], v[188:189], v[190:191]
	v_fma_f64 v[52:53], v[186:187], v[50:51], -v[52:53]
	v_mul_f64 v[186:187], v[186:187], v[190:191]
	v_add_f64 v[34:35], v[34:35], -v[52:53]
	v_fma_f64 v[186:187], v[188:189], v[50:51], v[186:187]
	v_add_f64 v[36:37], v[36:37], -v[186:187]
	ds_read2_b64 v[186:189], v250 offset0:42 offset1:43
	s_waitcnt lgkmcnt(0)
	v_mul_f64 v[52:53], v[188:189], v[190:191]
	v_fma_f64 v[52:53], v[186:187], v[50:51], -v[52:53]
	v_mul_f64 v[186:187], v[186:187], v[190:191]
	v_add_f64 v[30:31], v[30:31], -v[52:53]
	v_fma_f64 v[186:187], v[188:189], v[50:51], v[186:187]
	v_add_f64 v[32:33], v[32:33], -v[186:187]
	ds_read2_b64 v[186:189], v250 offset0:44 offset1:45
	s_waitcnt lgkmcnt(0)
	v_mul_f64 v[52:53], v[188:189], v[190:191]
	v_fma_f64 v[52:53], v[186:187], v[50:51], -v[52:53]
	v_mul_f64 v[186:187], v[186:187], v[190:191]
	v_add_f64 v[26:27], v[26:27], -v[52:53]
	v_fma_f64 v[186:187], v[188:189], v[50:51], v[186:187]
	v_add_f64 v[28:29], v[28:29], -v[186:187]
	ds_read2_b64 v[186:189], v250 offset0:46 offset1:47
	s_waitcnt lgkmcnt(0)
	v_mul_f64 v[52:53], v[188:189], v[190:191]
	v_fma_f64 v[52:53], v[186:187], v[50:51], -v[52:53]
	v_mul_f64 v[186:187], v[186:187], v[190:191]
	v_add_f64 v[22:23], v[22:23], -v[52:53]
	v_fma_f64 v[186:187], v[188:189], v[50:51], v[186:187]
	v_add_f64 v[24:25], v[24:25], -v[186:187]
	ds_read2_b64 v[186:189], v250 offset0:48 offset1:49
	s_waitcnt lgkmcnt(0)
	v_mul_f64 v[52:53], v[188:189], v[190:191]
	v_fma_f64 v[52:53], v[186:187], v[50:51], -v[52:53]
	v_mul_f64 v[186:187], v[186:187], v[190:191]
	v_add_f64 v[18:19], v[18:19], -v[52:53]
	v_fma_f64 v[186:187], v[188:189], v[50:51], v[186:187]
	v_add_f64 v[20:21], v[20:21], -v[186:187]
	ds_read2_b64 v[186:189], v250 offset0:50 offset1:51
	s_waitcnt lgkmcnt(0)
	v_mul_f64 v[52:53], v[188:189], v[190:191]
	v_fma_f64 v[52:53], v[186:187], v[50:51], -v[52:53]
	v_mul_f64 v[186:187], v[186:187], v[190:191]
	v_add_f64 v[14:15], v[14:15], -v[52:53]
	v_fma_f64 v[186:187], v[188:189], v[50:51], v[186:187]
	v_add_f64 v[16:17], v[16:17], -v[186:187]
	ds_read2_b64 v[186:189], v250 offset0:52 offset1:53
	s_waitcnt lgkmcnt(0)
	v_mul_f64 v[52:53], v[188:189], v[190:191]
	v_fma_f64 v[52:53], v[186:187], v[50:51], -v[52:53]
	v_mul_f64 v[186:187], v[186:187], v[190:191]
	v_add_f64 v[10:11], v[10:11], -v[52:53]
	v_fma_f64 v[186:187], v[188:189], v[50:51], v[186:187]
	v_add_f64 v[12:13], v[12:13], -v[186:187]
	ds_read2_b64 v[186:189], v250 offset0:54 offset1:55
	s_waitcnt lgkmcnt(0)
	v_mul_f64 v[52:53], v[188:189], v[190:191]
	v_fma_f64 v[52:53], v[186:187], v[50:51], -v[52:53]
	v_mul_f64 v[186:187], v[186:187], v[190:191]
	v_add_f64 v[6:7], v[6:7], -v[52:53]
	v_fma_f64 v[186:187], v[188:189], v[50:51], v[186:187]
	v_add_f64 v[8:9], v[8:9], -v[186:187]
	ds_read2_b64 v[186:189], v250 offset0:56 offset1:57
	s_waitcnt lgkmcnt(0)
	v_mul_f64 v[52:53], v[188:189], v[190:191]
	v_fma_f64 v[52:53], v[186:187], v[50:51], -v[52:53]
	v_mul_f64 v[186:187], v[186:187], v[190:191]
	v_add_f64 v[2:3], v[2:3], -v[52:53]
	v_fma_f64 v[186:187], v[188:189], v[50:51], v[186:187]
	v_mov_b32_e32 v52, v190
	v_mov_b32_e32 v53, v191
	v_add_f64 v[4:5], v[4:5], -v[186:187]
.LBB57_154:
	s_or_b32 exec_lo, exec_lo, s1
	s_mov_b32 s2, exec_lo
	s_waitcnt lgkmcnt(0)
	s_barrier
	buffer_gl0_inv
	v_cmpx_eq_u32_e32 17, v0
	s_cbranch_execz .LBB57_161
; %bb.155:
	ds_write2_b64 v1, v[46:47], v[48:49] offset1:1
	ds_write2_b64 v250, v[42:43], v[44:45] offset0:36 offset1:37
	ds_write2_b64 v250, v[38:39], v[40:41] offset0:38 offset1:39
	;; [unrolled: 1-line block ×11, first 2 shown]
	ds_read2_b64 v[186:189], v1 offset1:1
	s_waitcnt lgkmcnt(0)
	v_cmp_neq_f64_e32 vcc_lo, 0, v[186:187]
	v_cmp_neq_f64_e64 s1, 0, v[188:189]
	s_or_b32 s1, vcc_lo, s1
	s_and_b32 exec_lo, exec_lo, s1
	s_cbranch_execz .LBB57_161
; %bb.156:
	v_cmp_ngt_f64_e64 s1, |v[186:187]|, |v[188:189]|
                                        ; implicit-def: $vgpr190_vgpr191
	s_and_saveexec_b32 s3, s1
	s_xor_b32 s1, exec_lo, s3
                                        ; implicit-def: $vgpr192_vgpr193
	s_cbranch_execz .LBB57_158
; %bb.157:
	v_div_scale_f64 v[190:191], null, v[188:189], v[188:189], v[186:187]
	v_div_scale_f64 v[196:197], vcc_lo, v[186:187], v[188:189], v[186:187]
	v_rcp_f64_e32 v[192:193], v[190:191]
	v_fma_f64 v[194:195], -v[190:191], v[192:193], 1.0
	v_fma_f64 v[192:193], v[192:193], v[194:195], v[192:193]
	v_fma_f64 v[194:195], -v[190:191], v[192:193], 1.0
	v_fma_f64 v[192:193], v[192:193], v[194:195], v[192:193]
	v_mul_f64 v[194:195], v[196:197], v[192:193]
	v_fma_f64 v[190:191], -v[190:191], v[194:195], v[196:197]
	v_div_fmas_f64 v[190:191], v[190:191], v[192:193], v[194:195]
	v_div_fixup_f64 v[190:191], v[190:191], v[188:189], v[186:187]
	v_fma_f64 v[186:187], v[186:187], v[190:191], v[188:189]
	v_div_scale_f64 v[188:189], null, v[186:187], v[186:187], 1.0
	v_rcp_f64_e32 v[192:193], v[188:189]
	v_fma_f64 v[194:195], -v[188:189], v[192:193], 1.0
	v_fma_f64 v[192:193], v[192:193], v[194:195], v[192:193]
	v_fma_f64 v[194:195], -v[188:189], v[192:193], 1.0
	v_fma_f64 v[192:193], v[192:193], v[194:195], v[192:193]
	v_div_scale_f64 v[194:195], vcc_lo, 1.0, v[186:187], 1.0
	v_mul_f64 v[196:197], v[194:195], v[192:193]
	v_fma_f64 v[188:189], -v[188:189], v[196:197], v[194:195]
	v_div_fmas_f64 v[188:189], v[188:189], v[192:193], v[196:197]
	v_div_fixup_f64 v[192:193], v[188:189], v[186:187], 1.0
                                        ; implicit-def: $vgpr186_vgpr187
	v_mul_f64 v[190:191], v[190:191], v[192:193]
	v_xor_b32_e32 v193, 0x80000000, v193
.LBB57_158:
	s_andn2_saveexec_b32 s1, s1
	s_cbranch_execz .LBB57_160
; %bb.159:
	v_div_scale_f64 v[190:191], null, v[186:187], v[186:187], v[188:189]
	v_div_scale_f64 v[196:197], vcc_lo, v[188:189], v[186:187], v[188:189]
	v_rcp_f64_e32 v[192:193], v[190:191]
	v_fma_f64 v[194:195], -v[190:191], v[192:193], 1.0
	v_fma_f64 v[192:193], v[192:193], v[194:195], v[192:193]
	v_fma_f64 v[194:195], -v[190:191], v[192:193], 1.0
	v_fma_f64 v[192:193], v[192:193], v[194:195], v[192:193]
	v_mul_f64 v[194:195], v[196:197], v[192:193]
	v_fma_f64 v[190:191], -v[190:191], v[194:195], v[196:197]
	v_div_fmas_f64 v[190:191], v[190:191], v[192:193], v[194:195]
	v_div_fixup_f64 v[192:193], v[190:191], v[186:187], v[188:189]
	v_fma_f64 v[186:187], v[188:189], v[192:193], v[186:187]
	v_div_scale_f64 v[188:189], null, v[186:187], v[186:187], 1.0
	v_rcp_f64_e32 v[190:191], v[188:189]
	v_fma_f64 v[194:195], -v[188:189], v[190:191], 1.0
	v_fma_f64 v[190:191], v[190:191], v[194:195], v[190:191]
	v_fma_f64 v[194:195], -v[188:189], v[190:191], 1.0
	v_fma_f64 v[190:191], v[190:191], v[194:195], v[190:191]
	v_div_scale_f64 v[194:195], vcc_lo, 1.0, v[186:187], 1.0
	v_mul_f64 v[196:197], v[194:195], v[190:191]
	v_fma_f64 v[188:189], -v[188:189], v[196:197], v[194:195]
	v_div_fmas_f64 v[188:189], v[188:189], v[190:191], v[196:197]
	v_div_fixup_f64 v[190:191], v[188:189], v[186:187], 1.0
	v_mul_f64 v[192:193], v[192:193], -v[190:191]
.LBB57_160:
	s_or_b32 exec_lo, exec_lo, s1
	ds_write2_b64 v1, v[190:191], v[192:193] offset1:1
.LBB57_161:
	s_or_b32 exec_lo, exec_lo, s2
	s_waitcnt lgkmcnt(0)
	s_barrier
	buffer_gl0_inv
	ds_read2_b64 v[186:189], v1 offset1:1
	s_mov_b32 s1, exec_lo
	v_cmpx_lt_u32_e32 17, v0
	s_cbranch_execz .LBB57_163
; %bb.162:
	s_waitcnt lgkmcnt(0)
	v_mul_f64 v[190:191], v[186:187], v[48:49]
	v_mul_f64 v[48:49], v[188:189], v[48:49]
	v_fma_f64 v[194:195], v[188:189], v[46:47], v[190:191]
	ds_read2_b64 v[190:193], v250 offset0:36 offset1:37
	v_fma_f64 v[46:47], v[186:187], v[46:47], -v[48:49]
	s_waitcnt lgkmcnt(0)
	v_mul_f64 v[48:49], v[192:193], v[194:195]
	v_fma_f64 v[48:49], v[190:191], v[46:47], -v[48:49]
	v_mul_f64 v[190:191], v[190:191], v[194:195]
	v_add_f64 v[42:43], v[42:43], -v[48:49]
	v_fma_f64 v[190:191], v[192:193], v[46:47], v[190:191]
	v_add_f64 v[44:45], v[44:45], -v[190:191]
	ds_read2_b64 v[190:193], v250 offset0:38 offset1:39
	s_waitcnt lgkmcnt(0)
	v_mul_f64 v[48:49], v[192:193], v[194:195]
	v_fma_f64 v[48:49], v[190:191], v[46:47], -v[48:49]
	v_mul_f64 v[190:191], v[190:191], v[194:195]
	v_add_f64 v[38:39], v[38:39], -v[48:49]
	v_fma_f64 v[190:191], v[192:193], v[46:47], v[190:191]
	v_add_f64 v[40:41], v[40:41], -v[190:191]
	ds_read2_b64 v[190:193], v250 offset0:40 offset1:41
	;; [unrolled: 8-line block ×10, first 2 shown]
	s_waitcnt lgkmcnt(0)
	v_mul_f64 v[48:49], v[192:193], v[194:195]
	v_fma_f64 v[48:49], v[190:191], v[46:47], -v[48:49]
	v_mul_f64 v[190:191], v[190:191], v[194:195]
	v_add_f64 v[2:3], v[2:3], -v[48:49]
	v_fma_f64 v[190:191], v[192:193], v[46:47], v[190:191]
	v_mov_b32_e32 v48, v194
	v_mov_b32_e32 v49, v195
	v_add_f64 v[4:5], v[4:5], -v[190:191]
.LBB57_163:
	s_or_b32 exec_lo, exec_lo, s1
	s_mov_b32 s2, exec_lo
	s_waitcnt lgkmcnt(0)
	s_barrier
	buffer_gl0_inv
	v_cmpx_eq_u32_e32 18, v0
	s_cbranch_execz .LBB57_170
; %bb.164:
	ds_write2_b64 v1, v[42:43], v[44:45] offset1:1
	ds_write2_b64 v250, v[38:39], v[40:41] offset0:38 offset1:39
	ds_write2_b64 v250, v[34:35], v[36:37] offset0:40 offset1:41
	;; [unrolled: 1-line block ×10, first 2 shown]
	ds_read2_b64 v[190:193], v1 offset1:1
	s_waitcnt lgkmcnt(0)
	v_cmp_neq_f64_e32 vcc_lo, 0, v[190:191]
	v_cmp_neq_f64_e64 s1, 0, v[192:193]
	s_or_b32 s1, vcc_lo, s1
	s_and_b32 exec_lo, exec_lo, s1
	s_cbranch_execz .LBB57_170
; %bb.165:
	v_cmp_ngt_f64_e64 s1, |v[190:191]|, |v[192:193]|
                                        ; implicit-def: $vgpr194_vgpr195
	s_and_saveexec_b32 s3, s1
	s_xor_b32 s1, exec_lo, s3
                                        ; implicit-def: $vgpr196_vgpr197
	s_cbranch_execz .LBB57_167
; %bb.166:
	v_div_scale_f64 v[194:195], null, v[192:193], v[192:193], v[190:191]
	v_div_scale_f64 v[200:201], vcc_lo, v[190:191], v[192:193], v[190:191]
	v_rcp_f64_e32 v[196:197], v[194:195]
	v_fma_f64 v[198:199], -v[194:195], v[196:197], 1.0
	v_fma_f64 v[196:197], v[196:197], v[198:199], v[196:197]
	v_fma_f64 v[198:199], -v[194:195], v[196:197], 1.0
	v_fma_f64 v[196:197], v[196:197], v[198:199], v[196:197]
	v_mul_f64 v[198:199], v[200:201], v[196:197]
	v_fma_f64 v[194:195], -v[194:195], v[198:199], v[200:201]
	v_div_fmas_f64 v[194:195], v[194:195], v[196:197], v[198:199]
	v_div_fixup_f64 v[194:195], v[194:195], v[192:193], v[190:191]
	v_fma_f64 v[190:191], v[190:191], v[194:195], v[192:193]
	v_div_scale_f64 v[192:193], null, v[190:191], v[190:191], 1.0
	v_rcp_f64_e32 v[196:197], v[192:193]
	v_fma_f64 v[198:199], -v[192:193], v[196:197], 1.0
	v_fma_f64 v[196:197], v[196:197], v[198:199], v[196:197]
	v_fma_f64 v[198:199], -v[192:193], v[196:197], 1.0
	v_fma_f64 v[196:197], v[196:197], v[198:199], v[196:197]
	v_div_scale_f64 v[198:199], vcc_lo, 1.0, v[190:191], 1.0
	v_mul_f64 v[200:201], v[198:199], v[196:197]
	v_fma_f64 v[192:193], -v[192:193], v[200:201], v[198:199]
	v_div_fmas_f64 v[192:193], v[192:193], v[196:197], v[200:201]
	v_div_fixup_f64 v[196:197], v[192:193], v[190:191], 1.0
                                        ; implicit-def: $vgpr190_vgpr191
	v_mul_f64 v[194:195], v[194:195], v[196:197]
	v_xor_b32_e32 v197, 0x80000000, v197
.LBB57_167:
	s_andn2_saveexec_b32 s1, s1
	s_cbranch_execz .LBB57_169
; %bb.168:
	v_div_scale_f64 v[194:195], null, v[190:191], v[190:191], v[192:193]
	v_div_scale_f64 v[200:201], vcc_lo, v[192:193], v[190:191], v[192:193]
	v_rcp_f64_e32 v[196:197], v[194:195]
	v_fma_f64 v[198:199], -v[194:195], v[196:197], 1.0
	v_fma_f64 v[196:197], v[196:197], v[198:199], v[196:197]
	v_fma_f64 v[198:199], -v[194:195], v[196:197], 1.0
	v_fma_f64 v[196:197], v[196:197], v[198:199], v[196:197]
	v_mul_f64 v[198:199], v[200:201], v[196:197]
	v_fma_f64 v[194:195], -v[194:195], v[198:199], v[200:201]
	v_div_fmas_f64 v[194:195], v[194:195], v[196:197], v[198:199]
	v_div_fixup_f64 v[196:197], v[194:195], v[190:191], v[192:193]
	v_fma_f64 v[190:191], v[192:193], v[196:197], v[190:191]
	v_div_scale_f64 v[192:193], null, v[190:191], v[190:191], 1.0
	v_rcp_f64_e32 v[194:195], v[192:193]
	v_fma_f64 v[198:199], -v[192:193], v[194:195], 1.0
	v_fma_f64 v[194:195], v[194:195], v[198:199], v[194:195]
	v_fma_f64 v[198:199], -v[192:193], v[194:195], 1.0
	v_fma_f64 v[194:195], v[194:195], v[198:199], v[194:195]
	v_div_scale_f64 v[198:199], vcc_lo, 1.0, v[190:191], 1.0
	v_mul_f64 v[200:201], v[198:199], v[194:195]
	v_fma_f64 v[192:193], -v[192:193], v[200:201], v[198:199]
	v_div_fmas_f64 v[192:193], v[192:193], v[194:195], v[200:201]
	v_div_fixup_f64 v[194:195], v[192:193], v[190:191], 1.0
	v_mul_f64 v[196:197], v[196:197], -v[194:195]
.LBB57_169:
	s_or_b32 exec_lo, exec_lo, s1
	ds_write2_b64 v1, v[194:195], v[196:197] offset1:1
.LBB57_170:
	s_or_b32 exec_lo, exec_lo, s2
	s_waitcnt lgkmcnt(0)
	s_barrier
	buffer_gl0_inv
	ds_read2_b64 v[190:193], v1 offset1:1
	s_mov_b32 s1, exec_lo
	v_cmpx_lt_u32_e32 18, v0
	s_cbranch_execz .LBB57_172
; %bb.171:
	s_waitcnt lgkmcnt(0)
	v_mul_f64 v[194:195], v[190:191], v[44:45]
	v_mul_f64 v[44:45], v[192:193], v[44:45]
	v_fma_f64 v[198:199], v[192:193], v[42:43], v[194:195]
	ds_read2_b64 v[194:197], v250 offset0:38 offset1:39
	v_fma_f64 v[42:43], v[190:191], v[42:43], -v[44:45]
	s_waitcnt lgkmcnt(0)
	v_mul_f64 v[44:45], v[196:197], v[198:199]
	v_fma_f64 v[44:45], v[194:195], v[42:43], -v[44:45]
	v_mul_f64 v[194:195], v[194:195], v[198:199]
	v_add_f64 v[38:39], v[38:39], -v[44:45]
	v_fma_f64 v[194:195], v[196:197], v[42:43], v[194:195]
	v_add_f64 v[40:41], v[40:41], -v[194:195]
	ds_read2_b64 v[194:197], v250 offset0:40 offset1:41
	s_waitcnt lgkmcnt(0)
	v_mul_f64 v[44:45], v[196:197], v[198:199]
	v_fma_f64 v[44:45], v[194:195], v[42:43], -v[44:45]
	v_mul_f64 v[194:195], v[194:195], v[198:199]
	v_add_f64 v[34:35], v[34:35], -v[44:45]
	v_fma_f64 v[194:195], v[196:197], v[42:43], v[194:195]
	v_add_f64 v[36:37], v[36:37], -v[194:195]
	ds_read2_b64 v[194:197], v250 offset0:42 offset1:43
	;; [unrolled: 8-line block ×9, first 2 shown]
	s_waitcnt lgkmcnt(0)
	v_mul_f64 v[44:45], v[196:197], v[198:199]
	v_fma_f64 v[44:45], v[194:195], v[42:43], -v[44:45]
	v_mul_f64 v[194:195], v[194:195], v[198:199]
	v_add_f64 v[2:3], v[2:3], -v[44:45]
	v_fma_f64 v[194:195], v[196:197], v[42:43], v[194:195]
	v_mov_b32_e32 v44, v198
	v_mov_b32_e32 v45, v199
	v_add_f64 v[4:5], v[4:5], -v[194:195]
.LBB57_172:
	s_or_b32 exec_lo, exec_lo, s1
	s_mov_b32 s2, exec_lo
	s_waitcnt lgkmcnt(0)
	s_barrier
	buffer_gl0_inv
	v_cmpx_eq_u32_e32 19, v0
	s_cbranch_execz .LBB57_179
; %bb.173:
	ds_write2_b64 v1, v[38:39], v[40:41] offset1:1
	ds_write2_b64 v250, v[34:35], v[36:37] offset0:40 offset1:41
	ds_write2_b64 v250, v[30:31], v[32:33] offset0:42 offset1:43
	;; [unrolled: 1-line block ×9, first 2 shown]
	ds_read2_b64 v[194:197], v1 offset1:1
	s_waitcnt lgkmcnt(0)
	v_cmp_neq_f64_e32 vcc_lo, 0, v[194:195]
	v_cmp_neq_f64_e64 s1, 0, v[196:197]
	s_or_b32 s1, vcc_lo, s1
	s_and_b32 exec_lo, exec_lo, s1
	s_cbranch_execz .LBB57_179
; %bb.174:
	v_cmp_ngt_f64_e64 s1, |v[194:195]|, |v[196:197]|
                                        ; implicit-def: $vgpr198_vgpr199
	s_and_saveexec_b32 s3, s1
	s_xor_b32 s1, exec_lo, s3
                                        ; implicit-def: $vgpr200_vgpr201
	s_cbranch_execz .LBB57_176
; %bb.175:
	v_div_scale_f64 v[198:199], null, v[196:197], v[196:197], v[194:195]
	v_div_scale_f64 v[204:205], vcc_lo, v[194:195], v[196:197], v[194:195]
	v_rcp_f64_e32 v[200:201], v[198:199]
	v_fma_f64 v[202:203], -v[198:199], v[200:201], 1.0
	v_fma_f64 v[200:201], v[200:201], v[202:203], v[200:201]
	v_fma_f64 v[202:203], -v[198:199], v[200:201], 1.0
	v_fma_f64 v[200:201], v[200:201], v[202:203], v[200:201]
	v_mul_f64 v[202:203], v[204:205], v[200:201]
	v_fma_f64 v[198:199], -v[198:199], v[202:203], v[204:205]
	v_div_fmas_f64 v[198:199], v[198:199], v[200:201], v[202:203]
	v_div_fixup_f64 v[198:199], v[198:199], v[196:197], v[194:195]
	v_fma_f64 v[194:195], v[194:195], v[198:199], v[196:197]
	v_div_scale_f64 v[196:197], null, v[194:195], v[194:195], 1.0
	v_rcp_f64_e32 v[200:201], v[196:197]
	v_fma_f64 v[202:203], -v[196:197], v[200:201], 1.0
	v_fma_f64 v[200:201], v[200:201], v[202:203], v[200:201]
	v_fma_f64 v[202:203], -v[196:197], v[200:201], 1.0
	v_fma_f64 v[200:201], v[200:201], v[202:203], v[200:201]
	v_div_scale_f64 v[202:203], vcc_lo, 1.0, v[194:195], 1.0
	v_mul_f64 v[204:205], v[202:203], v[200:201]
	v_fma_f64 v[196:197], -v[196:197], v[204:205], v[202:203]
	v_div_fmas_f64 v[196:197], v[196:197], v[200:201], v[204:205]
	v_div_fixup_f64 v[200:201], v[196:197], v[194:195], 1.0
                                        ; implicit-def: $vgpr194_vgpr195
	v_mul_f64 v[198:199], v[198:199], v[200:201]
	v_xor_b32_e32 v201, 0x80000000, v201
.LBB57_176:
	s_andn2_saveexec_b32 s1, s1
	s_cbranch_execz .LBB57_178
; %bb.177:
	v_div_scale_f64 v[198:199], null, v[194:195], v[194:195], v[196:197]
	v_div_scale_f64 v[204:205], vcc_lo, v[196:197], v[194:195], v[196:197]
	v_rcp_f64_e32 v[200:201], v[198:199]
	v_fma_f64 v[202:203], -v[198:199], v[200:201], 1.0
	v_fma_f64 v[200:201], v[200:201], v[202:203], v[200:201]
	v_fma_f64 v[202:203], -v[198:199], v[200:201], 1.0
	v_fma_f64 v[200:201], v[200:201], v[202:203], v[200:201]
	v_mul_f64 v[202:203], v[204:205], v[200:201]
	v_fma_f64 v[198:199], -v[198:199], v[202:203], v[204:205]
	v_div_fmas_f64 v[198:199], v[198:199], v[200:201], v[202:203]
	v_div_fixup_f64 v[200:201], v[198:199], v[194:195], v[196:197]
	v_fma_f64 v[194:195], v[196:197], v[200:201], v[194:195]
	v_div_scale_f64 v[196:197], null, v[194:195], v[194:195], 1.0
	v_rcp_f64_e32 v[198:199], v[196:197]
	v_fma_f64 v[202:203], -v[196:197], v[198:199], 1.0
	v_fma_f64 v[198:199], v[198:199], v[202:203], v[198:199]
	v_fma_f64 v[202:203], -v[196:197], v[198:199], 1.0
	v_fma_f64 v[198:199], v[198:199], v[202:203], v[198:199]
	v_div_scale_f64 v[202:203], vcc_lo, 1.0, v[194:195], 1.0
	v_mul_f64 v[204:205], v[202:203], v[198:199]
	v_fma_f64 v[196:197], -v[196:197], v[204:205], v[202:203]
	v_div_fmas_f64 v[196:197], v[196:197], v[198:199], v[204:205]
	v_div_fixup_f64 v[198:199], v[196:197], v[194:195], 1.0
	v_mul_f64 v[200:201], v[200:201], -v[198:199]
.LBB57_178:
	s_or_b32 exec_lo, exec_lo, s1
	ds_write2_b64 v1, v[198:199], v[200:201] offset1:1
.LBB57_179:
	s_or_b32 exec_lo, exec_lo, s2
	s_waitcnt lgkmcnt(0)
	s_barrier
	buffer_gl0_inv
	ds_read2_b64 v[194:197], v1 offset1:1
	s_mov_b32 s1, exec_lo
	v_cmpx_lt_u32_e32 19, v0
	s_cbranch_execz .LBB57_181
; %bb.180:
	s_waitcnt lgkmcnt(0)
	v_mul_f64 v[198:199], v[194:195], v[40:41]
	v_mul_f64 v[40:41], v[196:197], v[40:41]
	v_fma_f64 v[202:203], v[196:197], v[38:39], v[198:199]
	ds_read2_b64 v[198:201], v250 offset0:40 offset1:41
	v_fma_f64 v[38:39], v[194:195], v[38:39], -v[40:41]
	s_waitcnt lgkmcnt(0)
	v_mul_f64 v[40:41], v[200:201], v[202:203]
	v_fma_f64 v[40:41], v[198:199], v[38:39], -v[40:41]
	v_mul_f64 v[198:199], v[198:199], v[202:203]
	v_add_f64 v[34:35], v[34:35], -v[40:41]
	v_fma_f64 v[198:199], v[200:201], v[38:39], v[198:199]
	v_add_f64 v[36:37], v[36:37], -v[198:199]
	ds_read2_b64 v[198:201], v250 offset0:42 offset1:43
	s_waitcnt lgkmcnt(0)
	v_mul_f64 v[40:41], v[200:201], v[202:203]
	v_fma_f64 v[40:41], v[198:199], v[38:39], -v[40:41]
	v_mul_f64 v[198:199], v[198:199], v[202:203]
	v_add_f64 v[30:31], v[30:31], -v[40:41]
	v_fma_f64 v[198:199], v[200:201], v[38:39], v[198:199]
	v_add_f64 v[32:33], v[32:33], -v[198:199]
	ds_read2_b64 v[198:201], v250 offset0:44 offset1:45
	;; [unrolled: 8-line block ×8, first 2 shown]
	s_waitcnt lgkmcnt(0)
	v_mul_f64 v[40:41], v[200:201], v[202:203]
	v_fma_f64 v[40:41], v[198:199], v[38:39], -v[40:41]
	v_mul_f64 v[198:199], v[198:199], v[202:203]
	v_add_f64 v[2:3], v[2:3], -v[40:41]
	v_fma_f64 v[198:199], v[200:201], v[38:39], v[198:199]
	v_mov_b32_e32 v40, v202
	v_mov_b32_e32 v41, v203
	v_add_f64 v[4:5], v[4:5], -v[198:199]
.LBB57_181:
	s_or_b32 exec_lo, exec_lo, s1
	s_mov_b32 s2, exec_lo
	s_waitcnt lgkmcnt(0)
	s_barrier
	buffer_gl0_inv
	v_cmpx_eq_u32_e32 20, v0
	s_cbranch_execz .LBB57_188
; %bb.182:
	ds_write2_b64 v1, v[34:35], v[36:37] offset1:1
	ds_write2_b64 v250, v[30:31], v[32:33] offset0:42 offset1:43
	ds_write2_b64 v250, v[26:27], v[28:29] offset0:44 offset1:45
	;; [unrolled: 1-line block ×8, first 2 shown]
	ds_read2_b64 v[198:201], v1 offset1:1
	s_waitcnt lgkmcnt(0)
	v_cmp_neq_f64_e32 vcc_lo, 0, v[198:199]
	v_cmp_neq_f64_e64 s1, 0, v[200:201]
	s_or_b32 s1, vcc_lo, s1
	s_and_b32 exec_lo, exec_lo, s1
	s_cbranch_execz .LBB57_188
; %bb.183:
	v_cmp_ngt_f64_e64 s1, |v[198:199]|, |v[200:201]|
                                        ; implicit-def: $vgpr202_vgpr203
	s_and_saveexec_b32 s3, s1
	s_xor_b32 s1, exec_lo, s3
                                        ; implicit-def: $vgpr204_vgpr205
	s_cbranch_execz .LBB57_185
; %bb.184:
	v_div_scale_f64 v[202:203], null, v[200:201], v[200:201], v[198:199]
	v_div_scale_f64 v[208:209], vcc_lo, v[198:199], v[200:201], v[198:199]
	v_rcp_f64_e32 v[204:205], v[202:203]
	v_fma_f64 v[206:207], -v[202:203], v[204:205], 1.0
	v_fma_f64 v[204:205], v[204:205], v[206:207], v[204:205]
	v_fma_f64 v[206:207], -v[202:203], v[204:205], 1.0
	v_fma_f64 v[204:205], v[204:205], v[206:207], v[204:205]
	v_mul_f64 v[206:207], v[208:209], v[204:205]
	v_fma_f64 v[202:203], -v[202:203], v[206:207], v[208:209]
	v_div_fmas_f64 v[202:203], v[202:203], v[204:205], v[206:207]
	v_div_fixup_f64 v[202:203], v[202:203], v[200:201], v[198:199]
	v_fma_f64 v[198:199], v[198:199], v[202:203], v[200:201]
	v_div_scale_f64 v[200:201], null, v[198:199], v[198:199], 1.0
	v_rcp_f64_e32 v[204:205], v[200:201]
	v_fma_f64 v[206:207], -v[200:201], v[204:205], 1.0
	v_fma_f64 v[204:205], v[204:205], v[206:207], v[204:205]
	v_fma_f64 v[206:207], -v[200:201], v[204:205], 1.0
	v_fma_f64 v[204:205], v[204:205], v[206:207], v[204:205]
	v_div_scale_f64 v[206:207], vcc_lo, 1.0, v[198:199], 1.0
	v_mul_f64 v[208:209], v[206:207], v[204:205]
	v_fma_f64 v[200:201], -v[200:201], v[208:209], v[206:207]
	v_div_fmas_f64 v[200:201], v[200:201], v[204:205], v[208:209]
	v_div_fixup_f64 v[204:205], v[200:201], v[198:199], 1.0
                                        ; implicit-def: $vgpr198_vgpr199
	v_mul_f64 v[202:203], v[202:203], v[204:205]
	v_xor_b32_e32 v205, 0x80000000, v205
.LBB57_185:
	s_andn2_saveexec_b32 s1, s1
	s_cbranch_execz .LBB57_187
; %bb.186:
	v_div_scale_f64 v[202:203], null, v[198:199], v[198:199], v[200:201]
	v_div_scale_f64 v[208:209], vcc_lo, v[200:201], v[198:199], v[200:201]
	v_rcp_f64_e32 v[204:205], v[202:203]
	v_fma_f64 v[206:207], -v[202:203], v[204:205], 1.0
	v_fma_f64 v[204:205], v[204:205], v[206:207], v[204:205]
	v_fma_f64 v[206:207], -v[202:203], v[204:205], 1.0
	v_fma_f64 v[204:205], v[204:205], v[206:207], v[204:205]
	v_mul_f64 v[206:207], v[208:209], v[204:205]
	v_fma_f64 v[202:203], -v[202:203], v[206:207], v[208:209]
	v_div_fmas_f64 v[202:203], v[202:203], v[204:205], v[206:207]
	v_div_fixup_f64 v[204:205], v[202:203], v[198:199], v[200:201]
	v_fma_f64 v[198:199], v[200:201], v[204:205], v[198:199]
	v_div_scale_f64 v[200:201], null, v[198:199], v[198:199], 1.0
	v_rcp_f64_e32 v[202:203], v[200:201]
	v_fma_f64 v[206:207], -v[200:201], v[202:203], 1.0
	v_fma_f64 v[202:203], v[202:203], v[206:207], v[202:203]
	v_fma_f64 v[206:207], -v[200:201], v[202:203], 1.0
	v_fma_f64 v[202:203], v[202:203], v[206:207], v[202:203]
	v_div_scale_f64 v[206:207], vcc_lo, 1.0, v[198:199], 1.0
	v_mul_f64 v[208:209], v[206:207], v[202:203]
	v_fma_f64 v[200:201], -v[200:201], v[208:209], v[206:207]
	v_div_fmas_f64 v[200:201], v[200:201], v[202:203], v[208:209]
	v_div_fixup_f64 v[202:203], v[200:201], v[198:199], 1.0
	v_mul_f64 v[204:205], v[204:205], -v[202:203]
.LBB57_187:
	s_or_b32 exec_lo, exec_lo, s1
	ds_write2_b64 v1, v[202:203], v[204:205] offset1:1
.LBB57_188:
	s_or_b32 exec_lo, exec_lo, s2
	s_waitcnt lgkmcnt(0)
	s_barrier
	buffer_gl0_inv
	ds_read2_b64 v[198:201], v1 offset1:1
	s_mov_b32 s1, exec_lo
	v_cmpx_lt_u32_e32 20, v0
	s_cbranch_execz .LBB57_190
; %bb.189:
	s_waitcnt lgkmcnt(0)
	v_mul_f64 v[202:203], v[198:199], v[36:37]
	v_mul_f64 v[36:37], v[200:201], v[36:37]
	v_fma_f64 v[206:207], v[200:201], v[34:35], v[202:203]
	ds_read2_b64 v[202:205], v250 offset0:42 offset1:43
	v_fma_f64 v[34:35], v[198:199], v[34:35], -v[36:37]
	s_waitcnt lgkmcnt(0)
	v_mul_f64 v[36:37], v[204:205], v[206:207]
	v_fma_f64 v[36:37], v[202:203], v[34:35], -v[36:37]
	v_mul_f64 v[202:203], v[202:203], v[206:207]
	v_add_f64 v[30:31], v[30:31], -v[36:37]
	v_fma_f64 v[202:203], v[204:205], v[34:35], v[202:203]
	v_add_f64 v[32:33], v[32:33], -v[202:203]
	ds_read2_b64 v[202:205], v250 offset0:44 offset1:45
	s_waitcnt lgkmcnt(0)
	v_mul_f64 v[36:37], v[204:205], v[206:207]
	v_fma_f64 v[36:37], v[202:203], v[34:35], -v[36:37]
	v_mul_f64 v[202:203], v[202:203], v[206:207]
	v_add_f64 v[26:27], v[26:27], -v[36:37]
	v_fma_f64 v[202:203], v[204:205], v[34:35], v[202:203]
	v_add_f64 v[28:29], v[28:29], -v[202:203]
	ds_read2_b64 v[202:205], v250 offset0:46 offset1:47
	;; [unrolled: 8-line block ×7, first 2 shown]
	s_waitcnt lgkmcnt(0)
	v_mul_f64 v[36:37], v[204:205], v[206:207]
	v_fma_f64 v[36:37], v[202:203], v[34:35], -v[36:37]
	v_mul_f64 v[202:203], v[202:203], v[206:207]
	v_add_f64 v[2:3], v[2:3], -v[36:37]
	v_fma_f64 v[202:203], v[204:205], v[34:35], v[202:203]
	v_mov_b32_e32 v36, v206
	v_mov_b32_e32 v37, v207
	v_add_f64 v[4:5], v[4:5], -v[202:203]
.LBB57_190:
	s_or_b32 exec_lo, exec_lo, s1
	s_mov_b32 s2, exec_lo
	s_waitcnt lgkmcnt(0)
	s_barrier
	buffer_gl0_inv
	v_cmpx_eq_u32_e32 21, v0
	s_cbranch_execz .LBB57_197
; %bb.191:
	ds_write2_b64 v1, v[30:31], v[32:33] offset1:1
	ds_write2_b64 v250, v[26:27], v[28:29] offset0:44 offset1:45
	ds_write2_b64 v250, v[22:23], v[24:25] offset0:46 offset1:47
	;; [unrolled: 1-line block ×7, first 2 shown]
	ds_read2_b64 v[202:205], v1 offset1:1
	s_waitcnt lgkmcnt(0)
	v_cmp_neq_f64_e32 vcc_lo, 0, v[202:203]
	v_cmp_neq_f64_e64 s1, 0, v[204:205]
	s_or_b32 s1, vcc_lo, s1
	s_and_b32 exec_lo, exec_lo, s1
	s_cbranch_execz .LBB57_197
; %bb.192:
	v_cmp_ngt_f64_e64 s1, |v[202:203]|, |v[204:205]|
                                        ; implicit-def: $vgpr206_vgpr207
	s_and_saveexec_b32 s3, s1
	s_xor_b32 s1, exec_lo, s3
                                        ; implicit-def: $vgpr208_vgpr209
	s_cbranch_execz .LBB57_194
; %bb.193:
	v_div_scale_f64 v[206:207], null, v[204:205], v[204:205], v[202:203]
	v_div_scale_f64 v[212:213], vcc_lo, v[202:203], v[204:205], v[202:203]
	v_rcp_f64_e32 v[208:209], v[206:207]
	v_fma_f64 v[210:211], -v[206:207], v[208:209], 1.0
	v_fma_f64 v[208:209], v[208:209], v[210:211], v[208:209]
	v_fma_f64 v[210:211], -v[206:207], v[208:209], 1.0
	v_fma_f64 v[208:209], v[208:209], v[210:211], v[208:209]
	v_mul_f64 v[210:211], v[212:213], v[208:209]
	v_fma_f64 v[206:207], -v[206:207], v[210:211], v[212:213]
	v_div_fmas_f64 v[206:207], v[206:207], v[208:209], v[210:211]
	v_div_fixup_f64 v[206:207], v[206:207], v[204:205], v[202:203]
	v_fma_f64 v[202:203], v[202:203], v[206:207], v[204:205]
	v_div_scale_f64 v[204:205], null, v[202:203], v[202:203], 1.0
	v_rcp_f64_e32 v[208:209], v[204:205]
	v_fma_f64 v[210:211], -v[204:205], v[208:209], 1.0
	v_fma_f64 v[208:209], v[208:209], v[210:211], v[208:209]
	v_fma_f64 v[210:211], -v[204:205], v[208:209], 1.0
	v_fma_f64 v[208:209], v[208:209], v[210:211], v[208:209]
	v_div_scale_f64 v[210:211], vcc_lo, 1.0, v[202:203], 1.0
	v_mul_f64 v[212:213], v[210:211], v[208:209]
	v_fma_f64 v[204:205], -v[204:205], v[212:213], v[210:211]
	v_div_fmas_f64 v[204:205], v[204:205], v[208:209], v[212:213]
	v_div_fixup_f64 v[208:209], v[204:205], v[202:203], 1.0
                                        ; implicit-def: $vgpr202_vgpr203
	v_mul_f64 v[206:207], v[206:207], v[208:209]
	v_xor_b32_e32 v209, 0x80000000, v209
.LBB57_194:
	s_andn2_saveexec_b32 s1, s1
	s_cbranch_execz .LBB57_196
; %bb.195:
	v_div_scale_f64 v[206:207], null, v[202:203], v[202:203], v[204:205]
	v_div_scale_f64 v[212:213], vcc_lo, v[204:205], v[202:203], v[204:205]
	v_rcp_f64_e32 v[208:209], v[206:207]
	v_fma_f64 v[210:211], -v[206:207], v[208:209], 1.0
	v_fma_f64 v[208:209], v[208:209], v[210:211], v[208:209]
	v_fma_f64 v[210:211], -v[206:207], v[208:209], 1.0
	v_fma_f64 v[208:209], v[208:209], v[210:211], v[208:209]
	v_mul_f64 v[210:211], v[212:213], v[208:209]
	v_fma_f64 v[206:207], -v[206:207], v[210:211], v[212:213]
	v_div_fmas_f64 v[206:207], v[206:207], v[208:209], v[210:211]
	v_div_fixup_f64 v[208:209], v[206:207], v[202:203], v[204:205]
	v_fma_f64 v[202:203], v[204:205], v[208:209], v[202:203]
	v_div_scale_f64 v[204:205], null, v[202:203], v[202:203], 1.0
	v_rcp_f64_e32 v[206:207], v[204:205]
	v_fma_f64 v[210:211], -v[204:205], v[206:207], 1.0
	v_fma_f64 v[206:207], v[206:207], v[210:211], v[206:207]
	v_fma_f64 v[210:211], -v[204:205], v[206:207], 1.0
	v_fma_f64 v[206:207], v[206:207], v[210:211], v[206:207]
	v_div_scale_f64 v[210:211], vcc_lo, 1.0, v[202:203], 1.0
	v_mul_f64 v[212:213], v[210:211], v[206:207]
	v_fma_f64 v[204:205], -v[204:205], v[212:213], v[210:211]
	v_div_fmas_f64 v[204:205], v[204:205], v[206:207], v[212:213]
	v_div_fixup_f64 v[206:207], v[204:205], v[202:203], 1.0
	v_mul_f64 v[208:209], v[208:209], -v[206:207]
.LBB57_196:
	s_or_b32 exec_lo, exec_lo, s1
	ds_write2_b64 v1, v[206:207], v[208:209] offset1:1
.LBB57_197:
	s_or_b32 exec_lo, exec_lo, s2
	s_waitcnt lgkmcnt(0)
	s_barrier
	buffer_gl0_inv
	ds_read2_b64 v[202:205], v1 offset1:1
	s_mov_b32 s1, exec_lo
	v_cmpx_lt_u32_e32 21, v0
	s_cbranch_execz .LBB57_199
; %bb.198:
	s_waitcnt lgkmcnt(0)
	v_mul_f64 v[206:207], v[202:203], v[32:33]
	v_mul_f64 v[32:33], v[204:205], v[32:33]
	v_fma_f64 v[210:211], v[204:205], v[30:31], v[206:207]
	ds_read2_b64 v[206:209], v250 offset0:44 offset1:45
	v_fma_f64 v[30:31], v[202:203], v[30:31], -v[32:33]
	s_waitcnt lgkmcnt(0)
	v_mul_f64 v[32:33], v[208:209], v[210:211]
	v_fma_f64 v[32:33], v[206:207], v[30:31], -v[32:33]
	v_mul_f64 v[206:207], v[206:207], v[210:211]
	v_add_f64 v[26:27], v[26:27], -v[32:33]
	v_fma_f64 v[206:207], v[208:209], v[30:31], v[206:207]
	v_add_f64 v[28:29], v[28:29], -v[206:207]
	ds_read2_b64 v[206:209], v250 offset0:46 offset1:47
	s_waitcnt lgkmcnt(0)
	v_mul_f64 v[32:33], v[208:209], v[210:211]
	v_fma_f64 v[32:33], v[206:207], v[30:31], -v[32:33]
	v_mul_f64 v[206:207], v[206:207], v[210:211]
	v_add_f64 v[22:23], v[22:23], -v[32:33]
	v_fma_f64 v[206:207], v[208:209], v[30:31], v[206:207]
	v_add_f64 v[24:25], v[24:25], -v[206:207]
	ds_read2_b64 v[206:209], v250 offset0:48 offset1:49
	;; [unrolled: 8-line block ×6, first 2 shown]
	s_waitcnt lgkmcnt(0)
	v_mul_f64 v[32:33], v[208:209], v[210:211]
	v_fma_f64 v[32:33], v[206:207], v[30:31], -v[32:33]
	v_mul_f64 v[206:207], v[206:207], v[210:211]
	v_add_f64 v[2:3], v[2:3], -v[32:33]
	v_fma_f64 v[206:207], v[208:209], v[30:31], v[206:207]
	v_mov_b32_e32 v32, v210
	v_mov_b32_e32 v33, v211
	v_add_f64 v[4:5], v[4:5], -v[206:207]
.LBB57_199:
	s_or_b32 exec_lo, exec_lo, s1
	s_mov_b32 s2, exec_lo
	s_waitcnt lgkmcnt(0)
	s_barrier
	buffer_gl0_inv
	v_cmpx_eq_u32_e32 22, v0
	s_cbranch_execz .LBB57_206
; %bb.200:
	ds_write2_b64 v1, v[26:27], v[28:29] offset1:1
	ds_write2_b64 v250, v[22:23], v[24:25] offset0:46 offset1:47
	ds_write2_b64 v250, v[18:19], v[20:21] offset0:48 offset1:49
	;; [unrolled: 1-line block ×6, first 2 shown]
	ds_read2_b64 v[206:209], v1 offset1:1
	s_waitcnt lgkmcnt(0)
	v_cmp_neq_f64_e32 vcc_lo, 0, v[206:207]
	v_cmp_neq_f64_e64 s1, 0, v[208:209]
	s_or_b32 s1, vcc_lo, s1
	s_and_b32 exec_lo, exec_lo, s1
	s_cbranch_execz .LBB57_206
; %bb.201:
	v_cmp_ngt_f64_e64 s1, |v[206:207]|, |v[208:209]|
                                        ; implicit-def: $vgpr210_vgpr211
	s_and_saveexec_b32 s3, s1
	s_xor_b32 s1, exec_lo, s3
                                        ; implicit-def: $vgpr212_vgpr213
	s_cbranch_execz .LBB57_203
; %bb.202:
	v_div_scale_f64 v[210:211], null, v[208:209], v[208:209], v[206:207]
	v_div_scale_f64 v[216:217], vcc_lo, v[206:207], v[208:209], v[206:207]
	v_rcp_f64_e32 v[212:213], v[210:211]
	v_fma_f64 v[214:215], -v[210:211], v[212:213], 1.0
	v_fma_f64 v[212:213], v[212:213], v[214:215], v[212:213]
	v_fma_f64 v[214:215], -v[210:211], v[212:213], 1.0
	v_fma_f64 v[212:213], v[212:213], v[214:215], v[212:213]
	v_mul_f64 v[214:215], v[216:217], v[212:213]
	v_fma_f64 v[210:211], -v[210:211], v[214:215], v[216:217]
	v_div_fmas_f64 v[210:211], v[210:211], v[212:213], v[214:215]
	v_div_fixup_f64 v[210:211], v[210:211], v[208:209], v[206:207]
	v_fma_f64 v[206:207], v[206:207], v[210:211], v[208:209]
	v_div_scale_f64 v[208:209], null, v[206:207], v[206:207], 1.0
	v_rcp_f64_e32 v[212:213], v[208:209]
	v_fma_f64 v[214:215], -v[208:209], v[212:213], 1.0
	v_fma_f64 v[212:213], v[212:213], v[214:215], v[212:213]
	v_fma_f64 v[214:215], -v[208:209], v[212:213], 1.0
	v_fma_f64 v[212:213], v[212:213], v[214:215], v[212:213]
	v_div_scale_f64 v[214:215], vcc_lo, 1.0, v[206:207], 1.0
	v_mul_f64 v[216:217], v[214:215], v[212:213]
	v_fma_f64 v[208:209], -v[208:209], v[216:217], v[214:215]
	v_div_fmas_f64 v[208:209], v[208:209], v[212:213], v[216:217]
	v_div_fixup_f64 v[212:213], v[208:209], v[206:207], 1.0
                                        ; implicit-def: $vgpr206_vgpr207
	v_mul_f64 v[210:211], v[210:211], v[212:213]
	v_xor_b32_e32 v213, 0x80000000, v213
.LBB57_203:
	s_andn2_saveexec_b32 s1, s1
	s_cbranch_execz .LBB57_205
; %bb.204:
	v_div_scale_f64 v[210:211], null, v[206:207], v[206:207], v[208:209]
	v_div_scale_f64 v[216:217], vcc_lo, v[208:209], v[206:207], v[208:209]
	v_rcp_f64_e32 v[212:213], v[210:211]
	v_fma_f64 v[214:215], -v[210:211], v[212:213], 1.0
	v_fma_f64 v[212:213], v[212:213], v[214:215], v[212:213]
	v_fma_f64 v[214:215], -v[210:211], v[212:213], 1.0
	v_fma_f64 v[212:213], v[212:213], v[214:215], v[212:213]
	v_mul_f64 v[214:215], v[216:217], v[212:213]
	v_fma_f64 v[210:211], -v[210:211], v[214:215], v[216:217]
	v_div_fmas_f64 v[210:211], v[210:211], v[212:213], v[214:215]
	v_div_fixup_f64 v[212:213], v[210:211], v[206:207], v[208:209]
	v_fma_f64 v[206:207], v[208:209], v[212:213], v[206:207]
	v_div_scale_f64 v[208:209], null, v[206:207], v[206:207], 1.0
	v_rcp_f64_e32 v[210:211], v[208:209]
	v_fma_f64 v[214:215], -v[208:209], v[210:211], 1.0
	v_fma_f64 v[210:211], v[210:211], v[214:215], v[210:211]
	v_fma_f64 v[214:215], -v[208:209], v[210:211], 1.0
	v_fma_f64 v[210:211], v[210:211], v[214:215], v[210:211]
	v_div_scale_f64 v[214:215], vcc_lo, 1.0, v[206:207], 1.0
	v_mul_f64 v[216:217], v[214:215], v[210:211]
	v_fma_f64 v[208:209], -v[208:209], v[216:217], v[214:215]
	v_div_fmas_f64 v[208:209], v[208:209], v[210:211], v[216:217]
	v_div_fixup_f64 v[210:211], v[208:209], v[206:207], 1.0
	v_mul_f64 v[212:213], v[212:213], -v[210:211]
.LBB57_205:
	s_or_b32 exec_lo, exec_lo, s1
	ds_write2_b64 v1, v[210:211], v[212:213] offset1:1
.LBB57_206:
	s_or_b32 exec_lo, exec_lo, s2
	s_waitcnt lgkmcnt(0)
	s_barrier
	buffer_gl0_inv
	ds_read2_b64 v[206:209], v1 offset1:1
	s_mov_b32 s1, exec_lo
	v_cmpx_lt_u32_e32 22, v0
	s_cbranch_execz .LBB57_208
; %bb.207:
	s_waitcnt lgkmcnt(0)
	v_mul_f64 v[210:211], v[206:207], v[28:29]
	v_mul_f64 v[28:29], v[208:209], v[28:29]
	v_fma_f64 v[214:215], v[208:209], v[26:27], v[210:211]
	ds_read2_b64 v[210:213], v250 offset0:46 offset1:47
	v_fma_f64 v[26:27], v[206:207], v[26:27], -v[28:29]
	s_waitcnt lgkmcnt(0)
	v_mul_f64 v[28:29], v[212:213], v[214:215]
	v_fma_f64 v[28:29], v[210:211], v[26:27], -v[28:29]
	v_mul_f64 v[210:211], v[210:211], v[214:215]
	v_add_f64 v[22:23], v[22:23], -v[28:29]
	v_fma_f64 v[210:211], v[212:213], v[26:27], v[210:211]
	v_add_f64 v[24:25], v[24:25], -v[210:211]
	ds_read2_b64 v[210:213], v250 offset0:48 offset1:49
	s_waitcnt lgkmcnt(0)
	v_mul_f64 v[28:29], v[212:213], v[214:215]
	v_fma_f64 v[28:29], v[210:211], v[26:27], -v[28:29]
	v_mul_f64 v[210:211], v[210:211], v[214:215]
	v_add_f64 v[18:19], v[18:19], -v[28:29]
	v_fma_f64 v[210:211], v[212:213], v[26:27], v[210:211]
	v_add_f64 v[20:21], v[20:21], -v[210:211]
	ds_read2_b64 v[210:213], v250 offset0:50 offset1:51
	s_waitcnt lgkmcnt(0)
	v_mul_f64 v[28:29], v[212:213], v[214:215]
	v_fma_f64 v[28:29], v[210:211], v[26:27], -v[28:29]
	v_mul_f64 v[210:211], v[210:211], v[214:215]
	v_add_f64 v[14:15], v[14:15], -v[28:29]
	v_fma_f64 v[210:211], v[212:213], v[26:27], v[210:211]
	v_add_f64 v[16:17], v[16:17], -v[210:211]
	ds_read2_b64 v[210:213], v250 offset0:52 offset1:53
	s_waitcnt lgkmcnt(0)
	v_mul_f64 v[28:29], v[212:213], v[214:215]
	v_fma_f64 v[28:29], v[210:211], v[26:27], -v[28:29]
	v_mul_f64 v[210:211], v[210:211], v[214:215]
	v_add_f64 v[10:11], v[10:11], -v[28:29]
	v_fma_f64 v[210:211], v[212:213], v[26:27], v[210:211]
	v_add_f64 v[12:13], v[12:13], -v[210:211]
	ds_read2_b64 v[210:213], v250 offset0:54 offset1:55
	s_waitcnt lgkmcnt(0)
	v_mul_f64 v[28:29], v[212:213], v[214:215]
	v_fma_f64 v[28:29], v[210:211], v[26:27], -v[28:29]
	v_mul_f64 v[210:211], v[210:211], v[214:215]
	v_add_f64 v[6:7], v[6:7], -v[28:29]
	v_fma_f64 v[210:211], v[212:213], v[26:27], v[210:211]
	v_add_f64 v[8:9], v[8:9], -v[210:211]
	ds_read2_b64 v[210:213], v250 offset0:56 offset1:57
	s_waitcnt lgkmcnt(0)
	v_mul_f64 v[28:29], v[212:213], v[214:215]
	v_fma_f64 v[28:29], v[210:211], v[26:27], -v[28:29]
	v_mul_f64 v[210:211], v[210:211], v[214:215]
	v_add_f64 v[2:3], v[2:3], -v[28:29]
	v_fma_f64 v[210:211], v[212:213], v[26:27], v[210:211]
	v_mov_b32_e32 v28, v214
	v_mov_b32_e32 v29, v215
	v_add_f64 v[4:5], v[4:5], -v[210:211]
.LBB57_208:
	s_or_b32 exec_lo, exec_lo, s1
	s_mov_b32 s2, exec_lo
	s_waitcnt lgkmcnt(0)
	s_barrier
	buffer_gl0_inv
	v_cmpx_eq_u32_e32 23, v0
	s_cbranch_execz .LBB57_215
; %bb.209:
	ds_write2_b64 v1, v[22:23], v[24:25] offset1:1
	ds_write2_b64 v250, v[18:19], v[20:21] offset0:48 offset1:49
	ds_write2_b64 v250, v[14:15], v[16:17] offset0:50 offset1:51
	;; [unrolled: 1-line block ×5, first 2 shown]
	ds_read2_b64 v[210:213], v1 offset1:1
	s_waitcnt lgkmcnt(0)
	v_cmp_neq_f64_e32 vcc_lo, 0, v[210:211]
	v_cmp_neq_f64_e64 s1, 0, v[212:213]
	s_or_b32 s1, vcc_lo, s1
	s_and_b32 exec_lo, exec_lo, s1
	s_cbranch_execz .LBB57_215
; %bb.210:
	v_cmp_ngt_f64_e64 s1, |v[210:211]|, |v[212:213]|
                                        ; implicit-def: $vgpr214_vgpr215
	s_and_saveexec_b32 s3, s1
	s_xor_b32 s1, exec_lo, s3
                                        ; implicit-def: $vgpr216_vgpr217
	s_cbranch_execz .LBB57_212
; %bb.211:
	v_div_scale_f64 v[214:215], null, v[212:213], v[212:213], v[210:211]
	v_div_scale_f64 v[220:221], vcc_lo, v[210:211], v[212:213], v[210:211]
	v_rcp_f64_e32 v[216:217], v[214:215]
	v_fma_f64 v[218:219], -v[214:215], v[216:217], 1.0
	v_fma_f64 v[216:217], v[216:217], v[218:219], v[216:217]
	v_fma_f64 v[218:219], -v[214:215], v[216:217], 1.0
	v_fma_f64 v[216:217], v[216:217], v[218:219], v[216:217]
	v_mul_f64 v[218:219], v[220:221], v[216:217]
	v_fma_f64 v[214:215], -v[214:215], v[218:219], v[220:221]
	v_div_fmas_f64 v[214:215], v[214:215], v[216:217], v[218:219]
	v_div_fixup_f64 v[214:215], v[214:215], v[212:213], v[210:211]
	v_fma_f64 v[210:211], v[210:211], v[214:215], v[212:213]
	v_div_scale_f64 v[212:213], null, v[210:211], v[210:211], 1.0
	v_rcp_f64_e32 v[216:217], v[212:213]
	v_fma_f64 v[218:219], -v[212:213], v[216:217], 1.0
	v_fma_f64 v[216:217], v[216:217], v[218:219], v[216:217]
	v_fma_f64 v[218:219], -v[212:213], v[216:217], 1.0
	v_fma_f64 v[216:217], v[216:217], v[218:219], v[216:217]
	v_div_scale_f64 v[218:219], vcc_lo, 1.0, v[210:211], 1.0
	v_mul_f64 v[220:221], v[218:219], v[216:217]
	v_fma_f64 v[212:213], -v[212:213], v[220:221], v[218:219]
	v_div_fmas_f64 v[212:213], v[212:213], v[216:217], v[220:221]
	v_div_fixup_f64 v[216:217], v[212:213], v[210:211], 1.0
                                        ; implicit-def: $vgpr210_vgpr211
	v_mul_f64 v[214:215], v[214:215], v[216:217]
	v_xor_b32_e32 v217, 0x80000000, v217
.LBB57_212:
	s_andn2_saveexec_b32 s1, s1
	s_cbranch_execz .LBB57_214
; %bb.213:
	v_div_scale_f64 v[214:215], null, v[210:211], v[210:211], v[212:213]
	v_div_scale_f64 v[220:221], vcc_lo, v[212:213], v[210:211], v[212:213]
	v_rcp_f64_e32 v[216:217], v[214:215]
	v_fma_f64 v[218:219], -v[214:215], v[216:217], 1.0
	v_fma_f64 v[216:217], v[216:217], v[218:219], v[216:217]
	v_fma_f64 v[218:219], -v[214:215], v[216:217], 1.0
	v_fma_f64 v[216:217], v[216:217], v[218:219], v[216:217]
	v_mul_f64 v[218:219], v[220:221], v[216:217]
	v_fma_f64 v[214:215], -v[214:215], v[218:219], v[220:221]
	v_div_fmas_f64 v[214:215], v[214:215], v[216:217], v[218:219]
	v_div_fixup_f64 v[216:217], v[214:215], v[210:211], v[212:213]
	v_fma_f64 v[210:211], v[212:213], v[216:217], v[210:211]
	v_div_scale_f64 v[212:213], null, v[210:211], v[210:211], 1.0
	v_rcp_f64_e32 v[214:215], v[212:213]
	v_fma_f64 v[218:219], -v[212:213], v[214:215], 1.0
	v_fma_f64 v[214:215], v[214:215], v[218:219], v[214:215]
	v_fma_f64 v[218:219], -v[212:213], v[214:215], 1.0
	v_fma_f64 v[214:215], v[214:215], v[218:219], v[214:215]
	v_div_scale_f64 v[218:219], vcc_lo, 1.0, v[210:211], 1.0
	v_mul_f64 v[220:221], v[218:219], v[214:215]
	v_fma_f64 v[212:213], -v[212:213], v[220:221], v[218:219]
	v_div_fmas_f64 v[212:213], v[212:213], v[214:215], v[220:221]
	v_div_fixup_f64 v[214:215], v[212:213], v[210:211], 1.0
	v_mul_f64 v[216:217], v[216:217], -v[214:215]
.LBB57_214:
	s_or_b32 exec_lo, exec_lo, s1
	ds_write2_b64 v1, v[214:215], v[216:217] offset1:1
.LBB57_215:
	s_or_b32 exec_lo, exec_lo, s2
	s_waitcnt lgkmcnt(0)
	s_barrier
	buffer_gl0_inv
	ds_read2_b64 v[210:213], v1 offset1:1
	s_mov_b32 s1, exec_lo
	v_cmpx_lt_u32_e32 23, v0
	s_cbranch_execz .LBB57_217
; %bb.216:
	s_waitcnt lgkmcnt(0)
	v_mul_f64 v[214:215], v[210:211], v[24:25]
	v_mul_f64 v[24:25], v[212:213], v[24:25]
	v_fma_f64 v[218:219], v[212:213], v[22:23], v[214:215]
	ds_read2_b64 v[214:217], v250 offset0:48 offset1:49
	v_fma_f64 v[22:23], v[210:211], v[22:23], -v[24:25]
	s_waitcnt lgkmcnt(0)
	v_mul_f64 v[24:25], v[216:217], v[218:219]
	v_fma_f64 v[24:25], v[214:215], v[22:23], -v[24:25]
	v_mul_f64 v[214:215], v[214:215], v[218:219]
	v_add_f64 v[18:19], v[18:19], -v[24:25]
	v_fma_f64 v[214:215], v[216:217], v[22:23], v[214:215]
	v_add_f64 v[20:21], v[20:21], -v[214:215]
	ds_read2_b64 v[214:217], v250 offset0:50 offset1:51
	s_waitcnt lgkmcnt(0)
	v_mul_f64 v[24:25], v[216:217], v[218:219]
	v_fma_f64 v[24:25], v[214:215], v[22:23], -v[24:25]
	v_mul_f64 v[214:215], v[214:215], v[218:219]
	v_add_f64 v[14:15], v[14:15], -v[24:25]
	v_fma_f64 v[214:215], v[216:217], v[22:23], v[214:215]
	v_add_f64 v[16:17], v[16:17], -v[214:215]
	ds_read2_b64 v[214:217], v250 offset0:52 offset1:53
	;; [unrolled: 8-line block ×4, first 2 shown]
	s_waitcnt lgkmcnt(0)
	v_mul_f64 v[24:25], v[216:217], v[218:219]
	v_fma_f64 v[24:25], v[214:215], v[22:23], -v[24:25]
	v_mul_f64 v[214:215], v[214:215], v[218:219]
	v_add_f64 v[2:3], v[2:3], -v[24:25]
	v_fma_f64 v[214:215], v[216:217], v[22:23], v[214:215]
	v_mov_b32_e32 v24, v218
	v_mov_b32_e32 v25, v219
	v_add_f64 v[4:5], v[4:5], -v[214:215]
.LBB57_217:
	s_or_b32 exec_lo, exec_lo, s1
	s_mov_b32 s2, exec_lo
	s_waitcnt lgkmcnt(0)
	s_barrier
	buffer_gl0_inv
	v_cmpx_eq_u32_e32 24, v0
	s_cbranch_execz .LBB57_224
; %bb.218:
	ds_write2_b64 v1, v[18:19], v[20:21] offset1:1
	ds_write2_b64 v250, v[14:15], v[16:17] offset0:50 offset1:51
	ds_write2_b64 v250, v[10:11], v[12:13] offset0:52 offset1:53
	ds_write2_b64 v250, v[6:7], v[8:9] offset0:54 offset1:55
	ds_write2_b64 v250, v[2:3], v[4:5] offset0:56 offset1:57
	ds_read2_b64 v[214:217], v1 offset1:1
	s_waitcnt lgkmcnt(0)
	v_cmp_neq_f64_e32 vcc_lo, 0, v[214:215]
	v_cmp_neq_f64_e64 s1, 0, v[216:217]
	s_or_b32 s1, vcc_lo, s1
	s_and_b32 exec_lo, exec_lo, s1
	s_cbranch_execz .LBB57_224
; %bb.219:
	v_cmp_ngt_f64_e64 s1, |v[214:215]|, |v[216:217]|
                                        ; implicit-def: $vgpr218_vgpr219
	s_and_saveexec_b32 s3, s1
	s_xor_b32 s1, exec_lo, s3
                                        ; implicit-def: $vgpr220_vgpr221
	s_cbranch_execz .LBB57_221
; %bb.220:
	v_div_scale_f64 v[218:219], null, v[216:217], v[216:217], v[214:215]
	v_div_scale_f64 v[224:225], vcc_lo, v[214:215], v[216:217], v[214:215]
	v_rcp_f64_e32 v[220:221], v[218:219]
	v_fma_f64 v[222:223], -v[218:219], v[220:221], 1.0
	v_fma_f64 v[220:221], v[220:221], v[222:223], v[220:221]
	v_fma_f64 v[222:223], -v[218:219], v[220:221], 1.0
	v_fma_f64 v[220:221], v[220:221], v[222:223], v[220:221]
	v_mul_f64 v[222:223], v[224:225], v[220:221]
	v_fma_f64 v[218:219], -v[218:219], v[222:223], v[224:225]
	v_div_fmas_f64 v[218:219], v[218:219], v[220:221], v[222:223]
	v_div_fixup_f64 v[218:219], v[218:219], v[216:217], v[214:215]
	v_fma_f64 v[214:215], v[214:215], v[218:219], v[216:217]
	v_div_scale_f64 v[216:217], null, v[214:215], v[214:215], 1.0
	v_rcp_f64_e32 v[220:221], v[216:217]
	v_fma_f64 v[222:223], -v[216:217], v[220:221], 1.0
	v_fma_f64 v[220:221], v[220:221], v[222:223], v[220:221]
	v_fma_f64 v[222:223], -v[216:217], v[220:221], 1.0
	v_fma_f64 v[220:221], v[220:221], v[222:223], v[220:221]
	v_div_scale_f64 v[222:223], vcc_lo, 1.0, v[214:215], 1.0
	v_mul_f64 v[224:225], v[222:223], v[220:221]
	v_fma_f64 v[216:217], -v[216:217], v[224:225], v[222:223]
	v_div_fmas_f64 v[216:217], v[216:217], v[220:221], v[224:225]
	v_div_fixup_f64 v[220:221], v[216:217], v[214:215], 1.0
                                        ; implicit-def: $vgpr214_vgpr215
	v_mul_f64 v[218:219], v[218:219], v[220:221]
	v_xor_b32_e32 v221, 0x80000000, v221
.LBB57_221:
	s_andn2_saveexec_b32 s1, s1
	s_cbranch_execz .LBB57_223
; %bb.222:
	v_div_scale_f64 v[218:219], null, v[214:215], v[214:215], v[216:217]
	v_div_scale_f64 v[224:225], vcc_lo, v[216:217], v[214:215], v[216:217]
	v_rcp_f64_e32 v[220:221], v[218:219]
	v_fma_f64 v[222:223], -v[218:219], v[220:221], 1.0
	v_fma_f64 v[220:221], v[220:221], v[222:223], v[220:221]
	v_fma_f64 v[222:223], -v[218:219], v[220:221], 1.0
	v_fma_f64 v[220:221], v[220:221], v[222:223], v[220:221]
	v_mul_f64 v[222:223], v[224:225], v[220:221]
	v_fma_f64 v[218:219], -v[218:219], v[222:223], v[224:225]
	v_div_fmas_f64 v[218:219], v[218:219], v[220:221], v[222:223]
	v_div_fixup_f64 v[220:221], v[218:219], v[214:215], v[216:217]
	v_fma_f64 v[214:215], v[216:217], v[220:221], v[214:215]
	v_div_scale_f64 v[216:217], null, v[214:215], v[214:215], 1.0
	v_rcp_f64_e32 v[218:219], v[216:217]
	v_fma_f64 v[222:223], -v[216:217], v[218:219], 1.0
	v_fma_f64 v[218:219], v[218:219], v[222:223], v[218:219]
	v_fma_f64 v[222:223], -v[216:217], v[218:219], 1.0
	v_fma_f64 v[218:219], v[218:219], v[222:223], v[218:219]
	v_div_scale_f64 v[222:223], vcc_lo, 1.0, v[214:215], 1.0
	v_mul_f64 v[224:225], v[222:223], v[218:219]
	v_fma_f64 v[216:217], -v[216:217], v[224:225], v[222:223]
	v_div_fmas_f64 v[216:217], v[216:217], v[218:219], v[224:225]
	v_div_fixup_f64 v[218:219], v[216:217], v[214:215], 1.0
	v_mul_f64 v[220:221], v[220:221], -v[218:219]
.LBB57_223:
	s_or_b32 exec_lo, exec_lo, s1
	ds_write2_b64 v1, v[218:219], v[220:221] offset1:1
.LBB57_224:
	s_or_b32 exec_lo, exec_lo, s2
	s_waitcnt lgkmcnt(0)
	s_barrier
	buffer_gl0_inv
	ds_read2_b64 v[214:217], v1 offset1:1
	s_mov_b32 s1, exec_lo
	v_cmpx_lt_u32_e32 24, v0
	s_cbranch_execz .LBB57_226
; %bb.225:
	s_waitcnt lgkmcnt(0)
	v_mul_f64 v[218:219], v[214:215], v[20:21]
	v_mul_f64 v[20:21], v[216:217], v[20:21]
	v_fma_f64 v[222:223], v[216:217], v[18:19], v[218:219]
	ds_read2_b64 v[218:221], v250 offset0:50 offset1:51
	v_fma_f64 v[18:19], v[214:215], v[18:19], -v[20:21]
	s_waitcnt lgkmcnt(0)
	v_mul_f64 v[20:21], v[220:221], v[222:223]
	v_fma_f64 v[20:21], v[218:219], v[18:19], -v[20:21]
	v_mul_f64 v[218:219], v[218:219], v[222:223]
	v_add_f64 v[14:15], v[14:15], -v[20:21]
	v_fma_f64 v[218:219], v[220:221], v[18:19], v[218:219]
	v_add_f64 v[16:17], v[16:17], -v[218:219]
	ds_read2_b64 v[218:221], v250 offset0:52 offset1:53
	s_waitcnt lgkmcnt(0)
	v_mul_f64 v[20:21], v[220:221], v[222:223]
	v_fma_f64 v[20:21], v[218:219], v[18:19], -v[20:21]
	v_mul_f64 v[218:219], v[218:219], v[222:223]
	v_add_f64 v[10:11], v[10:11], -v[20:21]
	v_fma_f64 v[218:219], v[220:221], v[18:19], v[218:219]
	v_add_f64 v[12:13], v[12:13], -v[218:219]
	ds_read2_b64 v[218:221], v250 offset0:54 offset1:55
	;; [unrolled: 8-line block ×3, first 2 shown]
	s_waitcnt lgkmcnt(0)
	v_mul_f64 v[20:21], v[220:221], v[222:223]
	v_fma_f64 v[20:21], v[218:219], v[18:19], -v[20:21]
	v_mul_f64 v[218:219], v[218:219], v[222:223]
	v_add_f64 v[2:3], v[2:3], -v[20:21]
	v_fma_f64 v[218:219], v[220:221], v[18:19], v[218:219]
	v_mov_b32_e32 v20, v222
	v_mov_b32_e32 v21, v223
	v_add_f64 v[4:5], v[4:5], -v[218:219]
.LBB57_226:
	s_or_b32 exec_lo, exec_lo, s1
	s_mov_b32 s2, exec_lo
	s_waitcnt lgkmcnt(0)
	s_barrier
	buffer_gl0_inv
	v_cmpx_eq_u32_e32 25, v0
	s_cbranch_execz .LBB57_233
; %bb.227:
	ds_write2_b64 v1, v[14:15], v[16:17] offset1:1
	ds_write2_b64 v250, v[10:11], v[12:13] offset0:52 offset1:53
	ds_write2_b64 v250, v[6:7], v[8:9] offset0:54 offset1:55
	;; [unrolled: 1-line block ×3, first 2 shown]
	ds_read2_b64 v[218:221], v1 offset1:1
	s_waitcnt lgkmcnt(0)
	v_cmp_neq_f64_e32 vcc_lo, 0, v[218:219]
	v_cmp_neq_f64_e64 s1, 0, v[220:221]
	s_or_b32 s1, vcc_lo, s1
	s_and_b32 exec_lo, exec_lo, s1
	s_cbranch_execz .LBB57_233
; %bb.228:
	v_cmp_ngt_f64_e64 s1, |v[218:219]|, |v[220:221]|
                                        ; implicit-def: $vgpr222_vgpr223
	s_and_saveexec_b32 s3, s1
	s_xor_b32 s1, exec_lo, s3
                                        ; implicit-def: $vgpr224_vgpr225
	s_cbranch_execz .LBB57_230
; %bb.229:
	v_div_scale_f64 v[222:223], null, v[220:221], v[220:221], v[218:219]
	v_div_scale_f64 v[228:229], vcc_lo, v[218:219], v[220:221], v[218:219]
	v_rcp_f64_e32 v[224:225], v[222:223]
	v_fma_f64 v[226:227], -v[222:223], v[224:225], 1.0
	v_fma_f64 v[224:225], v[224:225], v[226:227], v[224:225]
	v_fma_f64 v[226:227], -v[222:223], v[224:225], 1.0
	v_fma_f64 v[224:225], v[224:225], v[226:227], v[224:225]
	v_mul_f64 v[226:227], v[228:229], v[224:225]
	v_fma_f64 v[222:223], -v[222:223], v[226:227], v[228:229]
	v_div_fmas_f64 v[222:223], v[222:223], v[224:225], v[226:227]
	v_div_fixup_f64 v[222:223], v[222:223], v[220:221], v[218:219]
	v_fma_f64 v[218:219], v[218:219], v[222:223], v[220:221]
	v_div_scale_f64 v[220:221], null, v[218:219], v[218:219], 1.0
	v_rcp_f64_e32 v[224:225], v[220:221]
	v_fma_f64 v[226:227], -v[220:221], v[224:225], 1.0
	v_fma_f64 v[224:225], v[224:225], v[226:227], v[224:225]
	v_fma_f64 v[226:227], -v[220:221], v[224:225], 1.0
	v_fma_f64 v[224:225], v[224:225], v[226:227], v[224:225]
	v_div_scale_f64 v[226:227], vcc_lo, 1.0, v[218:219], 1.0
	v_mul_f64 v[228:229], v[226:227], v[224:225]
	v_fma_f64 v[220:221], -v[220:221], v[228:229], v[226:227]
	v_div_fmas_f64 v[220:221], v[220:221], v[224:225], v[228:229]
	v_div_fixup_f64 v[224:225], v[220:221], v[218:219], 1.0
                                        ; implicit-def: $vgpr218_vgpr219
	v_mul_f64 v[222:223], v[222:223], v[224:225]
	v_xor_b32_e32 v225, 0x80000000, v225
.LBB57_230:
	s_andn2_saveexec_b32 s1, s1
	s_cbranch_execz .LBB57_232
; %bb.231:
	v_div_scale_f64 v[222:223], null, v[218:219], v[218:219], v[220:221]
	v_div_scale_f64 v[228:229], vcc_lo, v[220:221], v[218:219], v[220:221]
	v_rcp_f64_e32 v[224:225], v[222:223]
	v_fma_f64 v[226:227], -v[222:223], v[224:225], 1.0
	v_fma_f64 v[224:225], v[224:225], v[226:227], v[224:225]
	v_fma_f64 v[226:227], -v[222:223], v[224:225], 1.0
	v_fma_f64 v[224:225], v[224:225], v[226:227], v[224:225]
	v_mul_f64 v[226:227], v[228:229], v[224:225]
	v_fma_f64 v[222:223], -v[222:223], v[226:227], v[228:229]
	v_div_fmas_f64 v[222:223], v[222:223], v[224:225], v[226:227]
	v_div_fixup_f64 v[224:225], v[222:223], v[218:219], v[220:221]
	v_fma_f64 v[218:219], v[220:221], v[224:225], v[218:219]
	v_div_scale_f64 v[220:221], null, v[218:219], v[218:219], 1.0
	v_rcp_f64_e32 v[222:223], v[220:221]
	v_fma_f64 v[226:227], -v[220:221], v[222:223], 1.0
	v_fma_f64 v[222:223], v[222:223], v[226:227], v[222:223]
	v_fma_f64 v[226:227], -v[220:221], v[222:223], 1.0
	v_fma_f64 v[222:223], v[222:223], v[226:227], v[222:223]
	v_div_scale_f64 v[226:227], vcc_lo, 1.0, v[218:219], 1.0
	v_mul_f64 v[228:229], v[226:227], v[222:223]
	v_fma_f64 v[220:221], -v[220:221], v[228:229], v[226:227]
	v_div_fmas_f64 v[220:221], v[220:221], v[222:223], v[228:229]
	v_div_fixup_f64 v[222:223], v[220:221], v[218:219], 1.0
	v_mul_f64 v[224:225], v[224:225], -v[222:223]
.LBB57_232:
	s_or_b32 exec_lo, exec_lo, s1
	ds_write2_b64 v1, v[222:223], v[224:225] offset1:1
.LBB57_233:
	s_or_b32 exec_lo, exec_lo, s2
	s_waitcnt lgkmcnt(0)
	s_barrier
	buffer_gl0_inv
	ds_read2_b64 v[218:221], v1 offset1:1
	s_mov_b32 s1, exec_lo
	v_cmpx_lt_u32_e32 25, v0
	s_cbranch_execz .LBB57_235
; %bb.234:
	s_waitcnt lgkmcnt(0)
	v_mul_f64 v[222:223], v[218:219], v[16:17]
	v_mul_f64 v[16:17], v[220:221], v[16:17]
	v_fma_f64 v[226:227], v[220:221], v[14:15], v[222:223]
	ds_read2_b64 v[222:225], v250 offset0:52 offset1:53
	v_fma_f64 v[14:15], v[218:219], v[14:15], -v[16:17]
	s_waitcnt lgkmcnt(0)
	v_mul_f64 v[16:17], v[224:225], v[226:227]
	v_fma_f64 v[16:17], v[222:223], v[14:15], -v[16:17]
	v_mul_f64 v[222:223], v[222:223], v[226:227]
	v_add_f64 v[10:11], v[10:11], -v[16:17]
	v_fma_f64 v[222:223], v[224:225], v[14:15], v[222:223]
	v_add_f64 v[12:13], v[12:13], -v[222:223]
	ds_read2_b64 v[222:225], v250 offset0:54 offset1:55
	s_waitcnt lgkmcnt(0)
	v_mul_f64 v[16:17], v[224:225], v[226:227]
	v_fma_f64 v[16:17], v[222:223], v[14:15], -v[16:17]
	v_mul_f64 v[222:223], v[222:223], v[226:227]
	v_add_f64 v[6:7], v[6:7], -v[16:17]
	v_fma_f64 v[222:223], v[224:225], v[14:15], v[222:223]
	v_add_f64 v[8:9], v[8:9], -v[222:223]
	ds_read2_b64 v[222:225], v250 offset0:56 offset1:57
	s_waitcnt lgkmcnt(0)
	v_mul_f64 v[16:17], v[224:225], v[226:227]
	v_fma_f64 v[16:17], v[222:223], v[14:15], -v[16:17]
	v_mul_f64 v[222:223], v[222:223], v[226:227]
	v_add_f64 v[2:3], v[2:3], -v[16:17]
	v_fma_f64 v[222:223], v[224:225], v[14:15], v[222:223]
	v_mov_b32_e32 v16, v226
	v_mov_b32_e32 v17, v227
	v_add_f64 v[4:5], v[4:5], -v[222:223]
.LBB57_235:
	s_or_b32 exec_lo, exec_lo, s1
	s_mov_b32 s2, exec_lo
	s_waitcnt lgkmcnt(0)
	s_barrier
	buffer_gl0_inv
	v_cmpx_eq_u32_e32 26, v0
	s_cbranch_execz .LBB57_242
; %bb.236:
	ds_write2_b64 v1, v[10:11], v[12:13] offset1:1
	ds_write2_b64 v250, v[6:7], v[8:9] offset0:54 offset1:55
	ds_write2_b64 v250, v[2:3], v[4:5] offset0:56 offset1:57
	ds_read2_b64 v[222:225], v1 offset1:1
	s_waitcnt lgkmcnt(0)
	v_cmp_neq_f64_e32 vcc_lo, 0, v[222:223]
	v_cmp_neq_f64_e64 s1, 0, v[224:225]
	s_or_b32 s1, vcc_lo, s1
	s_and_b32 exec_lo, exec_lo, s1
	s_cbranch_execz .LBB57_242
; %bb.237:
	v_cmp_ngt_f64_e64 s1, |v[222:223]|, |v[224:225]|
                                        ; implicit-def: $vgpr226_vgpr227
	s_and_saveexec_b32 s3, s1
	s_xor_b32 s1, exec_lo, s3
                                        ; implicit-def: $vgpr228_vgpr229
	s_cbranch_execz .LBB57_239
; %bb.238:
	v_div_scale_f64 v[226:227], null, v[224:225], v[224:225], v[222:223]
	v_div_scale_f64 v[232:233], vcc_lo, v[222:223], v[224:225], v[222:223]
	v_rcp_f64_e32 v[228:229], v[226:227]
	v_fma_f64 v[230:231], -v[226:227], v[228:229], 1.0
	v_fma_f64 v[228:229], v[228:229], v[230:231], v[228:229]
	v_fma_f64 v[230:231], -v[226:227], v[228:229], 1.0
	v_fma_f64 v[228:229], v[228:229], v[230:231], v[228:229]
	v_mul_f64 v[230:231], v[232:233], v[228:229]
	v_fma_f64 v[226:227], -v[226:227], v[230:231], v[232:233]
	v_div_fmas_f64 v[226:227], v[226:227], v[228:229], v[230:231]
	v_div_fixup_f64 v[226:227], v[226:227], v[224:225], v[222:223]
	v_fma_f64 v[222:223], v[222:223], v[226:227], v[224:225]
	v_div_scale_f64 v[224:225], null, v[222:223], v[222:223], 1.0
	v_rcp_f64_e32 v[228:229], v[224:225]
	v_fma_f64 v[230:231], -v[224:225], v[228:229], 1.0
	v_fma_f64 v[228:229], v[228:229], v[230:231], v[228:229]
	v_fma_f64 v[230:231], -v[224:225], v[228:229], 1.0
	v_fma_f64 v[228:229], v[228:229], v[230:231], v[228:229]
	v_div_scale_f64 v[230:231], vcc_lo, 1.0, v[222:223], 1.0
	v_mul_f64 v[232:233], v[230:231], v[228:229]
	v_fma_f64 v[224:225], -v[224:225], v[232:233], v[230:231]
	v_div_fmas_f64 v[224:225], v[224:225], v[228:229], v[232:233]
	v_div_fixup_f64 v[228:229], v[224:225], v[222:223], 1.0
                                        ; implicit-def: $vgpr222_vgpr223
	v_mul_f64 v[226:227], v[226:227], v[228:229]
	v_xor_b32_e32 v229, 0x80000000, v229
.LBB57_239:
	s_andn2_saveexec_b32 s1, s1
	s_cbranch_execz .LBB57_241
; %bb.240:
	v_div_scale_f64 v[226:227], null, v[222:223], v[222:223], v[224:225]
	v_div_scale_f64 v[232:233], vcc_lo, v[224:225], v[222:223], v[224:225]
	v_rcp_f64_e32 v[228:229], v[226:227]
	v_fma_f64 v[230:231], -v[226:227], v[228:229], 1.0
	v_fma_f64 v[228:229], v[228:229], v[230:231], v[228:229]
	v_fma_f64 v[230:231], -v[226:227], v[228:229], 1.0
	v_fma_f64 v[228:229], v[228:229], v[230:231], v[228:229]
	v_mul_f64 v[230:231], v[232:233], v[228:229]
	v_fma_f64 v[226:227], -v[226:227], v[230:231], v[232:233]
	v_div_fmas_f64 v[226:227], v[226:227], v[228:229], v[230:231]
	v_div_fixup_f64 v[228:229], v[226:227], v[222:223], v[224:225]
	v_fma_f64 v[222:223], v[224:225], v[228:229], v[222:223]
	v_div_scale_f64 v[224:225], null, v[222:223], v[222:223], 1.0
	v_rcp_f64_e32 v[226:227], v[224:225]
	v_fma_f64 v[230:231], -v[224:225], v[226:227], 1.0
	v_fma_f64 v[226:227], v[226:227], v[230:231], v[226:227]
	v_fma_f64 v[230:231], -v[224:225], v[226:227], 1.0
	v_fma_f64 v[226:227], v[226:227], v[230:231], v[226:227]
	v_div_scale_f64 v[230:231], vcc_lo, 1.0, v[222:223], 1.0
	v_mul_f64 v[232:233], v[230:231], v[226:227]
	v_fma_f64 v[224:225], -v[224:225], v[232:233], v[230:231]
	v_div_fmas_f64 v[224:225], v[224:225], v[226:227], v[232:233]
	v_div_fixup_f64 v[226:227], v[224:225], v[222:223], 1.0
	v_mul_f64 v[228:229], v[228:229], -v[226:227]
.LBB57_241:
	s_or_b32 exec_lo, exec_lo, s1
	ds_write2_b64 v1, v[226:227], v[228:229] offset1:1
.LBB57_242:
	s_or_b32 exec_lo, exec_lo, s2
	s_waitcnt lgkmcnt(0)
	s_barrier
	buffer_gl0_inv
	ds_read2_b64 v[222:225], v1 offset1:1
	s_mov_b32 s1, exec_lo
	v_cmpx_lt_u32_e32 26, v0
	s_cbranch_execz .LBB57_244
; %bb.243:
	s_waitcnt lgkmcnt(0)
	v_mul_f64 v[226:227], v[222:223], v[12:13]
	v_mul_f64 v[12:13], v[224:225], v[12:13]
	v_fma_f64 v[230:231], v[224:225], v[10:11], v[226:227]
	ds_read2_b64 v[226:229], v250 offset0:54 offset1:55
	v_fma_f64 v[10:11], v[222:223], v[10:11], -v[12:13]
	s_waitcnt lgkmcnt(0)
	v_mul_f64 v[12:13], v[228:229], v[230:231]
	v_fma_f64 v[12:13], v[226:227], v[10:11], -v[12:13]
	v_mul_f64 v[226:227], v[226:227], v[230:231]
	v_add_f64 v[6:7], v[6:7], -v[12:13]
	v_fma_f64 v[226:227], v[228:229], v[10:11], v[226:227]
	v_add_f64 v[8:9], v[8:9], -v[226:227]
	ds_read2_b64 v[226:229], v250 offset0:56 offset1:57
	s_waitcnt lgkmcnt(0)
	v_mul_f64 v[12:13], v[228:229], v[230:231]
	v_fma_f64 v[12:13], v[226:227], v[10:11], -v[12:13]
	v_mul_f64 v[226:227], v[226:227], v[230:231]
	v_add_f64 v[2:3], v[2:3], -v[12:13]
	v_fma_f64 v[226:227], v[228:229], v[10:11], v[226:227]
	v_mov_b32_e32 v12, v230
	v_mov_b32_e32 v13, v231
	v_add_f64 v[4:5], v[4:5], -v[226:227]
.LBB57_244:
	s_or_b32 exec_lo, exec_lo, s1
	s_mov_b32 s2, exec_lo
	s_waitcnt lgkmcnt(0)
	s_barrier
	buffer_gl0_inv
	v_cmpx_eq_u32_e32 27, v0
	s_cbranch_execz .LBB57_251
; %bb.245:
	ds_write2_b64 v1, v[6:7], v[8:9] offset1:1
	ds_write2_b64 v250, v[2:3], v[4:5] offset0:56 offset1:57
	ds_read2_b64 v[226:229], v1 offset1:1
	s_waitcnt lgkmcnt(0)
	v_cmp_neq_f64_e32 vcc_lo, 0, v[226:227]
	v_cmp_neq_f64_e64 s1, 0, v[228:229]
	s_or_b32 s1, vcc_lo, s1
	s_and_b32 exec_lo, exec_lo, s1
	s_cbranch_execz .LBB57_251
; %bb.246:
	v_cmp_ngt_f64_e64 s1, |v[226:227]|, |v[228:229]|
                                        ; implicit-def: $vgpr230_vgpr231
	s_and_saveexec_b32 s3, s1
	s_xor_b32 s1, exec_lo, s3
                                        ; implicit-def: $vgpr232_vgpr233
	s_cbranch_execz .LBB57_248
; %bb.247:
	v_div_scale_f64 v[230:231], null, v[228:229], v[228:229], v[226:227]
	v_rcp_f64_e32 v[232:233], v[230:231]
	v_fma_f64 v[118:119], -v[230:231], v[232:233], 1.0
	v_fma_f64 v[118:119], v[232:233], v[118:119], v[232:233]
	v_div_scale_f64 v[232:233], vcc_lo, v[226:227], v[228:229], v[226:227]
	v_fma_f64 v[120:121], -v[230:231], v[118:119], 1.0
	v_fma_f64 v[118:119], v[118:119], v[120:121], v[118:119]
	v_mul_f64 v[120:121], v[232:233], v[118:119]
	v_fma_f64 v[230:231], -v[230:231], v[120:121], v[232:233]
	v_div_fmas_f64 v[118:119], v[230:231], v[118:119], v[120:121]
	v_div_fixup_f64 v[118:119], v[118:119], v[228:229], v[226:227]
	v_fma_f64 v[120:121], v[226:227], v[118:119], v[228:229]
	v_div_scale_f64 v[226:227], null, v[120:121], v[120:121], 1.0
	v_rcp_f64_e32 v[228:229], v[226:227]
	v_fma_f64 v[230:231], -v[226:227], v[228:229], 1.0
	v_fma_f64 v[228:229], v[228:229], v[230:231], v[228:229]
	v_fma_f64 v[230:231], -v[226:227], v[228:229], 1.0
	v_fma_f64 v[228:229], v[228:229], v[230:231], v[228:229]
	v_div_scale_f64 v[230:231], vcc_lo, 1.0, v[120:121], 1.0
	v_mul_f64 v[232:233], v[230:231], v[228:229]
	v_fma_f64 v[226:227], -v[226:227], v[232:233], v[230:231]
	v_div_fmas_f64 v[226:227], v[226:227], v[228:229], v[232:233]
	v_div_fixup_f64 v[232:233], v[226:227], v[120:121], 1.0
                                        ; implicit-def: $vgpr226_vgpr227
	v_mul_f64 v[230:231], v[118:119], v[232:233]
	v_xor_b32_e32 v233, 0x80000000, v233
.LBB57_248:
	s_andn2_saveexec_b32 s1, s1
	s_cbranch_execz .LBB57_250
; %bb.249:
	v_div_scale_f64 v[118:119], null, v[226:227], v[226:227], v[228:229]
	v_div_scale_f64 v[232:233], vcc_lo, v[228:229], v[226:227], v[228:229]
	v_rcp_f64_e32 v[120:121], v[118:119]
	v_fma_f64 v[230:231], -v[118:119], v[120:121], 1.0
	v_fma_f64 v[120:121], v[120:121], v[230:231], v[120:121]
	v_fma_f64 v[230:231], -v[118:119], v[120:121], 1.0
	v_fma_f64 v[120:121], v[120:121], v[230:231], v[120:121]
	v_mul_f64 v[230:231], v[232:233], v[120:121]
	v_fma_f64 v[118:119], -v[118:119], v[230:231], v[232:233]
	v_div_fmas_f64 v[118:119], v[118:119], v[120:121], v[230:231]
	v_div_fixup_f64 v[118:119], v[118:119], v[226:227], v[228:229]
	v_fma_f64 v[120:121], v[228:229], v[118:119], v[226:227]
	v_div_scale_f64 v[226:227], null, v[120:121], v[120:121], 1.0
	v_rcp_f64_e32 v[228:229], v[226:227]
	v_fma_f64 v[230:231], -v[226:227], v[228:229], 1.0
	v_fma_f64 v[228:229], v[228:229], v[230:231], v[228:229]
	v_fma_f64 v[230:231], -v[226:227], v[228:229], 1.0
	v_fma_f64 v[228:229], v[228:229], v[230:231], v[228:229]
	v_div_scale_f64 v[230:231], vcc_lo, 1.0, v[120:121], 1.0
	v_mul_f64 v[232:233], v[230:231], v[228:229]
	v_fma_f64 v[226:227], -v[226:227], v[232:233], v[230:231]
	v_div_fmas_f64 v[226:227], v[226:227], v[228:229], v[232:233]
	v_div_fixup_f64 v[230:231], v[226:227], v[120:121], 1.0
	v_mul_f64 v[232:233], v[118:119], -v[230:231]
.LBB57_250:
	s_or_b32 exec_lo, exec_lo, s1
	ds_write2_b64 v1, v[230:231], v[232:233] offset1:1
.LBB57_251:
	s_or_b32 exec_lo, exec_lo, s2
	s_waitcnt lgkmcnt(0)
	s_barrier
	buffer_gl0_inv
	ds_read2_b64 v[226:229], v1 offset1:1
	s_mov_b32 s1, exec_lo
	v_cmpx_lt_u32_e32 27, v0
	s_cbranch_execz .LBB57_253
; %bb.252:
	s_waitcnt lgkmcnt(0)
	v_mul_f64 v[118:119], v[226:227], v[8:9]
	v_mul_f64 v[8:9], v[228:229], v[8:9]
	ds_read2_b64 v[230:233], v250 offset0:56 offset1:57
	v_fma_f64 v[118:119], v[228:229], v[6:7], v[118:119]
	v_fma_f64 v[6:7], v[226:227], v[6:7], -v[8:9]
	s_waitcnt lgkmcnt(0)
	v_mul_f64 v[8:9], v[232:233], v[118:119]
	v_mul_f64 v[120:121], v[230:231], v[118:119]
	v_fma_f64 v[8:9], v[230:231], v[6:7], -v[8:9]
	v_fma_f64 v[120:121], v[232:233], v[6:7], v[120:121]
	v_add_f64 v[2:3], v[2:3], -v[8:9]
	v_add_f64 v[4:5], v[4:5], -v[120:121]
	v_mov_b32_e32 v8, v118
	v_mov_b32_e32 v9, v119
.LBB57_253:
	s_or_b32 exec_lo, exec_lo, s1
	s_mov_b32 s2, exec_lo
	s_waitcnt lgkmcnt(0)
	s_barrier
	buffer_gl0_inv
	v_cmpx_eq_u32_e32 28, v0
	s_cbranch_execz .LBB57_260
; %bb.254:
	v_cmp_neq_f64_e32 vcc_lo, 0, v[2:3]
	v_cmp_neq_f64_e64 s1, 0, v[4:5]
	ds_write2_b64 v1, v[2:3], v[4:5] offset1:1
	s_or_b32 s1, vcc_lo, s1
	s_and_b32 exec_lo, exec_lo, s1
	s_cbranch_execz .LBB57_260
; %bb.255:
	v_cmp_ngt_f64_e64 s1, |v[2:3]|, |v[4:5]|
                                        ; implicit-def: $vgpr230_vgpr231
	s_and_saveexec_b32 s3, s1
	s_xor_b32 s1, exec_lo, s3
                                        ; implicit-def: $vgpr232_vgpr233
	s_cbranch_execz .LBB57_257
; %bb.256:
	v_div_scale_f64 v[118:119], null, v[4:5], v[4:5], v[2:3]
	v_div_scale_f64 v[232:233], vcc_lo, v[2:3], v[4:5], v[2:3]
	v_mov_b32_e32 v249, v161
	v_mov_b32_e32 v248, v160
	;; [unrolled: 1-line block ×18, first 2 shown]
	v_rcp_f64_e32 v[120:121], v[118:119]
	v_mov_b32_e32 v147, v143
	v_mov_b32_e32 v146, v142
	;; [unrolled: 1-line block ×23, first 2 shown]
	v_fma_f64 v[230:231], -v[118:119], v[120:121], 1.0
	v_mov_b32_e32 v241, v255
	v_mov_b32_e32 v255, v129
	;; [unrolled: 1-line block ×9, first 2 shown]
	v_fma_f64 v[120:121], v[120:121], v[230:231], v[120:121]
	v_fma_f64 v[230:231], -v[118:119], v[120:121], 1.0
	v_fma_f64 v[120:121], v[120:121], v[230:231], v[120:121]
	v_mul_f64 v[230:231], v[232:233], v[120:121]
	v_fma_f64 v[118:119], -v[118:119], v[230:231], v[232:233]
	v_div_fmas_f64 v[118:119], v[118:119], v[120:121], v[230:231]
	v_div_fixup_f64 v[118:119], v[118:119], v[4:5], v[2:3]
	v_fma_f64 v[120:121], v[2:3], v[118:119], v[4:5]
	v_div_scale_f64 v[230:231], null, v[120:121], v[120:121], 1.0
	v_rcp_f64_e32 v[232:233], v[230:231]
	v_fma_f64 v[250:251], -v[230:231], v[232:233], 1.0
	v_fma_f64 v[232:233], v[232:233], v[250:251], v[232:233]
	v_fma_f64 v[250:251], -v[230:231], v[232:233], 1.0
	v_fma_f64 v[232:233], v[232:233], v[250:251], v[232:233]
	v_div_scale_f64 v[250:251], vcc_lo, 1.0, v[120:121], 1.0
	v_mul_f64 v[122:123], v[250:251], v[232:233]
	v_fma_f64 v[124:125], -v[230:231], v[122:123], v[250:251]
	v_div_fmas_f64 v[122:123], v[124:125], v[232:233], v[122:123]
	v_div_fixup_f64 v[232:233], v[122:123], v[120:121], 1.0
	v_mov_b32_e32 v122, v126
	v_mov_b32_e32 v123, v127
	;; [unrolled: 1-line block ×21, first 2 shown]
	v_mul_f64 v[230:231], v[118:119], v[232:233]
	v_mov_b32_e32 v133, v137
	v_mov_b32_e32 v134, v138
	;; [unrolled: 1-line block ×29, first 2 shown]
	v_xor_b32_e32 v233, 0x80000000, v233
.LBB57_257:
	s_andn2_saveexec_b32 s1, s1
	s_cbranch_execz .LBB57_259
; %bb.258:
	v_div_scale_f64 v[118:119], null, v[2:3], v[2:3], v[4:5]
	v_mov_b32_e32 v247, v235
	v_mov_b32_e32 v246, v234
	v_mov_b32_e32 v237, v133
	v_mov_b32_e32 v236, v132
	v_mov_b32_e32 v235, v131
	v_mov_b32_e32 v234, v130
	v_mov_b32_e32 v130, v251
	v_mov_b32_e32 v131, v252
	v_mov_b32_e32 v253, v129
	v_mov_b32_e32 v252, v128
	v_mov_b32_e32 v251, v127
	v_mov_b32_e32 v250, v126
	v_mov_b32_e32 v129, v125
	v_mov_b32_e32 v128, v124
	v_mov_b32_e32 v127, v123
	v_mov_b32_e32 v126, v122
	v_div_scale_f64 v[124:125], vcc_lo, v[4:5], v[2:3], v[4:5]
	v_rcp_f64_e32 v[120:121], v[118:119]
	v_fma_f64 v[122:123], -v[118:119], v[120:121], 1.0
	v_fma_f64 v[120:121], v[120:121], v[122:123], v[120:121]
	v_fma_f64 v[122:123], -v[118:119], v[120:121], 1.0
	v_fma_f64 v[120:121], v[120:121], v[122:123], v[120:121]
	v_mul_f64 v[122:123], v[124:125], v[120:121]
	v_fma_f64 v[118:119], -v[118:119], v[122:123], v[124:125]
	v_div_fmas_f64 v[118:119], v[118:119], v[120:121], v[122:123]
	v_div_fixup_f64 v[118:119], v[118:119], v[2:3], v[4:5]
	v_fma_f64 v[120:121], v[4:5], v[118:119], v[2:3]
	v_div_scale_f64 v[122:123], null, v[120:121], v[120:121], 1.0
	v_rcp_f64_e32 v[124:125], v[122:123]
	v_fma_f64 v[230:231], -v[122:123], v[124:125], 1.0
	v_fma_f64 v[124:125], v[124:125], v[230:231], v[124:125]
	v_fma_f64 v[230:231], -v[122:123], v[124:125], 1.0
	v_fma_f64 v[124:125], v[124:125], v[230:231], v[124:125]
	v_div_scale_f64 v[230:231], vcc_lo, 1.0, v[120:121], 1.0
	v_mul_f64 v[232:233], v[230:231], v[124:125]
	v_fma_f64 v[122:123], -v[122:123], v[232:233], v[230:231]
	v_div_fmas_f64 v[122:123], v[122:123], v[124:125], v[232:233]
	v_div_fixup_f64 v[230:231], v[122:123], v[120:121], 1.0
	v_mov_b32_e32 v122, v126
	v_mov_b32_e32 v123, v127
	;; [unrolled: 1-line block ×16, first 2 shown]
	v_mul_f64 v[232:233], v[118:119], -v[230:231]
.LBB57_259:
	s_or_b32 exec_lo, exec_lo, s1
	ds_write2_b64 v1, v[230:231], v[232:233] offset1:1
.LBB57_260:
	s_or_b32 exec_lo, exec_lo, s2
	s_waitcnt lgkmcnt(0)
	s_barrier
	buffer_gl0_inv
	ds_read2_b64 v[230:233], v1 offset1:1
	s_mov_b32 s1, exec_lo
	v_cmpx_lt_u32_e32 28, v0
	s_cbranch_execz .LBB57_262
; %bb.261:
	s_waitcnt lgkmcnt(0)
	v_mul_f64 v[0:1], v[232:233], v[4:5]
	v_mul_f64 v[4:5], v[230:231], v[4:5]
	v_fma_f64 v[0:1], v[230:231], v[2:3], -v[0:1]
	v_fma_f64 v[4:5], v[232:233], v[2:3], v[4:5]
	v_mov_b32_e32 v3, v1
	v_mov_b32_e32 v2, v0
.LBB57_262:
	s_or_b32 exec_lo, exec_lo, s1
	s_waitcnt lgkmcnt(0)
	s_barrier
	buffer_gl0_inv
	s_and_saveexec_b32 s25, s0
	s_cbranch_execz .LBB57_265
; %bb.263:
	s_clause 0x3
	buffer_load_dword v118, off, s[36:39], 0 offset:160
	buffer_load_dword v119, off, s[36:39], 0 offset:164
	;; [unrolled: 1-line block ×4, first 2 shown]
	v_cmp_neq_f64_e64 s21, 0, v[122:123]
	v_cmp_neq_f64_e64 s22, 0, v[124:125]
	v_cmp_eq_f64_e64 s23, 0, v[126:127]
	v_cmp_eq_f64_e64 s24, 0, v[128:129]
	v_lshlrev_b64 v[0:1], 2, v[234:235]
	v_cmp_eq_f64_e32 vcc_lo, 0, v[130:131]
	v_cmp_eq_f64_e64 s0, 0, v[132:133]
	v_cmp_eq_f64_e64 s2, 0, v[134:135]
	;; [unrolled: 1-line block ×19, first 2 shown]
	s_and_b32 s0, vcc_lo, s0
	s_and_b32 s3, s1, s3
	v_cmp_eq_f64_e64 s1, 0, v[176:177]
	s_waitcnt vmcnt(2)
	v_cmp_eq_f64_e64 s19, 0, v[118:119]
	s_waitcnt vmcnt(0)
	v_cmp_eq_f64_e64 s20, 0, v[120:121]
	s_and_b32 s19, s19, s20
	s_or_b32 s20, s21, s22
	v_cndmask_b32_e64 v118, 0, 1, s19
	s_or_b32 s19, s20, s19
	s_and_b32 s20, s23, s24
	v_cndmask_b32_e64 v118, 2, v118, s19
	v_add_co_u32 v0, s19, s26, v0
	v_add_co_ci_u32_e64 v1, null, s27, v1, s19
	v_cmp_eq_u32_e64 s19, 0, v118
	global_load_dword v119, v[0:1], off
	s_and_b32 s19, s20, s19
	v_cndmask_b32_e64 v118, v118, 3, s19
	v_cmp_eq_u32_e64 s19, 0, v118
	s_and_b32 s0, s0, s19
	v_cndmask_b32_e64 v118, v118, 4, s0
	s_and_b32 s0, s2, s4
	s_and_b32 s4, s9, s11
	v_cmp_eq_f64_e64 s2, 0, v[172:173]
	v_cmp_eq_u32_e32 vcc_lo, 0, v118
	s_and_b32 s0, s0, vcc_lo
	v_cndmask_b32_e64 v118, v118, 5, s0
	s_and_b32 s0, s5, s6
	v_cmp_eq_u32_e32 vcc_lo, 0, v118
	s_and_b32 s0, s0, vcc_lo
	v_cndmask_b32_e64 v118, v118, 6, s0
	s_and_b32 s0, s7, s8
	;; [unrolled: 4-line block ×6, first 2 shown]
	v_cmp_eq_u32_e32 vcc_lo, 0, v118
	s_and_b32 s0, s0, vcc_lo
	v_cndmask_b32_e64 v118, v118, 11, s0
	v_cmp_eq_f64_e64 s0, 0, v[170:171]
	v_cmp_eq_u32_e32 vcc_lo, 0, v118
	s_and_b32 s4, s4, vcc_lo
	v_cndmask_b32_e64 v118, v118, 12, s4
	v_cmp_eq_f64_e64 s4, 0, v[174:175]
	v_cmp_eq_u32_e32 vcc_lo, 0, v118
	s_and_b32 s3, s3, vcc_lo
	s_and_b32 s2, s0, s2
	v_cndmask_b32_e64 v118, v118, 13, s3
	v_cmp_eq_f64_e64 s3, 0, v[178:179]
	v_cmp_eq_f64_e64 s0, 0, v[180:181]
	v_cmp_eq_u32_e32 vcc_lo, 0, v118
	s_and_b32 s2, s2, vcc_lo
	s_and_b32 s4, s4, s1
	v_cndmask_b32_e64 v118, v118, 14, s2
	v_cmp_eq_f64_e64 s2, 0, v[182:183]
	;; [unrolled: 6-line block ×4, first 2 shown]
	v_cmp_eq_f64_e64 s1, 0, v[192:193]
	v_cmp_eq_u32_e32 vcc_lo, 0, v118
	s_and_b32 s2, s2, vcc_lo
	v_cndmask_b32_e64 v118, v118, 17, s2
	s_and_b32 s4, s4, s0
	v_cmp_eq_f64_e64 s2, 0, v[194:195]
	v_cmp_eq_f64_e64 s0, 0, v[196:197]
	v_cmp_eq_u32_e32 vcc_lo, 0, v118
	s_and_b32 s4, s4, vcc_lo
	v_cndmask_b32_e64 v118, v118, 18, s4
	s_and_b32 s3, s3, s1
	v_cmp_eq_f64_e64 s4, 0, v[198:199]
	;; [unrolled: 6-line block ×9, first 2 shown]
	v_cmp_eq_u32_e32 vcc_lo, 0, v118
	s_and_b32 s2, s2, vcc_lo
	v_cmp_eq_f64_e32 vcc_lo, 0, v[228:229]
	v_cndmask_b32_e64 v118, v118, 26, s2
	s_and_b32 s3, s4, s1
	v_cmp_eq_f64_e64 s1, 0, v[230:231]
	v_cmp_eq_u32_e64 s2, 0, v118
	s_and_b32 s3, s3, s2
	v_cmp_eq_f64_e64 s2, 0, v[232:233]
	v_cndmask_b32_e64 v118, v118, 27, s3
	v_cmp_eq_u32_e64 s3, 0, v118
	s_and_b32 s0, s0, vcc_lo
	s_and_b32 s0, s0, s3
	v_cndmask_b32_e64 v118, v118, 28, s0
	v_cmp_eq_u32_e32 vcc_lo, 0, v118
	s_and_b32 s0, s1, s2
	s_and_b32 s0, s0, vcc_lo
	v_cndmask_b32_e64 v118, v118, 29, s0
	s_waitcnt vmcnt(0)
	v_cmp_eq_u32_e32 vcc_lo, 0, v119
	v_cmp_ne_u32_e64 s0, 0, v118
	s_and_b32 s0, vcc_lo, s0
	s_and_b32 exec_lo, exec_lo, s0
	s_cbranch_execz .LBB57_265
; %bb.264:
	v_add_nc_u32_e32 v118, s29, v118
	global_store_dword v[0:1], v118, off
.LBB57_265:
	s_or_b32 exec_lo, exec_lo, s25
	global_store_dwordx4 v[238:239], v[114:117], off
	global_store_dwordx4 v[251:252], v[110:113], off
	s_clause 0x1
	buffer_load_dword v0, off, s[36:39], 0 offset:16
	buffer_load_dword v1, off, s[36:39], 0 offset:20
	s_waitcnt vmcnt(0)
	global_store_dwordx4 v[0:1], v[106:109], off
	s_clause 0x1
	buffer_load_dword v0, off, s[36:39], 0 offset:8
	buffer_load_dword v1, off, s[36:39], 0 offset:12
	s_waitcnt vmcnt(0)
	global_store_dwordx4 v[0:1], v[102:105], off
	s_clause 0x1
	buffer_load_dword v0, off, s[36:39], 0
	buffer_load_dword v1, off, s[36:39], 0 offset:4
	s_waitcnt vmcnt(0)
	global_store_dwordx4 v[0:1], v[98:101], off
	s_clause 0x1
	buffer_load_dword v0, off, s[36:39], 0 offset:24
	buffer_load_dword v1, off, s[36:39], 0 offset:28
	s_waitcnt vmcnt(0)
	global_store_dwordx4 v[0:1], v[94:97], off
	s_clause 0x1
	buffer_load_dword v0, off, s[36:39], 0 offset:32
	;; [unrolled: 5-line block ×19, first 2 shown]
	buffer_load_dword v1, off, s[36:39], 0 offset:196
	s_waitcnt vmcnt(0)
	global_store_dwordx4 v[0:1], v[22:25], off
	global_store_dwordx4 v[254:255], v[18:21], off
	s_clause 0x1
	buffer_load_dword v0, off, s[36:39], 0 offset:176
	buffer_load_dword v1, off, s[36:39], 0 offset:180
	s_waitcnt vmcnt(0)
	global_store_dwordx4 v[0:1], v[14:17], off
	global_store_dwordx4 v[240:241], v[10:13], off
	;; [unrolled: 1-line block ×4, first 2 shown]
.LBB57_266:
	s_endpgm
	.section	.rodata,"a",@progbits
	.p2align	6, 0x0
	.amdhsa_kernel _ZN9rocsolver6v33100L23getf2_npvt_small_kernelILi29E19rocblas_complex_numIdEiiPS3_EEvT1_T3_lS5_lPT2_S5_S5_
		.amdhsa_group_segment_fixed_size 0
		.amdhsa_private_segment_fixed_size 204
		.amdhsa_kernarg_size 312
		.amdhsa_user_sgpr_count 6
		.amdhsa_user_sgpr_private_segment_buffer 1
		.amdhsa_user_sgpr_dispatch_ptr 0
		.amdhsa_user_sgpr_queue_ptr 0
		.amdhsa_user_sgpr_kernarg_segment_ptr 1
		.amdhsa_user_sgpr_dispatch_id 0
		.amdhsa_user_sgpr_flat_scratch_init 0
		.amdhsa_user_sgpr_private_segment_size 0
		.amdhsa_wavefront_size32 1
		.amdhsa_uses_dynamic_stack 0
		.amdhsa_system_sgpr_private_segment_wavefront_offset 1
		.amdhsa_system_sgpr_workgroup_id_x 1
		.amdhsa_system_sgpr_workgroup_id_y 1
		.amdhsa_system_sgpr_workgroup_id_z 0
		.amdhsa_system_sgpr_workgroup_info 0
		.amdhsa_system_vgpr_workitem_id 1
		.amdhsa_next_free_vgpr 256
		.amdhsa_next_free_sgpr 40
		.amdhsa_reserve_vcc 1
		.amdhsa_reserve_flat_scratch 0
		.amdhsa_float_round_mode_32 0
		.amdhsa_float_round_mode_16_64 0
		.amdhsa_float_denorm_mode_32 3
		.amdhsa_float_denorm_mode_16_64 3
		.amdhsa_dx10_clamp 1
		.amdhsa_ieee_mode 1
		.amdhsa_fp16_overflow 0
		.amdhsa_workgroup_processor_mode 1
		.amdhsa_memory_ordered 1
		.amdhsa_forward_progress 1
		.amdhsa_shared_vgpr_count 0
		.amdhsa_exception_fp_ieee_invalid_op 0
		.amdhsa_exception_fp_denorm_src 0
		.amdhsa_exception_fp_ieee_div_zero 0
		.amdhsa_exception_fp_ieee_overflow 0
		.amdhsa_exception_fp_ieee_underflow 0
		.amdhsa_exception_fp_ieee_inexact 0
		.amdhsa_exception_int_div_zero 0
	.end_amdhsa_kernel
	.section	.text._ZN9rocsolver6v33100L23getf2_npvt_small_kernelILi29E19rocblas_complex_numIdEiiPS3_EEvT1_T3_lS5_lPT2_S5_S5_,"axG",@progbits,_ZN9rocsolver6v33100L23getf2_npvt_small_kernelILi29E19rocblas_complex_numIdEiiPS3_EEvT1_T3_lS5_lPT2_S5_S5_,comdat
.Lfunc_end57:
	.size	_ZN9rocsolver6v33100L23getf2_npvt_small_kernelILi29E19rocblas_complex_numIdEiiPS3_EEvT1_T3_lS5_lPT2_S5_S5_, .Lfunc_end57-_ZN9rocsolver6v33100L23getf2_npvt_small_kernelILi29E19rocblas_complex_numIdEiiPS3_EEvT1_T3_lS5_lPT2_S5_S5_
                                        ; -- End function
	.set _ZN9rocsolver6v33100L23getf2_npvt_small_kernelILi29E19rocblas_complex_numIdEiiPS3_EEvT1_T3_lS5_lPT2_S5_S5_.num_vgpr, 256
	.set _ZN9rocsolver6v33100L23getf2_npvt_small_kernelILi29E19rocblas_complex_numIdEiiPS3_EEvT1_T3_lS5_lPT2_S5_S5_.num_agpr, 0
	.set _ZN9rocsolver6v33100L23getf2_npvt_small_kernelILi29E19rocblas_complex_numIdEiiPS3_EEvT1_T3_lS5_lPT2_S5_S5_.numbered_sgpr, 40
	.set _ZN9rocsolver6v33100L23getf2_npvt_small_kernelILi29E19rocblas_complex_numIdEiiPS3_EEvT1_T3_lS5_lPT2_S5_S5_.num_named_barrier, 0
	.set _ZN9rocsolver6v33100L23getf2_npvt_small_kernelILi29E19rocblas_complex_numIdEiiPS3_EEvT1_T3_lS5_lPT2_S5_S5_.private_seg_size, 204
	.set _ZN9rocsolver6v33100L23getf2_npvt_small_kernelILi29E19rocblas_complex_numIdEiiPS3_EEvT1_T3_lS5_lPT2_S5_S5_.uses_vcc, 1
	.set _ZN9rocsolver6v33100L23getf2_npvt_small_kernelILi29E19rocblas_complex_numIdEiiPS3_EEvT1_T3_lS5_lPT2_S5_S5_.uses_flat_scratch, 0
	.set _ZN9rocsolver6v33100L23getf2_npvt_small_kernelILi29E19rocblas_complex_numIdEiiPS3_EEvT1_T3_lS5_lPT2_S5_S5_.has_dyn_sized_stack, 0
	.set _ZN9rocsolver6v33100L23getf2_npvt_small_kernelILi29E19rocblas_complex_numIdEiiPS3_EEvT1_T3_lS5_lPT2_S5_S5_.has_recursion, 0
	.set _ZN9rocsolver6v33100L23getf2_npvt_small_kernelILi29E19rocblas_complex_numIdEiiPS3_EEvT1_T3_lS5_lPT2_S5_S5_.has_indirect_call, 0
	.section	.AMDGPU.csdata,"",@progbits
; Kernel info:
; codeLenInByte = 48716
; TotalNumSgprs: 42
; NumVgprs: 256
; ScratchSize: 204
; MemoryBound: 1
; FloatMode: 240
; IeeeMode: 1
; LDSByteSize: 0 bytes/workgroup (compile time only)
; SGPRBlocks: 0
; VGPRBlocks: 31
; NumSGPRsForWavesPerEU: 42
; NumVGPRsForWavesPerEU: 256
; Occupancy: 4
; WaveLimiterHint : 0
; COMPUTE_PGM_RSRC2:SCRATCH_EN: 1
; COMPUTE_PGM_RSRC2:USER_SGPR: 6
; COMPUTE_PGM_RSRC2:TRAP_HANDLER: 0
; COMPUTE_PGM_RSRC2:TGID_X_EN: 1
; COMPUTE_PGM_RSRC2:TGID_Y_EN: 1
; COMPUTE_PGM_RSRC2:TGID_Z_EN: 0
; COMPUTE_PGM_RSRC2:TIDIG_COMP_CNT: 1
	.section	.text._ZN9rocsolver6v33100L18getf2_small_kernelILi30E19rocblas_complex_numIdEiiPS3_EEvT1_T3_lS5_lPS5_llPT2_S5_S5_S7_l,"axG",@progbits,_ZN9rocsolver6v33100L18getf2_small_kernelILi30E19rocblas_complex_numIdEiiPS3_EEvT1_T3_lS5_lPS5_llPT2_S5_S5_S7_l,comdat
	.globl	_ZN9rocsolver6v33100L18getf2_small_kernelILi30E19rocblas_complex_numIdEiiPS3_EEvT1_T3_lS5_lPS5_llPT2_S5_S5_S7_l ; -- Begin function _ZN9rocsolver6v33100L18getf2_small_kernelILi30E19rocblas_complex_numIdEiiPS3_EEvT1_T3_lS5_lPS5_llPT2_S5_S5_S7_l
	.p2align	8
	.type	_ZN9rocsolver6v33100L18getf2_small_kernelILi30E19rocblas_complex_numIdEiiPS3_EEvT1_T3_lS5_lPS5_llPT2_S5_S5_S7_l,@function
_ZN9rocsolver6v33100L18getf2_small_kernelILi30E19rocblas_complex_numIdEiiPS3_EEvT1_T3_lS5_lPS5_llPT2_S5_S5_S7_l: ; @_ZN9rocsolver6v33100L18getf2_small_kernelILi30E19rocblas_complex_numIdEiiPS3_EEvT1_T3_lS5_lPS5_llPT2_S5_S5_S7_l
; %bb.0:
	s_clause 0x1
	s_load_dword s0, s[4:5], 0x6c
	s_load_dwordx2 s[16:17], s[4:5], 0x48
	s_waitcnt lgkmcnt(0)
	s_lshr_b32 s0, s0, 16
	v_mad_u64_u32 v[126:127], null, s7, s0, v[1:2]
	s_mov_b32 s0, exec_lo
	v_cmpx_gt_i32_e64 s16, v126
	s_cbranch_execz .LBB58_633
; %bb.1:
	s_load_dwordx4 s[0:3], s[4:5], 0x50
	v_mov_b32_e32 v128, 0
	v_ashrrev_i32_e32 v127, 31, v126
	v_mov_b32_e32 v129, 0
	s_waitcnt lgkmcnt(0)
	s_cmp_eq_u64 s[0:1], 0
	s_cselect_b32 s16, -1, 0
	s_and_b32 vcc_lo, exec_lo, s16
	s_cbranch_vccnz .LBB58_3
; %bb.2:
	v_mul_lo_u32 v4, s3, v126
	v_mul_lo_u32 v5, s2, v127
	v_mad_u64_u32 v[2:3], null, s2, v126, 0
	v_add3_u32 v3, v3, v5, v4
	v_lshlrev_b64 v[2:3], 2, v[2:3]
	v_add_co_u32 v128, vcc_lo, s0, v2
	v_add_co_ci_u32_e64 v129, null, s1, v3, vcc_lo
.LBB58_3:
	s_clause 0x2
	s_load_dwordx8 s[8:15], s[4:5], 0x20
	s_load_dword s6, s[4:5], 0x18
	s_load_dwordx4 s[0:3], s[4:5], 0x8
	v_lshlrev_b32_e32 v132, 4, v0
	s_clause 0x1
	s_load_dword s18, s[4:5], 0x0
	s_load_dwordx2 s[4:5], s[4:5], 0x40
	s_waitcnt lgkmcnt(0)
	v_mul_lo_u32 v5, s9, v126
	v_mul_lo_u32 v7, s8, v127
	v_mad_u64_u32 v[2:3], null, s8, v126, 0
	v_add3_u32 v4, s6, s6, v0
	s_lshl_b64 s[2:3], s[2:3], 4
	s_ashr_i32 s7, s6, 31
	s_lshl_b64 s[8:9], s[6:7], 4
	v_add_nc_u32_e32 v6, s6, v4
	v_add3_u32 v3, v3, v7, v5
	v_ashrrev_i32_e32 v5, 31, v4
	v_add_nc_u32_e32 v8, s6, v6
	v_lshlrev_b64 v[2:3], 4, v[2:3]
	v_ashrrev_i32_e32 v7, 31, v6
	v_lshlrev_b64 v[4:5], 4, v[4:5]
	v_ashrrev_i32_e32 v9, 31, v8
	v_add_nc_u32_e32 v10, s6, v8
	v_add_co_u32 v12, vcc_lo, s0, v2
	v_add_co_ci_u32_e64 v13, null, s1, v3, vcc_lo
	v_lshlrev_b64 v[2:3], 4, v[8:9]
	v_add_nc_u32_e32 v8, s6, v10
	v_add_co_u32 v133, vcc_lo, v12, s2
	v_ashrrev_i32_e32 v11, 31, v10
	v_lshlrev_b64 v[6:7], 4, v[6:7]
	v_add_nc_u32_e32 v12, s6, v8
	v_add_co_ci_u32_e64 v134, null, s3, v13, vcc_lo
	v_ashrrev_i32_e32 v9, 31, v8
	v_lshlrev_b64 v[10:11], 4, v[10:11]
	v_add_nc_u32_e32 v14, s6, v12
	v_ashrrev_i32_e32 v13, 31, v12
	v_add_co_u32 v4, vcc_lo, v133, v4
	v_add_co_ci_u32_e64 v5, null, v134, v5, vcc_lo
	v_add_nc_u32_e32 v16, s6, v14
	v_ashrrev_i32_e32 v15, 31, v14
	v_add_co_u32 v6, vcc_lo, v133, v6
	v_lshlrev_b64 v[8:9], 4, v[8:9]
	v_add_nc_u32_e32 v18, s6, v16
	v_ashrrev_i32_e32 v17, 31, v16
	v_add_co_ci_u32_e64 v7, null, v134, v7, vcc_lo
	v_add_co_u32 v2, vcc_lo, v133, v2
	v_add_nc_u32_e32 v20, s6, v18
	v_lshlrev_b64 v[12:13], 4, v[12:13]
	v_ashrrev_i32_e32 v19, 31, v18
	v_add_co_ci_u32_e64 v3, null, v134, v3, vcc_lo
	v_add_nc_u32_e32 v22, s6, v20
	v_add_co_u32 v10, vcc_lo, v133, v10
	v_lshlrev_b64 v[14:15], 4, v[14:15]
	v_ashrrev_i32_e32 v21, 31, v20
	v_add_nc_u32_e32 v24, s6, v22
	v_add_co_ci_u32_e64 v11, null, v134, v11, vcc_lo
	v_add_co_u32 v8, vcc_lo, v133, v8
	v_add_nc_u32_e32 v26, s6, v24
	v_lshlrev_b64 v[16:17], 4, v[16:17]
	v_ashrrev_i32_e32 v23, 31, v22
	v_add_co_ci_u32_e64 v9, null, v134, v9, vcc_lo
	v_add_nc_u32_e32 v28, s6, v26
	v_add_co_u32 v12, vcc_lo, v133, v12
	v_lshlrev_b64 v[18:19], 4, v[18:19]
	v_ashrrev_i32_e32 v25, 31, v24
	v_add_nc_u32_e32 v30, s6, v28
	;; [unrolled: 11-line block ×3, first 2 shown]
	v_add_co_ci_u32_e64 v17, null, v134, v17, vcc_lo
	v_add_co_u32 v18, vcc_lo, v133, v18
	v_add_nc_u32_e32 v38, s6, v36
	v_lshlrev_b64 v[24:25], 4, v[24:25]
	v_ashrrev_i32_e32 v31, 31, v30
	v_add_co_ci_u32_e64 v19, null, v134, v19, vcc_lo
	v_add_co_u32 v20, vcc_lo, v133, v20
	v_lshlrev_b64 v[26:27], 4, v[26:27]
	v_ashrrev_i32_e32 v33, 31, v32
	v_add_co_ci_u32_e64 v21, null, v134, v21, vcc_lo
	v_add_co_u32 v22, vcc_lo, v133, v22
	v_lshlrev_b64 v[28:29], 4, v[28:29]
	v_add_nc_u32_e32 v40, s6, v38
	v_ashrrev_i32_e32 v35, 31, v34
	v_add_co_ci_u32_e64 v23, null, v134, v23, vcc_lo
	v_add_co_u32 v24, vcc_lo, v133, v24
	v_lshlrev_b64 v[30:31], 4, v[30:31]
	v_ashrrev_i32_e32 v37, 31, v36
	v_add_co_ci_u32_e64 v25, null, v134, v25, vcc_lo
	v_add_co_u32 v26, vcc_lo, v133, v26
	v_lshlrev_b64 v[32:33], 4, v[32:33]
	v_ashrrev_i32_e32 v39, 31, v38
	v_add_nc_u32_e32 v42, s6, v40
	v_add_co_ci_u32_e64 v27, null, v134, v27, vcc_lo
	v_add_co_u32 v28, vcc_lo, v133, v28
	v_lshlrev_b64 v[34:35], 4, v[34:35]
	v_ashrrev_i32_e32 v41, 31, v40
	v_add_co_ci_u32_e64 v29, null, v134, v29, vcc_lo
	v_add_co_u32 v30, vcc_lo, v133, v30
	v_lshlrev_b64 v[36:37], 4, v[36:37]
	v_add_co_ci_u32_e64 v31, null, v134, v31, vcc_lo
	v_add_co_u32 v32, vcc_lo, v133, v32
	v_lshlrev_b64 v[38:39], 4, v[38:39]
	v_add_nc_u32_e32 v44, s6, v42
	v_add_co_ci_u32_e64 v33, null, v134, v33, vcc_lo
	v_add_co_u32 v34, vcc_lo, v133, v34
	v_lshlrev_b64 v[40:41], 4, v[40:41]
	v_ashrrev_i32_e32 v43, 31, v42
	v_add_co_ci_u32_e64 v35, null, v134, v35, vcc_lo
	v_add_co_u32 v36, vcc_lo, v133, v36
	v_ashrrev_i32_e32 v45, 31, v44
	v_add_nc_u32_e32 v46, s6, v44
	v_add_co_ci_u32_e64 v37, null, v134, v37, vcc_lo
	v_add_co_u32 v38, vcc_lo, v133, v38
	v_lshlrev_b64 v[42:43], 4, v[42:43]
	v_add_co_ci_u32_e64 v39, null, v134, v39, vcc_lo
	v_add_co_u32 v122, vcc_lo, v133, v40
	v_add_co_ci_u32_e64 v123, null, v134, v41, vcc_lo
	v_lshlrev_b64 v[40:41], 4, v[44:45]
	v_ashrrev_i32_e32 v47, 31, v46
	v_add_nc_u32_e32 v44, s6, v46
	v_add_co_u32 v124, vcc_lo, v133, v42
	v_add_co_ci_u32_e64 v125, null, v134, v43, vcc_lo
	v_lshlrev_b64 v[42:43], 4, v[46:47]
	v_ashrrev_i32_e32 v45, 31, v44
	v_add_nc_u32_e32 v46, s6, v44
	;; [unrolled: 5-line block ×3, first 2 shown]
	v_add_co_u32 v135, vcc_lo, v133, v42
	v_add_co_ci_u32_e64 v136, null, v134, v43, vcc_lo
	v_lshlrev_b64 v[42:43], 4, v[46:47]
	v_add_nc_u32_e32 v46, s6, v44
	v_ashrrev_i32_e32 v45, 31, v44
	v_add_co_u32 v137, vcc_lo, v133, v40
	v_add_co_ci_u32_e64 v138, null, v134, v41, vcc_lo
	v_ashrrev_i32_e32 v47, 31, v46
	v_lshlrev_b64 v[40:41], 4, v[44:45]
	v_add_co_u32 v139, vcc_lo, v133, v42
	v_add_co_ci_u32_e64 v140, null, v134, v43, vcc_lo
	v_lshlrev_b64 v[42:43], 4, v[46:47]
	v_add_nc_u32_e32 v44, s6, v46
	v_add_co_u32 v141, vcc_lo, v133, v40
	v_add_co_ci_u32_e64 v142, null, v134, v41, vcc_lo
	v_ashrrev_i32_e32 v45, 31, v44
	v_add_co_u32 v143, vcc_lo, v133, v42
	v_add_co_ci_u32_e64 v144, null, v134, v43, vcc_lo
	v_add_co_u32 v42, vcc_lo, v133, v132
	v_add_co_ci_u32_e64 v43, null, 0, v134, vcc_lo
	v_lshlrev_b64 v[40:41], 4, v[44:45]
	v_add_co_u32 v44, vcc_lo, v42, s8
	v_add_co_ci_u32_e64 v45, null, s9, v43, vcc_lo
	s_max_i32 s0, s18, 30
	v_add_co_u32 v145, vcc_lo, v133, v40
	v_add_co_ci_u32_e64 v146, null, v134, v41, vcc_lo
	s_clause 0x1d
	global_load_dwordx4 v[114:117], v[42:43], off
	global_load_dwordx4 v[110:113], v[44:45], off
	;; [unrolled: 1-line block ×30, first 2 shown]
	v_mul_lo_u32 v130, s0, v1
	s_cmp_lt_i32 s18, 2
	v_lshl_add_u32 v1, v130, 4, 0
	v_add_nc_u32_e32 v122, v1, v132
	v_lshlrev_b32_e32 v132, 4, v130
	v_mov_b32_e32 v130, 0
	s_waitcnt vmcnt(29)
	ds_write2_b64 v122, v[114:115], v[116:117] offset1:1
	s_waitcnt vmcnt(0) lgkmcnt(0)
	s_barrier
	buffer_gl0_inv
	ds_read2_b64 v[122:125], v1 offset1:1
	s_cbranch_scc1 .LBB58_6
; %bb.4:
	v_add3_u32 v131, v132, 0, 16
	v_mov_b32_e32 v130, 0
	s_mov_b32 s3, 1
	s_inst_prefetch 0x1
	.p2align	6
.LBB58_5:                               ; =>This Inner Loop Header: Depth=1
	ds_read2_b64 v[135:138], v131 offset1:1
	s_waitcnt lgkmcnt(1)
	v_cmp_gt_f64_e32 vcc_lo, 0, v[122:123]
	v_cmp_gt_f64_e64 s0, 0, v[124:125]
	v_xor_b32_e32 v140, 0x80000000, v123
	v_xor_b32_e32 v142, 0x80000000, v125
	v_mov_b32_e32 v139, v122
	v_mov_b32_e32 v141, v124
	v_add_nc_u32_e32 v131, 16, v131
	s_waitcnt lgkmcnt(0)
	v_cmp_gt_f64_e64 s1, 0, v[135:136]
	v_cmp_gt_f64_e64 s2, 0, v[137:138]
	v_xor_b32_e32 v144, 0x80000000, v136
	v_xor_b32_e32 v146, 0x80000000, v138
	v_mov_b32_e32 v143, v135
	v_mov_b32_e32 v145, v137
	v_cndmask_b32_e32 v140, v123, v140, vcc_lo
	v_cndmask_b32_e64 v142, v125, v142, s0
	v_add_f64 v[139:140], v[139:140], v[141:142]
	v_cndmask_b32_e64 v144, v136, v144, s1
	v_cndmask_b32_e64 v146, v138, v146, s2
	v_add_f64 v[141:142], v[143:144], v[145:146]
	v_cmp_lt_f64_e32 vcc_lo, v[139:140], v[141:142]
	v_cndmask_b32_e32 v123, v123, v136, vcc_lo
	v_cndmask_b32_e32 v122, v122, v135, vcc_lo
	;; [unrolled: 1-line block ×4, first 2 shown]
	v_cndmask_b32_e64 v130, v130, s3, vcc_lo
	s_add_i32 s3, s3, 1
	s_cmp_eq_u32 s18, s3
	s_cbranch_scc0 .LBB58_5
.LBB58_6:
	s_inst_prefetch 0x2
	s_waitcnt lgkmcnt(0)
	v_cmp_neq_f64_e32 vcc_lo, 0, v[122:123]
	v_cmp_neq_f64_e64 s0, 0, v[124:125]
	v_mov_b32_e32 v135, 1
	v_mov_b32_e32 v137, 1
	s_or_b32 s1, vcc_lo, s0
	s_and_saveexec_b32 s0, s1
	s_cbranch_execz .LBB58_12
; %bb.7:
	v_cmp_ngt_f64_e64 s1, |v[122:123]|, |v[124:125]|
	s_and_saveexec_b32 s2, s1
	s_xor_b32 s1, exec_lo, s2
	s_cbranch_execz .LBB58_9
; %bb.8:
	v_div_scale_f64 v[135:136], null, v[124:125], v[124:125], v[122:123]
	v_div_scale_f64 v[141:142], vcc_lo, v[122:123], v[124:125], v[122:123]
	v_rcp_f64_e32 v[137:138], v[135:136]
	v_fma_f64 v[139:140], -v[135:136], v[137:138], 1.0
	v_fma_f64 v[137:138], v[137:138], v[139:140], v[137:138]
	v_fma_f64 v[139:140], -v[135:136], v[137:138], 1.0
	v_fma_f64 v[137:138], v[137:138], v[139:140], v[137:138]
	v_mul_f64 v[139:140], v[141:142], v[137:138]
	v_fma_f64 v[135:136], -v[135:136], v[139:140], v[141:142]
	v_div_fmas_f64 v[135:136], v[135:136], v[137:138], v[139:140]
	v_div_fixup_f64 v[135:136], v[135:136], v[124:125], v[122:123]
	v_fma_f64 v[122:123], v[122:123], v[135:136], v[124:125]
	v_div_scale_f64 v[124:125], null, v[122:123], v[122:123], 1.0
	v_rcp_f64_e32 v[137:138], v[124:125]
	v_fma_f64 v[139:140], -v[124:125], v[137:138], 1.0
	v_fma_f64 v[137:138], v[137:138], v[139:140], v[137:138]
	v_fma_f64 v[139:140], -v[124:125], v[137:138], 1.0
	v_fma_f64 v[137:138], v[137:138], v[139:140], v[137:138]
	v_div_scale_f64 v[139:140], vcc_lo, 1.0, v[122:123], 1.0
	v_mul_f64 v[141:142], v[139:140], v[137:138]
	v_fma_f64 v[124:125], -v[124:125], v[141:142], v[139:140]
	v_div_fmas_f64 v[124:125], v[124:125], v[137:138], v[141:142]
	v_div_fixup_f64 v[124:125], v[124:125], v[122:123], 1.0
	v_mul_f64 v[122:123], v[135:136], v[124:125]
	v_xor_b32_e32 v125, 0x80000000, v125
.LBB58_9:
	s_andn2_saveexec_b32 s1, s1
	s_cbranch_execz .LBB58_11
; %bb.10:
	v_div_scale_f64 v[135:136], null, v[122:123], v[122:123], v[124:125]
	v_div_scale_f64 v[141:142], vcc_lo, v[124:125], v[122:123], v[124:125]
	v_rcp_f64_e32 v[137:138], v[135:136]
	v_fma_f64 v[139:140], -v[135:136], v[137:138], 1.0
	v_fma_f64 v[137:138], v[137:138], v[139:140], v[137:138]
	v_fma_f64 v[139:140], -v[135:136], v[137:138], 1.0
	v_fma_f64 v[137:138], v[137:138], v[139:140], v[137:138]
	v_mul_f64 v[139:140], v[141:142], v[137:138]
	v_fma_f64 v[135:136], -v[135:136], v[139:140], v[141:142]
	v_div_fmas_f64 v[135:136], v[135:136], v[137:138], v[139:140]
	v_div_fixup_f64 v[135:136], v[135:136], v[122:123], v[124:125]
	v_fma_f64 v[122:123], v[124:125], v[135:136], v[122:123]
	v_div_scale_f64 v[124:125], null, v[122:123], v[122:123], 1.0
	v_rcp_f64_e32 v[137:138], v[124:125]
	v_fma_f64 v[139:140], -v[124:125], v[137:138], 1.0
	v_fma_f64 v[137:138], v[137:138], v[139:140], v[137:138]
	v_fma_f64 v[139:140], -v[124:125], v[137:138], 1.0
	v_fma_f64 v[137:138], v[137:138], v[139:140], v[137:138]
	v_div_scale_f64 v[139:140], vcc_lo, 1.0, v[122:123], 1.0
	v_mul_f64 v[141:142], v[139:140], v[137:138]
	v_fma_f64 v[124:125], -v[124:125], v[141:142], v[139:140]
	v_div_fmas_f64 v[124:125], v[124:125], v[137:138], v[141:142]
	v_div_fixup_f64 v[122:123], v[124:125], v[122:123], 1.0
	v_mul_f64 v[124:125], v[135:136], -v[122:123]
.LBB58_11:
	s_or_b32 exec_lo, exec_lo, s1
	v_mov_b32_e32 v137, 0
	v_mov_b32_e32 v135, 2
.LBB58_12:
	s_or_b32 exec_lo, exec_lo, s0
	s_mov_b32 s0, exec_lo
	v_cmpx_ne_u32_e64 v0, v130
	s_xor_b32 s0, exec_lo, s0
	s_cbranch_execz .LBB58_18
; %bb.13:
	s_mov_b32 s1, exec_lo
	v_cmpx_eq_u32_e32 0, v0
	s_cbranch_execz .LBB58_17
; %bb.14:
	v_cmp_ne_u32_e32 vcc_lo, 0, v130
	s_xor_b32 s2, s16, -1
	s_and_b32 s3, s2, vcc_lo
	s_and_saveexec_b32 s2, s3
	s_cbranch_execz .LBB58_16
; %bb.15:
	v_ashrrev_i32_e32 v131, 31, v130
	v_lshlrev_b64 v[138:139], 2, v[130:131]
	v_add_co_u32 v138, vcc_lo, v128, v138
	v_add_co_ci_u32_e64 v139, null, v129, v139, vcc_lo
	s_clause 0x1
	global_load_dword v0, v[138:139], off
	global_load_dword v131, v[128:129], off
	s_waitcnt vmcnt(1)
	global_store_dword v[128:129], v0, off
	s_waitcnt vmcnt(0)
	global_store_dword v[138:139], v131, off
.LBB58_16:
	s_or_b32 exec_lo, exec_lo, s2
	v_mov_b32_e32 v0, v130
.LBB58_17:
	s_or_b32 exec_lo, exec_lo, s1
.LBB58_18:
	s_or_saveexec_b32 s0, s0
	v_mov_b32_e32 v136, v0
	s_xor_b32 exec_lo, exec_lo, s0
	s_cbranch_execz .LBB58_20
; %bb.19:
	v_mov_b32_e32 v136, 0
	ds_write2_b64 v1, v[110:111], v[112:113] offset0:2 offset1:3
	ds_write2_b64 v1, v[118:119], v[120:121] offset0:4 offset1:5
	;; [unrolled: 1-line block ×29, first 2 shown]
.LBB58_20:
	s_or_b32 exec_lo, exec_lo, s0
	s_mov_b32 s0, exec_lo
	s_waitcnt lgkmcnt(0)
	s_waitcnt_vscnt null, 0x0
	s_barrier
	buffer_gl0_inv
	v_cmpx_lt_i32_e32 0, v136
	s_cbranch_execz .LBB58_22
; %bb.21:
	v_mul_f64 v[130:131], v[124:125], v[116:117]
	v_mul_f64 v[116:117], v[122:123], v[116:117]
	v_fma_f64 v[130:131], v[122:123], v[114:115], -v[130:131]
	v_fma_f64 v[116:117], v[124:125], v[114:115], v[116:117]
	ds_read2_b64 v[122:125], v1 offset0:2 offset1:3
	s_waitcnt lgkmcnt(0)
	v_mul_f64 v[114:115], v[124:125], v[116:117]
	v_fma_f64 v[114:115], v[122:123], v[130:131], -v[114:115]
	v_mul_f64 v[122:123], v[122:123], v[116:117]
	v_add_f64 v[110:111], v[110:111], -v[114:115]
	v_fma_f64 v[122:123], v[124:125], v[130:131], v[122:123]
	v_add_f64 v[112:113], v[112:113], -v[122:123]
	ds_read2_b64 v[122:125], v1 offset0:4 offset1:5
	s_waitcnt lgkmcnt(0)
	v_mul_f64 v[114:115], v[124:125], v[116:117]
	v_fma_f64 v[114:115], v[122:123], v[130:131], -v[114:115]
	v_mul_f64 v[122:123], v[122:123], v[116:117]
	v_add_f64 v[118:119], v[118:119], -v[114:115]
	v_fma_f64 v[122:123], v[124:125], v[130:131], v[122:123]
	v_add_f64 v[120:121], v[120:121], -v[122:123]
	;; [unrolled: 8-line block ×28, first 2 shown]
	ds_read2_b64 v[122:125], v1 offset0:58 offset1:59
	s_waitcnt lgkmcnt(0)
	v_mul_f64 v[114:115], v[124:125], v[116:117]
	v_fma_f64 v[114:115], v[122:123], v[130:131], -v[114:115]
	v_mul_f64 v[122:123], v[122:123], v[116:117]
	v_add_f64 v[2:3], v[2:3], -v[114:115]
	v_fma_f64 v[122:123], v[124:125], v[130:131], v[122:123]
	v_mov_b32_e32 v114, v130
	v_mov_b32_e32 v115, v131
	v_add_f64 v[4:5], v[4:5], -v[122:123]
.LBB58_22:
	s_or_b32 exec_lo, exec_lo, s0
	v_lshl_add_u32 v122, v136, 4, v1
	s_barrier
	buffer_gl0_inv
	v_mov_b32_e32 v130, 1
	ds_write2_b64 v122, v[110:111], v[112:113] offset1:1
	s_waitcnt lgkmcnt(0)
	s_barrier
	buffer_gl0_inv
	ds_read2_b64 v[122:125], v1 offset0:2 offset1:3
	s_cmp_lt_i32 s18, 3
	s_cbranch_scc1 .LBB58_25
; %bb.23:
	v_add3_u32 v131, v132, 0, 32
	v_mov_b32_e32 v130, 1
	s_mov_b32 s1, 2
	s_inst_prefetch 0x1
	.p2align	6
.LBB58_24:                              ; =>This Inner Loop Header: Depth=1
	s_waitcnt lgkmcnt(0)
	v_cmp_gt_f64_e32 vcc_lo, 0, v[124:125]
	v_cmp_gt_f64_e64 s0, 0, v[122:123]
	ds_read2_b64 v[138:141], v131 offset1:1
	v_xor_b32_e32 v143, 0x80000000, v123
	v_xor_b32_e32 v145, 0x80000000, v125
	v_mov_b32_e32 v142, v122
	v_mov_b32_e32 v144, v124
	v_add_nc_u32_e32 v131, 16, v131
	s_waitcnt lgkmcnt(0)
	v_xor_b32_e32 v147, 0x80000000, v141
	v_cndmask_b32_e64 v143, v123, v143, s0
	v_cndmask_b32_e32 v145, v125, v145, vcc_lo
	v_cmp_gt_f64_e32 vcc_lo, 0, v[140:141]
	v_cmp_gt_f64_e64 s0, 0, v[138:139]
	v_mov_b32_e32 v146, v140
	v_add_f64 v[142:143], v[142:143], v[144:145]
	v_xor_b32_e32 v145, 0x80000000, v139
	v_mov_b32_e32 v144, v138
	v_cndmask_b32_e32 v147, v141, v147, vcc_lo
	v_cndmask_b32_e64 v145, v139, v145, s0
	v_add_f64 v[144:145], v[144:145], v[146:147]
	v_cmp_lt_f64_e32 vcc_lo, v[142:143], v[144:145]
	v_cndmask_b32_e32 v123, v123, v139, vcc_lo
	v_cndmask_b32_e32 v122, v122, v138, vcc_lo
	;; [unrolled: 1-line block ×4, first 2 shown]
	v_cndmask_b32_e64 v130, v130, s1, vcc_lo
	s_add_i32 s1, s1, 1
	s_cmp_lg_u32 s18, s1
	s_cbranch_scc1 .LBB58_24
.LBB58_25:
	s_inst_prefetch 0x2
	s_waitcnt lgkmcnt(0)
	v_cmp_neq_f64_e32 vcc_lo, 0, v[122:123]
	v_cmp_neq_f64_e64 s0, 0, v[124:125]
	s_or_b32 s1, vcc_lo, s0
	s_and_saveexec_b32 s0, s1
	s_cbranch_execz .LBB58_31
; %bb.26:
	v_cmp_ngt_f64_e64 s1, |v[122:123]|, |v[124:125]|
	s_and_saveexec_b32 s2, s1
	s_xor_b32 s1, exec_lo, s2
	s_cbranch_execz .LBB58_28
; %bb.27:
	v_div_scale_f64 v[138:139], null, v[124:125], v[124:125], v[122:123]
	v_div_scale_f64 v[144:145], vcc_lo, v[122:123], v[124:125], v[122:123]
	v_rcp_f64_e32 v[140:141], v[138:139]
	v_fma_f64 v[142:143], -v[138:139], v[140:141], 1.0
	v_fma_f64 v[140:141], v[140:141], v[142:143], v[140:141]
	v_fma_f64 v[142:143], -v[138:139], v[140:141], 1.0
	v_fma_f64 v[140:141], v[140:141], v[142:143], v[140:141]
	v_mul_f64 v[142:143], v[144:145], v[140:141]
	v_fma_f64 v[138:139], -v[138:139], v[142:143], v[144:145]
	v_div_fmas_f64 v[138:139], v[138:139], v[140:141], v[142:143]
	v_div_fixup_f64 v[138:139], v[138:139], v[124:125], v[122:123]
	v_fma_f64 v[122:123], v[122:123], v[138:139], v[124:125]
	v_div_scale_f64 v[124:125], null, v[122:123], v[122:123], 1.0
	v_rcp_f64_e32 v[140:141], v[124:125]
	v_fma_f64 v[142:143], -v[124:125], v[140:141], 1.0
	v_fma_f64 v[140:141], v[140:141], v[142:143], v[140:141]
	v_fma_f64 v[142:143], -v[124:125], v[140:141], 1.0
	v_fma_f64 v[140:141], v[140:141], v[142:143], v[140:141]
	v_div_scale_f64 v[142:143], vcc_lo, 1.0, v[122:123], 1.0
	v_mul_f64 v[144:145], v[142:143], v[140:141]
	v_fma_f64 v[124:125], -v[124:125], v[144:145], v[142:143]
	v_div_fmas_f64 v[124:125], v[124:125], v[140:141], v[144:145]
	v_div_fixup_f64 v[124:125], v[124:125], v[122:123], 1.0
	v_mul_f64 v[122:123], v[138:139], v[124:125]
	v_xor_b32_e32 v125, 0x80000000, v125
.LBB58_28:
	s_andn2_saveexec_b32 s1, s1
	s_cbranch_execz .LBB58_30
; %bb.29:
	v_div_scale_f64 v[138:139], null, v[122:123], v[122:123], v[124:125]
	v_div_scale_f64 v[144:145], vcc_lo, v[124:125], v[122:123], v[124:125]
	v_rcp_f64_e32 v[140:141], v[138:139]
	v_fma_f64 v[142:143], -v[138:139], v[140:141], 1.0
	v_fma_f64 v[140:141], v[140:141], v[142:143], v[140:141]
	v_fma_f64 v[142:143], -v[138:139], v[140:141], 1.0
	v_fma_f64 v[140:141], v[140:141], v[142:143], v[140:141]
	v_mul_f64 v[142:143], v[144:145], v[140:141]
	v_fma_f64 v[138:139], -v[138:139], v[142:143], v[144:145]
	v_div_fmas_f64 v[138:139], v[138:139], v[140:141], v[142:143]
	v_div_fixup_f64 v[138:139], v[138:139], v[122:123], v[124:125]
	v_fma_f64 v[122:123], v[124:125], v[138:139], v[122:123]
	v_div_scale_f64 v[124:125], null, v[122:123], v[122:123], 1.0
	v_rcp_f64_e32 v[140:141], v[124:125]
	v_fma_f64 v[142:143], -v[124:125], v[140:141], 1.0
	v_fma_f64 v[140:141], v[140:141], v[142:143], v[140:141]
	v_fma_f64 v[142:143], -v[124:125], v[140:141], 1.0
	v_fma_f64 v[140:141], v[140:141], v[142:143], v[140:141]
	v_div_scale_f64 v[142:143], vcc_lo, 1.0, v[122:123], 1.0
	v_mul_f64 v[144:145], v[142:143], v[140:141]
	v_fma_f64 v[124:125], -v[124:125], v[144:145], v[142:143]
	v_div_fmas_f64 v[124:125], v[124:125], v[140:141], v[144:145]
	v_div_fixup_f64 v[122:123], v[124:125], v[122:123], 1.0
	v_mul_f64 v[124:125], v[138:139], -v[122:123]
.LBB58_30:
	s_or_b32 exec_lo, exec_lo, s1
	v_mov_b32_e32 v135, v137
.LBB58_31:
	s_or_b32 exec_lo, exec_lo, s0
	s_mov_b32 s0, exec_lo
	v_cmpx_ne_u32_e64 v136, v130
	s_xor_b32 s0, exec_lo, s0
	s_cbranch_execz .LBB58_37
; %bb.32:
	s_mov_b32 s1, exec_lo
	v_cmpx_eq_u32_e32 1, v136
	s_cbranch_execz .LBB58_36
; %bb.33:
	v_cmp_ne_u32_e32 vcc_lo, 1, v130
	s_xor_b32 s2, s16, -1
	s_and_b32 s3, s2, vcc_lo
	s_and_saveexec_b32 s2, s3
	s_cbranch_execz .LBB58_35
; %bb.34:
	v_ashrrev_i32_e32 v131, 31, v130
	v_lshlrev_b64 v[136:137], 2, v[130:131]
	v_add_co_u32 v136, vcc_lo, v128, v136
	v_add_co_ci_u32_e64 v137, null, v129, v137, vcc_lo
	s_clause 0x1
	global_load_dword v0, v[136:137], off
	global_load_dword v131, v[128:129], off offset:4
	s_waitcnt vmcnt(1)
	global_store_dword v[128:129], v0, off offset:4
	s_waitcnt vmcnt(0)
	global_store_dword v[136:137], v131, off
.LBB58_35:
	s_or_b32 exec_lo, exec_lo, s2
	v_mov_b32_e32 v136, v130
	v_mov_b32_e32 v0, v130
.LBB58_36:
	s_or_b32 exec_lo, exec_lo, s1
.LBB58_37:
	s_andn2_saveexec_b32 s0, s0
	s_cbranch_execz .LBB58_39
; %bb.38:
	v_mov_b32_e32 v136, 1
	ds_write2_b64 v1, v[118:119], v[120:121] offset0:4 offset1:5
	ds_write2_b64 v1, v[106:107], v[108:109] offset0:6 offset1:7
	;; [unrolled: 1-line block ×28, first 2 shown]
.LBB58_39:
	s_or_b32 exec_lo, exec_lo, s0
	s_mov_b32 s0, exec_lo
	s_waitcnt lgkmcnt(0)
	s_waitcnt_vscnt null, 0x0
	s_barrier
	buffer_gl0_inv
	v_cmpx_lt_i32_e32 1, v136
	s_cbranch_execz .LBB58_41
; %bb.40:
	v_mul_f64 v[130:131], v[124:125], v[112:113]
	v_mul_f64 v[112:113], v[122:123], v[112:113]
	v_fma_f64 v[130:131], v[122:123], v[110:111], -v[130:131]
	v_fma_f64 v[112:113], v[124:125], v[110:111], v[112:113]
	ds_read2_b64 v[122:125], v1 offset0:4 offset1:5
	s_waitcnt lgkmcnt(0)
	v_mul_f64 v[110:111], v[124:125], v[112:113]
	v_fma_f64 v[110:111], v[122:123], v[130:131], -v[110:111]
	v_mul_f64 v[122:123], v[122:123], v[112:113]
	v_add_f64 v[118:119], v[118:119], -v[110:111]
	v_fma_f64 v[122:123], v[124:125], v[130:131], v[122:123]
	v_add_f64 v[120:121], v[120:121], -v[122:123]
	ds_read2_b64 v[122:125], v1 offset0:6 offset1:7
	s_waitcnt lgkmcnt(0)
	v_mul_f64 v[110:111], v[124:125], v[112:113]
	v_fma_f64 v[110:111], v[122:123], v[130:131], -v[110:111]
	v_mul_f64 v[122:123], v[122:123], v[112:113]
	v_add_f64 v[106:107], v[106:107], -v[110:111]
	v_fma_f64 v[122:123], v[124:125], v[130:131], v[122:123]
	v_add_f64 v[108:109], v[108:109], -v[122:123]
	;; [unrolled: 8-line block ×27, first 2 shown]
	ds_read2_b64 v[122:125], v1 offset0:58 offset1:59
	s_waitcnt lgkmcnt(0)
	v_mul_f64 v[110:111], v[124:125], v[112:113]
	v_fma_f64 v[110:111], v[122:123], v[130:131], -v[110:111]
	v_mul_f64 v[122:123], v[122:123], v[112:113]
	v_add_f64 v[2:3], v[2:3], -v[110:111]
	v_fma_f64 v[122:123], v[124:125], v[130:131], v[122:123]
	v_mov_b32_e32 v110, v130
	v_mov_b32_e32 v111, v131
	v_add_f64 v[4:5], v[4:5], -v[122:123]
.LBB58_41:
	s_or_b32 exec_lo, exec_lo, s0
	v_lshl_add_u32 v122, v136, 4, v1
	s_barrier
	buffer_gl0_inv
	v_mov_b32_e32 v130, 2
	ds_write2_b64 v122, v[118:119], v[120:121] offset1:1
	s_waitcnt lgkmcnt(0)
	s_barrier
	buffer_gl0_inv
	ds_read2_b64 v[122:125], v1 offset0:4 offset1:5
	s_cmp_lt_i32 s18, 4
	s_cbranch_scc1 .LBB58_44
; %bb.42:
	v_add3_u32 v131, v132, 0, 48
	v_mov_b32_e32 v130, 2
	s_mov_b32 s1, 3
	s_inst_prefetch 0x1
	.p2align	6
.LBB58_43:                              ; =>This Inner Loop Header: Depth=1
	s_waitcnt lgkmcnt(0)
	v_cmp_gt_f64_e32 vcc_lo, 0, v[124:125]
	v_cmp_gt_f64_e64 s0, 0, v[122:123]
	ds_read2_b64 v[137:140], v131 offset1:1
	v_xor_b32_e32 v142, 0x80000000, v123
	v_xor_b32_e32 v144, 0x80000000, v125
	v_mov_b32_e32 v141, v122
	v_mov_b32_e32 v143, v124
	v_add_nc_u32_e32 v131, 16, v131
	s_waitcnt lgkmcnt(0)
	v_xor_b32_e32 v146, 0x80000000, v140
	v_cndmask_b32_e64 v142, v123, v142, s0
	v_cndmask_b32_e32 v144, v125, v144, vcc_lo
	v_cmp_gt_f64_e32 vcc_lo, 0, v[139:140]
	v_cmp_gt_f64_e64 s0, 0, v[137:138]
	v_mov_b32_e32 v145, v139
	v_add_f64 v[141:142], v[141:142], v[143:144]
	v_xor_b32_e32 v144, 0x80000000, v138
	v_mov_b32_e32 v143, v137
	v_cndmask_b32_e32 v146, v140, v146, vcc_lo
	v_cndmask_b32_e64 v144, v138, v144, s0
	v_add_f64 v[143:144], v[143:144], v[145:146]
	v_cmp_lt_f64_e32 vcc_lo, v[141:142], v[143:144]
	v_cndmask_b32_e32 v123, v123, v138, vcc_lo
	v_cndmask_b32_e32 v122, v122, v137, vcc_lo
	;; [unrolled: 1-line block ×4, first 2 shown]
	v_cndmask_b32_e64 v130, v130, s1, vcc_lo
	s_add_i32 s1, s1, 1
	s_cmp_lg_u32 s18, s1
	s_cbranch_scc1 .LBB58_43
.LBB58_44:
	s_inst_prefetch 0x2
	s_waitcnt lgkmcnt(0)
	v_cmp_eq_f64_e32 vcc_lo, 0, v[122:123]
	v_cmp_eq_f64_e64 s0, 0, v[124:125]
	s_and_b32 s0, vcc_lo, s0
	s_and_saveexec_b32 s1, s0
	s_xor_b32 s0, exec_lo, s1
; %bb.45:
	v_cmp_ne_u32_e32 vcc_lo, 0, v135
	v_cndmask_b32_e32 v135, 3, v135, vcc_lo
; %bb.46:
	s_andn2_saveexec_b32 s0, s0
	s_cbranch_execz .LBB58_52
; %bb.47:
	v_cmp_ngt_f64_e64 s1, |v[122:123]|, |v[124:125]|
	s_and_saveexec_b32 s2, s1
	s_xor_b32 s1, exec_lo, s2
	s_cbranch_execz .LBB58_49
; %bb.48:
	v_div_scale_f64 v[137:138], null, v[124:125], v[124:125], v[122:123]
	v_div_scale_f64 v[143:144], vcc_lo, v[122:123], v[124:125], v[122:123]
	v_rcp_f64_e32 v[139:140], v[137:138]
	v_fma_f64 v[141:142], -v[137:138], v[139:140], 1.0
	v_fma_f64 v[139:140], v[139:140], v[141:142], v[139:140]
	v_fma_f64 v[141:142], -v[137:138], v[139:140], 1.0
	v_fma_f64 v[139:140], v[139:140], v[141:142], v[139:140]
	v_mul_f64 v[141:142], v[143:144], v[139:140]
	v_fma_f64 v[137:138], -v[137:138], v[141:142], v[143:144]
	v_div_fmas_f64 v[137:138], v[137:138], v[139:140], v[141:142]
	v_div_fixup_f64 v[137:138], v[137:138], v[124:125], v[122:123]
	v_fma_f64 v[122:123], v[122:123], v[137:138], v[124:125]
	v_div_scale_f64 v[124:125], null, v[122:123], v[122:123], 1.0
	v_rcp_f64_e32 v[139:140], v[124:125]
	v_fma_f64 v[141:142], -v[124:125], v[139:140], 1.0
	v_fma_f64 v[139:140], v[139:140], v[141:142], v[139:140]
	v_fma_f64 v[141:142], -v[124:125], v[139:140], 1.0
	v_fma_f64 v[139:140], v[139:140], v[141:142], v[139:140]
	v_div_scale_f64 v[141:142], vcc_lo, 1.0, v[122:123], 1.0
	v_mul_f64 v[143:144], v[141:142], v[139:140]
	v_fma_f64 v[124:125], -v[124:125], v[143:144], v[141:142]
	v_div_fmas_f64 v[124:125], v[124:125], v[139:140], v[143:144]
	v_div_fixup_f64 v[124:125], v[124:125], v[122:123], 1.0
	v_mul_f64 v[122:123], v[137:138], v[124:125]
	v_xor_b32_e32 v125, 0x80000000, v125
.LBB58_49:
	s_andn2_saveexec_b32 s1, s1
	s_cbranch_execz .LBB58_51
; %bb.50:
	v_div_scale_f64 v[137:138], null, v[122:123], v[122:123], v[124:125]
	v_div_scale_f64 v[143:144], vcc_lo, v[124:125], v[122:123], v[124:125]
	v_rcp_f64_e32 v[139:140], v[137:138]
	v_fma_f64 v[141:142], -v[137:138], v[139:140], 1.0
	v_fma_f64 v[139:140], v[139:140], v[141:142], v[139:140]
	v_fma_f64 v[141:142], -v[137:138], v[139:140], 1.0
	v_fma_f64 v[139:140], v[139:140], v[141:142], v[139:140]
	v_mul_f64 v[141:142], v[143:144], v[139:140]
	v_fma_f64 v[137:138], -v[137:138], v[141:142], v[143:144]
	v_div_fmas_f64 v[137:138], v[137:138], v[139:140], v[141:142]
	v_div_fixup_f64 v[137:138], v[137:138], v[122:123], v[124:125]
	v_fma_f64 v[122:123], v[124:125], v[137:138], v[122:123]
	v_div_scale_f64 v[124:125], null, v[122:123], v[122:123], 1.0
	v_rcp_f64_e32 v[139:140], v[124:125]
	v_fma_f64 v[141:142], -v[124:125], v[139:140], 1.0
	v_fma_f64 v[139:140], v[139:140], v[141:142], v[139:140]
	v_fma_f64 v[141:142], -v[124:125], v[139:140], 1.0
	v_fma_f64 v[139:140], v[139:140], v[141:142], v[139:140]
	v_div_scale_f64 v[141:142], vcc_lo, 1.0, v[122:123], 1.0
	v_mul_f64 v[143:144], v[141:142], v[139:140]
	v_fma_f64 v[124:125], -v[124:125], v[143:144], v[141:142]
	v_div_fmas_f64 v[124:125], v[124:125], v[139:140], v[143:144]
	v_div_fixup_f64 v[122:123], v[124:125], v[122:123], 1.0
	v_mul_f64 v[124:125], v[137:138], -v[122:123]
.LBB58_51:
	s_or_b32 exec_lo, exec_lo, s1
.LBB58_52:
	s_or_b32 exec_lo, exec_lo, s0
	s_mov_b32 s0, exec_lo
	v_cmpx_ne_u32_e64 v136, v130
	s_xor_b32 s0, exec_lo, s0
	s_cbranch_execz .LBB58_58
; %bb.53:
	s_mov_b32 s1, exec_lo
	v_cmpx_eq_u32_e32 2, v136
	s_cbranch_execz .LBB58_57
; %bb.54:
	v_cmp_ne_u32_e32 vcc_lo, 2, v130
	s_xor_b32 s2, s16, -1
	s_and_b32 s3, s2, vcc_lo
	s_and_saveexec_b32 s2, s3
	s_cbranch_execz .LBB58_56
; %bb.55:
	v_ashrrev_i32_e32 v131, 31, v130
	v_lshlrev_b64 v[136:137], 2, v[130:131]
	v_add_co_u32 v136, vcc_lo, v128, v136
	v_add_co_ci_u32_e64 v137, null, v129, v137, vcc_lo
	s_clause 0x1
	global_load_dword v0, v[136:137], off
	global_load_dword v131, v[128:129], off offset:8
	s_waitcnt vmcnt(1)
	global_store_dword v[128:129], v0, off offset:8
	s_waitcnt vmcnt(0)
	global_store_dword v[136:137], v131, off
.LBB58_56:
	s_or_b32 exec_lo, exec_lo, s2
	v_mov_b32_e32 v136, v130
	v_mov_b32_e32 v0, v130
.LBB58_57:
	s_or_b32 exec_lo, exec_lo, s1
.LBB58_58:
	s_andn2_saveexec_b32 s0, s0
	s_cbranch_execz .LBB58_60
; %bb.59:
	v_mov_b32_e32 v136, 2
	ds_write2_b64 v1, v[106:107], v[108:109] offset0:6 offset1:7
	ds_write2_b64 v1, v[102:103], v[104:105] offset0:8 offset1:9
	;; [unrolled: 1-line block ×27, first 2 shown]
.LBB58_60:
	s_or_b32 exec_lo, exec_lo, s0
	s_mov_b32 s0, exec_lo
	s_waitcnt lgkmcnt(0)
	s_waitcnt_vscnt null, 0x0
	s_barrier
	buffer_gl0_inv
	v_cmpx_lt_i32_e32 2, v136
	s_cbranch_execz .LBB58_62
; %bb.61:
	v_mul_f64 v[130:131], v[124:125], v[120:121]
	v_mul_f64 v[120:121], v[122:123], v[120:121]
	v_fma_f64 v[130:131], v[122:123], v[118:119], -v[130:131]
	v_fma_f64 v[120:121], v[124:125], v[118:119], v[120:121]
	ds_read2_b64 v[122:125], v1 offset0:6 offset1:7
	s_waitcnt lgkmcnt(0)
	v_mul_f64 v[118:119], v[124:125], v[120:121]
	v_fma_f64 v[118:119], v[122:123], v[130:131], -v[118:119]
	v_mul_f64 v[122:123], v[122:123], v[120:121]
	v_add_f64 v[106:107], v[106:107], -v[118:119]
	v_fma_f64 v[122:123], v[124:125], v[130:131], v[122:123]
	v_add_f64 v[108:109], v[108:109], -v[122:123]
	ds_read2_b64 v[122:125], v1 offset0:8 offset1:9
	s_waitcnt lgkmcnt(0)
	v_mul_f64 v[118:119], v[124:125], v[120:121]
	v_fma_f64 v[118:119], v[122:123], v[130:131], -v[118:119]
	v_mul_f64 v[122:123], v[122:123], v[120:121]
	v_add_f64 v[102:103], v[102:103], -v[118:119]
	v_fma_f64 v[122:123], v[124:125], v[130:131], v[122:123]
	v_add_f64 v[104:105], v[104:105], -v[122:123]
	;; [unrolled: 8-line block ×26, first 2 shown]
	ds_read2_b64 v[122:125], v1 offset0:58 offset1:59
	s_waitcnt lgkmcnt(0)
	v_mul_f64 v[118:119], v[124:125], v[120:121]
	v_fma_f64 v[118:119], v[122:123], v[130:131], -v[118:119]
	v_mul_f64 v[122:123], v[122:123], v[120:121]
	v_add_f64 v[2:3], v[2:3], -v[118:119]
	v_fma_f64 v[122:123], v[124:125], v[130:131], v[122:123]
	v_mov_b32_e32 v118, v130
	v_mov_b32_e32 v119, v131
	v_add_f64 v[4:5], v[4:5], -v[122:123]
.LBB58_62:
	s_or_b32 exec_lo, exec_lo, s0
	v_lshl_add_u32 v122, v136, 4, v1
	s_barrier
	buffer_gl0_inv
	v_mov_b32_e32 v130, 3
	ds_write2_b64 v122, v[106:107], v[108:109] offset1:1
	s_waitcnt lgkmcnt(0)
	s_barrier
	buffer_gl0_inv
	ds_read2_b64 v[122:125], v1 offset0:6 offset1:7
	s_cmp_lt_i32 s18, 5
	s_mov_b32 s1, 4
	s_cbranch_scc1 .LBB58_65
; %bb.63:
	v_add3_u32 v131, v132, 0, 64
	v_mov_b32_e32 v130, 3
	s_inst_prefetch 0x1
	.p2align	6
.LBB58_64:                              ; =>This Inner Loop Header: Depth=1
	s_waitcnt lgkmcnt(0)
	v_cmp_gt_f64_e32 vcc_lo, 0, v[124:125]
	v_cmp_gt_f64_e64 s0, 0, v[122:123]
	ds_read2_b64 v[137:140], v131 offset1:1
	v_xor_b32_e32 v142, 0x80000000, v123
	v_xor_b32_e32 v144, 0x80000000, v125
	v_mov_b32_e32 v141, v122
	v_mov_b32_e32 v143, v124
	v_add_nc_u32_e32 v131, 16, v131
	s_waitcnt lgkmcnt(0)
	v_xor_b32_e32 v146, 0x80000000, v140
	v_cndmask_b32_e64 v142, v123, v142, s0
	v_cndmask_b32_e32 v144, v125, v144, vcc_lo
	v_cmp_gt_f64_e32 vcc_lo, 0, v[139:140]
	v_cmp_gt_f64_e64 s0, 0, v[137:138]
	v_mov_b32_e32 v145, v139
	v_add_f64 v[141:142], v[141:142], v[143:144]
	v_xor_b32_e32 v144, 0x80000000, v138
	v_mov_b32_e32 v143, v137
	v_cndmask_b32_e32 v146, v140, v146, vcc_lo
	v_cndmask_b32_e64 v144, v138, v144, s0
	v_add_f64 v[143:144], v[143:144], v[145:146]
	v_cmp_lt_f64_e32 vcc_lo, v[141:142], v[143:144]
	v_cndmask_b32_e32 v123, v123, v138, vcc_lo
	v_cndmask_b32_e32 v122, v122, v137, vcc_lo
	v_cndmask_b32_e32 v125, v125, v140, vcc_lo
	v_cndmask_b32_e32 v124, v124, v139, vcc_lo
	v_cndmask_b32_e64 v130, v130, s1, vcc_lo
	s_add_i32 s1, s1, 1
	s_cmp_lg_u32 s18, s1
	s_cbranch_scc1 .LBB58_64
.LBB58_65:
	s_inst_prefetch 0x2
	s_waitcnt lgkmcnt(0)
	v_cmp_eq_f64_e32 vcc_lo, 0, v[122:123]
	v_cmp_eq_f64_e64 s0, 0, v[124:125]
	s_and_b32 s0, vcc_lo, s0
	s_and_saveexec_b32 s1, s0
	s_xor_b32 s0, exec_lo, s1
; %bb.66:
	v_cmp_ne_u32_e32 vcc_lo, 0, v135
	v_cndmask_b32_e32 v135, 4, v135, vcc_lo
; %bb.67:
	s_andn2_saveexec_b32 s0, s0
	s_cbranch_execz .LBB58_73
; %bb.68:
	v_cmp_ngt_f64_e64 s1, |v[122:123]|, |v[124:125]|
	s_and_saveexec_b32 s2, s1
	s_xor_b32 s1, exec_lo, s2
	s_cbranch_execz .LBB58_70
; %bb.69:
	v_div_scale_f64 v[137:138], null, v[124:125], v[124:125], v[122:123]
	v_div_scale_f64 v[143:144], vcc_lo, v[122:123], v[124:125], v[122:123]
	v_rcp_f64_e32 v[139:140], v[137:138]
	v_fma_f64 v[141:142], -v[137:138], v[139:140], 1.0
	v_fma_f64 v[139:140], v[139:140], v[141:142], v[139:140]
	v_fma_f64 v[141:142], -v[137:138], v[139:140], 1.0
	v_fma_f64 v[139:140], v[139:140], v[141:142], v[139:140]
	v_mul_f64 v[141:142], v[143:144], v[139:140]
	v_fma_f64 v[137:138], -v[137:138], v[141:142], v[143:144]
	v_div_fmas_f64 v[137:138], v[137:138], v[139:140], v[141:142]
	v_div_fixup_f64 v[137:138], v[137:138], v[124:125], v[122:123]
	v_fma_f64 v[122:123], v[122:123], v[137:138], v[124:125]
	v_div_scale_f64 v[124:125], null, v[122:123], v[122:123], 1.0
	v_rcp_f64_e32 v[139:140], v[124:125]
	v_fma_f64 v[141:142], -v[124:125], v[139:140], 1.0
	v_fma_f64 v[139:140], v[139:140], v[141:142], v[139:140]
	v_fma_f64 v[141:142], -v[124:125], v[139:140], 1.0
	v_fma_f64 v[139:140], v[139:140], v[141:142], v[139:140]
	v_div_scale_f64 v[141:142], vcc_lo, 1.0, v[122:123], 1.0
	v_mul_f64 v[143:144], v[141:142], v[139:140]
	v_fma_f64 v[124:125], -v[124:125], v[143:144], v[141:142]
	v_div_fmas_f64 v[124:125], v[124:125], v[139:140], v[143:144]
	v_div_fixup_f64 v[124:125], v[124:125], v[122:123], 1.0
	v_mul_f64 v[122:123], v[137:138], v[124:125]
	v_xor_b32_e32 v125, 0x80000000, v125
.LBB58_70:
	s_andn2_saveexec_b32 s1, s1
	s_cbranch_execz .LBB58_72
; %bb.71:
	v_div_scale_f64 v[137:138], null, v[122:123], v[122:123], v[124:125]
	v_div_scale_f64 v[143:144], vcc_lo, v[124:125], v[122:123], v[124:125]
	v_rcp_f64_e32 v[139:140], v[137:138]
	v_fma_f64 v[141:142], -v[137:138], v[139:140], 1.0
	v_fma_f64 v[139:140], v[139:140], v[141:142], v[139:140]
	v_fma_f64 v[141:142], -v[137:138], v[139:140], 1.0
	v_fma_f64 v[139:140], v[139:140], v[141:142], v[139:140]
	v_mul_f64 v[141:142], v[143:144], v[139:140]
	v_fma_f64 v[137:138], -v[137:138], v[141:142], v[143:144]
	v_div_fmas_f64 v[137:138], v[137:138], v[139:140], v[141:142]
	v_div_fixup_f64 v[137:138], v[137:138], v[122:123], v[124:125]
	v_fma_f64 v[122:123], v[124:125], v[137:138], v[122:123]
	v_div_scale_f64 v[124:125], null, v[122:123], v[122:123], 1.0
	v_rcp_f64_e32 v[139:140], v[124:125]
	v_fma_f64 v[141:142], -v[124:125], v[139:140], 1.0
	v_fma_f64 v[139:140], v[139:140], v[141:142], v[139:140]
	v_fma_f64 v[141:142], -v[124:125], v[139:140], 1.0
	v_fma_f64 v[139:140], v[139:140], v[141:142], v[139:140]
	v_div_scale_f64 v[141:142], vcc_lo, 1.0, v[122:123], 1.0
	v_mul_f64 v[143:144], v[141:142], v[139:140]
	v_fma_f64 v[124:125], -v[124:125], v[143:144], v[141:142]
	v_div_fmas_f64 v[124:125], v[124:125], v[139:140], v[143:144]
	v_div_fixup_f64 v[122:123], v[124:125], v[122:123], 1.0
	v_mul_f64 v[124:125], v[137:138], -v[122:123]
.LBB58_72:
	s_or_b32 exec_lo, exec_lo, s1
.LBB58_73:
	s_or_b32 exec_lo, exec_lo, s0
	s_mov_b32 s0, exec_lo
	v_cmpx_ne_u32_e64 v136, v130
	s_xor_b32 s0, exec_lo, s0
	s_cbranch_execz .LBB58_79
; %bb.74:
	s_mov_b32 s1, exec_lo
	v_cmpx_eq_u32_e32 3, v136
	s_cbranch_execz .LBB58_78
; %bb.75:
	v_cmp_ne_u32_e32 vcc_lo, 3, v130
	s_xor_b32 s2, s16, -1
	s_and_b32 s3, s2, vcc_lo
	s_and_saveexec_b32 s2, s3
	s_cbranch_execz .LBB58_77
; %bb.76:
	v_ashrrev_i32_e32 v131, 31, v130
	v_lshlrev_b64 v[136:137], 2, v[130:131]
	v_add_co_u32 v136, vcc_lo, v128, v136
	v_add_co_ci_u32_e64 v137, null, v129, v137, vcc_lo
	s_clause 0x1
	global_load_dword v0, v[136:137], off
	global_load_dword v131, v[128:129], off offset:12
	s_waitcnt vmcnt(1)
	global_store_dword v[128:129], v0, off offset:12
	s_waitcnt vmcnt(0)
	global_store_dword v[136:137], v131, off
.LBB58_77:
	s_or_b32 exec_lo, exec_lo, s2
	v_mov_b32_e32 v136, v130
	v_mov_b32_e32 v0, v130
.LBB58_78:
	s_or_b32 exec_lo, exec_lo, s1
.LBB58_79:
	s_andn2_saveexec_b32 s0, s0
	s_cbranch_execz .LBB58_81
; %bb.80:
	v_mov_b32_e32 v136, 3
	ds_write2_b64 v1, v[102:103], v[104:105] offset0:8 offset1:9
	ds_write2_b64 v1, v[98:99], v[100:101] offset0:10 offset1:11
	;; [unrolled: 1-line block ×26, first 2 shown]
.LBB58_81:
	s_or_b32 exec_lo, exec_lo, s0
	s_mov_b32 s0, exec_lo
	s_waitcnt lgkmcnt(0)
	s_waitcnt_vscnt null, 0x0
	s_barrier
	buffer_gl0_inv
	v_cmpx_lt_i32_e32 3, v136
	s_cbranch_execz .LBB58_83
; %bb.82:
	v_mul_f64 v[130:131], v[124:125], v[108:109]
	v_mul_f64 v[108:109], v[122:123], v[108:109]
	v_fma_f64 v[130:131], v[122:123], v[106:107], -v[130:131]
	v_fma_f64 v[108:109], v[124:125], v[106:107], v[108:109]
	ds_read2_b64 v[122:125], v1 offset0:8 offset1:9
	s_waitcnt lgkmcnt(0)
	v_mul_f64 v[106:107], v[124:125], v[108:109]
	v_fma_f64 v[106:107], v[122:123], v[130:131], -v[106:107]
	v_mul_f64 v[122:123], v[122:123], v[108:109]
	v_add_f64 v[102:103], v[102:103], -v[106:107]
	v_fma_f64 v[122:123], v[124:125], v[130:131], v[122:123]
	v_add_f64 v[104:105], v[104:105], -v[122:123]
	ds_read2_b64 v[122:125], v1 offset0:10 offset1:11
	s_waitcnt lgkmcnt(0)
	v_mul_f64 v[106:107], v[124:125], v[108:109]
	v_fma_f64 v[106:107], v[122:123], v[130:131], -v[106:107]
	v_mul_f64 v[122:123], v[122:123], v[108:109]
	v_add_f64 v[98:99], v[98:99], -v[106:107]
	v_fma_f64 v[122:123], v[124:125], v[130:131], v[122:123]
	v_add_f64 v[100:101], v[100:101], -v[122:123]
	;; [unrolled: 8-line block ×25, first 2 shown]
	ds_read2_b64 v[122:125], v1 offset0:58 offset1:59
	s_waitcnt lgkmcnt(0)
	v_mul_f64 v[106:107], v[124:125], v[108:109]
	v_fma_f64 v[106:107], v[122:123], v[130:131], -v[106:107]
	v_mul_f64 v[122:123], v[122:123], v[108:109]
	v_add_f64 v[2:3], v[2:3], -v[106:107]
	v_fma_f64 v[122:123], v[124:125], v[130:131], v[122:123]
	v_mov_b32_e32 v106, v130
	v_mov_b32_e32 v107, v131
	v_add_f64 v[4:5], v[4:5], -v[122:123]
.LBB58_83:
	s_or_b32 exec_lo, exec_lo, s0
	v_lshl_add_u32 v122, v136, 4, v1
	s_barrier
	buffer_gl0_inv
	v_mov_b32_e32 v130, 4
	ds_write2_b64 v122, v[102:103], v[104:105] offset1:1
	s_waitcnt lgkmcnt(0)
	s_barrier
	buffer_gl0_inv
	ds_read2_b64 v[122:125], v1 offset0:8 offset1:9
	s_cmp_lt_i32 s18, 6
	s_cbranch_scc1 .LBB58_86
; %bb.84:
	v_mov_b32_e32 v130, 4
	v_add3_u32 v131, v132, 0, 0x50
	s_mov_b32 s1, 5
	s_inst_prefetch 0x1
	.p2align	6
.LBB58_85:                              ; =>This Inner Loop Header: Depth=1
	s_waitcnt lgkmcnt(0)
	v_cmp_gt_f64_e32 vcc_lo, 0, v[124:125]
	v_cmp_gt_f64_e64 s0, 0, v[122:123]
	ds_read2_b64 v[137:140], v131 offset1:1
	v_xor_b32_e32 v142, 0x80000000, v123
	v_xor_b32_e32 v144, 0x80000000, v125
	v_mov_b32_e32 v141, v122
	v_mov_b32_e32 v143, v124
	v_add_nc_u32_e32 v131, 16, v131
	s_waitcnt lgkmcnt(0)
	v_xor_b32_e32 v146, 0x80000000, v140
	v_cndmask_b32_e64 v142, v123, v142, s0
	v_cndmask_b32_e32 v144, v125, v144, vcc_lo
	v_cmp_gt_f64_e32 vcc_lo, 0, v[139:140]
	v_cmp_gt_f64_e64 s0, 0, v[137:138]
	v_mov_b32_e32 v145, v139
	v_add_f64 v[141:142], v[141:142], v[143:144]
	v_xor_b32_e32 v144, 0x80000000, v138
	v_mov_b32_e32 v143, v137
	v_cndmask_b32_e32 v146, v140, v146, vcc_lo
	v_cndmask_b32_e64 v144, v138, v144, s0
	v_add_f64 v[143:144], v[143:144], v[145:146]
	v_cmp_lt_f64_e32 vcc_lo, v[141:142], v[143:144]
	v_cndmask_b32_e32 v123, v123, v138, vcc_lo
	v_cndmask_b32_e32 v122, v122, v137, vcc_lo
	;; [unrolled: 1-line block ×4, first 2 shown]
	v_cndmask_b32_e64 v130, v130, s1, vcc_lo
	s_add_i32 s1, s1, 1
	s_cmp_lg_u32 s18, s1
	s_cbranch_scc1 .LBB58_85
.LBB58_86:
	s_inst_prefetch 0x2
	s_waitcnt lgkmcnt(0)
	v_cmp_eq_f64_e32 vcc_lo, 0, v[122:123]
	v_cmp_eq_f64_e64 s0, 0, v[124:125]
	s_and_b32 s0, vcc_lo, s0
	s_and_saveexec_b32 s1, s0
	s_xor_b32 s0, exec_lo, s1
; %bb.87:
	v_cmp_ne_u32_e32 vcc_lo, 0, v135
	v_cndmask_b32_e32 v135, 5, v135, vcc_lo
; %bb.88:
	s_andn2_saveexec_b32 s0, s0
	s_cbranch_execz .LBB58_94
; %bb.89:
	v_cmp_ngt_f64_e64 s1, |v[122:123]|, |v[124:125]|
	s_and_saveexec_b32 s2, s1
	s_xor_b32 s1, exec_lo, s2
	s_cbranch_execz .LBB58_91
; %bb.90:
	v_div_scale_f64 v[137:138], null, v[124:125], v[124:125], v[122:123]
	v_div_scale_f64 v[143:144], vcc_lo, v[122:123], v[124:125], v[122:123]
	v_rcp_f64_e32 v[139:140], v[137:138]
	v_fma_f64 v[141:142], -v[137:138], v[139:140], 1.0
	v_fma_f64 v[139:140], v[139:140], v[141:142], v[139:140]
	v_fma_f64 v[141:142], -v[137:138], v[139:140], 1.0
	v_fma_f64 v[139:140], v[139:140], v[141:142], v[139:140]
	v_mul_f64 v[141:142], v[143:144], v[139:140]
	v_fma_f64 v[137:138], -v[137:138], v[141:142], v[143:144]
	v_div_fmas_f64 v[137:138], v[137:138], v[139:140], v[141:142]
	v_div_fixup_f64 v[137:138], v[137:138], v[124:125], v[122:123]
	v_fma_f64 v[122:123], v[122:123], v[137:138], v[124:125]
	v_div_scale_f64 v[124:125], null, v[122:123], v[122:123], 1.0
	v_rcp_f64_e32 v[139:140], v[124:125]
	v_fma_f64 v[141:142], -v[124:125], v[139:140], 1.0
	v_fma_f64 v[139:140], v[139:140], v[141:142], v[139:140]
	v_fma_f64 v[141:142], -v[124:125], v[139:140], 1.0
	v_fma_f64 v[139:140], v[139:140], v[141:142], v[139:140]
	v_div_scale_f64 v[141:142], vcc_lo, 1.0, v[122:123], 1.0
	v_mul_f64 v[143:144], v[141:142], v[139:140]
	v_fma_f64 v[124:125], -v[124:125], v[143:144], v[141:142]
	v_div_fmas_f64 v[124:125], v[124:125], v[139:140], v[143:144]
	v_div_fixup_f64 v[124:125], v[124:125], v[122:123], 1.0
	v_mul_f64 v[122:123], v[137:138], v[124:125]
	v_xor_b32_e32 v125, 0x80000000, v125
.LBB58_91:
	s_andn2_saveexec_b32 s1, s1
	s_cbranch_execz .LBB58_93
; %bb.92:
	v_div_scale_f64 v[137:138], null, v[122:123], v[122:123], v[124:125]
	v_div_scale_f64 v[143:144], vcc_lo, v[124:125], v[122:123], v[124:125]
	v_rcp_f64_e32 v[139:140], v[137:138]
	v_fma_f64 v[141:142], -v[137:138], v[139:140], 1.0
	v_fma_f64 v[139:140], v[139:140], v[141:142], v[139:140]
	v_fma_f64 v[141:142], -v[137:138], v[139:140], 1.0
	v_fma_f64 v[139:140], v[139:140], v[141:142], v[139:140]
	v_mul_f64 v[141:142], v[143:144], v[139:140]
	v_fma_f64 v[137:138], -v[137:138], v[141:142], v[143:144]
	v_div_fmas_f64 v[137:138], v[137:138], v[139:140], v[141:142]
	v_div_fixup_f64 v[137:138], v[137:138], v[122:123], v[124:125]
	v_fma_f64 v[122:123], v[124:125], v[137:138], v[122:123]
	v_div_scale_f64 v[124:125], null, v[122:123], v[122:123], 1.0
	v_rcp_f64_e32 v[139:140], v[124:125]
	v_fma_f64 v[141:142], -v[124:125], v[139:140], 1.0
	v_fma_f64 v[139:140], v[139:140], v[141:142], v[139:140]
	v_fma_f64 v[141:142], -v[124:125], v[139:140], 1.0
	v_fma_f64 v[139:140], v[139:140], v[141:142], v[139:140]
	v_div_scale_f64 v[141:142], vcc_lo, 1.0, v[122:123], 1.0
	v_mul_f64 v[143:144], v[141:142], v[139:140]
	v_fma_f64 v[124:125], -v[124:125], v[143:144], v[141:142]
	v_div_fmas_f64 v[124:125], v[124:125], v[139:140], v[143:144]
	v_div_fixup_f64 v[122:123], v[124:125], v[122:123], 1.0
	v_mul_f64 v[124:125], v[137:138], -v[122:123]
.LBB58_93:
	s_or_b32 exec_lo, exec_lo, s1
.LBB58_94:
	s_or_b32 exec_lo, exec_lo, s0
	s_mov_b32 s0, exec_lo
	v_cmpx_ne_u32_e64 v136, v130
	s_xor_b32 s0, exec_lo, s0
	s_cbranch_execz .LBB58_100
; %bb.95:
	s_mov_b32 s1, exec_lo
	v_cmpx_eq_u32_e32 4, v136
	s_cbranch_execz .LBB58_99
; %bb.96:
	v_cmp_ne_u32_e32 vcc_lo, 4, v130
	s_xor_b32 s2, s16, -1
	s_and_b32 s3, s2, vcc_lo
	s_and_saveexec_b32 s2, s3
	s_cbranch_execz .LBB58_98
; %bb.97:
	v_ashrrev_i32_e32 v131, 31, v130
	v_lshlrev_b64 v[136:137], 2, v[130:131]
	v_add_co_u32 v136, vcc_lo, v128, v136
	v_add_co_ci_u32_e64 v137, null, v129, v137, vcc_lo
	s_clause 0x1
	global_load_dword v0, v[136:137], off
	global_load_dword v131, v[128:129], off offset:16
	s_waitcnt vmcnt(1)
	global_store_dword v[128:129], v0, off offset:16
	s_waitcnt vmcnt(0)
	global_store_dword v[136:137], v131, off
.LBB58_98:
	s_or_b32 exec_lo, exec_lo, s2
	v_mov_b32_e32 v136, v130
	v_mov_b32_e32 v0, v130
.LBB58_99:
	s_or_b32 exec_lo, exec_lo, s1
.LBB58_100:
	s_andn2_saveexec_b32 s0, s0
	s_cbranch_execz .LBB58_102
; %bb.101:
	v_mov_b32_e32 v136, 4
	ds_write2_b64 v1, v[98:99], v[100:101] offset0:10 offset1:11
	ds_write2_b64 v1, v[94:95], v[96:97] offset0:12 offset1:13
	;; [unrolled: 1-line block ×25, first 2 shown]
.LBB58_102:
	s_or_b32 exec_lo, exec_lo, s0
	s_mov_b32 s0, exec_lo
	s_waitcnt lgkmcnt(0)
	s_waitcnt_vscnt null, 0x0
	s_barrier
	buffer_gl0_inv
	v_cmpx_lt_i32_e32 4, v136
	s_cbranch_execz .LBB58_104
; %bb.103:
	v_mul_f64 v[130:131], v[124:125], v[104:105]
	v_mul_f64 v[104:105], v[122:123], v[104:105]
	v_fma_f64 v[130:131], v[122:123], v[102:103], -v[130:131]
	v_fma_f64 v[104:105], v[124:125], v[102:103], v[104:105]
	ds_read2_b64 v[122:125], v1 offset0:10 offset1:11
	s_waitcnt lgkmcnt(0)
	v_mul_f64 v[102:103], v[124:125], v[104:105]
	v_fma_f64 v[102:103], v[122:123], v[130:131], -v[102:103]
	v_mul_f64 v[122:123], v[122:123], v[104:105]
	v_add_f64 v[98:99], v[98:99], -v[102:103]
	v_fma_f64 v[122:123], v[124:125], v[130:131], v[122:123]
	v_add_f64 v[100:101], v[100:101], -v[122:123]
	ds_read2_b64 v[122:125], v1 offset0:12 offset1:13
	s_waitcnt lgkmcnt(0)
	v_mul_f64 v[102:103], v[124:125], v[104:105]
	v_fma_f64 v[102:103], v[122:123], v[130:131], -v[102:103]
	v_mul_f64 v[122:123], v[122:123], v[104:105]
	v_add_f64 v[94:95], v[94:95], -v[102:103]
	v_fma_f64 v[122:123], v[124:125], v[130:131], v[122:123]
	v_add_f64 v[96:97], v[96:97], -v[122:123]
	;; [unrolled: 8-line block ×24, first 2 shown]
	ds_read2_b64 v[122:125], v1 offset0:58 offset1:59
	s_waitcnt lgkmcnt(0)
	v_mul_f64 v[102:103], v[124:125], v[104:105]
	v_fma_f64 v[102:103], v[122:123], v[130:131], -v[102:103]
	v_mul_f64 v[122:123], v[122:123], v[104:105]
	v_add_f64 v[2:3], v[2:3], -v[102:103]
	v_fma_f64 v[122:123], v[124:125], v[130:131], v[122:123]
	v_mov_b32_e32 v102, v130
	v_mov_b32_e32 v103, v131
	v_add_f64 v[4:5], v[4:5], -v[122:123]
.LBB58_104:
	s_or_b32 exec_lo, exec_lo, s0
	v_lshl_add_u32 v122, v136, 4, v1
	s_barrier
	buffer_gl0_inv
	v_mov_b32_e32 v130, 5
	ds_write2_b64 v122, v[98:99], v[100:101] offset1:1
	s_waitcnt lgkmcnt(0)
	s_barrier
	buffer_gl0_inv
	ds_read2_b64 v[122:125], v1 offset0:10 offset1:11
	s_cmp_lt_i32 s18, 7
	s_cbranch_scc1 .LBB58_107
; %bb.105:
	v_add3_u32 v131, v132, 0, 0x60
	v_mov_b32_e32 v130, 5
	s_mov_b32 s1, 6
	s_inst_prefetch 0x1
	.p2align	6
.LBB58_106:                             ; =>This Inner Loop Header: Depth=1
	s_waitcnt lgkmcnt(0)
	v_cmp_gt_f64_e32 vcc_lo, 0, v[124:125]
	v_cmp_gt_f64_e64 s0, 0, v[122:123]
	ds_read2_b64 v[137:140], v131 offset1:1
	v_xor_b32_e32 v142, 0x80000000, v123
	v_xor_b32_e32 v144, 0x80000000, v125
	v_mov_b32_e32 v141, v122
	v_mov_b32_e32 v143, v124
	v_add_nc_u32_e32 v131, 16, v131
	s_waitcnt lgkmcnt(0)
	v_xor_b32_e32 v146, 0x80000000, v140
	v_cndmask_b32_e64 v142, v123, v142, s0
	v_cndmask_b32_e32 v144, v125, v144, vcc_lo
	v_cmp_gt_f64_e32 vcc_lo, 0, v[139:140]
	v_cmp_gt_f64_e64 s0, 0, v[137:138]
	v_mov_b32_e32 v145, v139
	v_add_f64 v[141:142], v[141:142], v[143:144]
	v_xor_b32_e32 v144, 0x80000000, v138
	v_mov_b32_e32 v143, v137
	v_cndmask_b32_e32 v146, v140, v146, vcc_lo
	v_cndmask_b32_e64 v144, v138, v144, s0
	v_add_f64 v[143:144], v[143:144], v[145:146]
	v_cmp_lt_f64_e32 vcc_lo, v[141:142], v[143:144]
	v_cndmask_b32_e32 v123, v123, v138, vcc_lo
	v_cndmask_b32_e32 v122, v122, v137, vcc_lo
	;; [unrolled: 1-line block ×4, first 2 shown]
	v_cndmask_b32_e64 v130, v130, s1, vcc_lo
	s_add_i32 s1, s1, 1
	s_cmp_lg_u32 s18, s1
	s_cbranch_scc1 .LBB58_106
.LBB58_107:
	s_inst_prefetch 0x2
	s_waitcnt lgkmcnt(0)
	v_cmp_eq_f64_e32 vcc_lo, 0, v[122:123]
	v_cmp_eq_f64_e64 s0, 0, v[124:125]
	s_and_b32 s0, vcc_lo, s0
	s_and_saveexec_b32 s1, s0
	s_xor_b32 s0, exec_lo, s1
; %bb.108:
	v_cmp_ne_u32_e32 vcc_lo, 0, v135
	v_cndmask_b32_e32 v135, 6, v135, vcc_lo
; %bb.109:
	s_andn2_saveexec_b32 s0, s0
	s_cbranch_execz .LBB58_115
; %bb.110:
	v_cmp_ngt_f64_e64 s1, |v[122:123]|, |v[124:125]|
	s_and_saveexec_b32 s2, s1
	s_xor_b32 s1, exec_lo, s2
	s_cbranch_execz .LBB58_112
; %bb.111:
	v_div_scale_f64 v[137:138], null, v[124:125], v[124:125], v[122:123]
	v_div_scale_f64 v[143:144], vcc_lo, v[122:123], v[124:125], v[122:123]
	v_rcp_f64_e32 v[139:140], v[137:138]
	v_fma_f64 v[141:142], -v[137:138], v[139:140], 1.0
	v_fma_f64 v[139:140], v[139:140], v[141:142], v[139:140]
	v_fma_f64 v[141:142], -v[137:138], v[139:140], 1.0
	v_fma_f64 v[139:140], v[139:140], v[141:142], v[139:140]
	v_mul_f64 v[141:142], v[143:144], v[139:140]
	v_fma_f64 v[137:138], -v[137:138], v[141:142], v[143:144]
	v_div_fmas_f64 v[137:138], v[137:138], v[139:140], v[141:142]
	v_div_fixup_f64 v[137:138], v[137:138], v[124:125], v[122:123]
	v_fma_f64 v[122:123], v[122:123], v[137:138], v[124:125]
	v_div_scale_f64 v[124:125], null, v[122:123], v[122:123], 1.0
	v_rcp_f64_e32 v[139:140], v[124:125]
	v_fma_f64 v[141:142], -v[124:125], v[139:140], 1.0
	v_fma_f64 v[139:140], v[139:140], v[141:142], v[139:140]
	v_fma_f64 v[141:142], -v[124:125], v[139:140], 1.0
	v_fma_f64 v[139:140], v[139:140], v[141:142], v[139:140]
	v_div_scale_f64 v[141:142], vcc_lo, 1.0, v[122:123], 1.0
	v_mul_f64 v[143:144], v[141:142], v[139:140]
	v_fma_f64 v[124:125], -v[124:125], v[143:144], v[141:142]
	v_div_fmas_f64 v[124:125], v[124:125], v[139:140], v[143:144]
	v_div_fixup_f64 v[124:125], v[124:125], v[122:123], 1.0
	v_mul_f64 v[122:123], v[137:138], v[124:125]
	v_xor_b32_e32 v125, 0x80000000, v125
.LBB58_112:
	s_andn2_saveexec_b32 s1, s1
	s_cbranch_execz .LBB58_114
; %bb.113:
	v_div_scale_f64 v[137:138], null, v[122:123], v[122:123], v[124:125]
	v_div_scale_f64 v[143:144], vcc_lo, v[124:125], v[122:123], v[124:125]
	v_rcp_f64_e32 v[139:140], v[137:138]
	v_fma_f64 v[141:142], -v[137:138], v[139:140], 1.0
	v_fma_f64 v[139:140], v[139:140], v[141:142], v[139:140]
	v_fma_f64 v[141:142], -v[137:138], v[139:140], 1.0
	v_fma_f64 v[139:140], v[139:140], v[141:142], v[139:140]
	v_mul_f64 v[141:142], v[143:144], v[139:140]
	v_fma_f64 v[137:138], -v[137:138], v[141:142], v[143:144]
	v_div_fmas_f64 v[137:138], v[137:138], v[139:140], v[141:142]
	v_div_fixup_f64 v[137:138], v[137:138], v[122:123], v[124:125]
	v_fma_f64 v[122:123], v[124:125], v[137:138], v[122:123]
	v_div_scale_f64 v[124:125], null, v[122:123], v[122:123], 1.0
	v_rcp_f64_e32 v[139:140], v[124:125]
	v_fma_f64 v[141:142], -v[124:125], v[139:140], 1.0
	v_fma_f64 v[139:140], v[139:140], v[141:142], v[139:140]
	v_fma_f64 v[141:142], -v[124:125], v[139:140], 1.0
	v_fma_f64 v[139:140], v[139:140], v[141:142], v[139:140]
	v_div_scale_f64 v[141:142], vcc_lo, 1.0, v[122:123], 1.0
	v_mul_f64 v[143:144], v[141:142], v[139:140]
	v_fma_f64 v[124:125], -v[124:125], v[143:144], v[141:142]
	v_div_fmas_f64 v[124:125], v[124:125], v[139:140], v[143:144]
	v_div_fixup_f64 v[122:123], v[124:125], v[122:123], 1.0
	v_mul_f64 v[124:125], v[137:138], -v[122:123]
.LBB58_114:
	s_or_b32 exec_lo, exec_lo, s1
.LBB58_115:
	s_or_b32 exec_lo, exec_lo, s0
	s_mov_b32 s0, exec_lo
	v_cmpx_ne_u32_e64 v136, v130
	s_xor_b32 s0, exec_lo, s0
	s_cbranch_execz .LBB58_121
; %bb.116:
	s_mov_b32 s1, exec_lo
	v_cmpx_eq_u32_e32 5, v136
	s_cbranch_execz .LBB58_120
; %bb.117:
	v_cmp_ne_u32_e32 vcc_lo, 5, v130
	s_xor_b32 s2, s16, -1
	s_and_b32 s3, s2, vcc_lo
	s_and_saveexec_b32 s2, s3
	s_cbranch_execz .LBB58_119
; %bb.118:
	v_ashrrev_i32_e32 v131, 31, v130
	v_lshlrev_b64 v[136:137], 2, v[130:131]
	v_add_co_u32 v136, vcc_lo, v128, v136
	v_add_co_ci_u32_e64 v137, null, v129, v137, vcc_lo
	s_clause 0x1
	global_load_dword v0, v[136:137], off
	global_load_dword v131, v[128:129], off offset:20
	s_waitcnt vmcnt(1)
	global_store_dword v[128:129], v0, off offset:20
	s_waitcnt vmcnt(0)
	global_store_dword v[136:137], v131, off
.LBB58_119:
	s_or_b32 exec_lo, exec_lo, s2
	v_mov_b32_e32 v136, v130
	v_mov_b32_e32 v0, v130
.LBB58_120:
	s_or_b32 exec_lo, exec_lo, s1
.LBB58_121:
	s_andn2_saveexec_b32 s0, s0
	s_cbranch_execz .LBB58_123
; %bb.122:
	v_mov_b32_e32 v136, 5
	ds_write2_b64 v1, v[94:95], v[96:97] offset0:12 offset1:13
	ds_write2_b64 v1, v[90:91], v[92:93] offset0:14 offset1:15
	;; [unrolled: 1-line block ×24, first 2 shown]
.LBB58_123:
	s_or_b32 exec_lo, exec_lo, s0
	s_mov_b32 s0, exec_lo
	s_waitcnt lgkmcnt(0)
	s_waitcnt_vscnt null, 0x0
	s_barrier
	buffer_gl0_inv
	v_cmpx_lt_i32_e32 5, v136
	s_cbranch_execz .LBB58_125
; %bb.124:
	v_mul_f64 v[130:131], v[124:125], v[100:101]
	v_mul_f64 v[100:101], v[122:123], v[100:101]
	v_fma_f64 v[130:131], v[122:123], v[98:99], -v[130:131]
	v_fma_f64 v[100:101], v[124:125], v[98:99], v[100:101]
	ds_read2_b64 v[122:125], v1 offset0:12 offset1:13
	s_waitcnt lgkmcnt(0)
	v_mul_f64 v[98:99], v[124:125], v[100:101]
	v_fma_f64 v[98:99], v[122:123], v[130:131], -v[98:99]
	v_mul_f64 v[122:123], v[122:123], v[100:101]
	v_add_f64 v[94:95], v[94:95], -v[98:99]
	v_fma_f64 v[122:123], v[124:125], v[130:131], v[122:123]
	v_add_f64 v[96:97], v[96:97], -v[122:123]
	ds_read2_b64 v[122:125], v1 offset0:14 offset1:15
	s_waitcnt lgkmcnt(0)
	v_mul_f64 v[98:99], v[124:125], v[100:101]
	v_fma_f64 v[98:99], v[122:123], v[130:131], -v[98:99]
	v_mul_f64 v[122:123], v[122:123], v[100:101]
	v_add_f64 v[90:91], v[90:91], -v[98:99]
	v_fma_f64 v[122:123], v[124:125], v[130:131], v[122:123]
	v_add_f64 v[92:93], v[92:93], -v[122:123]
	;; [unrolled: 8-line block ×23, first 2 shown]
	ds_read2_b64 v[122:125], v1 offset0:58 offset1:59
	s_waitcnt lgkmcnt(0)
	v_mul_f64 v[98:99], v[124:125], v[100:101]
	v_fma_f64 v[98:99], v[122:123], v[130:131], -v[98:99]
	v_mul_f64 v[122:123], v[122:123], v[100:101]
	v_add_f64 v[2:3], v[2:3], -v[98:99]
	v_fma_f64 v[122:123], v[124:125], v[130:131], v[122:123]
	v_mov_b32_e32 v98, v130
	v_mov_b32_e32 v99, v131
	v_add_f64 v[4:5], v[4:5], -v[122:123]
.LBB58_125:
	s_or_b32 exec_lo, exec_lo, s0
	v_lshl_add_u32 v122, v136, 4, v1
	s_barrier
	buffer_gl0_inv
	v_mov_b32_e32 v130, 6
	ds_write2_b64 v122, v[94:95], v[96:97] offset1:1
	s_waitcnt lgkmcnt(0)
	s_barrier
	buffer_gl0_inv
	ds_read2_b64 v[122:125], v1 offset0:12 offset1:13
	s_cmp_lt_i32 s18, 8
	s_cbranch_scc1 .LBB58_128
; %bb.126:
	v_add3_u32 v131, v132, 0, 0x70
	v_mov_b32_e32 v130, 6
	s_mov_b32 s1, 7
	s_inst_prefetch 0x1
	.p2align	6
.LBB58_127:                             ; =>This Inner Loop Header: Depth=1
	s_waitcnt lgkmcnt(0)
	v_cmp_gt_f64_e32 vcc_lo, 0, v[124:125]
	v_cmp_gt_f64_e64 s0, 0, v[122:123]
	ds_read2_b64 v[137:140], v131 offset1:1
	v_xor_b32_e32 v142, 0x80000000, v123
	v_xor_b32_e32 v144, 0x80000000, v125
	v_mov_b32_e32 v141, v122
	v_mov_b32_e32 v143, v124
	v_add_nc_u32_e32 v131, 16, v131
	s_waitcnt lgkmcnt(0)
	v_xor_b32_e32 v146, 0x80000000, v140
	v_cndmask_b32_e64 v142, v123, v142, s0
	v_cndmask_b32_e32 v144, v125, v144, vcc_lo
	v_cmp_gt_f64_e32 vcc_lo, 0, v[139:140]
	v_cmp_gt_f64_e64 s0, 0, v[137:138]
	v_mov_b32_e32 v145, v139
	v_add_f64 v[141:142], v[141:142], v[143:144]
	v_xor_b32_e32 v144, 0x80000000, v138
	v_mov_b32_e32 v143, v137
	v_cndmask_b32_e32 v146, v140, v146, vcc_lo
	v_cndmask_b32_e64 v144, v138, v144, s0
	v_add_f64 v[143:144], v[143:144], v[145:146]
	v_cmp_lt_f64_e32 vcc_lo, v[141:142], v[143:144]
	v_cndmask_b32_e32 v123, v123, v138, vcc_lo
	v_cndmask_b32_e32 v122, v122, v137, vcc_lo
	;; [unrolled: 1-line block ×4, first 2 shown]
	v_cndmask_b32_e64 v130, v130, s1, vcc_lo
	s_add_i32 s1, s1, 1
	s_cmp_lg_u32 s18, s1
	s_cbranch_scc1 .LBB58_127
.LBB58_128:
	s_inst_prefetch 0x2
	s_waitcnt lgkmcnt(0)
	v_cmp_eq_f64_e32 vcc_lo, 0, v[122:123]
	v_cmp_eq_f64_e64 s0, 0, v[124:125]
	s_and_b32 s0, vcc_lo, s0
	s_and_saveexec_b32 s1, s0
	s_xor_b32 s0, exec_lo, s1
; %bb.129:
	v_cmp_ne_u32_e32 vcc_lo, 0, v135
	v_cndmask_b32_e32 v135, 7, v135, vcc_lo
; %bb.130:
	s_andn2_saveexec_b32 s0, s0
	s_cbranch_execz .LBB58_136
; %bb.131:
	v_cmp_ngt_f64_e64 s1, |v[122:123]|, |v[124:125]|
	s_and_saveexec_b32 s2, s1
	s_xor_b32 s1, exec_lo, s2
	s_cbranch_execz .LBB58_133
; %bb.132:
	v_div_scale_f64 v[137:138], null, v[124:125], v[124:125], v[122:123]
	v_div_scale_f64 v[143:144], vcc_lo, v[122:123], v[124:125], v[122:123]
	v_rcp_f64_e32 v[139:140], v[137:138]
	v_fma_f64 v[141:142], -v[137:138], v[139:140], 1.0
	v_fma_f64 v[139:140], v[139:140], v[141:142], v[139:140]
	v_fma_f64 v[141:142], -v[137:138], v[139:140], 1.0
	v_fma_f64 v[139:140], v[139:140], v[141:142], v[139:140]
	v_mul_f64 v[141:142], v[143:144], v[139:140]
	v_fma_f64 v[137:138], -v[137:138], v[141:142], v[143:144]
	v_div_fmas_f64 v[137:138], v[137:138], v[139:140], v[141:142]
	v_div_fixup_f64 v[137:138], v[137:138], v[124:125], v[122:123]
	v_fma_f64 v[122:123], v[122:123], v[137:138], v[124:125]
	v_div_scale_f64 v[124:125], null, v[122:123], v[122:123], 1.0
	v_rcp_f64_e32 v[139:140], v[124:125]
	v_fma_f64 v[141:142], -v[124:125], v[139:140], 1.0
	v_fma_f64 v[139:140], v[139:140], v[141:142], v[139:140]
	v_fma_f64 v[141:142], -v[124:125], v[139:140], 1.0
	v_fma_f64 v[139:140], v[139:140], v[141:142], v[139:140]
	v_div_scale_f64 v[141:142], vcc_lo, 1.0, v[122:123], 1.0
	v_mul_f64 v[143:144], v[141:142], v[139:140]
	v_fma_f64 v[124:125], -v[124:125], v[143:144], v[141:142]
	v_div_fmas_f64 v[124:125], v[124:125], v[139:140], v[143:144]
	v_div_fixup_f64 v[124:125], v[124:125], v[122:123], 1.0
	v_mul_f64 v[122:123], v[137:138], v[124:125]
	v_xor_b32_e32 v125, 0x80000000, v125
.LBB58_133:
	s_andn2_saveexec_b32 s1, s1
	s_cbranch_execz .LBB58_135
; %bb.134:
	v_div_scale_f64 v[137:138], null, v[122:123], v[122:123], v[124:125]
	v_div_scale_f64 v[143:144], vcc_lo, v[124:125], v[122:123], v[124:125]
	v_rcp_f64_e32 v[139:140], v[137:138]
	v_fma_f64 v[141:142], -v[137:138], v[139:140], 1.0
	v_fma_f64 v[139:140], v[139:140], v[141:142], v[139:140]
	v_fma_f64 v[141:142], -v[137:138], v[139:140], 1.0
	v_fma_f64 v[139:140], v[139:140], v[141:142], v[139:140]
	v_mul_f64 v[141:142], v[143:144], v[139:140]
	v_fma_f64 v[137:138], -v[137:138], v[141:142], v[143:144]
	v_div_fmas_f64 v[137:138], v[137:138], v[139:140], v[141:142]
	v_div_fixup_f64 v[137:138], v[137:138], v[122:123], v[124:125]
	v_fma_f64 v[122:123], v[124:125], v[137:138], v[122:123]
	v_div_scale_f64 v[124:125], null, v[122:123], v[122:123], 1.0
	v_rcp_f64_e32 v[139:140], v[124:125]
	v_fma_f64 v[141:142], -v[124:125], v[139:140], 1.0
	v_fma_f64 v[139:140], v[139:140], v[141:142], v[139:140]
	v_fma_f64 v[141:142], -v[124:125], v[139:140], 1.0
	v_fma_f64 v[139:140], v[139:140], v[141:142], v[139:140]
	v_div_scale_f64 v[141:142], vcc_lo, 1.0, v[122:123], 1.0
	v_mul_f64 v[143:144], v[141:142], v[139:140]
	v_fma_f64 v[124:125], -v[124:125], v[143:144], v[141:142]
	v_div_fmas_f64 v[124:125], v[124:125], v[139:140], v[143:144]
	v_div_fixup_f64 v[122:123], v[124:125], v[122:123], 1.0
	v_mul_f64 v[124:125], v[137:138], -v[122:123]
.LBB58_135:
	s_or_b32 exec_lo, exec_lo, s1
.LBB58_136:
	s_or_b32 exec_lo, exec_lo, s0
	s_mov_b32 s0, exec_lo
	v_cmpx_ne_u32_e64 v136, v130
	s_xor_b32 s0, exec_lo, s0
	s_cbranch_execz .LBB58_142
; %bb.137:
	s_mov_b32 s1, exec_lo
	v_cmpx_eq_u32_e32 6, v136
	s_cbranch_execz .LBB58_141
; %bb.138:
	v_cmp_ne_u32_e32 vcc_lo, 6, v130
	s_xor_b32 s2, s16, -1
	s_and_b32 s3, s2, vcc_lo
	s_and_saveexec_b32 s2, s3
	s_cbranch_execz .LBB58_140
; %bb.139:
	v_ashrrev_i32_e32 v131, 31, v130
	v_lshlrev_b64 v[136:137], 2, v[130:131]
	v_add_co_u32 v136, vcc_lo, v128, v136
	v_add_co_ci_u32_e64 v137, null, v129, v137, vcc_lo
	s_clause 0x1
	global_load_dword v0, v[136:137], off
	global_load_dword v131, v[128:129], off offset:24
	s_waitcnt vmcnt(1)
	global_store_dword v[128:129], v0, off offset:24
	s_waitcnt vmcnt(0)
	global_store_dword v[136:137], v131, off
.LBB58_140:
	s_or_b32 exec_lo, exec_lo, s2
	v_mov_b32_e32 v136, v130
	v_mov_b32_e32 v0, v130
.LBB58_141:
	s_or_b32 exec_lo, exec_lo, s1
.LBB58_142:
	s_andn2_saveexec_b32 s0, s0
	s_cbranch_execz .LBB58_144
; %bb.143:
	v_mov_b32_e32 v136, 6
	ds_write2_b64 v1, v[90:91], v[92:93] offset0:14 offset1:15
	ds_write2_b64 v1, v[86:87], v[88:89] offset0:16 offset1:17
	;; [unrolled: 1-line block ×23, first 2 shown]
.LBB58_144:
	s_or_b32 exec_lo, exec_lo, s0
	s_mov_b32 s0, exec_lo
	s_waitcnt lgkmcnt(0)
	s_waitcnt_vscnt null, 0x0
	s_barrier
	buffer_gl0_inv
	v_cmpx_lt_i32_e32 6, v136
	s_cbranch_execz .LBB58_146
; %bb.145:
	v_mul_f64 v[130:131], v[124:125], v[96:97]
	v_mul_f64 v[96:97], v[122:123], v[96:97]
	v_fma_f64 v[130:131], v[122:123], v[94:95], -v[130:131]
	v_fma_f64 v[96:97], v[124:125], v[94:95], v[96:97]
	ds_read2_b64 v[122:125], v1 offset0:14 offset1:15
	s_waitcnt lgkmcnt(0)
	v_mul_f64 v[94:95], v[124:125], v[96:97]
	v_fma_f64 v[94:95], v[122:123], v[130:131], -v[94:95]
	v_mul_f64 v[122:123], v[122:123], v[96:97]
	v_add_f64 v[90:91], v[90:91], -v[94:95]
	v_fma_f64 v[122:123], v[124:125], v[130:131], v[122:123]
	v_add_f64 v[92:93], v[92:93], -v[122:123]
	ds_read2_b64 v[122:125], v1 offset0:16 offset1:17
	s_waitcnt lgkmcnt(0)
	v_mul_f64 v[94:95], v[124:125], v[96:97]
	v_fma_f64 v[94:95], v[122:123], v[130:131], -v[94:95]
	v_mul_f64 v[122:123], v[122:123], v[96:97]
	v_add_f64 v[86:87], v[86:87], -v[94:95]
	v_fma_f64 v[122:123], v[124:125], v[130:131], v[122:123]
	v_add_f64 v[88:89], v[88:89], -v[122:123]
	;; [unrolled: 8-line block ×22, first 2 shown]
	ds_read2_b64 v[122:125], v1 offset0:58 offset1:59
	s_waitcnt lgkmcnt(0)
	v_mul_f64 v[94:95], v[124:125], v[96:97]
	v_fma_f64 v[94:95], v[122:123], v[130:131], -v[94:95]
	v_mul_f64 v[122:123], v[122:123], v[96:97]
	v_add_f64 v[2:3], v[2:3], -v[94:95]
	v_fma_f64 v[122:123], v[124:125], v[130:131], v[122:123]
	v_mov_b32_e32 v94, v130
	v_mov_b32_e32 v95, v131
	v_add_f64 v[4:5], v[4:5], -v[122:123]
.LBB58_146:
	s_or_b32 exec_lo, exec_lo, s0
	v_lshl_add_u32 v122, v136, 4, v1
	s_barrier
	buffer_gl0_inv
	v_mov_b32_e32 v130, 7
	ds_write2_b64 v122, v[90:91], v[92:93] offset1:1
	s_waitcnt lgkmcnt(0)
	s_barrier
	buffer_gl0_inv
	ds_read2_b64 v[122:125], v1 offset0:14 offset1:15
	s_cmp_lt_i32 s18, 9
	s_cbranch_scc1 .LBB58_149
; %bb.147:
	v_add3_u32 v131, v132, 0, 0x80
	v_mov_b32_e32 v130, 7
	s_mov_b32 s1, 8
	s_inst_prefetch 0x1
	.p2align	6
.LBB58_148:                             ; =>This Inner Loop Header: Depth=1
	s_waitcnt lgkmcnt(0)
	v_cmp_gt_f64_e32 vcc_lo, 0, v[124:125]
	v_cmp_gt_f64_e64 s0, 0, v[122:123]
	ds_read2_b64 v[137:140], v131 offset1:1
	v_xor_b32_e32 v142, 0x80000000, v123
	v_xor_b32_e32 v144, 0x80000000, v125
	v_mov_b32_e32 v141, v122
	v_mov_b32_e32 v143, v124
	v_add_nc_u32_e32 v131, 16, v131
	s_waitcnt lgkmcnt(0)
	v_xor_b32_e32 v146, 0x80000000, v140
	v_cndmask_b32_e64 v142, v123, v142, s0
	v_cndmask_b32_e32 v144, v125, v144, vcc_lo
	v_cmp_gt_f64_e32 vcc_lo, 0, v[139:140]
	v_cmp_gt_f64_e64 s0, 0, v[137:138]
	v_mov_b32_e32 v145, v139
	v_add_f64 v[141:142], v[141:142], v[143:144]
	v_xor_b32_e32 v144, 0x80000000, v138
	v_mov_b32_e32 v143, v137
	v_cndmask_b32_e32 v146, v140, v146, vcc_lo
	v_cndmask_b32_e64 v144, v138, v144, s0
	v_add_f64 v[143:144], v[143:144], v[145:146]
	v_cmp_lt_f64_e32 vcc_lo, v[141:142], v[143:144]
	v_cndmask_b32_e32 v123, v123, v138, vcc_lo
	v_cndmask_b32_e32 v122, v122, v137, vcc_lo
	;; [unrolled: 1-line block ×4, first 2 shown]
	v_cndmask_b32_e64 v130, v130, s1, vcc_lo
	s_add_i32 s1, s1, 1
	s_cmp_lg_u32 s18, s1
	s_cbranch_scc1 .LBB58_148
.LBB58_149:
	s_inst_prefetch 0x2
	s_waitcnt lgkmcnt(0)
	v_cmp_eq_f64_e32 vcc_lo, 0, v[122:123]
	v_cmp_eq_f64_e64 s0, 0, v[124:125]
	s_and_b32 s0, vcc_lo, s0
	s_and_saveexec_b32 s1, s0
	s_xor_b32 s0, exec_lo, s1
; %bb.150:
	v_cmp_ne_u32_e32 vcc_lo, 0, v135
	v_cndmask_b32_e32 v135, 8, v135, vcc_lo
; %bb.151:
	s_andn2_saveexec_b32 s0, s0
	s_cbranch_execz .LBB58_157
; %bb.152:
	v_cmp_ngt_f64_e64 s1, |v[122:123]|, |v[124:125]|
	s_and_saveexec_b32 s2, s1
	s_xor_b32 s1, exec_lo, s2
	s_cbranch_execz .LBB58_154
; %bb.153:
	v_div_scale_f64 v[137:138], null, v[124:125], v[124:125], v[122:123]
	v_div_scale_f64 v[143:144], vcc_lo, v[122:123], v[124:125], v[122:123]
	v_rcp_f64_e32 v[139:140], v[137:138]
	v_fma_f64 v[141:142], -v[137:138], v[139:140], 1.0
	v_fma_f64 v[139:140], v[139:140], v[141:142], v[139:140]
	v_fma_f64 v[141:142], -v[137:138], v[139:140], 1.0
	v_fma_f64 v[139:140], v[139:140], v[141:142], v[139:140]
	v_mul_f64 v[141:142], v[143:144], v[139:140]
	v_fma_f64 v[137:138], -v[137:138], v[141:142], v[143:144]
	v_div_fmas_f64 v[137:138], v[137:138], v[139:140], v[141:142]
	v_div_fixup_f64 v[137:138], v[137:138], v[124:125], v[122:123]
	v_fma_f64 v[122:123], v[122:123], v[137:138], v[124:125]
	v_div_scale_f64 v[124:125], null, v[122:123], v[122:123], 1.0
	v_rcp_f64_e32 v[139:140], v[124:125]
	v_fma_f64 v[141:142], -v[124:125], v[139:140], 1.0
	v_fma_f64 v[139:140], v[139:140], v[141:142], v[139:140]
	v_fma_f64 v[141:142], -v[124:125], v[139:140], 1.0
	v_fma_f64 v[139:140], v[139:140], v[141:142], v[139:140]
	v_div_scale_f64 v[141:142], vcc_lo, 1.0, v[122:123], 1.0
	v_mul_f64 v[143:144], v[141:142], v[139:140]
	v_fma_f64 v[124:125], -v[124:125], v[143:144], v[141:142]
	v_div_fmas_f64 v[124:125], v[124:125], v[139:140], v[143:144]
	v_div_fixup_f64 v[124:125], v[124:125], v[122:123], 1.0
	v_mul_f64 v[122:123], v[137:138], v[124:125]
	v_xor_b32_e32 v125, 0x80000000, v125
.LBB58_154:
	s_andn2_saveexec_b32 s1, s1
	s_cbranch_execz .LBB58_156
; %bb.155:
	v_div_scale_f64 v[137:138], null, v[122:123], v[122:123], v[124:125]
	v_div_scale_f64 v[143:144], vcc_lo, v[124:125], v[122:123], v[124:125]
	v_rcp_f64_e32 v[139:140], v[137:138]
	v_fma_f64 v[141:142], -v[137:138], v[139:140], 1.0
	v_fma_f64 v[139:140], v[139:140], v[141:142], v[139:140]
	v_fma_f64 v[141:142], -v[137:138], v[139:140], 1.0
	v_fma_f64 v[139:140], v[139:140], v[141:142], v[139:140]
	v_mul_f64 v[141:142], v[143:144], v[139:140]
	v_fma_f64 v[137:138], -v[137:138], v[141:142], v[143:144]
	v_div_fmas_f64 v[137:138], v[137:138], v[139:140], v[141:142]
	v_div_fixup_f64 v[137:138], v[137:138], v[122:123], v[124:125]
	v_fma_f64 v[122:123], v[124:125], v[137:138], v[122:123]
	v_div_scale_f64 v[124:125], null, v[122:123], v[122:123], 1.0
	v_rcp_f64_e32 v[139:140], v[124:125]
	v_fma_f64 v[141:142], -v[124:125], v[139:140], 1.0
	v_fma_f64 v[139:140], v[139:140], v[141:142], v[139:140]
	v_fma_f64 v[141:142], -v[124:125], v[139:140], 1.0
	v_fma_f64 v[139:140], v[139:140], v[141:142], v[139:140]
	v_div_scale_f64 v[141:142], vcc_lo, 1.0, v[122:123], 1.0
	v_mul_f64 v[143:144], v[141:142], v[139:140]
	v_fma_f64 v[124:125], -v[124:125], v[143:144], v[141:142]
	v_div_fmas_f64 v[124:125], v[124:125], v[139:140], v[143:144]
	v_div_fixup_f64 v[122:123], v[124:125], v[122:123], 1.0
	v_mul_f64 v[124:125], v[137:138], -v[122:123]
.LBB58_156:
	s_or_b32 exec_lo, exec_lo, s1
.LBB58_157:
	s_or_b32 exec_lo, exec_lo, s0
	s_mov_b32 s0, exec_lo
	v_cmpx_ne_u32_e64 v136, v130
	s_xor_b32 s0, exec_lo, s0
	s_cbranch_execz .LBB58_163
; %bb.158:
	s_mov_b32 s1, exec_lo
	v_cmpx_eq_u32_e32 7, v136
	s_cbranch_execz .LBB58_162
; %bb.159:
	v_cmp_ne_u32_e32 vcc_lo, 7, v130
	s_xor_b32 s2, s16, -1
	s_and_b32 s3, s2, vcc_lo
	s_and_saveexec_b32 s2, s3
	s_cbranch_execz .LBB58_161
; %bb.160:
	v_ashrrev_i32_e32 v131, 31, v130
	v_lshlrev_b64 v[136:137], 2, v[130:131]
	v_add_co_u32 v136, vcc_lo, v128, v136
	v_add_co_ci_u32_e64 v137, null, v129, v137, vcc_lo
	s_clause 0x1
	global_load_dword v0, v[136:137], off
	global_load_dword v131, v[128:129], off offset:28
	s_waitcnt vmcnt(1)
	global_store_dword v[128:129], v0, off offset:28
	s_waitcnt vmcnt(0)
	global_store_dword v[136:137], v131, off
.LBB58_161:
	s_or_b32 exec_lo, exec_lo, s2
	v_mov_b32_e32 v136, v130
	v_mov_b32_e32 v0, v130
.LBB58_162:
	s_or_b32 exec_lo, exec_lo, s1
.LBB58_163:
	s_andn2_saveexec_b32 s0, s0
	s_cbranch_execz .LBB58_165
; %bb.164:
	v_mov_b32_e32 v136, 7
	ds_write2_b64 v1, v[86:87], v[88:89] offset0:16 offset1:17
	ds_write2_b64 v1, v[82:83], v[84:85] offset0:18 offset1:19
	;; [unrolled: 1-line block ×22, first 2 shown]
.LBB58_165:
	s_or_b32 exec_lo, exec_lo, s0
	s_mov_b32 s0, exec_lo
	s_waitcnt lgkmcnt(0)
	s_waitcnt_vscnt null, 0x0
	s_barrier
	buffer_gl0_inv
	v_cmpx_lt_i32_e32 7, v136
	s_cbranch_execz .LBB58_167
; %bb.166:
	v_mul_f64 v[130:131], v[124:125], v[92:93]
	v_mul_f64 v[92:93], v[122:123], v[92:93]
	v_fma_f64 v[130:131], v[122:123], v[90:91], -v[130:131]
	v_fma_f64 v[92:93], v[124:125], v[90:91], v[92:93]
	ds_read2_b64 v[122:125], v1 offset0:16 offset1:17
	s_waitcnt lgkmcnt(0)
	v_mul_f64 v[90:91], v[124:125], v[92:93]
	v_fma_f64 v[90:91], v[122:123], v[130:131], -v[90:91]
	v_mul_f64 v[122:123], v[122:123], v[92:93]
	v_add_f64 v[86:87], v[86:87], -v[90:91]
	v_fma_f64 v[122:123], v[124:125], v[130:131], v[122:123]
	v_add_f64 v[88:89], v[88:89], -v[122:123]
	ds_read2_b64 v[122:125], v1 offset0:18 offset1:19
	s_waitcnt lgkmcnt(0)
	v_mul_f64 v[90:91], v[124:125], v[92:93]
	v_fma_f64 v[90:91], v[122:123], v[130:131], -v[90:91]
	v_mul_f64 v[122:123], v[122:123], v[92:93]
	v_add_f64 v[82:83], v[82:83], -v[90:91]
	v_fma_f64 v[122:123], v[124:125], v[130:131], v[122:123]
	v_add_f64 v[84:85], v[84:85], -v[122:123]
	;; [unrolled: 8-line block ×21, first 2 shown]
	ds_read2_b64 v[122:125], v1 offset0:58 offset1:59
	s_waitcnt lgkmcnt(0)
	v_mul_f64 v[90:91], v[124:125], v[92:93]
	v_fma_f64 v[90:91], v[122:123], v[130:131], -v[90:91]
	v_mul_f64 v[122:123], v[122:123], v[92:93]
	v_add_f64 v[2:3], v[2:3], -v[90:91]
	v_fma_f64 v[122:123], v[124:125], v[130:131], v[122:123]
	v_mov_b32_e32 v90, v130
	v_mov_b32_e32 v91, v131
	v_add_f64 v[4:5], v[4:5], -v[122:123]
.LBB58_167:
	s_or_b32 exec_lo, exec_lo, s0
	v_lshl_add_u32 v122, v136, 4, v1
	s_barrier
	buffer_gl0_inv
	v_mov_b32_e32 v130, 8
	ds_write2_b64 v122, v[86:87], v[88:89] offset1:1
	s_waitcnt lgkmcnt(0)
	s_barrier
	buffer_gl0_inv
	ds_read2_b64 v[122:125], v1 offset0:16 offset1:17
	s_cmp_lt_i32 s18, 10
	s_cbranch_scc1 .LBB58_170
; %bb.168:
	v_add3_u32 v131, v132, 0, 0x90
	v_mov_b32_e32 v130, 8
	s_mov_b32 s1, 9
	s_inst_prefetch 0x1
	.p2align	6
.LBB58_169:                             ; =>This Inner Loop Header: Depth=1
	s_waitcnt lgkmcnt(0)
	v_cmp_gt_f64_e32 vcc_lo, 0, v[124:125]
	v_cmp_gt_f64_e64 s0, 0, v[122:123]
	ds_read2_b64 v[137:140], v131 offset1:1
	v_xor_b32_e32 v142, 0x80000000, v123
	v_xor_b32_e32 v144, 0x80000000, v125
	v_mov_b32_e32 v141, v122
	v_mov_b32_e32 v143, v124
	v_add_nc_u32_e32 v131, 16, v131
	s_waitcnt lgkmcnt(0)
	v_xor_b32_e32 v146, 0x80000000, v140
	v_cndmask_b32_e64 v142, v123, v142, s0
	v_cndmask_b32_e32 v144, v125, v144, vcc_lo
	v_cmp_gt_f64_e32 vcc_lo, 0, v[139:140]
	v_cmp_gt_f64_e64 s0, 0, v[137:138]
	v_mov_b32_e32 v145, v139
	v_add_f64 v[141:142], v[141:142], v[143:144]
	v_xor_b32_e32 v144, 0x80000000, v138
	v_mov_b32_e32 v143, v137
	v_cndmask_b32_e32 v146, v140, v146, vcc_lo
	v_cndmask_b32_e64 v144, v138, v144, s0
	v_add_f64 v[143:144], v[143:144], v[145:146]
	v_cmp_lt_f64_e32 vcc_lo, v[141:142], v[143:144]
	v_cndmask_b32_e32 v123, v123, v138, vcc_lo
	v_cndmask_b32_e32 v122, v122, v137, vcc_lo
	;; [unrolled: 1-line block ×4, first 2 shown]
	v_cndmask_b32_e64 v130, v130, s1, vcc_lo
	s_add_i32 s1, s1, 1
	s_cmp_lg_u32 s18, s1
	s_cbranch_scc1 .LBB58_169
.LBB58_170:
	s_inst_prefetch 0x2
	s_waitcnt lgkmcnt(0)
	v_cmp_eq_f64_e32 vcc_lo, 0, v[122:123]
	v_cmp_eq_f64_e64 s0, 0, v[124:125]
	s_and_b32 s0, vcc_lo, s0
	s_and_saveexec_b32 s1, s0
	s_xor_b32 s0, exec_lo, s1
; %bb.171:
	v_cmp_ne_u32_e32 vcc_lo, 0, v135
	v_cndmask_b32_e32 v135, 9, v135, vcc_lo
; %bb.172:
	s_andn2_saveexec_b32 s0, s0
	s_cbranch_execz .LBB58_178
; %bb.173:
	v_cmp_ngt_f64_e64 s1, |v[122:123]|, |v[124:125]|
	s_and_saveexec_b32 s2, s1
	s_xor_b32 s1, exec_lo, s2
	s_cbranch_execz .LBB58_175
; %bb.174:
	v_div_scale_f64 v[137:138], null, v[124:125], v[124:125], v[122:123]
	v_div_scale_f64 v[143:144], vcc_lo, v[122:123], v[124:125], v[122:123]
	v_rcp_f64_e32 v[139:140], v[137:138]
	v_fma_f64 v[141:142], -v[137:138], v[139:140], 1.0
	v_fma_f64 v[139:140], v[139:140], v[141:142], v[139:140]
	v_fma_f64 v[141:142], -v[137:138], v[139:140], 1.0
	v_fma_f64 v[139:140], v[139:140], v[141:142], v[139:140]
	v_mul_f64 v[141:142], v[143:144], v[139:140]
	v_fma_f64 v[137:138], -v[137:138], v[141:142], v[143:144]
	v_div_fmas_f64 v[137:138], v[137:138], v[139:140], v[141:142]
	v_div_fixup_f64 v[137:138], v[137:138], v[124:125], v[122:123]
	v_fma_f64 v[122:123], v[122:123], v[137:138], v[124:125]
	v_div_scale_f64 v[124:125], null, v[122:123], v[122:123], 1.0
	v_rcp_f64_e32 v[139:140], v[124:125]
	v_fma_f64 v[141:142], -v[124:125], v[139:140], 1.0
	v_fma_f64 v[139:140], v[139:140], v[141:142], v[139:140]
	v_fma_f64 v[141:142], -v[124:125], v[139:140], 1.0
	v_fma_f64 v[139:140], v[139:140], v[141:142], v[139:140]
	v_div_scale_f64 v[141:142], vcc_lo, 1.0, v[122:123], 1.0
	v_mul_f64 v[143:144], v[141:142], v[139:140]
	v_fma_f64 v[124:125], -v[124:125], v[143:144], v[141:142]
	v_div_fmas_f64 v[124:125], v[124:125], v[139:140], v[143:144]
	v_div_fixup_f64 v[124:125], v[124:125], v[122:123], 1.0
	v_mul_f64 v[122:123], v[137:138], v[124:125]
	v_xor_b32_e32 v125, 0x80000000, v125
.LBB58_175:
	s_andn2_saveexec_b32 s1, s1
	s_cbranch_execz .LBB58_177
; %bb.176:
	v_div_scale_f64 v[137:138], null, v[122:123], v[122:123], v[124:125]
	v_div_scale_f64 v[143:144], vcc_lo, v[124:125], v[122:123], v[124:125]
	v_rcp_f64_e32 v[139:140], v[137:138]
	v_fma_f64 v[141:142], -v[137:138], v[139:140], 1.0
	v_fma_f64 v[139:140], v[139:140], v[141:142], v[139:140]
	v_fma_f64 v[141:142], -v[137:138], v[139:140], 1.0
	v_fma_f64 v[139:140], v[139:140], v[141:142], v[139:140]
	v_mul_f64 v[141:142], v[143:144], v[139:140]
	v_fma_f64 v[137:138], -v[137:138], v[141:142], v[143:144]
	v_div_fmas_f64 v[137:138], v[137:138], v[139:140], v[141:142]
	v_div_fixup_f64 v[137:138], v[137:138], v[122:123], v[124:125]
	v_fma_f64 v[122:123], v[124:125], v[137:138], v[122:123]
	v_div_scale_f64 v[124:125], null, v[122:123], v[122:123], 1.0
	v_rcp_f64_e32 v[139:140], v[124:125]
	v_fma_f64 v[141:142], -v[124:125], v[139:140], 1.0
	v_fma_f64 v[139:140], v[139:140], v[141:142], v[139:140]
	v_fma_f64 v[141:142], -v[124:125], v[139:140], 1.0
	v_fma_f64 v[139:140], v[139:140], v[141:142], v[139:140]
	v_div_scale_f64 v[141:142], vcc_lo, 1.0, v[122:123], 1.0
	v_mul_f64 v[143:144], v[141:142], v[139:140]
	v_fma_f64 v[124:125], -v[124:125], v[143:144], v[141:142]
	v_div_fmas_f64 v[124:125], v[124:125], v[139:140], v[143:144]
	v_div_fixup_f64 v[122:123], v[124:125], v[122:123], 1.0
	v_mul_f64 v[124:125], v[137:138], -v[122:123]
.LBB58_177:
	s_or_b32 exec_lo, exec_lo, s1
.LBB58_178:
	s_or_b32 exec_lo, exec_lo, s0
	s_mov_b32 s0, exec_lo
	v_cmpx_ne_u32_e64 v136, v130
	s_xor_b32 s0, exec_lo, s0
	s_cbranch_execz .LBB58_184
; %bb.179:
	s_mov_b32 s1, exec_lo
	v_cmpx_eq_u32_e32 8, v136
	s_cbranch_execz .LBB58_183
; %bb.180:
	v_cmp_ne_u32_e32 vcc_lo, 8, v130
	s_xor_b32 s2, s16, -1
	s_and_b32 s3, s2, vcc_lo
	s_and_saveexec_b32 s2, s3
	s_cbranch_execz .LBB58_182
; %bb.181:
	v_ashrrev_i32_e32 v131, 31, v130
	v_lshlrev_b64 v[136:137], 2, v[130:131]
	v_add_co_u32 v136, vcc_lo, v128, v136
	v_add_co_ci_u32_e64 v137, null, v129, v137, vcc_lo
	s_clause 0x1
	global_load_dword v0, v[136:137], off
	global_load_dword v131, v[128:129], off offset:32
	s_waitcnt vmcnt(1)
	global_store_dword v[128:129], v0, off offset:32
	s_waitcnt vmcnt(0)
	global_store_dword v[136:137], v131, off
.LBB58_182:
	s_or_b32 exec_lo, exec_lo, s2
	v_mov_b32_e32 v136, v130
	v_mov_b32_e32 v0, v130
.LBB58_183:
	s_or_b32 exec_lo, exec_lo, s1
.LBB58_184:
	s_andn2_saveexec_b32 s0, s0
	s_cbranch_execz .LBB58_186
; %bb.185:
	v_mov_b32_e32 v136, 8
	ds_write2_b64 v1, v[82:83], v[84:85] offset0:18 offset1:19
	ds_write2_b64 v1, v[78:79], v[80:81] offset0:20 offset1:21
	;; [unrolled: 1-line block ×21, first 2 shown]
.LBB58_186:
	s_or_b32 exec_lo, exec_lo, s0
	s_mov_b32 s0, exec_lo
	s_waitcnt lgkmcnt(0)
	s_waitcnt_vscnt null, 0x0
	s_barrier
	buffer_gl0_inv
	v_cmpx_lt_i32_e32 8, v136
	s_cbranch_execz .LBB58_188
; %bb.187:
	v_mul_f64 v[130:131], v[124:125], v[88:89]
	v_mul_f64 v[88:89], v[122:123], v[88:89]
	v_fma_f64 v[130:131], v[122:123], v[86:87], -v[130:131]
	v_fma_f64 v[88:89], v[124:125], v[86:87], v[88:89]
	ds_read2_b64 v[122:125], v1 offset0:18 offset1:19
	s_waitcnt lgkmcnt(0)
	v_mul_f64 v[86:87], v[124:125], v[88:89]
	v_fma_f64 v[86:87], v[122:123], v[130:131], -v[86:87]
	v_mul_f64 v[122:123], v[122:123], v[88:89]
	v_add_f64 v[82:83], v[82:83], -v[86:87]
	v_fma_f64 v[122:123], v[124:125], v[130:131], v[122:123]
	v_add_f64 v[84:85], v[84:85], -v[122:123]
	ds_read2_b64 v[122:125], v1 offset0:20 offset1:21
	s_waitcnt lgkmcnt(0)
	v_mul_f64 v[86:87], v[124:125], v[88:89]
	v_fma_f64 v[86:87], v[122:123], v[130:131], -v[86:87]
	v_mul_f64 v[122:123], v[122:123], v[88:89]
	v_add_f64 v[78:79], v[78:79], -v[86:87]
	v_fma_f64 v[122:123], v[124:125], v[130:131], v[122:123]
	v_add_f64 v[80:81], v[80:81], -v[122:123]
	;; [unrolled: 8-line block ×20, first 2 shown]
	ds_read2_b64 v[122:125], v1 offset0:58 offset1:59
	s_waitcnt lgkmcnt(0)
	v_mul_f64 v[86:87], v[124:125], v[88:89]
	v_fma_f64 v[86:87], v[122:123], v[130:131], -v[86:87]
	v_mul_f64 v[122:123], v[122:123], v[88:89]
	v_add_f64 v[2:3], v[2:3], -v[86:87]
	v_fma_f64 v[122:123], v[124:125], v[130:131], v[122:123]
	v_mov_b32_e32 v86, v130
	v_mov_b32_e32 v87, v131
	v_add_f64 v[4:5], v[4:5], -v[122:123]
.LBB58_188:
	s_or_b32 exec_lo, exec_lo, s0
	v_lshl_add_u32 v122, v136, 4, v1
	s_barrier
	buffer_gl0_inv
	v_mov_b32_e32 v130, 9
	ds_write2_b64 v122, v[82:83], v[84:85] offset1:1
	s_waitcnt lgkmcnt(0)
	s_barrier
	buffer_gl0_inv
	ds_read2_b64 v[122:125], v1 offset0:18 offset1:19
	s_cmp_lt_i32 s18, 11
	s_cbranch_scc1 .LBB58_191
; %bb.189:
	v_add3_u32 v131, v132, 0, 0xa0
	v_mov_b32_e32 v130, 9
	s_mov_b32 s1, 10
	s_inst_prefetch 0x1
	.p2align	6
.LBB58_190:                             ; =>This Inner Loop Header: Depth=1
	s_waitcnt lgkmcnt(0)
	v_cmp_gt_f64_e32 vcc_lo, 0, v[124:125]
	v_cmp_gt_f64_e64 s0, 0, v[122:123]
	ds_read2_b64 v[137:140], v131 offset1:1
	v_xor_b32_e32 v142, 0x80000000, v123
	v_xor_b32_e32 v144, 0x80000000, v125
	v_mov_b32_e32 v141, v122
	v_mov_b32_e32 v143, v124
	v_add_nc_u32_e32 v131, 16, v131
	s_waitcnt lgkmcnt(0)
	v_xor_b32_e32 v146, 0x80000000, v140
	v_cndmask_b32_e64 v142, v123, v142, s0
	v_cndmask_b32_e32 v144, v125, v144, vcc_lo
	v_cmp_gt_f64_e32 vcc_lo, 0, v[139:140]
	v_cmp_gt_f64_e64 s0, 0, v[137:138]
	v_mov_b32_e32 v145, v139
	v_add_f64 v[141:142], v[141:142], v[143:144]
	v_xor_b32_e32 v144, 0x80000000, v138
	v_mov_b32_e32 v143, v137
	v_cndmask_b32_e32 v146, v140, v146, vcc_lo
	v_cndmask_b32_e64 v144, v138, v144, s0
	v_add_f64 v[143:144], v[143:144], v[145:146]
	v_cmp_lt_f64_e32 vcc_lo, v[141:142], v[143:144]
	v_cndmask_b32_e32 v123, v123, v138, vcc_lo
	v_cndmask_b32_e32 v122, v122, v137, vcc_lo
	;; [unrolled: 1-line block ×4, first 2 shown]
	v_cndmask_b32_e64 v130, v130, s1, vcc_lo
	s_add_i32 s1, s1, 1
	s_cmp_lg_u32 s18, s1
	s_cbranch_scc1 .LBB58_190
.LBB58_191:
	s_inst_prefetch 0x2
	s_waitcnt lgkmcnt(0)
	v_cmp_eq_f64_e32 vcc_lo, 0, v[122:123]
	v_cmp_eq_f64_e64 s0, 0, v[124:125]
	s_and_b32 s0, vcc_lo, s0
	s_and_saveexec_b32 s1, s0
	s_xor_b32 s0, exec_lo, s1
; %bb.192:
	v_cmp_ne_u32_e32 vcc_lo, 0, v135
	v_cndmask_b32_e32 v135, 10, v135, vcc_lo
; %bb.193:
	s_andn2_saveexec_b32 s0, s0
	s_cbranch_execz .LBB58_199
; %bb.194:
	v_cmp_ngt_f64_e64 s1, |v[122:123]|, |v[124:125]|
	s_and_saveexec_b32 s2, s1
	s_xor_b32 s1, exec_lo, s2
	s_cbranch_execz .LBB58_196
; %bb.195:
	v_div_scale_f64 v[137:138], null, v[124:125], v[124:125], v[122:123]
	v_div_scale_f64 v[143:144], vcc_lo, v[122:123], v[124:125], v[122:123]
	v_rcp_f64_e32 v[139:140], v[137:138]
	v_fma_f64 v[141:142], -v[137:138], v[139:140], 1.0
	v_fma_f64 v[139:140], v[139:140], v[141:142], v[139:140]
	v_fma_f64 v[141:142], -v[137:138], v[139:140], 1.0
	v_fma_f64 v[139:140], v[139:140], v[141:142], v[139:140]
	v_mul_f64 v[141:142], v[143:144], v[139:140]
	v_fma_f64 v[137:138], -v[137:138], v[141:142], v[143:144]
	v_div_fmas_f64 v[137:138], v[137:138], v[139:140], v[141:142]
	v_div_fixup_f64 v[137:138], v[137:138], v[124:125], v[122:123]
	v_fma_f64 v[122:123], v[122:123], v[137:138], v[124:125]
	v_div_scale_f64 v[124:125], null, v[122:123], v[122:123], 1.0
	v_rcp_f64_e32 v[139:140], v[124:125]
	v_fma_f64 v[141:142], -v[124:125], v[139:140], 1.0
	v_fma_f64 v[139:140], v[139:140], v[141:142], v[139:140]
	v_fma_f64 v[141:142], -v[124:125], v[139:140], 1.0
	v_fma_f64 v[139:140], v[139:140], v[141:142], v[139:140]
	v_div_scale_f64 v[141:142], vcc_lo, 1.0, v[122:123], 1.0
	v_mul_f64 v[143:144], v[141:142], v[139:140]
	v_fma_f64 v[124:125], -v[124:125], v[143:144], v[141:142]
	v_div_fmas_f64 v[124:125], v[124:125], v[139:140], v[143:144]
	v_div_fixup_f64 v[124:125], v[124:125], v[122:123], 1.0
	v_mul_f64 v[122:123], v[137:138], v[124:125]
	v_xor_b32_e32 v125, 0x80000000, v125
.LBB58_196:
	s_andn2_saveexec_b32 s1, s1
	s_cbranch_execz .LBB58_198
; %bb.197:
	v_div_scale_f64 v[137:138], null, v[122:123], v[122:123], v[124:125]
	v_div_scale_f64 v[143:144], vcc_lo, v[124:125], v[122:123], v[124:125]
	v_rcp_f64_e32 v[139:140], v[137:138]
	v_fma_f64 v[141:142], -v[137:138], v[139:140], 1.0
	v_fma_f64 v[139:140], v[139:140], v[141:142], v[139:140]
	v_fma_f64 v[141:142], -v[137:138], v[139:140], 1.0
	v_fma_f64 v[139:140], v[139:140], v[141:142], v[139:140]
	v_mul_f64 v[141:142], v[143:144], v[139:140]
	v_fma_f64 v[137:138], -v[137:138], v[141:142], v[143:144]
	v_div_fmas_f64 v[137:138], v[137:138], v[139:140], v[141:142]
	v_div_fixup_f64 v[137:138], v[137:138], v[122:123], v[124:125]
	v_fma_f64 v[122:123], v[124:125], v[137:138], v[122:123]
	v_div_scale_f64 v[124:125], null, v[122:123], v[122:123], 1.0
	v_rcp_f64_e32 v[139:140], v[124:125]
	v_fma_f64 v[141:142], -v[124:125], v[139:140], 1.0
	v_fma_f64 v[139:140], v[139:140], v[141:142], v[139:140]
	v_fma_f64 v[141:142], -v[124:125], v[139:140], 1.0
	v_fma_f64 v[139:140], v[139:140], v[141:142], v[139:140]
	v_div_scale_f64 v[141:142], vcc_lo, 1.0, v[122:123], 1.0
	v_mul_f64 v[143:144], v[141:142], v[139:140]
	v_fma_f64 v[124:125], -v[124:125], v[143:144], v[141:142]
	v_div_fmas_f64 v[124:125], v[124:125], v[139:140], v[143:144]
	v_div_fixup_f64 v[122:123], v[124:125], v[122:123], 1.0
	v_mul_f64 v[124:125], v[137:138], -v[122:123]
.LBB58_198:
	s_or_b32 exec_lo, exec_lo, s1
.LBB58_199:
	s_or_b32 exec_lo, exec_lo, s0
	s_mov_b32 s0, exec_lo
	v_cmpx_ne_u32_e64 v136, v130
	s_xor_b32 s0, exec_lo, s0
	s_cbranch_execz .LBB58_205
; %bb.200:
	s_mov_b32 s1, exec_lo
	v_cmpx_eq_u32_e32 9, v136
	s_cbranch_execz .LBB58_204
; %bb.201:
	v_cmp_ne_u32_e32 vcc_lo, 9, v130
	s_xor_b32 s2, s16, -1
	s_and_b32 s3, s2, vcc_lo
	s_and_saveexec_b32 s2, s3
	s_cbranch_execz .LBB58_203
; %bb.202:
	v_ashrrev_i32_e32 v131, 31, v130
	v_lshlrev_b64 v[136:137], 2, v[130:131]
	v_add_co_u32 v136, vcc_lo, v128, v136
	v_add_co_ci_u32_e64 v137, null, v129, v137, vcc_lo
	s_clause 0x1
	global_load_dword v0, v[136:137], off
	global_load_dword v131, v[128:129], off offset:36
	s_waitcnt vmcnt(1)
	global_store_dword v[128:129], v0, off offset:36
	s_waitcnt vmcnt(0)
	global_store_dword v[136:137], v131, off
.LBB58_203:
	s_or_b32 exec_lo, exec_lo, s2
	v_mov_b32_e32 v136, v130
	v_mov_b32_e32 v0, v130
.LBB58_204:
	s_or_b32 exec_lo, exec_lo, s1
.LBB58_205:
	s_andn2_saveexec_b32 s0, s0
	s_cbranch_execz .LBB58_207
; %bb.206:
	v_mov_b32_e32 v136, 9
	ds_write2_b64 v1, v[78:79], v[80:81] offset0:20 offset1:21
	ds_write2_b64 v1, v[74:75], v[76:77] offset0:22 offset1:23
	;; [unrolled: 1-line block ×20, first 2 shown]
.LBB58_207:
	s_or_b32 exec_lo, exec_lo, s0
	s_mov_b32 s0, exec_lo
	s_waitcnt lgkmcnt(0)
	s_waitcnt_vscnt null, 0x0
	s_barrier
	buffer_gl0_inv
	v_cmpx_lt_i32_e32 9, v136
	s_cbranch_execz .LBB58_209
; %bb.208:
	v_mul_f64 v[130:131], v[124:125], v[84:85]
	v_mul_f64 v[84:85], v[122:123], v[84:85]
	v_fma_f64 v[130:131], v[122:123], v[82:83], -v[130:131]
	v_fma_f64 v[84:85], v[124:125], v[82:83], v[84:85]
	ds_read2_b64 v[122:125], v1 offset0:20 offset1:21
	s_waitcnt lgkmcnt(0)
	v_mul_f64 v[82:83], v[124:125], v[84:85]
	v_fma_f64 v[82:83], v[122:123], v[130:131], -v[82:83]
	v_mul_f64 v[122:123], v[122:123], v[84:85]
	v_add_f64 v[78:79], v[78:79], -v[82:83]
	v_fma_f64 v[122:123], v[124:125], v[130:131], v[122:123]
	v_add_f64 v[80:81], v[80:81], -v[122:123]
	ds_read2_b64 v[122:125], v1 offset0:22 offset1:23
	s_waitcnt lgkmcnt(0)
	v_mul_f64 v[82:83], v[124:125], v[84:85]
	v_fma_f64 v[82:83], v[122:123], v[130:131], -v[82:83]
	v_mul_f64 v[122:123], v[122:123], v[84:85]
	v_add_f64 v[74:75], v[74:75], -v[82:83]
	v_fma_f64 v[122:123], v[124:125], v[130:131], v[122:123]
	v_add_f64 v[76:77], v[76:77], -v[122:123]
	;; [unrolled: 8-line block ×19, first 2 shown]
	ds_read2_b64 v[122:125], v1 offset0:58 offset1:59
	s_waitcnt lgkmcnt(0)
	v_mul_f64 v[82:83], v[124:125], v[84:85]
	v_fma_f64 v[82:83], v[122:123], v[130:131], -v[82:83]
	v_mul_f64 v[122:123], v[122:123], v[84:85]
	v_add_f64 v[2:3], v[2:3], -v[82:83]
	v_fma_f64 v[122:123], v[124:125], v[130:131], v[122:123]
	v_mov_b32_e32 v82, v130
	v_mov_b32_e32 v83, v131
	v_add_f64 v[4:5], v[4:5], -v[122:123]
.LBB58_209:
	s_or_b32 exec_lo, exec_lo, s0
	v_lshl_add_u32 v122, v136, 4, v1
	s_barrier
	buffer_gl0_inv
	v_mov_b32_e32 v130, 10
	ds_write2_b64 v122, v[78:79], v[80:81] offset1:1
	s_waitcnt lgkmcnt(0)
	s_barrier
	buffer_gl0_inv
	ds_read2_b64 v[122:125], v1 offset0:20 offset1:21
	s_cmp_lt_i32 s18, 12
	s_cbranch_scc1 .LBB58_212
; %bb.210:
	v_add3_u32 v131, v132, 0, 0xb0
	v_mov_b32_e32 v130, 10
	s_mov_b32 s1, 11
	s_inst_prefetch 0x1
	.p2align	6
.LBB58_211:                             ; =>This Inner Loop Header: Depth=1
	s_waitcnt lgkmcnt(0)
	v_cmp_gt_f64_e32 vcc_lo, 0, v[124:125]
	v_cmp_gt_f64_e64 s0, 0, v[122:123]
	ds_read2_b64 v[137:140], v131 offset1:1
	v_xor_b32_e32 v142, 0x80000000, v123
	v_xor_b32_e32 v144, 0x80000000, v125
	v_mov_b32_e32 v141, v122
	v_mov_b32_e32 v143, v124
	v_add_nc_u32_e32 v131, 16, v131
	s_waitcnt lgkmcnt(0)
	v_xor_b32_e32 v146, 0x80000000, v140
	v_cndmask_b32_e64 v142, v123, v142, s0
	v_cndmask_b32_e32 v144, v125, v144, vcc_lo
	v_cmp_gt_f64_e32 vcc_lo, 0, v[139:140]
	v_cmp_gt_f64_e64 s0, 0, v[137:138]
	v_mov_b32_e32 v145, v139
	v_add_f64 v[141:142], v[141:142], v[143:144]
	v_xor_b32_e32 v144, 0x80000000, v138
	v_mov_b32_e32 v143, v137
	v_cndmask_b32_e32 v146, v140, v146, vcc_lo
	v_cndmask_b32_e64 v144, v138, v144, s0
	v_add_f64 v[143:144], v[143:144], v[145:146]
	v_cmp_lt_f64_e32 vcc_lo, v[141:142], v[143:144]
	v_cndmask_b32_e32 v123, v123, v138, vcc_lo
	v_cndmask_b32_e32 v122, v122, v137, vcc_lo
	;; [unrolled: 1-line block ×4, first 2 shown]
	v_cndmask_b32_e64 v130, v130, s1, vcc_lo
	s_add_i32 s1, s1, 1
	s_cmp_lg_u32 s18, s1
	s_cbranch_scc1 .LBB58_211
.LBB58_212:
	s_inst_prefetch 0x2
	s_waitcnt lgkmcnt(0)
	v_cmp_eq_f64_e32 vcc_lo, 0, v[122:123]
	v_cmp_eq_f64_e64 s0, 0, v[124:125]
	s_and_b32 s0, vcc_lo, s0
	s_and_saveexec_b32 s1, s0
	s_xor_b32 s0, exec_lo, s1
; %bb.213:
	v_cmp_ne_u32_e32 vcc_lo, 0, v135
	v_cndmask_b32_e32 v135, 11, v135, vcc_lo
; %bb.214:
	s_andn2_saveexec_b32 s0, s0
	s_cbranch_execz .LBB58_220
; %bb.215:
	v_cmp_ngt_f64_e64 s1, |v[122:123]|, |v[124:125]|
	s_and_saveexec_b32 s2, s1
	s_xor_b32 s1, exec_lo, s2
	s_cbranch_execz .LBB58_217
; %bb.216:
	v_div_scale_f64 v[137:138], null, v[124:125], v[124:125], v[122:123]
	v_div_scale_f64 v[143:144], vcc_lo, v[122:123], v[124:125], v[122:123]
	v_rcp_f64_e32 v[139:140], v[137:138]
	v_fma_f64 v[141:142], -v[137:138], v[139:140], 1.0
	v_fma_f64 v[139:140], v[139:140], v[141:142], v[139:140]
	v_fma_f64 v[141:142], -v[137:138], v[139:140], 1.0
	v_fma_f64 v[139:140], v[139:140], v[141:142], v[139:140]
	v_mul_f64 v[141:142], v[143:144], v[139:140]
	v_fma_f64 v[137:138], -v[137:138], v[141:142], v[143:144]
	v_div_fmas_f64 v[137:138], v[137:138], v[139:140], v[141:142]
	v_div_fixup_f64 v[137:138], v[137:138], v[124:125], v[122:123]
	v_fma_f64 v[122:123], v[122:123], v[137:138], v[124:125]
	v_div_scale_f64 v[124:125], null, v[122:123], v[122:123], 1.0
	v_rcp_f64_e32 v[139:140], v[124:125]
	v_fma_f64 v[141:142], -v[124:125], v[139:140], 1.0
	v_fma_f64 v[139:140], v[139:140], v[141:142], v[139:140]
	v_fma_f64 v[141:142], -v[124:125], v[139:140], 1.0
	v_fma_f64 v[139:140], v[139:140], v[141:142], v[139:140]
	v_div_scale_f64 v[141:142], vcc_lo, 1.0, v[122:123], 1.0
	v_mul_f64 v[143:144], v[141:142], v[139:140]
	v_fma_f64 v[124:125], -v[124:125], v[143:144], v[141:142]
	v_div_fmas_f64 v[124:125], v[124:125], v[139:140], v[143:144]
	v_div_fixup_f64 v[124:125], v[124:125], v[122:123], 1.0
	v_mul_f64 v[122:123], v[137:138], v[124:125]
	v_xor_b32_e32 v125, 0x80000000, v125
.LBB58_217:
	s_andn2_saveexec_b32 s1, s1
	s_cbranch_execz .LBB58_219
; %bb.218:
	v_div_scale_f64 v[137:138], null, v[122:123], v[122:123], v[124:125]
	v_div_scale_f64 v[143:144], vcc_lo, v[124:125], v[122:123], v[124:125]
	v_rcp_f64_e32 v[139:140], v[137:138]
	v_fma_f64 v[141:142], -v[137:138], v[139:140], 1.0
	v_fma_f64 v[139:140], v[139:140], v[141:142], v[139:140]
	v_fma_f64 v[141:142], -v[137:138], v[139:140], 1.0
	v_fma_f64 v[139:140], v[139:140], v[141:142], v[139:140]
	v_mul_f64 v[141:142], v[143:144], v[139:140]
	v_fma_f64 v[137:138], -v[137:138], v[141:142], v[143:144]
	v_div_fmas_f64 v[137:138], v[137:138], v[139:140], v[141:142]
	v_div_fixup_f64 v[137:138], v[137:138], v[122:123], v[124:125]
	v_fma_f64 v[122:123], v[124:125], v[137:138], v[122:123]
	v_div_scale_f64 v[124:125], null, v[122:123], v[122:123], 1.0
	v_rcp_f64_e32 v[139:140], v[124:125]
	v_fma_f64 v[141:142], -v[124:125], v[139:140], 1.0
	v_fma_f64 v[139:140], v[139:140], v[141:142], v[139:140]
	v_fma_f64 v[141:142], -v[124:125], v[139:140], 1.0
	v_fma_f64 v[139:140], v[139:140], v[141:142], v[139:140]
	v_div_scale_f64 v[141:142], vcc_lo, 1.0, v[122:123], 1.0
	v_mul_f64 v[143:144], v[141:142], v[139:140]
	v_fma_f64 v[124:125], -v[124:125], v[143:144], v[141:142]
	v_div_fmas_f64 v[124:125], v[124:125], v[139:140], v[143:144]
	v_div_fixup_f64 v[122:123], v[124:125], v[122:123], 1.0
	v_mul_f64 v[124:125], v[137:138], -v[122:123]
.LBB58_219:
	s_or_b32 exec_lo, exec_lo, s1
.LBB58_220:
	s_or_b32 exec_lo, exec_lo, s0
	s_mov_b32 s0, exec_lo
	v_cmpx_ne_u32_e64 v136, v130
	s_xor_b32 s0, exec_lo, s0
	s_cbranch_execz .LBB58_226
; %bb.221:
	s_mov_b32 s1, exec_lo
	v_cmpx_eq_u32_e32 10, v136
	s_cbranch_execz .LBB58_225
; %bb.222:
	v_cmp_ne_u32_e32 vcc_lo, 10, v130
	s_xor_b32 s2, s16, -1
	s_and_b32 s3, s2, vcc_lo
	s_and_saveexec_b32 s2, s3
	s_cbranch_execz .LBB58_224
; %bb.223:
	v_ashrrev_i32_e32 v131, 31, v130
	v_lshlrev_b64 v[136:137], 2, v[130:131]
	v_add_co_u32 v136, vcc_lo, v128, v136
	v_add_co_ci_u32_e64 v137, null, v129, v137, vcc_lo
	s_clause 0x1
	global_load_dword v0, v[136:137], off
	global_load_dword v131, v[128:129], off offset:40
	s_waitcnt vmcnt(1)
	global_store_dword v[128:129], v0, off offset:40
	s_waitcnt vmcnt(0)
	global_store_dword v[136:137], v131, off
.LBB58_224:
	s_or_b32 exec_lo, exec_lo, s2
	v_mov_b32_e32 v136, v130
	v_mov_b32_e32 v0, v130
.LBB58_225:
	s_or_b32 exec_lo, exec_lo, s1
.LBB58_226:
	s_andn2_saveexec_b32 s0, s0
	s_cbranch_execz .LBB58_228
; %bb.227:
	v_mov_b32_e32 v136, 10
	ds_write2_b64 v1, v[74:75], v[76:77] offset0:22 offset1:23
	ds_write2_b64 v1, v[70:71], v[72:73] offset0:24 offset1:25
	;; [unrolled: 1-line block ×19, first 2 shown]
.LBB58_228:
	s_or_b32 exec_lo, exec_lo, s0
	s_mov_b32 s0, exec_lo
	s_waitcnt lgkmcnt(0)
	s_waitcnt_vscnt null, 0x0
	s_barrier
	buffer_gl0_inv
	v_cmpx_lt_i32_e32 10, v136
	s_cbranch_execz .LBB58_230
; %bb.229:
	v_mul_f64 v[130:131], v[124:125], v[80:81]
	v_mul_f64 v[80:81], v[122:123], v[80:81]
	v_fma_f64 v[130:131], v[122:123], v[78:79], -v[130:131]
	v_fma_f64 v[80:81], v[124:125], v[78:79], v[80:81]
	ds_read2_b64 v[122:125], v1 offset0:22 offset1:23
	s_waitcnt lgkmcnt(0)
	v_mul_f64 v[78:79], v[124:125], v[80:81]
	v_fma_f64 v[78:79], v[122:123], v[130:131], -v[78:79]
	v_mul_f64 v[122:123], v[122:123], v[80:81]
	v_add_f64 v[74:75], v[74:75], -v[78:79]
	v_fma_f64 v[122:123], v[124:125], v[130:131], v[122:123]
	v_add_f64 v[76:77], v[76:77], -v[122:123]
	ds_read2_b64 v[122:125], v1 offset0:24 offset1:25
	s_waitcnt lgkmcnt(0)
	v_mul_f64 v[78:79], v[124:125], v[80:81]
	v_fma_f64 v[78:79], v[122:123], v[130:131], -v[78:79]
	v_mul_f64 v[122:123], v[122:123], v[80:81]
	v_add_f64 v[70:71], v[70:71], -v[78:79]
	v_fma_f64 v[122:123], v[124:125], v[130:131], v[122:123]
	v_add_f64 v[72:73], v[72:73], -v[122:123]
	;; [unrolled: 8-line block ×18, first 2 shown]
	ds_read2_b64 v[122:125], v1 offset0:58 offset1:59
	s_waitcnt lgkmcnt(0)
	v_mul_f64 v[78:79], v[124:125], v[80:81]
	v_fma_f64 v[78:79], v[122:123], v[130:131], -v[78:79]
	v_mul_f64 v[122:123], v[122:123], v[80:81]
	v_add_f64 v[2:3], v[2:3], -v[78:79]
	v_fma_f64 v[122:123], v[124:125], v[130:131], v[122:123]
	v_mov_b32_e32 v78, v130
	v_mov_b32_e32 v79, v131
	v_add_f64 v[4:5], v[4:5], -v[122:123]
.LBB58_230:
	s_or_b32 exec_lo, exec_lo, s0
	v_lshl_add_u32 v122, v136, 4, v1
	s_barrier
	buffer_gl0_inv
	v_mov_b32_e32 v130, 11
	ds_write2_b64 v122, v[74:75], v[76:77] offset1:1
	s_waitcnt lgkmcnt(0)
	s_barrier
	buffer_gl0_inv
	ds_read2_b64 v[122:125], v1 offset0:22 offset1:23
	s_cmp_lt_i32 s18, 13
	s_cbranch_scc1 .LBB58_233
; %bb.231:
	v_add3_u32 v131, v132, 0, 0xc0
	v_mov_b32_e32 v130, 11
	s_mov_b32 s1, 12
	s_inst_prefetch 0x1
	.p2align	6
.LBB58_232:                             ; =>This Inner Loop Header: Depth=1
	s_waitcnt lgkmcnt(0)
	v_cmp_gt_f64_e32 vcc_lo, 0, v[124:125]
	v_cmp_gt_f64_e64 s0, 0, v[122:123]
	ds_read2_b64 v[137:140], v131 offset1:1
	v_xor_b32_e32 v142, 0x80000000, v123
	v_xor_b32_e32 v144, 0x80000000, v125
	v_mov_b32_e32 v141, v122
	v_mov_b32_e32 v143, v124
	v_add_nc_u32_e32 v131, 16, v131
	s_waitcnt lgkmcnt(0)
	v_xor_b32_e32 v146, 0x80000000, v140
	v_cndmask_b32_e64 v142, v123, v142, s0
	v_cndmask_b32_e32 v144, v125, v144, vcc_lo
	v_cmp_gt_f64_e32 vcc_lo, 0, v[139:140]
	v_cmp_gt_f64_e64 s0, 0, v[137:138]
	v_mov_b32_e32 v145, v139
	v_add_f64 v[141:142], v[141:142], v[143:144]
	v_xor_b32_e32 v144, 0x80000000, v138
	v_mov_b32_e32 v143, v137
	v_cndmask_b32_e32 v146, v140, v146, vcc_lo
	v_cndmask_b32_e64 v144, v138, v144, s0
	v_add_f64 v[143:144], v[143:144], v[145:146]
	v_cmp_lt_f64_e32 vcc_lo, v[141:142], v[143:144]
	v_cndmask_b32_e32 v123, v123, v138, vcc_lo
	v_cndmask_b32_e32 v122, v122, v137, vcc_lo
	;; [unrolled: 1-line block ×4, first 2 shown]
	v_cndmask_b32_e64 v130, v130, s1, vcc_lo
	s_add_i32 s1, s1, 1
	s_cmp_lg_u32 s18, s1
	s_cbranch_scc1 .LBB58_232
.LBB58_233:
	s_inst_prefetch 0x2
	s_waitcnt lgkmcnt(0)
	v_cmp_eq_f64_e32 vcc_lo, 0, v[122:123]
	v_cmp_eq_f64_e64 s0, 0, v[124:125]
	s_and_b32 s0, vcc_lo, s0
	s_and_saveexec_b32 s1, s0
	s_xor_b32 s0, exec_lo, s1
; %bb.234:
	v_cmp_ne_u32_e32 vcc_lo, 0, v135
	v_cndmask_b32_e32 v135, 12, v135, vcc_lo
; %bb.235:
	s_andn2_saveexec_b32 s0, s0
	s_cbranch_execz .LBB58_241
; %bb.236:
	v_cmp_ngt_f64_e64 s1, |v[122:123]|, |v[124:125]|
	s_and_saveexec_b32 s2, s1
	s_xor_b32 s1, exec_lo, s2
	s_cbranch_execz .LBB58_238
; %bb.237:
	v_div_scale_f64 v[137:138], null, v[124:125], v[124:125], v[122:123]
	v_div_scale_f64 v[143:144], vcc_lo, v[122:123], v[124:125], v[122:123]
	v_rcp_f64_e32 v[139:140], v[137:138]
	v_fma_f64 v[141:142], -v[137:138], v[139:140], 1.0
	v_fma_f64 v[139:140], v[139:140], v[141:142], v[139:140]
	v_fma_f64 v[141:142], -v[137:138], v[139:140], 1.0
	v_fma_f64 v[139:140], v[139:140], v[141:142], v[139:140]
	v_mul_f64 v[141:142], v[143:144], v[139:140]
	v_fma_f64 v[137:138], -v[137:138], v[141:142], v[143:144]
	v_div_fmas_f64 v[137:138], v[137:138], v[139:140], v[141:142]
	v_div_fixup_f64 v[137:138], v[137:138], v[124:125], v[122:123]
	v_fma_f64 v[122:123], v[122:123], v[137:138], v[124:125]
	v_div_scale_f64 v[124:125], null, v[122:123], v[122:123], 1.0
	v_rcp_f64_e32 v[139:140], v[124:125]
	v_fma_f64 v[141:142], -v[124:125], v[139:140], 1.0
	v_fma_f64 v[139:140], v[139:140], v[141:142], v[139:140]
	v_fma_f64 v[141:142], -v[124:125], v[139:140], 1.0
	v_fma_f64 v[139:140], v[139:140], v[141:142], v[139:140]
	v_div_scale_f64 v[141:142], vcc_lo, 1.0, v[122:123], 1.0
	v_mul_f64 v[143:144], v[141:142], v[139:140]
	v_fma_f64 v[124:125], -v[124:125], v[143:144], v[141:142]
	v_div_fmas_f64 v[124:125], v[124:125], v[139:140], v[143:144]
	v_div_fixup_f64 v[124:125], v[124:125], v[122:123], 1.0
	v_mul_f64 v[122:123], v[137:138], v[124:125]
	v_xor_b32_e32 v125, 0x80000000, v125
.LBB58_238:
	s_andn2_saveexec_b32 s1, s1
	s_cbranch_execz .LBB58_240
; %bb.239:
	v_div_scale_f64 v[137:138], null, v[122:123], v[122:123], v[124:125]
	v_div_scale_f64 v[143:144], vcc_lo, v[124:125], v[122:123], v[124:125]
	v_rcp_f64_e32 v[139:140], v[137:138]
	v_fma_f64 v[141:142], -v[137:138], v[139:140], 1.0
	v_fma_f64 v[139:140], v[139:140], v[141:142], v[139:140]
	v_fma_f64 v[141:142], -v[137:138], v[139:140], 1.0
	v_fma_f64 v[139:140], v[139:140], v[141:142], v[139:140]
	v_mul_f64 v[141:142], v[143:144], v[139:140]
	v_fma_f64 v[137:138], -v[137:138], v[141:142], v[143:144]
	v_div_fmas_f64 v[137:138], v[137:138], v[139:140], v[141:142]
	v_div_fixup_f64 v[137:138], v[137:138], v[122:123], v[124:125]
	v_fma_f64 v[122:123], v[124:125], v[137:138], v[122:123]
	v_div_scale_f64 v[124:125], null, v[122:123], v[122:123], 1.0
	v_rcp_f64_e32 v[139:140], v[124:125]
	v_fma_f64 v[141:142], -v[124:125], v[139:140], 1.0
	v_fma_f64 v[139:140], v[139:140], v[141:142], v[139:140]
	v_fma_f64 v[141:142], -v[124:125], v[139:140], 1.0
	v_fma_f64 v[139:140], v[139:140], v[141:142], v[139:140]
	v_div_scale_f64 v[141:142], vcc_lo, 1.0, v[122:123], 1.0
	v_mul_f64 v[143:144], v[141:142], v[139:140]
	v_fma_f64 v[124:125], -v[124:125], v[143:144], v[141:142]
	v_div_fmas_f64 v[124:125], v[124:125], v[139:140], v[143:144]
	v_div_fixup_f64 v[122:123], v[124:125], v[122:123], 1.0
	v_mul_f64 v[124:125], v[137:138], -v[122:123]
.LBB58_240:
	s_or_b32 exec_lo, exec_lo, s1
.LBB58_241:
	s_or_b32 exec_lo, exec_lo, s0
	s_mov_b32 s0, exec_lo
	v_cmpx_ne_u32_e64 v136, v130
	s_xor_b32 s0, exec_lo, s0
	s_cbranch_execz .LBB58_247
; %bb.242:
	s_mov_b32 s1, exec_lo
	v_cmpx_eq_u32_e32 11, v136
	s_cbranch_execz .LBB58_246
; %bb.243:
	v_cmp_ne_u32_e32 vcc_lo, 11, v130
	s_xor_b32 s2, s16, -1
	s_and_b32 s3, s2, vcc_lo
	s_and_saveexec_b32 s2, s3
	s_cbranch_execz .LBB58_245
; %bb.244:
	v_ashrrev_i32_e32 v131, 31, v130
	v_lshlrev_b64 v[136:137], 2, v[130:131]
	v_add_co_u32 v136, vcc_lo, v128, v136
	v_add_co_ci_u32_e64 v137, null, v129, v137, vcc_lo
	s_clause 0x1
	global_load_dword v0, v[136:137], off
	global_load_dword v131, v[128:129], off offset:44
	s_waitcnt vmcnt(1)
	global_store_dword v[128:129], v0, off offset:44
	s_waitcnt vmcnt(0)
	global_store_dword v[136:137], v131, off
.LBB58_245:
	s_or_b32 exec_lo, exec_lo, s2
	v_mov_b32_e32 v136, v130
	v_mov_b32_e32 v0, v130
.LBB58_246:
	s_or_b32 exec_lo, exec_lo, s1
.LBB58_247:
	s_andn2_saveexec_b32 s0, s0
	s_cbranch_execz .LBB58_249
; %bb.248:
	v_mov_b32_e32 v136, 11
	ds_write2_b64 v1, v[70:71], v[72:73] offset0:24 offset1:25
	ds_write2_b64 v1, v[66:67], v[68:69] offset0:26 offset1:27
	;; [unrolled: 1-line block ×18, first 2 shown]
.LBB58_249:
	s_or_b32 exec_lo, exec_lo, s0
	s_mov_b32 s0, exec_lo
	s_waitcnt lgkmcnt(0)
	s_waitcnt_vscnt null, 0x0
	s_barrier
	buffer_gl0_inv
	v_cmpx_lt_i32_e32 11, v136
	s_cbranch_execz .LBB58_251
; %bb.250:
	v_mul_f64 v[130:131], v[124:125], v[76:77]
	v_mul_f64 v[76:77], v[122:123], v[76:77]
	v_fma_f64 v[130:131], v[122:123], v[74:75], -v[130:131]
	v_fma_f64 v[76:77], v[124:125], v[74:75], v[76:77]
	ds_read2_b64 v[122:125], v1 offset0:24 offset1:25
	s_waitcnt lgkmcnt(0)
	v_mul_f64 v[74:75], v[124:125], v[76:77]
	v_fma_f64 v[74:75], v[122:123], v[130:131], -v[74:75]
	v_mul_f64 v[122:123], v[122:123], v[76:77]
	v_add_f64 v[70:71], v[70:71], -v[74:75]
	v_fma_f64 v[122:123], v[124:125], v[130:131], v[122:123]
	v_add_f64 v[72:73], v[72:73], -v[122:123]
	ds_read2_b64 v[122:125], v1 offset0:26 offset1:27
	s_waitcnt lgkmcnt(0)
	v_mul_f64 v[74:75], v[124:125], v[76:77]
	v_fma_f64 v[74:75], v[122:123], v[130:131], -v[74:75]
	v_mul_f64 v[122:123], v[122:123], v[76:77]
	v_add_f64 v[66:67], v[66:67], -v[74:75]
	v_fma_f64 v[122:123], v[124:125], v[130:131], v[122:123]
	v_add_f64 v[68:69], v[68:69], -v[122:123]
	ds_read2_b64 v[122:125], v1 offset0:28 offset1:29
	s_waitcnt lgkmcnt(0)
	v_mul_f64 v[74:75], v[124:125], v[76:77]
	v_fma_f64 v[74:75], v[122:123], v[130:131], -v[74:75]
	v_mul_f64 v[122:123], v[122:123], v[76:77]
	v_add_f64 v[62:63], v[62:63], -v[74:75]
	v_fma_f64 v[122:123], v[124:125], v[130:131], v[122:123]
	v_add_f64 v[64:65], v[64:65], -v[122:123]
	ds_read2_b64 v[122:125], v1 offset0:30 offset1:31
	s_waitcnt lgkmcnt(0)
	v_mul_f64 v[74:75], v[124:125], v[76:77]
	v_fma_f64 v[74:75], v[122:123], v[130:131], -v[74:75]
	v_mul_f64 v[122:123], v[122:123], v[76:77]
	v_add_f64 v[58:59], v[58:59], -v[74:75]
	v_fma_f64 v[122:123], v[124:125], v[130:131], v[122:123]
	v_add_f64 v[60:61], v[60:61], -v[122:123]
	ds_read2_b64 v[122:125], v1 offset0:32 offset1:33
	s_waitcnt lgkmcnt(0)
	v_mul_f64 v[74:75], v[124:125], v[76:77]
	v_fma_f64 v[74:75], v[122:123], v[130:131], -v[74:75]
	v_mul_f64 v[122:123], v[122:123], v[76:77]
	v_add_f64 v[54:55], v[54:55], -v[74:75]
	v_fma_f64 v[122:123], v[124:125], v[130:131], v[122:123]
	v_add_f64 v[56:57], v[56:57], -v[122:123]
	ds_read2_b64 v[122:125], v1 offset0:34 offset1:35
	s_waitcnt lgkmcnt(0)
	v_mul_f64 v[74:75], v[124:125], v[76:77]
	v_fma_f64 v[74:75], v[122:123], v[130:131], -v[74:75]
	v_mul_f64 v[122:123], v[122:123], v[76:77]
	v_add_f64 v[50:51], v[50:51], -v[74:75]
	v_fma_f64 v[122:123], v[124:125], v[130:131], v[122:123]
	v_add_f64 v[52:53], v[52:53], -v[122:123]
	ds_read2_b64 v[122:125], v1 offset0:36 offset1:37
	s_waitcnt lgkmcnt(0)
	v_mul_f64 v[74:75], v[124:125], v[76:77]
	v_fma_f64 v[74:75], v[122:123], v[130:131], -v[74:75]
	v_mul_f64 v[122:123], v[122:123], v[76:77]
	v_add_f64 v[46:47], v[46:47], -v[74:75]
	v_fma_f64 v[122:123], v[124:125], v[130:131], v[122:123]
	v_add_f64 v[48:49], v[48:49], -v[122:123]
	ds_read2_b64 v[122:125], v1 offset0:38 offset1:39
	s_waitcnt lgkmcnt(0)
	v_mul_f64 v[74:75], v[124:125], v[76:77]
	v_fma_f64 v[74:75], v[122:123], v[130:131], -v[74:75]
	v_mul_f64 v[122:123], v[122:123], v[76:77]
	v_add_f64 v[42:43], v[42:43], -v[74:75]
	v_fma_f64 v[122:123], v[124:125], v[130:131], v[122:123]
	v_add_f64 v[44:45], v[44:45], -v[122:123]
	ds_read2_b64 v[122:125], v1 offset0:40 offset1:41
	s_waitcnt lgkmcnt(0)
	v_mul_f64 v[74:75], v[124:125], v[76:77]
	v_fma_f64 v[74:75], v[122:123], v[130:131], -v[74:75]
	v_mul_f64 v[122:123], v[122:123], v[76:77]
	v_add_f64 v[38:39], v[38:39], -v[74:75]
	v_fma_f64 v[122:123], v[124:125], v[130:131], v[122:123]
	v_add_f64 v[40:41], v[40:41], -v[122:123]
	ds_read2_b64 v[122:125], v1 offset0:42 offset1:43
	s_waitcnt lgkmcnt(0)
	v_mul_f64 v[74:75], v[124:125], v[76:77]
	v_fma_f64 v[74:75], v[122:123], v[130:131], -v[74:75]
	v_mul_f64 v[122:123], v[122:123], v[76:77]
	v_add_f64 v[34:35], v[34:35], -v[74:75]
	v_fma_f64 v[122:123], v[124:125], v[130:131], v[122:123]
	v_add_f64 v[36:37], v[36:37], -v[122:123]
	ds_read2_b64 v[122:125], v1 offset0:44 offset1:45
	s_waitcnt lgkmcnt(0)
	v_mul_f64 v[74:75], v[124:125], v[76:77]
	v_fma_f64 v[74:75], v[122:123], v[130:131], -v[74:75]
	v_mul_f64 v[122:123], v[122:123], v[76:77]
	v_add_f64 v[30:31], v[30:31], -v[74:75]
	v_fma_f64 v[122:123], v[124:125], v[130:131], v[122:123]
	v_add_f64 v[32:33], v[32:33], -v[122:123]
	ds_read2_b64 v[122:125], v1 offset0:46 offset1:47
	s_waitcnt lgkmcnt(0)
	v_mul_f64 v[74:75], v[124:125], v[76:77]
	v_fma_f64 v[74:75], v[122:123], v[130:131], -v[74:75]
	v_mul_f64 v[122:123], v[122:123], v[76:77]
	v_add_f64 v[26:27], v[26:27], -v[74:75]
	v_fma_f64 v[122:123], v[124:125], v[130:131], v[122:123]
	v_add_f64 v[28:29], v[28:29], -v[122:123]
	ds_read2_b64 v[122:125], v1 offset0:48 offset1:49
	s_waitcnt lgkmcnt(0)
	v_mul_f64 v[74:75], v[124:125], v[76:77]
	v_fma_f64 v[74:75], v[122:123], v[130:131], -v[74:75]
	v_mul_f64 v[122:123], v[122:123], v[76:77]
	v_add_f64 v[22:23], v[22:23], -v[74:75]
	v_fma_f64 v[122:123], v[124:125], v[130:131], v[122:123]
	v_add_f64 v[24:25], v[24:25], -v[122:123]
	ds_read2_b64 v[122:125], v1 offset0:50 offset1:51
	s_waitcnt lgkmcnt(0)
	v_mul_f64 v[74:75], v[124:125], v[76:77]
	v_fma_f64 v[74:75], v[122:123], v[130:131], -v[74:75]
	v_mul_f64 v[122:123], v[122:123], v[76:77]
	v_add_f64 v[18:19], v[18:19], -v[74:75]
	v_fma_f64 v[122:123], v[124:125], v[130:131], v[122:123]
	v_add_f64 v[20:21], v[20:21], -v[122:123]
	ds_read2_b64 v[122:125], v1 offset0:52 offset1:53
	s_waitcnt lgkmcnt(0)
	v_mul_f64 v[74:75], v[124:125], v[76:77]
	v_fma_f64 v[74:75], v[122:123], v[130:131], -v[74:75]
	v_mul_f64 v[122:123], v[122:123], v[76:77]
	v_add_f64 v[14:15], v[14:15], -v[74:75]
	v_fma_f64 v[122:123], v[124:125], v[130:131], v[122:123]
	v_add_f64 v[16:17], v[16:17], -v[122:123]
	ds_read2_b64 v[122:125], v1 offset0:54 offset1:55
	s_waitcnt lgkmcnt(0)
	v_mul_f64 v[74:75], v[124:125], v[76:77]
	v_fma_f64 v[74:75], v[122:123], v[130:131], -v[74:75]
	v_mul_f64 v[122:123], v[122:123], v[76:77]
	v_add_f64 v[10:11], v[10:11], -v[74:75]
	v_fma_f64 v[122:123], v[124:125], v[130:131], v[122:123]
	v_add_f64 v[12:13], v[12:13], -v[122:123]
	ds_read2_b64 v[122:125], v1 offset0:56 offset1:57
	s_waitcnt lgkmcnt(0)
	v_mul_f64 v[74:75], v[124:125], v[76:77]
	v_fma_f64 v[74:75], v[122:123], v[130:131], -v[74:75]
	v_mul_f64 v[122:123], v[122:123], v[76:77]
	v_add_f64 v[6:7], v[6:7], -v[74:75]
	v_fma_f64 v[122:123], v[124:125], v[130:131], v[122:123]
	v_add_f64 v[8:9], v[8:9], -v[122:123]
	ds_read2_b64 v[122:125], v1 offset0:58 offset1:59
	s_waitcnt lgkmcnt(0)
	v_mul_f64 v[74:75], v[124:125], v[76:77]
	v_fma_f64 v[74:75], v[122:123], v[130:131], -v[74:75]
	v_mul_f64 v[122:123], v[122:123], v[76:77]
	v_add_f64 v[2:3], v[2:3], -v[74:75]
	v_fma_f64 v[122:123], v[124:125], v[130:131], v[122:123]
	v_mov_b32_e32 v74, v130
	v_mov_b32_e32 v75, v131
	v_add_f64 v[4:5], v[4:5], -v[122:123]
.LBB58_251:
	s_or_b32 exec_lo, exec_lo, s0
	v_lshl_add_u32 v122, v136, 4, v1
	s_barrier
	buffer_gl0_inv
	v_mov_b32_e32 v130, 12
	ds_write2_b64 v122, v[70:71], v[72:73] offset1:1
	s_waitcnt lgkmcnt(0)
	s_barrier
	buffer_gl0_inv
	ds_read2_b64 v[122:125], v1 offset0:24 offset1:25
	s_cmp_lt_i32 s18, 14
	s_cbranch_scc1 .LBB58_254
; %bb.252:
	v_add3_u32 v131, v132, 0, 0xd0
	v_mov_b32_e32 v130, 12
	s_mov_b32 s1, 13
	s_inst_prefetch 0x1
	.p2align	6
.LBB58_253:                             ; =>This Inner Loop Header: Depth=1
	s_waitcnt lgkmcnt(0)
	v_cmp_gt_f64_e32 vcc_lo, 0, v[124:125]
	v_cmp_gt_f64_e64 s0, 0, v[122:123]
	ds_read2_b64 v[137:140], v131 offset1:1
	v_xor_b32_e32 v142, 0x80000000, v123
	v_xor_b32_e32 v144, 0x80000000, v125
	v_mov_b32_e32 v141, v122
	v_mov_b32_e32 v143, v124
	v_add_nc_u32_e32 v131, 16, v131
	s_waitcnt lgkmcnt(0)
	v_xor_b32_e32 v146, 0x80000000, v140
	v_cndmask_b32_e64 v142, v123, v142, s0
	v_cndmask_b32_e32 v144, v125, v144, vcc_lo
	v_cmp_gt_f64_e32 vcc_lo, 0, v[139:140]
	v_cmp_gt_f64_e64 s0, 0, v[137:138]
	v_mov_b32_e32 v145, v139
	v_add_f64 v[141:142], v[141:142], v[143:144]
	v_xor_b32_e32 v144, 0x80000000, v138
	v_mov_b32_e32 v143, v137
	v_cndmask_b32_e32 v146, v140, v146, vcc_lo
	v_cndmask_b32_e64 v144, v138, v144, s0
	v_add_f64 v[143:144], v[143:144], v[145:146]
	v_cmp_lt_f64_e32 vcc_lo, v[141:142], v[143:144]
	v_cndmask_b32_e32 v123, v123, v138, vcc_lo
	v_cndmask_b32_e32 v122, v122, v137, vcc_lo
	;; [unrolled: 1-line block ×4, first 2 shown]
	v_cndmask_b32_e64 v130, v130, s1, vcc_lo
	s_add_i32 s1, s1, 1
	s_cmp_lg_u32 s18, s1
	s_cbranch_scc1 .LBB58_253
.LBB58_254:
	s_inst_prefetch 0x2
	s_waitcnt lgkmcnt(0)
	v_cmp_eq_f64_e32 vcc_lo, 0, v[122:123]
	v_cmp_eq_f64_e64 s0, 0, v[124:125]
	s_and_b32 s0, vcc_lo, s0
	s_and_saveexec_b32 s1, s0
	s_xor_b32 s0, exec_lo, s1
; %bb.255:
	v_cmp_ne_u32_e32 vcc_lo, 0, v135
	v_cndmask_b32_e32 v135, 13, v135, vcc_lo
; %bb.256:
	s_andn2_saveexec_b32 s0, s0
	s_cbranch_execz .LBB58_262
; %bb.257:
	v_cmp_ngt_f64_e64 s1, |v[122:123]|, |v[124:125]|
	s_and_saveexec_b32 s2, s1
	s_xor_b32 s1, exec_lo, s2
	s_cbranch_execz .LBB58_259
; %bb.258:
	v_div_scale_f64 v[137:138], null, v[124:125], v[124:125], v[122:123]
	v_div_scale_f64 v[143:144], vcc_lo, v[122:123], v[124:125], v[122:123]
	v_rcp_f64_e32 v[139:140], v[137:138]
	v_fma_f64 v[141:142], -v[137:138], v[139:140], 1.0
	v_fma_f64 v[139:140], v[139:140], v[141:142], v[139:140]
	v_fma_f64 v[141:142], -v[137:138], v[139:140], 1.0
	v_fma_f64 v[139:140], v[139:140], v[141:142], v[139:140]
	v_mul_f64 v[141:142], v[143:144], v[139:140]
	v_fma_f64 v[137:138], -v[137:138], v[141:142], v[143:144]
	v_div_fmas_f64 v[137:138], v[137:138], v[139:140], v[141:142]
	v_div_fixup_f64 v[137:138], v[137:138], v[124:125], v[122:123]
	v_fma_f64 v[122:123], v[122:123], v[137:138], v[124:125]
	v_div_scale_f64 v[124:125], null, v[122:123], v[122:123], 1.0
	v_rcp_f64_e32 v[139:140], v[124:125]
	v_fma_f64 v[141:142], -v[124:125], v[139:140], 1.0
	v_fma_f64 v[139:140], v[139:140], v[141:142], v[139:140]
	v_fma_f64 v[141:142], -v[124:125], v[139:140], 1.0
	v_fma_f64 v[139:140], v[139:140], v[141:142], v[139:140]
	v_div_scale_f64 v[141:142], vcc_lo, 1.0, v[122:123], 1.0
	v_mul_f64 v[143:144], v[141:142], v[139:140]
	v_fma_f64 v[124:125], -v[124:125], v[143:144], v[141:142]
	v_div_fmas_f64 v[124:125], v[124:125], v[139:140], v[143:144]
	v_div_fixup_f64 v[124:125], v[124:125], v[122:123], 1.0
	v_mul_f64 v[122:123], v[137:138], v[124:125]
	v_xor_b32_e32 v125, 0x80000000, v125
.LBB58_259:
	s_andn2_saveexec_b32 s1, s1
	s_cbranch_execz .LBB58_261
; %bb.260:
	v_div_scale_f64 v[137:138], null, v[122:123], v[122:123], v[124:125]
	v_div_scale_f64 v[143:144], vcc_lo, v[124:125], v[122:123], v[124:125]
	v_rcp_f64_e32 v[139:140], v[137:138]
	v_fma_f64 v[141:142], -v[137:138], v[139:140], 1.0
	v_fma_f64 v[139:140], v[139:140], v[141:142], v[139:140]
	v_fma_f64 v[141:142], -v[137:138], v[139:140], 1.0
	v_fma_f64 v[139:140], v[139:140], v[141:142], v[139:140]
	v_mul_f64 v[141:142], v[143:144], v[139:140]
	v_fma_f64 v[137:138], -v[137:138], v[141:142], v[143:144]
	v_div_fmas_f64 v[137:138], v[137:138], v[139:140], v[141:142]
	v_div_fixup_f64 v[137:138], v[137:138], v[122:123], v[124:125]
	v_fma_f64 v[122:123], v[124:125], v[137:138], v[122:123]
	v_div_scale_f64 v[124:125], null, v[122:123], v[122:123], 1.0
	v_rcp_f64_e32 v[139:140], v[124:125]
	v_fma_f64 v[141:142], -v[124:125], v[139:140], 1.0
	v_fma_f64 v[139:140], v[139:140], v[141:142], v[139:140]
	v_fma_f64 v[141:142], -v[124:125], v[139:140], 1.0
	v_fma_f64 v[139:140], v[139:140], v[141:142], v[139:140]
	v_div_scale_f64 v[141:142], vcc_lo, 1.0, v[122:123], 1.0
	v_mul_f64 v[143:144], v[141:142], v[139:140]
	v_fma_f64 v[124:125], -v[124:125], v[143:144], v[141:142]
	v_div_fmas_f64 v[124:125], v[124:125], v[139:140], v[143:144]
	v_div_fixup_f64 v[122:123], v[124:125], v[122:123], 1.0
	v_mul_f64 v[124:125], v[137:138], -v[122:123]
.LBB58_261:
	s_or_b32 exec_lo, exec_lo, s1
.LBB58_262:
	s_or_b32 exec_lo, exec_lo, s0
	s_mov_b32 s0, exec_lo
	v_cmpx_ne_u32_e64 v136, v130
	s_xor_b32 s0, exec_lo, s0
	s_cbranch_execz .LBB58_268
; %bb.263:
	s_mov_b32 s1, exec_lo
	v_cmpx_eq_u32_e32 12, v136
	s_cbranch_execz .LBB58_267
; %bb.264:
	v_cmp_ne_u32_e32 vcc_lo, 12, v130
	s_xor_b32 s2, s16, -1
	s_and_b32 s3, s2, vcc_lo
	s_and_saveexec_b32 s2, s3
	s_cbranch_execz .LBB58_266
; %bb.265:
	v_ashrrev_i32_e32 v131, 31, v130
	v_lshlrev_b64 v[136:137], 2, v[130:131]
	v_add_co_u32 v136, vcc_lo, v128, v136
	v_add_co_ci_u32_e64 v137, null, v129, v137, vcc_lo
	s_clause 0x1
	global_load_dword v0, v[136:137], off
	global_load_dword v131, v[128:129], off offset:48
	s_waitcnt vmcnt(1)
	global_store_dword v[128:129], v0, off offset:48
	s_waitcnt vmcnt(0)
	global_store_dword v[136:137], v131, off
.LBB58_266:
	s_or_b32 exec_lo, exec_lo, s2
	v_mov_b32_e32 v136, v130
	v_mov_b32_e32 v0, v130
.LBB58_267:
	s_or_b32 exec_lo, exec_lo, s1
.LBB58_268:
	s_andn2_saveexec_b32 s0, s0
	s_cbranch_execz .LBB58_270
; %bb.269:
	v_mov_b32_e32 v136, 12
	ds_write2_b64 v1, v[66:67], v[68:69] offset0:26 offset1:27
	ds_write2_b64 v1, v[62:63], v[64:65] offset0:28 offset1:29
	;; [unrolled: 1-line block ×17, first 2 shown]
.LBB58_270:
	s_or_b32 exec_lo, exec_lo, s0
	s_mov_b32 s0, exec_lo
	s_waitcnt lgkmcnt(0)
	s_waitcnt_vscnt null, 0x0
	s_barrier
	buffer_gl0_inv
	v_cmpx_lt_i32_e32 12, v136
	s_cbranch_execz .LBB58_272
; %bb.271:
	v_mul_f64 v[130:131], v[124:125], v[72:73]
	v_mul_f64 v[72:73], v[122:123], v[72:73]
	v_fma_f64 v[130:131], v[122:123], v[70:71], -v[130:131]
	v_fma_f64 v[72:73], v[124:125], v[70:71], v[72:73]
	ds_read2_b64 v[122:125], v1 offset0:26 offset1:27
	s_waitcnt lgkmcnt(0)
	v_mul_f64 v[70:71], v[124:125], v[72:73]
	v_fma_f64 v[70:71], v[122:123], v[130:131], -v[70:71]
	v_mul_f64 v[122:123], v[122:123], v[72:73]
	v_add_f64 v[66:67], v[66:67], -v[70:71]
	v_fma_f64 v[122:123], v[124:125], v[130:131], v[122:123]
	v_add_f64 v[68:69], v[68:69], -v[122:123]
	ds_read2_b64 v[122:125], v1 offset0:28 offset1:29
	s_waitcnt lgkmcnt(0)
	v_mul_f64 v[70:71], v[124:125], v[72:73]
	v_fma_f64 v[70:71], v[122:123], v[130:131], -v[70:71]
	v_mul_f64 v[122:123], v[122:123], v[72:73]
	v_add_f64 v[62:63], v[62:63], -v[70:71]
	v_fma_f64 v[122:123], v[124:125], v[130:131], v[122:123]
	v_add_f64 v[64:65], v[64:65], -v[122:123]
	;; [unrolled: 8-line block ×16, first 2 shown]
	ds_read2_b64 v[122:125], v1 offset0:58 offset1:59
	s_waitcnt lgkmcnt(0)
	v_mul_f64 v[70:71], v[124:125], v[72:73]
	v_fma_f64 v[70:71], v[122:123], v[130:131], -v[70:71]
	v_mul_f64 v[122:123], v[122:123], v[72:73]
	v_add_f64 v[2:3], v[2:3], -v[70:71]
	v_fma_f64 v[122:123], v[124:125], v[130:131], v[122:123]
	v_mov_b32_e32 v70, v130
	v_mov_b32_e32 v71, v131
	v_add_f64 v[4:5], v[4:5], -v[122:123]
.LBB58_272:
	s_or_b32 exec_lo, exec_lo, s0
	v_lshl_add_u32 v122, v136, 4, v1
	s_barrier
	buffer_gl0_inv
	v_mov_b32_e32 v130, 13
	ds_write2_b64 v122, v[66:67], v[68:69] offset1:1
	s_waitcnt lgkmcnt(0)
	s_barrier
	buffer_gl0_inv
	ds_read2_b64 v[122:125], v1 offset0:26 offset1:27
	s_cmp_lt_i32 s18, 15
	s_cbranch_scc1 .LBB58_275
; %bb.273:
	v_add3_u32 v131, v132, 0, 0xe0
	v_mov_b32_e32 v130, 13
	s_mov_b32 s1, 14
	s_inst_prefetch 0x1
	.p2align	6
.LBB58_274:                             ; =>This Inner Loop Header: Depth=1
	s_waitcnt lgkmcnt(0)
	v_cmp_gt_f64_e32 vcc_lo, 0, v[124:125]
	v_cmp_gt_f64_e64 s0, 0, v[122:123]
	ds_read2_b64 v[137:140], v131 offset1:1
	v_xor_b32_e32 v142, 0x80000000, v123
	v_xor_b32_e32 v144, 0x80000000, v125
	v_mov_b32_e32 v141, v122
	v_mov_b32_e32 v143, v124
	v_add_nc_u32_e32 v131, 16, v131
	s_waitcnt lgkmcnt(0)
	v_xor_b32_e32 v146, 0x80000000, v140
	v_cndmask_b32_e64 v142, v123, v142, s0
	v_cndmask_b32_e32 v144, v125, v144, vcc_lo
	v_cmp_gt_f64_e32 vcc_lo, 0, v[139:140]
	v_cmp_gt_f64_e64 s0, 0, v[137:138]
	v_mov_b32_e32 v145, v139
	v_add_f64 v[141:142], v[141:142], v[143:144]
	v_xor_b32_e32 v144, 0x80000000, v138
	v_mov_b32_e32 v143, v137
	v_cndmask_b32_e32 v146, v140, v146, vcc_lo
	v_cndmask_b32_e64 v144, v138, v144, s0
	v_add_f64 v[143:144], v[143:144], v[145:146]
	v_cmp_lt_f64_e32 vcc_lo, v[141:142], v[143:144]
	v_cndmask_b32_e32 v123, v123, v138, vcc_lo
	v_cndmask_b32_e32 v122, v122, v137, vcc_lo
	;; [unrolled: 1-line block ×4, first 2 shown]
	v_cndmask_b32_e64 v130, v130, s1, vcc_lo
	s_add_i32 s1, s1, 1
	s_cmp_lg_u32 s18, s1
	s_cbranch_scc1 .LBB58_274
.LBB58_275:
	s_inst_prefetch 0x2
	s_waitcnt lgkmcnt(0)
	v_cmp_eq_f64_e32 vcc_lo, 0, v[122:123]
	v_cmp_eq_f64_e64 s0, 0, v[124:125]
	s_and_b32 s0, vcc_lo, s0
	s_and_saveexec_b32 s1, s0
	s_xor_b32 s0, exec_lo, s1
; %bb.276:
	v_cmp_ne_u32_e32 vcc_lo, 0, v135
	v_cndmask_b32_e32 v135, 14, v135, vcc_lo
; %bb.277:
	s_andn2_saveexec_b32 s0, s0
	s_cbranch_execz .LBB58_283
; %bb.278:
	v_cmp_ngt_f64_e64 s1, |v[122:123]|, |v[124:125]|
	s_and_saveexec_b32 s2, s1
	s_xor_b32 s1, exec_lo, s2
	s_cbranch_execz .LBB58_280
; %bb.279:
	v_div_scale_f64 v[137:138], null, v[124:125], v[124:125], v[122:123]
	v_div_scale_f64 v[143:144], vcc_lo, v[122:123], v[124:125], v[122:123]
	v_rcp_f64_e32 v[139:140], v[137:138]
	v_fma_f64 v[141:142], -v[137:138], v[139:140], 1.0
	v_fma_f64 v[139:140], v[139:140], v[141:142], v[139:140]
	v_fma_f64 v[141:142], -v[137:138], v[139:140], 1.0
	v_fma_f64 v[139:140], v[139:140], v[141:142], v[139:140]
	v_mul_f64 v[141:142], v[143:144], v[139:140]
	v_fma_f64 v[137:138], -v[137:138], v[141:142], v[143:144]
	v_div_fmas_f64 v[137:138], v[137:138], v[139:140], v[141:142]
	v_div_fixup_f64 v[137:138], v[137:138], v[124:125], v[122:123]
	v_fma_f64 v[122:123], v[122:123], v[137:138], v[124:125]
	v_div_scale_f64 v[124:125], null, v[122:123], v[122:123], 1.0
	v_rcp_f64_e32 v[139:140], v[124:125]
	v_fma_f64 v[141:142], -v[124:125], v[139:140], 1.0
	v_fma_f64 v[139:140], v[139:140], v[141:142], v[139:140]
	v_fma_f64 v[141:142], -v[124:125], v[139:140], 1.0
	v_fma_f64 v[139:140], v[139:140], v[141:142], v[139:140]
	v_div_scale_f64 v[141:142], vcc_lo, 1.0, v[122:123], 1.0
	v_mul_f64 v[143:144], v[141:142], v[139:140]
	v_fma_f64 v[124:125], -v[124:125], v[143:144], v[141:142]
	v_div_fmas_f64 v[124:125], v[124:125], v[139:140], v[143:144]
	v_div_fixup_f64 v[124:125], v[124:125], v[122:123], 1.0
	v_mul_f64 v[122:123], v[137:138], v[124:125]
	v_xor_b32_e32 v125, 0x80000000, v125
.LBB58_280:
	s_andn2_saveexec_b32 s1, s1
	s_cbranch_execz .LBB58_282
; %bb.281:
	v_div_scale_f64 v[137:138], null, v[122:123], v[122:123], v[124:125]
	v_div_scale_f64 v[143:144], vcc_lo, v[124:125], v[122:123], v[124:125]
	v_rcp_f64_e32 v[139:140], v[137:138]
	v_fma_f64 v[141:142], -v[137:138], v[139:140], 1.0
	v_fma_f64 v[139:140], v[139:140], v[141:142], v[139:140]
	v_fma_f64 v[141:142], -v[137:138], v[139:140], 1.0
	v_fma_f64 v[139:140], v[139:140], v[141:142], v[139:140]
	v_mul_f64 v[141:142], v[143:144], v[139:140]
	v_fma_f64 v[137:138], -v[137:138], v[141:142], v[143:144]
	v_div_fmas_f64 v[137:138], v[137:138], v[139:140], v[141:142]
	v_div_fixup_f64 v[137:138], v[137:138], v[122:123], v[124:125]
	v_fma_f64 v[122:123], v[124:125], v[137:138], v[122:123]
	v_div_scale_f64 v[124:125], null, v[122:123], v[122:123], 1.0
	v_rcp_f64_e32 v[139:140], v[124:125]
	v_fma_f64 v[141:142], -v[124:125], v[139:140], 1.0
	v_fma_f64 v[139:140], v[139:140], v[141:142], v[139:140]
	v_fma_f64 v[141:142], -v[124:125], v[139:140], 1.0
	v_fma_f64 v[139:140], v[139:140], v[141:142], v[139:140]
	v_div_scale_f64 v[141:142], vcc_lo, 1.0, v[122:123], 1.0
	v_mul_f64 v[143:144], v[141:142], v[139:140]
	v_fma_f64 v[124:125], -v[124:125], v[143:144], v[141:142]
	v_div_fmas_f64 v[124:125], v[124:125], v[139:140], v[143:144]
	v_div_fixup_f64 v[122:123], v[124:125], v[122:123], 1.0
	v_mul_f64 v[124:125], v[137:138], -v[122:123]
.LBB58_282:
	s_or_b32 exec_lo, exec_lo, s1
.LBB58_283:
	s_or_b32 exec_lo, exec_lo, s0
	s_mov_b32 s0, exec_lo
	v_cmpx_ne_u32_e64 v136, v130
	s_xor_b32 s0, exec_lo, s0
	s_cbranch_execz .LBB58_289
; %bb.284:
	s_mov_b32 s1, exec_lo
	v_cmpx_eq_u32_e32 13, v136
	s_cbranch_execz .LBB58_288
; %bb.285:
	v_cmp_ne_u32_e32 vcc_lo, 13, v130
	s_xor_b32 s2, s16, -1
	s_and_b32 s3, s2, vcc_lo
	s_and_saveexec_b32 s2, s3
	s_cbranch_execz .LBB58_287
; %bb.286:
	v_ashrrev_i32_e32 v131, 31, v130
	v_lshlrev_b64 v[136:137], 2, v[130:131]
	v_add_co_u32 v136, vcc_lo, v128, v136
	v_add_co_ci_u32_e64 v137, null, v129, v137, vcc_lo
	s_clause 0x1
	global_load_dword v0, v[136:137], off
	global_load_dword v131, v[128:129], off offset:52
	s_waitcnt vmcnt(1)
	global_store_dword v[128:129], v0, off offset:52
	s_waitcnt vmcnt(0)
	global_store_dword v[136:137], v131, off
.LBB58_287:
	s_or_b32 exec_lo, exec_lo, s2
	v_mov_b32_e32 v136, v130
	v_mov_b32_e32 v0, v130
.LBB58_288:
	s_or_b32 exec_lo, exec_lo, s1
.LBB58_289:
	s_andn2_saveexec_b32 s0, s0
	s_cbranch_execz .LBB58_291
; %bb.290:
	v_mov_b32_e32 v136, 13
	ds_write2_b64 v1, v[62:63], v[64:65] offset0:28 offset1:29
	ds_write2_b64 v1, v[58:59], v[60:61] offset0:30 offset1:31
	;; [unrolled: 1-line block ×16, first 2 shown]
.LBB58_291:
	s_or_b32 exec_lo, exec_lo, s0
	s_mov_b32 s0, exec_lo
	s_waitcnt lgkmcnt(0)
	s_waitcnt_vscnt null, 0x0
	s_barrier
	buffer_gl0_inv
	v_cmpx_lt_i32_e32 13, v136
	s_cbranch_execz .LBB58_293
; %bb.292:
	v_mul_f64 v[130:131], v[122:123], v[68:69]
	v_mul_f64 v[68:69], v[124:125], v[68:69]
	v_fma_f64 v[130:131], v[124:125], v[66:67], v[130:131]
	v_fma_f64 v[66:67], v[122:123], v[66:67], -v[68:69]
	ds_read2_b64 v[122:125], v1 offset0:28 offset1:29
	s_waitcnt lgkmcnt(0)
	v_mul_f64 v[68:69], v[124:125], v[130:131]
	v_fma_f64 v[68:69], v[122:123], v[66:67], -v[68:69]
	v_mul_f64 v[122:123], v[122:123], v[130:131]
	v_add_f64 v[62:63], v[62:63], -v[68:69]
	v_fma_f64 v[122:123], v[124:125], v[66:67], v[122:123]
	v_add_f64 v[64:65], v[64:65], -v[122:123]
	ds_read2_b64 v[122:125], v1 offset0:30 offset1:31
	s_waitcnt lgkmcnt(0)
	v_mul_f64 v[68:69], v[124:125], v[130:131]
	v_fma_f64 v[68:69], v[122:123], v[66:67], -v[68:69]
	v_mul_f64 v[122:123], v[122:123], v[130:131]
	v_add_f64 v[58:59], v[58:59], -v[68:69]
	v_fma_f64 v[122:123], v[124:125], v[66:67], v[122:123]
	v_add_f64 v[60:61], v[60:61], -v[122:123]
	;; [unrolled: 8-line block ×15, first 2 shown]
	ds_read2_b64 v[122:125], v1 offset0:58 offset1:59
	s_waitcnt lgkmcnt(0)
	v_mul_f64 v[68:69], v[124:125], v[130:131]
	v_fma_f64 v[68:69], v[122:123], v[66:67], -v[68:69]
	v_mul_f64 v[122:123], v[122:123], v[130:131]
	v_add_f64 v[2:3], v[2:3], -v[68:69]
	v_fma_f64 v[122:123], v[124:125], v[66:67], v[122:123]
	v_mov_b32_e32 v68, v130
	v_mov_b32_e32 v69, v131
	v_add_f64 v[4:5], v[4:5], -v[122:123]
.LBB58_293:
	s_or_b32 exec_lo, exec_lo, s0
	v_lshl_add_u32 v122, v136, 4, v1
	s_barrier
	buffer_gl0_inv
	v_mov_b32_e32 v130, 14
	ds_write2_b64 v122, v[62:63], v[64:65] offset1:1
	s_waitcnt lgkmcnt(0)
	s_barrier
	buffer_gl0_inv
	ds_read2_b64 v[122:125], v1 offset0:28 offset1:29
	s_cmp_lt_i32 s18, 16
	s_cbranch_scc1 .LBB58_296
; %bb.294:
	v_add3_u32 v131, v132, 0, 0xf0
	v_mov_b32_e32 v130, 14
	s_mov_b32 s1, 15
	s_inst_prefetch 0x1
	.p2align	6
.LBB58_295:                             ; =>This Inner Loop Header: Depth=1
	s_waitcnt lgkmcnt(0)
	v_cmp_gt_f64_e32 vcc_lo, 0, v[124:125]
	v_cmp_gt_f64_e64 s0, 0, v[122:123]
	ds_read2_b64 v[137:140], v131 offset1:1
	v_xor_b32_e32 v142, 0x80000000, v123
	v_xor_b32_e32 v144, 0x80000000, v125
	v_mov_b32_e32 v141, v122
	v_mov_b32_e32 v143, v124
	v_add_nc_u32_e32 v131, 16, v131
	s_waitcnt lgkmcnt(0)
	v_xor_b32_e32 v146, 0x80000000, v140
	v_cndmask_b32_e64 v142, v123, v142, s0
	v_cndmask_b32_e32 v144, v125, v144, vcc_lo
	v_cmp_gt_f64_e32 vcc_lo, 0, v[139:140]
	v_cmp_gt_f64_e64 s0, 0, v[137:138]
	v_mov_b32_e32 v145, v139
	v_add_f64 v[141:142], v[141:142], v[143:144]
	v_xor_b32_e32 v144, 0x80000000, v138
	v_mov_b32_e32 v143, v137
	v_cndmask_b32_e32 v146, v140, v146, vcc_lo
	v_cndmask_b32_e64 v144, v138, v144, s0
	v_add_f64 v[143:144], v[143:144], v[145:146]
	v_cmp_lt_f64_e32 vcc_lo, v[141:142], v[143:144]
	v_cndmask_b32_e32 v123, v123, v138, vcc_lo
	v_cndmask_b32_e32 v122, v122, v137, vcc_lo
	;; [unrolled: 1-line block ×4, first 2 shown]
	v_cndmask_b32_e64 v130, v130, s1, vcc_lo
	s_add_i32 s1, s1, 1
	s_cmp_lg_u32 s18, s1
	s_cbranch_scc1 .LBB58_295
.LBB58_296:
	s_inst_prefetch 0x2
	s_waitcnt lgkmcnt(0)
	v_cmp_eq_f64_e32 vcc_lo, 0, v[122:123]
	v_cmp_eq_f64_e64 s0, 0, v[124:125]
	s_and_b32 s0, vcc_lo, s0
	s_and_saveexec_b32 s1, s0
	s_xor_b32 s0, exec_lo, s1
; %bb.297:
	v_cmp_ne_u32_e32 vcc_lo, 0, v135
	v_cndmask_b32_e32 v135, 15, v135, vcc_lo
; %bb.298:
	s_andn2_saveexec_b32 s0, s0
	s_cbranch_execz .LBB58_304
; %bb.299:
	v_cmp_ngt_f64_e64 s1, |v[122:123]|, |v[124:125]|
	s_and_saveexec_b32 s2, s1
	s_xor_b32 s1, exec_lo, s2
	s_cbranch_execz .LBB58_301
; %bb.300:
	v_div_scale_f64 v[137:138], null, v[124:125], v[124:125], v[122:123]
	v_div_scale_f64 v[143:144], vcc_lo, v[122:123], v[124:125], v[122:123]
	v_rcp_f64_e32 v[139:140], v[137:138]
	v_fma_f64 v[141:142], -v[137:138], v[139:140], 1.0
	v_fma_f64 v[139:140], v[139:140], v[141:142], v[139:140]
	v_fma_f64 v[141:142], -v[137:138], v[139:140], 1.0
	v_fma_f64 v[139:140], v[139:140], v[141:142], v[139:140]
	v_mul_f64 v[141:142], v[143:144], v[139:140]
	v_fma_f64 v[137:138], -v[137:138], v[141:142], v[143:144]
	v_div_fmas_f64 v[137:138], v[137:138], v[139:140], v[141:142]
	v_div_fixup_f64 v[137:138], v[137:138], v[124:125], v[122:123]
	v_fma_f64 v[122:123], v[122:123], v[137:138], v[124:125]
	v_div_scale_f64 v[124:125], null, v[122:123], v[122:123], 1.0
	v_rcp_f64_e32 v[139:140], v[124:125]
	v_fma_f64 v[141:142], -v[124:125], v[139:140], 1.0
	v_fma_f64 v[139:140], v[139:140], v[141:142], v[139:140]
	v_fma_f64 v[141:142], -v[124:125], v[139:140], 1.0
	v_fma_f64 v[139:140], v[139:140], v[141:142], v[139:140]
	v_div_scale_f64 v[141:142], vcc_lo, 1.0, v[122:123], 1.0
	v_mul_f64 v[143:144], v[141:142], v[139:140]
	v_fma_f64 v[124:125], -v[124:125], v[143:144], v[141:142]
	v_div_fmas_f64 v[124:125], v[124:125], v[139:140], v[143:144]
	v_div_fixup_f64 v[124:125], v[124:125], v[122:123], 1.0
	v_mul_f64 v[122:123], v[137:138], v[124:125]
	v_xor_b32_e32 v125, 0x80000000, v125
.LBB58_301:
	s_andn2_saveexec_b32 s1, s1
	s_cbranch_execz .LBB58_303
; %bb.302:
	v_div_scale_f64 v[137:138], null, v[122:123], v[122:123], v[124:125]
	v_div_scale_f64 v[143:144], vcc_lo, v[124:125], v[122:123], v[124:125]
	v_rcp_f64_e32 v[139:140], v[137:138]
	v_fma_f64 v[141:142], -v[137:138], v[139:140], 1.0
	v_fma_f64 v[139:140], v[139:140], v[141:142], v[139:140]
	v_fma_f64 v[141:142], -v[137:138], v[139:140], 1.0
	v_fma_f64 v[139:140], v[139:140], v[141:142], v[139:140]
	v_mul_f64 v[141:142], v[143:144], v[139:140]
	v_fma_f64 v[137:138], -v[137:138], v[141:142], v[143:144]
	v_div_fmas_f64 v[137:138], v[137:138], v[139:140], v[141:142]
	v_div_fixup_f64 v[137:138], v[137:138], v[122:123], v[124:125]
	v_fma_f64 v[122:123], v[124:125], v[137:138], v[122:123]
	v_div_scale_f64 v[124:125], null, v[122:123], v[122:123], 1.0
	v_rcp_f64_e32 v[139:140], v[124:125]
	v_fma_f64 v[141:142], -v[124:125], v[139:140], 1.0
	v_fma_f64 v[139:140], v[139:140], v[141:142], v[139:140]
	v_fma_f64 v[141:142], -v[124:125], v[139:140], 1.0
	v_fma_f64 v[139:140], v[139:140], v[141:142], v[139:140]
	v_div_scale_f64 v[141:142], vcc_lo, 1.0, v[122:123], 1.0
	v_mul_f64 v[143:144], v[141:142], v[139:140]
	v_fma_f64 v[124:125], -v[124:125], v[143:144], v[141:142]
	v_div_fmas_f64 v[124:125], v[124:125], v[139:140], v[143:144]
	v_div_fixup_f64 v[122:123], v[124:125], v[122:123], 1.0
	v_mul_f64 v[124:125], v[137:138], -v[122:123]
.LBB58_303:
	s_or_b32 exec_lo, exec_lo, s1
.LBB58_304:
	s_or_b32 exec_lo, exec_lo, s0
	s_mov_b32 s0, exec_lo
	v_cmpx_ne_u32_e64 v136, v130
	s_xor_b32 s0, exec_lo, s0
	s_cbranch_execz .LBB58_310
; %bb.305:
	s_mov_b32 s1, exec_lo
	v_cmpx_eq_u32_e32 14, v136
	s_cbranch_execz .LBB58_309
; %bb.306:
	v_cmp_ne_u32_e32 vcc_lo, 14, v130
	s_xor_b32 s2, s16, -1
	s_and_b32 s3, s2, vcc_lo
	s_and_saveexec_b32 s2, s3
	s_cbranch_execz .LBB58_308
; %bb.307:
	v_ashrrev_i32_e32 v131, 31, v130
	v_lshlrev_b64 v[136:137], 2, v[130:131]
	v_add_co_u32 v136, vcc_lo, v128, v136
	v_add_co_ci_u32_e64 v137, null, v129, v137, vcc_lo
	s_clause 0x1
	global_load_dword v0, v[136:137], off
	global_load_dword v131, v[128:129], off offset:56
	s_waitcnt vmcnt(1)
	global_store_dword v[128:129], v0, off offset:56
	s_waitcnt vmcnt(0)
	global_store_dword v[136:137], v131, off
.LBB58_308:
	s_or_b32 exec_lo, exec_lo, s2
	v_mov_b32_e32 v136, v130
	v_mov_b32_e32 v0, v130
.LBB58_309:
	s_or_b32 exec_lo, exec_lo, s1
.LBB58_310:
	s_andn2_saveexec_b32 s0, s0
	s_cbranch_execz .LBB58_312
; %bb.311:
	v_mov_b32_e32 v136, 14
	ds_write2_b64 v1, v[58:59], v[60:61] offset0:30 offset1:31
	ds_write2_b64 v1, v[54:55], v[56:57] offset0:32 offset1:33
	;; [unrolled: 1-line block ×15, first 2 shown]
.LBB58_312:
	s_or_b32 exec_lo, exec_lo, s0
	s_mov_b32 s0, exec_lo
	s_waitcnt lgkmcnt(0)
	s_waitcnt_vscnt null, 0x0
	s_barrier
	buffer_gl0_inv
	v_cmpx_lt_i32_e32 14, v136
	s_cbranch_execz .LBB58_314
; %bb.313:
	v_mul_f64 v[130:131], v[122:123], v[64:65]
	v_mul_f64 v[64:65], v[124:125], v[64:65]
	v_fma_f64 v[130:131], v[124:125], v[62:63], v[130:131]
	v_fma_f64 v[62:63], v[122:123], v[62:63], -v[64:65]
	ds_read2_b64 v[122:125], v1 offset0:30 offset1:31
	s_waitcnt lgkmcnt(0)
	v_mul_f64 v[64:65], v[124:125], v[130:131]
	v_fma_f64 v[64:65], v[122:123], v[62:63], -v[64:65]
	v_mul_f64 v[122:123], v[122:123], v[130:131]
	v_add_f64 v[58:59], v[58:59], -v[64:65]
	v_fma_f64 v[122:123], v[124:125], v[62:63], v[122:123]
	v_add_f64 v[60:61], v[60:61], -v[122:123]
	ds_read2_b64 v[122:125], v1 offset0:32 offset1:33
	s_waitcnt lgkmcnt(0)
	v_mul_f64 v[64:65], v[124:125], v[130:131]
	v_fma_f64 v[64:65], v[122:123], v[62:63], -v[64:65]
	v_mul_f64 v[122:123], v[122:123], v[130:131]
	v_add_f64 v[54:55], v[54:55], -v[64:65]
	v_fma_f64 v[122:123], v[124:125], v[62:63], v[122:123]
	v_add_f64 v[56:57], v[56:57], -v[122:123]
	;; [unrolled: 8-line block ×14, first 2 shown]
	ds_read2_b64 v[122:125], v1 offset0:58 offset1:59
	s_waitcnt lgkmcnt(0)
	v_mul_f64 v[64:65], v[124:125], v[130:131]
	v_fma_f64 v[64:65], v[122:123], v[62:63], -v[64:65]
	v_mul_f64 v[122:123], v[122:123], v[130:131]
	v_add_f64 v[2:3], v[2:3], -v[64:65]
	v_fma_f64 v[122:123], v[124:125], v[62:63], v[122:123]
	v_mov_b32_e32 v64, v130
	v_mov_b32_e32 v65, v131
	v_add_f64 v[4:5], v[4:5], -v[122:123]
.LBB58_314:
	s_or_b32 exec_lo, exec_lo, s0
	v_lshl_add_u32 v122, v136, 4, v1
	s_barrier
	buffer_gl0_inv
	v_mov_b32_e32 v130, 15
	ds_write2_b64 v122, v[58:59], v[60:61] offset1:1
	s_waitcnt lgkmcnt(0)
	s_barrier
	buffer_gl0_inv
	ds_read2_b64 v[122:125], v1 offset0:30 offset1:31
	s_cmp_lt_i32 s18, 17
	s_cbranch_scc1 .LBB58_317
; %bb.315:
	v_add3_u32 v131, v132, 0, 0x100
	v_mov_b32_e32 v130, 15
	s_mov_b32 s1, 16
	s_inst_prefetch 0x1
	.p2align	6
.LBB58_316:                             ; =>This Inner Loop Header: Depth=1
	s_waitcnt lgkmcnt(0)
	v_cmp_gt_f64_e32 vcc_lo, 0, v[124:125]
	v_cmp_gt_f64_e64 s0, 0, v[122:123]
	ds_read2_b64 v[137:140], v131 offset1:1
	v_xor_b32_e32 v142, 0x80000000, v123
	v_xor_b32_e32 v144, 0x80000000, v125
	v_mov_b32_e32 v141, v122
	v_mov_b32_e32 v143, v124
	v_add_nc_u32_e32 v131, 16, v131
	s_waitcnt lgkmcnt(0)
	v_xor_b32_e32 v146, 0x80000000, v140
	v_cndmask_b32_e64 v142, v123, v142, s0
	v_cndmask_b32_e32 v144, v125, v144, vcc_lo
	v_cmp_gt_f64_e32 vcc_lo, 0, v[139:140]
	v_cmp_gt_f64_e64 s0, 0, v[137:138]
	v_mov_b32_e32 v145, v139
	v_add_f64 v[141:142], v[141:142], v[143:144]
	v_xor_b32_e32 v144, 0x80000000, v138
	v_mov_b32_e32 v143, v137
	v_cndmask_b32_e32 v146, v140, v146, vcc_lo
	v_cndmask_b32_e64 v144, v138, v144, s0
	v_add_f64 v[143:144], v[143:144], v[145:146]
	v_cmp_lt_f64_e32 vcc_lo, v[141:142], v[143:144]
	v_cndmask_b32_e32 v123, v123, v138, vcc_lo
	v_cndmask_b32_e32 v122, v122, v137, vcc_lo
	;; [unrolled: 1-line block ×4, first 2 shown]
	v_cndmask_b32_e64 v130, v130, s1, vcc_lo
	s_add_i32 s1, s1, 1
	s_cmp_lg_u32 s18, s1
	s_cbranch_scc1 .LBB58_316
.LBB58_317:
	s_inst_prefetch 0x2
	s_waitcnt lgkmcnt(0)
	v_cmp_eq_f64_e32 vcc_lo, 0, v[122:123]
	v_cmp_eq_f64_e64 s0, 0, v[124:125]
	s_and_b32 s0, vcc_lo, s0
	s_and_saveexec_b32 s1, s0
	s_xor_b32 s0, exec_lo, s1
; %bb.318:
	v_cmp_ne_u32_e32 vcc_lo, 0, v135
	v_cndmask_b32_e32 v135, 16, v135, vcc_lo
; %bb.319:
	s_andn2_saveexec_b32 s0, s0
	s_cbranch_execz .LBB58_325
; %bb.320:
	v_cmp_ngt_f64_e64 s1, |v[122:123]|, |v[124:125]|
	s_and_saveexec_b32 s2, s1
	s_xor_b32 s1, exec_lo, s2
	s_cbranch_execz .LBB58_322
; %bb.321:
	v_div_scale_f64 v[137:138], null, v[124:125], v[124:125], v[122:123]
	v_div_scale_f64 v[143:144], vcc_lo, v[122:123], v[124:125], v[122:123]
	v_rcp_f64_e32 v[139:140], v[137:138]
	v_fma_f64 v[141:142], -v[137:138], v[139:140], 1.0
	v_fma_f64 v[139:140], v[139:140], v[141:142], v[139:140]
	v_fma_f64 v[141:142], -v[137:138], v[139:140], 1.0
	v_fma_f64 v[139:140], v[139:140], v[141:142], v[139:140]
	v_mul_f64 v[141:142], v[143:144], v[139:140]
	v_fma_f64 v[137:138], -v[137:138], v[141:142], v[143:144]
	v_div_fmas_f64 v[137:138], v[137:138], v[139:140], v[141:142]
	v_div_fixup_f64 v[137:138], v[137:138], v[124:125], v[122:123]
	v_fma_f64 v[122:123], v[122:123], v[137:138], v[124:125]
	v_div_scale_f64 v[124:125], null, v[122:123], v[122:123], 1.0
	v_rcp_f64_e32 v[139:140], v[124:125]
	v_fma_f64 v[141:142], -v[124:125], v[139:140], 1.0
	v_fma_f64 v[139:140], v[139:140], v[141:142], v[139:140]
	v_fma_f64 v[141:142], -v[124:125], v[139:140], 1.0
	v_fma_f64 v[139:140], v[139:140], v[141:142], v[139:140]
	v_div_scale_f64 v[141:142], vcc_lo, 1.0, v[122:123], 1.0
	v_mul_f64 v[143:144], v[141:142], v[139:140]
	v_fma_f64 v[124:125], -v[124:125], v[143:144], v[141:142]
	v_div_fmas_f64 v[124:125], v[124:125], v[139:140], v[143:144]
	v_div_fixup_f64 v[124:125], v[124:125], v[122:123], 1.0
	v_mul_f64 v[122:123], v[137:138], v[124:125]
	v_xor_b32_e32 v125, 0x80000000, v125
.LBB58_322:
	s_andn2_saveexec_b32 s1, s1
	s_cbranch_execz .LBB58_324
; %bb.323:
	v_div_scale_f64 v[137:138], null, v[122:123], v[122:123], v[124:125]
	v_div_scale_f64 v[143:144], vcc_lo, v[124:125], v[122:123], v[124:125]
	v_rcp_f64_e32 v[139:140], v[137:138]
	v_fma_f64 v[141:142], -v[137:138], v[139:140], 1.0
	v_fma_f64 v[139:140], v[139:140], v[141:142], v[139:140]
	v_fma_f64 v[141:142], -v[137:138], v[139:140], 1.0
	v_fma_f64 v[139:140], v[139:140], v[141:142], v[139:140]
	v_mul_f64 v[141:142], v[143:144], v[139:140]
	v_fma_f64 v[137:138], -v[137:138], v[141:142], v[143:144]
	v_div_fmas_f64 v[137:138], v[137:138], v[139:140], v[141:142]
	v_div_fixup_f64 v[137:138], v[137:138], v[122:123], v[124:125]
	v_fma_f64 v[122:123], v[124:125], v[137:138], v[122:123]
	v_div_scale_f64 v[124:125], null, v[122:123], v[122:123], 1.0
	v_rcp_f64_e32 v[139:140], v[124:125]
	v_fma_f64 v[141:142], -v[124:125], v[139:140], 1.0
	v_fma_f64 v[139:140], v[139:140], v[141:142], v[139:140]
	v_fma_f64 v[141:142], -v[124:125], v[139:140], 1.0
	v_fma_f64 v[139:140], v[139:140], v[141:142], v[139:140]
	v_div_scale_f64 v[141:142], vcc_lo, 1.0, v[122:123], 1.0
	v_mul_f64 v[143:144], v[141:142], v[139:140]
	v_fma_f64 v[124:125], -v[124:125], v[143:144], v[141:142]
	v_div_fmas_f64 v[124:125], v[124:125], v[139:140], v[143:144]
	v_div_fixup_f64 v[122:123], v[124:125], v[122:123], 1.0
	v_mul_f64 v[124:125], v[137:138], -v[122:123]
.LBB58_324:
	s_or_b32 exec_lo, exec_lo, s1
.LBB58_325:
	s_or_b32 exec_lo, exec_lo, s0
	s_mov_b32 s0, exec_lo
	v_cmpx_ne_u32_e64 v136, v130
	s_xor_b32 s0, exec_lo, s0
	s_cbranch_execz .LBB58_331
; %bb.326:
	s_mov_b32 s1, exec_lo
	v_cmpx_eq_u32_e32 15, v136
	s_cbranch_execz .LBB58_330
; %bb.327:
	v_cmp_ne_u32_e32 vcc_lo, 15, v130
	s_xor_b32 s2, s16, -1
	s_and_b32 s3, s2, vcc_lo
	s_and_saveexec_b32 s2, s3
	s_cbranch_execz .LBB58_329
; %bb.328:
	v_ashrrev_i32_e32 v131, 31, v130
	v_lshlrev_b64 v[136:137], 2, v[130:131]
	v_add_co_u32 v136, vcc_lo, v128, v136
	v_add_co_ci_u32_e64 v137, null, v129, v137, vcc_lo
	s_clause 0x1
	global_load_dword v0, v[136:137], off
	global_load_dword v131, v[128:129], off offset:60
	s_waitcnt vmcnt(1)
	global_store_dword v[128:129], v0, off offset:60
	s_waitcnt vmcnt(0)
	global_store_dword v[136:137], v131, off
.LBB58_329:
	s_or_b32 exec_lo, exec_lo, s2
	v_mov_b32_e32 v136, v130
	v_mov_b32_e32 v0, v130
.LBB58_330:
	s_or_b32 exec_lo, exec_lo, s1
.LBB58_331:
	s_andn2_saveexec_b32 s0, s0
	s_cbranch_execz .LBB58_333
; %bb.332:
	v_mov_b32_e32 v136, 15
	ds_write2_b64 v1, v[54:55], v[56:57] offset0:32 offset1:33
	ds_write2_b64 v1, v[50:51], v[52:53] offset0:34 offset1:35
	;; [unrolled: 1-line block ×14, first 2 shown]
.LBB58_333:
	s_or_b32 exec_lo, exec_lo, s0
	s_mov_b32 s0, exec_lo
	s_waitcnt lgkmcnt(0)
	s_waitcnt_vscnt null, 0x0
	s_barrier
	buffer_gl0_inv
	v_cmpx_lt_i32_e32 15, v136
	s_cbranch_execz .LBB58_335
; %bb.334:
	v_mul_f64 v[130:131], v[122:123], v[60:61]
	v_mul_f64 v[60:61], v[124:125], v[60:61]
	v_fma_f64 v[130:131], v[124:125], v[58:59], v[130:131]
	v_fma_f64 v[58:59], v[122:123], v[58:59], -v[60:61]
	ds_read2_b64 v[122:125], v1 offset0:32 offset1:33
	s_waitcnt lgkmcnt(0)
	v_mul_f64 v[60:61], v[124:125], v[130:131]
	v_fma_f64 v[60:61], v[122:123], v[58:59], -v[60:61]
	v_mul_f64 v[122:123], v[122:123], v[130:131]
	v_add_f64 v[54:55], v[54:55], -v[60:61]
	v_fma_f64 v[122:123], v[124:125], v[58:59], v[122:123]
	v_add_f64 v[56:57], v[56:57], -v[122:123]
	ds_read2_b64 v[122:125], v1 offset0:34 offset1:35
	s_waitcnt lgkmcnt(0)
	v_mul_f64 v[60:61], v[124:125], v[130:131]
	v_fma_f64 v[60:61], v[122:123], v[58:59], -v[60:61]
	v_mul_f64 v[122:123], v[122:123], v[130:131]
	v_add_f64 v[50:51], v[50:51], -v[60:61]
	v_fma_f64 v[122:123], v[124:125], v[58:59], v[122:123]
	v_add_f64 v[52:53], v[52:53], -v[122:123]
	;; [unrolled: 8-line block ×13, first 2 shown]
	ds_read2_b64 v[122:125], v1 offset0:58 offset1:59
	s_waitcnt lgkmcnt(0)
	v_mul_f64 v[60:61], v[124:125], v[130:131]
	v_fma_f64 v[60:61], v[122:123], v[58:59], -v[60:61]
	v_mul_f64 v[122:123], v[122:123], v[130:131]
	v_add_f64 v[2:3], v[2:3], -v[60:61]
	v_fma_f64 v[122:123], v[124:125], v[58:59], v[122:123]
	v_mov_b32_e32 v60, v130
	v_mov_b32_e32 v61, v131
	v_add_f64 v[4:5], v[4:5], -v[122:123]
.LBB58_335:
	s_or_b32 exec_lo, exec_lo, s0
	v_lshl_add_u32 v122, v136, 4, v1
	s_barrier
	buffer_gl0_inv
	v_mov_b32_e32 v130, 16
	ds_write2_b64 v122, v[54:55], v[56:57] offset1:1
	s_waitcnt lgkmcnt(0)
	s_barrier
	buffer_gl0_inv
	ds_read2_b64 v[122:125], v1 offset0:32 offset1:33
	s_cmp_lt_i32 s18, 18
	s_cbranch_scc1 .LBB58_338
; %bb.336:
	v_add3_u32 v131, v132, 0, 0x110
	v_mov_b32_e32 v130, 16
	s_mov_b32 s1, 17
	s_inst_prefetch 0x1
	.p2align	6
.LBB58_337:                             ; =>This Inner Loop Header: Depth=1
	s_waitcnt lgkmcnt(0)
	v_cmp_gt_f64_e32 vcc_lo, 0, v[124:125]
	v_cmp_gt_f64_e64 s0, 0, v[122:123]
	ds_read2_b64 v[137:140], v131 offset1:1
	v_xor_b32_e32 v142, 0x80000000, v123
	v_xor_b32_e32 v144, 0x80000000, v125
	v_mov_b32_e32 v141, v122
	v_mov_b32_e32 v143, v124
	v_add_nc_u32_e32 v131, 16, v131
	s_waitcnt lgkmcnt(0)
	v_xor_b32_e32 v146, 0x80000000, v140
	v_cndmask_b32_e64 v142, v123, v142, s0
	v_cndmask_b32_e32 v144, v125, v144, vcc_lo
	v_cmp_gt_f64_e32 vcc_lo, 0, v[139:140]
	v_cmp_gt_f64_e64 s0, 0, v[137:138]
	v_mov_b32_e32 v145, v139
	v_add_f64 v[141:142], v[141:142], v[143:144]
	v_xor_b32_e32 v144, 0x80000000, v138
	v_mov_b32_e32 v143, v137
	v_cndmask_b32_e32 v146, v140, v146, vcc_lo
	v_cndmask_b32_e64 v144, v138, v144, s0
	v_add_f64 v[143:144], v[143:144], v[145:146]
	v_cmp_lt_f64_e32 vcc_lo, v[141:142], v[143:144]
	v_cndmask_b32_e32 v123, v123, v138, vcc_lo
	v_cndmask_b32_e32 v122, v122, v137, vcc_lo
	;; [unrolled: 1-line block ×4, first 2 shown]
	v_cndmask_b32_e64 v130, v130, s1, vcc_lo
	s_add_i32 s1, s1, 1
	s_cmp_lg_u32 s18, s1
	s_cbranch_scc1 .LBB58_337
.LBB58_338:
	s_inst_prefetch 0x2
	s_waitcnt lgkmcnt(0)
	v_cmp_eq_f64_e32 vcc_lo, 0, v[122:123]
	v_cmp_eq_f64_e64 s0, 0, v[124:125]
	s_and_b32 s0, vcc_lo, s0
	s_and_saveexec_b32 s1, s0
	s_xor_b32 s0, exec_lo, s1
; %bb.339:
	v_cmp_ne_u32_e32 vcc_lo, 0, v135
	v_cndmask_b32_e32 v135, 17, v135, vcc_lo
; %bb.340:
	s_andn2_saveexec_b32 s0, s0
	s_cbranch_execz .LBB58_346
; %bb.341:
	v_cmp_ngt_f64_e64 s1, |v[122:123]|, |v[124:125]|
	s_and_saveexec_b32 s2, s1
	s_xor_b32 s1, exec_lo, s2
	s_cbranch_execz .LBB58_343
; %bb.342:
	v_div_scale_f64 v[137:138], null, v[124:125], v[124:125], v[122:123]
	v_div_scale_f64 v[143:144], vcc_lo, v[122:123], v[124:125], v[122:123]
	v_rcp_f64_e32 v[139:140], v[137:138]
	v_fma_f64 v[141:142], -v[137:138], v[139:140], 1.0
	v_fma_f64 v[139:140], v[139:140], v[141:142], v[139:140]
	v_fma_f64 v[141:142], -v[137:138], v[139:140], 1.0
	v_fma_f64 v[139:140], v[139:140], v[141:142], v[139:140]
	v_mul_f64 v[141:142], v[143:144], v[139:140]
	v_fma_f64 v[137:138], -v[137:138], v[141:142], v[143:144]
	v_div_fmas_f64 v[137:138], v[137:138], v[139:140], v[141:142]
	v_div_fixup_f64 v[137:138], v[137:138], v[124:125], v[122:123]
	v_fma_f64 v[122:123], v[122:123], v[137:138], v[124:125]
	v_div_scale_f64 v[124:125], null, v[122:123], v[122:123], 1.0
	v_rcp_f64_e32 v[139:140], v[124:125]
	v_fma_f64 v[141:142], -v[124:125], v[139:140], 1.0
	v_fma_f64 v[139:140], v[139:140], v[141:142], v[139:140]
	v_fma_f64 v[141:142], -v[124:125], v[139:140], 1.0
	v_fma_f64 v[139:140], v[139:140], v[141:142], v[139:140]
	v_div_scale_f64 v[141:142], vcc_lo, 1.0, v[122:123], 1.0
	v_mul_f64 v[143:144], v[141:142], v[139:140]
	v_fma_f64 v[124:125], -v[124:125], v[143:144], v[141:142]
	v_div_fmas_f64 v[124:125], v[124:125], v[139:140], v[143:144]
	v_div_fixup_f64 v[124:125], v[124:125], v[122:123], 1.0
	v_mul_f64 v[122:123], v[137:138], v[124:125]
	v_xor_b32_e32 v125, 0x80000000, v125
.LBB58_343:
	s_andn2_saveexec_b32 s1, s1
	s_cbranch_execz .LBB58_345
; %bb.344:
	v_div_scale_f64 v[137:138], null, v[122:123], v[122:123], v[124:125]
	v_div_scale_f64 v[143:144], vcc_lo, v[124:125], v[122:123], v[124:125]
	v_rcp_f64_e32 v[139:140], v[137:138]
	v_fma_f64 v[141:142], -v[137:138], v[139:140], 1.0
	v_fma_f64 v[139:140], v[139:140], v[141:142], v[139:140]
	v_fma_f64 v[141:142], -v[137:138], v[139:140], 1.0
	v_fma_f64 v[139:140], v[139:140], v[141:142], v[139:140]
	v_mul_f64 v[141:142], v[143:144], v[139:140]
	v_fma_f64 v[137:138], -v[137:138], v[141:142], v[143:144]
	v_div_fmas_f64 v[137:138], v[137:138], v[139:140], v[141:142]
	v_div_fixup_f64 v[137:138], v[137:138], v[122:123], v[124:125]
	v_fma_f64 v[122:123], v[124:125], v[137:138], v[122:123]
	v_div_scale_f64 v[124:125], null, v[122:123], v[122:123], 1.0
	v_rcp_f64_e32 v[139:140], v[124:125]
	v_fma_f64 v[141:142], -v[124:125], v[139:140], 1.0
	v_fma_f64 v[139:140], v[139:140], v[141:142], v[139:140]
	v_fma_f64 v[141:142], -v[124:125], v[139:140], 1.0
	v_fma_f64 v[139:140], v[139:140], v[141:142], v[139:140]
	v_div_scale_f64 v[141:142], vcc_lo, 1.0, v[122:123], 1.0
	v_mul_f64 v[143:144], v[141:142], v[139:140]
	v_fma_f64 v[124:125], -v[124:125], v[143:144], v[141:142]
	v_div_fmas_f64 v[124:125], v[124:125], v[139:140], v[143:144]
	v_div_fixup_f64 v[122:123], v[124:125], v[122:123], 1.0
	v_mul_f64 v[124:125], v[137:138], -v[122:123]
.LBB58_345:
	s_or_b32 exec_lo, exec_lo, s1
.LBB58_346:
	s_or_b32 exec_lo, exec_lo, s0
	s_mov_b32 s0, exec_lo
	v_cmpx_ne_u32_e64 v136, v130
	s_xor_b32 s0, exec_lo, s0
	s_cbranch_execz .LBB58_352
; %bb.347:
	s_mov_b32 s1, exec_lo
	v_cmpx_eq_u32_e32 16, v136
	s_cbranch_execz .LBB58_351
; %bb.348:
	v_cmp_ne_u32_e32 vcc_lo, 16, v130
	s_xor_b32 s2, s16, -1
	s_and_b32 s3, s2, vcc_lo
	s_and_saveexec_b32 s2, s3
	s_cbranch_execz .LBB58_350
; %bb.349:
	v_ashrrev_i32_e32 v131, 31, v130
	v_lshlrev_b64 v[136:137], 2, v[130:131]
	v_add_co_u32 v136, vcc_lo, v128, v136
	v_add_co_ci_u32_e64 v137, null, v129, v137, vcc_lo
	s_clause 0x1
	global_load_dword v0, v[136:137], off
	global_load_dword v131, v[128:129], off offset:64
	s_waitcnt vmcnt(1)
	global_store_dword v[128:129], v0, off offset:64
	s_waitcnt vmcnt(0)
	global_store_dword v[136:137], v131, off
.LBB58_350:
	s_or_b32 exec_lo, exec_lo, s2
	v_mov_b32_e32 v136, v130
	v_mov_b32_e32 v0, v130
.LBB58_351:
	s_or_b32 exec_lo, exec_lo, s1
.LBB58_352:
	s_andn2_saveexec_b32 s0, s0
	s_cbranch_execz .LBB58_354
; %bb.353:
	v_mov_b32_e32 v136, 16
	ds_write2_b64 v1, v[50:51], v[52:53] offset0:34 offset1:35
	ds_write2_b64 v1, v[46:47], v[48:49] offset0:36 offset1:37
	;; [unrolled: 1-line block ×13, first 2 shown]
.LBB58_354:
	s_or_b32 exec_lo, exec_lo, s0
	s_mov_b32 s0, exec_lo
	s_waitcnt lgkmcnt(0)
	s_waitcnt_vscnt null, 0x0
	s_barrier
	buffer_gl0_inv
	v_cmpx_lt_i32_e32 16, v136
	s_cbranch_execz .LBB58_356
; %bb.355:
	v_mul_f64 v[130:131], v[122:123], v[56:57]
	v_mul_f64 v[56:57], v[124:125], v[56:57]
	v_fma_f64 v[130:131], v[124:125], v[54:55], v[130:131]
	v_fma_f64 v[54:55], v[122:123], v[54:55], -v[56:57]
	ds_read2_b64 v[122:125], v1 offset0:34 offset1:35
	s_waitcnt lgkmcnt(0)
	v_mul_f64 v[56:57], v[124:125], v[130:131]
	v_fma_f64 v[56:57], v[122:123], v[54:55], -v[56:57]
	v_mul_f64 v[122:123], v[122:123], v[130:131]
	v_add_f64 v[50:51], v[50:51], -v[56:57]
	v_fma_f64 v[122:123], v[124:125], v[54:55], v[122:123]
	v_add_f64 v[52:53], v[52:53], -v[122:123]
	ds_read2_b64 v[122:125], v1 offset0:36 offset1:37
	s_waitcnt lgkmcnt(0)
	v_mul_f64 v[56:57], v[124:125], v[130:131]
	v_fma_f64 v[56:57], v[122:123], v[54:55], -v[56:57]
	v_mul_f64 v[122:123], v[122:123], v[130:131]
	v_add_f64 v[46:47], v[46:47], -v[56:57]
	v_fma_f64 v[122:123], v[124:125], v[54:55], v[122:123]
	v_add_f64 v[48:49], v[48:49], -v[122:123]
	;; [unrolled: 8-line block ×12, first 2 shown]
	ds_read2_b64 v[122:125], v1 offset0:58 offset1:59
	s_waitcnt lgkmcnt(0)
	v_mul_f64 v[56:57], v[124:125], v[130:131]
	v_fma_f64 v[56:57], v[122:123], v[54:55], -v[56:57]
	v_mul_f64 v[122:123], v[122:123], v[130:131]
	v_add_f64 v[2:3], v[2:3], -v[56:57]
	v_fma_f64 v[122:123], v[124:125], v[54:55], v[122:123]
	v_mov_b32_e32 v56, v130
	v_mov_b32_e32 v57, v131
	v_add_f64 v[4:5], v[4:5], -v[122:123]
.LBB58_356:
	s_or_b32 exec_lo, exec_lo, s0
	v_lshl_add_u32 v122, v136, 4, v1
	s_barrier
	buffer_gl0_inv
	v_mov_b32_e32 v130, 17
	ds_write2_b64 v122, v[50:51], v[52:53] offset1:1
	s_waitcnt lgkmcnt(0)
	s_barrier
	buffer_gl0_inv
	ds_read2_b64 v[122:125], v1 offset0:34 offset1:35
	s_cmp_lt_i32 s18, 19
	s_cbranch_scc1 .LBB58_359
; %bb.357:
	v_add3_u32 v131, v132, 0, 0x120
	v_mov_b32_e32 v130, 17
	s_mov_b32 s1, 18
	s_inst_prefetch 0x1
	.p2align	6
.LBB58_358:                             ; =>This Inner Loop Header: Depth=1
	s_waitcnt lgkmcnt(0)
	v_cmp_gt_f64_e32 vcc_lo, 0, v[124:125]
	v_cmp_gt_f64_e64 s0, 0, v[122:123]
	ds_read2_b64 v[137:140], v131 offset1:1
	v_xor_b32_e32 v142, 0x80000000, v123
	v_xor_b32_e32 v144, 0x80000000, v125
	v_mov_b32_e32 v141, v122
	v_mov_b32_e32 v143, v124
	v_add_nc_u32_e32 v131, 16, v131
	s_waitcnt lgkmcnt(0)
	v_xor_b32_e32 v146, 0x80000000, v140
	v_cndmask_b32_e64 v142, v123, v142, s0
	v_cndmask_b32_e32 v144, v125, v144, vcc_lo
	v_cmp_gt_f64_e32 vcc_lo, 0, v[139:140]
	v_cmp_gt_f64_e64 s0, 0, v[137:138]
	v_mov_b32_e32 v145, v139
	v_add_f64 v[141:142], v[141:142], v[143:144]
	v_xor_b32_e32 v144, 0x80000000, v138
	v_mov_b32_e32 v143, v137
	v_cndmask_b32_e32 v146, v140, v146, vcc_lo
	v_cndmask_b32_e64 v144, v138, v144, s0
	v_add_f64 v[143:144], v[143:144], v[145:146]
	v_cmp_lt_f64_e32 vcc_lo, v[141:142], v[143:144]
	v_cndmask_b32_e32 v123, v123, v138, vcc_lo
	v_cndmask_b32_e32 v122, v122, v137, vcc_lo
	;; [unrolled: 1-line block ×4, first 2 shown]
	v_cndmask_b32_e64 v130, v130, s1, vcc_lo
	s_add_i32 s1, s1, 1
	s_cmp_lg_u32 s18, s1
	s_cbranch_scc1 .LBB58_358
.LBB58_359:
	s_inst_prefetch 0x2
	s_waitcnt lgkmcnt(0)
	v_cmp_eq_f64_e32 vcc_lo, 0, v[122:123]
	v_cmp_eq_f64_e64 s0, 0, v[124:125]
	s_and_b32 s0, vcc_lo, s0
	s_and_saveexec_b32 s1, s0
	s_xor_b32 s0, exec_lo, s1
; %bb.360:
	v_cmp_ne_u32_e32 vcc_lo, 0, v135
	v_cndmask_b32_e32 v135, 18, v135, vcc_lo
; %bb.361:
	s_andn2_saveexec_b32 s0, s0
	s_cbranch_execz .LBB58_367
; %bb.362:
	v_cmp_ngt_f64_e64 s1, |v[122:123]|, |v[124:125]|
	s_and_saveexec_b32 s2, s1
	s_xor_b32 s1, exec_lo, s2
	s_cbranch_execz .LBB58_364
; %bb.363:
	v_div_scale_f64 v[137:138], null, v[124:125], v[124:125], v[122:123]
	v_div_scale_f64 v[143:144], vcc_lo, v[122:123], v[124:125], v[122:123]
	v_rcp_f64_e32 v[139:140], v[137:138]
	v_fma_f64 v[141:142], -v[137:138], v[139:140], 1.0
	v_fma_f64 v[139:140], v[139:140], v[141:142], v[139:140]
	v_fma_f64 v[141:142], -v[137:138], v[139:140], 1.0
	v_fma_f64 v[139:140], v[139:140], v[141:142], v[139:140]
	v_mul_f64 v[141:142], v[143:144], v[139:140]
	v_fma_f64 v[137:138], -v[137:138], v[141:142], v[143:144]
	v_div_fmas_f64 v[137:138], v[137:138], v[139:140], v[141:142]
	v_div_fixup_f64 v[137:138], v[137:138], v[124:125], v[122:123]
	v_fma_f64 v[122:123], v[122:123], v[137:138], v[124:125]
	v_div_scale_f64 v[124:125], null, v[122:123], v[122:123], 1.0
	v_rcp_f64_e32 v[139:140], v[124:125]
	v_fma_f64 v[141:142], -v[124:125], v[139:140], 1.0
	v_fma_f64 v[139:140], v[139:140], v[141:142], v[139:140]
	v_fma_f64 v[141:142], -v[124:125], v[139:140], 1.0
	v_fma_f64 v[139:140], v[139:140], v[141:142], v[139:140]
	v_div_scale_f64 v[141:142], vcc_lo, 1.0, v[122:123], 1.0
	v_mul_f64 v[143:144], v[141:142], v[139:140]
	v_fma_f64 v[124:125], -v[124:125], v[143:144], v[141:142]
	v_div_fmas_f64 v[124:125], v[124:125], v[139:140], v[143:144]
	v_div_fixup_f64 v[124:125], v[124:125], v[122:123], 1.0
	v_mul_f64 v[122:123], v[137:138], v[124:125]
	v_xor_b32_e32 v125, 0x80000000, v125
.LBB58_364:
	s_andn2_saveexec_b32 s1, s1
	s_cbranch_execz .LBB58_366
; %bb.365:
	v_div_scale_f64 v[137:138], null, v[122:123], v[122:123], v[124:125]
	v_div_scale_f64 v[143:144], vcc_lo, v[124:125], v[122:123], v[124:125]
	v_rcp_f64_e32 v[139:140], v[137:138]
	v_fma_f64 v[141:142], -v[137:138], v[139:140], 1.0
	v_fma_f64 v[139:140], v[139:140], v[141:142], v[139:140]
	v_fma_f64 v[141:142], -v[137:138], v[139:140], 1.0
	v_fma_f64 v[139:140], v[139:140], v[141:142], v[139:140]
	v_mul_f64 v[141:142], v[143:144], v[139:140]
	v_fma_f64 v[137:138], -v[137:138], v[141:142], v[143:144]
	v_div_fmas_f64 v[137:138], v[137:138], v[139:140], v[141:142]
	v_div_fixup_f64 v[137:138], v[137:138], v[122:123], v[124:125]
	v_fma_f64 v[122:123], v[124:125], v[137:138], v[122:123]
	v_div_scale_f64 v[124:125], null, v[122:123], v[122:123], 1.0
	v_rcp_f64_e32 v[139:140], v[124:125]
	v_fma_f64 v[141:142], -v[124:125], v[139:140], 1.0
	v_fma_f64 v[139:140], v[139:140], v[141:142], v[139:140]
	v_fma_f64 v[141:142], -v[124:125], v[139:140], 1.0
	v_fma_f64 v[139:140], v[139:140], v[141:142], v[139:140]
	v_div_scale_f64 v[141:142], vcc_lo, 1.0, v[122:123], 1.0
	v_mul_f64 v[143:144], v[141:142], v[139:140]
	v_fma_f64 v[124:125], -v[124:125], v[143:144], v[141:142]
	v_div_fmas_f64 v[124:125], v[124:125], v[139:140], v[143:144]
	v_div_fixup_f64 v[122:123], v[124:125], v[122:123], 1.0
	v_mul_f64 v[124:125], v[137:138], -v[122:123]
.LBB58_366:
	s_or_b32 exec_lo, exec_lo, s1
.LBB58_367:
	s_or_b32 exec_lo, exec_lo, s0
	s_mov_b32 s0, exec_lo
	v_cmpx_ne_u32_e64 v136, v130
	s_xor_b32 s0, exec_lo, s0
	s_cbranch_execz .LBB58_373
; %bb.368:
	s_mov_b32 s1, exec_lo
	v_cmpx_eq_u32_e32 17, v136
	s_cbranch_execz .LBB58_372
; %bb.369:
	v_cmp_ne_u32_e32 vcc_lo, 17, v130
	s_xor_b32 s2, s16, -1
	s_and_b32 s3, s2, vcc_lo
	s_and_saveexec_b32 s2, s3
	s_cbranch_execz .LBB58_371
; %bb.370:
	v_ashrrev_i32_e32 v131, 31, v130
	v_lshlrev_b64 v[136:137], 2, v[130:131]
	v_add_co_u32 v136, vcc_lo, v128, v136
	v_add_co_ci_u32_e64 v137, null, v129, v137, vcc_lo
	s_clause 0x1
	global_load_dword v0, v[136:137], off
	global_load_dword v131, v[128:129], off offset:68
	s_waitcnt vmcnt(1)
	global_store_dword v[128:129], v0, off offset:68
	s_waitcnt vmcnt(0)
	global_store_dword v[136:137], v131, off
.LBB58_371:
	s_or_b32 exec_lo, exec_lo, s2
	v_mov_b32_e32 v136, v130
	v_mov_b32_e32 v0, v130
.LBB58_372:
	s_or_b32 exec_lo, exec_lo, s1
.LBB58_373:
	s_andn2_saveexec_b32 s0, s0
	s_cbranch_execz .LBB58_375
; %bb.374:
	v_mov_b32_e32 v136, 17
	ds_write2_b64 v1, v[46:47], v[48:49] offset0:36 offset1:37
	ds_write2_b64 v1, v[42:43], v[44:45] offset0:38 offset1:39
	;; [unrolled: 1-line block ×12, first 2 shown]
.LBB58_375:
	s_or_b32 exec_lo, exec_lo, s0
	s_mov_b32 s0, exec_lo
	s_waitcnt lgkmcnt(0)
	s_waitcnt_vscnt null, 0x0
	s_barrier
	buffer_gl0_inv
	v_cmpx_lt_i32_e32 17, v136
	s_cbranch_execz .LBB58_377
; %bb.376:
	v_mul_f64 v[130:131], v[122:123], v[52:53]
	v_mul_f64 v[52:53], v[124:125], v[52:53]
	v_fma_f64 v[130:131], v[124:125], v[50:51], v[130:131]
	v_fma_f64 v[50:51], v[122:123], v[50:51], -v[52:53]
	ds_read2_b64 v[122:125], v1 offset0:36 offset1:37
	s_waitcnt lgkmcnt(0)
	v_mul_f64 v[52:53], v[124:125], v[130:131]
	v_fma_f64 v[52:53], v[122:123], v[50:51], -v[52:53]
	v_mul_f64 v[122:123], v[122:123], v[130:131]
	v_add_f64 v[46:47], v[46:47], -v[52:53]
	v_fma_f64 v[122:123], v[124:125], v[50:51], v[122:123]
	v_add_f64 v[48:49], v[48:49], -v[122:123]
	ds_read2_b64 v[122:125], v1 offset0:38 offset1:39
	s_waitcnt lgkmcnt(0)
	v_mul_f64 v[52:53], v[124:125], v[130:131]
	v_fma_f64 v[52:53], v[122:123], v[50:51], -v[52:53]
	v_mul_f64 v[122:123], v[122:123], v[130:131]
	v_add_f64 v[42:43], v[42:43], -v[52:53]
	v_fma_f64 v[122:123], v[124:125], v[50:51], v[122:123]
	v_add_f64 v[44:45], v[44:45], -v[122:123]
	;; [unrolled: 8-line block ×11, first 2 shown]
	ds_read2_b64 v[122:125], v1 offset0:58 offset1:59
	s_waitcnt lgkmcnt(0)
	v_mul_f64 v[52:53], v[124:125], v[130:131]
	v_fma_f64 v[52:53], v[122:123], v[50:51], -v[52:53]
	v_mul_f64 v[122:123], v[122:123], v[130:131]
	v_add_f64 v[2:3], v[2:3], -v[52:53]
	v_fma_f64 v[122:123], v[124:125], v[50:51], v[122:123]
	v_mov_b32_e32 v52, v130
	v_mov_b32_e32 v53, v131
	v_add_f64 v[4:5], v[4:5], -v[122:123]
.LBB58_377:
	s_or_b32 exec_lo, exec_lo, s0
	v_lshl_add_u32 v122, v136, 4, v1
	s_barrier
	buffer_gl0_inv
	v_mov_b32_e32 v130, 18
	ds_write2_b64 v122, v[46:47], v[48:49] offset1:1
	s_waitcnt lgkmcnt(0)
	s_barrier
	buffer_gl0_inv
	ds_read2_b64 v[122:125], v1 offset0:36 offset1:37
	s_cmp_lt_i32 s18, 20
	s_cbranch_scc1 .LBB58_380
; %bb.378:
	v_add3_u32 v131, v132, 0, 0x130
	v_mov_b32_e32 v130, 18
	s_mov_b32 s1, 19
	s_inst_prefetch 0x1
	.p2align	6
.LBB58_379:                             ; =>This Inner Loop Header: Depth=1
	s_waitcnt lgkmcnt(0)
	v_cmp_gt_f64_e32 vcc_lo, 0, v[124:125]
	v_cmp_gt_f64_e64 s0, 0, v[122:123]
	ds_read2_b64 v[137:140], v131 offset1:1
	v_xor_b32_e32 v142, 0x80000000, v123
	v_xor_b32_e32 v144, 0x80000000, v125
	v_mov_b32_e32 v141, v122
	v_mov_b32_e32 v143, v124
	v_add_nc_u32_e32 v131, 16, v131
	s_waitcnt lgkmcnt(0)
	v_xor_b32_e32 v146, 0x80000000, v140
	v_cndmask_b32_e64 v142, v123, v142, s0
	v_cndmask_b32_e32 v144, v125, v144, vcc_lo
	v_cmp_gt_f64_e32 vcc_lo, 0, v[139:140]
	v_cmp_gt_f64_e64 s0, 0, v[137:138]
	v_mov_b32_e32 v145, v139
	v_add_f64 v[141:142], v[141:142], v[143:144]
	v_xor_b32_e32 v144, 0x80000000, v138
	v_mov_b32_e32 v143, v137
	v_cndmask_b32_e32 v146, v140, v146, vcc_lo
	v_cndmask_b32_e64 v144, v138, v144, s0
	v_add_f64 v[143:144], v[143:144], v[145:146]
	v_cmp_lt_f64_e32 vcc_lo, v[141:142], v[143:144]
	v_cndmask_b32_e32 v123, v123, v138, vcc_lo
	v_cndmask_b32_e32 v122, v122, v137, vcc_lo
	v_cndmask_b32_e32 v125, v125, v140, vcc_lo
	v_cndmask_b32_e32 v124, v124, v139, vcc_lo
	v_cndmask_b32_e64 v130, v130, s1, vcc_lo
	s_add_i32 s1, s1, 1
	s_cmp_lg_u32 s18, s1
	s_cbranch_scc1 .LBB58_379
.LBB58_380:
	s_inst_prefetch 0x2
	s_waitcnt lgkmcnt(0)
	v_cmp_eq_f64_e32 vcc_lo, 0, v[122:123]
	v_cmp_eq_f64_e64 s0, 0, v[124:125]
	s_and_b32 s0, vcc_lo, s0
	s_and_saveexec_b32 s1, s0
	s_xor_b32 s0, exec_lo, s1
; %bb.381:
	v_cmp_ne_u32_e32 vcc_lo, 0, v135
	v_cndmask_b32_e32 v135, 19, v135, vcc_lo
; %bb.382:
	s_andn2_saveexec_b32 s0, s0
	s_cbranch_execz .LBB58_388
; %bb.383:
	v_cmp_ngt_f64_e64 s1, |v[122:123]|, |v[124:125]|
	s_and_saveexec_b32 s2, s1
	s_xor_b32 s1, exec_lo, s2
	s_cbranch_execz .LBB58_385
; %bb.384:
	v_div_scale_f64 v[137:138], null, v[124:125], v[124:125], v[122:123]
	v_div_scale_f64 v[143:144], vcc_lo, v[122:123], v[124:125], v[122:123]
	v_rcp_f64_e32 v[139:140], v[137:138]
	v_fma_f64 v[141:142], -v[137:138], v[139:140], 1.0
	v_fma_f64 v[139:140], v[139:140], v[141:142], v[139:140]
	v_fma_f64 v[141:142], -v[137:138], v[139:140], 1.0
	v_fma_f64 v[139:140], v[139:140], v[141:142], v[139:140]
	v_mul_f64 v[141:142], v[143:144], v[139:140]
	v_fma_f64 v[137:138], -v[137:138], v[141:142], v[143:144]
	v_div_fmas_f64 v[137:138], v[137:138], v[139:140], v[141:142]
	v_div_fixup_f64 v[137:138], v[137:138], v[124:125], v[122:123]
	v_fma_f64 v[122:123], v[122:123], v[137:138], v[124:125]
	v_div_scale_f64 v[124:125], null, v[122:123], v[122:123], 1.0
	v_rcp_f64_e32 v[139:140], v[124:125]
	v_fma_f64 v[141:142], -v[124:125], v[139:140], 1.0
	v_fma_f64 v[139:140], v[139:140], v[141:142], v[139:140]
	v_fma_f64 v[141:142], -v[124:125], v[139:140], 1.0
	v_fma_f64 v[139:140], v[139:140], v[141:142], v[139:140]
	v_div_scale_f64 v[141:142], vcc_lo, 1.0, v[122:123], 1.0
	v_mul_f64 v[143:144], v[141:142], v[139:140]
	v_fma_f64 v[124:125], -v[124:125], v[143:144], v[141:142]
	v_div_fmas_f64 v[124:125], v[124:125], v[139:140], v[143:144]
	v_div_fixup_f64 v[124:125], v[124:125], v[122:123], 1.0
	v_mul_f64 v[122:123], v[137:138], v[124:125]
	v_xor_b32_e32 v125, 0x80000000, v125
.LBB58_385:
	s_andn2_saveexec_b32 s1, s1
	s_cbranch_execz .LBB58_387
; %bb.386:
	v_div_scale_f64 v[137:138], null, v[122:123], v[122:123], v[124:125]
	v_div_scale_f64 v[143:144], vcc_lo, v[124:125], v[122:123], v[124:125]
	v_rcp_f64_e32 v[139:140], v[137:138]
	v_fma_f64 v[141:142], -v[137:138], v[139:140], 1.0
	v_fma_f64 v[139:140], v[139:140], v[141:142], v[139:140]
	v_fma_f64 v[141:142], -v[137:138], v[139:140], 1.0
	v_fma_f64 v[139:140], v[139:140], v[141:142], v[139:140]
	v_mul_f64 v[141:142], v[143:144], v[139:140]
	v_fma_f64 v[137:138], -v[137:138], v[141:142], v[143:144]
	v_div_fmas_f64 v[137:138], v[137:138], v[139:140], v[141:142]
	v_div_fixup_f64 v[137:138], v[137:138], v[122:123], v[124:125]
	v_fma_f64 v[122:123], v[124:125], v[137:138], v[122:123]
	v_div_scale_f64 v[124:125], null, v[122:123], v[122:123], 1.0
	v_rcp_f64_e32 v[139:140], v[124:125]
	v_fma_f64 v[141:142], -v[124:125], v[139:140], 1.0
	v_fma_f64 v[139:140], v[139:140], v[141:142], v[139:140]
	v_fma_f64 v[141:142], -v[124:125], v[139:140], 1.0
	v_fma_f64 v[139:140], v[139:140], v[141:142], v[139:140]
	v_div_scale_f64 v[141:142], vcc_lo, 1.0, v[122:123], 1.0
	v_mul_f64 v[143:144], v[141:142], v[139:140]
	v_fma_f64 v[124:125], -v[124:125], v[143:144], v[141:142]
	v_div_fmas_f64 v[124:125], v[124:125], v[139:140], v[143:144]
	v_div_fixup_f64 v[122:123], v[124:125], v[122:123], 1.0
	v_mul_f64 v[124:125], v[137:138], -v[122:123]
.LBB58_387:
	s_or_b32 exec_lo, exec_lo, s1
.LBB58_388:
	s_or_b32 exec_lo, exec_lo, s0
	s_mov_b32 s0, exec_lo
	v_cmpx_ne_u32_e64 v136, v130
	s_xor_b32 s0, exec_lo, s0
	s_cbranch_execz .LBB58_394
; %bb.389:
	s_mov_b32 s1, exec_lo
	v_cmpx_eq_u32_e32 18, v136
	s_cbranch_execz .LBB58_393
; %bb.390:
	v_cmp_ne_u32_e32 vcc_lo, 18, v130
	s_xor_b32 s2, s16, -1
	s_and_b32 s3, s2, vcc_lo
	s_and_saveexec_b32 s2, s3
	s_cbranch_execz .LBB58_392
; %bb.391:
	v_ashrrev_i32_e32 v131, 31, v130
	v_lshlrev_b64 v[136:137], 2, v[130:131]
	v_add_co_u32 v136, vcc_lo, v128, v136
	v_add_co_ci_u32_e64 v137, null, v129, v137, vcc_lo
	s_clause 0x1
	global_load_dword v0, v[136:137], off
	global_load_dword v131, v[128:129], off offset:72
	s_waitcnt vmcnt(1)
	global_store_dword v[128:129], v0, off offset:72
	s_waitcnt vmcnt(0)
	global_store_dword v[136:137], v131, off
.LBB58_392:
	s_or_b32 exec_lo, exec_lo, s2
	v_mov_b32_e32 v136, v130
	v_mov_b32_e32 v0, v130
.LBB58_393:
	s_or_b32 exec_lo, exec_lo, s1
.LBB58_394:
	s_andn2_saveexec_b32 s0, s0
	s_cbranch_execz .LBB58_396
; %bb.395:
	v_mov_b32_e32 v136, 18
	ds_write2_b64 v1, v[42:43], v[44:45] offset0:38 offset1:39
	ds_write2_b64 v1, v[38:39], v[40:41] offset0:40 offset1:41
	;; [unrolled: 1-line block ×11, first 2 shown]
.LBB58_396:
	s_or_b32 exec_lo, exec_lo, s0
	s_mov_b32 s0, exec_lo
	s_waitcnt lgkmcnt(0)
	s_waitcnt_vscnt null, 0x0
	s_barrier
	buffer_gl0_inv
	v_cmpx_lt_i32_e32 18, v136
	s_cbranch_execz .LBB58_398
; %bb.397:
	v_mul_f64 v[130:131], v[122:123], v[48:49]
	v_mul_f64 v[48:49], v[124:125], v[48:49]
	v_fma_f64 v[130:131], v[124:125], v[46:47], v[130:131]
	v_fma_f64 v[46:47], v[122:123], v[46:47], -v[48:49]
	ds_read2_b64 v[122:125], v1 offset0:38 offset1:39
	s_waitcnt lgkmcnt(0)
	v_mul_f64 v[48:49], v[124:125], v[130:131]
	v_fma_f64 v[48:49], v[122:123], v[46:47], -v[48:49]
	v_mul_f64 v[122:123], v[122:123], v[130:131]
	v_add_f64 v[42:43], v[42:43], -v[48:49]
	v_fma_f64 v[122:123], v[124:125], v[46:47], v[122:123]
	v_add_f64 v[44:45], v[44:45], -v[122:123]
	ds_read2_b64 v[122:125], v1 offset0:40 offset1:41
	s_waitcnt lgkmcnt(0)
	v_mul_f64 v[48:49], v[124:125], v[130:131]
	v_fma_f64 v[48:49], v[122:123], v[46:47], -v[48:49]
	v_mul_f64 v[122:123], v[122:123], v[130:131]
	v_add_f64 v[38:39], v[38:39], -v[48:49]
	v_fma_f64 v[122:123], v[124:125], v[46:47], v[122:123]
	v_add_f64 v[40:41], v[40:41], -v[122:123]
	;; [unrolled: 8-line block ×10, first 2 shown]
	ds_read2_b64 v[122:125], v1 offset0:58 offset1:59
	s_waitcnt lgkmcnt(0)
	v_mul_f64 v[48:49], v[124:125], v[130:131]
	v_fma_f64 v[48:49], v[122:123], v[46:47], -v[48:49]
	v_mul_f64 v[122:123], v[122:123], v[130:131]
	v_add_f64 v[2:3], v[2:3], -v[48:49]
	v_fma_f64 v[122:123], v[124:125], v[46:47], v[122:123]
	v_mov_b32_e32 v48, v130
	v_mov_b32_e32 v49, v131
	v_add_f64 v[4:5], v[4:5], -v[122:123]
.LBB58_398:
	s_or_b32 exec_lo, exec_lo, s0
	v_lshl_add_u32 v122, v136, 4, v1
	s_barrier
	buffer_gl0_inv
	v_mov_b32_e32 v130, 19
	ds_write2_b64 v122, v[42:43], v[44:45] offset1:1
	s_waitcnt lgkmcnt(0)
	s_barrier
	buffer_gl0_inv
	ds_read2_b64 v[122:125], v1 offset0:38 offset1:39
	s_cmp_lt_i32 s18, 21
	s_cbranch_scc1 .LBB58_401
; %bb.399:
	v_add3_u32 v131, v132, 0, 0x140
	v_mov_b32_e32 v130, 19
	s_mov_b32 s1, 20
	s_inst_prefetch 0x1
	.p2align	6
.LBB58_400:                             ; =>This Inner Loop Header: Depth=1
	s_waitcnt lgkmcnt(0)
	v_cmp_gt_f64_e32 vcc_lo, 0, v[124:125]
	v_cmp_gt_f64_e64 s0, 0, v[122:123]
	ds_read2_b64 v[137:140], v131 offset1:1
	v_xor_b32_e32 v142, 0x80000000, v123
	v_xor_b32_e32 v144, 0x80000000, v125
	v_mov_b32_e32 v141, v122
	v_mov_b32_e32 v143, v124
	v_add_nc_u32_e32 v131, 16, v131
	s_waitcnt lgkmcnt(0)
	v_xor_b32_e32 v146, 0x80000000, v140
	v_cndmask_b32_e64 v142, v123, v142, s0
	v_cndmask_b32_e32 v144, v125, v144, vcc_lo
	v_cmp_gt_f64_e32 vcc_lo, 0, v[139:140]
	v_cmp_gt_f64_e64 s0, 0, v[137:138]
	v_mov_b32_e32 v145, v139
	v_add_f64 v[141:142], v[141:142], v[143:144]
	v_xor_b32_e32 v144, 0x80000000, v138
	v_mov_b32_e32 v143, v137
	v_cndmask_b32_e32 v146, v140, v146, vcc_lo
	v_cndmask_b32_e64 v144, v138, v144, s0
	v_add_f64 v[143:144], v[143:144], v[145:146]
	v_cmp_lt_f64_e32 vcc_lo, v[141:142], v[143:144]
	v_cndmask_b32_e32 v123, v123, v138, vcc_lo
	v_cndmask_b32_e32 v122, v122, v137, vcc_lo
	;; [unrolled: 1-line block ×4, first 2 shown]
	v_cndmask_b32_e64 v130, v130, s1, vcc_lo
	s_add_i32 s1, s1, 1
	s_cmp_lg_u32 s18, s1
	s_cbranch_scc1 .LBB58_400
.LBB58_401:
	s_inst_prefetch 0x2
	s_waitcnt lgkmcnt(0)
	v_cmp_eq_f64_e32 vcc_lo, 0, v[122:123]
	v_cmp_eq_f64_e64 s0, 0, v[124:125]
	s_and_b32 s0, vcc_lo, s0
	s_and_saveexec_b32 s1, s0
	s_xor_b32 s0, exec_lo, s1
; %bb.402:
	v_cmp_ne_u32_e32 vcc_lo, 0, v135
	v_cndmask_b32_e32 v135, 20, v135, vcc_lo
; %bb.403:
	s_andn2_saveexec_b32 s0, s0
	s_cbranch_execz .LBB58_409
; %bb.404:
	v_cmp_ngt_f64_e64 s1, |v[122:123]|, |v[124:125]|
	s_and_saveexec_b32 s2, s1
	s_xor_b32 s1, exec_lo, s2
	s_cbranch_execz .LBB58_406
; %bb.405:
	v_div_scale_f64 v[137:138], null, v[124:125], v[124:125], v[122:123]
	v_div_scale_f64 v[143:144], vcc_lo, v[122:123], v[124:125], v[122:123]
	v_rcp_f64_e32 v[139:140], v[137:138]
	v_fma_f64 v[141:142], -v[137:138], v[139:140], 1.0
	v_fma_f64 v[139:140], v[139:140], v[141:142], v[139:140]
	v_fma_f64 v[141:142], -v[137:138], v[139:140], 1.0
	v_fma_f64 v[139:140], v[139:140], v[141:142], v[139:140]
	v_mul_f64 v[141:142], v[143:144], v[139:140]
	v_fma_f64 v[137:138], -v[137:138], v[141:142], v[143:144]
	v_div_fmas_f64 v[137:138], v[137:138], v[139:140], v[141:142]
	v_div_fixup_f64 v[137:138], v[137:138], v[124:125], v[122:123]
	v_fma_f64 v[122:123], v[122:123], v[137:138], v[124:125]
	v_div_scale_f64 v[124:125], null, v[122:123], v[122:123], 1.0
	v_rcp_f64_e32 v[139:140], v[124:125]
	v_fma_f64 v[141:142], -v[124:125], v[139:140], 1.0
	v_fma_f64 v[139:140], v[139:140], v[141:142], v[139:140]
	v_fma_f64 v[141:142], -v[124:125], v[139:140], 1.0
	v_fma_f64 v[139:140], v[139:140], v[141:142], v[139:140]
	v_div_scale_f64 v[141:142], vcc_lo, 1.0, v[122:123], 1.0
	v_mul_f64 v[143:144], v[141:142], v[139:140]
	v_fma_f64 v[124:125], -v[124:125], v[143:144], v[141:142]
	v_div_fmas_f64 v[124:125], v[124:125], v[139:140], v[143:144]
	v_div_fixup_f64 v[124:125], v[124:125], v[122:123], 1.0
	v_mul_f64 v[122:123], v[137:138], v[124:125]
	v_xor_b32_e32 v125, 0x80000000, v125
.LBB58_406:
	s_andn2_saveexec_b32 s1, s1
	s_cbranch_execz .LBB58_408
; %bb.407:
	v_div_scale_f64 v[137:138], null, v[122:123], v[122:123], v[124:125]
	v_div_scale_f64 v[143:144], vcc_lo, v[124:125], v[122:123], v[124:125]
	v_rcp_f64_e32 v[139:140], v[137:138]
	v_fma_f64 v[141:142], -v[137:138], v[139:140], 1.0
	v_fma_f64 v[139:140], v[139:140], v[141:142], v[139:140]
	v_fma_f64 v[141:142], -v[137:138], v[139:140], 1.0
	v_fma_f64 v[139:140], v[139:140], v[141:142], v[139:140]
	v_mul_f64 v[141:142], v[143:144], v[139:140]
	v_fma_f64 v[137:138], -v[137:138], v[141:142], v[143:144]
	v_div_fmas_f64 v[137:138], v[137:138], v[139:140], v[141:142]
	v_div_fixup_f64 v[137:138], v[137:138], v[122:123], v[124:125]
	v_fma_f64 v[122:123], v[124:125], v[137:138], v[122:123]
	v_div_scale_f64 v[124:125], null, v[122:123], v[122:123], 1.0
	v_rcp_f64_e32 v[139:140], v[124:125]
	v_fma_f64 v[141:142], -v[124:125], v[139:140], 1.0
	v_fma_f64 v[139:140], v[139:140], v[141:142], v[139:140]
	v_fma_f64 v[141:142], -v[124:125], v[139:140], 1.0
	v_fma_f64 v[139:140], v[139:140], v[141:142], v[139:140]
	v_div_scale_f64 v[141:142], vcc_lo, 1.0, v[122:123], 1.0
	v_mul_f64 v[143:144], v[141:142], v[139:140]
	v_fma_f64 v[124:125], -v[124:125], v[143:144], v[141:142]
	v_div_fmas_f64 v[124:125], v[124:125], v[139:140], v[143:144]
	v_div_fixup_f64 v[122:123], v[124:125], v[122:123], 1.0
	v_mul_f64 v[124:125], v[137:138], -v[122:123]
.LBB58_408:
	s_or_b32 exec_lo, exec_lo, s1
.LBB58_409:
	s_or_b32 exec_lo, exec_lo, s0
	s_mov_b32 s0, exec_lo
	v_cmpx_ne_u32_e64 v136, v130
	s_xor_b32 s0, exec_lo, s0
	s_cbranch_execz .LBB58_415
; %bb.410:
	s_mov_b32 s1, exec_lo
	v_cmpx_eq_u32_e32 19, v136
	s_cbranch_execz .LBB58_414
; %bb.411:
	v_cmp_ne_u32_e32 vcc_lo, 19, v130
	s_xor_b32 s2, s16, -1
	s_and_b32 s3, s2, vcc_lo
	s_and_saveexec_b32 s2, s3
	s_cbranch_execz .LBB58_413
; %bb.412:
	v_ashrrev_i32_e32 v131, 31, v130
	v_lshlrev_b64 v[136:137], 2, v[130:131]
	v_add_co_u32 v136, vcc_lo, v128, v136
	v_add_co_ci_u32_e64 v137, null, v129, v137, vcc_lo
	s_clause 0x1
	global_load_dword v0, v[136:137], off
	global_load_dword v131, v[128:129], off offset:76
	s_waitcnt vmcnt(1)
	global_store_dword v[128:129], v0, off offset:76
	s_waitcnt vmcnt(0)
	global_store_dword v[136:137], v131, off
.LBB58_413:
	s_or_b32 exec_lo, exec_lo, s2
	v_mov_b32_e32 v136, v130
	v_mov_b32_e32 v0, v130
.LBB58_414:
	s_or_b32 exec_lo, exec_lo, s1
.LBB58_415:
	s_andn2_saveexec_b32 s0, s0
	s_cbranch_execz .LBB58_417
; %bb.416:
	v_mov_b32_e32 v136, 19
	ds_write2_b64 v1, v[38:39], v[40:41] offset0:40 offset1:41
	ds_write2_b64 v1, v[34:35], v[36:37] offset0:42 offset1:43
	;; [unrolled: 1-line block ×10, first 2 shown]
.LBB58_417:
	s_or_b32 exec_lo, exec_lo, s0
	s_mov_b32 s0, exec_lo
	s_waitcnt lgkmcnt(0)
	s_waitcnt_vscnt null, 0x0
	s_barrier
	buffer_gl0_inv
	v_cmpx_lt_i32_e32 19, v136
	s_cbranch_execz .LBB58_419
; %bb.418:
	v_mul_f64 v[130:131], v[122:123], v[44:45]
	v_mul_f64 v[44:45], v[124:125], v[44:45]
	v_fma_f64 v[130:131], v[124:125], v[42:43], v[130:131]
	v_fma_f64 v[42:43], v[122:123], v[42:43], -v[44:45]
	ds_read2_b64 v[122:125], v1 offset0:40 offset1:41
	s_waitcnt lgkmcnt(0)
	v_mul_f64 v[44:45], v[124:125], v[130:131]
	v_fma_f64 v[44:45], v[122:123], v[42:43], -v[44:45]
	v_mul_f64 v[122:123], v[122:123], v[130:131]
	v_add_f64 v[38:39], v[38:39], -v[44:45]
	v_fma_f64 v[122:123], v[124:125], v[42:43], v[122:123]
	v_add_f64 v[40:41], v[40:41], -v[122:123]
	ds_read2_b64 v[122:125], v1 offset0:42 offset1:43
	s_waitcnt lgkmcnt(0)
	v_mul_f64 v[44:45], v[124:125], v[130:131]
	v_fma_f64 v[44:45], v[122:123], v[42:43], -v[44:45]
	v_mul_f64 v[122:123], v[122:123], v[130:131]
	v_add_f64 v[34:35], v[34:35], -v[44:45]
	v_fma_f64 v[122:123], v[124:125], v[42:43], v[122:123]
	v_add_f64 v[36:37], v[36:37], -v[122:123]
	;; [unrolled: 8-line block ×9, first 2 shown]
	ds_read2_b64 v[122:125], v1 offset0:58 offset1:59
	s_waitcnt lgkmcnt(0)
	v_mul_f64 v[44:45], v[124:125], v[130:131]
	v_fma_f64 v[44:45], v[122:123], v[42:43], -v[44:45]
	v_mul_f64 v[122:123], v[122:123], v[130:131]
	v_add_f64 v[2:3], v[2:3], -v[44:45]
	v_fma_f64 v[122:123], v[124:125], v[42:43], v[122:123]
	v_mov_b32_e32 v44, v130
	v_mov_b32_e32 v45, v131
	v_add_f64 v[4:5], v[4:5], -v[122:123]
.LBB58_419:
	s_or_b32 exec_lo, exec_lo, s0
	v_lshl_add_u32 v122, v136, 4, v1
	s_barrier
	buffer_gl0_inv
	v_mov_b32_e32 v130, 20
	ds_write2_b64 v122, v[38:39], v[40:41] offset1:1
	s_waitcnt lgkmcnt(0)
	s_barrier
	buffer_gl0_inv
	ds_read2_b64 v[122:125], v1 offset0:40 offset1:41
	s_cmp_lt_i32 s18, 22
	s_cbranch_scc1 .LBB58_422
; %bb.420:
	v_add3_u32 v131, v132, 0, 0x150
	v_mov_b32_e32 v130, 20
	s_mov_b32 s1, 21
	s_inst_prefetch 0x1
	.p2align	6
.LBB58_421:                             ; =>This Inner Loop Header: Depth=1
	s_waitcnt lgkmcnt(0)
	v_cmp_gt_f64_e32 vcc_lo, 0, v[124:125]
	v_cmp_gt_f64_e64 s0, 0, v[122:123]
	ds_read2_b64 v[137:140], v131 offset1:1
	v_xor_b32_e32 v142, 0x80000000, v123
	v_xor_b32_e32 v144, 0x80000000, v125
	v_mov_b32_e32 v141, v122
	v_mov_b32_e32 v143, v124
	v_add_nc_u32_e32 v131, 16, v131
	s_waitcnt lgkmcnt(0)
	v_xor_b32_e32 v146, 0x80000000, v140
	v_cndmask_b32_e64 v142, v123, v142, s0
	v_cndmask_b32_e32 v144, v125, v144, vcc_lo
	v_cmp_gt_f64_e32 vcc_lo, 0, v[139:140]
	v_cmp_gt_f64_e64 s0, 0, v[137:138]
	v_mov_b32_e32 v145, v139
	v_add_f64 v[141:142], v[141:142], v[143:144]
	v_xor_b32_e32 v144, 0x80000000, v138
	v_mov_b32_e32 v143, v137
	v_cndmask_b32_e32 v146, v140, v146, vcc_lo
	v_cndmask_b32_e64 v144, v138, v144, s0
	v_add_f64 v[143:144], v[143:144], v[145:146]
	v_cmp_lt_f64_e32 vcc_lo, v[141:142], v[143:144]
	v_cndmask_b32_e32 v123, v123, v138, vcc_lo
	v_cndmask_b32_e32 v122, v122, v137, vcc_lo
	;; [unrolled: 1-line block ×4, first 2 shown]
	v_cndmask_b32_e64 v130, v130, s1, vcc_lo
	s_add_i32 s1, s1, 1
	s_cmp_lg_u32 s18, s1
	s_cbranch_scc1 .LBB58_421
.LBB58_422:
	s_inst_prefetch 0x2
	s_waitcnt lgkmcnt(0)
	v_cmp_eq_f64_e32 vcc_lo, 0, v[122:123]
	v_cmp_eq_f64_e64 s0, 0, v[124:125]
	s_and_b32 s0, vcc_lo, s0
	s_and_saveexec_b32 s1, s0
	s_xor_b32 s0, exec_lo, s1
; %bb.423:
	v_cmp_ne_u32_e32 vcc_lo, 0, v135
	v_cndmask_b32_e32 v135, 21, v135, vcc_lo
; %bb.424:
	s_andn2_saveexec_b32 s0, s0
	s_cbranch_execz .LBB58_430
; %bb.425:
	v_cmp_ngt_f64_e64 s1, |v[122:123]|, |v[124:125]|
	s_and_saveexec_b32 s2, s1
	s_xor_b32 s1, exec_lo, s2
	s_cbranch_execz .LBB58_427
; %bb.426:
	v_div_scale_f64 v[137:138], null, v[124:125], v[124:125], v[122:123]
	v_div_scale_f64 v[143:144], vcc_lo, v[122:123], v[124:125], v[122:123]
	v_rcp_f64_e32 v[139:140], v[137:138]
	v_fma_f64 v[141:142], -v[137:138], v[139:140], 1.0
	v_fma_f64 v[139:140], v[139:140], v[141:142], v[139:140]
	v_fma_f64 v[141:142], -v[137:138], v[139:140], 1.0
	v_fma_f64 v[139:140], v[139:140], v[141:142], v[139:140]
	v_mul_f64 v[141:142], v[143:144], v[139:140]
	v_fma_f64 v[137:138], -v[137:138], v[141:142], v[143:144]
	v_div_fmas_f64 v[137:138], v[137:138], v[139:140], v[141:142]
	v_div_fixup_f64 v[137:138], v[137:138], v[124:125], v[122:123]
	v_fma_f64 v[122:123], v[122:123], v[137:138], v[124:125]
	v_div_scale_f64 v[124:125], null, v[122:123], v[122:123], 1.0
	v_rcp_f64_e32 v[139:140], v[124:125]
	v_fma_f64 v[141:142], -v[124:125], v[139:140], 1.0
	v_fma_f64 v[139:140], v[139:140], v[141:142], v[139:140]
	v_fma_f64 v[141:142], -v[124:125], v[139:140], 1.0
	v_fma_f64 v[139:140], v[139:140], v[141:142], v[139:140]
	v_div_scale_f64 v[141:142], vcc_lo, 1.0, v[122:123], 1.0
	v_mul_f64 v[143:144], v[141:142], v[139:140]
	v_fma_f64 v[124:125], -v[124:125], v[143:144], v[141:142]
	v_div_fmas_f64 v[124:125], v[124:125], v[139:140], v[143:144]
	v_div_fixup_f64 v[124:125], v[124:125], v[122:123], 1.0
	v_mul_f64 v[122:123], v[137:138], v[124:125]
	v_xor_b32_e32 v125, 0x80000000, v125
.LBB58_427:
	s_andn2_saveexec_b32 s1, s1
	s_cbranch_execz .LBB58_429
; %bb.428:
	v_div_scale_f64 v[137:138], null, v[122:123], v[122:123], v[124:125]
	v_div_scale_f64 v[143:144], vcc_lo, v[124:125], v[122:123], v[124:125]
	v_rcp_f64_e32 v[139:140], v[137:138]
	v_fma_f64 v[141:142], -v[137:138], v[139:140], 1.0
	v_fma_f64 v[139:140], v[139:140], v[141:142], v[139:140]
	v_fma_f64 v[141:142], -v[137:138], v[139:140], 1.0
	v_fma_f64 v[139:140], v[139:140], v[141:142], v[139:140]
	v_mul_f64 v[141:142], v[143:144], v[139:140]
	v_fma_f64 v[137:138], -v[137:138], v[141:142], v[143:144]
	v_div_fmas_f64 v[137:138], v[137:138], v[139:140], v[141:142]
	v_div_fixup_f64 v[137:138], v[137:138], v[122:123], v[124:125]
	v_fma_f64 v[122:123], v[124:125], v[137:138], v[122:123]
	v_div_scale_f64 v[124:125], null, v[122:123], v[122:123], 1.0
	v_rcp_f64_e32 v[139:140], v[124:125]
	v_fma_f64 v[141:142], -v[124:125], v[139:140], 1.0
	v_fma_f64 v[139:140], v[139:140], v[141:142], v[139:140]
	v_fma_f64 v[141:142], -v[124:125], v[139:140], 1.0
	v_fma_f64 v[139:140], v[139:140], v[141:142], v[139:140]
	v_div_scale_f64 v[141:142], vcc_lo, 1.0, v[122:123], 1.0
	v_mul_f64 v[143:144], v[141:142], v[139:140]
	v_fma_f64 v[124:125], -v[124:125], v[143:144], v[141:142]
	v_div_fmas_f64 v[124:125], v[124:125], v[139:140], v[143:144]
	v_div_fixup_f64 v[122:123], v[124:125], v[122:123], 1.0
	v_mul_f64 v[124:125], v[137:138], -v[122:123]
.LBB58_429:
	s_or_b32 exec_lo, exec_lo, s1
.LBB58_430:
	s_or_b32 exec_lo, exec_lo, s0
	s_mov_b32 s0, exec_lo
	v_cmpx_ne_u32_e64 v136, v130
	s_xor_b32 s0, exec_lo, s0
	s_cbranch_execz .LBB58_436
; %bb.431:
	s_mov_b32 s1, exec_lo
	v_cmpx_eq_u32_e32 20, v136
	s_cbranch_execz .LBB58_435
; %bb.432:
	v_cmp_ne_u32_e32 vcc_lo, 20, v130
	s_xor_b32 s2, s16, -1
	s_and_b32 s3, s2, vcc_lo
	s_and_saveexec_b32 s2, s3
	s_cbranch_execz .LBB58_434
; %bb.433:
	v_ashrrev_i32_e32 v131, 31, v130
	v_lshlrev_b64 v[136:137], 2, v[130:131]
	v_add_co_u32 v136, vcc_lo, v128, v136
	v_add_co_ci_u32_e64 v137, null, v129, v137, vcc_lo
	s_clause 0x1
	global_load_dword v0, v[136:137], off
	global_load_dword v131, v[128:129], off offset:80
	s_waitcnt vmcnt(1)
	global_store_dword v[128:129], v0, off offset:80
	s_waitcnt vmcnt(0)
	global_store_dword v[136:137], v131, off
.LBB58_434:
	s_or_b32 exec_lo, exec_lo, s2
	v_mov_b32_e32 v136, v130
	v_mov_b32_e32 v0, v130
.LBB58_435:
	s_or_b32 exec_lo, exec_lo, s1
.LBB58_436:
	s_andn2_saveexec_b32 s0, s0
	s_cbranch_execz .LBB58_438
; %bb.437:
	v_mov_b32_e32 v136, 20
	ds_write2_b64 v1, v[34:35], v[36:37] offset0:42 offset1:43
	ds_write2_b64 v1, v[30:31], v[32:33] offset0:44 offset1:45
	;; [unrolled: 1-line block ×9, first 2 shown]
.LBB58_438:
	s_or_b32 exec_lo, exec_lo, s0
	s_mov_b32 s0, exec_lo
	s_waitcnt lgkmcnt(0)
	s_waitcnt_vscnt null, 0x0
	s_barrier
	buffer_gl0_inv
	v_cmpx_lt_i32_e32 20, v136
	s_cbranch_execz .LBB58_440
; %bb.439:
	v_mul_f64 v[130:131], v[122:123], v[40:41]
	v_mul_f64 v[40:41], v[124:125], v[40:41]
	v_fma_f64 v[130:131], v[124:125], v[38:39], v[130:131]
	v_fma_f64 v[38:39], v[122:123], v[38:39], -v[40:41]
	ds_read2_b64 v[122:125], v1 offset0:42 offset1:43
	s_waitcnt lgkmcnt(0)
	v_mul_f64 v[40:41], v[124:125], v[130:131]
	v_fma_f64 v[40:41], v[122:123], v[38:39], -v[40:41]
	v_mul_f64 v[122:123], v[122:123], v[130:131]
	v_add_f64 v[34:35], v[34:35], -v[40:41]
	v_fma_f64 v[122:123], v[124:125], v[38:39], v[122:123]
	v_add_f64 v[36:37], v[36:37], -v[122:123]
	ds_read2_b64 v[122:125], v1 offset0:44 offset1:45
	s_waitcnt lgkmcnt(0)
	v_mul_f64 v[40:41], v[124:125], v[130:131]
	v_fma_f64 v[40:41], v[122:123], v[38:39], -v[40:41]
	v_mul_f64 v[122:123], v[122:123], v[130:131]
	v_add_f64 v[30:31], v[30:31], -v[40:41]
	v_fma_f64 v[122:123], v[124:125], v[38:39], v[122:123]
	v_add_f64 v[32:33], v[32:33], -v[122:123]
	;; [unrolled: 8-line block ×8, first 2 shown]
	ds_read2_b64 v[122:125], v1 offset0:58 offset1:59
	s_waitcnt lgkmcnt(0)
	v_mul_f64 v[40:41], v[124:125], v[130:131]
	v_fma_f64 v[40:41], v[122:123], v[38:39], -v[40:41]
	v_mul_f64 v[122:123], v[122:123], v[130:131]
	v_add_f64 v[2:3], v[2:3], -v[40:41]
	v_fma_f64 v[122:123], v[124:125], v[38:39], v[122:123]
	v_mov_b32_e32 v40, v130
	v_mov_b32_e32 v41, v131
	v_add_f64 v[4:5], v[4:5], -v[122:123]
.LBB58_440:
	s_or_b32 exec_lo, exec_lo, s0
	v_lshl_add_u32 v122, v136, 4, v1
	s_barrier
	buffer_gl0_inv
	v_mov_b32_e32 v130, 21
	ds_write2_b64 v122, v[34:35], v[36:37] offset1:1
	s_waitcnt lgkmcnt(0)
	s_barrier
	buffer_gl0_inv
	ds_read2_b64 v[122:125], v1 offset0:42 offset1:43
	s_cmp_lt_i32 s18, 23
	s_cbranch_scc1 .LBB58_443
; %bb.441:
	v_add3_u32 v131, v132, 0, 0x160
	v_mov_b32_e32 v130, 21
	s_mov_b32 s1, 22
	s_inst_prefetch 0x1
	.p2align	6
.LBB58_442:                             ; =>This Inner Loop Header: Depth=1
	s_waitcnt lgkmcnt(0)
	v_cmp_gt_f64_e32 vcc_lo, 0, v[124:125]
	v_cmp_gt_f64_e64 s0, 0, v[122:123]
	ds_read2_b64 v[137:140], v131 offset1:1
	v_xor_b32_e32 v142, 0x80000000, v123
	v_xor_b32_e32 v144, 0x80000000, v125
	v_mov_b32_e32 v141, v122
	v_mov_b32_e32 v143, v124
	v_add_nc_u32_e32 v131, 16, v131
	s_waitcnt lgkmcnt(0)
	v_xor_b32_e32 v146, 0x80000000, v140
	v_cndmask_b32_e64 v142, v123, v142, s0
	v_cndmask_b32_e32 v144, v125, v144, vcc_lo
	v_cmp_gt_f64_e32 vcc_lo, 0, v[139:140]
	v_cmp_gt_f64_e64 s0, 0, v[137:138]
	v_mov_b32_e32 v145, v139
	v_add_f64 v[141:142], v[141:142], v[143:144]
	v_xor_b32_e32 v144, 0x80000000, v138
	v_mov_b32_e32 v143, v137
	v_cndmask_b32_e32 v146, v140, v146, vcc_lo
	v_cndmask_b32_e64 v144, v138, v144, s0
	v_add_f64 v[143:144], v[143:144], v[145:146]
	v_cmp_lt_f64_e32 vcc_lo, v[141:142], v[143:144]
	v_cndmask_b32_e32 v123, v123, v138, vcc_lo
	v_cndmask_b32_e32 v122, v122, v137, vcc_lo
	;; [unrolled: 1-line block ×4, first 2 shown]
	v_cndmask_b32_e64 v130, v130, s1, vcc_lo
	s_add_i32 s1, s1, 1
	s_cmp_lg_u32 s18, s1
	s_cbranch_scc1 .LBB58_442
.LBB58_443:
	s_inst_prefetch 0x2
	s_waitcnt lgkmcnt(0)
	v_cmp_eq_f64_e32 vcc_lo, 0, v[122:123]
	v_cmp_eq_f64_e64 s0, 0, v[124:125]
	s_and_b32 s0, vcc_lo, s0
	s_and_saveexec_b32 s1, s0
	s_xor_b32 s0, exec_lo, s1
; %bb.444:
	v_cmp_ne_u32_e32 vcc_lo, 0, v135
	v_cndmask_b32_e32 v135, 22, v135, vcc_lo
; %bb.445:
	s_andn2_saveexec_b32 s0, s0
	s_cbranch_execz .LBB58_451
; %bb.446:
	v_cmp_ngt_f64_e64 s1, |v[122:123]|, |v[124:125]|
	s_and_saveexec_b32 s2, s1
	s_xor_b32 s1, exec_lo, s2
	s_cbranch_execz .LBB58_448
; %bb.447:
	v_div_scale_f64 v[137:138], null, v[124:125], v[124:125], v[122:123]
	v_div_scale_f64 v[143:144], vcc_lo, v[122:123], v[124:125], v[122:123]
	v_rcp_f64_e32 v[139:140], v[137:138]
	v_fma_f64 v[141:142], -v[137:138], v[139:140], 1.0
	v_fma_f64 v[139:140], v[139:140], v[141:142], v[139:140]
	v_fma_f64 v[141:142], -v[137:138], v[139:140], 1.0
	v_fma_f64 v[139:140], v[139:140], v[141:142], v[139:140]
	v_mul_f64 v[141:142], v[143:144], v[139:140]
	v_fma_f64 v[137:138], -v[137:138], v[141:142], v[143:144]
	v_div_fmas_f64 v[137:138], v[137:138], v[139:140], v[141:142]
	v_div_fixup_f64 v[137:138], v[137:138], v[124:125], v[122:123]
	v_fma_f64 v[122:123], v[122:123], v[137:138], v[124:125]
	v_div_scale_f64 v[124:125], null, v[122:123], v[122:123], 1.0
	v_rcp_f64_e32 v[139:140], v[124:125]
	v_fma_f64 v[141:142], -v[124:125], v[139:140], 1.0
	v_fma_f64 v[139:140], v[139:140], v[141:142], v[139:140]
	v_fma_f64 v[141:142], -v[124:125], v[139:140], 1.0
	v_fma_f64 v[139:140], v[139:140], v[141:142], v[139:140]
	v_div_scale_f64 v[141:142], vcc_lo, 1.0, v[122:123], 1.0
	v_mul_f64 v[143:144], v[141:142], v[139:140]
	v_fma_f64 v[124:125], -v[124:125], v[143:144], v[141:142]
	v_div_fmas_f64 v[124:125], v[124:125], v[139:140], v[143:144]
	v_div_fixup_f64 v[124:125], v[124:125], v[122:123], 1.0
	v_mul_f64 v[122:123], v[137:138], v[124:125]
	v_xor_b32_e32 v125, 0x80000000, v125
.LBB58_448:
	s_andn2_saveexec_b32 s1, s1
	s_cbranch_execz .LBB58_450
; %bb.449:
	v_div_scale_f64 v[137:138], null, v[122:123], v[122:123], v[124:125]
	v_div_scale_f64 v[143:144], vcc_lo, v[124:125], v[122:123], v[124:125]
	v_rcp_f64_e32 v[139:140], v[137:138]
	v_fma_f64 v[141:142], -v[137:138], v[139:140], 1.0
	v_fma_f64 v[139:140], v[139:140], v[141:142], v[139:140]
	v_fma_f64 v[141:142], -v[137:138], v[139:140], 1.0
	v_fma_f64 v[139:140], v[139:140], v[141:142], v[139:140]
	v_mul_f64 v[141:142], v[143:144], v[139:140]
	v_fma_f64 v[137:138], -v[137:138], v[141:142], v[143:144]
	v_div_fmas_f64 v[137:138], v[137:138], v[139:140], v[141:142]
	v_div_fixup_f64 v[137:138], v[137:138], v[122:123], v[124:125]
	v_fma_f64 v[122:123], v[124:125], v[137:138], v[122:123]
	v_div_scale_f64 v[124:125], null, v[122:123], v[122:123], 1.0
	v_rcp_f64_e32 v[139:140], v[124:125]
	v_fma_f64 v[141:142], -v[124:125], v[139:140], 1.0
	v_fma_f64 v[139:140], v[139:140], v[141:142], v[139:140]
	v_fma_f64 v[141:142], -v[124:125], v[139:140], 1.0
	v_fma_f64 v[139:140], v[139:140], v[141:142], v[139:140]
	v_div_scale_f64 v[141:142], vcc_lo, 1.0, v[122:123], 1.0
	v_mul_f64 v[143:144], v[141:142], v[139:140]
	v_fma_f64 v[124:125], -v[124:125], v[143:144], v[141:142]
	v_div_fmas_f64 v[124:125], v[124:125], v[139:140], v[143:144]
	v_div_fixup_f64 v[122:123], v[124:125], v[122:123], 1.0
	v_mul_f64 v[124:125], v[137:138], -v[122:123]
.LBB58_450:
	s_or_b32 exec_lo, exec_lo, s1
.LBB58_451:
	s_or_b32 exec_lo, exec_lo, s0
	s_mov_b32 s0, exec_lo
	v_cmpx_ne_u32_e64 v136, v130
	s_xor_b32 s0, exec_lo, s0
	s_cbranch_execz .LBB58_457
; %bb.452:
	s_mov_b32 s1, exec_lo
	v_cmpx_eq_u32_e32 21, v136
	s_cbranch_execz .LBB58_456
; %bb.453:
	v_cmp_ne_u32_e32 vcc_lo, 21, v130
	s_xor_b32 s2, s16, -1
	s_and_b32 s3, s2, vcc_lo
	s_and_saveexec_b32 s2, s3
	s_cbranch_execz .LBB58_455
; %bb.454:
	v_ashrrev_i32_e32 v131, 31, v130
	v_lshlrev_b64 v[136:137], 2, v[130:131]
	v_add_co_u32 v136, vcc_lo, v128, v136
	v_add_co_ci_u32_e64 v137, null, v129, v137, vcc_lo
	s_clause 0x1
	global_load_dword v0, v[136:137], off
	global_load_dword v131, v[128:129], off offset:84
	s_waitcnt vmcnt(1)
	global_store_dword v[128:129], v0, off offset:84
	s_waitcnt vmcnt(0)
	global_store_dword v[136:137], v131, off
.LBB58_455:
	s_or_b32 exec_lo, exec_lo, s2
	v_mov_b32_e32 v136, v130
	v_mov_b32_e32 v0, v130
.LBB58_456:
	s_or_b32 exec_lo, exec_lo, s1
.LBB58_457:
	s_andn2_saveexec_b32 s0, s0
	s_cbranch_execz .LBB58_459
; %bb.458:
	v_mov_b32_e32 v136, 21
	ds_write2_b64 v1, v[30:31], v[32:33] offset0:44 offset1:45
	ds_write2_b64 v1, v[26:27], v[28:29] offset0:46 offset1:47
	ds_write2_b64 v1, v[22:23], v[24:25] offset0:48 offset1:49
	ds_write2_b64 v1, v[18:19], v[20:21] offset0:50 offset1:51
	ds_write2_b64 v1, v[14:15], v[16:17] offset0:52 offset1:53
	ds_write2_b64 v1, v[10:11], v[12:13] offset0:54 offset1:55
	ds_write2_b64 v1, v[6:7], v[8:9] offset0:56 offset1:57
	ds_write2_b64 v1, v[2:3], v[4:5] offset0:58 offset1:59
.LBB58_459:
	s_or_b32 exec_lo, exec_lo, s0
	s_mov_b32 s0, exec_lo
	s_waitcnt lgkmcnt(0)
	s_waitcnt_vscnt null, 0x0
	s_barrier
	buffer_gl0_inv
	v_cmpx_lt_i32_e32 21, v136
	s_cbranch_execz .LBB58_461
; %bb.460:
	v_mul_f64 v[130:131], v[122:123], v[36:37]
	v_mul_f64 v[36:37], v[124:125], v[36:37]
	v_fma_f64 v[130:131], v[124:125], v[34:35], v[130:131]
	v_fma_f64 v[34:35], v[122:123], v[34:35], -v[36:37]
	ds_read2_b64 v[122:125], v1 offset0:44 offset1:45
	s_waitcnt lgkmcnt(0)
	v_mul_f64 v[36:37], v[124:125], v[130:131]
	v_fma_f64 v[36:37], v[122:123], v[34:35], -v[36:37]
	v_mul_f64 v[122:123], v[122:123], v[130:131]
	v_add_f64 v[30:31], v[30:31], -v[36:37]
	v_fma_f64 v[122:123], v[124:125], v[34:35], v[122:123]
	v_add_f64 v[32:33], v[32:33], -v[122:123]
	ds_read2_b64 v[122:125], v1 offset0:46 offset1:47
	s_waitcnt lgkmcnt(0)
	v_mul_f64 v[36:37], v[124:125], v[130:131]
	v_fma_f64 v[36:37], v[122:123], v[34:35], -v[36:37]
	v_mul_f64 v[122:123], v[122:123], v[130:131]
	v_add_f64 v[26:27], v[26:27], -v[36:37]
	v_fma_f64 v[122:123], v[124:125], v[34:35], v[122:123]
	v_add_f64 v[28:29], v[28:29], -v[122:123]
	;; [unrolled: 8-line block ×7, first 2 shown]
	ds_read2_b64 v[122:125], v1 offset0:58 offset1:59
	s_waitcnt lgkmcnt(0)
	v_mul_f64 v[36:37], v[124:125], v[130:131]
	v_fma_f64 v[36:37], v[122:123], v[34:35], -v[36:37]
	v_mul_f64 v[122:123], v[122:123], v[130:131]
	v_add_f64 v[2:3], v[2:3], -v[36:37]
	v_fma_f64 v[122:123], v[124:125], v[34:35], v[122:123]
	v_mov_b32_e32 v36, v130
	v_mov_b32_e32 v37, v131
	v_add_f64 v[4:5], v[4:5], -v[122:123]
.LBB58_461:
	s_or_b32 exec_lo, exec_lo, s0
	v_lshl_add_u32 v122, v136, 4, v1
	s_barrier
	buffer_gl0_inv
	v_mov_b32_e32 v130, 22
	ds_write2_b64 v122, v[30:31], v[32:33] offset1:1
	s_waitcnt lgkmcnt(0)
	s_barrier
	buffer_gl0_inv
	ds_read2_b64 v[122:125], v1 offset0:44 offset1:45
	s_cmp_lt_i32 s18, 24
	s_cbranch_scc1 .LBB58_464
; %bb.462:
	v_add3_u32 v131, v132, 0, 0x170
	v_mov_b32_e32 v130, 22
	s_mov_b32 s1, 23
	s_inst_prefetch 0x1
	.p2align	6
.LBB58_463:                             ; =>This Inner Loop Header: Depth=1
	s_waitcnt lgkmcnt(0)
	v_cmp_gt_f64_e32 vcc_lo, 0, v[124:125]
	v_cmp_gt_f64_e64 s0, 0, v[122:123]
	ds_read2_b64 v[137:140], v131 offset1:1
	v_xor_b32_e32 v142, 0x80000000, v123
	v_xor_b32_e32 v144, 0x80000000, v125
	v_mov_b32_e32 v141, v122
	v_mov_b32_e32 v143, v124
	v_add_nc_u32_e32 v131, 16, v131
	s_waitcnt lgkmcnt(0)
	v_xor_b32_e32 v146, 0x80000000, v140
	v_cndmask_b32_e64 v142, v123, v142, s0
	v_cndmask_b32_e32 v144, v125, v144, vcc_lo
	v_cmp_gt_f64_e32 vcc_lo, 0, v[139:140]
	v_cmp_gt_f64_e64 s0, 0, v[137:138]
	v_mov_b32_e32 v145, v139
	v_add_f64 v[141:142], v[141:142], v[143:144]
	v_xor_b32_e32 v144, 0x80000000, v138
	v_mov_b32_e32 v143, v137
	v_cndmask_b32_e32 v146, v140, v146, vcc_lo
	v_cndmask_b32_e64 v144, v138, v144, s0
	v_add_f64 v[143:144], v[143:144], v[145:146]
	v_cmp_lt_f64_e32 vcc_lo, v[141:142], v[143:144]
	v_cndmask_b32_e32 v123, v123, v138, vcc_lo
	v_cndmask_b32_e32 v122, v122, v137, vcc_lo
	;; [unrolled: 1-line block ×4, first 2 shown]
	v_cndmask_b32_e64 v130, v130, s1, vcc_lo
	s_add_i32 s1, s1, 1
	s_cmp_lg_u32 s18, s1
	s_cbranch_scc1 .LBB58_463
.LBB58_464:
	s_inst_prefetch 0x2
	s_waitcnt lgkmcnt(0)
	v_cmp_eq_f64_e32 vcc_lo, 0, v[122:123]
	v_cmp_eq_f64_e64 s0, 0, v[124:125]
	s_and_b32 s0, vcc_lo, s0
	s_and_saveexec_b32 s1, s0
	s_xor_b32 s0, exec_lo, s1
; %bb.465:
	v_cmp_ne_u32_e32 vcc_lo, 0, v135
	v_cndmask_b32_e32 v135, 23, v135, vcc_lo
; %bb.466:
	s_andn2_saveexec_b32 s0, s0
	s_cbranch_execz .LBB58_472
; %bb.467:
	v_cmp_ngt_f64_e64 s1, |v[122:123]|, |v[124:125]|
	s_and_saveexec_b32 s2, s1
	s_xor_b32 s1, exec_lo, s2
	s_cbranch_execz .LBB58_469
; %bb.468:
	v_div_scale_f64 v[137:138], null, v[124:125], v[124:125], v[122:123]
	v_div_scale_f64 v[143:144], vcc_lo, v[122:123], v[124:125], v[122:123]
	v_rcp_f64_e32 v[139:140], v[137:138]
	v_fma_f64 v[141:142], -v[137:138], v[139:140], 1.0
	v_fma_f64 v[139:140], v[139:140], v[141:142], v[139:140]
	v_fma_f64 v[141:142], -v[137:138], v[139:140], 1.0
	v_fma_f64 v[139:140], v[139:140], v[141:142], v[139:140]
	v_mul_f64 v[141:142], v[143:144], v[139:140]
	v_fma_f64 v[137:138], -v[137:138], v[141:142], v[143:144]
	v_div_fmas_f64 v[137:138], v[137:138], v[139:140], v[141:142]
	v_div_fixup_f64 v[137:138], v[137:138], v[124:125], v[122:123]
	v_fma_f64 v[122:123], v[122:123], v[137:138], v[124:125]
	v_div_scale_f64 v[124:125], null, v[122:123], v[122:123], 1.0
	v_rcp_f64_e32 v[139:140], v[124:125]
	v_fma_f64 v[141:142], -v[124:125], v[139:140], 1.0
	v_fma_f64 v[139:140], v[139:140], v[141:142], v[139:140]
	v_fma_f64 v[141:142], -v[124:125], v[139:140], 1.0
	v_fma_f64 v[139:140], v[139:140], v[141:142], v[139:140]
	v_div_scale_f64 v[141:142], vcc_lo, 1.0, v[122:123], 1.0
	v_mul_f64 v[143:144], v[141:142], v[139:140]
	v_fma_f64 v[124:125], -v[124:125], v[143:144], v[141:142]
	v_div_fmas_f64 v[124:125], v[124:125], v[139:140], v[143:144]
	v_div_fixup_f64 v[124:125], v[124:125], v[122:123], 1.0
	v_mul_f64 v[122:123], v[137:138], v[124:125]
	v_xor_b32_e32 v125, 0x80000000, v125
.LBB58_469:
	s_andn2_saveexec_b32 s1, s1
	s_cbranch_execz .LBB58_471
; %bb.470:
	v_div_scale_f64 v[137:138], null, v[122:123], v[122:123], v[124:125]
	v_div_scale_f64 v[143:144], vcc_lo, v[124:125], v[122:123], v[124:125]
	v_rcp_f64_e32 v[139:140], v[137:138]
	v_fma_f64 v[141:142], -v[137:138], v[139:140], 1.0
	v_fma_f64 v[139:140], v[139:140], v[141:142], v[139:140]
	v_fma_f64 v[141:142], -v[137:138], v[139:140], 1.0
	v_fma_f64 v[139:140], v[139:140], v[141:142], v[139:140]
	v_mul_f64 v[141:142], v[143:144], v[139:140]
	v_fma_f64 v[137:138], -v[137:138], v[141:142], v[143:144]
	v_div_fmas_f64 v[137:138], v[137:138], v[139:140], v[141:142]
	v_div_fixup_f64 v[137:138], v[137:138], v[122:123], v[124:125]
	v_fma_f64 v[122:123], v[124:125], v[137:138], v[122:123]
	v_div_scale_f64 v[124:125], null, v[122:123], v[122:123], 1.0
	v_rcp_f64_e32 v[139:140], v[124:125]
	v_fma_f64 v[141:142], -v[124:125], v[139:140], 1.0
	v_fma_f64 v[139:140], v[139:140], v[141:142], v[139:140]
	v_fma_f64 v[141:142], -v[124:125], v[139:140], 1.0
	v_fma_f64 v[139:140], v[139:140], v[141:142], v[139:140]
	v_div_scale_f64 v[141:142], vcc_lo, 1.0, v[122:123], 1.0
	v_mul_f64 v[143:144], v[141:142], v[139:140]
	v_fma_f64 v[124:125], -v[124:125], v[143:144], v[141:142]
	v_div_fmas_f64 v[124:125], v[124:125], v[139:140], v[143:144]
	v_div_fixup_f64 v[122:123], v[124:125], v[122:123], 1.0
	v_mul_f64 v[124:125], v[137:138], -v[122:123]
.LBB58_471:
	s_or_b32 exec_lo, exec_lo, s1
.LBB58_472:
	s_or_b32 exec_lo, exec_lo, s0
	s_mov_b32 s0, exec_lo
	v_cmpx_ne_u32_e64 v136, v130
	s_xor_b32 s0, exec_lo, s0
	s_cbranch_execz .LBB58_478
; %bb.473:
	s_mov_b32 s1, exec_lo
	v_cmpx_eq_u32_e32 22, v136
	s_cbranch_execz .LBB58_477
; %bb.474:
	v_cmp_ne_u32_e32 vcc_lo, 22, v130
	s_xor_b32 s2, s16, -1
	s_and_b32 s3, s2, vcc_lo
	s_and_saveexec_b32 s2, s3
	s_cbranch_execz .LBB58_476
; %bb.475:
	v_ashrrev_i32_e32 v131, 31, v130
	v_lshlrev_b64 v[136:137], 2, v[130:131]
	v_add_co_u32 v136, vcc_lo, v128, v136
	v_add_co_ci_u32_e64 v137, null, v129, v137, vcc_lo
	s_clause 0x1
	global_load_dword v0, v[136:137], off
	global_load_dword v131, v[128:129], off offset:88
	s_waitcnt vmcnt(1)
	global_store_dword v[128:129], v0, off offset:88
	s_waitcnt vmcnt(0)
	global_store_dword v[136:137], v131, off
.LBB58_476:
	s_or_b32 exec_lo, exec_lo, s2
	v_mov_b32_e32 v136, v130
	v_mov_b32_e32 v0, v130
.LBB58_477:
	s_or_b32 exec_lo, exec_lo, s1
.LBB58_478:
	s_andn2_saveexec_b32 s0, s0
	s_cbranch_execz .LBB58_480
; %bb.479:
	v_mov_b32_e32 v136, 22
	ds_write2_b64 v1, v[26:27], v[28:29] offset0:46 offset1:47
	ds_write2_b64 v1, v[22:23], v[24:25] offset0:48 offset1:49
	;; [unrolled: 1-line block ×7, first 2 shown]
.LBB58_480:
	s_or_b32 exec_lo, exec_lo, s0
	s_mov_b32 s0, exec_lo
	s_waitcnt lgkmcnt(0)
	s_waitcnt_vscnt null, 0x0
	s_barrier
	buffer_gl0_inv
	v_cmpx_lt_i32_e32 22, v136
	s_cbranch_execz .LBB58_482
; %bb.481:
	v_mul_f64 v[130:131], v[122:123], v[32:33]
	v_mul_f64 v[32:33], v[124:125], v[32:33]
	v_fma_f64 v[130:131], v[124:125], v[30:31], v[130:131]
	v_fma_f64 v[30:31], v[122:123], v[30:31], -v[32:33]
	ds_read2_b64 v[122:125], v1 offset0:46 offset1:47
	s_waitcnt lgkmcnt(0)
	v_mul_f64 v[32:33], v[124:125], v[130:131]
	v_fma_f64 v[32:33], v[122:123], v[30:31], -v[32:33]
	v_mul_f64 v[122:123], v[122:123], v[130:131]
	v_add_f64 v[26:27], v[26:27], -v[32:33]
	v_fma_f64 v[122:123], v[124:125], v[30:31], v[122:123]
	v_add_f64 v[28:29], v[28:29], -v[122:123]
	ds_read2_b64 v[122:125], v1 offset0:48 offset1:49
	s_waitcnt lgkmcnt(0)
	v_mul_f64 v[32:33], v[124:125], v[130:131]
	v_fma_f64 v[32:33], v[122:123], v[30:31], -v[32:33]
	v_mul_f64 v[122:123], v[122:123], v[130:131]
	v_add_f64 v[22:23], v[22:23], -v[32:33]
	v_fma_f64 v[122:123], v[124:125], v[30:31], v[122:123]
	v_add_f64 v[24:25], v[24:25], -v[122:123]
	;; [unrolled: 8-line block ×6, first 2 shown]
	ds_read2_b64 v[122:125], v1 offset0:58 offset1:59
	s_waitcnt lgkmcnt(0)
	v_mul_f64 v[32:33], v[124:125], v[130:131]
	v_fma_f64 v[32:33], v[122:123], v[30:31], -v[32:33]
	v_mul_f64 v[122:123], v[122:123], v[130:131]
	v_add_f64 v[2:3], v[2:3], -v[32:33]
	v_fma_f64 v[122:123], v[124:125], v[30:31], v[122:123]
	v_mov_b32_e32 v32, v130
	v_mov_b32_e32 v33, v131
	v_add_f64 v[4:5], v[4:5], -v[122:123]
.LBB58_482:
	s_or_b32 exec_lo, exec_lo, s0
	v_lshl_add_u32 v122, v136, 4, v1
	s_barrier
	buffer_gl0_inv
	v_mov_b32_e32 v130, 23
	ds_write2_b64 v122, v[26:27], v[28:29] offset1:1
	s_waitcnt lgkmcnt(0)
	s_barrier
	buffer_gl0_inv
	ds_read2_b64 v[122:125], v1 offset0:46 offset1:47
	s_cmp_lt_i32 s18, 25
	s_cbranch_scc1 .LBB58_485
; %bb.483:
	v_add3_u32 v131, v132, 0, 0x180
	v_mov_b32_e32 v130, 23
	s_mov_b32 s1, 24
	s_inst_prefetch 0x1
	.p2align	6
.LBB58_484:                             ; =>This Inner Loop Header: Depth=1
	s_waitcnt lgkmcnt(0)
	v_cmp_gt_f64_e32 vcc_lo, 0, v[124:125]
	v_cmp_gt_f64_e64 s0, 0, v[122:123]
	ds_read2_b64 v[137:140], v131 offset1:1
	v_xor_b32_e32 v142, 0x80000000, v123
	v_xor_b32_e32 v144, 0x80000000, v125
	v_mov_b32_e32 v141, v122
	v_mov_b32_e32 v143, v124
	v_add_nc_u32_e32 v131, 16, v131
	s_waitcnt lgkmcnt(0)
	v_xor_b32_e32 v146, 0x80000000, v140
	v_cndmask_b32_e64 v142, v123, v142, s0
	v_cndmask_b32_e32 v144, v125, v144, vcc_lo
	v_cmp_gt_f64_e32 vcc_lo, 0, v[139:140]
	v_cmp_gt_f64_e64 s0, 0, v[137:138]
	v_mov_b32_e32 v145, v139
	v_add_f64 v[141:142], v[141:142], v[143:144]
	v_xor_b32_e32 v144, 0x80000000, v138
	v_mov_b32_e32 v143, v137
	v_cndmask_b32_e32 v146, v140, v146, vcc_lo
	v_cndmask_b32_e64 v144, v138, v144, s0
	v_add_f64 v[143:144], v[143:144], v[145:146]
	v_cmp_lt_f64_e32 vcc_lo, v[141:142], v[143:144]
	v_cndmask_b32_e32 v123, v123, v138, vcc_lo
	v_cndmask_b32_e32 v122, v122, v137, vcc_lo
	;; [unrolled: 1-line block ×4, first 2 shown]
	v_cndmask_b32_e64 v130, v130, s1, vcc_lo
	s_add_i32 s1, s1, 1
	s_cmp_lg_u32 s18, s1
	s_cbranch_scc1 .LBB58_484
.LBB58_485:
	s_inst_prefetch 0x2
	s_waitcnt lgkmcnt(0)
	v_cmp_eq_f64_e32 vcc_lo, 0, v[122:123]
	v_cmp_eq_f64_e64 s0, 0, v[124:125]
	s_and_b32 s0, vcc_lo, s0
	s_and_saveexec_b32 s1, s0
	s_xor_b32 s0, exec_lo, s1
; %bb.486:
	v_cmp_ne_u32_e32 vcc_lo, 0, v135
	v_cndmask_b32_e32 v135, 24, v135, vcc_lo
; %bb.487:
	s_andn2_saveexec_b32 s0, s0
	s_cbranch_execz .LBB58_493
; %bb.488:
	v_cmp_ngt_f64_e64 s1, |v[122:123]|, |v[124:125]|
	s_and_saveexec_b32 s2, s1
	s_xor_b32 s1, exec_lo, s2
	s_cbranch_execz .LBB58_490
; %bb.489:
	v_div_scale_f64 v[137:138], null, v[124:125], v[124:125], v[122:123]
	v_div_scale_f64 v[143:144], vcc_lo, v[122:123], v[124:125], v[122:123]
	v_rcp_f64_e32 v[139:140], v[137:138]
	v_fma_f64 v[141:142], -v[137:138], v[139:140], 1.0
	v_fma_f64 v[139:140], v[139:140], v[141:142], v[139:140]
	v_fma_f64 v[141:142], -v[137:138], v[139:140], 1.0
	v_fma_f64 v[139:140], v[139:140], v[141:142], v[139:140]
	v_mul_f64 v[141:142], v[143:144], v[139:140]
	v_fma_f64 v[137:138], -v[137:138], v[141:142], v[143:144]
	v_div_fmas_f64 v[137:138], v[137:138], v[139:140], v[141:142]
	v_div_fixup_f64 v[137:138], v[137:138], v[124:125], v[122:123]
	v_fma_f64 v[122:123], v[122:123], v[137:138], v[124:125]
	v_div_scale_f64 v[124:125], null, v[122:123], v[122:123], 1.0
	v_rcp_f64_e32 v[139:140], v[124:125]
	v_fma_f64 v[141:142], -v[124:125], v[139:140], 1.0
	v_fma_f64 v[139:140], v[139:140], v[141:142], v[139:140]
	v_fma_f64 v[141:142], -v[124:125], v[139:140], 1.0
	v_fma_f64 v[139:140], v[139:140], v[141:142], v[139:140]
	v_div_scale_f64 v[141:142], vcc_lo, 1.0, v[122:123], 1.0
	v_mul_f64 v[143:144], v[141:142], v[139:140]
	v_fma_f64 v[124:125], -v[124:125], v[143:144], v[141:142]
	v_div_fmas_f64 v[124:125], v[124:125], v[139:140], v[143:144]
	v_div_fixup_f64 v[124:125], v[124:125], v[122:123], 1.0
	v_mul_f64 v[122:123], v[137:138], v[124:125]
	v_xor_b32_e32 v125, 0x80000000, v125
.LBB58_490:
	s_andn2_saveexec_b32 s1, s1
	s_cbranch_execz .LBB58_492
; %bb.491:
	v_div_scale_f64 v[137:138], null, v[122:123], v[122:123], v[124:125]
	v_div_scale_f64 v[143:144], vcc_lo, v[124:125], v[122:123], v[124:125]
	v_rcp_f64_e32 v[139:140], v[137:138]
	v_fma_f64 v[141:142], -v[137:138], v[139:140], 1.0
	v_fma_f64 v[139:140], v[139:140], v[141:142], v[139:140]
	v_fma_f64 v[141:142], -v[137:138], v[139:140], 1.0
	v_fma_f64 v[139:140], v[139:140], v[141:142], v[139:140]
	v_mul_f64 v[141:142], v[143:144], v[139:140]
	v_fma_f64 v[137:138], -v[137:138], v[141:142], v[143:144]
	v_div_fmas_f64 v[137:138], v[137:138], v[139:140], v[141:142]
	v_div_fixup_f64 v[137:138], v[137:138], v[122:123], v[124:125]
	v_fma_f64 v[122:123], v[124:125], v[137:138], v[122:123]
	v_div_scale_f64 v[124:125], null, v[122:123], v[122:123], 1.0
	v_rcp_f64_e32 v[139:140], v[124:125]
	v_fma_f64 v[141:142], -v[124:125], v[139:140], 1.0
	v_fma_f64 v[139:140], v[139:140], v[141:142], v[139:140]
	v_fma_f64 v[141:142], -v[124:125], v[139:140], 1.0
	v_fma_f64 v[139:140], v[139:140], v[141:142], v[139:140]
	v_div_scale_f64 v[141:142], vcc_lo, 1.0, v[122:123], 1.0
	v_mul_f64 v[143:144], v[141:142], v[139:140]
	v_fma_f64 v[124:125], -v[124:125], v[143:144], v[141:142]
	v_div_fmas_f64 v[124:125], v[124:125], v[139:140], v[143:144]
	v_div_fixup_f64 v[122:123], v[124:125], v[122:123], 1.0
	v_mul_f64 v[124:125], v[137:138], -v[122:123]
.LBB58_492:
	s_or_b32 exec_lo, exec_lo, s1
.LBB58_493:
	s_or_b32 exec_lo, exec_lo, s0
	s_mov_b32 s0, exec_lo
	v_cmpx_ne_u32_e64 v136, v130
	s_xor_b32 s0, exec_lo, s0
	s_cbranch_execz .LBB58_499
; %bb.494:
	s_mov_b32 s1, exec_lo
	v_cmpx_eq_u32_e32 23, v136
	s_cbranch_execz .LBB58_498
; %bb.495:
	v_cmp_ne_u32_e32 vcc_lo, 23, v130
	s_xor_b32 s2, s16, -1
	s_and_b32 s3, s2, vcc_lo
	s_and_saveexec_b32 s2, s3
	s_cbranch_execz .LBB58_497
; %bb.496:
	v_ashrrev_i32_e32 v131, 31, v130
	v_lshlrev_b64 v[136:137], 2, v[130:131]
	v_add_co_u32 v136, vcc_lo, v128, v136
	v_add_co_ci_u32_e64 v137, null, v129, v137, vcc_lo
	s_clause 0x1
	global_load_dword v0, v[136:137], off
	global_load_dword v131, v[128:129], off offset:92
	s_waitcnt vmcnt(1)
	global_store_dword v[128:129], v0, off offset:92
	s_waitcnt vmcnt(0)
	global_store_dword v[136:137], v131, off
.LBB58_497:
	s_or_b32 exec_lo, exec_lo, s2
	v_mov_b32_e32 v136, v130
	v_mov_b32_e32 v0, v130
.LBB58_498:
	s_or_b32 exec_lo, exec_lo, s1
.LBB58_499:
	s_andn2_saveexec_b32 s0, s0
	s_cbranch_execz .LBB58_501
; %bb.500:
	v_mov_b32_e32 v136, 23
	ds_write2_b64 v1, v[22:23], v[24:25] offset0:48 offset1:49
	ds_write2_b64 v1, v[18:19], v[20:21] offset0:50 offset1:51
	;; [unrolled: 1-line block ×6, first 2 shown]
.LBB58_501:
	s_or_b32 exec_lo, exec_lo, s0
	s_mov_b32 s0, exec_lo
	s_waitcnt lgkmcnt(0)
	s_waitcnt_vscnt null, 0x0
	s_barrier
	buffer_gl0_inv
	v_cmpx_lt_i32_e32 23, v136
	s_cbranch_execz .LBB58_503
; %bb.502:
	v_mul_f64 v[130:131], v[122:123], v[28:29]
	v_mul_f64 v[28:29], v[124:125], v[28:29]
	v_fma_f64 v[130:131], v[124:125], v[26:27], v[130:131]
	v_fma_f64 v[26:27], v[122:123], v[26:27], -v[28:29]
	ds_read2_b64 v[122:125], v1 offset0:48 offset1:49
	s_waitcnt lgkmcnt(0)
	v_mul_f64 v[28:29], v[124:125], v[130:131]
	v_fma_f64 v[28:29], v[122:123], v[26:27], -v[28:29]
	v_mul_f64 v[122:123], v[122:123], v[130:131]
	v_add_f64 v[22:23], v[22:23], -v[28:29]
	v_fma_f64 v[122:123], v[124:125], v[26:27], v[122:123]
	v_add_f64 v[24:25], v[24:25], -v[122:123]
	ds_read2_b64 v[122:125], v1 offset0:50 offset1:51
	s_waitcnt lgkmcnt(0)
	v_mul_f64 v[28:29], v[124:125], v[130:131]
	v_fma_f64 v[28:29], v[122:123], v[26:27], -v[28:29]
	v_mul_f64 v[122:123], v[122:123], v[130:131]
	v_add_f64 v[18:19], v[18:19], -v[28:29]
	v_fma_f64 v[122:123], v[124:125], v[26:27], v[122:123]
	v_add_f64 v[20:21], v[20:21], -v[122:123]
	;; [unrolled: 8-line block ×5, first 2 shown]
	ds_read2_b64 v[122:125], v1 offset0:58 offset1:59
	s_waitcnt lgkmcnt(0)
	v_mul_f64 v[28:29], v[124:125], v[130:131]
	v_fma_f64 v[28:29], v[122:123], v[26:27], -v[28:29]
	v_mul_f64 v[122:123], v[122:123], v[130:131]
	v_add_f64 v[2:3], v[2:3], -v[28:29]
	v_fma_f64 v[122:123], v[124:125], v[26:27], v[122:123]
	v_mov_b32_e32 v28, v130
	v_mov_b32_e32 v29, v131
	v_add_f64 v[4:5], v[4:5], -v[122:123]
.LBB58_503:
	s_or_b32 exec_lo, exec_lo, s0
	v_lshl_add_u32 v122, v136, 4, v1
	s_barrier
	buffer_gl0_inv
	v_mov_b32_e32 v130, 24
	ds_write2_b64 v122, v[22:23], v[24:25] offset1:1
	s_waitcnt lgkmcnt(0)
	s_barrier
	buffer_gl0_inv
	ds_read2_b64 v[122:125], v1 offset0:48 offset1:49
	s_cmp_lt_i32 s18, 26
	s_cbranch_scc1 .LBB58_506
; %bb.504:
	v_add3_u32 v131, v132, 0, 0x190
	v_mov_b32_e32 v130, 24
	s_mov_b32 s1, 25
	s_inst_prefetch 0x1
	.p2align	6
.LBB58_505:                             ; =>This Inner Loop Header: Depth=1
	s_waitcnt lgkmcnt(0)
	v_cmp_gt_f64_e32 vcc_lo, 0, v[124:125]
	v_cmp_gt_f64_e64 s0, 0, v[122:123]
	ds_read2_b64 v[137:140], v131 offset1:1
	v_xor_b32_e32 v142, 0x80000000, v123
	v_xor_b32_e32 v144, 0x80000000, v125
	v_mov_b32_e32 v141, v122
	v_mov_b32_e32 v143, v124
	v_add_nc_u32_e32 v131, 16, v131
	s_waitcnt lgkmcnt(0)
	v_xor_b32_e32 v146, 0x80000000, v140
	v_cndmask_b32_e64 v142, v123, v142, s0
	v_cndmask_b32_e32 v144, v125, v144, vcc_lo
	v_cmp_gt_f64_e32 vcc_lo, 0, v[139:140]
	v_cmp_gt_f64_e64 s0, 0, v[137:138]
	v_mov_b32_e32 v145, v139
	v_add_f64 v[141:142], v[141:142], v[143:144]
	v_xor_b32_e32 v144, 0x80000000, v138
	v_mov_b32_e32 v143, v137
	v_cndmask_b32_e32 v146, v140, v146, vcc_lo
	v_cndmask_b32_e64 v144, v138, v144, s0
	v_add_f64 v[143:144], v[143:144], v[145:146]
	v_cmp_lt_f64_e32 vcc_lo, v[141:142], v[143:144]
	v_cndmask_b32_e32 v123, v123, v138, vcc_lo
	v_cndmask_b32_e32 v122, v122, v137, vcc_lo
	;; [unrolled: 1-line block ×4, first 2 shown]
	v_cndmask_b32_e64 v130, v130, s1, vcc_lo
	s_add_i32 s1, s1, 1
	s_cmp_lg_u32 s18, s1
	s_cbranch_scc1 .LBB58_505
.LBB58_506:
	s_inst_prefetch 0x2
	s_waitcnt lgkmcnt(0)
	v_cmp_eq_f64_e32 vcc_lo, 0, v[122:123]
	v_cmp_eq_f64_e64 s0, 0, v[124:125]
	s_and_b32 s0, vcc_lo, s0
	s_and_saveexec_b32 s1, s0
	s_xor_b32 s0, exec_lo, s1
; %bb.507:
	v_cmp_ne_u32_e32 vcc_lo, 0, v135
	v_cndmask_b32_e32 v135, 25, v135, vcc_lo
; %bb.508:
	s_andn2_saveexec_b32 s0, s0
	s_cbranch_execz .LBB58_514
; %bb.509:
	v_cmp_ngt_f64_e64 s1, |v[122:123]|, |v[124:125]|
	s_and_saveexec_b32 s2, s1
	s_xor_b32 s1, exec_lo, s2
	s_cbranch_execz .LBB58_511
; %bb.510:
	v_div_scale_f64 v[137:138], null, v[124:125], v[124:125], v[122:123]
	v_div_scale_f64 v[143:144], vcc_lo, v[122:123], v[124:125], v[122:123]
	v_rcp_f64_e32 v[139:140], v[137:138]
	v_fma_f64 v[141:142], -v[137:138], v[139:140], 1.0
	v_fma_f64 v[139:140], v[139:140], v[141:142], v[139:140]
	v_fma_f64 v[141:142], -v[137:138], v[139:140], 1.0
	v_fma_f64 v[139:140], v[139:140], v[141:142], v[139:140]
	v_mul_f64 v[141:142], v[143:144], v[139:140]
	v_fma_f64 v[137:138], -v[137:138], v[141:142], v[143:144]
	v_div_fmas_f64 v[137:138], v[137:138], v[139:140], v[141:142]
	v_div_fixup_f64 v[137:138], v[137:138], v[124:125], v[122:123]
	v_fma_f64 v[122:123], v[122:123], v[137:138], v[124:125]
	v_div_scale_f64 v[124:125], null, v[122:123], v[122:123], 1.0
	v_rcp_f64_e32 v[139:140], v[124:125]
	v_fma_f64 v[141:142], -v[124:125], v[139:140], 1.0
	v_fma_f64 v[139:140], v[139:140], v[141:142], v[139:140]
	v_fma_f64 v[141:142], -v[124:125], v[139:140], 1.0
	v_fma_f64 v[139:140], v[139:140], v[141:142], v[139:140]
	v_div_scale_f64 v[141:142], vcc_lo, 1.0, v[122:123], 1.0
	v_mul_f64 v[143:144], v[141:142], v[139:140]
	v_fma_f64 v[124:125], -v[124:125], v[143:144], v[141:142]
	v_div_fmas_f64 v[124:125], v[124:125], v[139:140], v[143:144]
	v_div_fixup_f64 v[124:125], v[124:125], v[122:123], 1.0
	v_mul_f64 v[122:123], v[137:138], v[124:125]
	v_xor_b32_e32 v125, 0x80000000, v125
.LBB58_511:
	s_andn2_saveexec_b32 s1, s1
	s_cbranch_execz .LBB58_513
; %bb.512:
	v_div_scale_f64 v[137:138], null, v[122:123], v[122:123], v[124:125]
	v_div_scale_f64 v[143:144], vcc_lo, v[124:125], v[122:123], v[124:125]
	v_rcp_f64_e32 v[139:140], v[137:138]
	v_fma_f64 v[141:142], -v[137:138], v[139:140], 1.0
	v_fma_f64 v[139:140], v[139:140], v[141:142], v[139:140]
	v_fma_f64 v[141:142], -v[137:138], v[139:140], 1.0
	v_fma_f64 v[139:140], v[139:140], v[141:142], v[139:140]
	v_mul_f64 v[141:142], v[143:144], v[139:140]
	v_fma_f64 v[137:138], -v[137:138], v[141:142], v[143:144]
	v_div_fmas_f64 v[137:138], v[137:138], v[139:140], v[141:142]
	v_div_fixup_f64 v[137:138], v[137:138], v[122:123], v[124:125]
	v_fma_f64 v[122:123], v[124:125], v[137:138], v[122:123]
	v_div_scale_f64 v[124:125], null, v[122:123], v[122:123], 1.0
	v_rcp_f64_e32 v[139:140], v[124:125]
	v_fma_f64 v[141:142], -v[124:125], v[139:140], 1.0
	v_fma_f64 v[139:140], v[139:140], v[141:142], v[139:140]
	v_fma_f64 v[141:142], -v[124:125], v[139:140], 1.0
	v_fma_f64 v[139:140], v[139:140], v[141:142], v[139:140]
	v_div_scale_f64 v[141:142], vcc_lo, 1.0, v[122:123], 1.0
	v_mul_f64 v[143:144], v[141:142], v[139:140]
	v_fma_f64 v[124:125], -v[124:125], v[143:144], v[141:142]
	v_div_fmas_f64 v[124:125], v[124:125], v[139:140], v[143:144]
	v_div_fixup_f64 v[122:123], v[124:125], v[122:123], 1.0
	v_mul_f64 v[124:125], v[137:138], -v[122:123]
.LBB58_513:
	s_or_b32 exec_lo, exec_lo, s1
.LBB58_514:
	s_or_b32 exec_lo, exec_lo, s0
	s_mov_b32 s0, exec_lo
	v_cmpx_ne_u32_e64 v136, v130
	s_xor_b32 s0, exec_lo, s0
	s_cbranch_execz .LBB58_520
; %bb.515:
	s_mov_b32 s1, exec_lo
	v_cmpx_eq_u32_e32 24, v136
	s_cbranch_execz .LBB58_519
; %bb.516:
	v_cmp_ne_u32_e32 vcc_lo, 24, v130
	s_xor_b32 s2, s16, -1
	s_and_b32 s3, s2, vcc_lo
	s_and_saveexec_b32 s2, s3
	s_cbranch_execz .LBB58_518
; %bb.517:
	v_ashrrev_i32_e32 v131, 31, v130
	v_lshlrev_b64 v[136:137], 2, v[130:131]
	v_add_co_u32 v136, vcc_lo, v128, v136
	v_add_co_ci_u32_e64 v137, null, v129, v137, vcc_lo
	s_clause 0x1
	global_load_dword v0, v[136:137], off
	global_load_dword v131, v[128:129], off offset:96
	s_waitcnt vmcnt(1)
	global_store_dword v[128:129], v0, off offset:96
	s_waitcnt vmcnt(0)
	global_store_dword v[136:137], v131, off
.LBB58_518:
	s_or_b32 exec_lo, exec_lo, s2
	v_mov_b32_e32 v136, v130
	v_mov_b32_e32 v0, v130
.LBB58_519:
	s_or_b32 exec_lo, exec_lo, s1
.LBB58_520:
	s_andn2_saveexec_b32 s0, s0
	s_cbranch_execz .LBB58_522
; %bb.521:
	v_mov_b32_e32 v136, 24
	ds_write2_b64 v1, v[18:19], v[20:21] offset0:50 offset1:51
	ds_write2_b64 v1, v[14:15], v[16:17] offset0:52 offset1:53
	;; [unrolled: 1-line block ×5, first 2 shown]
.LBB58_522:
	s_or_b32 exec_lo, exec_lo, s0
	s_mov_b32 s0, exec_lo
	s_waitcnt lgkmcnt(0)
	s_waitcnt_vscnt null, 0x0
	s_barrier
	buffer_gl0_inv
	v_cmpx_lt_i32_e32 24, v136
	s_cbranch_execz .LBB58_524
; %bb.523:
	v_mul_f64 v[130:131], v[122:123], v[24:25]
	v_mul_f64 v[24:25], v[124:125], v[24:25]
	v_fma_f64 v[130:131], v[124:125], v[22:23], v[130:131]
	v_fma_f64 v[22:23], v[122:123], v[22:23], -v[24:25]
	ds_read2_b64 v[122:125], v1 offset0:50 offset1:51
	s_waitcnt lgkmcnt(0)
	v_mul_f64 v[24:25], v[124:125], v[130:131]
	v_fma_f64 v[24:25], v[122:123], v[22:23], -v[24:25]
	v_mul_f64 v[122:123], v[122:123], v[130:131]
	v_add_f64 v[18:19], v[18:19], -v[24:25]
	v_fma_f64 v[122:123], v[124:125], v[22:23], v[122:123]
	v_add_f64 v[20:21], v[20:21], -v[122:123]
	ds_read2_b64 v[122:125], v1 offset0:52 offset1:53
	s_waitcnt lgkmcnt(0)
	v_mul_f64 v[24:25], v[124:125], v[130:131]
	v_fma_f64 v[24:25], v[122:123], v[22:23], -v[24:25]
	v_mul_f64 v[122:123], v[122:123], v[130:131]
	v_add_f64 v[14:15], v[14:15], -v[24:25]
	v_fma_f64 v[122:123], v[124:125], v[22:23], v[122:123]
	v_add_f64 v[16:17], v[16:17], -v[122:123]
	;; [unrolled: 8-line block ×4, first 2 shown]
	ds_read2_b64 v[122:125], v1 offset0:58 offset1:59
	s_waitcnt lgkmcnt(0)
	v_mul_f64 v[24:25], v[124:125], v[130:131]
	v_fma_f64 v[24:25], v[122:123], v[22:23], -v[24:25]
	v_mul_f64 v[122:123], v[122:123], v[130:131]
	v_add_f64 v[2:3], v[2:3], -v[24:25]
	v_fma_f64 v[122:123], v[124:125], v[22:23], v[122:123]
	v_mov_b32_e32 v24, v130
	v_mov_b32_e32 v25, v131
	v_add_f64 v[4:5], v[4:5], -v[122:123]
.LBB58_524:
	s_or_b32 exec_lo, exec_lo, s0
	v_lshl_add_u32 v122, v136, 4, v1
	s_barrier
	buffer_gl0_inv
	v_mov_b32_e32 v130, 25
	ds_write2_b64 v122, v[18:19], v[20:21] offset1:1
	s_waitcnt lgkmcnt(0)
	s_barrier
	buffer_gl0_inv
	ds_read2_b64 v[122:125], v1 offset0:50 offset1:51
	s_cmp_lt_i32 s18, 27
	s_cbranch_scc1 .LBB58_527
; %bb.525:
	v_add3_u32 v131, v132, 0, 0x1a0
	v_mov_b32_e32 v130, 25
	s_mov_b32 s1, 26
	s_inst_prefetch 0x1
	.p2align	6
.LBB58_526:                             ; =>This Inner Loop Header: Depth=1
	s_waitcnt lgkmcnt(0)
	v_cmp_gt_f64_e32 vcc_lo, 0, v[124:125]
	v_cmp_gt_f64_e64 s0, 0, v[122:123]
	ds_read2_b64 v[137:140], v131 offset1:1
	v_xor_b32_e32 v142, 0x80000000, v123
	v_xor_b32_e32 v144, 0x80000000, v125
	v_mov_b32_e32 v141, v122
	v_mov_b32_e32 v143, v124
	v_add_nc_u32_e32 v131, 16, v131
	s_waitcnt lgkmcnt(0)
	v_xor_b32_e32 v146, 0x80000000, v140
	v_cndmask_b32_e64 v142, v123, v142, s0
	v_cndmask_b32_e32 v144, v125, v144, vcc_lo
	v_cmp_gt_f64_e32 vcc_lo, 0, v[139:140]
	v_cmp_gt_f64_e64 s0, 0, v[137:138]
	v_mov_b32_e32 v145, v139
	v_add_f64 v[141:142], v[141:142], v[143:144]
	v_xor_b32_e32 v144, 0x80000000, v138
	v_mov_b32_e32 v143, v137
	v_cndmask_b32_e32 v146, v140, v146, vcc_lo
	v_cndmask_b32_e64 v144, v138, v144, s0
	v_add_f64 v[143:144], v[143:144], v[145:146]
	v_cmp_lt_f64_e32 vcc_lo, v[141:142], v[143:144]
	v_cndmask_b32_e32 v123, v123, v138, vcc_lo
	v_cndmask_b32_e32 v122, v122, v137, vcc_lo
	;; [unrolled: 1-line block ×4, first 2 shown]
	v_cndmask_b32_e64 v130, v130, s1, vcc_lo
	s_add_i32 s1, s1, 1
	s_cmp_lg_u32 s18, s1
	s_cbranch_scc1 .LBB58_526
.LBB58_527:
	s_inst_prefetch 0x2
	s_waitcnt lgkmcnt(0)
	v_cmp_eq_f64_e32 vcc_lo, 0, v[122:123]
	v_cmp_eq_f64_e64 s0, 0, v[124:125]
	s_and_b32 s0, vcc_lo, s0
	s_and_saveexec_b32 s1, s0
	s_xor_b32 s0, exec_lo, s1
; %bb.528:
	v_cmp_ne_u32_e32 vcc_lo, 0, v135
	v_cndmask_b32_e32 v135, 26, v135, vcc_lo
; %bb.529:
	s_andn2_saveexec_b32 s0, s0
	s_cbranch_execz .LBB58_535
; %bb.530:
	v_cmp_ngt_f64_e64 s1, |v[122:123]|, |v[124:125]|
	s_and_saveexec_b32 s2, s1
	s_xor_b32 s1, exec_lo, s2
	s_cbranch_execz .LBB58_532
; %bb.531:
	v_div_scale_f64 v[137:138], null, v[124:125], v[124:125], v[122:123]
	v_div_scale_f64 v[143:144], vcc_lo, v[122:123], v[124:125], v[122:123]
	v_rcp_f64_e32 v[139:140], v[137:138]
	v_fma_f64 v[141:142], -v[137:138], v[139:140], 1.0
	v_fma_f64 v[139:140], v[139:140], v[141:142], v[139:140]
	v_fma_f64 v[141:142], -v[137:138], v[139:140], 1.0
	v_fma_f64 v[139:140], v[139:140], v[141:142], v[139:140]
	v_mul_f64 v[141:142], v[143:144], v[139:140]
	v_fma_f64 v[137:138], -v[137:138], v[141:142], v[143:144]
	v_div_fmas_f64 v[137:138], v[137:138], v[139:140], v[141:142]
	v_div_fixup_f64 v[137:138], v[137:138], v[124:125], v[122:123]
	v_fma_f64 v[122:123], v[122:123], v[137:138], v[124:125]
	v_div_scale_f64 v[124:125], null, v[122:123], v[122:123], 1.0
	v_rcp_f64_e32 v[139:140], v[124:125]
	v_fma_f64 v[141:142], -v[124:125], v[139:140], 1.0
	v_fma_f64 v[139:140], v[139:140], v[141:142], v[139:140]
	v_fma_f64 v[141:142], -v[124:125], v[139:140], 1.0
	v_fma_f64 v[139:140], v[139:140], v[141:142], v[139:140]
	v_div_scale_f64 v[141:142], vcc_lo, 1.0, v[122:123], 1.0
	v_mul_f64 v[143:144], v[141:142], v[139:140]
	v_fma_f64 v[124:125], -v[124:125], v[143:144], v[141:142]
	v_div_fmas_f64 v[124:125], v[124:125], v[139:140], v[143:144]
	v_div_fixup_f64 v[124:125], v[124:125], v[122:123], 1.0
	v_mul_f64 v[122:123], v[137:138], v[124:125]
	v_xor_b32_e32 v125, 0x80000000, v125
.LBB58_532:
	s_andn2_saveexec_b32 s1, s1
	s_cbranch_execz .LBB58_534
; %bb.533:
	v_div_scale_f64 v[137:138], null, v[122:123], v[122:123], v[124:125]
	v_div_scale_f64 v[143:144], vcc_lo, v[124:125], v[122:123], v[124:125]
	v_rcp_f64_e32 v[139:140], v[137:138]
	v_fma_f64 v[141:142], -v[137:138], v[139:140], 1.0
	v_fma_f64 v[139:140], v[139:140], v[141:142], v[139:140]
	v_fma_f64 v[141:142], -v[137:138], v[139:140], 1.0
	v_fma_f64 v[139:140], v[139:140], v[141:142], v[139:140]
	v_mul_f64 v[141:142], v[143:144], v[139:140]
	v_fma_f64 v[137:138], -v[137:138], v[141:142], v[143:144]
	v_div_fmas_f64 v[137:138], v[137:138], v[139:140], v[141:142]
	v_div_fixup_f64 v[137:138], v[137:138], v[122:123], v[124:125]
	v_fma_f64 v[122:123], v[124:125], v[137:138], v[122:123]
	v_div_scale_f64 v[124:125], null, v[122:123], v[122:123], 1.0
	v_rcp_f64_e32 v[139:140], v[124:125]
	v_fma_f64 v[141:142], -v[124:125], v[139:140], 1.0
	v_fma_f64 v[139:140], v[139:140], v[141:142], v[139:140]
	v_fma_f64 v[141:142], -v[124:125], v[139:140], 1.0
	v_fma_f64 v[139:140], v[139:140], v[141:142], v[139:140]
	v_div_scale_f64 v[141:142], vcc_lo, 1.0, v[122:123], 1.0
	v_mul_f64 v[143:144], v[141:142], v[139:140]
	v_fma_f64 v[124:125], -v[124:125], v[143:144], v[141:142]
	v_div_fmas_f64 v[124:125], v[124:125], v[139:140], v[143:144]
	v_div_fixup_f64 v[122:123], v[124:125], v[122:123], 1.0
	v_mul_f64 v[124:125], v[137:138], -v[122:123]
.LBB58_534:
	s_or_b32 exec_lo, exec_lo, s1
.LBB58_535:
	s_or_b32 exec_lo, exec_lo, s0
	s_mov_b32 s0, exec_lo
	v_cmpx_ne_u32_e64 v136, v130
	s_xor_b32 s0, exec_lo, s0
	s_cbranch_execz .LBB58_541
; %bb.536:
	s_mov_b32 s1, exec_lo
	v_cmpx_eq_u32_e32 25, v136
	s_cbranch_execz .LBB58_540
; %bb.537:
	v_cmp_ne_u32_e32 vcc_lo, 25, v130
	s_xor_b32 s2, s16, -1
	s_and_b32 s3, s2, vcc_lo
	s_and_saveexec_b32 s2, s3
	s_cbranch_execz .LBB58_539
; %bb.538:
	v_ashrrev_i32_e32 v131, 31, v130
	v_lshlrev_b64 v[136:137], 2, v[130:131]
	v_add_co_u32 v136, vcc_lo, v128, v136
	v_add_co_ci_u32_e64 v137, null, v129, v137, vcc_lo
	s_clause 0x1
	global_load_dword v0, v[136:137], off
	global_load_dword v131, v[128:129], off offset:100
	s_waitcnt vmcnt(1)
	global_store_dword v[128:129], v0, off offset:100
	s_waitcnt vmcnt(0)
	global_store_dword v[136:137], v131, off
.LBB58_539:
	s_or_b32 exec_lo, exec_lo, s2
	v_mov_b32_e32 v136, v130
	v_mov_b32_e32 v0, v130
.LBB58_540:
	s_or_b32 exec_lo, exec_lo, s1
.LBB58_541:
	s_andn2_saveexec_b32 s0, s0
	s_cbranch_execz .LBB58_543
; %bb.542:
	v_mov_b32_e32 v136, 25
	ds_write2_b64 v1, v[14:15], v[16:17] offset0:52 offset1:53
	ds_write2_b64 v1, v[10:11], v[12:13] offset0:54 offset1:55
	ds_write2_b64 v1, v[6:7], v[8:9] offset0:56 offset1:57
	ds_write2_b64 v1, v[2:3], v[4:5] offset0:58 offset1:59
.LBB58_543:
	s_or_b32 exec_lo, exec_lo, s0
	s_mov_b32 s0, exec_lo
	s_waitcnt lgkmcnt(0)
	s_waitcnt_vscnt null, 0x0
	s_barrier
	buffer_gl0_inv
	v_cmpx_lt_i32_e32 25, v136
	s_cbranch_execz .LBB58_545
; %bb.544:
	v_mul_f64 v[130:131], v[122:123], v[20:21]
	v_mul_f64 v[20:21], v[124:125], v[20:21]
	v_fma_f64 v[130:131], v[124:125], v[18:19], v[130:131]
	v_fma_f64 v[18:19], v[122:123], v[18:19], -v[20:21]
	ds_read2_b64 v[122:125], v1 offset0:52 offset1:53
	s_waitcnt lgkmcnt(0)
	v_mul_f64 v[20:21], v[124:125], v[130:131]
	v_fma_f64 v[20:21], v[122:123], v[18:19], -v[20:21]
	v_mul_f64 v[122:123], v[122:123], v[130:131]
	v_add_f64 v[14:15], v[14:15], -v[20:21]
	v_fma_f64 v[122:123], v[124:125], v[18:19], v[122:123]
	v_add_f64 v[16:17], v[16:17], -v[122:123]
	ds_read2_b64 v[122:125], v1 offset0:54 offset1:55
	s_waitcnt lgkmcnt(0)
	v_mul_f64 v[20:21], v[124:125], v[130:131]
	v_fma_f64 v[20:21], v[122:123], v[18:19], -v[20:21]
	v_mul_f64 v[122:123], v[122:123], v[130:131]
	v_add_f64 v[10:11], v[10:11], -v[20:21]
	v_fma_f64 v[122:123], v[124:125], v[18:19], v[122:123]
	v_add_f64 v[12:13], v[12:13], -v[122:123]
	;; [unrolled: 8-line block ×3, first 2 shown]
	ds_read2_b64 v[122:125], v1 offset0:58 offset1:59
	s_waitcnt lgkmcnt(0)
	v_mul_f64 v[20:21], v[124:125], v[130:131]
	v_fma_f64 v[20:21], v[122:123], v[18:19], -v[20:21]
	v_mul_f64 v[122:123], v[122:123], v[130:131]
	v_add_f64 v[2:3], v[2:3], -v[20:21]
	v_fma_f64 v[122:123], v[124:125], v[18:19], v[122:123]
	v_mov_b32_e32 v20, v130
	v_mov_b32_e32 v21, v131
	v_add_f64 v[4:5], v[4:5], -v[122:123]
.LBB58_545:
	s_or_b32 exec_lo, exec_lo, s0
	v_lshl_add_u32 v122, v136, 4, v1
	s_barrier
	buffer_gl0_inv
	v_mov_b32_e32 v130, 26
	ds_write2_b64 v122, v[14:15], v[16:17] offset1:1
	s_waitcnt lgkmcnt(0)
	s_barrier
	buffer_gl0_inv
	ds_read2_b64 v[122:125], v1 offset0:52 offset1:53
	s_cmp_lt_i32 s18, 28
	s_cbranch_scc1 .LBB58_548
; %bb.546:
	v_add3_u32 v131, v132, 0, 0x1b0
	v_mov_b32_e32 v130, 26
	s_mov_b32 s1, 27
	s_inst_prefetch 0x1
	.p2align	6
.LBB58_547:                             ; =>This Inner Loop Header: Depth=1
	s_waitcnt lgkmcnt(0)
	v_cmp_gt_f64_e32 vcc_lo, 0, v[124:125]
	v_cmp_gt_f64_e64 s0, 0, v[122:123]
	ds_read2_b64 v[137:140], v131 offset1:1
	v_xor_b32_e32 v142, 0x80000000, v123
	v_xor_b32_e32 v144, 0x80000000, v125
	v_mov_b32_e32 v141, v122
	v_mov_b32_e32 v143, v124
	v_add_nc_u32_e32 v131, 16, v131
	s_waitcnt lgkmcnt(0)
	v_xor_b32_e32 v146, 0x80000000, v140
	v_cndmask_b32_e64 v142, v123, v142, s0
	v_cndmask_b32_e32 v144, v125, v144, vcc_lo
	v_cmp_gt_f64_e32 vcc_lo, 0, v[139:140]
	v_cmp_gt_f64_e64 s0, 0, v[137:138]
	v_mov_b32_e32 v145, v139
	v_add_f64 v[141:142], v[141:142], v[143:144]
	v_xor_b32_e32 v144, 0x80000000, v138
	v_mov_b32_e32 v143, v137
	v_cndmask_b32_e32 v146, v140, v146, vcc_lo
	v_cndmask_b32_e64 v144, v138, v144, s0
	v_add_f64 v[143:144], v[143:144], v[145:146]
	v_cmp_lt_f64_e32 vcc_lo, v[141:142], v[143:144]
	v_cndmask_b32_e32 v123, v123, v138, vcc_lo
	v_cndmask_b32_e32 v122, v122, v137, vcc_lo
	;; [unrolled: 1-line block ×4, first 2 shown]
	v_cndmask_b32_e64 v130, v130, s1, vcc_lo
	s_add_i32 s1, s1, 1
	s_cmp_lg_u32 s18, s1
	s_cbranch_scc1 .LBB58_547
.LBB58_548:
	s_inst_prefetch 0x2
	s_waitcnt lgkmcnt(0)
	v_cmp_eq_f64_e32 vcc_lo, 0, v[122:123]
	v_cmp_eq_f64_e64 s0, 0, v[124:125]
	s_and_b32 s0, vcc_lo, s0
	s_and_saveexec_b32 s1, s0
	s_xor_b32 s0, exec_lo, s1
; %bb.549:
	v_cmp_ne_u32_e32 vcc_lo, 0, v135
	v_cndmask_b32_e32 v135, 27, v135, vcc_lo
; %bb.550:
	s_andn2_saveexec_b32 s0, s0
	s_cbranch_execz .LBB58_556
; %bb.551:
	v_cmp_ngt_f64_e64 s1, |v[122:123]|, |v[124:125]|
	s_and_saveexec_b32 s2, s1
	s_xor_b32 s1, exec_lo, s2
	s_cbranch_execz .LBB58_553
; %bb.552:
	v_div_scale_f64 v[137:138], null, v[124:125], v[124:125], v[122:123]
	v_div_scale_f64 v[143:144], vcc_lo, v[122:123], v[124:125], v[122:123]
	v_rcp_f64_e32 v[139:140], v[137:138]
	v_fma_f64 v[141:142], -v[137:138], v[139:140], 1.0
	v_fma_f64 v[139:140], v[139:140], v[141:142], v[139:140]
	v_fma_f64 v[141:142], -v[137:138], v[139:140], 1.0
	v_fma_f64 v[139:140], v[139:140], v[141:142], v[139:140]
	v_mul_f64 v[141:142], v[143:144], v[139:140]
	v_fma_f64 v[137:138], -v[137:138], v[141:142], v[143:144]
	v_div_fmas_f64 v[137:138], v[137:138], v[139:140], v[141:142]
	v_div_fixup_f64 v[137:138], v[137:138], v[124:125], v[122:123]
	v_fma_f64 v[122:123], v[122:123], v[137:138], v[124:125]
	v_div_scale_f64 v[124:125], null, v[122:123], v[122:123], 1.0
	v_rcp_f64_e32 v[139:140], v[124:125]
	v_fma_f64 v[141:142], -v[124:125], v[139:140], 1.0
	v_fma_f64 v[139:140], v[139:140], v[141:142], v[139:140]
	v_fma_f64 v[141:142], -v[124:125], v[139:140], 1.0
	v_fma_f64 v[139:140], v[139:140], v[141:142], v[139:140]
	v_div_scale_f64 v[141:142], vcc_lo, 1.0, v[122:123], 1.0
	v_mul_f64 v[143:144], v[141:142], v[139:140]
	v_fma_f64 v[124:125], -v[124:125], v[143:144], v[141:142]
	v_div_fmas_f64 v[124:125], v[124:125], v[139:140], v[143:144]
	v_div_fixup_f64 v[124:125], v[124:125], v[122:123], 1.0
	v_mul_f64 v[122:123], v[137:138], v[124:125]
	v_xor_b32_e32 v125, 0x80000000, v125
.LBB58_553:
	s_andn2_saveexec_b32 s1, s1
	s_cbranch_execz .LBB58_555
; %bb.554:
	v_div_scale_f64 v[137:138], null, v[122:123], v[122:123], v[124:125]
	v_div_scale_f64 v[143:144], vcc_lo, v[124:125], v[122:123], v[124:125]
	v_rcp_f64_e32 v[139:140], v[137:138]
	v_fma_f64 v[141:142], -v[137:138], v[139:140], 1.0
	v_fma_f64 v[139:140], v[139:140], v[141:142], v[139:140]
	v_fma_f64 v[141:142], -v[137:138], v[139:140], 1.0
	v_fma_f64 v[139:140], v[139:140], v[141:142], v[139:140]
	v_mul_f64 v[141:142], v[143:144], v[139:140]
	v_fma_f64 v[137:138], -v[137:138], v[141:142], v[143:144]
	v_div_fmas_f64 v[137:138], v[137:138], v[139:140], v[141:142]
	v_div_fixup_f64 v[137:138], v[137:138], v[122:123], v[124:125]
	v_fma_f64 v[122:123], v[124:125], v[137:138], v[122:123]
	v_div_scale_f64 v[124:125], null, v[122:123], v[122:123], 1.0
	v_rcp_f64_e32 v[139:140], v[124:125]
	v_fma_f64 v[141:142], -v[124:125], v[139:140], 1.0
	v_fma_f64 v[139:140], v[139:140], v[141:142], v[139:140]
	v_fma_f64 v[141:142], -v[124:125], v[139:140], 1.0
	v_fma_f64 v[139:140], v[139:140], v[141:142], v[139:140]
	v_div_scale_f64 v[141:142], vcc_lo, 1.0, v[122:123], 1.0
	v_mul_f64 v[143:144], v[141:142], v[139:140]
	v_fma_f64 v[124:125], -v[124:125], v[143:144], v[141:142]
	v_div_fmas_f64 v[124:125], v[124:125], v[139:140], v[143:144]
	v_div_fixup_f64 v[122:123], v[124:125], v[122:123], 1.0
	v_mul_f64 v[124:125], v[137:138], -v[122:123]
.LBB58_555:
	s_or_b32 exec_lo, exec_lo, s1
.LBB58_556:
	s_or_b32 exec_lo, exec_lo, s0
	s_mov_b32 s0, exec_lo
	v_cmpx_ne_u32_e64 v136, v130
	s_xor_b32 s0, exec_lo, s0
	s_cbranch_execz .LBB58_562
; %bb.557:
	s_mov_b32 s1, exec_lo
	v_cmpx_eq_u32_e32 26, v136
	s_cbranch_execz .LBB58_561
; %bb.558:
	v_cmp_ne_u32_e32 vcc_lo, 26, v130
	s_xor_b32 s2, s16, -1
	s_and_b32 s3, s2, vcc_lo
	s_and_saveexec_b32 s2, s3
	s_cbranch_execz .LBB58_560
; %bb.559:
	v_ashrrev_i32_e32 v131, 31, v130
	v_lshlrev_b64 v[136:137], 2, v[130:131]
	v_add_co_u32 v136, vcc_lo, v128, v136
	v_add_co_ci_u32_e64 v137, null, v129, v137, vcc_lo
	s_clause 0x1
	global_load_dword v0, v[136:137], off
	global_load_dword v131, v[128:129], off offset:104
	s_waitcnt vmcnt(1)
	global_store_dword v[128:129], v0, off offset:104
	s_waitcnt vmcnt(0)
	global_store_dword v[136:137], v131, off
.LBB58_560:
	s_or_b32 exec_lo, exec_lo, s2
	v_mov_b32_e32 v136, v130
	v_mov_b32_e32 v0, v130
.LBB58_561:
	s_or_b32 exec_lo, exec_lo, s1
.LBB58_562:
	s_andn2_saveexec_b32 s0, s0
	s_cbranch_execz .LBB58_564
; %bb.563:
	v_mov_b32_e32 v136, 26
	ds_write2_b64 v1, v[10:11], v[12:13] offset0:54 offset1:55
	ds_write2_b64 v1, v[6:7], v[8:9] offset0:56 offset1:57
	;; [unrolled: 1-line block ×3, first 2 shown]
.LBB58_564:
	s_or_b32 exec_lo, exec_lo, s0
	s_mov_b32 s0, exec_lo
	s_waitcnt lgkmcnt(0)
	s_waitcnt_vscnt null, 0x0
	s_barrier
	buffer_gl0_inv
	v_cmpx_lt_i32_e32 26, v136
	s_cbranch_execz .LBB58_566
; %bb.565:
	v_mul_f64 v[130:131], v[122:123], v[16:17]
	v_mul_f64 v[16:17], v[124:125], v[16:17]
	ds_read2_b64 v[137:140], v1 offset0:54 offset1:55
	ds_read2_b64 v[141:144], v1 offset0:56 offset1:57
	;; [unrolled: 1-line block ×3, first 2 shown]
	v_fma_f64 v[124:125], v[124:125], v[14:15], v[130:131]
	v_fma_f64 v[14:15], v[122:123], v[14:15], -v[16:17]
	s_waitcnt lgkmcnt(2)
	v_mul_f64 v[16:17], v[139:140], v[124:125]
	v_mul_f64 v[122:123], v[137:138], v[124:125]
	s_waitcnt lgkmcnt(1)
	v_mul_f64 v[130:131], v[143:144], v[124:125]
	v_mul_f64 v[149:150], v[141:142], v[124:125]
	;; [unrolled: 3-line block ×3, first 2 shown]
	v_fma_f64 v[16:17], v[137:138], v[14:15], -v[16:17]
	v_fma_f64 v[122:123], v[139:140], v[14:15], v[122:123]
	v_fma_f64 v[130:131], v[141:142], v[14:15], -v[130:131]
	v_fma_f64 v[137:138], v[143:144], v[14:15], v[149:150]
	;; [unrolled: 2-line block ×3, first 2 shown]
	v_add_f64 v[10:11], v[10:11], -v[16:17]
	v_add_f64 v[12:13], v[12:13], -v[122:123]
	;; [unrolled: 1-line block ×6, first 2 shown]
	v_mov_b32_e32 v16, v124
	v_mov_b32_e32 v17, v125
.LBB58_566:
	s_or_b32 exec_lo, exec_lo, s0
	v_lshl_add_u32 v122, v136, 4, v1
	s_barrier
	buffer_gl0_inv
	v_mov_b32_e32 v130, 27
	ds_write2_b64 v122, v[10:11], v[12:13] offset1:1
	s_waitcnt lgkmcnt(0)
	s_barrier
	buffer_gl0_inv
	ds_read2_b64 v[122:125], v1 offset0:54 offset1:55
	s_cmp_lt_i32 s18, 29
	s_cbranch_scc1 .LBB58_569
; %bb.567:
	v_add3_u32 v131, v132, 0, 0x1c0
	v_mov_b32_e32 v130, 27
	s_mov_b32 s1, 28
	s_inst_prefetch 0x1
	.p2align	6
.LBB58_568:                             ; =>This Inner Loop Header: Depth=1
	s_waitcnt lgkmcnt(0)
	v_cmp_gt_f64_e32 vcc_lo, 0, v[124:125]
	v_cmp_gt_f64_e64 s0, 0, v[122:123]
	ds_read2_b64 v[137:140], v131 offset1:1
	v_xor_b32_e32 v142, 0x80000000, v123
	v_xor_b32_e32 v144, 0x80000000, v125
	v_mov_b32_e32 v141, v122
	v_mov_b32_e32 v143, v124
	v_add_nc_u32_e32 v131, 16, v131
	s_waitcnt lgkmcnt(0)
	v_xor_b32_e32 v146, 0x80000000, v140
	v_cndmask_b32_e64 v142, v123, v142, s0
	v_cndmask_b32_e32 v144, v125, v144, vcc_lo
	v_cmp_gt_f64_e32 vcc_lo, 0, v[139:140]
	v_cmp_gt_f64_e64 s0, 0, v[137:138]
	v_mov_b32_e32 v145, v139
	v_add_f64 v[141:142], v[141:142], v[143:144]
	v_xor_b32_e32 v144, 0x80000000, v138
	v_mov_b32_e32 v143, v137
	v_cndmask_b32_e32 v146, v140, v146, vcc_lo
	v_cndmask_b32_e64 v144, v138, v144, s0
	v_add_f64 v[143:144], v[143:144], v[145:146]
	v_cmp_lt_f64_e32 vcc_lo, v[141:142], v[143:144]
	v_cndmask_b32_e32 v123, v123, v138, vcc_lo
	v_cndmask_b32_e32 v122, v122, v137, vcc_lo
	;; [unrolled: 1-line block ×4, first 2 shown]
	v_cndmask_b32_e64 v130, v130, s1, vcc_lo
	s_add_i32 s1, s1, 1
	s_cmp_lg_u32 s18, s1
	s_cbranch_scc1 .LBB58_568
.LBB58_569:
	s_inst_prefetch 0x2
	s_waitcnt lgkmcnt(0)
	v_cmp_eq_f64_e32 vcc_lo, 0, v[122:123]
	v_cmp_eq_f64_e64 s0, 0, v[124:125]
	s_and_b32 s0, vcc_lo, s0
	s_and_saveexec_b32 s1, s0
	s_xor_b32 s0, exec_lo, s1
; %bb.570:
	v_cmp_ne_u32_e32 vcc_lo, 0, v135
	v_cndmask_b32_e32 v135, 28, v135, vcc_lo
; %bb.571:
	s_andn2_saveexec_b32 s0, s0
	s_cbranch_execz .LBB58_577
; %bb.572:
	v_cmp_ngt_f64_e64 s1, |v[122:123]|, |v[124:125]|
	s_and_saveexec_b32 s2, s1
	s_xor_b32 s1, exec_lo, s2
	s_cbranch_execz .LBB58_574
; %bb.573:
	v_div_scale_f64 v[137:138], null, v[124:125], v[124:125], v[122:123]
	v_div_scale_f64 v[143:144], vcc_lo, v[122:123], v[124:125], v[122:123]
	v_rcp_f64_e32 v[139:140], v[137:138]
	v_fma_f64 v[141:142], -v[137:138], v[139:140], 1.0
	v_fma_f64 v[139:140], v[139:140], v[141:142], v[139:140]
	v_fma_f64 v[141:142], -v[137:138], v[139:140], 1.0
	v_fma_f64 v[139:140], v[139:140], v[141:142], v[139:140]
	v_mul_f64 v[141:142], v[143:144], v[139:140]
	v_fma_f64 v[137:138], -v[137:138], v[141:142], v[143:144]
	v_div_fmas_f64 v[137:138], v[137:138], v[139:140], v[141:142]
	v_div_fixup_f64 v[137:138], v[137:138], v[124:125], v[122:123]
	v_fma_f64 v[122:123], v[122:123], v[137:138], v[124:125]
	v_div_scale_f64 v[124:125], null, v[122:123], v[122:123], 1.0
	v_rcp_f64_e32 v[139:140], v[124:125]
	v_fma_f64 v[141:142], -v[124:125], v[139:140], 1.0
	v_fma_f64 v[139:140], v[139:140], v[141:142], v[139:140]
	v_fma_f64 v[141:142], -v[124:125], v[139:140], 1.0
	v_fma_f64 v[139:140], v[139:140], v[141:142], v[139:140]
	v_div_scale_f64 v[141:142], vcc_lo, 1.0, v[122:123], 1.0
	v_mul_f64 v[143:144], v[141:142], v[139:140]
	v_fma_f64 v[124:125], -v[124:125], v[143:144], v[141:142]
	v_div_fmas_f64 v[124:125], v[124:125], v[139:140], v[143:144]
	v_div_fixup_f64 v[124:125], v[124:125], v[122:123], 1.0
	v_mul_f64 v[122:123], v[137:138], v[124:125]
	v_xor_b32_e32 v125, 0x80000000, v125
.LBB58_574:
	s_andn2_saveexec_b32 s1, s1
	s_cbranch_execz .LBB58_576
; %bb.575:
	v_div_scale_f64 v[137:138], null, v[122:123], v[122:123], v[124:125]
	v_div_scale_f64 v[143:144], vcc_lo, v[124:125], v[122:123], v[124:125]
	v_rcp_f64_e32 v[139:140], v[137:138]
	v_fma_f64 v[141:142], -v[137:138], v[139:140], 1.0
	v_fma_f64 v[139:140], v[139:140], v[141:142], v[139:140]
	v_fma_f64 v[141:142], -v[137:138], v[139:140], 1.0
	v_fma_f64 v[139:140], v[139:140], v[141:142], v[139:140]
	v_mul_f64 v[141:142], v[143:144], v[139:140]
	v_fma_f64 v[137:138], -v[137:138], v[141:142], v[143:144]
	v_div_fmas_f64 v[137:138], v[137:138], v[139:140], v[141:142]
	v_div_fixup_f64 v[137:138], v[137:138], v[122:123], v[124:125]
	v_fma_f64 v[122:123], v[124:125], v[137:138], v[122:123]
	v_div_scale_f64 v[124:125], null, v[122:123], v[122:123], 1.0
	v_rcp_f64_e32 v[139:140], v[124:125]
	v_fma_f64 v[141:142], -v[124:125], v[139:140], 1.0
	v_fma_f64 v[139:140], v[139:140], v[141:142], v[139:140]
	v_fma_f64 v[141:142], -v[124:125], v[139:140], 1.0
	v_fma_f64 v[139:140], v[139:140], v[141:142], v[139:140]
	v_div_scale_f64 v[141:142], vcc_lo, 1.0, v[122:123], 1.0
	v_mul_f64 v[143:144], v[141:142], v[139:140]
	v_fma_f64 v[124:125], -v[124:125], v[143:144], v[141:142]
	v_div_fmas_f64 v[124:125], v[124:125], v[139:140], v[143:144]
	v_div_fixup_f64 v[122:123], v[124:125], v[122:123], 1.0
	v_mul_f64 v[124:125], v[137:138], -v[122:123]
.LBB58_576:
	s_or_b32 exec_lo, exec_lo, s1
.LBB58_577:
	s_or_b32 exec_lo, exec_lo, s0
	s_mov_b32 s0, exec_lo
	v_cmpx_ne_u32_e64 v136, v130
	s_xor_b32 s0, exec_lo, s0
	s_cbranch_execz .LBB58_583
; %bb.578:
	s_mov_b32 s1, exec_lo
	v_cmpx_eq_u32_e32 27, v136
	s_cbranch_execz .LBB58_582
; %bb.579:
	v_cmp_ne_u32_e32 vcc_lo, 27, v130
	s_xor_b32 s2, s16, -1
	s_and_b32 s3, s2, vcc_lo
	s_and_saveexec_b32 s2, s3
	s_cbranch_execz .LBB58_581
; %bb.580:
	v_ashrrev_i32_e32 v131, 31, v130
	v_lshlrev_b64 v[136:137], 2, v[130:131]
	v_add_co_u32 v136, vcc_lo, v128, v136
	v_add_co_ci_u32_e64 v137, null, v129, v137, vcc_lo
	s_clause 0x1
	global_load_dword v0, v[136:137], off
	global_load_dword v131, v[128:129], off offset:108
	s_waitcnt vmcnt(1)
	global_store_dword v[128:129], v0, off offset:108
	s_waitcnt vmcnt(0)
	global_store_dword v[136:137], v131, off
.LBB58_581:
	s_or_b32 exec_lo, exec_lo, s2
	v_mov_b32_e32 v136, v130
	v_mov_b32_e32 v0, v130
.LBB58_582:
	s_or_b32 exec_lo, exec_lo, s1
.LBB58_583:
	s_andn2_saveexec_b32 s0, s0
	s_cbranch_execz .LBB58_585
; %bb.584:
	v_mov_b32_e32 v136, 27
	ds_write2_b64 v1, v[6:7], v[8:9] offset0:56 offset1:57
	ds_write2_b64 v1, v[2:3], v[4:5] offset0:58 offset1:59
.LBB58_585:
	s_or_b32 exec_lo, exec_lo, s0
	s_mov_b32 s0, exec_lo
	s_waitcnt lgkmcnt(0)
	s_waitcnt_vscnt null, 0x0
	s_barrier
	buffer_gl0_inv
	v_cmpx_lt_i32_e32 27, v136
	s_cbranch_execz .LBB58_587
; %bb.586:
	v_mul_f64 v[130:131], v[122:123], v[12:13]
	v_mul_f64 v[12:13], v[124:125], v[12:13]
	ds_read2_b64 v[137:140], v1 offset0:56 offset1:57
	ds_read2_b64 v[141:144], v1 offset0:58 offset1:59
	v_fma_f64 v[124:125], v[124:125], v[10:11], v[130:131]
	v_fma_f64 v[10:11], v[122:123], v[10:11], -v[12:13]
	s_waitcnt lgkmcnt(1)
	v_mul_f64 v[12:13], v[139:140], v[124:125]
	v_mul_f64 v[122:123], v[137:138], v[124:125]
	s_waitcnt lgkmcnt(0)
	v_mul_f64 v[130:131], v[143:144], v[124:125]
	v_mul_f64 v[145:146], v[141:142], v[124:125]
	v_fma_f64 v[12:13], v[137:138], v[10:11], -v[12:13]
	v_fma_f64 v[122:123], v[139:140], v[10:11], v[122:123]
	v_fma_f64 v[130:131], v[141:142], v[10:11], -v[130:131]
	v_fma_f64 v[137:138], v[143:144], v[10:11], v[145:146]
	v_add_f64 v[6:7], v[6:7], -v[12:13]
	v_add_f64 v[8:9], v[8:9], -v[122:123]
	;; [unrolled: 1-line block ×4, first 2 shown]
	v_mov_b32_e32 v12, v124
	v_mov_b32_e32 v13, v125
.LBB58_587:
	s_or_b32 exec_lo, exec_lo, s0
	v_lshl_add_u32 v122, v136, 4, v1
	s_barrier
	buffer_gl0_inv
	v_mov_b32_e32 v130, 28
	ds_write2_b64 v122, v[6:7], v[8:9] offset1:1
	s_waitcnt lgkmcnt(0)
	s_barrier
	buffer_gl0_inv
	ds_read2_b64 v[122:125], v1 offset0:56 offset1:57
	s_cmp_lt_i32 s18, 30
	s_cbranch_scc1 .LBB58_590
; %bb.588:
	v_add3_u32 v131, v132, 0, 0x1d0
	v_mov_b32_e32 v130, 28
	s_mov_b32 s1, 29
	s_inst_prefetch 0x1
	.p2align	6
.LBB58_589:                             ; =>This Inner Loop Header: Depth=1
	s_waitcnt lgkmcnt(0)
	v_cmp_gt_f64_e32 vcc_lo, 0, v[124:125]
	v_cmp_gt_f64_e64 s0, 0, v[122:123]
	ds_read2_b64 v[137:140], v131 offset1:1
	v_xor_b32_e32 v142, 0x80000000, v123
	v_xor_b32_e32 v144, 0x80000000, v125
	v_mov_b32_e32 v141, v122
	v_mov_b32_e32 v143, v124
	v_add_nc_u32_e32 v131, 16, v131
	s_waitcnt lgkmcnt(0)
	v_xor_b32_e32 v146, 0x80000000, v140
	v_cndmask_b32_e64 v142, v123, v142, s0
	v_cndmask_b32_e32 v144, v125, v144, vcc_lo
	v_cmp_gt_f64_e32 vcc_lo, 0, v[139:140]
	v_cmp_gt_f64_e64 s0, 0, v[137:138]
	v_mov_b32_e32 v145, v139
	v_add_f64 v[141:142], v[141:142], v[143:144]
	v_xor_b32_e32 v144, 0x80000000, v138
	v_mov_b32_e32 v143, v137
	v_cndmask_b32_e32 v146, v140, v146, vcc_lo
	v_cndmask_b32_e64 v144, v138, v144, s0
	v_add_f64 v[143:144], v[143:144], v[145:146]
	v_cmp_lt_f64_e32 vcc_lo, v[141:142], v[143:144]
	v_cndmask_b32_e32 v123, v123, v138, vcc_lo
	v_cndmask_b32_e32 v122, v122, v137, vcc_lo
	v_cndmask_b32_e32 v125, v125, v140, vcc_lo
	v_cndmask_b32_e32 v124, v124, v139, vcc_lo
	v_cndmask_b32_e64 v130, v130, s1, vcc_lo
	s_add_i32 s1, s1, 1
	s_cmp_lg_u32 s18, s1
	s_cbranch_scc1 .LBB58_589
.LBB58_590:
	s_inst_prefetch 0x2
	s_waitcnt lgkmcnt(0)
	v_cmp_eq_f64_e32 vcc_lo, 0, v[122:123]
	v_cmp_eq_f64_e64 s0, 0, v[124:125]
	s_and_b32 s0, vcc_lo, s0
	s_and_saveexec_b32 s1, s0
	s_xor_b32 s0, exec_lo, s1
; %bb.591:
	v_cmp_ne_u32_e32 vcc_lo, 0, v135
	v_cndmask_b32_e32 v135, 29, v135, vcc_lo
; %bb.592:
	s_andn2_saveexec_b32 s0, s0
	s_cbranch_execz .LBB58_598
; %bb.593:
	v_cmp_ngt_f64_e64 s1, |v[122:123]|, |v[124:125]|
	s_and_saveexec_b32 s2, s1
	s_xor_b32 s1, exec_lo, s2
	s_cbranch_execz .LBB58_595
; %bb.594:
	v_div_scale_f64 v[137:138], null, v[124:125], v[124:125], v[122:123]
	v_div_scale_f64 v[143:144], vcc_lo, v[122:123], v[124:125], v[122:123]
	v_rcp_f64_e32 v[139:140], v[137:138]
	v_fma_f64 v[141:142], -v[137:138], v[139:140], 1.0
	v_fma_f64 v[139:140], v[139:140], v[141:142], v[139:140]
	v_fma_f64 v[141:142], -v[137:138], v[139:140], 1.0
	v_fma_f64 v[139:140], v[139:140], v[141:142], v[139:140]
	v_mul_f64 v[141:142], v[143:144], v[139:140]
	v_fma_f64 v[137:138], -v[137:138], v[141:142], v[143:144]
	v_div_fmas_f64 v[137:138], v[137:138], v[139:140], v[141:142]
	v_div_fixup_f64 v[137:138], v[137:138], v[124:125], v[122:123]
	v_fma_f64 v[122:123], v[122:123], v[137:138], v[124:125]
	v_div_scale_f64 v[124:125], null, v[122:123], v[122:123], 1.0
	v_rcp_f64_e32 v[139:140], v[124:125]
	v_fma_f64 v[141:142], -v[124:125], v[139:140], 1.0
	v_fma_f64 v[139:140], v[139:140], v[141:142], v[139:140]
	v_fma_f64 v[141:142], -v[124:125], v[139:140], 1.0
	v_fma_f64 v[139:140], v[139:140], v[141:142], v[139:140]
	v_div_scale_f64 v[141:142], vcc_lo, 1.0, v[122:123], 1.0
	v_mul_f64 v[143:144], v[141:142], v[139:140]
	v_fma_f64 v[124:125], -v[124:125], v[143:144], v[141:142]
	v_div_fmas_f64 v[124:125], v[124:125], v[139:140], v[143:144]
	v_div_fixup_f64 v[124:125], v[124:125], v[122:123], 1.0
	v_mul_f64 v[122:123], v[137:138], v[124:125]
	v_xor_b32_e32 v125, 0x80000000, v125
.LBB58_595:
	s_andn2_saveexec_b32 s1, s1
	s_cbranch_execz .LBB58_597
; %bb.596:
	v_div_scale_f64 v[137:138], null, v[122:123], v[122:123], v[124:125]
	v_div_scale_f64 v[143:144], vcc_lo, v[124:125], v[122:123], v[124:125]
	v_rcp_f64_e32 v[139:140], v[137:138]
	v_fma_f64 v[141:142], -v[137:138], v[139:140], 1.0
	v_fma_f64 v[139:140], v[139:140], v[141:142], v[139:140]
	v_fma_f64 v[141:142], -v[137:138], v[139:140], 1.0
	v_fma_f64 v[139:140], v[139:140], v[141:142], v[139:140]
	v_mul_f64 v[141:142], v[143:144], v[139:140]
	v_fma_f64 v[137:138], -v[137:138], v[141:142], v[143:144]
	v_div_fmas_f64 v[137:138], v[137:138], v[139:140], v[141:142]
	v_div_fixup_f64 v[137:138], v[137:138], v[122:123], v[124:125]
	v_fma_f64 v[122:123], v[124:125], v[137:138], v[122:123]
	v_div_scale_f64 v[124:125], null, v[122:123], v[122:123], 1.0
	v_rcp_f64_e32 v[139:140], v[124:125]
	v_fma_f64 v[141:142], -v[124:125], v[139:140], 1.0
	v_fma_f64 v[139:140], v[139:140], v[141:142], v[139:140]
	v_fma_f64 v[141:142], -v[124:125], v[139:140], 1.0
	v_fma_f64 v[139:140], v[139:140], v[141:142], v[139:140]
	v_div_scale_f64 v[141:142], vcc_lo, 1.0, v[122:123], 1.0
	v_mul_f64 v[143:144], v[141:142], v[139:140]
	v_fma_f64 v[124:125], -v[124:125], v[143:144], v[141:142]
	v_div_fmas_f64 v[124:125], v[124:125], v[139:140], v[143:144]
	v_div_fixup_f64 v[122:123], v[124:125], v[122:123], 1.0
	v_mul_f64 v[124:125], v[137:138], -v[122:123]
.LBB58_597:
	s_or_b32 exec_lo, exec_lo, s1
.LBB58_598:
	s_or_b32 exec_lo, exec_lo, s0
	s_mov_b32 s0, exec_lo
	v_cmpx_ne_u32_e64 v136, v130
	s_xor_b32 s0, exec_lo, s0
	s_cbranch_execz .LBB58_604
; %bb.599:
	s_mov_b32 s1, exec_lo
	v_cmpx_eq_u32_e32 28, v136
	s_cbranch_execz .LBB58_603
; %bb.600:
	v_cmp_ne_u32_e32 vcc_lo, 28, v130
	s_xor_b32 s2, s16, -1
	s_and_b32 s3, s2, vcc_lo
	s_and_saveexec_b32 s2, s3
	s_cbranch_execz .LBB58_602
; %bb.601:
	v_ashrrev_i32_e32 v131, 31, v130
	v_lshlrev_b64 v[136:137], 2, v[130:131]
	v_add_co_u32 v136, vcc_lo, v128, v136
	v_add_co_ci_u32_e64 v137, null, v129, v137, vcc_lo
	s_clause 0x1
	global_load_dword v0, v[136:137], off
	global_load_dword v131, v[128:129], off offset:112
	s_waitcnt vmcnt(1)
	global_store_dword v[128:129], v0, off offset:112
	s_waitcnt vmcnt(0)
	global_store_dword v[136:137], v131, off
.LBB58_602:
	s_or_b32 exec_lo, exec_lo, s2
	v_mov_b32_e32 v136, v130
	v_mov_b32_e32 v0, v130
.LBB58_603:
	s_or_b32 exec_lo, exec_lo, s1
.LBB58_604:
	s_andn2_saveexec_b32 s0, s0
; %bb.605:
	v_mov_b32_e32 v136, 28
	ds_write2_b64 v1, v[2:3], v[4:5] offset0:58 offset1:59
; %bb.606:
	s_or_b32 exec_lo, exec_lo, s0
	s_mov_b32 s0, exec_lo
	s_waitcnt lgkmcnt(0)
	s_waitcnt_vscnt null, 0x0
	s_barrier
	buffer_gl0_inv
	v_cmpx_lt_i32_e32 28, v136
	s_cbranch_execz .LBB58_608
; %bb.607:
	v_mul_f64 v[130:131], v[122:123], v[8:9]
	v_mul_f64 v[8:9], v[124:125], v[8:9]
	ds_read2_b64 v[137:140], v1 offset0:58 offset1:59
	v_fma_f64 v[124:125], v[124:125], v[6:7], v[130:131]
	v_fma_f64 v[6:7], v[122:123], v[6:7], -v[8:9]
	s_waitcnt lgkmcnt(0)
	v_mul_f64 v[8:9], v[139:140], v[124:125]
	v_mul_f64 v[122:123], v[137:138], v[124:125]
	v_fma_f64 v[8:9], v[137:138], v[6:7], -v[8:9]
	v_fma_f64 v[122:123], v[139:140], v[6:7], v[122:123]
	v_add_f64 v[2:3], v[2:3], -v[8:9]
	v_add_f64 v[4:5], v[4:5], -v[122:123]
	v_mov_b32_e32 v8, v124
	v_mov_b32_e32 v9, v125
.LBB58_608:
	s_or_b32 exec_lo, exec_lo, s0
	v_lshl_add_u32 v122, v136, 4, v1
	s_barrier
	buffer_gl0_inv
	v_mov_b32_e32 v130, 29
	ds_write2_b64 v122, v[2:3], v[4:5] offset1:1
	s_waitcnt lgkmcnt(0)
	s_barrier
	buffer_gl0_inv
	ds_read2_b64 v[122:125], v1 offset0:58 offset1:59
	s_cmp_lt_i32 s18, 31
	s_cbranch_scc1 .LBB58_611
; %bb.609:
	v_add3_u32 v1, v132, 0, 0x1e0
	v_mov_b32_e32 v130, 29
	s_mov_b32 s1, 30
	s_inst_prefetch 0x1
	.p2align	6
.LBB58_610:                             ; =>This Inner Loop Header: Depth=1
	s_waitcnt lgkmcnt(0)
	v_cmp_gt_f64_e32 vcc_lo, 0, v[124:125]
	v_cmp_gt_f64_e64 s0, 0, v[122:123]
	ds_read2_b64 v[137:140], v1 offset1:1
	v_xor_b32_e32 v132, 0x80000000, v123
	v_xor_b32_e32 v142, 0x80000000, v125
	v_mov_b32_e32 v131, v122
	v_mov_b32_e32 v141, v124
	v_add_nc_u32_e32 v1, 16, v1
	s_waitcnt lgkmcnt(0)
	v_xor_b32_e32 v144, 0x80000000, v140
	v_cndmask_b32_e64 v132, v123, v132, s0
	v_cndmask_b32_e32 v142, v125, v142, vcc_lo
	v_cmp_gt_f64_e32 vcc_lo, 0, v[139:140]
	v_cmp_gt_f64_e64 s0, 0, v[137:138]
	v_mov_b32_e32 v143, v139
	v_add_f64 v[131:132], v[131:132], v[141:142]
	v_xor_b32_e32 v142, 0x80000000, v138
	v_mov_b32_e32 v141, v137
	v_cndmask_b32_e32 v144, v140, v144, vcc_lo
	v_cndmask_b32_e64 v142, v138, v142, s0
	v_add_f64 v[141:142], v[141:142], v[143:144]
	v_cmp_lt_f64_e32 vcc_lo, v[131:132], v[141:142]
	v_cndmask_b32_e32 v123, v123, v138, vcc_lo
	v_cndmask_b32_e32 v122, v122, v137, vcc_lo
	;; [unrolled: 1-line block ×4, first 2 shown]
	v_cndmask_b32_e64 v130, v130, s1, vcc_lo
	s_add_i32 s1, s1, 1
	s_cmp_lg_u32 s18, s1
	s_cbranch_scc1 .LBB58_610
.LBB58_611:
	s_inst_prefetch 0x2
	s_waitcnt lgkmcnt(0)
	v_cmp_eq_f64_e32 vcc_lo, 0, v[122:123]
	v_cmp_eq_f64_e64 s0, 0, v[124:125]
	s_and_b32 s0, vcc_lo, s0
	s_and_saveexec_b32 s1, s0
	s_xor_b32 s0, exec_lo, s1
; %bb.612:
	v_cmp_ne_u32_e32 vcc_lo, 0, v135
	v_cndmask_b32_e32 v135, 30, v135, vcc_lo
; %bb.613:
	s_andn2_saveexec_b32 s0, s0
	s_cbranch_execz .LBB58_619
; %bb.614:
	v_cmp_ngt_f64_e64 s1, |v[122:123]|, |v[124:125]|
	s_and_saveexec_b32 s2, s1
	s_xor_b32 s1, exec_lo, s2
	s_cbranch_execz .LBB58_616
; %bb.615:
	v_div_scale_f64 v[131:132], null, v[124:125], v[124:125], v[122:123]
	v_div_scale_f64 v[141:142], vcc_lo, v[122:123], v[124:125], v[122:123]
	v_rcp_f64_e32 v[137:138], v[131:132]
	v_fma_f64 v[139:140], -v[131:132], v[137:138], 1.0
	v_fma_f64 v[137:138], v[137:138], v[139:140], v[137:138]
	v_fma_f64 v[139:140], -v[131:132], v[137:138], 1.0
	v_fma_f64 v[137:138], v[137:138], v[139:140], v[137:138]
	v_mul_f64 v[139:140], v[141:142], v[137:138]
	v_fma_f64 v[131:132], -v[131:132], v[139:140], v[141:142]
	v_div_fmas_f64 v[131:132], v[131:132], v[137:138], v[139:140]
	v_div_fixup_f64 v[131:132], v[131:132], v[124:125], v[122:123]
	v_fma_f64 v[122:123], v[122:123], v[131:132], v[124:125]
	v_div_scale_f64 v[124:125], null, v[122:123], v[122:123], 1.0
	v_rcp_f64_e32 v[137:138], v[124:125]
	v_fma_f64 v[139:140], -v[124:125], v[137:138], 1.0
	v_fma_f64 v[137:138], v[137:138], v[139:140], v[137:138]
	v_fma_f64 v[139:140], -v[124:125], v[137:138], 1.0
	v_fma_f64 v[137:138], v[137:138], v[139:140], v[137:138]
	v_div_scale_f64 v[139:140], vcc_lo, 1.0, v[122:123], 1.0
	v_mul_f64 v[141:142], v[139:140], v[137:138]
	v_fma_f64 v[124:125], -v[124:125], v[141:142], v[139:140]
	v_div_fmas_f64 v[124:125], v[124:125], v[137:138], v[141:142]
	v_div_fixup_f64 v[124:125], v[124:125], v[122:123], 1.0
	v_mul_f64 v[122:123], v[131:132], v[124:125]
	v_xor_b32_e32 v125, 0x80000000, v125
.LBB58_616:
	s_andn2_saveexec_b32 s1, s1
	s_cbranch_execz .LBB58_618
; %bb.617:
	v_div_scale_f64 v[131:132], null, v[122:123], v[122:123], v[124:125]
	v_div_scale_f64 v[141:142], vcc_lo, v[124:125], v[122:123], v[124:125]
	v_rcp_f64_e32 v[137:138], v[131:132]
	v_fma_f64 v[139:140], -v[131:132], v[137:138], 1.0
	v_fma_f64 v[137:138], v[137:138], v[139:140], v[137:138]
	v_fma_f64 v[139:140], -v[131:132], v[137:138], 1.0
	v_fma_f64 v[137:138], v[137:138], v[139:140], v[137:138]
	v_mul_f64 v[139:140], v[141:142], v[137:138]
	v_fma_f64 v[131:132], -v[131:132], v[139:140], v[141:142]
	v_div_fmas_f64 v[131:132], v[131:132], v[137:138], v[139:140]
	v_div_fixup_f64 v[131:132], v[131:132], v[122:123], v[124:125]
	v_fma_f64 v[122:123], v[124:125], v[131:132], v[122:123]
	v_div_scale_f64 v[124:125], null, v[122:123], v[122:123], 1.0
	v_rcp_f64_e32 v[137:138], v[124:125]
	v_fma_f64 v[139:140], -v[124:125], v[137:138], 1.0
	v_fma_f64 v[137:138], v[137:138], v[139:140], v[137:138]
	v_fma_f64 v[139:140], -v[124:125], v[137:138], 1.0
	v_fma_f64 v[137:138], v[137:138], v[139:140], v[137:138]
	v_div_scale_f64 v[139:140], vcc_lo, 1.0, v[122:123], 1.0
	v_mul_f64 v[141:142], v[139:140], v[137:138]
	v_fma_f64 v[124:125], -v[124:125], v[141:142], v[139:140]
	v_div_fmas_f64 v[124:125], v[124:125], v[137:138], v[141:142]
	v_div_fixup_f64 v[122:123], v[124:125], v[122:123], 1.0
	v_mul_f64 v[124:125], v[131:132], -v[122:123]
.LBB58_618:
	s_or_b32 exec_lo, exec_lo, s1
.LBB58_619:
	s_or_b32 exec_lo, exec_lo, s0
	v_mov_b32_e32 v131, 29
	s_mov_b32 s0, exec_lo
	v_cmpx_ne_u32_e64 v136, v130
	s_cbranch_execz .LBB58_625
; %bb.620:
	s_mov_b32 s1, exec_lo
	v_cmpx_eq_u32_e32 29, v136
	s_cbranch_execz .LBB58_624
; %bb.621:
	v_cmp_ne_u32_e32 vcc_lo, 29, v130
	s_xor_b32 s2, s16, -1
	s_and_b32 s3, s2, vcc_lo
	s_and_saveexec_b32 s2, s3
	s_cbranch_execz .LBB58_623
; %bb.622:
	v_ashrrev_i32_e32 v131, 31, v130
	v_lshlrev_b64 v[0:1], 2, v[130:131]
	v_add_co_u32 v0, vcc_lo, v128, v0
	v_add_co_ci_u32_e64 v1, null, v129, v1, vcc_lo
	s_clause 0x1
	global_load_dword v131, v[0:1], off
	global_load_dword v132, v[128:129], off offset:116
	s_waitcnt vmcnt(1)
	global_store_dword v[128:129], v131, off offset:116
	s_waitcnt vmcnt(0)
	global_store_dword v[0:1], v132, off
.LBB58_623:
	s_or_b32 exec_lo, exec_lo, s2
	v_mov_b32_e32 v136, v130
	v_mov_b32_e32 v0, v130
.LBB58_624:
	s_or_b32 exec_lo, exec_lo, s1
	v_mov_b32_e32 v131, v136
.LBB58_625:
	s_or_b32 exec_lo, exec_lo, s0
	s_mov_b32 s0, exec_lo
	s_waitcnt_vscnt null, 0x0
	s_barrier
	buffer_gl0_inv
	v_cmpx_lt_i32_e32 29, v131
	s_cbranch_execz .LBB58_627
; %bb.626:
	v_mul_f64 v[128:129], v[124:125], v[4:5]
	v_mul_f64 v[4:5], v[122:123], v[4:5]
	v_fma_f64 v[122:123], v[122:123], v[2:3], -v[128:129]
	v_fma_f64 v[4:5], v[124:125], v[2:3], v[4:5]
	v_mov_b32_e32 v2, v122
	v_mov_b32_e32 v3, v123
.LBB58_627:
	s_or_b32 exec_lo, exec_lo, s0
	v_ashrrev_i32_e32 v132, 31, v131
	s_mov_b32 s0, exec_lo
	s_barrier
	buffer_gl0_inv
	v_cmpx_gt_i32_e32 30, v131
	s_cbranch_execz .LBB58_629
; %bb.628:
	v_mul_lo_u32 v1, s15, v126
	v_mul_lo_u32 v124, s14, v127
	v_mad_u64_u32 v[122:123], null, s14, v126, 0
	s_lshl_b64 s[2:3], s[12:13], 2
	v_add3_u32 v0, v0, s17, 1
	v_add3_u32 v123, v123, v124, v1
	v_lshlrev_b64 v[122:123], 2, v[122:123]
	v_add_co_u32 v1, vcc_lo, s10, v122
	v_add_co_ci_u32_e64 v124, null, s11, v123, vcc_lo
	v_lshlrev_b64 v[122:123], 2, v[131:132]
	v_add_co_u32 v1, vcc_lo, v1, s2
	v_add_co_ci_u32_e64 v124, null, s3, v124, vcc_lo
	v_add_co_u32 v122, vcc_lo, v1, v122
	v_add_co_ci_u32_e64 v123, null, v124, v123, vcc_lo
	global_store_dword v[122:123], v0, off
.LBB58_629:
	s_or_b32 exec_lo, exec_lo, s0
	s_mov_b32 s1, exec_lo
	v_cmpx_eq_u32_e32 0, v131
	s_cbranch_execz .LBB58_632
; %bb.630:
	v_lshlrev_b64 v[0:1], 2, v[126:127]
	v_cmp_ne_u32_e64 s0, 0, v135
	v_add_co_u32 v0, vcc_lo, s4, v0
	v_add_co_ci_u32_e64 v1, null, s5, v1, vcc_lo
	global_load_dword v122, v[0:1], off
	s_waitcnt vmcnt(0)
	v_cmp_eq_u32_e32 vcc_lo, 0, v122
	s_and_b32 s0, vcc_lo, s0
	s_and_b32 exec_lo, exec_lo, s0
	s_cbranch_execz .LBB58_632
; %bb.631:
	v_add_nc_u32_e32 v122, s17, v135
	global_store_dword v[0:1], v122, off
.LBB58_632:
	s_or_b32 exec_lo, exec_lo, s1
	v_add3_u32 v0, s6, s6, v131
	v_lshlrev_b64 v[122:123], 4, v[131:132]
	v_ashrrev_i32_e32 v1, 31, v0
	v_add_nc_u32_e32 v124, s6, v0
	v_add_co_u32 v122, vcc_lo, v133, v122
	v_add_co_ci_u32_e64 v123, null, v134, v123, vcc_lo
	v_lshlrev_b64 v[0:1], 4, v[0:1]
	v_add_co_u32 v128, vcc_lo, v122, s8
	v_ashrrev_i32_e32 v125, 31, v124
	v_add_co_ci_u32_e64 v129, null, s9, v123, vcc_lo
	v_add_co_u32 v0, vcc_lo, v133, v0
	v_add_nc_u32_e32 v126, s6, v124
	v_add_co_ci_u32_e64 v1, null, v134, v1, vcc_lo
	global_store_dwordx4 v[122:123], v[114:117], off
	v_lshlrev_b64 v[114:115], 4, v[124:125]
	global_store_dwordx4 v[128:129], v[110:113], off
	global_store_dwordx4 v[0:1], v[118:121], off
	v_add_nc_u32_e32 v110, s6, v126
	v_ashrrev_i32_e32 v127, 31, v126
	v_add_co_u32 v112, vcc_lo, v133, v114
	v_add_nc_u32_e32 v114, s6, v110
	v_lshlrev_b64 v[0:1], 4, v[126:127]
	v_ashrrev_i32_e32 v111, 31, v110
	v_add_co_ci_u32_e64 v113, null, v134, v115, vcc_lo
	v_add_nc_u32_e32 v116, s6, v114
	v_ashrrev_i32_e32 v115, 31, v114
	v_add_co_u32 v0, vcc_lo, v133, v0
	v_add_co_ci_u32_e64 v1, null, v134, v1, vcc_lo
	v_ashrrev_i32_e32 v117, 31, v116
	v_lshlrev_b64 v[110:111], 4, v[110:111]
	global_store_dwordx4 v[112:113], v[106:109], off
	global_store_dwordx4 v[0:1], v[102:105], off
	v_lshlrev_b64 v[0:1], 4, v[114:115]
	v_add_nc_u32_e32 v106, s6, v116
	v_lshlrev_b64 v[104:105], 4, v[116:117]
	v_add_co_u32 v102, vcc_lo, v133, v110
	v_add_co_ci_u32_e64 v103, null, v134, v111, vcc_lo
	v_add_co_u32 v0, vcc_lo, v133, v0
	v_add_co_ci_u32_e64 v1, null, v134, v1, vcc_lo
	v_add_co_u32 v104, vcc_lo, v133, v104
	v_add_nc_u32_e32 v108, s6, v106
	v_add_co_ci_u32_e64 v105, null, v134, v105, vcc_lo
	v_ashrrev_i32_e32 v107, 31, v106
	global_store_dwordx4 v[102:103], v[98:101], off
	global_store_dwordx4 v[0:1], v[94:97], off
	global_store_dwordx4 v[104:105], v[90:93], off
	v_add_nc_u32_e32 v90, s6, v108
	v_ashrrev_i32_e32 v109, 31, v108
	v_lshlrev_b64 v[98:99], 4, v[106:107]
	v_add_nc_u32_e32 v94, s6, v90
	v_lshlrev_b64 v[0:1], 4, v[108:109]
	v_ashrrev_i32_e32 v91, 31, v90
	v_add_co_u32 v92, vcc_lo, v133, v98
	v_add_nc_u32_e32 v96, s6, v94
	v_add_co_ci_u32_e64 v93, null, v134, v99, vcc_lo
	v_add_co_u32 v0, vcc_lo, v133, v0
	v_ashrrev_i32_e32 v95, 31, v94
	v_add_co_ci_u32_e64 v1, null, v134, v1, vcc_lo
	v_ashrrev_i32_e32 v97, 31, v96
	v_lshlrev_b64 v[90:91], 4, v[90:91]
	global_store_dwordx4 v[92:93], v[86:89], off
	global_store_dwordx4 v[0:1], v[82:85], off
	v_lshlrev_b64 v[0:1], 4, v[94:95]
	v_add_nc_u32_e32 v86, s6, v96
	v_lshlrev_b64 v[84:85], 4, v[96:97]
	v_add_co_u32 v82, vcc_lo, v133, v90
	v_add_co_ci_u32_e64 v83, null, v134, v91, vcc_lo
	v_add_co_u32 v0, vcc_lo, v133, v0
	v_add_co_ci_u32_e64 v1, null, v134, v1, vcc_lo
	v_add_co_u32 v84, vcc_lo, v133, v84
	v_add_nc_u32_e32 v88, s6, v86
	v_add_co_ci_u32_e64 v85, null, v134, v85, vcc_lo
	v_ashrrev_i32_e32 v87, 31, v86
	global_store_dwordx4 v[82:83], v[78:81], off
	global_store_dwordx4 v[0:1], v[74:77], off
	global_store_dwordx4 v[84:85], v[70:73], off
	v_add_nc_u32_e32 v70, s6, v88
	v_ashrrev_i32_e32 v89, 31, v88
	v_lshlrev_b64 v[78:79], 4, v[86:87]
	v_add_nc_u32_e32 v74, s6, v70
	v_lshlrev_b64 v[0:1], 4, v[88:89]
	v_ashrrev_i32_e32 v71, 31, v70
	v_add_co_u32 v72, vcc_lo, v133, v78
	v_add_nc_u32_e32 v76, s6, v74
	v_add_co_ci_u32_e64 v73, null, v134, v79, vcc_lo
	v_add_co_u32 v0, vcc_lo, v133, v0
	v_ashrrev_i32_e32 v75, 31, v74
	;; [unrolled: 30-line block ×3, first 2 shown]
	v_add_co_ci_u32_e64 v1, null, v134, v1, vcc_lo
	v_ashrrev_i32_e32 v57, 31, v56
	v_lshlrev_b64 v[50:51], 4, v[50:51]
	global_store_dwordx4 v[52:53], v[46:49], off
	global_store_dwordx4 v[0:1], v[42:45], off
	v_lshlrev_b64 v[0:1], 4, v[54:55]
	v_add_nc_u32_e32 v46, s6, v56
	v_lshlrev_b64 v[44:45], 4, v[56:57]
	v_add_co_u32 v42, vcc_lo, v133, v50
	v_add_co_ci_u32_e64 v43, null, v134, v51, vcc_lo
	v_add_co_u32 v0, vcc_lo, v133, v0
	v_add_nc_u32_e32 v48, s6, v46
	v_add_co_ci_u32_e64 v1, null, v134, v1, vcc_lo
	v_add_co_u32 v44, vcc_lo, v133, v44
	v_ashrrev_i32_e32 v47, 31, v46
	v_add_co_ci_u32_e64 v45, null, v134, v45, vcc_lo
	v_ashrrev_i32_e32 v49, 31, v48
	global_store_dwordx4 v[42:43], v[38:41], off
	v_lshlrev_b64 v[38:39], 4, v[46:47]
	global_store_dwordx4 v[0:1], v[34:37], off
	global_store_dwordx4 v[44:45], v[30:33], off
	v_add_nc_u32_e32 v30, s6, v48
	v_lshlrev_b64 v[0:1], 4, v[48:49]
	v_add_co_u32 v32, vcc_lo, v133, v38
	v_add_nc_u32_e32 v34, s6, v30
	v_add_co_ci_u32_e64 v33, null, v134, v39, vcc_lo
	v_add_co_u32 v0, vcc_lo, v133, v0
	v_add_co_ci_u32_e64 v1, null, v134, v1, vcc_lo
	v_add_nc_u32_e32 v36, s6, v34
	v_ashrrev_i32_e32 v31, 31, v30
	global_store_dwordx4 v[32:33], v[26:29], off
	global_store_dwordx4 v[0:1], v[22:25], off
	v_ashrrev_i32_e32 v35, 31, v34
	v_add_nc_u32_e32 v22, s6, v36
	v_lshlrev_b64 v[26:27], 4, v[30:31]
	v_ashrrev_i32_e32 v37, 31, v36
	v_lshlrev_b64 v[0:1], 4, v[34:35]
	v_add_nc_u32_e32 v28, s6, v22
	v_ashrrev_i32_e32 v23, 31, v22
	v_add_co_u32 v24, vcc_lo, v133, v26
	v_add_co_ci_u32_e64 v25, null, v134, v27, vcc_lo
	v_ashrrev_i32_e32 v29, 31, v28
	v_lshlrev_b64 v[26:27], 4, v[36:37]
	v_lshlrev_b64 v[22:23], 4, v[22:23]
	v_add_co_u32 v0, vcc_lo, v133, v0
	v_lshlrev_b64 v[28:29], 4, v[28:29]
	v_add_co_ci_u32_e64 v1, null, v134, v1, vcc_lo
	v_add_co_u32 v26, vcc_lo, v133, v26
	v_add_co_ci_u32_e64 v27, null, v134, v27, vcc_lo
	v_add_co_u32 v22, vcc_lo, v133, v22
	;; [unrolled: 2-line block ×3, first 2 shown]
	v_add_co_ci_u32_e64 v29, null, v134, v29, vcc_lo
	global_store_dwordx4 v[24:25], v[18:21], off
	global_store_dwordx4 v[0:1], v[14:17], off
	;; [unrolled: 1-line block ×5, first 2 shown]
.LBB58_633:
	s_endpgm
	.section	.rodata,"a",@progbits
	.p2align	6, 0x0
	.amdhsa_kernel _ZN9rocsolver6v33100L18getf2_small_kernelILi30E19rocblas_complex_numIdEiiPS3_EEvT1_T3_lS5_lPS5_llPT2_S5_S5_S7_l
		.amdhsa_group_segment_fixed_size 0
		.amdhsa_private_segment_fixed_size 0
		.amdhsa_kernarg_size 352
		.amdhsa_user_sgpr_count 6
		.amdhsa_user_sgpr_private_segment_buffer 1
		.amdhsa_user_sgpr_dispatch_ptr 0
		.amdhsa_user_sgpr_queue_ptr 0
		.amdhsa_user_sgpr_kernarg_segment_ptr 1
		.amdhsa_user_sgpr_dispatch_id 0
		.amdhsa_user_sgpr_flat_scratch_init 0
		.amdhsa_user_sgpr_private_segment_size 0
		.amdhsa_wavefront_size32 1
		.amdhsa_uses_dynamic_stack 0
		.amdhsa_system_sgpr_private_segment_wavefront_offset 0
		.amdhsa_system_sgpr_workgroup_id_x 1
		.amdhsa_system_sgpr_workgroup_id_y 1
		.amdhsa_system_sgpr_workgroup_id_z 0
		.amdhsa_system_sgpr_workgroup_info 0
		.amdhsa_system_vgpr_workitem_id 1
		.amdhsa_next_free_vgpr 155
		.amdhsa_next_free_sgpr 19
		.amdhsa_reserve_vcc 1
		.amdhsa_reserve_flat_scratch 0
		.amdhsa_float_round_mode_32 0
		.amdhsa_float_round_mode_16_64 0
		.amdhsa_float_denorm_mode_32 3
		.amdhsa_float_denorm_mode_16_64 3
		.amdhsa_dx10_clamp 1
		.amdhsa_ieee_mode 1
		.amdhsa_fp16_overflow 0
		.amdhsa_workgroup_processor_mode 1
		.amdhsa_memory_ordered 1
		.amdhsa_forward_progress 1
		.amdhsa_shared_vgpr_count 0
		.amdhsa_exception_fp_ieee_invalid_op 0
		.amdhsa_exception_fp_denorm_src 0
		.amdhsa_exception_fp_ieee_div_zero 0
		.amdhsa_exception_fp_ieee_overflow 0
		.amdhsa_exception_fp_ieee_underflow 0
		.amdhsa_exception_fp_ieee_inexact 0
		.amdhsa_exception_int_div_zero 0
	.end_amdhsa_kernel
	.section	.text._ZN9rocsolver6v33100L18getf2_small_kernelILi30E19rocblas_complex_numIdEiiPS3_EEvT1_T3_lS5_lPS5_llPT2_S5_S5_S7_l,"axG",@progbits,_ZN9rocsolver6v33100L18getf2_small_kernelILi30E19rocblas_complex_numIdEiiPS3_EEvT1_T3_lS5_lPS5_llPT2_S5_S5_S7_l,comdat
.Lfunc_end58:
	.size	_ZN9rocsolver6v33100L18getf2_small_kernelILi30E19rocblas_complex_numIdEiiPS3_EEvT1_T3_lS5_lPS5_llPT2_S5_S5_S7_l, .Lfunc_end58-_ZN9rocsolver6v33100L18getf2_small_kernelILi30E19rocblas_complex_numIdEiiPS3_EEvT1_T3_lS5_lPS5_llPT2_S5_S5_S7_l
                                        ; -- End function
	.set _ZN9rocsolver6v33100L18getf2_small_kernelILi30E19rocblas_complex_numIdEiiPS3_EEvT1_T3_lS5_lPS5_llPT2_S5_S5_S7_l.num_vgpr, 155
	.set _ZN9rocsolver6v33100L18getf2_small_kernelILi30E19rocblas_complex_numIdEiiPS3_EEvT1_T3_lS5_lPS5_llPT2_S5_S5_S7_l.num_agpr, 0
	.set _ZN9rocsolver6v33100L18getf2_small_kernelILi30E19rocblas_complex_numIdEiiPS3_EEvT1_T3_lS5_lPS5_llPT2_S5_S5_S7_l.numbered_sgpr, 19
	.set _ZN9rocsolver6v33100L18getf2_small_kernelILi30E19rocblas_complex_numIdEiiPS3_EEvT1_T3_lS5_lPS5_llPT2_S5_S5_S7_l.num_named_barrier, 0
	.set _ZN9rocsolver6v33100L18getf2_small_kernelILi30E19rocblas_complex_numIdEiiPS3_EEvT1_T3_lS5_lPS5_llPT2_S5_S5_S7_l.private_seg_size, 0
	.set _ZN9rocsolver6v33100L18getf2_small_kernelILi30E19rocblas_complex_numIdEiiPS3_EEvT1_T3_lS5_lPS5_llPT2_S5_S5_S7_l.uses_vcc, 1
	.set _ZN9rocsolver6v33100L18getf2_small_kernelILi30E19rocblas_complex_numIdEiiPS3_EEvT1_T3_lS5_lPS5_llPT2_S5_S5_S7_l.uses_flat_scratch, 0
	.set _ZN9rocsolver6v33100L18getf2_small_kernelILi30E19rocblas_complex_numIdEiiPS3_EEvT1_T3_lS5_lPS5_llPT2_S5_S5_S7_l.has_dyn_sized_stack, 0
	.set _ZN9rocsolver6v33100L18getf2_small_kernelILi30E19rocblas_complex_numIdEiiPS3_EEvT1_T3_lS5_lPS5_llPT2_S5_S5_S7_l.has_recursion, 0
	.set _ZN9rocsolver6v33100L18getf2_small_kernelILi30E19rocblas_complex_numIdEiiPS3_EEvT1_T3_lS5_lPS5_llPT2_S5_S5_S7_l.has_indirect_call, 0
	.section	.AMDGPU.csdata,"",@progbits
; Kernel info:
; codeLenInByte = 61984
; TotalNumSgprs: 21
; NumVgprs: 155
; ScratchSize: 0
; MemoryBound: 0
; FloatMode: 240
; IeeeMode: 1
; LDSByteSize: 0 bytes/workgroup (compile time only)
; SGPRBlocks: 0
; VGPRBlocks: 19
; NumSGPRsForWavesPerEU: 21
; NumVGPRsForWavesPerEU: 155
; Occupancy: 6
; WaveLimiterHint : 0
; COMPUTE_PGM_RSRC2:SCRATCH_EN: 0
; COMPUTE_PGM_RSRC2:USER_SGPR: 6
; COMPUTE_PGM_RSRC2:TRAP_HANDLER: 0
; COMPUTE_PGM_RSRC2:TGID_X_EN: 1
; COMPUTE_PGM_RSRC2:TGID_Y_EN: 1
; COMPUTE_PGM_RSRC2:TGID_Z_EN: 0
; COMPUTE_PGM_RSRC2:TIDIG_COMP_CNT: 1
	.section	.text._ZN9rocsolver6v33100L23getf2_npvt_small_kernelILi30E19rocblas_complex_numIdEiiPS3_EEvT1_T3_lS5_lPT2_S5_S5_,"axG",@progbits,_ZN9rocsolver6v33100L23getf2_npvt_small_kernelILi30E19rocblas_complex_numIdEiiPS3_EEvT1_T3_lS5_lPT2_S5_S5_,comdat
	.globl	_ZN9rocsolver6v33100L23getf2_npvt_small_kernelILi30E19rocblas_complex_numIdEiiPS3_EEvT1_T3_lS5_lPT2_S5_S5_ ; -- Begin function _ZN9rocsolver6v33100L23getf2_npvt_small_kernelILi30E19rocblas_complex_numIdEiiPS3_EEvT1_T3_lS5_lPT2_S5_S5_
	.p2align	8
	.type	_ZN9rocsolver6v33100L23getf2_npvt_small_kernelILi30E19rocblas_complex_numIdEiiPS3_EEvT1_T3_lS5_lPT2_S5_S5_,@function
_ZN9rocsolver6v33100L23getf2_npvt_small_kernelILi30E19rocblas_complex_numIdEiiPS3_EEvT1_T3_lS5_lPT2_S5_S5_: ; @_ZN9rocsolver6v33100L23getf2_npvt_small_kernelILi30E19rocblas_complex_numIdEiiPS3_EEvT1_T3_lS5_lPT2_S5_S5_
; %bb.0:
	s_mov_b64 s[18:19], s[2:3]
	s_mov_b64 s[16:17], s[0:1]
	s_clause 0x1
	s_load_dword s0, s[4:5], 0x44
	s_load_dwordx2 s[12:13], s[4:5], 0x30
	s_add_u32 s16, s16, s8
	s_addc_u32 s17, s17, 0
	s_waitcnt lgkmcnt(0)
	s_lshr_b32 s14, s0, 16
	s_mov_b32 s0, exec_lo
	v_mad_u64_u32 v[242:243], null, s7, s14, v[1:2]
	v_cmpx_gt_i32_e64 s12, v242
	s_cbranch_execz .LBB59_275
; %bb.1:
	s_clause 0x2
	s_load_dwordx4 s[8:11], s[4:5], 0x20
	s_load_dword s6, s[4:5], 0x18
	s_load_dwordx4 s[0:3], s[4:5], 0x8
	v_ashrrev_i32_e32 v243, 31, v242
	s_mulk_i32 s14, 0x1e0
	v_mad_u32_u24 v248, 0x1e0, v1, 0
	s_waitcnt lgkmcnt(0)
	v_mul_lo_u32 v5, s9, v242
	v_mul_lo_u32 v7, s8, v243
	v_mad_u64_u32 v[2:3], null, s8, v242, 0
	v_add3_u32 v4, s6, s6, v0
	s_lshl_b64 s[2:3], s[2:3], 4
	s_ashr_i32 s7, s6, 31
	v_add_nc_u32_e32 v6, s6, v4
	v_add3_u32 v3, v3, v7, v5
	v_ashrrev_i32_e32 v5, 31, v4
	v_add_nc_u32_e32 v8, s6, v6
	v_lshlrev_b64 v[2:3], 4, v[2:3]
	v_ashrrev_i32_e32 v7, 31, v6
	v_lshlrev_b64 v[4:5], 4, v[4:5]
	v_ashrrev_i32_e32 v9, 31, v8
	v_add_nc_u32_e32 v10, s6, v8
	v_add_co_u32 v12, vcc_lo, s0, v2
	v_add_co_ci_u32_e64 v13, null, s1, v3, vcc_lo
	v_lshlrev_b64 v[2:3], 4, v[8:9]
	v_add_nc_u32_e32 v8, s6, v10
	v_add_co_u32 v14, vcc_lo, v12, s2
	v_lshlrev_b64 v[6:7], 4, v[6:7]
	v_add_co_ci_u32_e64 v15, null, s3, v13, vcc_lo
	v_ashrrev_i32_e32 v11, 31, v10
	v_add_nc_u32_e32 v12, s6, v8
	v_add_co_u32 v20, vcc_lo, v14, v4
	v_ashrrev_i32_e32 v9, 31, v8
	v_add_co_ci_u32_e64 v21, null, v15, v5, vcc_lo
	v_add_co_u32 v18, vcc_lo, v14, v6
	v_lshlrev_b64 v[10:11], 4, v[10:11]
	v_add_co_ci_u32_e64 v19, null, v15, v7, vcc_lo
	v_add_co_u32 v16, vcc_lo, v14, v2
	v_add_nc_u32_e32 v4, s6, v12
	v_add_co_ci_u32_e64 v17, null, v15, v3, vcc_lo
	v_lshlrev_b64 v[2:3], 4, v[8:9]
	v_ashrrev_i32_e32 v13, 31, v12
	v_ashrrev_i32_e32 v5, 31, v4
	v_add_nc_u32_e32 v8, s6, v4
	v_add_co_u32 v10, vcc_lo, v14, v10
	v_lshlrev_b64 v[6:7], 4, v[12:13]
	v_add_co_ci_u32_e64 v11, null, v15, v11, vcc_lo
	v_add_co_u32 v12, vcc_lo, v14, v2
	v_add_co_ci_u32_e64 v13, null, v15, v3, vcc_lo
	v_lshlrev_b64 v[2:3], 4, v[4:5]
	v_ashrrev_i32_e32 v9, 31, v8
	v_add_nc_u32_e32 v4, s6, v8
	v_add_co_u32 v22, vcc_lo, v14, v6
	v_add_co_ci_u32_e64 v23, null, v15, v7, vcc_lo
	v_lshlrev_b64 v[6:7], 4, v[8:9]
	v_ashrrev_i32_e32 v5, 31, v4
	v_add_nc_u32_e32 v8, s6, v4
	;; [unrolled: 5-line block ×18, first 2 shown]
	v_add_co_u32 v132, vcc_lo, v14, v2
	v_add_co_ci_u32_e64 v133, null, v15, v3, vcc_lo
	v_lshlrev_b64 v[2:3], 4, v[4:5]
	v_add_nc_u32_e32 v4, s6, v8
	v_ashrrev_i32_e32 v9, 31, v8
	v_add_co_u32 v134, vcc_lo, v14, v6
	v_add_co_ci_u32_e64 v135, null, v15, v7, vcc_lo
	v_ashrrev_i32_e32 v5, 31, v4
	v_lshlrev_b64 v[6:7], 4, v[8:9]
	v_add_co_u32 v8, vcc_lo, v14, v2
	v_add_co_ci_u32_e64 v9, null, v15, v3, vcc_lo
	v_lshlrev_b64 v[2:3], 4, v[4:5]
	v_add_co_u32 v136, vcc_lo, v14, v6
	v_lshlrev_b32_e32 v6, 4, v0
	v_add_co_ci_u32_e64 v137, null, v15, v7, vcc_lo
	v_add_co_u32 v138, vcc_lo, v14, v2
	v_add_co_ci_u32_e64 v139, null, v15, v3, vcc_lo
	v_add_co_u32 v244, vcc_lo, v14, v6
	v_add_co_ci_u32_e64 v245, null, 0, v15, vcc_lo
	s_lshl_b64 s[0:1], s[6:7], 4
	v_add_nc_u32_e32 v4, s6, v4
	v_add_co_u32 v249, vcc_lo, v244, s0
	v_add_co_ci_u32_e64 v250, null, s1, v245, vcc_lo
	s_clause 0x1
	global_load_dwordx4 v[118:121], v[244:245], off
	global_load_dwordx4 v[114:117], v[249:250], off
	buffer_store_dword v20, off, s[16:19], 0 offset:16 ; 4-byte Folded Spill
	buffer_store_dword v21, off, s[16:19], 0 offset:20 ; 4-byte Folded Spill
	v_ashrrev_i32_e32 v5, 31, v4
	v_cmp_ne_u32_e64 s1, 0, v0
	v_cmp_eq_u32_e64 s0, 0, v0
	v_lshlrev_b64 v[2:3], 4, v[4:5]
	v_add_co_u32 v2, vcc_lo, v14, v2
	v_add_co_ci_u32_e64 v3, null, v15, v3, vcc_lo
	global_load_dwordx4 v[110:113], v[20:21], off
	buffer_store_dword v18, off, s[16:19], 0 offset:8 ; 4-byte Folded Spill
	buffer_store_dword v19, off, s[16:19], 0 offset:12 ; 4-byte Folded Spill
	global_load_dwordx4 v[106:109], v[18:19], off
	buffer_store_dword v16, off, s[16:19], 0 ; 4-byte Folded Spill
	buffer_store_dword v17, off, s[16:19], 0 offset:4 ; 4-byte Folded Spill
	global_load_dwordx4 v[102:105], v[16:17], off
	buffer_store_dword v10, off, s[16:19], 0 offset:24 ; 4-byte Folded Spill
	buffer_store_dword v11, off, s[16:19], 0 offset:28 ; 4-byte Folded Spill
	global_load_dwordx4 v[98:101], v[10:11], off
	buffer_store_dword v12, off, s[16:19], 0 offset:32 ; 4-byte Folded Spill
	;; [unrolled: 3-line block ×16, first 2 shown]
	buffer_store_dword v125, off, s[16:19], 0 offset:148 ; 4-byte Folded Spill
	v_lshlrev_b32_e32 v122, 4, v1
	v_add3_u32 v1, 0, s14, v122
	global_load_dwordx4 v[38:41], v[124:125], off
	buffer_store_dword v126, off, s[16:19], 0 offset:152 ; 4-byte Folded Spill
	buffer_store_dword v127, off, s[16:19], 0 offset:156 ; 4-byte Folded Spill
	global_load_dwordx4 v[34:37], v[126:127], off
	buffer_store_dword v128, off, s[16:19], 0 offset:160 ; 4-byte Folded Spill
	buffer_store_dword v129, off, s[16:19], 0 offset:164 ; 4-byte Folded Spill
	;; [unrolled: 3-line block ×9, first 2 shown]
	global_load_dwordx4 v[2:5], v[2:3], off
	s_and_saveexec_b32 s3, s0
	s_cbranch_execz .LBB59_8
; %bb.2:
	s_waitcnt vmcnt(29)
	ds_write2_b64 v1, v[118:119], v[120:121] offset1:1
	s_waitcnt vmcnt(28)
	ds_write2_b64 v248, v[114:115], v[116:117] offset0:2 offset1:3
	s_waitcnt vmcnt(27)
	ds_write2_b64 v248, v[110:111], v[112:113] offset0:4 offset1:5
	;; [unrolled: 2-line block ×29, first 2 shown]
	ds_read2_b64 v[122:125], v1 offset1:1
	s_waitcnt lgkmcnt(0)
	v_cmp_neq_f64_e32 vcc_lo, 0, v[122:123]
	v_cmp_neq_f64_e64 s2, 0, v[124:125]
	s_or_b32 s2, vcc_lo, s2
	s_and_b32 exec_lo, exec_lo, s2
	s_cbranch_execz .LBB59_8
; %bb.3:
	v_cmp_ngt_f64_e64 s2, |v[122:123]|, |v[124:125]|
                                        ; implicit-def: $vgpr126_vgpr127
	s_and_saveexec_b32 s4, s2
	s_xor_b32 s2, exec_lo, s4
                                        ; implicit-def: $vgpr128_vgpr129
	s_cbranch_execz .LBB59_5
; %bb.4:
	v_div_scale_f64 v[126:127], null, v[124:125], v[124:125], v[122:123]
	v_div_scale_f64 v[132:133], vcc_lo, v[122:123], v[124:125], v[122:123]
	v_rcp_f64_e32 v[128:129], v[126:127]
	v_fma_f64 v[130:131], -v[126:127], v[128:129], 1.0
	v_fma_f64 v[128:129], v[128:129], v[130:131], v[128:129]
	v_fma_f64 v[130:131], -v[126:127], v[128:129], 1.0
	v_fma_f64 v[128:129], v[128:129], v[130:131], v[128:129]
	v_mul_f64 v[130:131], v[132:133], v[128:129]
	v_fma_f64 v[126:127], -v[126:127], v[130:131], v[132:133]
	v_div_fmas_f64 v[126:127], v[126:127], v[128:129], v[130:131]
	v_div_fixup_f64 v[126:127], v[126:127], v[124:125], v[122:123]
	v_fma_f64 v[122:123], v[122:123], v[126:127], v[124:125]
	v_div_scale_f64 v[124:125], null, v[122:123], v[122:123], 1.0
	v_rcp_f64_e32 v[128:129], v[124:125]
	v_fma_f64 v[130:131], -v[124:125], v[128:129], 1.0
	v_fma_f64 v[128:129], v[128:129], v[130:131], v[128:129]
	v_fma_f64 v[130:131], -v[124:125], v[128:129], 1.0
	v_fma_f64 v[128:129], v[128:129], v[130:131], v[128:129]
	v_div_scale_f64 v[130:131], vcc_lo, 1.0, v[122:123], 1.0
	v_mul_f64 v[132:133], v[130:131], v[128:129]
	v_fma_f64 v[124:125], -v[124:125], v[132:133], v[130:131]
	v_div_fmas_f64 v[124:125], v[124:125], v[128:129], v[132:133]
	v_div_fixup_f64 v[128:129], v[124:125], v[122:123], 1.0
                                        ; implicit-def: $vgpr122_vgpr123
	v_mul_f64 v[126:127], v[126:127], v[128:129]
	v_xor_b32_e32 v129, 0x80000000, v129
.LBB59_5:
	s_andn2_saveexec_b32 s2, s2
	s_cbranch_execz .LBB59_7
; %bb.6:
	v_div_scale_f64 v[126:127], null, v[122:123], v[122:123], v[124:125]
	v_div_scale_f64 v[132:133], vcc_lo, v[124:125], v[122:123], v[124:125]
	v_rcp_f64_e32 v[128:129], v[126:127]
	v_fma_f64 v[130:131], -v[126:127], v[128:129], 1.0
	v_fma_f64 v[128:129], v[128:129], v[130:131], v[128:129]
	v_fma_f64 v[130:131], -v[126:127], v[128:129], 1.0
	v_fma_f64 v[128:129], v[128:129], v[130:131], v[128:129]
	v_mul_f64 v[130:131], v[132:133], v[128:129]
	v_fma_f64 v[126:127], -v[126:127], v[130:131], v[132:133]
	v_div_fmas_f64 v[126:127], v[126:127], v[128:129], v[130:131]
	v_div_fixup_f64 v[128:129], v[126:127], v[122:123], v[124:125]
	v_fma_f64 v[122:123], v[124:125], v[128:129], v[122:123]
	v_div_scale_f64 v[124:125], null, v[122:123], v[122:123], 1.0
	v_rcp_f64_e32 v[126:127], v[124:125]
	v_fma_f64 v[130:131], -v[124:125], v[126:127], 1.0
	v_fma_f64 v[126:127], v[126:127], v[130:131], v[126:127]
	v_fma_f64 v[130:131], -v[124:125], v[126:127], 1.0
	v_fma_f64 v[126:127], v[126:127], v[130:131], v[126:127]
	v_div_scale_f64 v[130:131], vcc_lo, 1.0, v[122:123], 1.0
	v_mul_f64 v[132:133], v[130:131], v[126:127]
	v_fma_f64 v[124:125], -v[124:125], v[132:133], v[130:131]
	v_div_fmas_f64 v[124:125], v[124:125], v[126:127], v[132:133]
	v_div_fixup_f64 v[126:127], v[124:125], v[122:123], 1.0
	v_mul_f64 v[128:129], v[128:129], -v[126:127]
.LBB59_7:
	s_or_b32 exec_lo, exec_lo, s2
	ds_write2_b64 v1, v[126:127], v[128:129] offset1:1
.LBB59_8:
	s_or_b32 exec_lo, exec_lo, s3
	s_waitcnt vmcnt(0) lgkmcnt(0)
	s_waitcnt_vscnt null, 0x0
	s_barrier
	buffer_gl0_inv
	ds_read2_b64 v[122:125], v1 offset1:1
	s_waitcnt lgkmcnt(0)
	buffer_store_dword v122, off, s[16:19], 0 offset:200 ; 4-byte Folded Spill
	buffer_store_dword v123, off, s[16:19], 0 offset:204 ; 4-byte Folded Spill
	;; [unrolled: 1-line block ×4, first 2 shown]
	s_and_saveexec_b32 s2, s1
	s_cbranch_execz .LBB59_10
; %bb.9:
	s_clause 0x3
	buffer_load_dword v122, off, s[16:19], 0 offset:200
	buffer_load_dword v123, off, s[16:19], 0 offset:204
	;; [unrolled: 1-line block ×4, first 2 shown]
	ds_read2_b64 v[128:131], v248 offset0:2 offset1:3
	s_waitcnt vmcnt(0)
	v_mul_f64 v[126:127], v[124:125], v[120:121]
	v_mul_f64 v[120:121], v[122:123], v[120:121]
	v_fma_f64 v[126:127], v[122:123], v[118:119], -v[126:127]
	v_fma_f64 v[120:121], v[124:125], v[118:119], v[120:121]
	s_waitcnt lgkmcnt(0)
	v_mul_f64 v[118:119], v[130:131], v[120:121]
	v_fma_f64 v[118:119], v[128:129], v[126:127], -v[118:119]
	v_mul_f64 v[128:129], v[128:129], v[120:121]
	v_add_f64 v[114:115], v[114:115], -v[118:119]
	v_fma_f64 v[128:129], v[130:131], v[126:127], v[128:129]
	v_add_f64 v[116:117], v[116:117], -v[128:129]
	ds_read2_b64 v[128:131], v248 offset0:4 offset1:5
	s_waitcnt lgkmcnt(0)
	v_mul_f64 v[118:119], v[130:131], v[120:121]
	v_fma_f64 v[118:119], v[128:129], v[126:127], -v[118:119]
	v_mul_f64 v[128:129], v[128:129], v[120:121]
	v_add_f64 v[110:111], v[110:111], -v[118:119]
	v_fma_f64 v[128:129], v[130:131], v[126:127], v[128:129]
	v_add_f64 v[112:113], v[112:113], -v[128:129]
	ds_read2_b64 v[128:131], v248 offset0:6 offset1:7
	;; [unrolled: 8-line block ×28, first 2 shown]
	s_waitcnt lgkmcnt(0)
	v_mul_f64 v[118:119], v[130:131], v[120:121]
	v_fma_f64 v[118:119], v[128:129], v[126:127], -v[118:119]
	v_mul_f64 v[128:129], v[128:129], v[120:121]
	v_add_f64 v[2:3], v[2:3], -v[118:119]
	v_fma_f64 v[128:129], v[130:131], v[126:127], v[128:129]
	v_mov_b32_e32 v118, v126
	v_mov_b32_e32 v119, v127
	v_add_f64 v[4:5], v[4:5], -v[128:129]
.LBB59_10:
	s_or_b32 exec_lo, exec_lo, s2
	s_mov_b32 s2, exec_lo
	s_waitcnt_vscnt null, 0x0
	s_barrier
	buffer_gl0_inv
	v_cmpx_eq_u32_e32 1, v0
	s_cbranch_execz .LBB59_17
; %bb.11:
	ds_write2_b64 v1, v[114:115], v[116:117] offset1:1
	ds_write2_b64 v248, v[110:111], v[112:113] offset0:4 offset1:5
	ds_write2_b64 v248, v[106:107], v[108:109] offset0:6 offset1:7
	;; [unrolled: 1-line block ×28, first 2 shown]
	ds_read2_b64 v[126:129], v1 offset1:1
	s_waitcnt lgkmcnt(0)
	v_cmp_neq_f64_e32 vcc_lo, 0, v[126:127]
	v_cmp_neq_f64_e64 s1, 0, v[128:129]
	s_or_b32 s1, vcc_lo, s1
	s_and_b32 exec_lo, exec_lo, s1
	s_cbranch_execz .LBB59_17
; %bb.12:
	v_cmp_ngt_f64_e64 s1, |v[126:127]|, |v[128:129]|
                                        ; implicit-def: $vgpr130_vgpr131
	s_and_saveexec_b32 s3, s1
	s_xor_b32 s1, exec_lo, s3
                                        ; implicit-def: $vgpr132_vgpr133
	s_cbranch_execz .LBB59_14
; %bb.13:
	v_div_scale_f64 v[130:131], null, v[128:129], v[128:129], v[126:127]
	v_div_scale_f64 v[136:137], vcc_lo, v[126:127], v[128:129], v[126:127]
	v_rcp_f64_e32 v[132:133], v[130:131]
	v_fma_f64 v[134:135], -v[130:131], v[132:133], 1.0
	v_fma_f64 v[132:133], v[132:133], v[134:135], v[132:133]
	v_fma_f64 v[134:135], -v[130:131], v[132:133], 1.0
	v_fma_f64 v[132:133], v[132:133], v[134:135], v[132:133]
	v_mul_f64 v[134:135], v[136:137], v[132:133]
	v_fma_f64 v[130:131], -v[130:131], v[134:135], v[136:137]
	v_div_fmas_f64 v[130:131], v[130:131], v[132:133], v[134:135]
	v_div_fixup_f64 v[130:131], v[130:131], v[128:129], v[126:127]
	v_fma_f64 v[126:127], v[126:127], v[130:131], v[128:129]
	v_div_scale_f64 v[128:129], null, v[126:127], v[126:127], 1.0
	v_rcp_f64_e32 v[132:133], v[128:129]
	v_fma_f64 v[134:135], -v[128:129], v[132:133], 1.0
	v_fma_f64 v[132:133], v[132:133], v[134:135], v[132:133]
	v_fma_f64 v[134:135], -v[128:129], v[132:133], 1.0
	v_fma_f64 v[132:133], v[132:133], v[134:135], v[132:133]
	v_div_scale_f64 v[134:135], vcc_lo, 1.0, v[126:127], 1.0
	v_mul_f64 v[136:137], v[134:135], v[132:133]
	v_fma_f64 v[128:129], -v[128:129], v[136:137], v[134:135]
	v_div_fmas_f64 v[128:129], v[128:129], v[132:133], v[136:137]
	v_div_fixup_f64 v[132:133], v[128:129], v[126:127], 1.0
                                        ; implicit-def: $vgpr126_vgpr127
	v_mul_f64 v[130:131], v[130:131], v[132:133]
	v_xor_b32_e32 v133, 0x80000000, v133
.LBB59_14:
	s_andn2_saveexec_b32 s1, s1
	s_cbranch_execz .LBB59_16
; %bb.15:
	v_div_scale_f64 v[130:131], null, v[126:127], v[126:127], v[128:129]
	v_div_scale_f64 v[136:137], vcc_lo, v[128:129], v[126:127], v[128:129]
	v_rcp_f64_e32 v[132:133], v[130:131]
	v_fma_f64 v[134:135], -v[130:131], v[132:133], 1.0
	v_fma_f64 v[132:133], v[132:133], v[134:135], v[132:133]
	v_fma_f64 v[134:135], -v[130:131], v[132:133], 1.0
	v_fma_f64 v[132:133], v[132:133], v[134:135], v[132:133]
	v_mul_f64 v[134:135], v[136:137], v[132:133]
	v_fma_f64 v[130:131], -v[130:131], v[134:135], v[136:137]
	v_div_fmas_f64 v[130:131], v[130:131], v[132:133], v[134:135]
	v_div_fixup_f64 v[132:133], v[130:131], v[126:127], v[128:129]
	v_fma_f64 v[126:127], v[128:129], v[132:133], v[126:127]
	v_div_scale_f64 v[128:129], null, v[126:127], v[126:127], 1.0
	v_rcp_f64_e32 v[130:131], v[128:129]
	v_fma_f64 v[134:135], -v[128:129], v[130:131], 1.0
	v_fma_f64 v[130:131], v[130:131], v[134:135], v[130:131]
	v_fma_f64 v[134:135], -v[128:129], v[130:131], 1.0
	v_fma_f64 v[130:131], v[130:131], v[134:135], v[130:131]
	v_div_scale_f64 v[134:135], vcc_lo, 1.0, v[126:127], 1.0
	v_mul_f64 v[136:137], v[134:135], v[130:131]
	v_fma_f64 v[128:129], -v[128:129], v[136:137], v[134:135]
	v_div_fmas_f64 v[128:129], v[128:129], v[130:131], v[136:137]
	v_div_fixup_f64 v[130:131], v[128:129], v[126:127], 1.0
	v_mul_f64 v[132:133], v[132:133], -v[130:131]
.LBB59_16:
	s_or_b32 exec_lo, exec_lo, s1
	ds_write2_b64 v1, v[130:131], v[132:133] offset1:1
.LBB59_17:
	s_or_b32 exec_lo, exec_lo, s2
	s_waitcnt lgkmcnt(0)
	s_barrier
	buffer_gl0_inv
	ds_read2_b64 v[126:129], v1 offset1:1
	s_mov_b32 s1, exec_lo
	v_cmpx_lt_u32_e32 1, v0
	s_cbranch_execz .LBB59_19
; %bb.18:
	s_waitcnt lgkmcnt(0)
	v_mul_f64 v[130:131], v[128:129], v[116:117]
	v_mul_f64 v[116:117], v[126:127], v[116:117]
	ds_read2_b64 v[132:135], v248 offset0:4 offset1:5
	v_fma_f64 v[130:131], v[126:127], v[114:115], -v[130:131]
	v_fma_f64 v[116:117], v[128:129], v[114:115], v[116:117]
	s_waitcnt lgkmcnt(0)
	v_mul_f64 v[114:115], v[134:135], v[116:117]
	v_fma_f64 v[114:115], v[132:133], v[130:131], -v[114:115]
	v_mul_f64 v[132:133], v[132:133], v[116:117]
	v_add_f64 v[110:111], v[110:111], -v[114:115]
	v_fma_f64 v[132:133], v[134:135], v[130:131], v[132:133]
	v_add_f64 v[112:113], v[112:113], -v[132:133]
	ds_read2_b64 v[132:135], v248 offset0:6 offset1:7
	s_waitcnt lgkmcnt(0)
	v_mul_f64 v[114:115], v[134:135], v[116:117]
	v_fma_f64 v[114:115], v[132:133], v[130:131], -v[114:115]
	v_mul_f64 v[132:133], v[132:133], v[116:117]
	v_add_f64 v[106:107], v[106:107], -v[114:115]
	v_fma_f64 v[132:133], v[134:135], v[130:131], v[132:133]
	v_add_f64 v[108:109], v[108:109], -v[132:133]
	ds_read2_b64 v[132:135], v248 offset0:8 offset1:9
	;; [unrolled: 8-line block ×27, first 2 shown]
	s_waitcnt lgkmcnt(0)
	v_mul_f64 v[114:115], v[134:135], v[116:117]
	v_fma_f64 v[114:115], v[132:133], v[130:131], -v[114:115]
	v_mul_f64 v[132:133], v[132:133], v[116:117]
	v_add_f64 v[2:3], v[2:3], -v[114:115]
	v_fma_f64 v[132:133], v[134:135], v[130:131], v[132:133]
	v_mov_b32_e32 v114, v130
	v_mov_b32_e32 v115, v131
	v_add_f64 v[4:5], v[4:5], -v[132:133]
.LBB59_19:
	s_or_b32 exec_lo, exec_lo, s1
	s_mov_b32 s2, exec_lo
	s_waitcnt lgkmcnt(0)
	s_barrier
	buffer_gl0_inv
	v_cmpx_eq_u32_e32 2, v0
	s_cbranch_execz .LBB59_26
; %bb.20:
	ds_write2_b64 v1, v[110:111], v[112:113] offset1:1
	ds_write2_b64 v248, v[106:107], v[108:109] offset0:6 offset1:7
	ds_write2_b64 v248, v[102:103], v[104:105] offset0:8 offset1:9
	;; [unrolled: 1-line block ×27, first 2 shown]
	ds_read2_b64 v[130:133], v1 offset1:1
	s_waitcnt lgkmcnt(0)
	v_cmp_neq_f64_e32 vcc_lo, 0, v[130:131]
	v_cmp_neq_f64_e64 s1, 0, v[132:133]
	s_or_b32 s1, vcc_lo, s1
	s_and_b32 exec_lo, exec_lo, s1
	s_cbranch_execz .LBB59_26
; %bb.21:
	v_cmp_ngt_f64_e64 s1, |v[130:131]|, |v[132:133]|
                                        ; implicit-def: $vgpr134_vgpr135
	s_and_saveexec_b32 s3, s1
	s_xor_b32 s1, exec_lo, s3
                                        ; implicit-def: $vgpr136_vgpr137
	s_cbranch_execz .LBB59_23
; %bb.22:
	v_div_scale_f64 v[134:135], null, v[132:133], v[132:133], v[130:131]
	v_div_scale_f64 v[140:141], vcc_lo, v[130:131], v[132:133], v[130:131]
	v_rcp_f64_e32 v[136:137], v[134:135]
	v_fma_f64 v[138:139], -v[134:135], v[136:137], 1.0
	v_fma_f64 v[136:137], v[136:137], v[138:139], v[136:137]
	v_fma_f64 v[138:139], -v[134:135], v[136:137], 1.0
	v_fma_f64 v[136:137], v[136:137], v[138:139], v[136:137]
	v_mul_f64 v[138:139], v[140:141], v[136:137]
	v_fma_f64 v[134:135], -v[134:135], v[138:139], v[140:141]
	v_div_fmas_f64 v[134:135], v[134:135], v[136:137], v[138:139]
	v_div_fixup_f64 v[134:135], v[134:135], v[132:133], v[130:131]
	v_fma_f64 v[130:131], v[130:131], v[134:135], v[132:133]
	v_div_scale_f64 v[132:133], null, v[130:131], v[130:131], 1.0
	v_rcp_f64_e32 v[136:137], v[132:133]
	v_fma_f64 v[138:139], -v[132:133], v[136:137], 1.0
	v_fma_f64 v[136:137], v[136:137], v[138:139], v[136:137]
	v_fma_f64 v[138:139], -v[132:133], v[136:137], 1.0
	v_fma_f64 v[136:137], v[136:137], v[138:139], v[136:137]
	v_div_scale_f64 v[138:139], vcc_lo, 1.0, v[130:131], 1.0
	v_mul_f64 v[140:141], v[138:139], v[136:137]
	v_fma_f64 v[132:133], -v[132:133], v[140:141], v[138:139]
	v_div_fmas_f64 v[132:133], v[132:133], v[136:137], v[140:141]
	v_div_fixup_f64 v[136:137], v[132:133], v[130:131], 1.0
                                        ; implicit-def: $vgpr130_vgpr131
	v_mul_f64 v[134:135], v[134:135], v[136:137]
	v_xor_b32_e32 v137, 0x80000000, v137
.LBB59_23:
	s_andn2_saveexec_b32 s1, s1
	s_cbranch_execz .LBB59_25
; %bb.24:
	v_div_scale_f64 v[134:135], null, v[130:131], v[130:131], v[132:133]
	v_div_scale_f64 v[140:141], vcc_lo, v[132:133], v[130:131], v[132:133]
	v_rcp_f64_e32 v[136:137], v[134:135]
	v_fma_f64 v[138:139], -v[134:135], v[136:137], 1.0
	v_fma_f64 v[136:137], v[136:137], v[138:139], v[136:137]
	v_fma_f64 v[138:139], -v[134:135], v[136:137], 1.0
	v_fma_f64 v[136:137], v[136:137], v[138:139], v[136:137]
	v_mul_f64 v[138:139], v[140:141], v[136:137]
	v_fma_f64 v[134:135], -v[134:135], v[138:139], v[140:141]
	v_div_fmas_f64 v[134:135], v[134:135], v[136:137], v[138:139]
	v_div_fixup_f64 v[136:137], v[134:135], v[130:131], v[132:133]
	v_fma_f64 v[130:131], v[132:133], v[136:137], v[130:131]
	v_div_scale_f64 v[132:133], null, v[130:131], v[130:131], 1.0
	v_rcp_f64_e32 v[134:135], v[132:133]
	v_fma_f64 v[138:139], -v[132:133], v[134:135], 1.0
	v_fma_f64 v[134:135], v[134:135], v[138:139], v[134:135]
	v_fma_f64 v[138:139], -v[132:133], v[134:135], 1.0
	v_fma_f64 v[134:135], v[134:135], v[138:139], v[134:135]
	v_div_scale_f64 v[138:139], vcc_lo, 1.0, v[130:131], 1.0
	v_mul_f64 v[140:141], v[138:139], v[134:135]
	v_fma_f64 v[132:133], -v[132:133], v[140:141], v[138:139]
	v_div_fmas_f64 v[132:133], v[132:133], v[134:135], v[140:141]
	v_div_fixup_f64 v[134:135], v[132:133], v[130:131], 1.0
	v_mul_f64 v[136:137], v[136:137], -v[134:135]
.LBB59_25:
	s_or_b32 exec_lo, exec_lo, s1
	ds_write2_b64 v1, v[134:135], v[136:137] offset1:1
.LBB59_26:
	s_or_b32 exec_lo, exec_lo, s2
	s_waitcnt lgkmcnt(0)
	s_barrier
	buffer_gl0_inv
	ds_read2_b64 v[130:133], v1 offset1:1
	s_mov_b32 s1, exec_lo
	v_cmpx_lt_u32_e32 2, v0
	s_cbranch_execz .LBB59_28
; %bb.27:
	s_waitcnt lgkmcnt(0)
	v_mul_f64 v[134:135], v[132:133], v[112:113]
	v_mul_f64 v[112:113], v[130:131], v[112:113]
	ds_read2_b64 v[136:139], v248 offset0:6 offset1:7
	v_fma_f64 v[134:135], v[130:131], v[110:111], -v[134:135]
	v_fma_f64 v[112:113], v[132:133], v[110:111], v[112:113]
	s_waitcnt lgkmcnt(0)
	v_mul_f64 v[110:111], v[138:139], v[112:113]
	v_fma_f64 v[110:111], v[136:137], v[134:135], -v[110:111]
	v_mul_f64 v[136:137], v[136:137], v[112:113]
	v_add_f64 v[106:107], v[106:107], -v[110:111]
	v_fma_f64 v[136:137], v[138:139], v[134:135], v[136:137]
	v_add_f64 v[108:109], v[108:109], -v[136:137]
	ds_read2_b64 v[136:139], v248 offset0:8 offset1:9
	s_waitcnt lgkmcnt(0)
	v_mul_f64 v[110:111], v[138:139], v[112:113]
	v_fma_f64 v[110:111], v[136:137], v[134:135], -v[110:111]
	v_mul_f64 v[136:137], v[136:137], v[112:113]
	v_add_f64 v[102:103], v[102:103], -v[110:111]
	v_fma_f64 v[136:137], v[138:139], v[134:135], v[136:137]
	v_add_f64 v[104:105], v[104:105], -v[136:137]
	ds_read2_b64 v[136:139], v248 offset0:10 offset1:11
	;; [unrolled: 8-line block ×26, first 2 shown]
	s_waitcnt lgkmcnt(0)
	v_mul_f64 v[110:111], v[138:139], v[112:113]
	v_fma_f64 v[110:111], v[136:137], v[134:135], -v[110:111]
	v_mul_f64 v[136:137], v[136:137], v[112:113]
	v_add_f64 v[2:3], v[2:3], -v[110:111]
	v_fma_f64 v[136:137], v[138:139], v[134:135], v[136:137]
	v_mov_b32_e32 v110, v134
	v_mov_b32_e32 v111, v135
	v_add_f64 v[4:5], v[4:5], -v[136:137]
.LBB59_28:
	s_or_b32 exec_lo, exec_lo, s1
	s_mov_b32 s2, exec_lo
	s_waitcnt lgkmcnt(0)
	s_barrier
	buffer_gl0_inv
	v_cmpx_eq_u32_e32 3, v0
	s_cbranch_execz .LBB59_35
; %bb.29:
	ds_write2_b64 v1, v[106:107], v[108:109] offset1:1
	ds_write2_b64 v248, v[102:103], v[104:105] offset0:8 offset1:9
	ds_write2_b64 v248, v[98:99], v[100:101] offset0:10 offset1:11
	;; [unrolled: 1-line block ×26, first 2 shown]
	ds_read2_b64 v[134:137], v1 offset1:1
	s_waitcnt lgkmcnt(0)
	v_cmp_neq_f64_e32 vcc_lo, 0, v[134:135]
	v_cmp_neq_f64_e64 s1, 0, v[136:137]
	s_or_b32 s1, vcc_lo, s1
	s_and_b32 exec_lo, exec_lo, s1
	s_cbranch_execz .LBB59_35
; %bb.30:
	v_cmp_ngt_f64_e64 s1, |v[134:135]|, |v[136:137]|
                                        ; implicit-def: $vgpr138_vgpr139
	s_and_saveexec_b32 s3, s1
	s_xor_b32 s1, exec_lo, s3
                                        ; implicit-def: $vgpr140_vgpr141
	s_cbranch_execz .LBB59_32
; %bb.31:
	v_div_scale_f64 v[138:139], null, v[136:137], v[136:137], v[134:135]
	v_div_scale_f64 v[144:145], vcc_lo, v[134:135], v[136:137], v[134:135]
	v_rcp_f64_e32 v[140:141], v[138:139]
	v_fma_f64 v[142:143], -v[138:139], v[140:141], 1.0
	v_fma_f64 v[140:141], v[140:141], v[142:143], v[140:141]
	v_fma_f64 v[142:143], -v[138:139], v[140:141], 1.0
	v_fma_f64 v[140:141], v[140:141], v[142:143], v[140:141]
	v_mul_f64 v[142:143], v[144:145], v[140:141]
	v_fma_f64 v[138:139], -v[138:139], v[142:143], v[144:145]
	v_div_fmas_f64 v[138:139], v[138:139], v[140:141], v[142:143]
	v_div_fixup_f64 v[138:139], v[138:139], v[136:137], v[134:135]
	v_fma_f64 v[134:135], v[134:135], v[138:139], v[136:137]
	v_div_scale_f64 v[136:137], null, v[134:135], v[134:135], 1.0
	v_rcp_f64_e32 v[140:141], v[136:137]
	v_fma_f64 v[142:143], -v[136:137], v[140:141], 1.0
	v_fma_f64 v[140:141], v[140:141], v[142:143], v[140:141]
	v_fma_f64 v[142:143], -v[136:137], v[140:141], 1.0
	v_fma_f64 v[140:141], v[140:141], v[142:143], v[140:141]
	v_div_scale_f64 v[142:143], vcc_lo, 1.0, v[134:135], 1.0
	v_mul_f64 v[144:145], v[142:143], v[140:141]
	v_fma_f64 v[136:137], -v[136:137], v[144:145], v[142:143]
	v_div_fmas_f64 v[136:137], v[136:137], v[140:141], v[144:145]
	v_div_fixup_f64 v[140:141], v[136:137], v[134:135], 1.0
                                        ; implicit-def: $vgpr134_vgpr135
	v_mul_f64 v[138:139], v[138:139], v[140:141]
	v_xor_b32_e32 v141, 0x80000000, v141
.LBB59_32:
	s_andn2_saveexec_b32 s1, s1
	s_cbranch_execz .LBB59_34
; %bb.33:
	v_div_scale_f64 v[138:139], null, v[134:135], v[134:135], v[136:137]
	v_div_scale_f64 v[144:145], vcc_lo, v[136:137], v[134:135], v[136:137]
	v_rcp_f64_e32 v[140:141], v[138:139]
	v_fma_f64 v[142:143], -v[138:139], v[140:141], 1.0
	v_fma_f64 v[140:141], v[140:141], v[142:143], v[140:141]
	v_fma_f64 v[142:143], -v[138:139], v[140:141], 1.0
	v_fma_f64 v[140:141], v[140:141], v[142:143], v[140:141]
	v_mul_f64 v[142:143], v[144:145], v[140:141]
	v_fma_f64 v[138:139], -v[138:139], v[142:143], v[144:145]
	v_div_fmas_f64 v[138:139], v[138:139], v[140:141], v[142:143]
	v_div_fixup_f64 v[140:141], v[138:139], v[134:135], v[136:137]
	v_fma_f64 v[134:135], v[136:137], v[140:141], v[134:135]
	v_div_scale_f64 v[136:137], null, v[134:135], v[134:135], 1.0
	v_rcp_f64_e32 v[138:139], v[136:137]
	v_fma_f64 v[142:143], -v[136:137], v[138:139], 1.0
	v_fma_f64 v[138:139], v[138:139], v[142:143], v[138:139]
	v_fma_f64 v[142:143], -v[136:137], v[138:139], 1.0
	v_fma_f64 v[138:139], v[138:139], v[142:143], v[138:139]
	v_div_scale_f64 v[142:143], vcc_lo, 1.0, v[134:135], 1.0
	v_mul_f64 v[144:145], v[142:143], v[138:139]
	v_fma_f64 v[136:137], -v[136:137], v[144:145], v[142:143]
	v_div_fmas_f64 v[136:137], v[136:137], v[138:139], v[144:145]
	v_div_fixup_f64 v[138:139], v[136:137], v[134:135], 1.0
	v_mul_f64 v[140:141], v[140:141], -v[138:139]
.LBB59_34:
	s_or_b32 exec_lo, exec_lo, s1
	ds_write2_b64 v1, v[138:139], v[140:141] offset1:1
.LBB59_35:
	s_or_b32 exec_lo, exec_lo, s2
	s_waitcnt lgkmcnt(0)
	s_barrier
	buffer_gl0_inv
	ds_read2_b64 v[134:137], v1 offset1:1
	s_mov_b32 s1, exec_lo
	v_cmpx_lt_u32_e32 3, v0
	s_cbranch_execz .LBB59_37
; %bb.36:
	s_waitcnt lgkmcnt(0)
	v_mul_f64 v[138:139], v[136:137], v[108:109]
	v_mul_f64 v[108:109], v[134:135], v[108:109]
	ds_read2_b64 v[140:143], v248 offset0:8 offset1:9
	v_fma_f64 v[138:139], v[134:135], v[106:107], -v[138:139]
	v_fma_f64 v[108:109], v[136:137], v[106:107], v[108:109]
	s_waitcnt lgkmcnt(0)
	v_mul_f64 v[106:107], v[142:143], v[108:109]
	v_fma_f64 v[106:107], v[140:141], v[138:139], -v[106:107]
	v_mul_f64 v[140:141], v[140:141], v[108:109]
	v_add_f64 v[102:103], v[102:103], -v[106:107]
	v_fma_f64 v[140:141], v[142:143], v[138:139], v[140:141]
	v_add_f64 v[104:105], v[104:105], -v[140:141]
	ds_read2_b64 v[140:143], v248 offset0:10 offset1:11
	s_waitcnt lgkmcnt(0)
	v_mul_f64 v[106:107], v[142:143], v[108:109]
	v_fma_f64 v[106:107], v[140:141], v[138:139], -v[106:107]
	v_mul_f64 v[140:141], v[140:141], v[108:109]
	v_add_f64 v[98:99], v[98:99], -v[106:107]
	v_fma_f64 v[140:141], v[142:143], v[138:139], v[140:141]
	v_add_f64 v[100:101], v[100:101], -v[140:141]
	ds_read2_b64 v[140:143], v248 offset0:12 offset1:13
	;; [unrolled: 8-line block ×25, first 2 shown]
	s_waitcnt lgkmcnt(0)
	v_mul_f64 v[106:107], v[142:143], v[108:109]
	v_fma_f64 v[106:107], v[140:141], v[138:139], -v[106:107]
	v_mul_f64 v[140:141], v[140:141], v[108:109]
	v_add_f64 v[2:3], v[2:3], -v[106:107]
	v_fma_f64 v[140:141], v[142:143], v[138:139], v[140:141]
	v_mov_b32_e32 v106, v138
	v_mov_b32_e32 v107, v139
	v_add_f64 v[4:5], v[4:5], -v[140:141]
.LBB59_37:
	s_or_b32 exec_lo, exec_lo, s1
	s_mov_b32 s2, exec_lo
	s_waitcnt lgkmcnt(0)
	s_barrier
	buffer_gl0_inv
	v_cmpx_eq_u32_e32 4, v0
	s_cbranch_execz .LBB59_44
; %bb.38:
	ds_write2_b64 v1, v[102:103], v[104:105] offset1:1
	ds_write2_b64 v248, v[98:99], v[100:101] offset0:10 offset1:11
	ds_write2_b64 v248, v[94:95], v[96:97] offset0:12 offset1:13
	;; [unrolled: 1-line block ×25, first 2 shown]
	ds_read2_b64 v[138:141], v1 offset1:1
	s_waitcnt lgkmcnt(0)
	v_cmp_neq_f64_e32 vcc_lo, 0, v[138:139]
	v_cmp_neq_f64_e64 s1, 0, v[140:141]
	s_or_b32 s1, vcc_lo, s1
	s_and_b32 exec_lo, exec_lo, s1
	s_cbranch_execz .LBB59_44
; %bb.39:
	v_cmp_ngt_f64_e64 s1, |v[138:139]|, |v[140:141]|
                                        ; implicit-def: $vgpr142_vgpr143
	s_and_saveexec_b32 s3, s1
	s_xor_b32 s1, exec_lo, s3
                                        ; implicit-def: $vgpr144_vgpr145
	s_cbranch_execz .LBB59_41
; %bb.40:
	v_div_scale_f64 v[142:143], null, v[140:141], v[140:141], v[138:139]
	v_div_scale_f64 v[148:149], vcc_lo, v[138:139], v[140:141], v[138:139]
	v_rcp_f64_e32 v[144:145], v[142:143]
	v_fma_f64 v[146:147], -v[142:143], v[144:145], 1.0
	v_fma_f64 v[144:145], v[144:145], v[146:147], v[144:145]
	v_fma_f64 v[146:147], -v[142:143], v[144:145], 1.0
	v_fma_f64 v[144:145], v[144:145], v[146:147], v[144:145]
	v_mul_f64 v[146:147], v[148:149], v[144:145]
	v_fma_f64 v[142:143], -v[142:143], v[146:147], v[148:149]
	v_div_fmas_f64 v[142:143], v[142:143], v[144:145], v[146:147]
	v_div_fixup_f64 v[142:143], v[142:143], v[140:141], v[138:139]
	v_fma_f64 v[138:139], v[138:139], v[142:143], v[140:141]
	v_div_scale_f64 v[140:141], null, v[138:139], v[138:139], 1.0
	v_rcp_f64_e32 v[144:145], v[140:141]
	v_fma_f64 v[146:147], -v[140:141], v[144:145], 1.0
	v_fma_f64 v[144:145], v[144:145], v[146:147], v[144:145]
	v_fma_f64 v[146:147], -v[140:141], v[144:145], 1.0
	v_fma_f64 v[144:145], v[144:145], v[146:147], v[144:145]
	v_div_scale_f64 v[146:147], vcc_lo, 1.0, v[138:139], 1.0
	v_mul_f64 v[148:149], v[146:147], v[144:145]
	v_fma_f64 v[140:141], -v[140:141], v[148:149], v[146:147]
	v_div_fmas_f64 v[140:141], v[140:141], v[144:145], v[148:149]
	v_div_fixup_f64 v[144:145], v[140:141], v[138:139], 1.0
                                        ; implicit-def: $vgpr138_vgpr139
	v_mul_f64 v[142:143], v[142:143], v[144:145]
	v_xor_b32_e32 v145, 0x80000000, v145
.LBB59_41:
	s_andn2_saveexec_b32 s1, s1
	s_cbranch_execz .LBB59_43
; %bb.42:
	v_div_scale_f64 v[142:143], null, v[138:139], v[138:139], v[140:141]
	v_div_scale_f64 v[148:149], vcc_lo, v[140:141], v[138:139], v[140:141]
	v_rcp_f64_e32 v[144:145], v[142:143]
	v_fma_f64 v[146:147], -v[142:143], v[144:145], 1.0
	v_fma_f64 v[144:145], v[144:145], v[146:147], v[144:145]
	v_fma_f64 v[146:147], -v[142:143], v[144:145], 1.0
	v_fma_f64 v[144:145], v[144:145], v[146:147], v[144:145]
	v_mul_f64 v[146:147], v[148:149], v[144:145]
	v_fma_f64 v[142:143], -v[142:143], v[146:147], v[148:149]
	v_div_fmas_f64 v[142:143], v[142:143], v[144:145], v[146:147]
	v_div_fixup_f64 v[144:145], v[142:143], v[138:139], v[140:141]
	v_fma_f64 v[138:139], v[140:141], v[144:145], v[138:139]
	v_div_scale_f64 v[140:141], null, v[138:139], v[138:139], 1.0
	v_rcp_f64_e32 v[142:143], v[140:141]
	v_fma_f64 v[146:147], -v[140:141], v[142:143], 1.0
	v_fma_f64 v[142:143], v[142:143], v[146:147], v[142:143]
	v_fma_f64 v[146:147], -v[140:141], v[142:143], 1.0
	v_fma_f64 v[142:143], v[142:143], v[146:147], v[142:143]
	v_div_scale_f64 v[146:147], vcc_lo, 1.0, v[138:139], 1.0
	v_mul_f64 v[148:149], v[146:147], v[142:143]
	v_fma_f64 v[140:141], -v[140:141], v[148:149], v[146:147]
	v_div_fmas_f64 v[140:141], v[140:141], v[142:143], v[148:149]
	v_div_fixup_f64 v[142:143], v[140:141], v[138:139], 1.0
	v_mul_f64 v[144:145], v[144:145], -v[142:143]
.LBB59_43:
	s_or_b32 exec_lo, exec_lo, s1
	ds_write2_b64 v1, v[142:143], v[144:145] offset1:1
.LBB59_44:
	s_or_b32 exec_lo, exec_lo, s2
	s_waitcnt lgkmcnt(0)
	s_barrier
	buffer_gl0_inv
	ds_read2_b64 v[138:141], v1 offset1:1
	s_mov_b32 s1, exec_lo
	v_cmpx_lt_u32_e32 4, v0
	s_cbranch_execz .LBB59_46
; %bb.45:
	s_waitcnt lgkmcnt(0)
	v_mul_f64 v[142:143], v[140:141], v[104:105]
	v_mul_f64 v[104:105], v[138:139], v[104:105]
	ds_read2_b64 v[144:147], v248 offset0:10 offset1:11
	v_fma_f64 v[142:143], v[138:139], v[102:103], -v[142:143]
	v_fma_f64 v[104:105], v[140:141], v[102:103], v[104:105]
	s_waitcnt lgkmcnt(0)
	v_mul_f64 v[102:103], v[146:147], v[104:105]
	v_fma_f64 v[102:103], v[144:145], v[142:143], -v[102:103]
	v_mul_f64 v[144:145], v[144:145], v[104:105]
	v_add_f64 v[98:99], v[98:99], -v[102:103]
	v_fma_f64 v[144:145], v[146:147], v[142:143], v[144:145]
	v_add_f64 v[100:101], v[100:101], -v[144:145]
	ds_read2_b64 v[144:147], v248 offset0:12 offset1:13
	s_waitcnt lgkmcnt(0)
	v_mul_f64 v[102:103], v[146:147], v[104:105]
	v_fma_f64 v[102:103], v[144:145], v[142:143], -v[102:103]
	v_mul_f64 v[144:145], v[144:145], v[104:105]
	v_add_f64 v[94:95], v[94:95], -v[102:103]
	v_fma_f64 v[144:145], v[146:147], v[142:143], v[144:145]
	v_add_f64 v[96:97], v[96:97], -v[144:145]
	ds_read2_b64 v[144:147], v248 offset0:14 offset1:15
	;; [unrolled: 8-line block ×24, first 2 shown]
	s_waitcnt lgkmcnt(0)
	v_mul_f64 v[102:103], v[146:147], v[104:105]
	v_fma_f64 v[102:103], v[144:145], v[142:143], -v[102:103]
	v_mul_f64 v[144:145], v[144:145], v[104:105]
	v_add_f64 v[2:3], v[2:3], -v[102:103]
	v_fma_f64 v[144:145], v[146:147], v[142:143], v[144:145]
	v_mov_b32_e32 v102, v142
	v_mov_b32_e32 v103, v143
	v_add_f64 v[4:5], v[4:5], -v[144:145]
.LBB59_46:
	s_or_b32 exec_lo, exec_lo, s1
	s_mov_b32 s2, exec_lo
	s_waitcnt lgkmcnt(0)
	s_barrier
	buffer_gl0_inv
	v_cmpx_eq_u32_e32 5, v0
	s_cbranch_execz .LBB59_53
; %bb.47:
	ds_write2_b64 v1, v[98:99], v[100:101] offset1:1
	ds_write2_b64 v248, v[94:95], v[96:97] offset0:12 offset1:13
	ds_write2_b64 v248, v[90:91], v[92:93] offset0:14 offset1:15
	;; [unrolled: 1-line block ×24, first 2 shown]
	ds_read2_b64 v[142:145], v1 offset1:1
	s_waitcnt lgkmcnt(0)
	v_cmp_neq_f64_e32 vcc_lo, 0, v[142:143]
	v_cmp_neq_f64_e64 s1, 0, v[144:145]
	s_or_b32 s1, vcc_lo, s1
	s_and_b32 exec_lo, exec_lo, s1
	s_cbranch_execz .LBB59_53
; %bb.48:
	v_cmp_ngt_f64_e64 s1, |v[142:143]|, |v[144:145]|
                                        ; implicit-def: $vgpr146_vgpr147
	s_and_saveexec_b32 s3, s1
	s_xor_b32 s1, exec_lo, s3
                                        ; implicit-def: $vgpr148_vgpr149
	s_cbranch_execz .LBB59_50
; %bb.49:
	v_div_scale_f64 v[146:147], null, v[144:145], v[144:145], v[142:143]
	v_div_scale_f64 v[152:153], vcc_lo, v[142:143], v[144:145], v[142:143]
	v_rcp_f64_e32 v[148:149], v[146:147]
	v_fma_f64 v[150:151], -v[146:147], v[148:149], 1.0
	v_fma_f64 v[148:149], v[148:149], v[150:151], v[148:149]
	v_fma_f64 v[150:151], -v[146:147], v[148:149], 1.0
	v_fma_f64 v[148:149], v[148:149], v[150:151], v[148:149]
	v_mul_f64 v[150:151], v[152:153], v[148:149]
	v_fma_f64 v[146:147], -v[146:147], v[150:151], v[152:153]
	v_div_fmas_f64 v[146:147], v[146:147], v[148:149], v[150:151]
	v_div_fixup_f64 v[146:147], v[146:147], v[144:145], v[142:143]
	v_fma_f64 v[142:143], v[142:143], v[146:147], v[144:145]
	v_div_scale_f64 v[144:145], null, v[142:143], v[142:143], 1.0
	v_rcp_f64_e32 v[148:149], v[144:145]
	v_fma_f64 v[150:151], -v[144:145], v[148:149], 1.0
	v_fma_f64 v[148:149], v[148:149], v[150:151], v[148:149]
	v_fma_f64 v[150:151], -v[144:145], v[148:149], 1.0
	v_fma_f64 v[148:149], v[148:149], v[150:151], v[148:149]
	v_div_scale_f64 v[150:151], vcc_lo, 1.0, v[142:143], 1.0
	v_mul_f64 v[152:153], v[150:151], v[148:149]
	v_fma_f64 v[144:145], -v[144:145], v[152:153], v[150:151]
	v_div_fmas_f64 v[144:145], v[144:145], v[148:149], v[152:153]
	v_div_fixup_f64 v[148:149], v[144:145], v[142:143], 1.0
                                        ; implicit-def: $vgpr142_vgpr143
	v_mul_f64 v[146:147], v[146:147], v[148:149]
	v_xor_b32_e32 v149, 0x80000000, v149
.LBB59_50:
	s_andn2_saveexec_b32 s1, s1
	s_cbranch_execz .LBB59_52
; %bb.51:
	v_div_scale_f64 v[146:147], null, v[142:143], v[142:143], v[144:145]
	v_div_scale_f64 v[152:153], vcc_lo, v[144:145], v[142:143], v[144:145]
	v_rcp_f64_e32 v[148:149], v[146:147]
	v_fma_f64 v[150:151], -v[146:147], v[148:149], 1.0
	v_fma_f64 v[148:149], v[148:149], v[150:151], v[148:149]
	v_fma_f64 v[150:151], -v[146:147], v[148:149], 1.0
	v_fma_f64 v[148:149], v[148:149], v[150:151], v[148:149]
	v_mul_f64 v[150:151], v[152:153], v[148:149]
	v_fma_f64 v[146:147], -v[146:147], v[150:151], v[152:153]
	v_div_fmas_f64 v[146:147], v[146:147], v[148:149], v[150:151]
	v_div_fixup_f64 v[148:149], v[146:147], v[142:143], v[144:145]
	v_fma_f64 v[142:143], v[144:145], v[148:149], v[142:143]
	v_div_scale_f64 v[144:145], null, v[142:143], v[142:143], 1.0
	v_rcp_f64_e32 v[146:147], v[144:145]
	v_fma_f64 v[150:151], -v[144:145], v[146:147], 1.0
	v_fma_f64 v[146:147], v[146:147], v[150:151], v[146:147]
	v_fma_f64 v[150:151], -v[144:145], v[146:147], 1.0
	v_fma_f64 v[146:147], v[146:147], v[150:151], v[146:147]
	v_div_scale_f64 v[150:151], vcc_lo, 1.0, v[142:143], 1.0
	v_mul_f64 v[152:153], v[150:151], v[146:147]
	v_fma_f64 v[144:145], -v[144:145], v[152:153], v[150:151]
	v_div_fmas_f64 v[144:145], v[144:145], v[146:147], v[152:153]
	v_div_fixup_f64 v[146:147], v[144:145], v[142:143], 1.0
	v_mul_f64 v[148:149], v[148:149], -v[146:147]
.LBB59_52:
	s_or_b32 exec_lo, exec_lo, s1
	ds_write2_b64 v1, v[146:147], v[148:149] offset1:1
.LBB59_53:
	s_or_b32 exec_lo, exec_lo, s2
	s_waitcnt lgkmcnt(0)
	s_barrier
	buffer_gl0_inv
	ds_read2_b64 v[142:145], v1 offset1:1
	s_mov_b32 s1, exec_lo
	v_cmpx_lt_u32_e32 5, v0
	s_cbranch_execz .LBB59_55
; %bb.54:
	s_waitcnt lgkmcnt(0)
	v_mul_f64 v[146:147], v[144:145], v[100:101]
	v_mul_f64 v[100:101], v[142:143], v[100:101]
	ds_read2_b64 v[148:151], v248 offset0:12 offset1:13
	v_fma_f64 v[146:147], v[142:143], v[98:99], -v[146:147]
	v_fma_f64 v[100:101], v[144:145], v[98:99], v[100:101]
	s_waitcnt lgkmcnt(0)
	v_mul_f64 v[98:99], v[150:151], v[100:101]
	v_fma_f64 v[98:99], v[148:149], v[146:147], -v[98:99]
	v_mul_f64 v[148:149], v[148:149], v[100:101]
	v_add_f64 v[94:95], v[94:95], -v[98:99]
	v_fma_f64 v[148:149], v[150:151], v[146:147], v[148:149]
	v_add_f64 v[96:97], v[96:97], -v[148:149]
	ds_read2_b64 v[148:151], v248 offset0:14 offset1:15
	s_waitcnt lgkmcnt(0)
	v_mul_f64 v[98:99], v[150:151], v[100:101]
	v_fma_f64 v[98:99], v[148:149], v[146:147], -v[98:99]
	v_mul_f64 v[148:149], v[148:149], v[100:101]
	v_add_f64 v[90:91], v[90:91], -v[98:99]
	v_fma_f64 v[148:149], v[150:151], v[146:147], v[148:149]
	v_add_f64 v[92:93], v[92:93], -v[148:149]
	ds_read2_b64 v[148:151], v248 offset0:16 offset1:17
	;; [unrolled: 8-line block ×23, first 2 shown]
	s_waitcnt lgkmcnt(0)
	v_mul_f64 v[98:99], v[150:151], v[100:101]
	v_fma_f64 v[98:99], v[148:149], v[146:147], -v[98:99]
	v_mul_f64 v[148:149], v[148:149], v[100:101]
	v_add_f64 v[2:3], v[2:3], -v[98:99]
	v_fma_f64 v[148:149], v[150:151], v[146:147], v[148:149]
	v_mov_b32_e32 v98, v146
	v_mov_b32_e32 v99, v147
	v_add_f64 v[4:5], v[4:5], -v[148:149]
.LBB59_55:
	s_or_b32 exec_lo, exec_lo, s1
	s_mov_b32 s2, exec_lo
	s_waitcnt lgkmcnt(0)
	s_barrier
	buffer_gl0_inv
	v_cmpx_eq_u32_e32 6, v0
	s_cbranch_execz .LBB59_62
; %bb.56:
	ds_write2_b64 v1, v[94:95], v[96:97] offset1:1
	ds_write2_b64 v248, v[90:91], v[92:93] offset0:14 offset1:15
	ds_write2_b64 v248, v[86:87], v[88:89] offset0:16 offset1:17
	;; [unrolled: 1-line block ×23, first 2 shown]
	ds_read2_b64 v[146:149], v1 offset1:1
	s_waitcnt lgkmcnt(0)
	v_cmp_neq_f64_e32 vcc_lo, 0, v[146:147]
	v_cmp_neq_f64_e64 s1, 0, v[148:149]
	s_or_b32 s1, vcc_lo, s1
	s_and_b32 exec_lo, exec_lo, s1
	s_cbranch_execz .LBB59_62
; %bb.57:
	v_cmp_ngt_f64_e64 s1, |v[146:147]|, |v[148:149]|
                                        ; implicit-def: $vgpr150_vgpr151
	s_and_saveexec_b32 s3, s1
	s_xor_b32 s1, exec_lo, s3
                                        ; implicit-def: $vgpr152_vgpr153
	s_cbranch_execz .LBB59_59
; %bb.58:
	v_div_scale_f64 v[150:151], null, v[148:149], v[148:149], v[146:147]
	v_div_scale_f64 v[156:157], vcc_lo, v[146:147], v[148:149], v[146:147]
	v_rcp_f64_e32 v[152:153], v[150:151]
	v_fma_f64 v[154:155], -v[150:151], v[152:153], 1.0
	v_fma_f64 v[152:153], v[152:153], v[154:155], v[152:153]
	v_fma_f64 v[154:155], -v[150:151], v[152:153], 1.0
	v_fma_f64 v[152:153], v[152:153], v[154:155], v[152:153]
	v_mul_f64 v[154:155], v[156:157], v[152:153]
	v_fma_f64 v[150:151], -v[150:151], v[154:155], v[156:157]
	v_div_fmas_f64 v[150:151], v[150:151], v[152:153], v[154:155]
	v_div_fixup_f64 v[150:151], v[150:151], v[148:149], v[146:147]
	v_fma_f64 v[146:147], v[146:147], v[150:151], v[148:149]
	v_div_scale_f64 v[148:149], null, v[146:147], v[146:147], 1.0
	v_rcp_f64_e32 v[152:153], v[148:149]
	v_fma_f64 v[154:155], -v[148:149], v[152:153], 1.0
	v_fma_f64 v[152:153], v[152:153], v[154:155], v[152:153]
	v_fma_f64 v[154:155], -v[148:149], v[152:153], 1.0
	v_fma_f64 v[152:153], v[152:153], v[154:155], v[152:153]
	v_div_scale_f64 v[154:155], vcc_lo, 1.0, v[146:147], 1.0
	v_mul_f64 v[156:157], v[154:155], v[152:153]
	v_fma_f64 v[148:149], -v[148:149], v[156:157], v[154:155]
	v_div_fmas_f64 v[148:149], v[148:149], v[152:153], v[156:157]
	v_div_fixup_f64 v[152:153], v[148:149], v[146:147], 1.0
                                        ; implicit-def: $vgpr146_vgpr147
	v_mul_f64 v[150:151], v[150:151], v[152:153]
	v_xor_b32_e32 v153, 0x80000000, v153
.LBB59_59:
	s_andn2_saveexec_b32 s1, s1
	s_cbranch_execz .LBB59_61
; %bb.60:
	v_div_scale_f64 v[150:151], null, v[146:147], v[146:147], v[148:149]
	v_div_scale_f64 v[156:157], vcc_lo, v[148:149], v[146:147], v[148:149]
	v_rcp_f64_e32 v[152:153], v[150:151]
	v_fma_f64 v[154:155], -v[150:151], v[152:153], 1.0
	v_fma_f64 v[152:153], v[152:153], v[154:155], v[152:153]
	v_fma_f64 v[154:155], -v[150:151], v[152:153], 1.0
	v_fma_f64 v[152:153], v[152:153], v[154:155], v[152:153]
	v_mul_f64 v[154:155], v[156:157], v[152:153]
	v_fma_f64 v[150:151], -v[150:151], v[154:155], v[156:157]
	v_div_fmas_f64 v[150:151], v[150:151], v[152:153], v[154:155]
	v_div_fixup_f64 v[152:153], v[150:151], v[146:147], v[148:149]
	v_fma_f64 v[146:147], v[148:149], v[152:153], v[146:147]
	v_div_scale_f64 v[148:149], null, v[146:147], v[146:147], 1.0
	v_rcp_f64_e32 v[150:151], v[148:149]
	v_fma_f64 v[154:155], -v[148:149], v[150:151], 1.0
	v_fma_f64 v[150:151], v[150:151], v[154:155], v[150:151]
	v_fma_f64 v[154:155], -v[148:149], v[150:151], 1.0
	v_fma_f64 v[150:151], v[150:151], v[154:155], v[150:151]
	v_div_scale_f64 v[154:155], vcc_lo, 1.0, v[146:147], 1.0
	v_mul_f64 v[156:157], v[154:155], v[150:151]
	v_fma_f64 v[148:149], -v[148:149], v[156:157], v[154:155]
	v_div_fmas_f64 v[148:149], v[148:149], v[150:151], v[156:157]
	v_div_fixup_f64 v[150:151], v[148:149], v[146:147], 1.0
	v_mul_f64 v[152:153], v[152:153], -v[150:151]
.LBB59_61:
	s_or_b32 exec_lo, exec_lo, s1
	ds_write2_b64 v1, v[150:151], v[152:153] offset1:1
.LBB59_62:
	s_or_b32 exec_lo, exec_lo, s2
	s_waitcnt lgkmcnt(0)
	s_barrier
	buffer_gl0_inv
	ds_read2_b64 v[146:149], v1 offset1:1
	s_mov_b32 s1, exec_lo
	v_cmpx_lt_u32_e32 6, v0
	s_cbranch_execz .LBB59_64
; %bb.63:
	s_waitcnt lgkmcnt(0)
	v_mul_f64 v[150:151], v[148:149], v[96:97]
	v_mul_f64 v[96:97], v[146:147], v[96:97]
	ds_read2_b64 v[152:155], v248 offset0:14 offset1:15
	v_fma_f64 v[150:151], v[146:147], v[94:95], -v[150:151]
	v_fma_f64 v[96:97], v[148:149], v[94:95], v[96:97]
	s_waitcnt lgkmcnt(0)
	v_mul_f64 v[94:95], v[154:155], v[96:97]
	v_fma_f64 v[94:95], v[152:153], v[150:151], -v[94:95]
	v_mul_f64 v[152:153], v[152:153], v[96:97]
	v_add_f64 v[90:91], v[90:91], -v[94:95]
	v_fma_f64 v[152:153], v[154:155], v[150:151], v[152:153]
	v_add_f64 v[92:93], v[92:93], -v[152:153]
	ds_read2_b64 v[152:155], v248 offset0:16 offset1:17
	s_waitcnt lgkmcnt(0)
	v_mul_f64 v[94:95], v[154:155], v[96:97]
	v_fma_f64 v[94:95], v[152:153], v[150:151], -v[94:95]
	v_mul_f64 v[152:153], v[152:153], v[96:97]
	v_add_f64 v[86:87], v[86:87], -v[94:95]
	v_fma_f64 v[152:153], v[154:155], v[150:151], v[152:153]
	v_add_f64 v[88:89], v[88:89], -v[152:153]
	ds_read2_b64 v[152:155], v248 offset0:18 offset1:19
	;; [unrolled: 8-line block ×22, first 2 shown]
	s_waitcnt lgkmcnt(0)
	v_mul_f64 v[94:95], v[154:155], v[96:97]
	v_fma_f64 v[94:95], v[152:153], v[150:151], -v[94:95]
	v_mul_f64 v[152:153], v[152:153], v[96:97]
	v_add_f64 v[2:3], v[2:3], -v[94:95]
	v_fma_f64 v[152:153], v[154:155], v[150:151], v[152:153]
	v_mov_b32_e32 v94, v150
	v_mov_b32_e32 v95, v151
	v_add_f64 v[4:5], v[4:5], -v[152:153]
.LBB59_64:
	s_or_b32 exec_lo, exec_lo, s1
	s_mov_b32 s2, exec_lo
	s_waitcnt lgkmcnt(0)
	s_barrier
	buffer_gl0_inv
	v_cmpx_eq_u32_e32 7, v0
	s_cbranch_execz .LBB59_71
; %bb.65:
	ds_write2_b64 v1, v[90:91], v[92:93] offset1:1
	ds_write2_b64 v248, v[86:87], v[88:89] offset0:16 offset1:17
	ds_write2_b64 v248, v[82:83], v[84:85] offset0:18 offset1:19
	ds_write2_b64 v248, v[78:79], v[80:81] offset0:20 offset1:21
	ds_write2_b64 v248, v[74:75], v[76:77] offset0:22 offset1:23
	ds_write2_b64 v248, v[70:71], v[72:73] offset0:24 offset1:25
	ds_write2_b64 v248, v[66:67], v[68:69] offset0:26 offset1:27
	ds_write2_b64 v248, v[62:63], v[64:65] offset0:28 offset1:29
	ds_write2_b64 v248, v[58:59], v[60:61] offset0:30 offset1:31
	ds_write2_b64 v248, v[54:55], v[56:57] offset0:32 offset1:33
	ds_write2_b64 v248, v[50:51], v[52:53] offset0:34 offset1:35
	ds_write2_b64 v248, v[46:47], v[48:49] offset0:36 offset1:37
	ds_write2_b64 v248, v[42:43], v[44:45] offset0:38 offset1:39
	ds_write2_b64 v248, v[38:39], v[40:41] offset0:40 offset1:41
	ds_write2_b64 v248, v[34:35], v[36:37] offset0:42 offset1:43
	ds_write2_b64 v248, v[30:31], v[32:33] offset0:44 offset1:45
	ds_write2_b64 v248, v[26:27], v[28:29] offset0:46 offset1:47
	ds_write2_b64 v248, v[22:23], v[24:25] offset0:48 offset1:49
	ds_write2_b64 v248, v[18:19], v[20:21] offset0:50 offset1:51
	ds_write2_b64 v248, v[14:15], v[16:17] offset0:52 offset1:53
	ds_write2_b64 v248, v[10:11], v[12:13] offset0:54 offset1:55
	ds_write2_b64 v248, v[6:7], v[8:9] offset0:56 offset1:57
	ds_write2_b64 v248, v[2:3], v[4:5] offset0:58 offset1:59
	ds_read2_b64 v[150:153], v1 offset1:1
	s_waitcnt lgkmcnt(0)
	v_cmp_neq_f64_e32 vcc_lo, 0, v[150:151]
	v_cmp_neq_f64_e64 s1, 0, v[152:153]
	s_or_b32 s1, vcc_lo, s1
	s_and_b32 exec_lo, exec_lo, s1
	s_cbranch_execz .LBB59_71
; %bb.66:
	v_cmp_ngt_f64_e64 s1, |v[150:151]|, |v[152:153]|
                                        ; implicit-def: $vgpr154_vgpr155
	s_and_saveexec_b32 s3, s1
	s_xor_b32 s1, exec_lo, s3
                                        ; implicit-def: $vgpr156_vgpr157
	s_cbranch_execz .LBB59_68
; %bb.67:
	v_div_scale_f64 v[154:155], null, v[152:153], v[152:153], v[150:151]
	v_div_scale_f64 v[160:161], vcc_lo, v[150:151], v[152:153], v[150:151]
	v_rcp_f64_e32 v[156:157], v[154:155]
	v_fma_f64 v[158:159], -v[154:155], v[156:157], 1.0
	v_fma_f64 v[156:157], v[156:157], v[158:159], v[156:157]
	v_fma_f64 v[158:159], -v[154:155], v[156:157], 1.0
	v_fma_f64 v[156:157], v[156:157], v[158:159], v[156:157]
	v_mul_f64 v[158:159], v[160:161], v[156:157]
	v_fma_f64 v[154:155], -v[154:155], v[158:159], v[160:161]
	v_div_fmas_f64 v[154:155], v[154:155], v[156:157], v[158:159]
	v_div_fixup_f64 v[154:155], v[154:155], v[152:153], v[150:151]
	v_fma_f64 v[150:151], v[150:151], v[154:155], v[152:153]
	v_div_scale_f64 v[152:153], null, v[150:151], v[150:151], 1.0
	v_rcp_f64_e32 v[156:157], v[152:153]
	v_fma_f64 v[158:159], -v[152:153], v[156:157], 1.0
	v_fma_f64 v[156:157], v[156:157], v[158:159], v[156:157]
	v_fma_f64 v[158:159], -v[152:153], v[156:157], 1.0
	v_fma_f64 v[156:157], v[156:157], v[158:159], v[156:157]
	v_div_scale_f64 v[158:159], vcc_lo, 1.0, v[150:151], 1.0
	v_mul_f64 v[160:161], v[158:159], v[156:157]
	v_fma_f64 v[152:153], -v[152:153], v[160:161], v[158:159]
	v_div_fmas_f64 v[152:153], v[152:153], v[156:157], v[160:161]
	v_div_fixup_f64 v[156:157], v[152:153], v[150:151], 1.0
                                        ; implicit-def: $vgpr150_vgpr151
	v_mul_f64 v[154:155], v[154:155], v[156:157]
	v_xor_b32_e32 v157, 0x80000000, v157
.LBB59_68:
	s_andn2_saveexec_b32 s1, s1
	s_cbranch_execz .LBB59_70
; %bb.69:
	v_div_scale_f64 v[154:155], null, v[150:151], v[150:151], v[152:153]
	v_div_scale_f64 v[160:161], vcc_lo, v[152:153], v[150:151], v[152:153]
	v_rcp_f64_e32 v[156:157], v[154:155]
	v_fma_f64 v[158:159], -v[154:155], v[156:157], 1.0
	v_fma_f64 v[156:157], v[156:157], v[158:159], v[156:157]
	v_fma_f64 v[158:159], -v[154:155], v[156:157], 1.0
	v_fma_f64 v[156:157], v[156:157], v[158:159], v[156:157]
	v_mul_f64 v[158:159], v[160:161], v[156:157]
	v_fma_f64 v[154:155], -v[154:155], v[158:159], v[160:161]
	v_div_fmas_f64 v[154:155], v[154:155], v[156:157], v[158:159]
	v_div_fixup_f64 v[156:157], v[154:155], v[150:151], v[152:153]
	v_fma_f64 v[150:151], v[152:153], v[156:157], v[150:151]
	v_div_scale_f64 v[152:153], null, v[150:151], v[150:151], 1.0
	v_rcp_f64_e32 v[154:155], v[152:153]
	v_fma_f64 v[158:159], -v[152:153], v[154:155], 1.0
	v_fma_f64 v[154:155], v[154:155], v[158:159], v[154:155]
	v_fma_f64 v[158:159], -v[152:153], v[154:155], 1.0
	v_fma_f64 v[154:155], v[154:155], v[158:159], v[154:155]
	v_div_scale_f64 v[158:159], vcc_lo, 1.0, v[150:151], 1.0
	v_mul_f64 v[160:161], v[158:159], v[154:155]
	v_fma_f64 v[152:153], -v[152:153], v[160:161], v[158:159]
	v_div_fmas_f64 v[152:153], v[152:153], v[154:155], v[160:161]
	v_div_fixup_f64 v[154:155], v[152:153], v[150:151], 1.0
	v_mul_f64 v[156:157], v[156:157], -v[154:155]
.LBB59_70:
	s_or_b32 exec_lo, exec_lo, s1
	ds_write2_b64 v1, v[154:155], v[156:157] offset1:1
.LBB59_71:
	s_or_b32 exec_lo, exec_lo, s2
	s_waitcnt lgkmcnt(0)
	s_barrier
	buffer_gl0_inv
	ds_read2_b64 v[150:153], v1 offset1:1
	s_mov_b32 s1, exec_lo
	v_cmpx_lt_u32_e32 7, v0
	s_cbranch_execz .LBB59_73
; %bb.72:
	s_waitcnt lgkmcnt(0)
	v_mul_f64 v[154:155], v[152:153], v[92:93]
	v_mul_f64 v[92:93], v[150:151], v[92:93]
	ds_read2_b64 v[156:159], v248 offset0:16 offset1:17
	v_fma_f64 v[154:155], v[150:151], v[90:91], -v[154:155]
	v_fma_f64 v[92:93], v[152:153], v[90:91], v[92:93]
	s_waitcnt lgkmcnt(0)
	v_mul_f64 v[90:91], v[158:159], v[92:93]
	v_fma_f64 v[90:91], v[156:157], v[154:155], -v[90:91]
	v_mul_f64 v[156:157], v[156:157], v[92:93]
	v_add_f64 v[86:87], v[86:87], -v[90:91]
	v_fma_f64 v[156:157], v[158:159], v[154:155], v[156:157]
	v_add_f64 v[88:89], v[88:89], -v[156:157]
	ds_read2_b64 v[156:159], v248 offset0:18 offset1:19
	s_waitcnt lgkmcnt(0)
	v_mul_f64 v[90:91], v[158:159], v[92:93]
	v_fma_f64 v[90:91], v[156:157], v[154:155], -v[90:91]
	v_mul_f64 v[156:157], v[156:157], v[92:93]
	v_add_f64 v[82:83], v[82:83], -v[90:91]
	v_fma_f64 v[156:157], v[158:159], v[154:155], v[156:157]
	v_add_f64 v[84:85], v[84:85], -v[156:157]
	ds_read2_b64 v[156:159], v248 offset0:20 offset1:21
	;; [unrolled: 8-line block ×21, first 2 shown]
	s_waitcnt lgkmcnt(0)
	v_mul_f64 v[90:91], v[158:159], v[92:93]
	v_fma_f64 v[90:91], v[156:157], v[154:155], -v[90:91]
	v_mul_f64 v[156:157], v[156:157], v[92:93]
	v_add_f64 v[2:3], v[2:3], -v[90:91]
	v_fma_f64 v[156:157], v[158:159], v[154:155], v[156:157]
	v_mov_b32_e32 v90, v154
	v_mov_b32_e32 v91, v155
	v_add_f64 v[4:5], v[4:5], -v[156:157]
.LBB59_73:
	s_or_b32 exec_lo, exec_lo, s1
	s_mov_b32 s2, exec_lo
	s_waitcnt lgkmcnt(0)
	s_barrier
	buffer_gl0_inv
	v_cmpx_eq_u32_e32 8, v0
	s_cbranch_execz .LBB59_80
; %bb.74:
	ds_write2_b64 v1, v[86:87], v[88:89] offset1:1
	ds_write2_b64 v248, v[82:83], v[84:85] offset0:18 offset1:19
	ds_write2_b64 v248, v[78:79], v[80:81] offset0:20 offset1:21
	ds_write2_b64 v248, v[74:75], v[76:77] offset0:22 offset1:23
	ds_write2_b64 v248, v[70:71], v[72:73] offset0:24 offset1:25
	ds_write2_b64 v248, v[66:67], v[68:69] offset0:26 offset1:27
	ds_write2_b64 v248, v[62:63], v[64:65] offset0:28 offset1:29
	ds_write2_b64 v248, v[58:59], v[60:61] offset0:30 offset1:31
	ds_write2_b64 v248, v[54:55], v[56:57] offset0:32 offset1:33
	ds_write2_b64 v248, v[50:51], v[52:53] offset0:34 offset1:35
	ds_write2_b64 v248, v[46:47], v[48:49] offset0:36 offset1:37
	ds_write2_b64 v248, v[42:43], v[44:45] offset0:38 offset1:39
	ds_write2_b64 v248, v[38:39], v[40:41] offset0:40 offset1:41
	ds_write2_b64 v248, v[34:35], v[36:37] offset0:42 offset1:43
	ds_write2_b64 v248, v[30:31], v[32:33] offset0:44 offset1:45
	ds_write2_b64 v248, v[26:27], v[28:29] offset0:46 offset1:47
	ds_write2_b64 v248, v[22:23], v[24:25] offset0:48 offset1:49
	ds_write2_b64 v248, v[18:19], v[20:21] offset0:50 offset1:51
	ds_write2_b64 v248, v[14:15], v[16:17] offset0:52 offset1:53
	ds_write2_b64 v248, v[10:11], v[12:13] offset0:54 offset1:55
	ds_write2_b64 v248, v[6:7], v[8:9] offset0:56 offset1:57
	ds_write2_b64 v248, v[2:3], v[4:5] offset0:58 offset1:59
	ds_read2_b64 v[154:157], v1 offset1:1
	s_waitcnt lgkmcnt(0)
	v_cmp_neq_f64_e32 vcc_lo, 0, v[154:155]
	v_cmp_neq_f64_e64 s1, 0, v[156:157]
	s_or_b32 s1, vcc_lo, s1
	s_and_b32 exec_lo, exec_lo, s1
	s_cbranch_execz .LBB59_80
; %bb.75:
	v_cmp_ngt_f64_e64 s1, |v[154:155]|, |v[156:157]|
                                        ; implicit-def: $vgpr158_vgpr159
	s_and_saveexec_b32 s3, s1
	s_xor_b32 s1, exec_lo, s3
                                        ; implicit-def: $vgpr160_vgpr161
	s_cbranch_execz .LBB59_77
; %bb.76:
	v_div_scale_f64 v[158:159], null, v[156:157], v[156:157], v[154:155]
	v_div_scale_f64 v[164:165], vcc_lo, v[154:155], v[156:157], v[154:155]
	v_rcp_f64_e32 v[160:161], v[158:159]
	v_fma_f64 v[162:163], -v[158:159], v[160:161], 1.0
	v_fma_f64 v[160:161], v[160:161], v[162:163], v[160:161]
	v_fma_f64 v[162:163], -v[158:159], v[160:161], 1.0
	v_fma_f64 v[160:161], v[160:161], v[162:163], v[160:161]
	v_mul_f64 v[162:163], v[164:165], v[160:161]
	v_fma_f64 v[158:159], -v[158:159], v[162:163], v[164:165]
	v_div_fmas_f64 v[158:159], v[158:159], v[160:161], v[162:163]
	v_div_fixup_f64 v[158:159], v[158:159], v[156:157], v[154:155]
	v_fma_f64 v[154:155], v[154:155], v[158:159], v[156:157]
	v_div_scale_f64 v[156:157], null, v[154:155], v[154:155], 1.0
	v_rcp_f64_e32 v[160:161], v[156:157]
	v_fma_f64 v[162:163], -v[156:157], v[160:161], 1.0
	v_fma_f64 v[160:161], v[160:161], v[162:163], v[160:161]
	v_fma_f64 v[162:163], -v[156:157], v[160:161], 1.0
	v_fma_f64 v[160:161], v[160:161], v[162:163], v[160:161]
	v_div_scale_f64 v[162:163], vcc_lo, 1.0, v[154:155], 1.0
	v_mul_f64 v[164:165], v[162:163], v[160:161]
	v_fma_f64 v[156:157], -v[156:157], v[164:165], v[162:163]
	v_div_fmas_f64 v[156:157], v[156:157], v[160:161], v[164:165]
	v_div_fixup_f64 v[160:161], v[156:157], v[154:155], 1.0
                                        ; implicit-def: $vgpr154_vgpr155
	v_mul_f64 v[158:159], v[158:159], v[160:161]
	v_xor_b32_e32 v161, 0x80000000, v161
.LBB59_77:
	s_andn2_saveexec_b32 s1, s1
	s_cbranch_execz .LBB59_79
; %bb.78:
	v_div_scale_f64 v[158:159], null, v[154:155], v[154:155], v[156:157]
	v_div_scale_f64 v[164:165], vcc_lo, v[156:157], v[154:155], v[156:157]
	v_rcp_f64_e32 v[160:161], v[158:159]
	v_fma_f64 v[162:163], -v[158:159], v[160:161], 1.0
	v_fma_f64 v[160:161], v[160:161], v[162:163], v[160:161]
	v_fma_f64 v[162:163], -v[158:159], v[160:161], 1.0
	v_fma_f64 v[160:161], v[160:161], v[162:163], v[160:161]
	v_mul_f64 v[162:163], v[164:165], v[160:161]
	v_fma_f64 v[158:159], -v[158:159], v[162:163], v[164:165]
	v_div_fmas_f64 v[158:159], v[158:159], v[160:161], v[162:163]
	v_div_fixup_f64 v[160:161], v[158:159], v[154:155], v[156:157]
	v_fma_f64 v[154:155], v[156:157], v[160:161], v[154:155]
	v_div_scale_f64 v[156:157], null, v[154:155], v[154:155], 1.0
	v_rcp_f64_e32 v[158:159], v[156:157]
	v_fma_f64 v[162:163], -v[156:157], v[158:159], 1.0
	v_fma_f64 v[158:159], v[158:159], v[162:163], v[158:159]
	v_fma_f64 v[162:163], -v[156:157], v[158:159], 1.0
	v_fma_f64 v[158:159], v[158:159], v[162:163], v[158:159]
	v_div_scale_f64 v[162:163], vcc_lo, 1.0, v[154:155], 1.0
	v_mul_f64 v[164:165], v[162:163], v[158:159]
	v_fma_f64 v[156:157], -v[156:157], v[164:165], v[162:163]
	v_div_fmas_f64 v[156:157], v[156:157], v[158:159], v[164:165]
	v_div_fixup_f64 v[158:159], v[156:157], v[154:155], 1.0
	v_mul_f64 v[160:161], v[160:161], -v[158:159]
.LBB59_79:
	s_or_b32 exec_lo, exec_lo, s1
	ds_write2_b64 v1, v[158:159], v[160:161] offset1:1
.LBB59_80:
	s_or_b32 exec_lo, exec_lo, s2
	s_waitcnt lgkmcnt(0)
	s_barrier
	buffer_gl0_inv
	ds_read2_b64 v[154:157], v1 offset1:1
	s_mov_b32 s1, exec_lo
	v_cmpx_lt_u32_e32 8, v0
	s_cbranch_execz .LBB59_82
; %bb.81:
	s_waitcnt lgkmcnt(0)
	v_mul_f64 v[158:159], v[156:157], v[88:89]
	v_mul_f64 v[88:89], v[154:155], v[88:89]
	ds_read2_b64 v[160:163], v248 offset0:18 offset1:19
	v_fma_f64 v[158:159], v[154:155], v[86:87], -v[158:159]
	v_fma_f64 v[88:89], v[156:157], v[86:87], v[88:89]
	s_waitcnt lgkmcnt(0)
	v_mul_f64 v[86:87], v[162:163], v[88:89]
	v_fma_f64 v[86:87], v[160:161], v[158:159], -v[86:87]
	v_mul_f64 v[160:161], v[160:161], v[88:89]
	v_add_f64 v[82:83], v[82:83], -v[86:87]
	v_fma_f64 v[160:161], v[162:163], v[158:159], v[160:161]
	v_add_f64 v[84:85], v[84:85], -v[160:161]
	ds_read2_b64 v[160:163], v248 offset0:20 offset1:21
	s_waitcnt lgkmcnt(0)
	v_mul_f64 v[86:87], v[162:163], v[88:89]
	v_fma_f64 v[86:87], v[160:161], v[158:159], -v[86:87]
	v_mul_f64 v[160:161], v[160:161], v[88:89]
	v_add_f64 v[78:79], v[78:79], -v[86:87]
	v_fma_f64 v[160:161], v[162:163], v[158:159], v[160:161]
	v_add_f64 v[80:81], v[80:81], -v[160:161]
	ds_read2_b64 v[160:163], v248 offset0:22 offset1:23
	;; [unrolled: 8-line block ×20, first 2 shown]
	s_waitcnt lgkmcnt(0)
	v_mul_f64 v[86:87], v[162:163], v[88:89]
	v_fma_f64 v[86:87], v[160:161], v[158:159], -v[86:87]
	v_mul_f64 v[160:161], v[160:161], v[88:89]
	v_add_f64 v[2:3], v[2:3], -v[86:87]
	v_fma_f64 v[160:161], v[162:163], v[158:159], v[160:161]
	v_mov_b32_e32 v86, v158
	v_mov_b32_e32 v87, v159
	v_add_f64 v[4:5], v[4:5], -v[160:161]
.LBB59_82:
	s_or_b32 exec_lo, exec_lo, s1
	s_mov_b32 s2, exec_lo
	s_waitcnt lgkmcnt(0)
	s_barrier
	buffer_gl0_inv
	v_cmpx_eq_u32_e32 9, v0
	s_cbranch_execz .LBB59_89
; %bb.83:
	ds_write2_b64 v1, v[82:83], v[84:85] offset1:1
	ds_write2_b64 v248, v[78:79], v[80:81] offset0:20 offset1:21
	ds_write2_b64 v248, v[74:75], v[76:77] offset0:22 offset1:23
	;; [unrolled: 1-line block ×20, first 2 shown]
	ds_read2_b64 v[158:161], v1 offset1:1
	s_waitcnt lgkmcnt(0)
	v_cmp_neq_f64_e32 vcc_lo, 0, v[158:159]
	v_cmp_neq_f64_e64 s1, 0, v[160:161]
	s_or_b32 s1, vcc_lo, s1
	s_and_b32 exec_lo, exec_lo, s1
	s_cbranch_execz .LBB59_89
; %bb.84:
	v_cmp_ngt_f64_e64 s1, |v[158:159]|, |v[160:161]|
                                        ; implicit-def: $vgpr162_vgpr163
	s_and_saveexec_b32 s3, s1
	s_xor_b32 s1, exec_lo, s3
                                        ; implicit-def: $vgpr164_vgpr165
	s_cbranch_execz .LBB59_86
; %bb.85:
	v_div_scale_f64 v[162:163], null, v[160:161], v[160:161], v[158:159]
	v_div_scale_f64 v[168:169], vcc_lo, v[158:159], v[160:161], v[158:159]
	v_rcp_f64_e32 v[164:165], v[162:163]
	v_fma_f64 v[166:167], -v[162:163], v[164:165], 1.0
	v_fma_f64 v[164:165], v[164:165], v[166:167], v[164:165]
	v_fma_f64 v[166:167], -v[162:163], v[164:165], 1.0
	v_fma_f64 v[164:165], v[164:165], v[166:167], v[164:165]
	v_mul_f64 v[166:167], v[168:169], v[164:165]
	v_fma_f64 v[162:163], -v[162:163], v[166:167], v[168:169]
	v_div_fmas_f64 v[162:163], v[162:163], v[164:165], v[166:167]
	v_div_fixup_f64 v[162:163], v[162:163], v[160:161], v[158:159]
	v_fma_f64 v[158:159], v[158:159], v[162:163], v[160:161]
	v_div_scale_f64 v[160:161], null, v[158:159], v[158:159], 1.0
	v_rcp_f64_e32 v[164:165], v[160:161]
	v_fma_f64 v[166:167], -v[160:161], v[164:165], 1.0
	v_fma_f64 v[164:165], v[164:165], v[166:167], v[164:165]
	v_fma_f64 v[166:167], -v[160:161], v[164:165], 1.0
	v_fma_f64 v[164:165], v[164:165], v[166:167], v[164:165]
	v_div_scale_f64 v[166:167], vcc_lo, 1.0, v[158:159], 1.0
	v_mul_f64 v[168:169], v[166:167], v[164:165]
	v_fma_f64 v[160:161], -v[160:161], v[168:169], v[166:167]
	v_div_fmas_f64 v[160:161], v[160:161], v[164:165], v[168:169]
	v_div_fixup_f64 v[164:165], v[160:161], v[158:159], 1.0
                                        ; implicit-def: $vgpr158_vgpr159
	v_mul_f64 v[162:163], v[162:163], v[164:165]
	v_xor_b32_e32 v165, 0x80000000, v165
.LBB59_86:
	s_andn2_saveexec_b32 s1, s1
	s_cbranch_execz .LBB59_88
; %bb.87:
	v_div_scale_f64 v[162:163], null, v[158:159], v[158:159], v[160:161]
	v_div_scale_f64 v[168:169], vcc_lo, v[160:161], v[158:159], v[160:161]
	v_rcp_f64_e32 v[164:165], v[162:163]
	v_fma_f64 v[166:167], -v[162:163], v[164:165], 1.0
	v_fma_f64 v[164:165], v[164:165], v[166:167], v[164:165]
	v_fma_f64 v[166:167], -v[162:163], v[164:165], 1.0
	v_fma_f64 v[164:165], v[164:165], v[166:167], v[164:165]
	v_mul_f64 v[166:167], v[168:169], v[164:165]
	v_fma_f64 v[162:163], -v[162:163], v[166:167], v[168:169]
	v_div_fmas_f64 v[162:163], v[162:163], v[164:165], v[166:167]
	v_div_fixup_f64 v[164:165], v[162:163], v[158:159], v[160:161]
	v_fma_f64 v[158:159], v[160:161], v[164:165], v[158:159]
	v_div_scale_f64 v[160:161], null, v[158:159], v[158:159], 1.0
	v_rcp_f64_e32 v[162:163], v[160:161]
	v_fma_f64 v[166:167], -v[160:161], v[162:163], 1.0
	v_fma_f64 v[162:163], v[162:163], v[166:167], v[162:163]
	v_fma_f64 v[166:167], -v[160:161], v[162:163], 1.0
	v_fma_f64 v[162:163], v[162:163], v[166:167], v[162:163]
	v_div_scale_f64 v[166:167], vcc_lo, 1.0, v[158:159], 1.0
	v_mul_f64 v[168:169], v[166:167], v[162:163]
	v_fma_f64 v[160:161], -v[160:161], v[168:169], v[166:167]
	v_div_fmas_f64 v[160:161], v[160:161], v[162:163], v[168:169]
	v_div_fixup_f64 v[162:163], v[160:161], v[158:159], 1.0
	v_mul_f64 v[164:165], v[164:165], -v[162:163]
.LBB59_88:
	s_or_b32 exec_lo, exec_lo, s1
	ds_write2_b64 v1, v[162:163], v[164:165] offset1:1
.LBB59_89:
	s_or_b32 exec_lo, exec_lo, s2
	s_waitcnt lgkmcnt(0)
	s_barrier
	buffer_gl0_inv
	ds_read2_b64 v[158:161], v1 offset1:1
	s_mov_b32 s1, exec_lo
	v_cmpx_lt_u32_e32 9, v0
	s_cbranch_execz .LBB59_91
; %bb.90:
	s_waitcnt lgkmcnt(0)
	v_mul_f64 v[162:163], v[160:161], v[84:85]
	v_mul_f64 v[84:85], v[158:159], v[84:85]
	ds_read2_b64 v[164:167], v248 offset0:20 offset1:21
	v_fma_f64 v[162:163], v[158:159], v[82:83], -v[162:163]
	v_fma_f64 v[84:85], v[160:161], v[82:83], v[84:85]
	s_waitcnt lgkmcnt(0)
	v_mul_f64 v[82:83], v[166:167], v[84:85]
	v_fma_f64 v[82:83], v[164:165], v[162:163], -v[82:83]
	v_mul_f64 v[164:165], v[164:165], v[84:85]
	v_add_f64 v[78:79], v[78:79], -v[82:83]
	v_fma_f64 v[164:165], v[166:167], v[162:163], v[164:165]
	v_add_f64 v[80:81], v[80:81], -v[164:165]
	ds_read2_b64 v[164:167], v248 offset0:22 offset1:23
	s_waitcnt lgkmcnt(0)
	v_mul_f64 v[82:83], v[166:167], v[84:85]
	v_fma_f64 v[82:83], v[164:165], v[162:163], -v[82:83]
	v_mul_f64 v[164:165], v[164:165], v[84:85]
	v_add_f64 v[74:75], v[74:75], -v[82:83]
	v_fma_f64 v[164:165], v[166:167], v[162:163], v[164:165]
	v_add_f64 v[76:77], v[76:77], -v[164:165]
	ds_read2_b64 v[164:167], v248 offset0:24 offset1:25
	;; [unrolled: 8-line block ×19, first 2 shown]
	s_waitcnt lgkmcnt(0)
	v_mul_f64 v[82:83], v[166:167], v[84:85]
	v_fma_f64 v[82:83], v[164:165], v[162:163], -v[82:83]
	v_mul_f64 v[164:165], v[164:165], v[84:85]
	v_add_f64 v[2:3], v[2:3], -v[82:83]
	v_fma_f64 v[164:165], v[166:167], v[162:163], v[164:165]
	v_mov_b32_e32 v82, v162
	v_mov_b32_e32 v83, v163
	v_add_f64 v[4:5], v[4:5], -v[164:165]
.LBB59_91:
	s_or_b32 exec_lo, exec_lo, s1
	s_mov_b32 s2, exec_lo
	s_waitcnt lgkmcnt(0)
	s_barrier
	buffer_gl0_inv
	v_cmpx_eq_u32_e32 10, v0
	s_cbranch_execz .LBB59_98
; %bb.92:
	ds_write2_b64 v1, v[78:79], v[80:81] offset1:1
	ds_write2_b64 v248, v[74:75], v[76:77] offset0:22 offset1:23
	ds_write2_b64 v248, v[70:71], v[72:73] offset0:24 offset1:25
	;; [unrolled: 1-line block ×19, first 2 shown]
	ds_read2_b64 v[162:165], v1 offset1:1
	s_waitcnt lgkmcnt(0)
	v_cmp_neq_f64_e32 vcc_lo, 0, v[162:163]
	v_cmp_neq_f64_e64 s1, 0, v[164:165]
	s_or_b32 s1, vcc_lo, s1
	s_and_b32 exec_lo, exec_lo, s1
	s_cbranch_execz .LBB59_98
; %bb.93:
	v_cmp_ngt_f64_e64 s1, |v[162:163]|, |v[164:165]|
                                        ; implicit-def: $vgpr166_vgpr167
	s_and_saveexec_b32 s3, s1
	s_xor_b32 s1, exec_lo, s3
                                        ; implicit-def: $vgpr168_vgpr169
	s_cbranch_execz .LBB59_95
; %bb.94:
	v_div_scale_f64 v[166:167], null, v[164:165], v[164:165], v[162:163]
	v_div_scale_f64 v[172:173], vcc_lo, v[162:163], v[164:165], v[162:163]
	v_rcp_f64_e32 v[168:169], v[166:167]
	v_fma_f64 v[170:171], -v[166:167], v[168:169], 1.0
	v_fma_f64 v[168:169], v[168:169], v[170:171], v[168:169]
	v_fma_f64 v[170:171], -v[166:167], v[168:169], 1.0
	v_fma_f64 v[168:169], v[168:169], v[170:171], v[168:169]
	v_mul_f64 v[170:171], v[172:173], v[168:169]
	v_fma_f64 v[166:167], -v[166:167], v[170:171], v[172:173]
	v_div_fmas_f64 v[166:167], v[166:167], v[168:169], v[170:171]
	v_div_fixup_f64 v[166:167], v[166:167], v[164:165], v[162:163]
	v_fma_f64 v[162:163], v[162:163], v[166:167], v[164:165]
	v_div_scale_f64 v[164:165], null, v[162:163], v[162:163], 1.0
	v_rcp_f64_e32 v[168:169], v[164:165]
	v_fma_f64 v[170:171], -v[164:165], v[168:169], 1.0
	v_fma_f64 v[168:169], v[168:169], v[170:171], v[168:169]
	v_fma_f64 v[170:171], -v[164:165], v[168:169], 1.0
	v_fma_f64 v[168:169], v[168:169], v[170:171], v[168:169]
	v_div_scale_f64 v[170:171], vcc_lo, 1.0, v[162:163], 1.0
	v_mul_f64 v[172:173], v[170:171], v[168:169]
	v_fma_f64 v[164:165], -v[164:165], v[172:173], v[170:171]
	v_div_fmas_f64 v[164:165], v[164:165], v[168:169], v[172:173]
	v_div_fixup_f64 v[168:169], v[164:165], v[162:163], 1.0
                                        ; implicit-def: $vgpr162_vgpr163
	v_mul_f64 v[166:167], v[166:167], v[168:169]
	v_xor_b32_e32 v169, 0x80000000, v169
.LBB59_95:
	s_andn2_saveexec_b32 s1, s1
	s_cbranch_execz .LBB59_97
; %bb.96:
	v_div_scale_f64 v[166:167], null, v[162:163], v[162:163], v[164:165]
	v_div_scale_f64 v[172:173], vcc_lo, v[164:165], v[162:163], v[164:165]
	v_rcp_f64_e32 v[168:169], v[166:167]
	v_fma_f64 v[170:171], -v[166:167], v[168:169], 1.0
	v_fma_f64 v[168:169], v[168:169], v[170:171], v[168:169]
	v_fma_f64 v[170:171], -v[166:167], v[168:169], 1.0
	v_fma_f64 v[168:169], v[168:169], v[170:171], v[168:169]
	v_mul_f64 v[170:171], v[172:173], v[168:169]
	v_fma_f64 v[166:167], -v[166:167], v[170:171], v[172:173]
	v_div_fmas_f64 v[166:167], v[166:167], v[168:169], v[170:171]
	v_div_fixup_f64 v[168:169], v[166:167], v[162:163], v[164:165]
	v_fma_f64 v[162:163], v[164:165], v[168:169], v[162:163]
	v_div_scale_f64 v[164:165], null, v[162:163], v[162:163], 1.0
	v_rcp_f64_e32 v[166:167], v[164:165]
	v_fma_f64 v[170:171], -v[164:165], v[166:167], 1.0
	v_fma_f64 v[166:167], v[166:167], v[170:171], v[166:167]
	v_fma_f64 v[170:171], -v[164:165], v[166:167], 1.0
	v_fma_f64 v[166:167], v[166:167], v[170:171], v[166:167]
	v_div_scale_f64 v[170:171], vcc_lo, 1.0, v[162:163], 1.0
	v_mul_f64 v[172:173], v[170:171], v[166:167]
	v_fma_f64 v[164:165], -v[164:165], v[172:173], v[170:171]
	v_div_fmas_f64 v[164:165], v[164:165], v[166:167], v[172:173]
	v_div_fixup_f64 v[166:167], v[164:165], v[162:163], 1.0
	v_mul_f64 v[168:169], v[168:169], -v[166:167]
.LBB59_97:
	s_or_b32 exec_lo, exec_lo, s1
	ds_write2_b64 v1, v[166:167], v[168:169] offset1:1
.LBB59_98:
	s_or_b32 exec_lo, exec_lo, s2
	s_waitcnt lgkmcnt(0)
	s_barrier
	buffer_gl0_inv
	ds_read2_b64 v[162:165], v1 offset1:1
	s_mov_b32 s1, exec_lo
	v_cmpx_lt_u32_e32 10, v0
	s_cbranch_execz .LBB59_100
; %bb.99:
	s_waitcnt lgkmcnt(0)
	v_mul_f64 v[166:167], v[164:165], v[80:81]
	v_mul_f64 v[80:81], v[162:163], v[80:81]
	ds_read2_b64 v[168:171], v248 offset0:22 offset1:23
	v_fma_f64 v[166:167], v[162:163], v[78:79], -v[166:167]
	v_fma_f64 v[80:81], v[164:165], v[78:79], v[80:81]
	s_waitcnt lgkmcnt(0)
	v_mul_f64 v[78:79], v[170:171], v[80:81]
	v_fma_f64 v[78:79], v[168:169], v[166:167], -v[78:79]
	v_mul_f64 v[168:169], v[168:169], v[80:81]
	v_add_f64 v[74:75], v[74:75], -v[78:79]
	v_fma_f64 v[168:169], v[170:171], v[166:167], v[168:169]
	v_add_f64 v[76:77], v[76:77], -v[168:169]
	ds_read2_b64 v[168:171], v248 offset0:24 offset1:25
	s_waitcnt lgkmcnt(0)
	v_mul_f64 v[78:79], v[170:171], v[80:81]
	v_fma_f64 v[78:79], v[168:169], v[166:167], -v[78:79]
	v_mul_f64 v[168:169], v[168:169], v[80:81]
	v_add_f64 v[70:71], v[70:71], -v[78:79]
	v_fma_f64 v[168:169], v[170:171], v[166:167], v[168:169]
	v_add_f64 v[72:73], v[72:73], -v[168:169]
	ds_read2_b64 v[168:171], v248 offset0:26 offset1:27
	;; [unrolled: 8-line block ×18, first 2 shown]
	s_waitcnt lgkmcnt(0)
	v_mul_f64 v[78:79], v[170:171], v[80:81]
	v_fma_f64 v[78:79], v[168:169], v[166:167], -v[78:79]
	v_mul_f64 v[168:169], v[168:169], v[80:81]
	v_add_f64 v[2:3], v[2:3], -v[78:79]
	v_fma_f64 v[168:169], v[170:171], v[166:167], v[168:169]
	v_mov_b32_e32 v78, v166
	v_mov_b32_e32 v79, v167
	v_add_f64 v[4:5], v[4:5], -v[168:169]
.LBB59_100:
	s_or_b32 exec_lo, exec_lo, s1
	s_mov_b32 s2, exec_lo
	s_waitcnt lgkmcnt(0)
	s_barrier
	buffer_gl0_inv
	v_cmpx_eq_u32_e32 11, v0
	s_cbranch_execz .LBB59_107
; %bb.101:
	ds_write2_b64 v1, v[74:75], v[76:77] offset1:1
	ds_write2_b64 v248, v[70:71], v[72:73] offset0:24 offset1:25
	ds_write2_b64 v248, v[66:67], v[68:69] offset0:26 offset1:27
	;; [unrolled: 1-line block ×18, first 2 shown]
	ds_read2_b64 v[166:169], v1 offset1:1
	s_waitcnt lgkmcnt(0)
	v_cmp_neq_f64_e32 vcc_lo, 0, v[166:167]
	v_cmp_neq_f64_e64 s1, 0, v[168:169]
	s_or_b32 s1, vcc_lo, s1
	s_and_b32 exec_lo, exec_lo, s1
	s_cbranch_execz .LBB59_107
; %bb.102:
	v_cmp_ngt_f64_e64 s1, |v[166:167]|, |v[168:169]|
                                        ; implicit-def: $vgpr170_vgpr171
	s_and_saveexec_b32 s3, s1
	s_xor_b32 s1, exec_lo, s3
                                        ; implicit-def: $vgpr172_vgpr173
	s_cbranch_execz .LBB59_104
; %bb.103:
	v_div_scale_f64 v[170:171], null, v[168:169], v[168:169], v[166:167]
	v_div_scale_f64 v[176:177], vcc_lo, v[166:167], v[168:169], v[166:167]
	v_rcp_f64_e32 v[172:173], v[170:171]
	v_fma_f64 v[174:175], -v[170:171], v[172:173], 1.0
	v_fma_f64 v[172:173], v[172:173], v[174:175], v[172:173]
	v_fma_f64 v[174:175], -v[170:171], v[172:173], 1.0
	v_fma_f64 v[172:173], v[172:173], v[174:175], v[172:173]
	v_mul_f64 v[174:175], v[176:177], v[172:173]
	v_fma_f64 v[170:171], -v[170:171], v[174:175], v[176:177]
	v_div_fmas_f64 v[170:171], v[170:171], v[172:173], v[174:175]
	v_div_fixup_f64 v[170:171], v[170:171], v[168:169], v[166:167]
	v_fma_f64 v[166:167], v[166:167], v[170:171], v[168:169]
	v_div_scale_f64 v[168:169], null, v[166:167], v[166:167], 1.0
	v_rcp_f64_e32 v[172:173], v[168:169]
	v_fma_f64 v[174:175], -v[168:169], v[172:173], 1.0
	v_fma_f64 v[172:173], v[172:173], v[174:175], v[172:173]
	v_fma_f64 v[174:175], -v[168:169], v[172:173], 1.0
	v_fma_f64 v[172:173], v[172:173], v[174:175], v[172:173]
	v_div_scale_f64 v[174:175], vcc_lo, 1.0, v[166:167], 1.0
	v_mul_f64 v[176:177], v[174:175], v[172:173]
	v_fma_f64 v[168:169], -v[168:169], v[176:177], v[174:175]
	v_div_fmas_f64 v[168:169], v[168:169], v[172:173], v[176:177]
	v_div_fixup_f64 v[172:173], v[168:169], v[166:167], 1.0
                                        ; implicit-def: $vgpr166_vgpr167
	v_mul_f64 v[170:171], v[170:171], v[172:173]
	v_xor_b32_e32 v173, 0x80000000, v173
.LBB59_104:
	s_andn2_saveexec_b32 s1, s1
	s_cbranch_execz .LBB59_106
; %bb.105:
	v_div_scale_f64 v[170:171], null, v[166:167], v[166:167], v[168:169]
	v_div_scale_f64 v[176:177], vcc_lo, v[168:169], v[166:167], v[168:169]
	v_rcp_f64_e32 v[172:173], v[170:171]
	v_fma_f64 v[174:175], -v[170:171], v[172:173], 1.0
	v_fma_f64 v[172:173], v[172:173], v[174:175], v[172:173]
	v_fma_f64 v[174:175], -v[170:171], v[172:173], 1.0
	v_fma_f64 v[172:173], v[172:173], v[174:175], v[172:173]
	v_mul_f64 v[174:175], v[176:177], v[172:173]
	v_fma_f64 v[170:171], -v[170:171], v[174:175], v[176:177]
	v_div_fmas_f64 v[170:171], v[170:171], v[172:173], v[174:175]
	v_div_fixup_f64 v[172:173], v[170:171], v[166:167], v[168:169]
	v_fma_f64 v[166:167], v[168:169], v[172:173], v[166:167]
	v_div_scale_f64 v[168:169], null, v[166:167], v[166:167], 1.0
	v_rcp_f64_e32 v[170:171], v[168:169]
	v_fma_f64 v[174:175], -v[168:169], v[170:171], 1.0
	v_fma_f64 v[170:171], v[170:171], v[174:175], v[170:171]
	v_fma_f64 v[174:175], -v[168:169], v[170:171], 1.0
	v_fma_f64 v[170:171], v[170:171], v[174:175], v[170:171]
	v_div_scale_f64 v[174:175], vcc_lo, 1.0, v[166:167], 1.0
	v_mul_f64 v[176:177], v[174:175], v[170:171]
	v_fma_f64 v[168:169], -v[168:169], v[176:177], v[174:175]
	v_div_fmas_f64 v[168:169], v[168:169], v[170:171], v[176:177]
	v_div_fixup_f64 v[170:171], v[168:169], v[166:167], 1.0
	v_mul_f64 v[172:173], v[172:173], -v[170:171]
.LBB59_106:
	s_or_b32 exec_lo, exec_lo, s1
	ds_write2_b64 v1, v[170:171], v[172:173] offset1:1
.LBB59_107:
	s_or_b32 exec_lo, exec_lo, s2
	s_waitcnt lgkmcnt(0)
	s_barrier
	buffer_gl0_inv
	ds_read2_b64 v[166:169], v1 offset1:1
	s_mov_b32 s1, exec_lo
	v_cmpx_lt_u32_e32 11, v0
	s_cbranch_execz .LBB59_109
; %bb.108:
	s_waitcnt lgkmcnt(0)
	v_mul_f64 v[170:171], v[168:169], v[76:77]
	v_mul_f64 v[76:77], v[166:167], v[76:77]
	ds_read2_b64 v[172:175], v248 offset0:24 offset1:25
	v_fma_f64 v[170:171], v[166:167], v[74:75], -v[170:171]
	v_fma_f64 v[76:77], v[168:169], v[74:75], v[76:77]
	s_waitcnt lgkmcnt(0)
	v_mul_f64 v[74:75], v[174:175], v[76:77]
	v_fma_f64 v[74:75], v[172:173], v[170:171], -v[74:75]
	v_mul_f64 v[172:173], v[172:173], v[76:77]
	v_add_f64 v[70:71], v[70:71], -v[74:75]
	v_fma_f64 v[172:173], v[174:175], v[170:171], v[172:173]
	v_add_f64 v[72:73], v[72:73], -v[172:173]
	ds_read2_b64 v[172:175], v248 offset0:26 offset1:27
	s_waitcnt lgkmcnt(0)
	v_mul_f64 v[74:75], v[174:175], v[76:77]
	v_fma_f64 v[74:75], v[172:173], v[170:171], -v[74:75]
	v_mul_f64 v[172:173], v[172:173], v[76:77]
	v_add_f64 v[66:67], v[66:67], -v[74:75]
	v_fma_f64 v[172:173], v[174:175], v[170:171], v[172:173]
	v_add_f64 v[68:69], v[68:69], -v[172:173]
	ds_read2_b64 v[172:175], v248 offset0:28 offset1:29
	;; [unrolled: 8-line block ×17, first 2 shown]
	s_waitcnt lgkmcnt(0)
	v_mul_f64 v[74:75], v[174:175], v[76:77]
	v_fma_f64 v[74:75], v[172:173], v[170:171], -v[74:75]
	v_mul_f64 v[172:173], v[172:173], v[76:77]
	v_add_f64 v[2:3], v[2:3], -v[74:75]
	v_fma_f64 v[172:173], v[174:175], v[170:171], v[172:173]
	v_mov_b32_e32 v74, v170
	v_mov_b32_e32 v75, v171
	v_add_f64 v[4:5], v[4:5], -v[172:173]
.LBB59_109:
	s_or_b32 exec_lo, exec_lo, s1
	s_mov_b32 s2, exec_lo
	s_waitcnt lgkmcnt(0)
	s_barrier
	buffer_gl0_inv
	v_cmpx_eq_u32_e32 12, v0
	s_cbranch_execz .LBB59_116
; %bb.110:
	ds_write2_b64 v1, v[70:71], v[72:73] offset1:1
	ds_write2_b64 v248, v[66:67], v[68:69] offset0:26 offset1:27
	ds_write2_b64 v248, v[62:63], v[64:65] offset0:28 offset1:29
	;; [unrolled: 1-line block ×17, first 2 shown]
	ds_read2_b64 v[170:173], v1 offset1:1
	s_waitcnt lgkmcnt(0)
	v_cmp_neq_f64_e32 vcc_lo, 0, v[170:171]
	v_cmp_neq_f64_e64 s1, 0, v[172:173]
	s_or_b32 s1, vcc_lo, s1
	s_and_b32 exec_lo, exec_lo, s1
	s_cbranch_execz .LBB59_116
; %bb.111:
	v_cmp_ngt_f64_e64 s1, |v[170:171]|, |v[172:173]|
                                        ; implicit-def: $vgpr174_vgpr175
	s_and_saveexec_b32 s3, s1
	s_xor_b32 s1, exec_lo, s3
                                        ; implicit-def: $vgpr176_vgpr177
	s_cbranch_execz .LBB59_113
; %bb.112:
	v_div_scale_f64 v[174:175], null, v[172:173], v[172:173], v[170:171]
	v_div_scale_f64 v[180:181], vcc_lo, v[170:171], v[172:173], v[170:171]
	v_rcp_f64_e32 v[176:177], v[174:175]
	v_fma_f64 v[178:179], -v[174:175], v[176:177], 1.0
	v_fma_f64 v[176:177], v[176:177], v[178:179], v[176:177]
	v_fma_f64 v[178:179], -v[174:175], v[176:177], 1.0
	v_fma_f64 v[176:177], v[176:177], v[178:179], v[176:177]
	v_mul_f64 v[178:179], v[180:181], v[176:177]
	v_fma_f64 v[174:175], -v[174:175], v[178:179], v[180:181]
	v_div_fmas_f64 v[174:175], v[174:175], v[176:177], v[178:179]
	v_div_fixup_f64 v[174:175], v[174:175], v[172:173], v[170:171]
	v_fma_f64 v[170:171], v[170:171], v[174:175], v[172:173]
	v_div_scale_f64 v[172:173], null, v[170:171], v[170:171], 1.0
	v_rcp_f64_e32 v[176:177], v[172:173]
	v_fma_f64 v[178:179], -v[172:173], v[176:177], 1.0
	v_fma_f64 v[176:177], v[176:177], v[178:179], v[176:177]
	v_fma_f64 v[178:179], -v[172:173], v[176:177], 1.0
	v_fma_f64 v[176:177], v[176:177], v[178:179], v[176:177]
	v_div_scale_f64 v[178:179], vcc_lo, 1.0, v[170:171], 1.0
	v_mul_f64 v[180:181], v[178:179], v[176:177]
	v_fma_f64 v[172:173], -v[172:173], v[180:181], v[178:179]
	v_div_fmas_f64 v[172:173], v[172:173], v[176:177], v[180:181]
	v_div_fixup_f64 v[176:177], v[172:173], v[170:171], 1.0
                                        ; implicit-def: $vgpr170_vgpr171
	v_mul_f64 v[174:175], v[174:175], v[176:177]
	v_xor_b32_e32 v177, 0x80000000, v177
.LBB59_113:
	s_andn2_saveexec_b32 s1, s1
	s_cbranch_execz .LBB59_115
; %bb.114:
	v_div_scale_f64 v[174:175], null, v[170:171], v[170:171], v[172:173]
	v_div_scale_f64 v[180:181], vcc_lo, v[172:173], v[170:171], v[172:173]
	v_rcp_f64_e32 v[176:177], v[174:175]
	v_fma_f64 v[178:179], -v[174:175], v[176:177], 1.0
	v_fma_f64 v[176:177], v[176:177], v[178:179], v[176:177]
	v_fma_f64 v[178:179], -v[174:175], v[176:177], 1.0
	v_fma_f64 v[176:177], v[176:177], v[178:179], v[176:177]
	v_mul_f64 v[178:179], v[180:181], v[176:177]
	v_fma_f64 v[174:175], -v[174:175], v[178:179], v[180:181]
	v_div_fmas_f64 v[174:175], v[174:175], v[176:177], v[178:179]
	v_div_fixup_f64 v[176:177], v[174:175], v[170:171], v[172:173]
	v_fma_f64 v[170:171], v[172:173], v[176:177], v[170:171]
	v_div_scale_f64 v[172:173], null, v[170:171], v[170:171], 1.0
	v_rcp_f64_e32 v[174:175], v[172:173]
	v_fma_f64 v[178:179], -v[172:173], v[174:175], 1.0
	v_fma_f64 v[174:175], v[174:175], v[178:179], v[174:175]
	v_fma_f64 v[178:179], -v[172:173], v[174:175], 1.0
	v_fma_f64 v[174:175], v[174:175], v[178:179], v[174:175]
	v_div_scale_f64 v[178:179], vcc_lo, 1.0, v[170:171], 1.0
	v_mul_f64 v[180:181], v[178:179], v[174:175]
	v_fma_f64 v[172:173], -v[172:173], v[180:181], v[178:179]
	v_div_fmas_f64 v[172:173], v[172:173], v[174:175], v[180:181]
	v_div_fixup_f64 v[174:175], v[172:173], v[170:171], 1.0
	v_mul_f64 v[176:177], v[176:177], -v[174:175]
.LBB59_115:
	s_or_b32 exec_lo, exec_lo, s1
	ds_write2_b64 v1, v[174:175], v[176:177] offset1:1
.LBB59_116:
	s_or_b32 exec_lo, exec_lo, s2
	s_waitcnt lgkmcnt(0)
	s_barrier
	buffer_gl0_inv
	ds_read2_b64 v[170:173], v1 offset1:1
	s_mov_b32 s1, exec_lo
	v_cmpx_lt_u32_e32 12, v0
	s_cbranch_execz .LBB59_118
; %bb.117:
	s_waitcnt lgkmcnt(0)
	v_mul_f64 v[174:175], v[172:173], v[72:73]
	v_mul_f64 v[72:73], v[170:171], v[72:73]
	ds_read2_b64 v[176:179], v248 offset0:26 offset1:27
	v_fma_f64 v[174:175], v[170:171], v[70:71], -v[174:175]
	v_fma_f64 v[72:73], v[172:173], v[70:71], v[72:73]
	s_waitcnt lgkmcnt(0)
	v_mul_f64 v[70:71], v[178:179], v[72:73]
	v_fma_f64 v[70:71], v[176:177], v[174:175], -v[70:71]
	v_mul_f64 v[176:177], v[176:177], v[72:73]
	v_add_f64 v[66:67], v[66:67], -v[70:71]
	v_fma_f64 v[176:177], v[178:179], v[174:175], v[176:177]
	v_add_f64 v[68:69], v[68:69], -v[176:177]
	ds_read2_b64 v[176:179], v248 offset0:28 offset1:29
	s_waitcnt lgkmcnt(0)
	v_mul_f64 v[70:71], v[178:179], v[72:73]
	v_fma_f64 v[70:71], v[176:177], v[174:175], -v[70:71]
	v_mul_f64 v[176:177], v[176:177], v[72:73]
	v_add_f64 v[62:63], v[62:63], -v[70:71]
	v_fma_f64 v[176:177], v[178:179], v[174:175], v[176:177]
	v_add_f64 v[64:65], v[64:65], -v[176:177]
	ds_read2_b64 v[176:179], v248 offset0:30 offset1:31
	;; [unrolled: 8-line block ×16, first 2 shown]
	s_waitcnt lgkmcnt(0)
	v_mul_f64 v[70:71], v[178:179], v[72:73]
	v_fma_f64 v[70:71], v[176:177], v[174:175], -v[70:71]
	v_mul_f64 v[176:177], v[176:177], v[72:73]
	v_add_f64 v[2:3], v[2:3], -v[70:71]
	v_fma_f64 v[176:177], v[178:179], v[174:175], v[176:177]
	v_mov_b32_e32 v70, v174
	v_mov_b32_e32 v71, v175
	v_add_f64 v[4:5], v[4:5], -v[176:177]
.LBB59_118:
	s_or_b32 exec_lo, exec_lo, s1
	s_mov_b32 s2, exec_lo
	s_waitcnt lgkmcnt(0)
	s_barrier
	buffer_gl0_inv
	v_cmpx_eq_u32_e32 13, v0
	s_cbranch_execz .LBB59_125
; %bb.119:
	ds_write2_b64 v1, v[66:67], v[68:69] offset1:1
	ds_write2_b64 v248, v[62:63], v[64:65] offset0:28 offset1:29
	ds_write2_b64 v248, v[58:59], v[60:61] offset0:30 offset1:31
	;; [unrolled: 1-line block ×16, first 2 shown]
	ds_read2_b64 v[174:177], v1 offset1:1
	s_waitcnt lgkmcnt(0)
	v_cmp_neq_f64_e32 vcc_lo, 0, v[174:175]
	v_cmp_neq_f64_e64 s1, 0, v[176:177]
	s_or_b32 s1, vcc_lo, s1
	s_and_b32 exec_lo, exec_lo, s1
	s_cbranch_execz .LBB59_125
; %bb.120:
	v_cmp_ngt_f64_e64 s1, |v[174:175]|, |v[176:177]|
                                        ; implicit-def: $vgpr178_vgpr179
	s_and_saveexec_b32 s3, s1
	s_xor_b32 s1, exec_lo, s3
                                        ; implicit-def: $vgpr180_vgpr181
	s_cbranch_execz .LBB59_122
; %bb.121:
	v_div_scale_f64 v[178:179], null, v[176:177], v[176:177], v[174:175]
	v_div_scale_f64 v[184:185], vcc_lo, v[174:175], v[176:177], v[174:175]
	v_rcp_f64_e32 v[180:181], v[178:179]
	v_fma_f64 v[182:183], -v[178:179], v[180:181], 1.0
	v_fma_f64 v[180:181], v[180:181], v[182:183], v[180:181]
	v_fma_f64 v[182:183], -v[178:179], v[180:181], 1.0
	v_fma_f64 v[180:181], v[180:181], v[182:183], v[180:181]
	v_mul_f64 v[182:183], v[184:185], v[180:181]
	v_fma_f64 v[178:179], -v[178:179], v[182:183], v[184:185]
	v_div_fmas_f64 v[178:179], v[178:179], v[180:181], v[182:183]
	v_div_fixup_f64 v[178:179], v[178:179], v[176:177], v[174:175]
	v_fma_f64 v[174:175], v[174:175], v[178:179], v[176:177]
	v_div_scale_f64 v[176:177], null, v[174:175], v[174:175], 1.0
	v_rcp_f64_e32 v[180:181], v[176:177]
	v_fma_f64 v[182:183], -v[176:177], v[180:181], 1.0
	v_fma_f64 v[180:181], v[180:181], v[182:183], v[180:181]
	v_fma_f64 v[182:183], -v[176:177], v[180:181], 1.0
	v_fma_f64 v[180:181], v[180:181], v[182:183], v[180:181]
	v_div_scale_f64 v[182:183], vcc_lo, 1.0, v[174:175], 1.0
	v_mul_f64 v[184:185], v[182:183], v[180:181]
	v_fma_f64 v[176:177], -v[176:177], v[184:185], v[182:183]
	v_div_fmas_f64 v[176:177], v[176:177], v[180:181], v[184:185]
	v_div_fixup_f64 v[180:181], v[176:177], v[174:175], 1.0
                                        ; implicit-def: $vgpr174_vgpr175
	v_mul_f64 v[178:179], v[178:179], v[180:181]
	v_xor_b32_e32 v181, 0x80000000, v181
.LBB59_122:
	s_andn2_saveexec_b32 s1, s1
	s_cbranch_execz .LBB59_124
; %bb.123:
	v_div_scale_f64 v[178:179], null, v[174:175], v[174:175], v[176:177]
	v_div_scale_f64 v[184:185], vcc_lo, v[176:177], v[174:175], v[176:177]
	v_rcp_f64_e32 v[180:181], v[178:179]
	v_fma_f64 v[182:183], -v[178:179], v[180:181], 1.0
	v_fma_f64 v[180:181], v[180:181], v[182:183], v[180:181]
	v_fma_f64 v[182:183], -v[178:179], v[180:181], 1.0
	v_fma_f64 v[180:181], v[180:181], v[182:183], v[180:181]
	v_mul_f64 v[182:183], v[184:185], v[180:181]
	v_fma_f64 v[178:179], -v[178:179], v[182:183], v[184:185]
	v_div_fmas_f64 v[178:179], v[178:179], v[180:181], v[182:183]
	v_div_fixup_f64 v[180:181], v[178:179], v[174:175], v[176:177]
	v_fma_f64 v[174:175], v[176:177], v[180:181], v[174:175]
	v_div_scale_f64 v[176:177], null, v[174:175], v[174:175], 1.0
	v_rcp_f64_e32 v[178:179], v[176:177]
	v_fma_f64 v[182:183], -v[176:177], v[178:179], 1.0
	v_fma_f64 v[178:179], v[178:179], v[182:183], v[178:179]
	v_fma_f64 v[182:183], -v[176:177], v[178:179], 1.0
	v_fma_f64 v[178:179], v[178:179], v[182:183], v[178:179]
	v_div_scale_f64 v[182:183], vcc_lo, 1.0, v[174:175], 1.0
	v_mul_f64 v[184:185], v[182:183], v[178:179]
	v_fma_f64 v[176:177], -v[176:177], v[184:185], v[182:183]
	v_div_fmas_f64 v[176:177], v[176:177], v[178:179], v[184:185]
	v_div_fixup_f64 v[178:179], v[176:177], v[174:175], 1.0
	v_mul_f64 v[180:181], v[180:181], -v[178:179]
.LBB59_124:
	s_or_b32 exec_lo, exec_lo, s1
	ds_write2_b64 v1, v[178:179], v[180:181] offset1:1
.LBB59_125:
	s_or_b32 exec_lo, exec_lo, s2
	s_waitcnt lgkmcnt(0)
	s_barrier
	buffer_gl0_inv
	ds_read2_b64 v[174:177], v1 offset1:1
	s_mov_b32 s1, exec_lo
	v_cmpx_lt_u32_e32 13, v0
	s_cbranch_execz .LBB59_127
; %bb.126:
	s_waitcnt lgkmcnt(0)
	v_mul_f64 v[178:179], v[174:175], v[68:69]
	v_mul_f64 v[68:69], v[176:177], v[68:69]
	ds_read2_b64 v[180:183], v248 offset0:28 offset1:29
	v_fma_f64 v[178:179], v[176:177], v[66:67], v[178:179]
	v_fma_f64 v[66:67], v[174:175], v[66:67], -v[68:69]
	s_waitcnt lgkmcnt(0)
	v_mul_f64 v[68:69], v[182:183], v[178:179]
	v_fma_f64 v[68:69], v[180:181], v[66:67], -v[68:69]
	v_mul_f64 v[180:181], v[180:181], v[178:179]
	v_add_f64 v[62:63], v[62:63], -v[68:69]
	v_fma_f64 v[180:181], v[182:183], v[66:67], v[180:181]
	v_add_f64 v[64:65], v[64:65], -v[180:181]
	ds_read2_b64 v[180:183], v248 offset0:30 offset1:31
	s_waitcnt lgkmcnt(0)
	v_mul_f64 v[68:69], v[182:183], v[178:179]
	v_fma_f64 v[68:69], v[180:181], v[66:67], -v[68:69]
	v_mul_f64 v[180:181], v[180:181], v[178:179]
	v_add_f64 v[58:59], v[58:59], -v[68:69]
	v_fma_f64 v[180:181], v[182:183], v[66:67], v[180:181]
	v_add_f64 v[60:61], v[60:61], -v[180:181]
	ds_read2_b64 v[180:183], v248 offset0:32 offset1:33
	;; [unrolled: 8-line block ×15, first 2 shown]
	s_waitcnt lgkmcnt(0)
	v_mul_f64 v[68:69], v[182:183], v[178:179]
	v_fma_f64 v[68:69], v[180:181], v[66:67], -v[68:69]
	v_mul_f64 v[180:181], v[180:181], v[178:179]
	v_add_f64 v[2:3], v[2:3], -v[68:69]
	v_fma_f64 v[180:181], v[182:183], v[66:67], v[180:181]
	v_mov_b32_e32 v68, v178
	v_mov_b32_e32 v69, v179
	v_add_f64 v[4:5], v[4:5], -v[180:181]
.LBB59_127:
	s_or_b32 exec_lo, exec_lo, s1
	s_mov_b32 s2, exec_lo
	s_waitcnt lgkmcnt(0)
	s_barrier
	buffer_gl0_inv
	v_cmpx_eq_u32_e32 14, v0
	s_cbranch_execz .LBB59_134
; %bb.128:
	ds_write2_b64 v1, v[62:63], v[64:65] offset1:1
	ds_write2_b64 v248, v[58:59], v[60:61] offset0:30 offset1:31
	ds_write2_b64 v248, v[54:55], v[56:57] offset0:32 offset1:33
	;; [unrolled: 1-line block ×15, first 2 shown]
	ds_read2_b64 v[178:181], v1 offset1:1
	s_waitcnt lgkmcnt(0)
	v_cmp_neq_f64_e32 vcc_lo, 0, v[178:179]
	v_cmp_neq_f64_e64 s1, 0, v[180:181]
	s_or_b32 s1, vcc_lo, s1
	s_and_b32 exec_lo, exec_lo, s1
	s_cbranch_execz .LBB59_134
; %bb.129:
	v_cmp_ngt_f64_e64 s1, |v[178:179]|, |v[180:181]|
                                        ; implicit-def: $vgpr182_vgpr183
	s_and_saveexec_b32 s3, s1
	s_xor_b32 s1, exec_lo, s3
                                        ; implicit-def: $vgpr184_vgpr185
	s_cbranch_execz .LBB59_131
; %bb.130:
	v_div_scale_f64 v[182:183], null, v[180:181], v[180:181], v[178:179]
	v_div_scale_f64 v[188:189], vcc_lo, v[178:179], v[180:181], v[178:179]
	v_rcp_f64_e32 v[184:185], v[182:183]
	v_fma_f64 v[186:187], -v[182:183], v[184:185], 1.0
	v_fma_f64 v[184:185], v[184:185], v[186:187], v[184:185]
	v_fma_f64 v[186:187], -v[182:183], v[184:185], 1.0
	v_fma_f64 v[184:185], v[184:185], v[186:187], v[184:185]
	v_mul_f64 v[186:187], v[188:189], v[184:185]
	v_fma_f64 v[182:183], -v[182:183], v[186:187], v[188:189]
	v_div_fmas_f64 v[182:183], v[182:183], v[184:185], v[186:187]
	v_div_fixup_f64 v[182:183], v[182:183], v[180:181], v[178:179]
	v_fma_f64 v[178:179], v[178:179], v[182:183], v[180:181]
	v_div_scale_f64 v[180:181], null, v[178:179], v[178:179], 1.0
	v_rcp_f64_e32 v[184:185], v[180:181]
	v_fma_f64 v[186:187], -v[180:181], v[184:185], 1.0
	v_fma_f64 v[184:185], v[184:185], v[186:187], v[184:185]
	v_fma_f64 v[186:187], -v[180:181], v[184:185], 1.0
	v_fma_f64 v[184:185], v[184:185], v[186:187], v[184:185]
	v_div_scale_f64 v[186:187], vcc_lo, 1.0, v[178:179], 1.0
	v_mul_f64 v[188:189], v[186:187], v[184:185]
	v_fma_f64 v[180:181], -v[180:181], v[188:189], v[186:187]
	v_div_fmas_f64 v[180:181], v[180:181], v[184:185], v[188:189]
	v_div_fixup_f64 v[184:185], v[180:181], v[178:179], 1.0
                                        ; implicit-def: $vgpr178_vgpr179
	v_mul_f64 v[182:183], v[182:183], v[184:185]
	v_xor_b32_e32 v185, 0x80000000, v185
.LBB59_131:
	s_andn2_saveexec_b32 s1, s1
	s_cbranch_execz .LBB59_133
; %bb.132:
	v_div_scale_f64 v[182:183], null, v[178:179], v[178:179], v[180:181]
	v_div_scale_f64 v[188:189], vcc_lo, v[180:181], v[178:179], v[180:181]
	v_rcp_f64_e32 v[184:185], v[182:183]
	v_fma_f64 v[186:187], -v[182:183], v[184:185], 1.0
	v_fma_f64 v[184:185], v[184:185], v[186:187], v[184:185]
	v_fma_f64 v[186:187], -v[182:183], v[184:185], 1.0
	v_fma_f64 v[184:185], v[184:185], v[186:187], v[184:185]
	v_mul_f64 v[186:187], v[188:189], v[184:185]
	v_fma_f64 v[182:183], -v[182:183], v[186:187], v[188:189]
	v_div_fmas_f64 v[182:183], v[182:183], v[184:185], v[186:187]
	v_div_fixup_f64 v[184:185], v[182:183], v[178:179], v[180:181]
	v_fma_f64 v[178:179], v[180:181], v[184:185], v[178:179]
	v_div_scale_f64 v[180:181], null, v[178:179], v[178:179], 1.0
	v_rcp_f64_e32 v[182:183], v[180:181]
	v_fma_f64 v[186:187], -v[180:181], v[182:183], 1.0
	v_fma_f64 v[182:183], v[182:183], v[186:187], v[182:183]
	v_fma_f64 v[186:187], -v[180:181], v[182:183], 1.0
	v_fma_f64 v[182:183], v[182:183], v[186:187], v[182:183]
	v_div_scale_f64 v[186:187], vcc_lo, 1.0, v[178:179], 1.0
	v_mul_f64 v[188:189], v[186:187], v[182:183]
	v_fma_f64 v[180:181], -v[180:181], v[188:189], v[186:187]
	v_div_fmas_f64 v[180:181], v[180:181], v[182:183], v[188:189]
	v_div_fixup_f64 v[182:183], v[180:181], v[178:179], 1.0
	v_mul_f64 v[184:185], v[184:185], -v[182:183]
.LBB59_133:
	s_or_b32 exec_lo, exec_lo, s1
	ds_write2_b64 v1, v[182:183], v[184:185] offset1:1
.LBB59_134:
	s_or_b32 exec_lo, exec_lo, s2
	s_waitcnt lgkmcnt(0)
	s_barrier
	buffer_gl0_inv
	ds_read2_b64 v[178:181], v1 offset1:1
	s_mov_b32 s1, exec_lo
	v_cmpx_lt_u32_e32 14, v0
	s_cbranch_execz .LBB59_136
; %bb.135:
	s_waitcnt lgkmcnt(0)
	v_mul_f64 v[182:183], v[178:179], v[64:65]
	v_mul_f64 v[64:65], v[180:181], v[64:65]
	ds_read2_b64 v[184:187], v248 offset0:30 offset1:31
	v_fma_f64 v[182:183], v[180:181], v[62:63], v[182:183]
	v_fma_f64 v[62:63], v[178:179], v[62:63], -v[64:65]
	s_waitcnt lgkmcnt(0)
	v_mul_f64 v[64:65], v[186:187], v[182:183]
	v_fma_f64 v[64:65], v[184:185], v[62:63], -v[64:65]
	v_mul_f64 v[184:185], v[184:185], v[182:183]
	v_add_f64 v[58:59], v[58:59], -v[64:65]
	v_fma_f64 v[184:185], v[186:187], v[62:63], v[184:185]
	v_add_f64 v[60:61], v[60:61], -v[184:185]
	ds_read2_b64 v[184:187], v248 offset0:32 offset1:33
	s_waitcnt lgkmcnt(0)
	v_mul_f64 v[64:65], v[186:187], v[182:183]
	v_fma_f64 v[64:65], v[184:185], v[62:63], -v[64:65]
	v_mul_f64 v[184:185], v[184:185], v[182:183]
	v_add_f64 v[54:55], v[54:55], -v[64:65]
	v_fma_f64 v[184:185], v[186:187], v[62:63], v[184:185]
	v_add_f64 v[56:57], v[56:57], -v[184:185]
	ds_read2_b64 v[184:187], v248 offset0:34 offset1:35
	;; [unrolled: 8-line block ×14, first 2 shown]
	s_waitcnt lgkmcnt(0)
	v_mul_f64 v[64:65], v[186:187], v[182:183]
	v_fma_f64 v[64:65], v[184:185], v[62:63], -v[64:65]
	v_mul_f64 v[184:185], v[184:185], v[182:183]
	v_add_f64 v[2:3], v[2:3], -v[64:65]
	v_fma_f64 v[184:185], v[186:187], v[62:63], v[184:185]
	v_mov_b32_e32 v64, v182
	v_mov_b32_e32 v65, v183
	v_add_f64 v[4:5], v[4:5], -v[184:185]
.LBB59_136:
	s_or_b32 exec_lo, exec_lo, s1
	s_mov_b32 s2, exec_lo
	s_waitcnt lgkmcnt(0)
	s_barrier
	buffer_gl0_inv
	v_cmpx_eq_u32_e32 15, v0
	s_cbranch_execz .LBB59_143
; %bb.137:
	ds_write2_b64 v1, v[58:59], v[60:61] offset1:1
	ds_write2_b64 v248, v[54:55], v[56:57] offset0:32 offset1:33
	ds_write2_b64 v248, v[50:51], v[52:53] offset0:34 offset1:35
	;; [unrolled: 1-line block ×14, first 2 shown]
	ds_read2_b64 v[182:185], v1 offset1:1
	s_waitcnt lgkmcnt(0)
	v_cmp_neq_f64_e32 vcc_lo, 0, v[182:183]
	v_cmp_neq_f64_e64 s1, 0, v[184:185]
	s_or_b32 s1, vcc_lo, s1
	s_and_b32 exec_lo, exec_lo, s1
	s_cbranch_execz .LBB59_143
; %bb.138:
	v_cmp_ngt_f64_e64 s1, |v[182:183]|, |v[184:185]|
                                        ; implicit-def: $vgpr186_vgpr187
	s_and_saveexec_b32 s3, s1
	s_xor_b32 s1, exec_lo, s3
                                        ; implicit-def: $vgpr188_vgpr189
	s_cbranch_execz .LBB59_140
; %bb.139:
	v_div_scale_f64 v[186:187], null, v[184:185], v[184:185], v[182:183]
	v_div_scale_f64 v[192:193], vcc_lo, v[182:183], v[184:185], v[182:183]
	v_rcp_f64_e32 v[188:189], v[186:187]
	v_fma_f64 v[190:191], -v[186:187], v[188:189], 1.0
	v_fma_f64 v[188:189], v[188:189], v[190:191], v[188:189]
	v_fma_f64 v[190:191], -v[186:187], v[188:189], 1.0
	v_fma_f64 v[188:189], v[188:189], v[190:191], v[188:189]
	v_mul_f64 v[190:191], v[192:193], v[188:189]
	v_fma_f64 v[186:187], -v[186:187], v[190:191], v[192:193]
	v_div_fmas_f64 v[186:187], v[186:187], v[188:189], v[190:191]
	v_div_fixup_f64 v[186:187], v[186:187], v[184:185], v[182:183]
	v_fma_f64 v[182:183], v[182:183], v[186:187], v[184:185]
	v_div_scale_f64 v[184:185], null, v[182:183], v[182:183], 1.0
	v_rcp_f64_e32 v[188:189], v[184:185]
	v_fma_f64 v[190:191], -v[184:185], v[188:189], 1.0
	v_fma_f64 v[188:189], v[188:189], v[190:191], v[188:189]
	v_fma_f64 v[190:191], -v[184:185], v[188:189], 1.0
	v_fma_f64 v[188:189], v[188:189], v[190:191], v[188:189]
	v_div_scale_f64 v[190:191], vcc_lo, 1.0, v[182:183], 1.0
	v_mul_f64 v[192:193], v[190:191], v[188:189]
	v_fma_f64 v[184:185], -v[184:185], v[192:193], v[190:191]
	v_div_fmas_f64 v[184:185], v[184:185], v[188:189], v[192:193]
	v_div_fixup_f64 v[188:189], v[184:185], v[182:183], 1.0
                                        ; implicit-def: $vgpr182_vgpr183
	v_mul_f64 v[186:187], v[186:187], v[188:189]
	v_xor_b32_e32 v189, 0x80000000, v189
.LBB59_140:
	s_andn2_saveexec_b32 s1, s1
	s_cbranch_execz .LBB59_142
; %bb.141:
	v_div_scale_f64 v[186:187], null, v[182:183], v[182:183], v[184:185]
	v_div_scale_f64 v[192:193], vcc_lo, v[184:185], v[182:183], v[184:185]
	v_rcp_f64_e32 v[188:189], v[186:187]
	v_fma_f64 v[190:191], -v[186:187], v[188:189], 1.0
	v_fma_f64 v[188:189], v[188:189], v[190:191], v[188:189]
	v_fma_f64 v[190:191], -v[186:187], v[188:189], 1.0
	v_fma_f64 v[188:189], v[188:189], v[190:191], v[188:189]
	v_mul_f64 v[190:191], v[192:193], v[188:189]
	v_fma_f64 v[186:187], -v[186:187], v[190:191], v[192:193]
	v_div_fmas_f64 v[186:187], v[186:187], v[188:189], v[190:191]
	v_div_fixup_f64 v[188:189], v[186:187], v[182:183], v[184:185]
	v_fma_f64 v[182:183], v[184:185], v[188:189], v[182:183]
	v_div_scale_f64 v[184:185], null, v[182:183], v[182:183], 1.0
	v_rcp_f64_e32 v[186:187], v[184:185]
	v_fma_f64 v[190:191], -v[184:185], v[186:187], 1.0
	v_fma_f64 v[186:187], v[186:187], v[190:191], v[186:187]
	v_fma_f64 v[190:191], -v[184:185], v[186:187], 1.0
	v_fma_f64 v[186:187], v[186:187], v[190:191], v[186:187]
	v_div_scale_f64 v[190:191], vcc_lo, 1.0, v[182:183], 1.0
	v_mul_f64 v[192:193], v[190:191], v[186:187]
	v_fma_f64 v[184:185], -v[184:185], v[192:193], v[190:191]
	v_div_fmas_f64 v[184:185], v[184:185], v[186:187], v[192:193]
	v_div_fixup_f64 v[186:187], v[184:185], v[182:183], 1.0
	v_mul_f64 v[188:189], v[188:189], -v[186:187]
.LBB59_142:
	s_or_b32 exec_lo, exec_lo, s1
	ds_write2_b64 v1, v[186:187], v[188:189] offset1:1
.LBB59_143:
	s_or_b32 exec_lo, exec_lo, s2
	s_waitcnt lgkmcnt(0)
	s_barrier
	buffer_gl0_inv
	ds_read2_b64 v[182:185], v1 offset1:1
	s_mov_b32 s1, exec_lo
	v_cmpx_lt_u32_e32 15, v0
	s_cbranch_execz .LBB59_145
; %bb.144:
	s_waitcnt lgkmcnt(0)
	v_mul_f64 v[186:187], v[182:183], v[60:61]
	v_mul_f64 v[60:61], v[184:185], v[60:61]
	ds_read2_b64 v[188:191], v248 offset0:32 offset1:33
	v_fma_f64 v[186:187], v[184:185], v[58:59], v[186:187]
	v_fma_f64 v[58:59], v[182:183], v[58:59], -v[60:61]
	s_waitcnt lgkmcnt(0)
	v_mul_f64 v[60:61], v[190:191], v[186:187]
	v_fma_f64 v[60:61], v[188:189], v[58:59], -v[60:61]
	v_mul_f64 v[188:189], v[188:189], v[186:187]
	v_add_f64 v[54:55], v[54:55], -v[60:61]
	v_fma_f64 v[188:189], v[190:191], v[58:59], v[188:189]
	v_add_f64 v[56:57], v[56:57], -v[188:189]
	ds_read2_b64 v[188:191], v248 offset0:34 offset1:35
	s_waitcnt lgkmcnt(0)
	v_mul_f64 v[60:61], v[190:191], v[186:187]
	v_fma_f64 v[60:61], v[188:189], v[58:59], -v[60:61]
	v_mul_f64 v[188:189], v[188:189], v[186:187]
	v_add_f64 v[50:51], v[50:51], -v[60:61]
	v_fma_f64 v[188:189], v[190:191], v[58:59], v[188:189]
	v_add_f64 v[52:53], v[52:53], -v[188:189]
	ds_read2_b64 v[188:191], v248 offset0:36 offset1:37
	;; [unrolled: 8-line block ×13, first 2 shown]
	s_waitcnt lgkmcnt(0)
	v_mul_f64 v[60:61], v[190:191], v[186:187]
	v_fma_f64 v[60:61], v[188:189], v[58:59], -v[60:61]
	v_mul_f64 v[188:189], v[188:189], v[186:187]
	v_add_f64 v[2:3], v[2:3], -v[60:61]
	v_fma_f64 v[188:189], v[190:191], v[58:59], v[188:189]
	v_mov_b32_e32 v60, v186
	v_mov_b32_e32 v61, v187
	v_add_f64 v[4:5], v[4:5], -v[188:189]
.LBB59_145:
	s_or_b32 exec_lo, exec_lo, s1
	s_mov_b32 s2, exec_lo
	s_waitcnt lgkmcnt(0)
	s_barrier
	buffer_gl0_inv
	v_cmpx_eq_u32_e32 16, v0
	s_cbranch_execz .LBB59_152
; %bb.146:
	ds_write2_b64 v1, v[54:55], v[56:57] offset1:1
	ds_write2_b64 v248, v[50:51], v[52:53] offset0:34 offset1:35
	ds_write2_b64 v248, v[46:47], v[48:49] offset0:36 offset1:37
	;; [unrolled: 1-line block ×13, first 2 shown]
	ds_read2_b64 v[186:189], v1 offset1:1
	s_waitcnt lgkmcnt(0)
	v_cmp_neq_f64_e32 vcc_lo, 0, v[186:187]
	v_cmp_neq_f64_e64 s1, 0, v[188:189]
	s_or_b32 s1, vcc_lo, s1
	s_and_b32 exec_lo, exec_lo, s1
	s_cbranch_execz .LBB59_152
; %bb.147:
	v_cmp_ngt_f64_e64 s1, |v[186:187]|, |v[188:189]|
                                        ; implicit-def: $vgpr190_vgpr191
	s_and_saveexec_b32 s3, s1
	s_xor_b32 s1, exec_lo, s3
                                        ; implicit-def: $vgpr192_vgpr193
	s_cbranch_execz .LBB59_149
; %bb.148:
	v_div_scale_f64 v[190:191], null, v[188:189], v[188:189], v[186:187]
	v_div_scale_f64 v[196:197], vcc_lo, v[186:187], v[188:189], v[186:187]
	v_rcp_f64_e32 v[192:193], v[190:191]
	v_fma_f64 v[194:195], -v[190:191], v[192:193], 1.0
	v_fma_f64 v[192:193], v[192:193], v[194:195], v[192:193]
	v_fma_f64 v[194:195], -v[190:191], v[192:193], 1.0
	v_fma_f64 v[192:193], v[192:193], v[194:195], v[192:193]
	v_mul_f64 v[194:195], v[196:197], v[192:193]
	v_fma_f64 v[190:191], -v[190:191], v[194:195], v[196:197]
	v_div_fmas_f64 v[190:191], v[190:191], v[192:193], v[194:195]
	v_div_fixup_f64 v[190:191], v[190:191], v[188:189], v[186:187]
	v_fma_f64 v[186:187], v[186:187], v[190:191], v[188:189]
	v_div_scale_f64 v[188:189], null, v[186:187], v[186:187], 1.0
	v_rcp_f64_e32 v[192:193], v[188:189]
	v_fma_f64 v[194:195], -v[188:189], v[192:193], 1.0
	v_fma_f64 v[192:193], v[192:193], v[194:195], v[192:193]
	v_fma_f64 v[194:195], -v[188:189], v[192:193], 1.0
	v_fma_f64 v[192:193], v[192:193], v[194:195], v[192:193]
	v_div_scale_f64 v[194:195], vcc_lo, 1.0, v[186:187], 1.0
	v_mul_f64 v[196:197], v[194:195], v[192:193]
	v_fma_f64 v[188:189], -v[188:189], v[196:197], v[194:195]
	v_div_fmas_f64 v[188:189], v[188:189], v[192:193], v[196:197]
	v_div_fixup_f64 v[192:193], v[188:189], v[186:187], 1.0
                                        ; implicit-def: $vgpr186_vgpr187
	v_mul_f64 v[190:191], v[190:191], v[192:193]
	v_xor_b32_e32 v193, 0x80000000, v193
.LBB59_149:
	s_andn2_saveexec_b32 s1, s1
	s_cbranch_execz .LBB59_151
; %bb.150:
	v_div_scale_f64 v[190:191], null, v[186:187], v[186:187], v[188:189]
	v_div_scale_f64 v[196:197], vcc_lo, v[188:189], v[186:187], v[188:189]
	v_rcp_f64_e32 v[192:193], v[190:191]
	v_fma_f64 v[194:195], -v[190:191], v[192:193], 1.0
	v_fma_f64 v[192:193], v[192:193], v[194:195], v[192:193]
	v_fma_f64 v[194:195], -v[190:191], v[192:193], 1.0
	v_fma_f64 v[192:193], v[192:193], v[194:195], v[192:193]
	v_mul_f64 v[194:195], v[196:197], v[192:193]
	v_fma_f64 v[190:191], -v[190:191], v[194:195], v[196:197]
	v_div_fmas_f64 v[190:191], v[190:191], v[192:193], v[194:195]
	v_div_fixup_f64 v[192:193], v[190:191], v[186:187], v[188:189]
	v_fma_f64 v[186:187], v[188:189], v[192:193], v[186:187]
	v_div_scale_f64 v[188:189], null, v[186:187], v[186:187], 1.0
	v_rcp_f64_e32 v[190:191], v[188:189]
	v_fma_f64 v[194:195], -v[188:189], v[190:191], 1.0
	v_fma_f64 v[190:191], v[190:191], v[194:195], v[190:191]
	v_fma_f64 v[194:195], -v[188:189], v[190:191], 1.0
	v_fma_f64 v[190:191], v[190:191], v[194:195], v[190:191]
	v_div_scale_f64 v[194:195], vcc_lo, 1.0, v[186:187], 1.0
	v_mul_f64 v[196:197], v[194:195], v[190:191]
	v_fma_f64 v[188:189], -v[188:189], v[196:197], v[194:195]
	v_div_fmas_f64 v[188:189], v[188:189], v[190:191], v[196:197]
	v_div_fixup_f64 v[190:191], v[188:189], v[186:187], 1.0
	v_mul_f64 v[192:193], v[192:193], -v[190:191]
.LBB59_151:
	s_or_b32 exec_lo, exec_lo, s1
	ds_write2_b64 v1, v[190:191], v[192:193] offset1:1
.LBB59_152:
	s_or_b32 exec_lo, exec_lo, s2
	s_waitcnt lgkmcnt(0)
	s_barrier
	buffer_gl0_inv
	ds_read2_b64 v[186:189], v1 offset1:1
	s_mov_b32 s1, exec_lo
	v_cmpx_lt_u32_e32 16, v0
	s_cbranch_execz .LBB59_154
; %bb.153:
	s_waitcnt lgkmcnt(0)
	v_mul_f64 v[190:191], v[186:187], v[56:57]
	v_mul_f64 v[56:57], v[188:189], v[56:57]
	v_fma_f64 v[194:195], v[188:189], v[54:55], v[190:191]
	ds_read2_b64 v[190:193], v248 offset0:34 offset1:35
	v_fma_f64 v[54:55], v[186:187], v[54:55], -v[56:57]
	s_waitcnt lgkmcnt(0)
	v_mul_f64 v[56:57], v[192:193], v[194:195]
	v_fma_f64 v[56:57], v[190:191], v[54:55], -v[56:57]
	v_mul_f64 v[190:191], v[190:191], v[194:195]
	v_add_f64 v[50:51], v[50:51], -v[56:57]
	v_fma_f64 v[190:191], v[192:193], v[54:55], v[190:191]
	v_add_f64 v[52:53], v[52:53], -v[190:191]
	ds_read2_b64 v[190:193], v248 offset0:36 offset1:37
	s_waitcnt lgkmcnt(0)
	v_mul_f64 v[56:57], v[192:193], v[194:195]
	v_fma_f64 v[56:57], v[190:191], v[54:55], -v[56:57]
	v_mul_f64 v[190:191], v[190:191], v[194:195]
	v_add_f64 v[46:47], v[46:47], -v[56:57]
	v_fma_f64 v[190:191], v[192:193], v[54:55], v[190:191]
	v_add_f64 v[48:49], v[48:49], -v[190:191]
	ds_read2_b64 v[190:193], v248 offset0:38 offset1:39
	;; [unrolled: 8-line block ×12, first 2 shown]
	s_waitcnt lgkmcnt(0)
	v_mul_f64 v[56:57], v[192:193], v[194:195]
	v_fma_f64 v[56:57], v[190:191], v[54:55], -v[56:57]
	v_mul_f64 v[190:191], v[190:191], v[194:195]
	v_add_f64 v[2:3], v[2:3], -v[56:57]
	v_fma_f64 v[190:191], v[192:193], v[54:55], v[190:191]
	v_mov_b32_e32 v56, v194
	v_mov_b32_e32 v57, v195
	v_add_f64 v[4:5], v[4:5], -v[190:191]
.LBB59_154:
	s_or_b32 exec_lo, exec_lo, s1
	s_mov_b32 s2, exec_lo
	s_waitcnt lgkmcnt(0)
	s_barrier
	buffer_gl0_inv
	v_cmpx_eq_u32_e32 17, v0
	s_cbranch_execz .LBB59_161
; %bb.155:
	ds_write2_b64 v1, v[50:51], v[52:53] offset1:1
	ds_write2_b64 v248, v[46:47], v[48:49] offset0:36 offset1:37
	ds_write2_b64 v248, v[42:43], v[44:45] offset0:38 offset1:39
	;; [unrolled: 1-line block ×12, first 2 shown]
	ds_read2_b64 v[190:193], v1 offset1:1
	s_waitcnt lgkmcnt(0)
	v_cmp_neq_f64_e32 vcc_lo, 0, v[190:191]
	v_cmp_neq_f64_e64 s1, 0, v[192:193]
	s_or_b32 s1, vcc_lo, s1
	s_and_b32 exec_lo, exec_lo, s1
	s_cbranch_execz .LBB59_161
; %bb.156:
	v_cmp_ngt_f64_e64 s1, |v[190:191]|, |v[192:193]|
                                        ; implicit-def: $vgpr194_vgpr195
	s_and_saveexec_b32 s3, s1
	s_xor_b32 s1, exec_lo, s3
                                        ; implicit-def: $vgpr196_vgpr197
	s_cbranch_execz .LBB59_158
; %bb.157:
	v_div_scale_f64 v[194:195], null, v[192:193], v[192:193], v[190:191]
	v_div_scale_f64 v[200:201], vcc_lo, v[190:191], v[192:193], v[190:191]
	v_rcp_f64_e32 v[196:197], v[194:195]
	v_fma_f64 v[198:199], -v[194:195], v[196:197], 1.0
	v_fma_f64 v[196:197], v[196:197], v[198:199], v[196:197]
	v_fma_f64 v[198:199], -v[194:195], v[196:197], 1.0
	v_fma_f64 v[196:197], v[196:197], v[198:199], v[196:197]
	v_mul_f64 v[198:199], v[200:201], v[196:197]
	v_fma_f64 v[194:195], -v[194:195], v[198:199], v[200:201]
	v_div_fmas_f64 v[194:195], v[194:195], v[196:197], v[198:199]
	v_div_fixup_f64 v[194:195], v[194:195], v[192:193], v[190:191]
	v_fma_f64 v[190:191], v[190:191], v[194:195], v[192:193]
	v_div_scale_f64 v[192:193], null, v[190:191], v[190:191], 1.0
	v_rcp_f64_e32 v[196:197], v[192:193]
	v_fma_f64 v[198:199], -v[192:193], v[196:197], 1.0
	v_fma_f64 v[196:197], v[196:197], v[198:199], v[196:197]
	v_fma_f64 v[198:199], -v[192:193], v[196:197], 1.0
	v_fma_f64 v[196:197], v[196:197], v[198:199], v[196:197]
	v_div_scale_f64 v[198:199], vcc_lo, 1.0, v[190:191], 1.0
	v_mul_f64 v[200:201], v[198:199], v[196:197]
	v_fma_f64 v[192:193], -v[192:193], v[200:201], v[198:199]
	v_div_fmas_f64 v[192:193], v[192:193], v[196:197], v[200:201]
	v_div_fixup_f64 v[196:197], v[192:193], v[190:191], 1.0
                                        ; implicit-def: $vgpr190_vgpr191
	v_mul_f64 v[194:195], v[194:195], v[196:197]
	v_xor_b32_e32 v197, 0x80000000, v197
.LBB59_158:
	s_andn2_saveexec_b32 s1, s1
	s_cbranch_execz .LBB59_160
; %bb.159:
	v_div_scale_f64 v[194:195], null, v[190:191], v[190:191], v[192:193]
	v_div_scale_f64 v[200:201], vcc_lo, v[192:193], v[190:191], v[192:193]
	v_rcp_f64_e32 v[196:197], v[194:195]
	v_fma_f64 v[198:199], -v[194:195], v[196:197], 1.0
	v_fma_f64 v[196:197], v[196:197], v[198:199], v[196:197]
	v_fma_f64 v[198:199], -v[194:195], v[196:197], 1.0
	v_fma_f64 v[196:197], v[196:197], v[198:199], v[196:197]
	v_mul_f64 v[198:199], v[200:201], v[196:197]
	v_fma_f64 v[194:195], -v[194:195], v[198:199], v[200:201]
	v_div_fmas_f64 v[194:195], v[194:195], v[196:197], v[198:199]
	v_div_fixup_f64 v[196:197], v[194:195], v[190:191], v[192:193]
	v_fma_f64 v[190:191], v[192:193], v[196:197], v[190:191]
	v_div_scale_f64 v[192:193], null, v[190:191], v[190:191], 1.0
	v_rcp_f64_e32 v[194:195], v[192:193]
	v_fma_f64 v[198:199], -v[192:193], v[194:195], 1.0
	v_fma_f64 v[194:195], v[194:195], v[198:199], v[194:195]
	v_fma_f64 v[198:199], -v[192:193], v[194:195], 1.0
	v_fma_f64 v[194:195], v[194:195], v[198:199], v[194:195]
	v_div_scale_f64 v[198:199], vcc_lo, 1.0, v[190:191], 1.0
	v_mul_f64 v[200:201], v[198:199], v[194:195]
	v_fma_f64 v[192:193], -v[192:193], v[200:201], v[198:199]
	v_div_fmas_f64 v[192:193], v[192:193], v[194:195], v[200:201]
	v_div_fixup_f64 v[194:195], v[192:193], v[190:191], 1.0
	v_mul_f64 v[196:197], v[196:197], -v[194:195]
.LBB59_160:
	s_or_b32 exec_lo, exec_lo, s1
	ds_write2_b64 v1, v[194:195], v[196:197] offset1:1
.LBB59_161:
	s_or_b32 exec_lo, exec_lo, s2
	s_waitcnt lgkmcnt(0)
	s_barrier
	buffer_gl0_inv
	ds_read2_b64 v[190:193], v1 offset1:1
	s_mov_b32 s1, exec_lo
	v_cmpx_lt_u32_e32 17, v0
	s_cbranch_execz .LBB59_163
; %bb.162:
	s_waitcnt lgkmcnt(0)
	v_mul_f64 v[194:195], v[190:191], v[52:53]
	v_mul_f64 v[52:53], v[192:193], v[52:53]
	v_fma_f64 v[198:199], v[192:193], v[50:51], v[194:195]
	ds_read2_b64 v[194:197], v248 offset0:36 offset1:37
	v_fma_f64 v[50:51], v[190:191], v[50:51], -v[52:53]
	s_waitcnt lgkmcnt(0)
	v_mul_f64 v[52:53], v[196:197], v[198:199]
	v_fma_f64 v[52:53], v[194:195], v[50:51], -v[52:53]
	v_mul_f64 v[194:195], v[194:195], v[198:199]
	v_add_f64 v[46:47], v[46:47], -v[52:53]
	v_fma_f64 v[194:195], v[196:197], v[50:51], v[194:195]
	v_add_f64 v[48:49], v[48:49], -v[194:195]
	ds_read2_b64 v[194:197], v248 offset0:38 offset1:39
	s_waitcnt lgkmcnt(0)
	v_mul_f64 v[52:53], v[196:197], v[198:199]
	v_fma_f64 v[52:53], v[194:195], v[50:51], -v[52:53]
	v_mul_f64 v[194:195], v[194:195], v[198:199]
	v_add_f64 v[42:43], v[42:43], -v[52:53]
	v_fma_f64 v[194:195], v[196:197], v[50:51], v[194:195]
	v_add_f64 v[44:45], v[44:45], -v[194:195]
	ds_read2_b64 v[194:197], v248 offset0:40 offset1:41
	;; [unrolled: 8-line block ×11, first 2 shown]
	s_waitcnt lgkmcnt(0)
	v_mul_f64 v[52:53], v[196:197], v[198:199]
	v_fma_f64 v[52:53], v[194:195], v[50:51], -v[52:53]
	v_mul_f64 v[194:195], v[194:195], v[198:199]
	v_add_f64 v[2:3], v[2:3], -v[52:53]
	v_fma_f64 v[194:195], v[196:197], v[50:51], v[194:195]
	v_mov_b32_e32 v52, v198
	v_mov_b32_e32 v53, v199
	v_add_f64 v[4:5], v[4:5], -v[194:195]
.LBB59_163:
	s_or_b32 exec_lo, exec_lo, s1
	s_mov_b32 s2, exec_lo
	s_waitcnt lgkmcnt(0)
	s_barrier
	buffer_gl0_inv
	v_cmpx_eq_u32_e32 18, v0
	s_cbranch_execz .LBB59_170
; %bb.164:
	ds_write2_b64 v1, v[46:47], v[48:49] offset1:1
	ds_write2_b64 v248, v[42:43], v[44:45] offset0:38 offset1:39
	ds_write2_b64 v248, v[38:39], v[40:41] offset0:40 offset1:41
	;; [unrolled: 1-line block ×11, first 2 shown]
	ds_read2_b64 v[194:197], v1 offset1:1
	s_waitcnt lgkmcnt(0)
	v_cmp_neq_f64_e32 vcc_lo, 0, v[194:195]
	v_cmp_neq_f64_e64 s1, 0, v[196:197]
	s_or_b32 s1, vcc_lo, s1
	s_and_b32 exec_lo, exec_lo, s1
	s_cbranch_execz .LBB59_170
; %bb.165:
	v_cmp_ngt_f64_e64 s1, |v[194:195]|, |v[196:197]|
                                        ; implicit-def: $vgpr198_vgpr199
	s_and_saveexec_b32 s3, s1
	s_xor_b32 s1, exec_lo, s3
                                        ; implicit-def: $vgpr200_vgpr201
	s_cbranch_execz .LBB59_167
; %bb.166:
	v_div_scale_f64 v[198:199], null, v[196:197], v[196:197], v[194:195]
	v_div_scale_f64 v[204:205], vcc_lo, v[194:195], v[196:197], v[194:195]
	v_rcp_f64_e32 v[200:201], v[198:199]
	v_fma_f64 v[202:203], -v[198:199], v[200:201], 1.0
	v_fma_f64 v[200:201], v[200:201], v[202:203], v[200:201]
	v_fma_f64 v[202:203], -v[198:199], v[200:201], 1.0
	v_fma_f64 v[200:201], v[200:201], v[202:203], v[200:201]
	v_mul_f64 v[202:203], v[204:205], v[200:201]
	v_fma_f64 v[198:199], -v[198:199], v[202:203], v[204:205]
	v_div_fmas_f64 v[198:199], v[198:199], v[200:201], v[202:203]
	v_div_fixup_f64 v[198:199], v[198:199], v[196:197], v[194:195]
	v_fma_f64 v[194:195], v[194:195], v[198:199], v[196:197]
	v_div_scale_f64 v[196:197], null, v[194:195], v[194:195], 1.0
	v_rcp_f64_e32 v[200:201], v[196:197]
	v_fma_f64 v[202:203], -v[196:197], v[200:201], 1.0
	v_fma_f64 v[200:201], v[200:201], v[202:203], v[200:201]
	v_fma_f64 v[202:203], -v[196:197], v[200:201], 1.0
	v_fma_f64 v[200:201], v[200:201], v[202:203], v[200:201]
	v_div_scale_f64 v[202:203], vcc_lo, 1.0, v[194:195], 1.0
	v_mul_f64 v[204:205], v[202:203], v[200:201]
	v_fma_f64 v[196:197], -v[196:197], v[204:205], v[202:203]
	v_div_fmas_f64 v[196:197], v[196:197], v[200:201], v[204:205]
	v_div_fixup_f64 v[200:201], v[196:197], v[194:195], 1.0
                                        ; implicit-def: $vgpr194_vgpr195
	v_mul_f64 v[198:199], v[198:199], v[200:201]
	v_xor_b32_e32 v201, 0x80000000, v201
.LBB59_167:
	s_andn2_saveexec_b32 s1, s1
	s_cbranch_execz .LBB59_169
; %bb.168:
	v_div_scale_f64 v[198:199], null, v[194:195], v[194:195], v[196:197]
	v_div_scale_f64 v[204:205], vcc_lo, v[196:197], v[194:195], v[196:197]
	v_rcp_f64_e32 v[200:201], v[198:199]
	v_fma_f64 v[202:203], -v[198:199], v[200:201], 1.0
	v_fma_f64 v[200:201], v[200:201], v[202:203], v[200:201]
	v_fma_f64 v[202:203], -v[198:199], v[200:201], 1.0
	v_fma_f64 v[200:201], v[200:201], v[202:203], v[200:201]
	v_mul_f64 v[202:203], v[204:205], v[200:201]
	v_fma_f64 v[198:199], -v[198:199], v[202:203], v[204:205]
	v_div_fmas_f64 v[198:199], v[198:199], v[200:201], v[202:203]
	v_div_fixup_f64 v[200:201], v[198:199], v[194:195], v[196:197]
	v_fma_f64 v[194:195], v[196:197], v[200:201], v[194:195]
	v_div_scale_f64 v[196:197], null, v[194:195], v[194:195], 1.0
	v_rcp_f64_e32 v[198:199], v[196:197]
	v_fma_f64 v[202:203], -v[196:197], v[198:199], 1.0
	v_fma_f64 v[198:199], v[198:199], v[202:203], v[198:199]
	v_fma_f64 v[202:203], -v[196:197], v[198:199], 1.0
	v_fma_f64 v[198:199], v[198:199], v[202:203], v[198:199]
	v_div_scale_f64 v[202:203], vcc_lo, 1.0, v[194:195], 1.0
	v_mul_f64 v[204:205], v[202:203], v[198:199]
	v_fma_f64 v[196:197], -v[196:197], v[204:205], v[202:203]
	v_div_fmas_f64 v[196:197], v[196:197], v[198:199], v[204:205]
	v_div_fixup_f64 v[198:199], v[196:197], v[194:195], 1.0
	v_mul_f64 v[200:201], v[200:201], -v[198:199]
.LBB59_169:
	s_or_b32 exec_lo, exec_lo, s1
	ds_write2_b64 v1, v[198:199], v[200:201] offset1:1
.LBB59_170:
	s_or_b32 exec_lo, exec_lo, s2
	s_waitcnt lgkmcnt(0)
	s_barrier
	buffer_gl0_inv
	ds_read2_b64 v[194:197], v1 offset1:1
	s_mov_b32 s1, exec_lo
	v_cmpx_lt_u32_e32 18, v0
	s_cbranch_execz .LBB59_172
; %bb.171:
	s_waitcnt lgkmcnt(0)
	v_mul_f64 v[198:199], v[194:195], v[48:49]
	v_mul_f64 v[48:49], v[196:197], v[48:49]
	v_fma_f64 v[202:203], v[196:197], v[46:47], v[198:199]
	ds_read2_b64 v[198:201], v248 offset0:38 offset1:39
	v_fma_f64 v[46:47], v[194:195], v[46:47], -v[48:49]
	s_waitcnt lgkmcnt(0)
	v_mul_f64 v[48:49], v[200:201], v[202:203]
	v_fma_f64 v[48:49], v[198:199], v[46:47], -v[48:49]
	v_mul_f64 v[198:199], v[198:199], v[202:203]
	v_add_f64 v[42:43], v[42:43], -v[48:49]
	v_fma_f64 v[198:199], v[200:201], v[46:47], v[198:199]
	v_add_f64 v[44:45], v[44:45], -v[198:199]
	ds_read2_b64 v[198:201], v248 offset0:40 offset1:41
	s_waitcnt lgkmcnt(0)
	v_mul_f64 v[48:49], v[200:201], v[202:203]
	v_fma_f64 v[48:49], v[198:199], v[46:47], -v[48:49]
	v_mul_f64 v[198:199], v[198:199], v[202:203]
	v_add_f64 v[38:39], v[38:39], -v[48:49]
	v_fma_f64 v[198:199], v[200:201], v[46:47], v[198:199]
	v_add_f64 v[40:41], v[40:41], -v[198:199]
	ds_read2_b64 v[198:201], v248 offset0:42 offset1:43
	;; [unrolled: 8-line block ×10, first 2 shown]
	s_waitcnt lgkmcnt(0)
	v_mul_f64 v[48:49], v[200:201], v[202:203]
	v_fma_f64 v[48:49], v[198:199], v[46:47], -v[48:49]
	v_mul_f64 v[198:199], v[198:199], v[202:203]
	v_add_f64 v[2:3], v[2:3], -v[48:49]
	v_fma_f64 v[198:199], v[200:201], v[46:47], v[198:199]
	v_mov_b32_e32 v48, v202
	v_mov_b32_e32 v49, v203
	v_add_f64 v[4:5], v[4:5], -v[198:199]
.LBB59_172:
	s_or_b32 exec_lo, exec_lo, s1
	s_mov_b32 s2, exec_lo
	s_waitcnt lgkmcnt(0)
	s_barrier
	buffer_gl0_inv
	v_cmpx_eq_u32_e32 19, v0
	s_cbranch_execz .LBB59_179
; %bb.173:
	ds_write2_b64 v1, v[42:43], v[44:45] offset1:1
	ds_write2_b64 v248, v[38:39], v[40:41] offset0:40 offset1:41
	ds_write2_b64 v248, v[34:35], v[36:37] offset0:42 offset1:43
	;; [unrolled: 1-line block ×10, first 2 shown]
	ds_read2_b64 v[198:201], v1 offset1:1
	s_waitcnt lgkmcnt(0)
	v_cmp_neq_f64_e32 vcc_lo, 0, v[198:199]
	v_cmp_neq_f64_e64 s1, 0, v[200:201]
	s_or_b32 s1, vcc_lo, s1
	s_and_b32 exec_lo, exec_lo, s1
	s_cbranch_execz .LBB59_179
; %bb.174:
	v_cmp_ngt_f64_e64 s1, |v[198:199]|, |v[200:201]|
                                        ; implicit-def: $vgpr202_vgpr203
	s_and_saveexec_b32 s3, s1
	s_xor_b32 s1, exec_lo, s3
                                        ; implicit-def: $vgpr204_vgpr205
	s_cbranch_execz .LBB59_176
; %bb.175:
	v_div_scale_f64 v[202:203], null, v[200:201], v[200:201], v[198:199]
	v_div_scale_f64 v[208:209], vcc_lo, v[198:199], v[200:201], v[198:199]
	v_rcp_f64_e32 v[204:205], v[202:203]
	v_fma_f64 v[206:207], -v[202:203], v[204:205], 1.0
	v_fma_f64 v[204:205], v[204:205], v[206:207], v[204:205]
	v_fma_f64 v[206:207], -v[202:203], v[204:205], 1.0
	v_fma_f64 v[204:205], v[204:205], v[206:207], v[204:205]
	v_mul_f64 v[206:207], v[208:209], v[204:205]
	v_fma_f64 v[202:203], -v[202:203], v[206:207], v[208:209]
	v_div_fmas_f64 v[202:203], v[202:203], v[204:205], v[206:207]
	v_div_fixup_f64 v[202:203], v[202:203], v[200:201], v[198:199]
	v_fma_f64 v[198:199], v[198:199], v[202:203], v[200:201]
	v_div_scale_f64 v[200:201], null, v[198:199], v[198:199], 1.0
	v_rcp_f64_e32 v[204:205], v[200:201]
	v_fma_f64 v[206:207], -v[200:201], v[204:205], 1.0
	v_fma_f64 v[204:205], v[204:205], v[206:207], v[204:205]
	v_fma_f64 v[206:207], -v[200:201], v[204:205], 1.0
	v_fma_f64 v[204:205], v[204:205], v[206:207], v[204:205]
	v_div_scale_f64 v[206:207], vcc_lo, 1.0, v[198:199], 1.0
	v_mul_f64 v[208:209], v[206:207], v[204:205]
	v_fma_f64 v[200:201], -v[200:201], v[208:209], v[206:207]
	v_div_fmas_f64 v[200:201], v[200:201], v[204:205], v[208:209]
	v_div_fixup_f64 v[204:205], v[200:201], v[198:199], 1.0
                                        ; implicit-def: $vgpr198_vgpr199
	v_mul_f64 v[202:203], v[202:203], v[204:205]
	v_xor_b32_e32 v205, 0x80000000, v205
.LBB59_176:
	s_andn2_saveexec_b32 s1, s1
	s_cbranch_execz .LBB59_178
; %bb.177:
	v_div_scale_f64 v[202:203], null, v[198:199], v[198:199], v[200:201]
	v_div_scale_f64 v[208:209], vcc_lo, v[200:201], v[198:199], v[200:201]
	v_rcp_f64_e32 v[204:205], v[202:203]
	v_fma_f64 v[206:207], -v[202:203], v[204:205], 1.0
	v_fma_f64 v[204:205], v[204:205], v[206:207], v[204:205]
	v_fma_f64 v[206:207], -v[202:203], v[204:205], 1.0
	v_fma_f64 v[204:205], v[204:205], v[206:207], v[204:205]
	v_mul_f64 v[206:207], v[208:209], v[204:205]
	v_fma_f64 v[202:203], -v[202:203], v[206:207], v[208:209]
	v_div_fmas_f64 v[202:203], v[202:203], v[204:205], v[206:207]
	v_div_fixup_f64 v[204:205], v[202:203], v[198:199], v[200:201]
	v_fma_f64 v[198:199], v[200:201], v[204:205], v[198:199]
	v_div_scale_f64 v[200:201], null, v[198:199], v[198:199], 1.0
	v_rcp_f64_e32 v[202:203], v[200:201]
	v_fma_f64 v[206:207], -v[200:201], v[202:203], 1.0
	v_fma_f64 v[202:203], v[202:203], v[206:207], v[202:203]
	v_fma_f64 v[206:207], -v[200:201], v[202:203], 1.0
	v_fma_f64 v[202:203], v[202:203], v[206:207], v[202:203]
	v_div_scale_f64 v[206:207], vcc_lo, 1.0, v[198:199], 1.0
	v_mul_f64 v[208:209], v[206:207], v[202:203]
	v_fma_f64 v[200:201], -v[200:201], v[208:209], v[206:207]
	v_div_fmas_f64 v[200:201], v[200:201], v[202:203], v[208:209]
	v_div_fixup_f64 v[202:203], v[200:201], v[198:199], 1.0
	v_mul_f64 v[204:205], v[204:205], -v[202:203]
.LBB59_178:
	s_or_b32 exec_lo, exec_lo, s1
	ds_write2_b64 v1, v[202:203], v[204:205] offset1:1
.LBB59_179:
	s_or_b32 exec_lo, exec_lo, s2
	s_waitcnt lgkmcnt(0)
	s_barrier
	buffer_gl0_inv
	ds_read2_b64 v[198:201], v1 offset1:1
	s_mov_b32 s1, exec_lo
	v_cmpx_lt_u32_e32 19, v0
	s_cbranch_execz .LBB59_181
; %bb.180:
	s_waitcnt lgkmcnt(0)
	v_mul_f64 v[202:203], v[198:199], v[44:45]
	v_mul_f64 v[44:45], v[200:201], v[44:45]
	v_fma_f64 v[206:207], v[200:201], v[42:43], v[202:203]
	ds_read2_b64 v[202:205], v248 offset0:40 offset1:41
	v_fma_f64 v[42:43], v[198:199], v[42:43], -v[44:45]
	s_waitcnt lgkmcnt(0)
	v_mul_f64 v[44:45], v[204:205], v[206:207]
	v_fma_f64 v[44:45], v[202:203], v[42:43], -v[44:45]
	v_mul_f64 v[202:203], v[202:203], v[206:207]
	v_add_f64 v[38:39], v[38:39], -v[44:45]
	v_fma_f64 v[202:203], v[204:205], v[42:43], v[202:203]
	v_add_f64 v[40:41], v[40:41], -v[202:203]
	ds_read2_b64 v[202:205], v248 offset0:42 offset1:43
	s_waitcnt lgkmcnt(0)
	v_mul_f64 v[44:45], v[204:205], v[206:207]
	v_fma_f64 v[44:45], v[202:203], v[42:43], -v[44:45]
	v_mul_f64 v[202:203], v[202:203], v[206:207]
	v_add_f64 v[34:35], v[34:35], -v[44:45]
	v_fma_f64 v[202:203], v[204:205], v[42:43], v[202:203]
	v_add_f64 v[36:37], v[36:37], -v[202:203]
	ds_read2_b64 v[202:205], v248 offset0:44 offset1:45
	;; [unrolled: 8-line block ×9, first 2 shown]
	s_waitcnt lgkmcnt(0)
	v_mul_f64 v[44:45], v[204:205], v[206:207]
	v_fma_f64 v[44:45], v[202:203], v[42:43], -v[44:45]
	v_mul_f64 v[202:203], v[202:203], v[206:207]
	v_add_f64 v[2:3], v[2:3], -v[44:45]
	v_fma_f64 v[202:203], v[204:205], v[42:43], v[202:203]
	v_mov_b32_e32 v44, v206
	v_mov_b32_e32 v45, v207
	v_add_f64 v[4:5], v[4:5], -v[202:203]
.LBB59_181:
	s_or_b32 exec_lo, exec_lo, s1
	s_mov_b32 s2, exec_lo
	s_waitcnt lgkmcnt(0)
	s_barrier
	buffer_gl0_inv
	v_cmpx_eq_u32_e32 20, v0
	s_cbranch_execz .LBB59_188
; %bb.182:
	ds_write2_b64 v1, v[38:39], v[40:41] offset1:1
	ds_write2_b64 v248, v[34:35], v[36:37] offset0:42 offset1:43
	ds_write2_b64 v248, v[30:31], v[32:33] offset0:44 offset1:45
	;; [unrolled: 1-line block ×9, first 2 shown]
	ds_read2_b64 v[202:205], v1 offset1:1
	s_waitcnt lgkmcnt(0)
	v_cmp_neq_f64_e32 vcc_lo, 0, v[202:203]
	v_cmp_neq_f64_e64 s1, 0, v[204:205]
	s_or_b32 s1, vcc_lo, s1
	s_and_b32 exec_lo, exec_lo, s1
	s_cbranch_execz .LBB59_188
; %bb.183:
	v_cmp_ngt_f64_e64 s1, |v[202:203]|, |v[204:205]|
                                        ; implicit-def: $vgpr206_vgpr207
	s_and_saveexec_b32 s3, s1
	s_xor_b32 s1, exec_lo, s3
                                        ; implicit-def: $vgpr208_vgpr209
	s_cbranch_execz .LBB59_185
; %bb.184:
	v_div_scale_f64 v[206:207], null, v[204:205], v[204:205], v[202:203]
	v_div_scale_f64 v[212:213], vcc_lo, v[202:203], v[204:205], v[202:203]
	v_rcp_f64_e32 v[208:209], v[206:207]
	v_fma_f64 v[210:211], -v[206:207], v[208:209], 1.0
	v_fma_f64 v[208:209], v[208:209], v[210:211], v[208:209]
	v_fma_f64 v[210:211], -v[206:207], v[208:209], 1.0
	v_fma_f64 v[208:209], v[208:209], v[210:211], v[208:209]
	v_mul_f64 v[210:211], v[212:213], v[208:209]
	v_fma_f64 v[206:207], -v[206:207], v[210:211], v[212:213]
	v_div_fmas_f64 v[206:207], v[206:207], v[208:209], v[210:211]
	v_div_fixup_f64 v[206:207], v[206:207], v[204:205], v[202:203]
	v_fma_f64 v[202:203], v[202:203], v[206:207], v[204:205]
	v_div_scale_f64 v[204:205], null, v[202:203], v[202:203], 1.0
	v_rcp_f64_e32 v[208:209], v[204:205]
	v_fma_f64 v[210:211], -v[204:205], v[208:209], 1.0
	v_fma_f64 v[208:209], v[208:209], v[210:211], v[208:209]
	v_fma_f64 v[210:211], -v[204:205], v[208:209], 1.0
	v_fma_f64 v[208:209], v[208:209], v[210:211], v[208:209]
	v_div_scale_f64 v[210:211], vcc_lo, 1.0, v[202:203], 1.0
	v_mul_f64 v[212:213], v[210:211], v[208:209]
	v_fma_f64 v[204:205], -v[204:205], v[212:213], v[210:211]
	v_div_fmas_f64 v[204:205], v[204:205], v[208:209], v[212:213]
	v_div_fixup_f64 v[208:209], v[204:205], v[202:203], 1.0
                                        ; implicit-def: $vgpr202_vgpr203
	v_mul_f64 v[206:207], v[206:207], v[208:209]
	v_xor_b32_e32 v209, 0x80000000, v209
.LBB59_185:
	s_andn2_saveexec_b32 s1, s1
	s_cbranch_execz .LBB59_187
; %bb.186:
	v_div_scale_f64 v[206:207], null, v[202:203], v[202:203], v[204:205]
	v_div_scale_f64 v[212:213], vcc_lo, v[204:205], v[202:203], v[204:205]
	v_rcp_f64_e32 v[208:209], v[206:207]
	v_fma_f64 v[210:211], -v[206:207], v[208:209], 1.0
	v_fma_f64 v[208:209], v[208:209], v[210:211], v[208:209]
	v_fma_f64 v[210:211], -v[206:207], v[208:209], 1.0
	v_fma_f64 v[208:209], v[208:209], v[210:211], v[208:209]
	v_mul_f64 v[210:211], v[212:213], v[208:209]
	v_fma_f64 v[206:207], -v[206:207], v[210:211], v[212:213]
	v_div_fmas_f64 v[206:207], v[206:207], v[208:209], v[210:211]
	v_div_fixup_f64 v[208:209], v[206:207], v[202:203], v[204:205]
	v_fma_f64 v[202:203], v[204:205], v[208:209], v[202:203]
	v_div_scale_f64 v[204:205], null, v[202:203], v[202:203], 1.0
	v_rcp_f64_e32 v[206:207], v[204:205]
	v_fma_f64 v[210:211], -v[204:205], v[206:207], 1.0
	v_fma_f64 v[206:207], v[206:207], v[210:211], v[206:207]
	v_fma_f64 v[210:211], -v[204:205], v[206:207], 1.0
	v_fma_f64 v[206:207], v[206:207], v[210:211], v[206:207]
	v_div_scale_f64 v[210:211], vcc_lo, 1.0, v[202:203], 1.0
	v_mul_f64 v[212:213], v[210:211], v[206:207]
	v_fma_f64 v[204:205], -v[204:205], v[212:213], v[210:211]
	v_div_fmas_f64 v[204:205], v[204:205], v[206:207], v[212:213]
	v_div_fixup_f64 v[206:207], v[204:205], v[202:203], 1.0
	v_mul_f64 v[208:209], v[208:209], -v[206:207]
.LBB59_187:
	s_or_b32 exec_lo, exec_lo, s1
	ds_write2_b64 v1, v[206:207], v[208:209] offset1:1
.LBB59_188:
	s_or_b32 exec_lo, exec_lo, s2
	s_waitcnt lgkmcnt(0)
	s_barrier
	buffer_gl0_inv
	ds_read2_b64 v[202:205], v1 offset1:1
	s_mov_b32 s1, exec_lo
	v_cmpx_lt_u32_e32 20, v0
	s_cbranch_execz .LBB59_190
; %bb.189:
	s_waitcnt lgkmcnt(0)
	v_mul_f64 v[206:207], v[202:203], v[40:41]
	v_mul_f64 v[40:41], v[204:205], v[40:41]
	v_fma_f64 v[210:211], v[204:205], v[38:39], v[206:207]
	ds_read2_b64 v[206:209], v248 offset0:42 offset1:43
	v_fma_f64 v[38:39], v[202:203], v[38:39], -v[40:41]
	s_waitcnt lgkmcnt(0)
	v_mul_f64 v[40:41], v[208:209], v[210:211]
	v_fma_f64 v[40:41], v[206:207], v[38:39], -v[40:41]
	v_mul_f64 v[206:207], v[206:207], v[210:211]
	v_add_f64 v[34:35], v[34:35], -v[40:41]
	v_fma_f64 v[206:207], v[208:209], v[38:39], v[206:207]
	v_add_f64 v[36:37], v[36:37], -v[206:207]
	ds_read2_b64 v[206:209], v248 offset0:44 offset1:45
	s_waitcnt lgkmcnt(0)
	v_mul_f64 v[40:41], v[208:209], v[210:211]
	v_fma_f64 v[40:41], v[206:207], v[38:39], -v[40:41]
	v_mul_f64 v[206:207], v[206:207], v[210:211]
	v_add_f64 v[30:31], v[30:31], -v[40:41]
	v_fma_f64 v[206:207], v[208:209], v[38:39], v[206:207]
	v_add_f64 v[32:33], v[32:33], -v[206:207]
	ds_read2_b64 v[206:209], v248 offset0:46 offset1:47
	;; [unrolled: 8-line block ×8, first 2 shown]
	s_waitcnt lgkmcnt(0)
	v_mul_f64 v[40:41], v[208:209], v[210:211]
	v_fma_f64 v[40:41], v[206:207], v[38:39], -v[40:41]
	v_mul_f64 v[206:207], v[206:207], v[210:211]
	v_add_f64 v[2:3], v[2:3], -v[40:41]
	v_fma_f64 v[206:207], v[208:209], v[38:39], v[206:207]
	v_mov_b32_e32 v40, v210
	v_mov_b32_e32 v41, v211
	v_add_f64 v[4:5], v[4:5], -v[206:207]
.LBB59_190:
	s_or_b32 exec_lo, exec_lo, s1
	s_mov_b32 s2, exec_lo
	s_waitcnt lgkmcnt(0)
	s_barrier
	buffer_gl0_inv
	v_cmpx_eq_u32_e32 21, v0
	s_cbranch_execz .LBB59_197
; %bb.191:
	ds_write2_b64 v1, v[34:35], v[36:37] offset1:1
	ds_write2_b64 v248, v[30:31], v[32:33] offset0:44 offset1:45
	ds_write2_b64 v248, v[26:27], v[28:29] offset0:46 offset1:47
	;; [unrolled: 1-line block ×8, first 2 shown]
	ds_read2_b64 v[206:209], v1 offset1:1
	s_waitcnt lgkmcnt(0)
	v_cmp_neq_f64_e32 vcc_lo, 0, v[206:207]
	v_cmp_neq_f64_e64 s1, 0, v[208:209]
	s_or_b32 s1, vcc_lo, s1
	s_and_b32 exec_lo, exec_lo, s1
	s_cbranch_execz .LBB59_197
; %bb.192:
	v_cmp_ngt_f64_e64 s1, |v[206:207]|, |v[208:209]|
                                        ; implicit-def: $vgpr210_vgpr211
	s_and_saveexec_b32 s3, s1
	s_xor_b32 s1, exec_lo, s3
                                        ; implicit-def: $vgpr212_vgpr213
	s_cbranch_execz .LBB59_194
; %bb.193:
	v_div_scale_f64 v[210:211], null, v[208:209], v[208:209], v[206:207]
	v_div_scale_f64 v[216:217], vcc_lo, v[206:207], v[208:209], v[206:207]
	v_rcp_f64_e32 v[212:213], v[210:211]
	v_fma_f64 v[214:215], -v[210:211], v[212:213], 1.0
	v_fma_f64 v[212:213], v[212:213], v[214:215], v[212:213]
	v_fma_f64 v[214:215], -v[210:211], v[212:213], 1.0
	v_fma_f64 v[212:213], v[212:213], v[214:215], v[212:213]
	v_mul_f64 v[214:215], v[216:217], v[212:213]
	v_fma_f64 v[210:211], -v[210:211], v[214:215], v[216:217]
	v_div_fmas_f64 v[210:211], v[210:211], v[212:213], v[214:215]
	v_div_fixup_f64 v[210:211], v[210:211], v[208:209], v[206:207]
	v_fma_f64 v[206:207], v[206:207], v[210:211], v[208:209]
	v_div_scale_f64 v[208:209], null, v[206:207], v[206:207], 1.0
	v_rcp_f64_e32 v[212:213], v[208:209]
	v_fma_f64 v[214:215], -v[208:209], v[212:213], 1.0
	v_fma_f64 v[212:213], v[212:213], v[214:215], v[212:213]
	v_fma_f64 v[214:215], -v[208:209], v[212:213], 1.0
	v_fma_f64 v[212:213], v[212:213], v[214:215], v[212:213]
	v_div_scale_f64 v[214:215], vcc_lo, 1.0, v[206:207], 1.0
	v_mul_f64 v[216:217], v[214:215], v[212:213]
	v_fma_f64 v[208:209], -v[208:209], v[216:217], v[214:215]
	v_div_fmas_f64 v[208:209], v[208:209], v[212:213], v[216:217]
	v_div_fixup_f64 v[212:213], v[208:209], v[206:207], 1.0
                                        ; implicit-def: $vgpr206_vgpr207
	v_mul_f64 v[210:211], v[210:211], v[212:213]
	v_xor_b32_e32 v213, 0x80000000, v213
.LBB59_194:
	s_andn2_saveexec_b32 s1, s1
	s_cbranch_execz .LBB59_196
; %bb.195:
	v_div_scale_f64 v[210:211], null, v[206:207], v[206:207], v[208:209]
	v_div_scale_f64 v[216:217], vcc_lo, v[208:209], v[206:207], v[208:209]
	v_rcp_f64_e32 v[212:213], v[210:211]
	v_fma_f64 v[214:215], -v[210:211], v[212:213], 1.0
	v_fma_f64 v[212:213], v[212:213], v[214:215], v[212:213]
	v_fma_f64 v[214:215], -v[210:211], v[212:213], 1.0
	v_fma_f64 v[212:213], v[212:213], v[214:215], v[212:213]
	v_mul_f64 v[214:215], v[216:217], v[212:213]
	v_fma_f64 v[210:211], -v[210:211], v[214:215], v[216:217]
	v_div_fmas_f64 v[210:211], v[210:211], v[212:213], v[214:215]
	v_div_fixup_f64 v[212:213], v[210:211], v[206:207], v[208:209]
	v_fma_f64 v[206:207], v[208:209], v[212:213], v[206:207]
	v_div_scale_f64 v[208:209], null, v[206:207], v[206:207], 1.0
	v_rcp_f64_e32 v[210:211], v[208:209]
	v_fma_f64 v[214:215], -v[208:209], v[210:211], 1.0
	v_fma_f64 v[210:211], v[210:211], v[214:215], v[210:211]
	v_fma_f64 v[214:215], -v[208:209], v[210:211], 1.0
	v_fma_f64 v[210:211], v[210:211], v[214:215], v[210:211]
	v_div_scale_f64 v[214:215], vcc_lo, 1.0, v[206:207], 1.0
	v_mul_f64 v[216:217], v[214:215], v[210:211]
	v_fma_f64 v[208:209], -v[208:209], v[216:217], v[214:215]
	v_div_fmas_f64 v[208:209], v[208:209], v[210:211], v[216:217]
	v_div_fixup_f64 v[210:211], v[208:209], v[206:207], 1.0
	v_mul_f64 v[212:213], v[212:213], -v[210:211]
.LBB59_196:
	s_or_b32 exec_lo, exec_lo, s1
	ds_write2_b64 v1, v[210:211], v[212:213] offset1:1
.LBB59_197:
	s_or_b32 exec_lo, exec_lo, s2
	s_waitcnt lgkmcnt(0)
	s_barrier
	buffer_gl0_inv
	ds_read2_b64 v[206:209], v1 offset1:1
	s_mov_b32 s1, exec_lo
	v_cmpx_lt_u32_e32 21, v0
	s_cbranch_execz .LBB59_199
; %bb.198:
	s_waitcnt lgkmcnt(0)
	v_mul_f64 v[210:211], v[206:207], v[36:37]
	v_mul_f64 v[36:37], v[208:209], v[36:37]
	v_fma_f64 v[214:215], v[208:209], v[34:35], v[210:211]
	ds_read2_b64 v[210:213], v248 offset0:44 offset1:45
	v_fma_f64 v[34:35], v[206:207], v[34:35], -v[36:37]
	s_waitcnt lgkmcnt(0)
	v_mul_f64 v[36:37], v[212:213], v[214:215]
	v_fma_f64 v[36:37], v[210:211], v[34:35], -v[36:37]
	v_mul_f64 v[210:211], v[210:211], v[214:215]
	v_add_f64 v[30:31], v[30:31], -v[36:37]
	v_fma_f64 v[210:211], v[212:213], v[34:35], v[210:211]
	v_add_f64 v[32:33], v[32:33], -v[210:211]
	ds_read2_b64 v[210:213], v248 offset0:46 offset1:47
	s_waitcnt lgkmcnt(0)
	v_mul_f64 v[36:37], v[212:213], v[214:215]
	v_fma_f64 v[36:37], v[210:211], v[34:35], -v[36:37]
	v_mul_f64 v[210:211], v[210:211], v[214:215]
	v_add_f64 v[26:27], v[26:27], -v[36:37]
	v_fma_f64 v[210:211], v[212:213], v[34:35], v[210:211]
	v_add_f64 v[28:29], v[28:29], -v[210:211]
	ds_read2_b64 v[210:213], v248 offset0:48 offset1:49
	;; [unrolled: 8-line block ×7, first 2 shown]
	s_waitcnt lgkmcnt(0)
	v_mul_f64 v[36:37], v[212:213], v[214:215]
	v_fma_f64 v[36:37], v[210:211], v[34:35], -v[36:37]
	v_mul_f64 v[210:211], v[210:211], v[214:215]
	v_add_f64 v[2:3], v[2:3], -v[36:37]
	v_fma_f64 v[210:211], v[212:213], v[34:35], v[210:211]
	v_mov_b32_e32 v36, v214
	v_mov_b32_e32 v37, v215
	v_add_f64 v[4:5], v[4:5], -v[210:211]
.LBB59_199:
	s_or_b32 exec_lo, exec_lo, s1
	s_mov_b32 s2, exec_lo
	s_waitcnt lgkmcnt(0)
	s_barrier
	buffer_gl0_inv
	v_cmpx_eq_u32_e32 22, v0
	s_cbranch_execz .LBB59_206
; %bb.200:
	ds_write2_b64 v1, v[30:31], v[32:33] offset1:1
	ds_write2_b64 v248, v[26:27], v[28:29] offset0:46 offset1:47
	ds_write2_b64 v248, v[22:23], v[24:25] offset0:48 offset1:49
	ds_write2_b64 v248, v[18:19], v[20:21] offset0:50 offset1:51
	ds_write2_b64 v248, v[14:15], v[16:17] offset0:52 offset1:53
	ds_write2_b64 v248, v[10:11], v[12:13] offset0:54 offset1:55
	ds_write2_b64 v248, v[6:7], v[8:9] offset0:56 offset1:57
	ds_write2_b64 v248, v[2:3], v[4:5] offset0:58 offset1:59
	ds_read2_b64 v[210:213], v1 offset1:1
	s_waitcnt lgkmcnt(0)
	v_cmp_neq_f64_e32 vcc_lo, 0, v[210:211]
	v_cmp_neq_f64_e64 s1, 0, v[212:213]
	s_or_b32 s1, vcc_lo, s1
	s_and_b32 exec_lo, exec_lo, s1
	s_cbranch_execz .LBB59_206
; %bb.201:
	v_cmp_ngt_f64_e64 s1, |v[210:211]|, |v[212:213]|
                                        ; implicit-def: $vgpr214_vgpr215
	s_and_saveexec_b32 s3, s1
	s_xor_b32 s1, exec_lo, s3
                                        ; implicit-def: $vgpr216_vgpr217
	s_cbranch_execz .LBB59_203
; %bb.202:
	v_div_scale_f64 v[214:215], null, v[212:213], v[212:213], v[210:211]
	v_div_scale_f64 v[220:221], vcc_lo, v[210:211], v[212:213], v[210:211]
	v_rcp_f64_e32 v[216:217], v[214:215]
	v_fma_f64 v[218:219], -v[214:215], v[216:217], 1.0
	v_fma_f64 v[216:217], v[216:217], v[218:219], v[216:217]
	v_fma_f64 v[218:219], -v[214:215], v[216:217], 1.0
	v_fma_f64 v[216:217], v[216:217], v[218:219], v[216:217]
	v_mul_f64 v[218:219], v[220:221], v[216:217]
	v_fma_f64 v[214:215], -v[214:215], v[218:219], v[220:221]
	v_div_fmas_f64 v[214:215], v[214:215], v[216:217], v[218:219]
	v_div_fixup_f64 v[214:215], v[214:215], v[212:213], v[210:211]
	v_fma_f64 v[210:211], v[210:211], v[214:215], v[212:213]
	v_div_scale_f64 v[212:213], null, v[210:211], v[210:211], 1.0
	v_rcp_f64_e32 v[216:217], v[212:213]
	v_fma_f64 v[218:219], -v[212:213], v[216:217], 1.0
	v_fma_f64 v[216:217], v[216:217], v[218:219], v[216:217]
	v_fma_f64 v[218:219], -v[212:213], v[216:217], 1.0
	v_fma_f64 v[216:217], v[216:217], v[218:219], v[216:217]
	v_div_scale_f64 v[218:219], vcc_lo, 1.0, v[210:211], 1.0
	v_mul_f64 v[220:221], v[218:219], v[216:217]
	v_fma_f64 v[212:213], -v[212:213], v[220:221], v[218:219]
	v_div_fmas_f64 v[212:213], v[212:213], v[216:217], v[220:221]
	v_div_fixup_f64 v[216:217], v[212:213], v[210:211], 1.0
                                        ; implicit-def: $vgpr210_vgpr211
	v_mul_f64 v[214:215], v[214:215], v[216:217]
	v_xor_b32_e32 v217, 0x80000000, v217
.LBB59_203:
	s_andn2_saveexec_b32 s1, s1
	s_cbranch_execz .LBB59_205
; %bb.204:
	v_div_scale_f64 v[214:215], null, v[210:211], v[210:211], v[212:213]
	v_div_scale_f64 v[220:221], vcc_lo, v[212:213], v[210:211], v[212:213]
	v_rcp_f64_e32 v[216:217], v[214:215]
	v_fma_f64 v[218:219], -v[214:215], v[216:217], 1.0
	v_fma_f64 v[216:217], v[216:217], v[218:219], v[216:217]
	v_fma_f64 v[218:219], -v[214:215], v[216:217], 1.0
	v_fma_f64 v[216:217], v[216:217], v[218:219], v[216:217]
	v_mul_f64 v[218:219], v[220:221], v[216:217]
	v_fma_f64 v[214:215], -v[214:215], v[218:219], v[220:221]
	v_div_fmas_f64 v[214:215], v[214:215], v[216:217], v[218:219]
	v_div_fixup_f64 v[216:217], v[214:215], v[210:211], v[212:213]
	v_fma_f64 v[210:211], v[212:213], v[216:217], v[210:211]
	v_div_scale_f64 v[212:213], null, v[210:211], v[210:211], 1.0
	v_rcp_f64_e32 v[214:215], v[212:213]
	v_fma_f64 v[218:219], -v[212:213], v[214:215], 1.0
	v_fma_f64 v[214:215], v[214:215], v[218:219], v[214:215]
	v_fma_f64 v[218:219], -v[212:213], v[214:215], 1.0
	v_fma_f64 v[214:215], v[214:215], v[218:219], v[214:215]
	v_div_scale_f64 v[218:219], vcc_lo, 1.0, v[210:211], 1.0
	v_mul_f64 v[220:221], v[218:219], v[214:215]
	v_fma_f64 v[212:213], -v[212:213], v[220:221], v[218:219]
	v_div_fmas_f64 v[212:213], v[212:213], v[214:215], v[220:221]
	v_div_fixup_f64 v[214:215], v[212:213], v[210:211], 1.0
	v_mul_f64 v[216:217], v[216:217], -v[214:215]
.LBB59_205:
	s_or_b32 exec_lo, exec_lo, s1
	ds_write2_b64 v1, v[214:215], v[216:217] offset1:1
.LBB59_206:
	s_or_b32 exec_lo, exec_lo, s2
	s_waitcnt lgkmcnt(0)
	s_barrier
	buffer_gl0_inv
	ds_read2_b64 v[210:213], v1 offset1:1
	s_mov_b32 s1, exec_lo
	v_cmpx_lt_u32_e32 22, v0
	s_cbranch_execz .LBB59_208
; %bb.207:
	s_waitcnt lgkmcnt(0)
	v_mul_f64 v[214:215], v[210:211], v[32:33]
	v_mul_f64 v[32:33], v[212:213], v[32:33]
	v_fma_f64 v[218:219], v[212:213], v[30:31], v[214:215]
	ds_read2_b64 v[214:217], v248 offset0:46 offset1:47
	v_fma_f64 v[30:31], v[210:211], v[30:31], -v[32:33]
	s_waitcnt lgkmcnt(0)
	v_mul_f64 v[32:33], v[216:217], v[218:219]
	v_fma_f64 v[32:33], v[214:215], v[30:31], -v[32:33]
	v_mul_f64 v[214:215], v[214:215], v[218:219]
	v_add_f64 v[26:27], v[26:27], -v[32:33]
	v_fma_f64 v[214:215], v[216:217], v[30:31], v[214:215]
	v_add_f64 v[28:29], v[28:29], -v[214:215]
	ds_read2_b64 v[214:217], v248 offset0:48 offset1:49
	s_waitcnt lgkmcnt(0)
	v_mul_f64 v[32:33], v[216:217], v[218:219]
	v_fma_f64 v[32:33], v[214:215], v[30:31], -v[32:33]
	v_mul_f64 v[214:215], v[214:215], v[218:219]
	v_add_f64 v[22:23], v[22:23], -v[32:33]
	v_fma_f64 v[214:215], v[216:217], v[30:31], v[214:215]
	v_add_f64 v[24:25], v[24:25], -v[214:215]
	ds_read2_b64 v[214:217], v248 offset0:50 offset1:51
	;; [unrolled: 8-line block ×6, first 2 shown]
	s_waitcnt lgkmcnt(0)
	v_mul_f64 v[32:33], v[216:217], v[218:219]
	v_fma_f64 v[32:33], v[214:215], v[30:31], -v[32:33]
	v_mul_f64 v[214:215], v[214:215], v[218:219]
	v_add_f64 v[2:3], v[2:3], -v[32:33]
	v_fma_f64 v[214:215], v[216:217], v[30:31], v[214:215]
	v_mov_b32_e32 v32, v218
	v_mov_b32_e32 v33, v219
	v_add_f64 v[4:5], v[4:5], -v[214:215]
.LBB59_208:
	s_or_b32 exec_lo, exec_lo, s1
	s_mov_b32 s2, exec_lo
	s_waitcnt lgkmcnt(0)
	s_barrier
	buffer_gl0_inv
	v_cmpx_eq_u32_e32 23, v0
	s_cbranch_execz .LBB59_215
; %bb.209:
	ds_write2_b64 v1, v[26:27], v[28:29] offset1:1
	ds_write2_b64 v248, v[22:23], v[24:25] offset0:48 offset1:49
	ds_write2_b64 v248, v[18:19], v[20:21] offset0:50 offset1:51
	;; [unrolled: 1-line block ×6, first 2 shown]
	ds_read2_b64 v[214:217], v1 offset1:1
	s_waitcnt lgkmcnt(0)
	v_cmp_neq_f64_e32 vcc_lo, 0, v[214:215]
	v_cmp_neq_f64_e64 s1, 0, v[216:217]
	s_or_b32 s1, vcc_lo, s1
	s_and_b32 exec_lo, exec_lo, s1
	s_cbranch_execz .LBB59_215
; %bb.210:
	v_cmp_ngt_f64_e64 s1, |v[214:215]|, |v[216:217]|
                                        ; implicit-def: $vgpr218_vgpr219
	s_and_saveexec_b32 s3, s1
	s_xor_b32 s1, exec_lo, s3
                                        ; implicit-def: $vgpr220_vgpr221
	s_cbranch_execz .LBB59_212
; %bb.211:
	v_div_scale_f64 v[218:219], null, v[216:217], v[216:217], v[214:215]
	v_div_scale_f64 v[224:225], vcc_lo, v[214:215], v[216:217], v[214:215]
	v_rcp_f64_e32 v[220:221], v[218:219]
	v_fma_f64 v[222:223], -v[218:219], v[220:221], 1.0
	v_fma_f64 v[220:221], v[220:221], v[222:223], v[220:221]
	v_fma_f64 v[222:223], -v[218:219], v[220:221], 1.0
	v_fma_f64 v[220:221], v[220:221], v[222:223], v[220:221]
	v_mul_f64 v[222:223], v[224:225], v[220:221]
	v_fma_f64 v[218:219], -v[218:219], v[222:223], v[224:225]
	v_div_fmas_f64 v[218:219], v[218:219], v[220:221], v[222:223]
	v_div_fixup_f64 v[218:219], v[218:219], v[216:217], v[214:215]
	v_fma_f64 v[214:215], v[214:215], v[218:219], v[216:217]
	v_div_scale_f64 v[216:217], null, v[214:215], v[214:215], 1.0
	v_rcp_f64_e32 v[220:221], v[216:217]
	v_fma_f64 v[222:223], -v[216:217], v[220:221], 1.0
	v_fma_f64 v[220:221], v[220:221], v[222:223], v[220:221]
	v_fma_f64 v[222:223], -v[216:217], v[220:221], 1.0
	v_fma_f64 v[220:221], v[220:221], v[222:223], v[220:221]
	v_div_scale_f64 v[222:223], vcc_lo, 1.0, v[214:215], 1.0
	v_mul_f64 v[224:225], v[222:223], v[220:221]
	v_fma_f64 v[216:217], -v[216:217], v[224:225], v[222:223]
	v_div_fmas_f64 v[216:217], v[216:217], v[220:221], v[224:225]
	v_div_fixup_f64 v[220:221], v[216:217], v[214:215], 1.0
                                        ; implicit-def: $vgpr214_vgpr215
	v_mul_f64 v[218:219], v[218:219], v[220:221]
	v_xor_b32_e32 v221, 0x80000000, v221
.LBB59_212:
	s_andn2_saveexec_b32 s1, s1
	s_cbranch_execz .LBB59_214
; %bb.213:
	v_div_scale_f64 v[218:219], null, v[214:215], v[214:215], v[216:217]
	v_div_scale_f64 v[224:225], vcc_lo, v[216:217], v[214:215], v[216:217]
	v_rcp_f64_e32 v[220:221], v[218:219]
	v_fma_f64 v[222:223], -v[218:219], v[220:221], 1.0
	v_fma_f64 v[220:221], v[220:221], v[222:223], v[220:221]
	v_fma_f64 v[222:223], -v[218:219], v[220:221], 1.0
	v_fma_f64 v[220:221], v[220:221], v[222:223], v[220:221]
	v_mul_f64 v[222:223], v[224:225], v[220:221]
	v_fma_f64 v[218:219], -v[218:219], v[222:223], v[224:225]
	v_div_fmas_f64 v[218:219], v[218:219], v[220:221], v[222:223]
	v_div_fixup_f64 v[220:221], v[218:219], v[214:215], v[216:217]
	v_fma_f64 v[214:215], v[216:217], v[220:221], v[214:215]
	v_div_scale_f64 v[216:217], null, v[214:215], v[214:215], 1.0
	v_rcp_f64_e32 v[218:219], v[216:217]
	v_fma_f64 v[222:223], -v[216:217], v[218:219], 1.0
	v_fma_f64 v[218:219], v[218:219], v[222:223], v[218:219]
	v_fma_f64 v[222:223], -v[216:217], v[218:219], 1.0
	v_fma_f64 v[218:219], v[218:219], v[222:223], v[218:219]
	v_div_scale_f64 v[222:223], vcc_lo, 1.0, v[214:215], 1.0
	v_mul_f64 v[224:225], v[222:223], v[218:219]
	v_fma_f64 v[216:217], -v[216:217], v[224:225], v[222:223]
	v_div_fmas_f64 v[216:217], v[216:217], v[218:219], v[224:225]
	v_div_fixup_f64 v[218:219], v[216:217], v[214:215], 1.0
	v_mul_f64 v[220:221], v[220:221], -v[218:219]
.LBB59_214:
	s_or_b32 exec_lo, exec_lo, s1
	ds_write2_b64 v1, v[218:219], v[220:221] offset1:1
.LBB59_215:
	s_or_b32 exec_lo, exec_lo, s2
	s_waitcnt lgkmcnt(0)
	s_barrier
	buffer_gl0_inv
	ds_read2_b64 v[214:217], v1 offset1:1
	s_mov_b32 s1, exec_lo
	v_cmpx_lt_u32_e32 23, v0
	s_cbranch_execz .LBB59_217
; %bb.216:
	s_waitcnt lgkmcnt(0)
	v_mul_f64 v[218:219], v[214:215], v[28:29]
	v_mul_f64 v[28:29], v[216:217], v[28:29]
	v_fma_f64 v[222:223], v[216:217], v[26:27], v[218:219]
	ds_read2_b64 v[218:221], v248 offset0:48 offset1:49
	v_fma_f64 v[26:27], v[214:215], v[26:27], -v[28:29]
	s_waitcnt lgkmcnt(0)
	v_mul_f64 v[28:29], v[220:221], v[222:223]
	v_fma_f64 v[28:29], v[218:219], v[26:27], -v[28:29]
	v_mul_f64 v[218:219], v[218:219], v[222:223]
	v_add_f64 v[22:23], v[22:23], -v[28:29]
	v_fma_f64 v[218:219], v[220:221], v[26:27], v[218:219]
	v_add_f64 v[24:25], v[24:25], -v[218:219]
	ds_read2_b64 v[218:221], v248 offset0:50 offset1:51
	s_waitcnt lgkmcnt(0)
	v_mul_f64 v[28:29], v[220:221], v[222:223]
	v_fma_f64 v[28:29], v[218:219], v[26:27], -v[28:29]
	v_mul_f64 v[218:219], v[218:219], v[222:223]
	v_add_f64 v[18:19], v[18:19], -v[28:29]
	v_fma_f64 v[218:219], v[220:221], v[26:27], v[218:219]
	v_add_f64 v[20:21], v[20:21], -v[218:219]
	ds_read2_b64 v[218:221], v248 offset0:52 offset1:53
	;; [unrolled: 8-line block ×5, first 2 shown]
	s_waitcnt lgkmcnt(0)
	v_mul_f64 v[28:29], v[220:221], v[222:223]
	v_fma_f64 v[28:29], v[218:219], v[26:27], -v[28:29]
	v_mul_f64 v[218:219], v[218:219], v[222:223]
	v_add_f64 v[2:3], v[2:3], -v[28:29]
	v_fma_f64 v[218:219], v[220:221], v[26:27], v[218:219]
	v_mov_b32_e32 v28, v222
	v_mov_b32_e32 v29, v223
	v_add_f64 v[4:5], v[4:5], -v[218:219]
.LBB59_217:
	s_or_b32 exec_lo, exec_lo, s1
	s_mov_b32 s2, exec_lo
	s_waitcnt lgkmcnt(0)
	s_barrier
	buffer_gl0_inv
	v_cmpx_eq_u32_e32 24, v0
	s_cbranch_execz .LBB59_224
; %bb.218:
	ds_write2_b64 v1, v[22:23], v[24:25] offset1:1
	ds_write2_b64 v248, v[18:19], v[20:21] offset0:50 offset1:51
	ds_write2_b64 v248, v[14:15], v[16:17] offset0:52 offset1:53
	;; [unrolled: 1-line block ×5, first 2 shown]
	ds_read2_b64 v[218:221], v1 offset1:1
	s_waitcnt lgkmcnt(0)
	v_cmp_neq_f64_e32 vcc_lo, 0, v[218:219]
	v_cmp_neq_f64_e64 s1, 0, v[220:221]
	s_or_b32 s1, vcc_lo, s1
	s_and_b32 exec_lo, exec_lo, s1
	s_cbranch_execz .LBB59_224
; %bb.219:
	v_cmp_ngt_f64_e64 s1, |v[218:219]|, |v[220:221]|
                                        ; implicit-def: $vgpr222_vgpr223
	s_and_saveexec_b32 s3, s1
	s_xor_b32 s1, exec_lo, s3
                                        ; implicit-def: $vgpr224_vgpr225
	s_cbranch_execz .LBB59_221
; %bb.220:
	v_div_scale_f64 v[222:223], null, v[220:221], v[220:221], v[218:219]
	v_div_scale_f64 v[228:229], vcc_lo, v[218:219], v[220:221], v[218:219]
	v_rcp_f64_e32 v[224:225], v[222:223]
	v_fma_f64 v[226:227], -v[222:223], v[224:225], 1.0
	v_fma_f64 v[224:225], v[224:225], v[226:227], v[224:225]
	v_fma_f64 v[226:227], -v[222:223], v[224:225], 1.0
	v_fma_f64 v[224:225], v[224:225], v[226:227], v[224:225]
	v_mul_f64 v[226:227], v[228:229], v[224:225]
	v_fma_f64 v[222:223], -v[222:223], v[226:227], v[228:229]
	v_div_fmas_f64 v[222:223], v[222:223], v[224:225], v[226:227]
	v_div_fixup_f64 v[222:223], v[222:223], v[220:221], v[218:219]
	v_fma_f64 v[218:219], v[218:219], v[222:223], v[220:221]
	v_div_scale_f64 v[220:221], null, v[218:219], v[218:219], 1.0
	v_rcp_f64_e32 v[224:225], v[220:221]
	v_fma_f64 v[226:227], -v[220:221], v[224:225], 1.0
	v_fma_f64 v[224:225], v[224:225], v[226:227], v[224:225]
	v_fma_f64 v[226:227], -v[220:221], v[224:225], 1.0
	v_fma_f64 v[224:225], v[224:225], v[226:227], v[224:225]
	v_div_scale_f64 v[226:227], vcc_lo, 1.0, v[218:219], 1.0
	v_mul_f64 v[228:229], v[226:227], v[224:225]
	v_fma_f64 v[220:221], -v[220:221], v[228:229], v[226:227]
	v_div_fmas_f64 v[220:221], v[220:221], v[224:225], v[228:229]
	v_div_fixup_f64 v[224:225], v[220:221], v[218:219], 1.0
                                        ; implicit-def: $vgpr218_vgpr219
	v_mul_f64 v[222:223], v[222:223], v[224:225]
	v_xor_b32_e32 v225, 0x80000000, v225
.LBB59_221:
	s_andn2_saveexec_b32 s1, s1
	s_cbranch_execz .LBB59_223
; %bb.222:
	v_div_scale_f64 v[222:223], null, v[218:219], v[218:219], v[220:221]
	v_div_scale_f64 v[228:229], vcc_lo, v[220:221], v[218:219], v[220:221]
	v_rcp_f64_e32 v[224:225], v[222:223]
	v_fma_f64 v[226:227], -v[222:223], v[224:225], 1.0
	v_fma_f64 v[224:225], v[224:225], v[226:227], v[224:225]
	v_fma_f64 v[226:227], -v[222:223], v[224:225], 1.0
	v_fma_f64 v[224:225], v[224:225], v[226:227], v[224:225]
	v_mul_f64 v[226:227], v[228:229], v[224:225]
	v_fma_f64 v[222:223], -v[222:223], v[226:227], v[228:229]
	v_div_fmas_f64 v[222:223], v[222:223], v[224:225], v[226:227]
	v_div_fixup_f64 v[224:225], v[222:223], v[218:219], v[220:221]
	v_fma_f64 v[218:219], v[220:221], v[224:225], v[218:219]
	v_div_scale_f64 v[220:221], null, v[218:219], v[218:219], 1.0
	v_rcp_f64_e32 v[222:223], v[220:221]
	v_fma_f64 v[226:227], -v[220:221], v[222:223], 1.0
	v_fma_f64 v[222:223], v[222:223], v[226:227], v[222:223]
	v_fma_f64 v[226:227], -v[220:221], v[222:223], 1.0
	v_fma_f64 v[222:223], v[222:223], v[226:227], v[222:223]
	v_div_scale_f64 v[226:227], vcc_lo, 1.0, v[218:219], 1.0
	v_mul_f64 v[228:229], v[226:227], v[222:223]
	v_fma_f64 v[220:221], -v[220:221], v[228:229], v[226:227]
	v_div_fmas_f64 v[220:221], v[220:221], v[222:223], v[228:229]
	v_div_fixup_f64 v[222:223], v[220:221], v[218:219], 1.0
	v_mul_f64 v[224:225], v[224:225], -v[222:223]
.LBB59_223:
	s_or_b32 exec_lo, exec_lo, s1
	ds_write2_b64 v1, v[222:223], v[224:225] offset1:1
.LBB59_224:
	s_or_b32 exec_lo, exec_lo, s2
	s_waitcnt lgkmcnt(0)
	s_barrier
	buffer_gl0_inv
	ds_read2_b64 v[218:221], v1 offset1:1
	s_mov_b32 s1, exec_lo
	v_cmpx_lt_u32_e32 24, v0
	s_cbranch_execz .LBB59_226
; %bb.225:
	s_waitcnt lgkmcnt(0)
	v_mul_f64 v[222:223], v[218:219], v[24:25]
	v_mul_f64 v[24:25], v[220:221], v[24:25]
	v_fma_f64 v[226:227], v[220:221], v[22:23], v[222:223]
	ds_read2_b64 v[222:225], v248 offset0:50 offset1:51
	v_fma_f64 v[22:23], v[218:219], v[22:23], -v[24:25]
	s_waitcnt lgkmcnt(0)
	v_mul_f64 v[24:25], v[224:225], v[226:227]
	v_fma_f64 v[24:25], v[222:223], v[22:23], -v[24:25]
	v_mul_f64 v[222:223], v[222:223], v[226:227]
	v_add_f64 v[18:19], v[18:19], -v[24:25]
	v_fma_f64 v[222:223], v[224:225], v[22:23], v[222:223]
	v_add_f64 v[20:21], v[20:21], -v[222:223]
	ds_read2_b64 v[222:225], v248 offset0:52 offset1:53
	s_waitcnt lgkmcnt(0)
	v_mul_f64 v[24:25], v[224:225], v[226:227]
	v_fma_f64 v[24:25], v[222:223], v[22:23], -v[24:25]
	v_mul_f64 v[222:223], v[222:223], v[226:227]
	v_add_f64 v[14:15], v[14:15], -v[24:25]
	v_fma_f64 v[222:223], v[224:225], v[22:23], v[222:223]
	v_add_f64 v[16:17], v[16:17], -v[222:223]
	ds_read2_b64 v[222:225], v248 offset0:54 offset1:55
	s_waitcnt lgkmcnt(0)
	v_mul_f64 v[24:25], v[224:225], v[226:227]
	v_fma_f64 v[24:25], v[222:223], v[22:23], -v[24:25]
	v_mul_f64 v[222:223], v[222:223], v[226:227]
	v_add_f64 v[10:11], v[10:11], -v[24:25]
	v_fma_f64 v[222:223], v[224:225], v[22:23], v[222:223]
	v_add_f64 v[12:13], v[12:13], -v[222:223]
	ds_read2_b64 v[222:225], v248 offset0:56 offset1:57
	s_waitcnt lgkmcnt(0)
	v_mul_f64 v[24:25], v[224:225], v[226:227]
	v_fma_f64 v[24:25], v[222:223], v[22:23], -v[24:25]
	v_mul_f64 v[222:223], v[222:223], v[226:227]
	v_add_f64 v[6:7], v[6:7], -v[24:25]
	v_fma_f64 v[222:223], v[224:225], v[22:23], v[222:223]
	v_add_f64 v[8:9], v[8:9], -v[222:223]
	ds_read2_b64 v[222:225], v248 offset0:58 offset1:59
	s_waitcnt lgkmcnt(0)
	v_mul_f64 v[24:25], v[224:225], v[226:227]
	v_fma_f64 v[24:25], v[222:223], v[22:23], -v[24:25]
	v_mul_f64 v[222:223], v[222:223], v[226:227]
	v_add_f64 v[2:3], v[2:3], -v[24:25]
	v_fma_f64 v[222:223], v[224:225], v[22:23], v[222:223]
	v_mov_b32_e32 v24, v226
	v_mov_b32_e32 v25, v227
	v_add_f64 v[4:5], v[4:5], -v[222:223]
.LBB59_226:
	s_or_b32 exec_lo, exec_lo, s1
	s_mov_b32 s2, exec_lo
	s_waitcnt lgkmcnt(0)
	s_barrier
	buffer_gl0_inv
	v_cmpx_eq_u32_e32 25, v0
	s_cbranch_execz .LBB59_233
; %bb.227:
	ds_write2_b64 v1, v[18:19], v[20:21] offset1:1
	ds_write2_b64 v248, v[14:15], v[16:17] offset0:52 offset1:53
	ds_write2_b64 v248, v[10:11], v[12:13] offset0:54 offset1:55
	;; [unrolled: 1-line block ×4, first 2 shown]
	ds_read2_b64 v[222:225], v1 offset1:1
	s_waitcnt lgkmcnt(0)
	v_cmp_neq_f64_e32 vcc_lo, 0, v[222:223]
	v_cmp_neq_f64_e64 s1, 0, v[224:225]
	s_or_b32 s1, vcc_lo, s1
	s_and_b32 exec_lo, exec_lo, s1
	s_cbranch_execz .LBB59_233
; %bb.228:
	v_cmp_ngt_f64_e64 s1, |v[222:223]|, |v[224:225]|
                                        ; implicit-def: $vgpr226_vgpr227
	s_and_saveexec_b32 s3, s1
	s_xor_b32 s1, exec_lo, s3
                                        ; implicit-def: $vgpr228_vgpr229
	s_cbranch_execz .LBB59_230
; %bb.229:
	v_div_scale_f64 v[226:227], null, v[224:225], v[224:225], v[222:223]
	v_div_scale_f64 v[232:233], vcc_lo, v[222:223], v[224:225], v[222:223]
	v_rcp_f64_e32 v[228:229], v[226:227]
	v_fma_f64 v[230:231], -v[226:227], v[228:229], 1.0
	v_fma_f64 v[228:229], v[228:229], v[230:231], v[228:229]
	v_fma_f64 v[230:231], -v[226:227], v[228:229], 1.0
	v_fma_f64 v[228:229], v[228:229], v[230:231], v[228:229]
	v_mul_f64 v[230:231], v[232:233], v[228:229]
	v_fma_f64 v[226:227], -v[226:227], v[230:231], v[232:233]
	v_div_fmas_f64 v[226:227], v[226:227], v[228:229], v[230:231]
	v_div_fixup_f64 v[226:227], v[226:227], v[224:225], v[222:223]
	v_fma_f64 v[222:223], v[222:223], v[226:227], v[224:225]
	v_div_scale_f64 v[224:225], null, v[222:223], v[222:223], 1.0
	v_rcp_f64_e32 v[228:229], v[224:225]
	v_fma_f64 v[230:231], -v[224:225], v[228:229], 1.0
	v_fma_f64 v[228:229], v[228:229], v[230:231], v[228:229]
	v_fma_f64 v[230:231], -v[224:225], v[228:229], 1.0
	v_fma_f64 v[228:229], v[228:229], v[230:231], v[228:229]
	v_div_scale_f64 v[230:231], vcc_lo, 1.0, v[222:223], 1.0
	v_mul_f64 v[232:233], v[230:231], v[228:229]
	v_fma_f64 v[224:225], -v[224:225], v[232:233], v[230:231]
	v_div_fmas_f64 v[224:225], v[224:225], v[228:229], v[232:233]
	v_div_fixup_f64 v[228:229], v[224:225], v[222:223], 1.0
                                        ; implicit-def: $vgpr222_vgpr223
	v_mul_f64 v[226:227], v[226:227], v[228:229]
	v_xor_b32_e32 v229, 0x80000000, v229
.LBB59_230:
	s_andn2_saveexec_b32 s1, s1
	s_cbranch_execz .LBB59_232
; %bb.231:
	v_div_scale_f64 v[226:227], null, v[222:223], v[222:223], v[224:225]
	v_div_scale_f64 v[232:233], vcc_lo, v[224:225], v[222:223], v[224:225]
	v_rcp_f64_e32 v[228:229], v[226:227]
	v_fma_f64 v[230:231], -v[226:227], v[228:229], 1.0
	v_fma_f64 v[228:229], v[228:229], v[230:231], v[228:229]
	v_fma_f64 v[230:231], -v[226:227], v[228:229], 1.0
	v_fma_f64 v[228:229], v[228:229], v[230:231], v[228:229]
	v_mul_f64 v[230:231], v[232:233], v[228:229]
	v_fma_f64 v[226:227], -v[226:227], v[230:231], v[232:233]
	v_div_fmas_f64 v[226:227], v[226:227], v[228:229], v[230:231]
	v_div_fixup_f64 v[228:229], v[226:227], v[222:223], v[224:225]
	v_fma_f64 v[222:223], v[224:225], v[228:229], v[222:223]
	v_div_scale_f64 v[224:225], null, v[222:223], v[222:223], 1.0
	v_rcp_f64_e32 v[226:227], v[224:225]
	v_fma_f64 v[230:231], -v[224:225], v[226:227], 1.0
	v_fma_f64 v[226:227], v[226:227], v[230:231], v[226:227]
	v_fma_f64 v[230:231], -v[224:225], v[226:227], 1.0
	v_fma_f64 v[226:227], v[226:227], v[230:231], v[226:227]
	v_div_scale_f64 v[230:231], vcc_lo, 1.0, v[222:223], 1.0
	v_mul_f64 v[232:233], v[230:231], v[226:227]
	v_fma_f64 v[224:225], -v[224:225], v[232:233], v[230:231]
	v_div_fmas_f64 v[224:225], v[224:225], v[226:227], v[232:233]
	v_div_fixup_f64 v[226:227], v[224:225], v[222:223], 1.0
	v_mul_f64 v[228:229], v[228:229], -v[226:227]
.LBB59_232:
	s_or_b32 exec_lo, exec_lo, s1
	ds_write2_b64 v1, v[226:227], v[228:229] offset1:1
.LBB59_233:
	s_or_b32 exec_lo, exec_lo, s2
	s_waitcnt lgkmcnt(0)
	s_barrier
	buffer_gl0_inv
	ds_read2_b64 v[222:225], v1 offset1:1
	s_mov_b32 s1, exec_lo
	v_cmpx_lt_u32_e32 25, v0
	s_cbranch_execz .LBB59_235
; %bb.234:
	s_waitcnt lgkmcnt(0)
	v_mul_f64 v[226:227], v[222:223], v[20:21]
	v_mul_f64 v[20:21], v[224:225], v[20:21]
	v_fma_f64 v[230:231], v[224:225], v[18:19], v[226:227]
	ds_read2_b64 v[226:229], v248 offset0:52 offset1:53
	v_fma_f64 v[18:19], v[222:223], v[18:19], -v[20:21]
	s_waitcnt lgkmcnt(0)
	v_mul_f64 v[20:21], v[228:229], v[230:231]
	v_fma_f64 v[20:21], v[226:227], v[18:19], -v[20:21]
	v_mul_f64 v[226:227], v[226:227], v[230:231]
	v_add_f64 v[14:15], v[14:15], -v[20:21]
	v_fma_f64 v[226:227], v[228:229], v[18:19], v[226:227]
	v_add_f64 v[16:17], v[16:17], -v[226:227]
	ds_read2_b64 v[226:229], v248 offset0:54 offset1:55
	s_waitcnt lgkmcnt(0)
	v_mul_f64 v[20:21], v[228:229], v[230:231]
	v_fma_f64 v[20:21], v[226:227], v[18:19], -v[20:21]
	v_mul_f64 v[226:227], v[226:227], v[230:231]
	v_add_f64 v[10:11], v[10:11], -v[20:21]
	v_fma_f64 v[226:227], v[228:229], v[18:19], v[226:227]
	v_add_f64 v[12:13], v[12:13], -v[226:227]
	ds_read2_b64 v[226:229], v248 offset0:56 offset1:57
	;; [unrolled: 8-line block ×3, first 2 shown]
	s_waitcnt lgkmcnt(0)
	v_mul_f64 v[20:21], v[228:229], v[230:231]
	v_fma_f64 v[20:21], v[226:227], v[18:19], -v[20:21]
	v_mul_f64 v[226:227], v[226:227], v[230:231]
	v_add_f64 v[2:3], v[2:3], -v[20:21]
	v_fma_f64 v[226:227], v[228:229], v[18:19], v[226:227]
	v_mov_b32_e32 v20, v230
	v_mov_b32_e32 v21, v231
	v_add_f64 v[4:5], v[4:5], -v[226:227]
.LBB59_235:
	s_or_b32 exec_lo, exec_lo, s1
	s_mov_b32 s2, exec_lo
	s_waitcnt lgkmcnt(0)
	s_barrier
	buffer_gl0_inv
	v_cmpx_eq_u32_e32 26, v0
	s_cbranch_execz .LBB59_242
; %bb.236:
	ds_write2_b64 v1, v[14:15], v[16:17] offset1:1
	ds_write2_b64 v248, v[10:11], v[12:13] offset0:54 offset1:55
	ds_write2_b64 v248, v[6:7], v[8:9] offset0:56 offset1:57
	;; [unrolled: 1-line block ×3, first 2 shown]
	ds_read2_b64 v[226:229], v1 offset1:1
	s_waitcnt lgkmcnt(0)
	v_cmp_neq_f64_e32 vcc_lo, 0, v[226:227]
	v_cmp_neq_f64_e64 s1, 0, v[228:229]
	s_or_b32 s1, vcc_lo, s1
	s_and_b32 exec_lo, exec_lo, s1
	s_cbranch_execz .LBB59_242
; %bb.237:
	v_cmp_ngt_f64_e64 s1, |v[226:227]|, |v[228:229]|
                                        ; implicit-def: $vgpr230_vgpr231
	s_and_saveexec_b32 s3, s1
	s_xor_b32 s1, exec_lo, s3
                                        ; implicit-def: $vgpr232_vgpr233
	s_cbranch_execz .LBB59_239
; %bb.238:
	v_div_scale_f64 v[230:231], null, v[228:229], v[228:229], v[226:227]
	v_div_scale_f64 v[236:237], vcc_lo, v[226:227], v[228:229], v[226:227]
	v_rcp_f64_e32 v[232:233], v[230:231]
	v_fma_f64 v[234:235], -v[230:231], v[232:233], 1.0
	v_fma_f64 v[232:233], v[232:233], v[234:235], v[232:233]
	v_fma_f64 v[234:235], -v[230:231], v[232:233], 1.0
	v_fma_f64 v[232:233], v[232:233], v[234:235], v[232:233]
	v_mul_f64 v[234:235], v[236:237], v[232:233]
	v_fma_f64 v[230:231], -v[230:231], v[234:235], v[236:237]
	v_div_fmas_f64 v[230:231], v[230:231], v[232:233], v[234:235]
	v_div_fixup_f64 v[230:231], v[230:231], v[228:229], v[226:227]
	v_fma_f64 v[226:227], v[226:227], v[230:231], v[228:229]
	v_div_scale_f64 v[228:229], null, v[226:227], v[226:227], 1.0
	v_rcp_f64_e32 v[232:233], v[228:229]
	v_fma_f64 v[234:235], -v[228:229], v[232:233], 1.0
	v_fma_f64 v[232:233], v[232:233], v[234:235], v[232:233]
	v_fma_f64 v[234:235], -v[228:229], v[232:233], 1.0
	v_fma_f64 v[232:233], v[232:233], v[234:235], v[232:233]
	v_div_scale_f64 v[234:235], vcc_lo, 1.0, v[226:227], 1.0
	v_mul_f64 v[236:237], v[234:235], v[232:233]
	v_fma_f64 v[228:229], -v[228:229], v[236:237], v[234:235]
	v_div_fmas_f64 v[228:229], v[228:229], v[232:233], v[236:237]
	v_div_fixup_f64 v[232:233], v[228:229], v[226:227], 1.0
                                        ; implicit-def: $vgpr226_vgpr227
	v_mul_f64 v[230:231], v[230:231], v[232:233]
	v_xor_b32_e32 v233, 0x80000000, v233
.LBB59_239:
	s_andn2_saveexec_b32 s1, s1
	s_cbranch_execz .LBB59_241
; %bb.240:
	v_div_scale_f64 v[230:231], null, v[226:227], v[226:227], v[228:229]
	v_div_scale_f64 v[236:237], vcc_lo, v[228:229], v[226:227], v[228:229]
	v_rcp_f64_e32 v[232:233], v[230:231]
	v_fma_f64 v[234:235], -v[230:231], v[232:233], 1.0
	v_fma_f64 v[232:233], v[232:233], v[234:235], v[232:233]
	v_fma_f64 v[234:235], -v[230:231], v[232:233], 1.0
	v_fma_f64 v[232:233], v[232:233], v[234:235], v[232:233]
	v_mul_f64 v[234:235], v[236:237], v[232:233]
	v_fma_f64 v[230:231], -v[230:231], v[234:235], v[236:237]
	v_div_fmas_f64 v[230:231], v[230:231], v[232:233], v[234:235]
	v_div_fixup_f64 v[232:233], v[230:231], v[226:227], v[228:229]
	v_fma_f64 v[226:227], v[228:229], v[232:233], v[226:227]
	v_div_scale_f64 v[228:229], null, v[226:227], v[226:227], 1.0
	v_rcp_f64_e32 v[230:231], v[228:229]
	v_fma_f64 v[234:235], -v[228:229], v[230:231], 1.0
	v_fma_f64 v[230:231], v[230:231], v[234:235], v[230:231]
	v_fma_f64 v[234:235], -v[228:229], v[230:231], 1.0
	v_fma_f64 v[230:231], v[230:231], v[234:235], v[230:231]
	v_div_scale_f64 v[234:235], vcc_lo, 1.0, v[226:227], 1.0
	v_mul_f64 v[236:237], v[234:235], v[230:231]
	v_fma_f64 v[228:229], -v[228:229], v[236:237], v[234:235]
	v_div_fmas_f64 v[228:229], v[228:229], v[230:231], v[236:237]
	v_div_fixup_f64 v[230:231], v[228:229], v[226:227], 1.0
	v_mul_f64 v[232:233], v[232:233], -v[230:231]
.LBB59_241:
	s_or_b32 exec_lo, exec_lo, s1
	ds_write2_b64 v1, v[230:231], v[232:233] offset1:1
.LBB59_242:
	s_or_b32 exec_lo, exec_lo, s2
	s_waitcnt lgkmcnt(0)
	s_barrier
	buffer_gl0_inv
	ds_read2_b64 v[226:229], v1 offset1:1
	s_mov_b32 s1, exec_lo
	v_cmpx_lt_u32_e32 26, v0
	s_cbranch_execz .LBB59_244
; %bb.243:
	s_waitcnt lgkmcnt(0)
	v_mul_f64 v[230:231], v[226:227], v[16:17]
	v_mul_f64 v[16:17], v[228:229], v[16:17]
	v_fma_f64 v[234:235], v[228:229], v[14:15], v[230:231]
	ds_read2_b64 v[230:233], v248 offset0:54 offset1:55
	v_fma_f64 v[14:15], v[226:227], v[14:15], -v[16:17]
	s_waitcnt lgkmcnt(0)
	v_mul_f64 v[16:17], v[232:233], v[234:235]
	v_fma_f64 v[16:17], v[230:231], v[14:15], -v[16:17]
	v_mul_f64 v[230:231], v[230:231], v[234:235]
	v_add_f64 v[10:11], v[10:11], -v[16:17]
	v_fma_f64 v[230:231], v[232:233], v[14:15], v[230:231]
	v_add_f64 v[12:13], v[12:13], -v[230:231]
	ds_read2_b64 v[230:233], v248 offset0:56 offset1:57
	s_waitcnt lgkmcnt(0)
	v_mul_f64 v[16:17], v[232:233], v[234:235]
	v_fma_f64 v[16:17], v[230:231], v[14:15], -v[16:17]
	v_mul_f64 v[230:231], v[230:231], v[234:235]
	v_add_f64 v[6:7], v[6:7], -v[16:17]
	v_fma_f64 v[230:231], v[232:233], v[14:15], v[230:231]
	v_add_f64 v[8:9], v[8:9], -v[230:231]
	ds_read2_b64 v[230:233], v248 offset0:58 offset1:59
	s_waitcnt lgkmcnt(0)
	v_mul_f64 v[16:17], v[232:233], v[234:235]
	v_fma_f64 v[16:17], v[230:231], v[14:15], -v[16:17]
	v_mul_f64 v[230:231], v[230:231], v[234:235]
	v_add_f64 v[2:3], v[2:3], -v[16:17]
	v_fma_f64 v[230:231], v[232:233], v[14:15], v[230:231]
	v_mov_b32_e32 v16, v234
	v_mov_b32_e32 v17, v235
	v_add_f64 v[4:5], v[4:5], -v[230:231]
.LBB59_244:
	s_or_b32 exec_lo, exec_lo, s1
	s_mov_b32 s2, exec_lo
	s_waitcnt lgkmcnt(0)
	s_barrier
	buffer_gl0_inv
	v_cmpx_eq_u32_e32 27, v0
	s_cbranch_execz .LBB59_251
; %bb.245:
	ds_write2_b64 v1, v[10:11], v[12:13] offset1:1
	ds_write2_b64 v248, v[6:7], v[8:9] offset0:56 offset1:57
	ds_write2_b64 v248, v[2:3], v[4:5] offset0:58 offset1:59
	ds_read2_b64 v[230:233], v1 offset1:1
	s_waitcnt lgkmcnt(0)
	v_cmp_neq_f64_e32 vcc_lo, 0, v[230:231]
	v_cmp_neq_f64_e64 s1, 0, v[232:233]
	s_or_b32 s1, vcc_lo, s1
	s_and_b32 exec_lo, exec_lo, s1
	s_cbranch_execz .LBB59_251
; %bb.246:
	v_cmp_ngt_f64_e64 s1, |v[230:231]|, |v[232:233]|
                                        ; implicit-def: $vgpr234_vgpr235
	s_and_saveexec_b32 s3, s1
	s_xor_b32 s1, exec_lo, s3
                                        ; implicit-def: $vgpr236_vgpr237
	s_cbranch_execz .LBB59_248
; %bb.247:
	v_div_scale_f64 v[234:235], null, v[232:233], v[232:233], v[230:231]
	v_div_scale_f64 v[240:241], vcc_lo, v[230:231], v[232:233], v[230:231]
	v_rcp_f64_e32 v[236:237], v[234:235]
	v_fma_f64 v[238:239], -v[234:235], v[236:237], 1.0
	v_fma_f64 v[236:237], v[236:237], v[238:239], v[236:237]
	v_fma_f64 v[238:239], -v[234:235], v[236:237], 1.0
	v_fma_f64 v[236:237], v[236:237], v[238:239], v[236:237]
	v_mul_f64 v[238:239], v[240:241], v[236:237]
	v_fma_f64 v[234:235], -v[234:235], v[238:239], v[240:241]
	v_div_fmas_f64 v[234:235], v[234:235], v[236:237], v[238:239]
	v_div_fixup_f64 v[234:235], v[234:235], v[232:233], v[230:231]
	v_fma_f64 v[230:231], v[230:231], v[234:235], v[232:233]
	v_div_scale_f64 v[232:233], null, v[230:231], v[230:231], 1.0
	v_rcp_f64_e32 v[236:237], v[232:233]
	v_fma_f64 v[238:239], -v[232:233], v[236:237], 1.0
	v_fma_f64 v[236:237], v[236:237], v[238:239], v[236:237]
	v_fma_f64 v[238:239], -v[232:233], v[236:237], 1.0
	v_fma_f64 v[236:237], v[236:237], v[238:239], v[236:237]
	v_div_scale_f64 v[238:239], vcc_lo, 1.0, v[230:231], 1.0
	v_mul_f64 v[240:241], v[238:239], v[236:237]
	v_fma_f64 v[232:233], -v[232:233], v[240:241], v[238:239]
	v_div_fmas_f64 v[232:233], v[232:233], v[236:237], v[240:241]
	v_div_fixup_f64 v[236:237], v[232:233], v[230:231], 1.0
                                        ; implicit-def: $vgpr230_vgpr231
	v_mul_f64 v[234:235], v[234:235], v[236:237]
	v_xor_b32_e32 v237, 0x80000000, v237
.LBB59_248:
	s_andn2_saveexec_b32 s1, s1
	s_cbranch_execz .LBB59_250
; %bb.249:
	v_div_scale_f64 v[234:235], null, v[230:231], v[230:231], v[232:233]
	v_div_scale_f64 v[240:241], vcc_lo, v[232:233], v[230:231], v[232:233]
	v_rcp_f64_e32 v[236:237], v[234:235]
	v_fma_f64 v[238:239], -v[234:235], v[236:237], 1.0
	v_fma_f64 v[236:237], v[236:237], v[238:239], v[236:237]
	v_fma_f64 v[238:239], -v[234:235], v[236:237], 1.0
	v_fma_f64 v[236:237], v[236:237], v[238:239], v[236:237]
	v_mul_f64 v[238:239], v[240:241], v[236:237]
	v_fma_f64 v[234:235], -v[234:235], v[238:239], v[240:241]
	v_div_fmas_f64 v[234:235], v[234:235], v[236:237], v[238:239]
	v_div_fixup_f64 v[236:237], v[234:235], v[230:231], v[232:233]
	v_fma_f64 v[230:231], v[232:233], v[236:237], v[230:231]
	v_div_scale_f64 v[232:233], null, v[230:231], v[230:231], 1.0
	v_rcp_f64_e32 v[234:235], v[232:233]
	v_fma_f64 v[238:239], -v[232:233], v[234:235], 1.0
	v_fma_f64 v[234:235], v[234:235], v[238:239], v[234:235]
	v_fma_f64 v[238:239], -v[232:233], v[234:235], 1.0
	v_fma_f64 v[234:235], v[234:235], v[238:239], v[234:235]
	v_div_scale_f64 v[238:239], vcc_lo, 1.0, v[230:231], 1.0
	v_mul_f64 v[240:241], v[238:239], v[234:235]
	v_fma_f64 v[232:233], -v[232:233], v[240:241], v[238:239]
	v_div_fmas_f64 v[232:233], v[232:233], v[234:235], v[240:241]
	v_div_fixup_f64 v[234:235], v[232:233], v[230:231], 1.0
	v_mul_f64 v[236:237], v[236:237], -v[234:235]
.LBB59_250:
	s_or_b32 exec_lo, exec_lo, s1
	ds_write2_b64 v1, v[234:235], v[236:237] offset1:1
.LBB59_251:
	s_or_b32 exec_lo, exec_lo, s2
	s_waitcnt lgkmcnt(0)
	s_barrier
	buffer_gl0_inv
	ds_read2_b64 v[230:233], v1 offset1:1
	s_mov_b32 s1, exec_lo
	v_cmpx_lt_u32_e32 27, v0
	s_cbranch_execz .LBB59_253
; %bb.252:
	s_waitcnt lgkmcnt(0)
	v_mul_f64 v[234:235], v[230:231], v[12:13]
	v_mul_f64 v[12:13], v[232:233], v[12:13]
	v_fma_f64 v[238:239], v[232:233], v[10:11], v[234:235]
	ds_read2_b64 v[234:237], v248 offset0:56 offset1:57
	v_fma_f64 v[10:11], v[230:231], v[10:11], -v[12:13]
	s_waitcnt lgkmcnt(0)
	v_mul_f64 v[12:13], v[236:237], v[238:239]
	v_fma_f64 v[12:13], v[234:235], v[10:11], -v[12:13]
	v_mul_f64 v[234:235], v[234:235], v[238:239]
	v_add_f64 v[6:7], v[6:7], -v[12:13]
	v_fma_f64 v[234:235], v[236:237], v[10:11], v[234:235]
	v_add_f64 v[8:9], v[8:9], -v[234:235]
	ds_read2_b64 v[234:237], v248 offset0:58 offset1:59
	s_waitcnt lgkmcnt(0)
	v_mul_f64 v[12:13], v[236:237], v[238:239]
	v_fma_f64 v[12:13], v[234:235], v[10:11], -v[12:13]
	v_mul_f64 v[234:235], v[234:235], v[238:239]
	v_add_f64 v[2:3], v[2:3], -v[12:13]
	v_fma_f64 v[234:235], v[236:237], v[10:11], v[234:235]
	v_mov_b32_e32 v12, v238
	v_mov_b32_e32 v13, v239
	v_add_f64 v[4:5], v[4:5], -v[234:235]
.LBB59_253:
	s_or_b32 exec_lo, exec_lo, s1
	s_mov_b32 s2, exec_lo
	s_waitcnt lgkmcnt(0)
	s_barrier
	buffer_gl0_inv
	v_cmpx_eq_u32_e32 28, v0
	s_cbranch_execz .LBB59_260
; %bb.254:
	ds_write2_b64 v1, v[6:7], v[8:9] offset1:1
	ds_write2_b64 v248, v[2:3], v[4:5] offset0:58 offset1:59
	ds_read2_b64 v[234:237], v1 offset1:1
	s_waitcnt lgkmcnt(0)
	v_cmp_neq_f64_e32 vcc_lo, 0, v[234:235]
	v_cmp_neq_f64_e64 s1, 0, v[236:237]
	s_or_b32 s1, vcc_lo, s1
	s_and_b32 exec_lo, exec_lo, s1
	s_cbranch_execz .LBB59_260
; %bb.255:
	v_cmp_ngt_f64_e64 s1, |v[234:235]|, |v[236:237]|
                                        ; implicit-def: $vgpr238_vgpr239
	s_and_saveexec_b32 s3, s1
	s_xor_b32 s1, exec_lo, s3
                                        ; implicit-def: $vgpr240_vgpr241
	s_cbranch_execz .LBB59_257
; %bb.256:
	v_div_scale_f64 v[238:239], null, v[236:237], v[236:237], v[234:235]
	v_rcp_f64_e32 v[240:241], v[238:239]
	v_fma_f64 v[122:123], -v[238:239], v[240:241], 1.0
	v_fma_f64 v[122:123], v[240:241], v[122:123], v[240:241]
	v_div_scale_f64 v[240:241], vcc_lo, v[234:235], v[236:237], v[234:235]
	v_fma_f64 v[124:125], -v[238:239], v[122:123], 1.0
	v_fma_f64 v[122:123], v[122:123], v[124:125], v[122:123]
	v_mul_f64 v[124:125], v[240:241], v[122:123]
	v_fma_f64 v[238:239], -v[238:239], v[124:125], v[240:241]
	v_div_fmas_f64 v[122:123], v[238:239], v[122:123], v[124:125]
	v_div_fixup_f64 v[122:123], v[122:123], v[236:237], v[234:235]
	v_fma_f64 v[124:125], v[234:235], v[122:123], v[236:237]
	v_div_scale_f64 v[234:235], null, v[124:125], v[124:125], 1.0
	v_rcp_f64_e32 v[236:237], v[234:235]
	v_fma_f64 v[238:239], -v[234:235], v[236:237], 1.0
	v_fma_f64 v[236:237], v[236:237], v[238:239], v[236:237]
	v_fma_f64 v[238:239], -v[234:235], v[236:237], 1.0
	v_fma_f64 v[236:237], v[236:237], v[238:239], v[236:237]
	v_div_scale_f64 v[238:239], vcc_lo, 1.0, v[124:125], 1.0
	v_mul_f64 v[240:241], v[238:239], v[236:237]
	v_fma_f64 v[234:235], -v[234:235], v[240:241], v[238:239]
	v_div_fmas_f64 v[234:235], v[234:235], v[236:237], v[240:241]
	v_div_fixup_f64 v[240:241], v[234:235], v[124:125], 1.0
                                        ; implicit-def: $vgpr234_vgpr235
	v_mul_f64 v[238:239], v[122:123], v[240:241]
	v_xor_b32_e32 v241, 0x80000000, v241
.LBB59_257:
	s_andn2_saveexec_b32 s1, s1
	s_cbranch_execz .LBB59_259
; %bb.258:
	v_div_scale_f64 v[122:123], null, v[234:235], v[234:235], v[236:237]
	v_div_scale_f64 v[240:241], vcc_lo, v[236:237], v[234:235], v[236:237]
	v_rcp_f64_e32 v[124:125], v[122:123]
	v_fma_f64 v[238:239], -v[122:123], v[124:125], 1.0
	v_fma_f64 v[124:125], v[124:125], v[238:239], v[124:125]
	v_fma_f64 v[238:239], -v[122:123], v[124:125], 1.0
	v_fma_f64 v[124:125], v[124:125], v[238:239], v[124:125]
	v_mul_f64 v[238:239], v[240:241], v[124:125]
	v_fma_f64 v[122:123], -v[122:123], v[238:239], v[240:241]
	v_div_fmas_f64 v[122:123], v[122:123], v[124:125], v[238:239]
	v_div_fixup_f64 v[122:123], v[122:123], v[234:235], v[236:237]
	v_fma_f64 v[124:125], v[236:237], v[122:123], v[234:235]
	v_div_scale_f64 v[234:235], null, v[124:125], v[124:125], 1.0
	v_rcp_f64_e32 v[236:237], v[234:235]
	v_fma_f64 v[238:239], -v[234:235], v[236:237], 1.0
	v_fma_f64 v[236:237], v[236:237], v[238:239], v[236:237]
	v_fma_f64 v[238:239], -v[234:235], v[236:237], 1.0
	v_fma_f64 v[236:237], v[236:237], v[238:239], v[236:237]
	v_div_scale_f64 v[238:239], vcc_lo, 1.0, v[124:125], 1.0
	v_mul_f64 v[240:241], v[238:239], v[236:237]
	v_fma_f64 v[234:235], -v[234:235], v[240:241], v[238:239]
	v_div_fmas_f64 v[234:235], v[234:235], v[236:237], v[240:241]
	v_div_fixup_f64 v[238:239], v[234:235], v[124:125], 1.0
	v_mul_f64 v[240:241], v[122:123], -v[238:239]
.LBB59_259:
	s_or_b32 exec_lo, exec_lo, s1
	ds_write2_b64 v1, v[238:239], v[240:241] offset1:1
.LBB59_260:
	s_or_b32 exec_lo, exec_lo, s2
	s_waitcnt lgkmcnt(0)
	s_barrier
	buffer_gl0_inv
	ds_read2_b64 v[234:237], v1 offset1:1
	s_mov_b32 s1, exec_lo
	v_cmpx_lt_u32_e32 28, v0
	s_cbranch_execz .LBB59_262
; %bb.261:
	s_waitcnt lgkmcnt(0)
	v_mul_f64 v[122:123], v[234:235], v[8:9]
	v_mul_f64 v[8:9], v[236:237], v[8:9]
	ds_read2_b64 v[238:241], v248 offset0:58 offset1:59
	v_fma_f64 v[122:123], v[236:237], v[6:7], v[122:123]
	v_fma_f64 v[6:7], v[234:235], v[6:7], -v[8:9]
	s_waitcnt lgkmcnt(0)
	v_mul_f64 v[8:9], v[240:241], v[122:123]
	v_mul_f64 v[124:125], v[238:239], v[122:123]
	v_fma_f64 v[8:9], v[238:239], v[6:7], -v[8:9]
	v_fma_f64 v[124:125], v[240:241], v[6:7], v[124:125]
	v_add_f64 v[2:3], v[2:3], -v[8:9]
	v_add_f64 v[4:5], v[4:5], -v[124:125]
	v_mov_b32_e32 v8, v122
	v_mov_b32_e32 v9, v123
.LBB59_262:
	s_or_b32 exec_lo, exec_lo, s1
	s_mov_b32 s2, exec_lo
	s_waitcnt lgkmcnt(0)
	s_barrier
	buffer_gl0_inv
	v_cmpx_eq_u32_e32 29, v0
	s_cbranch_execz .LBB59_269
; %bb.263:
	v_cmp_neq_f64_e32 vcc_lo, 0, v[2:3]
	v_cmp_neq_f64_e64 s1, 0, v[4:5]
	ds_write2_b64 v1, v[2:3], v[4:5] offset1:1
	s_or_b32 s1, vcc_lo, s1
	s_and_b32 exec_lo, exec_lo, s1
	s_cbranch_execz .LBB59_269
; %bb.264:
	v_cmp_ngt_f64_e64 s1, |v[2:3]|, |v[4:5]|
                                        ; implicit-def: $vgpr238_vgpr239
	s_and_saveexec_b32 s3, s1
	s_xor_b32 s1, exec_lo, s3
                                        ; implicit-def: $vgpr240_vgpr241
	s_cbranch_execz .LBB59_266
; %bb.265:
	v_div_scale_f64 v[122:123], null, v[4:5], v[4:5], v[2:3]
	v_div_scale_f64 v[240:241], vcc_lo, v[2:3], v[4:5], v[2:3]
	v_mov_b32_e32 v255, v245
	v_mov_b32_e32 v254, v244
	;; [unrolled: 1-line block ×18, first 2 shown]
	v_rcp_f64_e32 v[124:125], v[122:123]
	v_mov_b32_e32 v140, v249
	v_mov_b32_e32 v141, v250
	;; [unrolled: 1-line block ×14, first 2 shown]
	v_fma_f64 v[238:239], -v[122:123], v[124:125], 1.0
	v_fma_f64 v[124:125], v[124:125], v[238:239], v[124:125]
	v_fma_f64 v[238:239], -v[122:123], v[124:125], 1.0
	v_fma_f64 v[124:125], v[124:125], v[238:239], v[124:125]
	v_mul_f64 v[238:239], v[240:241], v[124:125]
	v_fma_f64 v[122:123], -v[122:123], v[238:239], v[240:241]
	v_div_fmas_f64 v[122:123], v[122:123], v[124:125], v[238:239]
	v_div_fixup_f64 v[122:123], v[122:123], v[4:5], v[2:3]
	v_fma_f64 v[124:125], v[2:3], v[122:123], v[4:5]
	v_div_scale_f64 v[238:239], null, v[124:125], v[124:125], 1.0
	v_rcp_f64_e32 v[240:241], v[238:239]
	v_fma_f64 v[248:249], -v[238:239], v[240:241], 1.0
	v_fma_f64 v[240:241], v[240:241], v[248:249], v[240:241]
	v_fma_f64 v[248:249], -v[238:239], v[240:241], 1.0
	v_fma_f64 v[240:241], v[240:241], v[248:249], v[240:241]
	v_div_scale_f64 v[248:249], vcc_lo, 1.0, v[124:125], 1.0
	v_mul_f64 v[126:127], v[248:249], v[240:241]
	v_fma_f64 v[128:129], -v[238:239], v[126:127], v[248:249]
	v_div_fmas_f64 v[126:127], v[128:129], v[240:241], v[126:127]
	v_div_fixup_f64 v[240:241], v[126:127], v[124:125], 1.0
	v_mov_b32_e32 v126, v130
	v_mov_b32_e32 v127, v131
	;; [unrolled: 1-line block ×21, first 2 shown]
	v_mul_f64 v[238:239], v[122:123], v[240:241]
	v_mov_b32_e32 v145, v149
	v_mov_b32_e32 v146, v150
	;; [unrolled: 1-line block ×11, first 2 shown]
	v_xor_b32_e32 v241, 0x80000000, v241
.LBB59_266:
	s_andn2_saveexec_b32 s1, s1
	s_cbranch_execz .LBB59_268
; %bb.267:
	v_div_scale_f64 v[122:123], null, v[2:3], v[2:3], v[4:5]
	v_mov_b32_e32 v255, v141
	v_mov_b32_e32 v254, v140
	;; [unrolled: 1-line block ×18, first 2 shown]
	v_div_scale_f64 v[128:129], vcc_lo, v[4:5], v[2:3], v[4:5]
	v_rcp_f64_e32 v[124:125], v[122:123]
	v_fma_f64 v[126:127], -v[122:123], v[124:125], 1.0
	v_fma_f64 v[124:125], v[124:125], v[126:127], v[124:125]
	v_fma_f64 v[126:127], -v[122:123], v[124:125], 1.0
	v_fma_f64 v[124:125], v[124:125], v[126:127], v[124:125]
	v_mul_f64 v[126:127], v[128:129], v[124:125]
	v_fma_f64 v[122:123], -v[122:123], v[126:127], v[128:129]
	v_div_fmas_f64 v[122:123], v[122:123], v[124:125], v[126:127]
	v_div_fixup_f64 v[122:123], v[122:123], v[2:3], v[4:5]
	v_fma_f64 v[124:125], v[4:5], v[122:123], v[2:3]
	v_div_scale_f64 v[126:127], null, v[124:125], v[124:125], 1.0
	v_rcp_f64_e32 v[128:129], v[126:127]
	v_fma_f64 v[238:239], -v[126:127], v[128:129], 1.0
	v_fma_f64 v[128:129], v[128:129], v[238:239], v[128:129]
	v_fma_f64 v[238:239], -v[126:127], v[128:129], 1.0
	v_fma_f64 v[128:129], v[128:129], v[238:239], v[128:129]
	v_div_scale_f64 v[238:239], vcc_lo, 1.0, v[124:125], 1.0
	v_mul_f64 v[240:241], v[238:239], v[128:129]
	v_fma_f64 v[126:127], -v[126:127], v[240:241], v[238:239]
	v_div_fmas_f64 v[126:127], v[126:127], v[128:129], v[240:241]
	v_div_fixup_f64 v[238:239], v[126:127], v[124:125], 1.0
	v_mov_b32_e32 v126, v130
	v_mov_b32_e32 v127, v131
	v_mov_b32_e32 v128, v132
	v_mov_b32_e32 v129, v133
	v_mov_b32_e32 v130, v134
	v_mov_b32_e32 v131, v135
	v_mov_b32_e32 v132, v136
	v_mov_b32_e32 v133, v137
	v_mov_b32_e32 v134, v248
	v_mov_b32_e32 v135, v249
	v_mov_b32_e32 v136, v250
	v_mov_b32_e32 v137, v251
	v_mov_b32_e32 v250, v139
	v_mov_b32_e32 v249, v138
	v_mov_b32_e32 v138, v252
	v_mov_b32_e32 v139, v253
	v_mov_b32_e32 v140, v254
	v_mov_b32_e32 v141, v255
	v_mul_f64 v[240:241], v[122:123], -v[238:239]
.LBB59_268:
	s_or_b32 exec_lo, exec_lo, s1
	ds_write2_b64 v1, v[238:239], v[240:241] offset1:1
.LBB59_269:
	s_or_b32 exec_lo, exec_lo, s2
	s_waitcnt lgkmcnt(0)
	s_barrier
	buffer_gl0_inv
	ds_read2_b64 v[238:241], v1 offset1:1
	s_mov_b32 s1, exec_lo
	v_cmpx_lt_u32_e32 29, v0
	s_cbranch_execz .LBB59_271
; %bb.270:
	s_waitcnt lgkmcnt(0)
	v_mul_f64 v[0:1], v[240:241], v[4:5]
	v_mul_f64 v[4:5], v[238:239], v[4:5]
	v_fma_f64 v[0:1], v[238:239], v[2:3], -v[0:1]
	v_fma_f64 v[4:5], v[240:241], v[2:3], v[4:5]
	v_mov_b32_e32 v3, v1
	v_mov_b32_e32 v2, v0
.LBB59_271:
	s_or_b32 exec_lo, exec_lo, s1
	s_waitcnt lgkmcnt(0)
	s_barrier
	buffer_gl0_inv
	s_and_saveexec_b32 s6, s0
	s_cbranch_execz .LBB59_274
; %bb.272:
	s_clause 0x3
	buffer_load_dword v122, off, s[16:19], 0 offset:200
	buffer_load_dword v123, off, s[16:19], 0 offset:204
	;; [unrolled: 1-line block ×4, first 2 shown]
	v_cmp_neq_f64_e64 s1, 0, v[126:127]
	v_cmp_neq_f64_e64 s2, 0, v[128:129]
	v_cmp_eq_f64_e64 s3, 0, v[130:131]
	v_cmp_eq_f64_e64 s4, 0, v[132:133]
	v_lshlrev_b64 v[0:1], 2, v[242:243]
	v_add_co_u32 v0, s5, s10, v0
	v_add_co_ci_u32_e64 v1, null, s11, v1, s5
	v_cmp_eq_f64_e64 s5, 0, v[134:135]
	s_or_b32 s1, s1, s2
	v_cmp_eq_f64_e64 s2, 0, v[140:141]
	s_and_b32 s3, s3, s4
	v_cmp_eq_f64_e64 s4, 0, v[144:145]
	s_waitcnt vmcnt(2)
	v_cmp_eq_f64_e32 vcc_lo, 0, v[122:123]
	global_load_dword v122, v[0:1], off
	s_waitcnt vmcnt(1)
	v_cmp_eq_f64_e64 s0, 0, v[124:125]
	s_and_b32 s0, vcc_lo, s0
	v_cmp_eq_f64_e32 vcc_lo, 0, v[136:137]
	v_cndmask_b32_e64 v123, 0, 1, s0
	s_or_b32 s0, s1, s0
	v_cmp_eq_f64_e64 s1, 0, v[138:139]
	v_cndmask_b32_e64 v123, 2, v123, s0
	v_cmp_eq_u32_e64 s0, 0, v123
	s_and_b32 s0, s3, s0
	v_cmp_eq_f64_e64 s3, 0, v[142:143]
	v_cndmask_b32_e64 v123, v123, 3, s0
	s_and_b32 s5, s5, vcc_lo
	v_cmp_eq_u32_e64 s0, 0, v123
	s_and_b32 s1, s1, s2
	v_cmp_eq_f64_e64 s2, 0, v[152:153]
	s_and_b32 s0, s5, s0
	v_cmp_eq_f64_e64 s5, 0, v[148:149]
	v_cndmask_b32_e64 v123, v123, 4, s0
	v_cmp_eq_f64_e64 s0, 0, v[146:147]
	v_cmp_eq_u32_e32 vcc_lo, 0, v123
	s_and_b32 s3, s3, s4
	s_and_b32 s1, s1, vcc_lo
	v_cmp_eq_f64_e64 s4, 0, v[156:157]
	v_cndmask_b32_e64 v123, v123, 5, s1
	v_cmp_eq_f64_e64 s1, 0, v[150:151]
	v_cmp_eq_u32_e32 vcc_lo, 0, v123
	s_and_b32 s3, s3, vcc_lo
	s_and_b32 s0, s0, s5
	v_cndmask_b32_e64 v123, v123, 6, s3
	v_cmp_eq_f64_e64 s3, 0, v[154:155]
	v_cmp_eq_f64_e64 s5, 0, v[160:161]
	v_cmp_eq_u32_e32 vcc_lo, 0, v123
	s_and_b32 s0, s0, vcc_lo
	s_and_b32 s1, s1, s2
	v_cndmask_b32_e64 v123, v123, 7, s0
	v_cmp_eq_f64_e64 s0, 0, v[158:159]
	;; [unrolled: 6-line block ×22, first 2 shown]
	v_cmp_eq_u32_e32 vcc_lo, 0, v123
	s_and_b32 s0, s0, vcc_lo
	v_cndmask_b32_e64 v123, v123, 28, s0
	s_and_b32 s0, s1, s2
	v_cmp_eq_u32_e32 vcc_lo, 0, v123
	s_and_b32 s0, s0, vcc_lo
	v_cndmask_b32_e64 v123, v123, 29, s0
	s_and_b32 s0, s3, s4
	v_cmp_eq_u32_e32 vcc_lo, 0, v123
	s_and_b32 s0, s0, vcc_lo
	s_waitcnt vmcnt(0)
	v_cmp_eq_u32_e32 vcc_lo, 0, v122
	v_cndmask_b32_e64 v123, v123, 30, s0
	v_cmp_ne_u32_e64 s0, 0, v123
	s_and_b32 s0, vcc_lo, s0
	s_and_b32 exec_lo, exec_lo, s0
	s_cbranch_execz .LBB59_274
; %bb.273:
	v_add_nc_u32_e32 v122, s13, v123
	global_store_dword v[0:1], v122, off
.LBB59_274:
	s_or_b32 exec_lo, exec_lo, s6
	global_store_dwordx4 v[244:245], v[118:121], off
	global_store_dwordx4 v[249:250], v[114:117], off
	s_clause 0x1
	buffer_load_dword v0, off, s[16:19], 0 offset:16
	buffer_load_dword v1, off, s[16:19], 0 offset:20
	s_waitcnt vmcnt(0)
	global_store_dwordx4 v[0:1], v[110:113], off
	s_clause 0x1
	buffer_load_dword v0, off, s[16:19], 0 offset:8
	buffer_load_dword v1, off, s[16:19], 0 offset:12
	s_waitcnt vmcnt(0)
	global_store_dwordx4 v[0:1], v[106:109], off
	s_clause 0x1
	buffer_load_dword v0, off, s[16:19], 0
	buffer_load_dword v1, off, s[16:19], 0 offset:4
	s_waitcnt vmcnt(0)
	global_store_dwordx4 v[0:1], v[102:105], off
	s_clause 0x1
	buffer_load_dword v0, off, s[16:19], 0 offset:24
	buffer_load_dword v1, off, s[16:19], 0 offset:28
	s_waitcnt vmcnt(0)
	global_store_dwordx4 v[0:1], v[98:101], off
	s_clause 0x1
	buffer_load_dword v0, off, s[16:19], 0 offset:32
	buffer_load_dword v1, off, s[16:19], 0 offset:36
	s_waitcnt vmcnt(0)
	global_store_dwordx4 v[0:1], v[94:97], off
	s_clause 0x1
	buffer_load_dword v0, off, s[16:19], 0 offset:40
	buffer_load_dword v1, off, s[16:19], 0 offset:44
	s_waitcnt vmcnt(0)
	global_store_dwordx4 v[0:1], v[90:93], off
	s_clause 0x1
	buffer_load_dword v0, off, s[16:19], 0 offset:48
	buffer_load_dword v1, off, s[16:19], 0 offset:52
	s_waitcnt vmcnt(0)
	global_store_dwordx4 v[0:1], v[86:89], off
	s_clause 0x1
	buffer_load_dword v0, off, s[16:19], 0 offset:56
	buffer_load_dword v1, off, s[16:19], 0 offset:60
	s_waitcnt vmcnt(0)
	global_store_dwordx4 v[0:1], v[82:85], off
	s_clause 0x1
	buffer_load_dword v0, off, s[16:19], 0 offset:64
	buffer_load_dword v1, off, s[16:19], 0 offset:68
	s_waitcnt vmcnt(0)
	global_store_dwordx4 v[0:1], v[78:81], off
	s_clause 0x1
	buffer_load_dword v0, off, s[16:19], 0 offset:72
	buffer_load_dword v1, off, s[16:19], 0 offset:76
	s_waitcnt vmcnt(0)
	global_store_dwordx4 v[0:1], v[74:77], off
	s_clause 0x1
	buffer_load_dword v0, off, s[16:19], 0 offset:80
	buffer_load_dword v1, off, s[16:19], 0 offset:84
	s_waitcnt vmcnt(0)
	global_store_dwordx4 v[0:1], v[70:73], off
	s_clause 0x1
	buffer_load_dword v0, off, s[16:19], 0 offset:88
	buffer_load_dword v1, off, s[16:19], 0 offset:92
	s_waitcnt vmcnt(0)
	global_store_dwordx4 v[0:1], v[66:69], off
	s_clause 0x1
	buffer_load_dword v0, off, s[16:19], 0 offset:96
	buffer_load_dword v1, off, s[16:19], 0 offset:100
	s_waitcnt vmcnt(0)
	global_store_dwordx4 v[0:1], v[62:65], off
	s_clause 0x1
	buffer_load_dword v0, off, s[16:19], 0 offset:104
	buffer_load_dword v1, off, s[16:19], 0 offset:108
	s_waitcnt vmcnt(0)
	global_store_dwordx4 v[0:1], v[58:61], off
	s_clause 0x1
	buffer_load_dword v0, off, s[16:19], 0 offset:112
	buffer_load_dword v1, off, s[16:19], 0 offset:116
	s_waitcnt vmcnt(0)
	global_store_dwordx4 v[0:1], v[54:57], off
	s_clause 0x1
	buffer_load_dword v0, off, s[16:19], 0 offset:120
	buffer_load_dword v1, off, s[16:19], 0 offset:124
	s_waitcnt vmcnt(0)
	global_store_dwordx4 v[0:1], v[50:53], off
	s_clause 0x1
	buffer_load_dword v0, off, s[16:19], 0 offset:128
	buffer_load_dword v1, off, s[16:19], 0 offset:132
	s_waitcnt vmcnt(0)
	global_store_dwordx4 v[0:1], v[46:49], off
	s_clause 0x1
	buffer_load_dword v0, off, s[16:19], 0 offset:136
	buffer_load_dword v1, off, s[16:19], 0 offset:140
	s_waitcnt vmcnt(0)
	global_store_dwordx4 v[0:1], v[42:45], off
	s_clause 0x1
	buffer_load_dword v0, off, s[16:19], 0 offset:144
	buffer_load_dword v1, off, s[16:19], 0 offset:148
	s_waitcnt vmcnt(0)
	global_store_dwordx4 v[0:1], v[38:41], off
	s_clause 0x1
	buffer_load_dword v0, off, s[16:19], 0 offset:152
	buffer_load_dword v1, off, s[16:19], 0 offset:156
	s_waitcnt vmcnt(0)
	global_store_dwordx4 v[0:1], v[34:37], off
	s_clause 0x1
	buffer_load_dword v0, off, s[16:19], 0 offset:160
	buffer_load_dword v1, off, s[16:19], 0 offset:164
	s_waitcnt vmcnt(0)
	global_store_dwordx4 v[0:1], v[30:33], off
	s_clause 0x1
	buffer_load_dword v0, off, s[16:19], 0 offset:168
	buffer_load_dword v1, off, s[16:19], 0 offset:172
	s_waitcnt vmcnt(0)
	global_store_dwordx4 v[0:1], v[26:29], off
	s_clause 0x1
	buffer_load_dword v0, off, s[16:19], 0 offset:176
	buffer_load_dword v1, off, s[16:19], 0 offset:180
	s_waitcnt vmcnt(0)
	global_store_dwordx4 v[0:1], v[22:25], off
	s_clause 0x1
	buffer_load_dword v0, off, s[16:19], 0 offset:192
	buffer_load_dword v1, off, s[16:19], 0 offset:196
	s_waitcnt vmcnt(0)
	global_store_dwordx4 v[0:1], v[18:21], off
	s_clause 0x1
	buffer_load_dword v0, off, s[16:19], 0 offset:184
	buffer_load_dword v1, off, s[16:19], 0 offset:188
	s_waitcnt vmcnt(0)
	global_store_dwordx4 v[0:1], v[14:17], off
	s_clause 0x1
	buffer_load_dword v0, off, s[16:19], 0 offset:224
	buffer_load_dword v1, off, s[16:19], 0 offset:228
	s_waitcnt vmcnt(0)
	global_store_dwordx4 v[0:1], v[10:13], off
	s_clause 0x1
	buffer_load_dword v0, off, s[16:19], 0 offset:216
	buffer_load_dword v1, off, s[16:19], 0 offset:220
	s_waitcnt vmcnt(0)
	global_store_dwordx4 v[0:1], v[6:9], off
	s_clause 0x1
	buffer_load_dword v0, off, s[16:19], 0 offset:232
	buffer_load_dword v1, off, s[16:19], 0 offset:236
	s_waitcnt vmcnt(0)
	global_store_dwordx4 v[0:1], v[2:5], off
.LBB59_275:
	s_endpgm
	.section	.rodata,"a",@progbits
	.p2align	6, 0x0
	.amdhsa_kernel _ZN9rocsolver6v33100L23getf2_npvt_small_kernelILi30E19rocblas_complex_numIdEiiPS3_EEvT1_T3_lS5_lPT2_S5_S5_
		.amdhsa_group_segment_fixed_size 0
		.amdhsa_private_segment_fixed_size 244
		.amdhsa_kernarg_size 312
		.amdhsa_user_sgpr_count 6
		.amdhsa_user_sgpr_private_segment_buffer 1
		.amdhsa_user_sgpr_dispatch_ptr 0
		.amdhsa_user_sgpr_queue_ptr 0
		.amdhsa_user_sgpr_kernarg_segment_ptr 1
		.amdhsa_user_sgpr_dispatch_id 0
		.amdhsa_user_sgpr_flat_scratch_init 0
		.amdhsa_user_sgpr_private_segment_size 0
		.amdhsa_wavefront_size32 1
		.amdhsa_uses_dynamic_stack 0
		.amdhsa_system_sgpr_private_segment_wavefront_offset 1
		.amdhsa_system_sgpr_workgroup_id_x 1
		.amdhsa_system_sgpr_workgroup_id_y 1
		.amdhsa_system_sgpr_workgroup_id_z 0
		.amdhsa_system_sgpr_workgroup_info 0
		.amdhsa_system_vgpr_workitem_id 1
		.amdhsa_next_free_vgpr 256
		.amdhsa_next_free_sgpr 20
		.amdhsa_reserve_vcc 1
		.amdhsa_reserve_flat_scratch 0
		.amdhsa_float_round_mode_32 0
		.amdhsa_float_round_mode_16_64 0
		.amdhsa_float_denorm_mode_32 3
		.amdhsa_float_denorm_mode_16_64 3
		.amdhsa_dx10_clamp 1
		.amdhsa_ieee_mode 1
		.amdhsa_fp16_overflow 0
		.amdhsa_workgroup_processor_mode 1
		.amdhsa_memory_ordered 1
		.amdhsa_forward_progress 1
		.amdhsa_shared_vgpr_count 0
		.amdhsa_exception_fp_ieee_invalid_op 0
		.amdhsa_exception_fp_denorm_src 0
		.amdhsa_exception_fp_ieee_div_zero 0
		.amdhsa_exception_fp_ieee_overflow 0
		.amdhsa_exception_fp_ieee_underflow 0
		.amdhsa_exception_fp_ieee_inexact 0
		.amdhsa_exception_int_div_zero 0
	.end_amdhsa_kernel
	.section	.text._ZN9rocsolver6v33100L23getf2_npvt_small_kernelILi30E19rocblas_complex_numIdEiiPS3_EEvT1_T3_lS5_lPT2_S5_S5_,"axG",@progbits,_ZN9rocsolver6v33100L23getf2_npvt_small_kernelILi30E19rocblas_complex_numIdEiiPS3_EEvT1_T3_lS5_lPT2_S5_S5_,comdat
.Lfunc_end59:
	.size	_ZN9rocsolver6v33100L23getf2_npvt_small_kernelILi30E19rocblas_complex_numIdEiiPS3_EEvT1_T3_lS5_lPT2_S5_S5_, .Lfunc_end59-_ZN9rocsolver6v33100L23getf2_npvt_small_kernelILi30E19rocblas_complex_numIdEiiPS3_EEvT1_T3_lS5_lPT2_S5_S5_
                                        ; -- End function
	.set _ZN9rocsolver6v33100L23getf2_npvt_small_kernelILi30E19rocblas_complex_numIdEiiPS3_EEvT1_T3_lS5_lPT2_S5_S5_.num_vgpr, 256
	.set _ZN9rocsolver6v33100L23getf2_npvt_small_kernelILi30E19rocblas_complex_numIdEiiPS3_EEvT1_T3_lS5_lPT2_S5_S5_.num_agpr, 0
	.set _ZN9rocsolver6v33100L23getf2_npvt_small_kernelILi30E19rocblas_complex_numIdEiiPS3_EEvT1_T3_lS5_lPT2_S5_S5_.numbered_sgpr, 20
	.set _ZN9rocsolver6v33100L23getf2_npvt_small_kernelILi30E19rocblas_complex_numIdEiiPS3_EEvT1_T3_lS5_lPT2_S5_S5_.num_named_barrier, 0
	.set _ZN9rocsolver6v33100L23getf2_npvt_small_kernelILi30E19rocblas_complex_numIdEiiPS3_EEvT1_T3_lS5_lPT2_S5_S5_.private_seg_size, 244
	.set _ZN9rocsolver6v33100L23getf2_npvt_small_kernelILi30E19rocblas_complex_numIdEiiPS3_EEvT1_T3_lS5_lPT2_S5_S5_.uses_vcc, 1
	.set _ZN9rocsolver6v33100L23getf2_npvt_small_kernelILi30E19rocblas_complex_numIdEiiPS3_EEvT1_T3_lS5_lPT2_S5_S5_.uses_flat_scratch, 0
	.set _ZN9rocsolver6v33100L23getf2_npvt_small_kernelILi30E19rocblas_complex_numIdEiiPS3_EEvT1_T3_lS5_lPT2_S5_S5_.has_dyn_sized_stack, 0
	.set _ZN9rocsolver6v33100L23getf2_npvt_small_kernelILi30E19rocblas_complex_numIdEiiPS3_EEvT1_T3_lS5_lPT2_S5_S5_.has_recursion, 0
	.set _ZN9rocsolver6v33100L23getf2_npvt_small_kernelILi30E19rocblas_complex_numIdEiiPS3_EEvT1_T3_lS5_lPT2_S5_S5_.has_indirect_call, 0
	.section	.AMDGPU.csdata,"",@progbits
; Kernel info:
; codeLenInByte = 51408
; TotalNumSgprs: 22
; NumVgprs: 256
; ScratchSize: 244
; MemoryBound: 1
; FloatMode: 240
; IeeeMode: 1
; LDSByteSize: 0 bytes/workgroup (compile time only)
; SGPRBlocks: 0
; VGPRBlocks: 31
; NumSGPRsForWavesPerEU: 22
; NumVGPRsForWavesPerEU: 256
; Occupancy: 4
; WaveLimiterHint : 0
; COMPUTE_PGM_RSRC2:SCRATCH_EN: 1
; COMPUTE_PGM_RSRC2:USER_SGPR: 6
; COMPUTE_PGM_RSRC2:TRAP_HANDLER: 0
; COMPUTE_PGM_RSRC2:TGID_X_EN: 1
; COMPUTE_PGM_RSRC2:TGID_Y_EN: 1
; COMPUTE_PGM_RSRC2:TGID_Z_EN: 0
; COMPUTE_PGM_RSRC2:TIDIG_COMP_CNT: 1
	.section	.text._ZN9rocsolver6v33100L18getf2_small_kernelILi31E19rocblas_complex_numIdEiiPS3_EEvT1_T3_lS5_lPS5_llPT2_S5_S5_S7_l,"axG",@progbits,_ZN9rocsolver6v33100L18getf2_small_kernelILi31E19rocblas_complex_numIdEiiPS3_EEvT1_T3_lS5_lPS5_llPT2_S5_S5_S7_l,comdat
	.globl	_ZN9rocsolver6v33100L18getf2_small_kernelILi31E19rocblas_complex_numIdEiiPS3_EEvT1_T3_lS5_lPS5_llPT2_S5_S5_S7_l ; -- Begin function _ZN9rocsolver6v33100L18getf2_small_kernelILi31E19rocblas_complex_numIdEiiPS3_EEvT1_T3_lS5_lPS5_llPT2_S5_S5_S7_l
	.p2align	8
	.type	_ZN9rocsolver6v33100L18getf2_small_kernelILi31E19rocblas_complex_numIdEiiPS3_EEvT1_T3_lS5_lPS5_llPT2_S5_S5_S7_l,@function
_ZN9rocsolver6v33100L18getf2_small_kernelILi31E19rocblas_complex_numIdEiiPS3_EEvT1_T3_lS5_lPS5_llPT2_S5_S5_S7_l: ; @_ZN9rocsolver6v33100L18getf2_small_kernelILi31E19rocblas_complex_numIdEiiPS3_EEvT1_T3_lS5_lPS5_llPT2_S5_S5_S7_l
; %bb.0:
	s_clause 0x1
	s_load_dword s0, s[4:5], 0x6c
	s_load_dwordx2 s[16:17], s[4:5], 0x48
	s_waitcnt lgkmcnt(0)
	s_lshr_b32 s0, s0, 16
	v_mad_u64_u32 v[130:131], null, s7, s0, v[1:2]
	s_mov_b32 s0, exec_lo
	v_cmpx_gt_i32_e64 s16, v130
	s_cbranch_execz .LBB60_654
; %bb.1:
	s_load_dwordx4 s[0:3], s[4:5], 0x50
	v_mov_b32_e32 v132, 0
	v_ashrrev_i32_e32 v131, 31, v130
	v_mov_b32_e32 v133, 0
	s_waitcnt lgkmcnt(0)
	s_cmp_eq_u64 s[0:1], 0
	s_cselect_b32 s16, -1, 0
	s_and_b32 vcc_lo, exec_lo, s16
	s_cbranch_vccnz .LBB60_3
; %bb.2:
	v_mul_lo_u32 v4, s3, v130
	v_mul_lo_u32 v5, s2, v131
	v_mad_u64_u32 v[2:3], null, s2, v130, 0
	v_add3_u32 v3, v3, v5, v4
	v_lshlrev_b64 v[2:3], 2, v[2:3]
	v_add_co_u32 v132, vcc_lo, s0, v2
	v_add_co_ci_u32_e64 v133, null, s1, v3, vcc_lo
.LBB60_3:
	s_clause 0x2
	s_load_dwordx8 s[8:15], s[4:5], 0x20
	s_load_dword s6, s[4:5], 0x18
	s_load_dwordx4 s[0:3], s[4:5], 0x8
	v_lshlrev_b32_e32 v136, 4, v0
	s_clause 0x1
	s_load_dword s18, s[4:5], 0x0
	s_load_dwordx2 s[4:5], s[4:5], 0x40
	s_waitcnt lgkmcnt(0)
	v_mul_lo_u32 v5, s9, v130
	v_mul_lo_u32 v7, s8, v131
	v_mad_u64_u32 v[2:3], null, s8, v130, 0
	v_add3_u32 v4, s6, s6, v0
	s_lshl_b64 s[2:3], s[2:3], 4
	s_ashr_i32 s7, s6, 31
	s_lshl_b64 s[8:9], s[6:7], 4
	v_add_nc_u32_e32 v6, s6, v4
	v_add3_u32 v3, v3, v7, v5
	v_ashrrev_i32_e32 v5, 31, v4
	v_add_nc_u32_e32 v8, s6, v6
	v_lshlrev_b64 v[2:3], 4, v[2:3]
	v_ashrrev_i32_e32 v7, 31, v6
	v_lshlrev_b64 v[4:5], 4, v[4:5]
	v_ashrrev_i32_e32 v9, 31, v8
	v_add_nc_u32_e32 v10, s6, v8
	v_add_co_u32 v12, vcc_lo, s0, v2
	v_add_co_ci_u32_e64 v13, null, s1, v3, vcc_lo
	v_lshlrev_b64 v[2:3], 4, v[8:9]
	v_add_nc_u32_e32 v8, s6, v10
	v_add_co_u32 v137, vcc_lo, v12, s2
	v_ashrrev_i32_e32 v11, 31, v10
	v_lshlrev_b64 v[6:7], 4, v[6:7]
	v_add_nc_u32_e32 v12, s6, v8
	v_add_co_ci_u32_e64 v138, null, s3, v13, vcc_lo
	v_ashrrev_i32_e32 v9, 31, v8
	v_lshlrev_b64 v[10:11], 4, v[10:11]
	v_add_nc_u32_e32 v14, s6, v12
	v_ashrrev_i32_e32 v13, 31, v12
	v_add_co_u32 v4, vcc_lo, v137, v4
	v_add_co_ci_u32_e64 v5, null, v138, v5, vcc_lo
	v_add_nc_u32_e32 v16, s6, v14
	v_ashrrev_i32_e32 v15, 31, v14
	v_add_co_u32 v6, vcc_lo, v137, v6
	v_lshlrev_b64 v[8:9], 4, v[8:9]
	v_add_nc_u32_e32 v18, s6, v16
	v_ashrrev_i32_e32 v17, 31, v16
	v_add_co_ci_u32_e64 v7, null, v138, v7, vcc_lo
	v_add_co_u32 v2, vcc_lo, v137, v2
	v_add_nc_u32_e32 v20, s6, v18
	v_lshlrev_b64 v[12:13], 4, v[12:13]
	v_ashrrev_i32_e32 v19, 31, v18
	v_add_co_ci_u32_e64 v3, null, v138, v3, vcc_lo
	v_add_nc_u32_e32 v22, s6, v20
	v_add_co_u32 v10, vcc_lo, v137, v10
	v_lshlrev_b64 v[14:15], 4, v[14:15]
	v_ashrrev_i32_e32 v21, 31, v20
	v_add_nc_u32_e32 v24, s6, v22
	v_add_co_ci_u32_e64 v11, null, v138, v11, vcc_lo
	v_add_co_u32 v8, vcc_lo, v137, v8
	v_add_nc_u32_e32 v26, s6, v24
	v_lshlrev_b64 v[16:17], 4, v[16:17]
	v_ashrrev_i32_e32 v23, 31, v22
	v_add_co_ci_u32_e64 v9, null, v138, v9, vcc_lo
	v_add_nc_u32_e32 v28, s6, v26
	v_add_co_u32 v12, vcc_lo, v137, v12
	v_lshlrev_b64 v[18:19], 4, v[18:19]
	v_ashrrev_i32_e32 v25, 31, v24
	v_add_nc_u32_e32 v30, s6, v28
	;; [unrolled: 11-line block ×3, first 2 shown]
	v_add_co_ci_u32_e64 v17, null, v138, v17, vcc_lo
	v_add_co_u32 v18, vcc_lo, v137, v18
	v_add_nc_u32_e32 v38, s6, v36
	v_lshlrev_b64 v[24:25], 4, v[24:25]
	v_ashrrev_i32_e32 v31, 31, v30
	v_add_co_ci_u32_e64 v19, null, v138, v19, vcc_lo
	v_add_nc_u32_e32 v40, s6, v38
	v_add_co_u32 v20, vcc_lo, v137, v20
	v_lshlrev_b64 v[26:27], 4, v[26:27]
	v_ashrrev_i32_e32 v33, 31, v32
	v_add_co_ci_u32_e64 v21, null, v138, v21, vcc_lo
	v_add_co_u32 v22, vcc_lo, v137, v22
	v_lshlrev_b64 v[28:29], 4, v[28:29]
	v_ashrrev_i32_e32 v35, 31, v34
	v_add_co_ci_u32_e64 v23, null, v138, v23, vcc_lo
	v_add_co_u32 v24, vcc_lo, v137, v24
	v_lshlrev_b64 v[30:31], 4, v[30:31]
	v_add_nc_u32_e32 v42, s6, v40
	v_ashrrev_i32_e32 v37, 31, v36
	v_add_co_ci_u32_e64 v25, null, v138, v25, vcc_lo
	v_add_co_u32 v26, vcc_lo, v137, v26
	v_lshlrev_b64 v[32:33], 4, v[32:33]
	v_ashrrev_i32_e32 v39, 31, v38
	v_add_co_ci_u32_e64 v27, null, v138, v27, vcc_lo
	v_add_co_u32 v28, vcc_lo, v137, v28
	v_lshlrev_b64 v[34:35], 4, v[34:35]
	v_ashrrev_i32_e32 v41, 31, v40
	v_add_nc_u32_e32 v44, s6, v42
	v_add_co_ci_u32_e64 v29, null, v138, v29, vcc_lo
	v_add_co_u32 v30, vcc_lo, v137, v30
	v_lshlrev_b64 v[36:37], 4, v[36:37]
	v_ashrrev_i32_e32 v43, 31, v42
	v_add_co_ci_u32_e64 v31, null, v138, v31, vcc_lo
	v_add_co_u32 v32, vcc_lo, v137, v32
	v_lshlrev_b64 v[38:39], 4, v[38:39]
	v_add_co_ci_u32_e64 v33, null, v138, v33, vcc_lo
	v_add_co_u32 v34, vcc_lo, v137, v34
	v_lshlrev_b64 v[40:41], 4, v[40:41]
	v_add_nc_u32_e32 v46, s6, v44
	v_add_co_ci_u32_e64 v35, null, v138, v35, vcc_lo
	v_add_co_u32 v36, vcc_lo, v137, v36
	v_lshlrev_b64 v[42:43], 4, v[42:43]
	v_ashrrev_i32_e32 v45, 31, v44
	v_add_co_ci_u32_e64 v37, null, v138, v37, vcc_lo
	v_add_co_u32 v38, vcc_lo, v137, v38
	v_ashrrev_i32_e32 v47, 31, v46
	v_add_nc_u32_e32 v48, s6, v46
	v_add_co_ci_u32_e64 v39, null, v138, v39, vcc_lo
	v_add_co_u32 v40, vcc_lo, v137, v40
	v_lshlrev_b64 v[44:45], 4, v[44:45]
	v_add_co_ci_u32_e64 v41, null, v138, v41, vcc_lo
	v_add_co_u32 v126, vcc_lo, v137, v42
	v_add_co_ci_u32_e64 v127, null, v138, v43, vcc_lo
	v_lshlrev_b64 v[42:43], 4, v[46:47]
	v_ashrrev_i32_e32 v49, 31, v48
	v_add_nc_u32_e32 v46, s6, v48
	v_add_co_u32 v128, vcc_lo, v137, v44
	v_add_co_ci_u32_e64 v129, null, v138, v45, vcc_lo
	v_lshlrev_b64 v[44:45], 4, v[48:49]
	v_ashrrev_i32_e32 v47, 31, v46
	v_add_nc_u32_e32 v48, s6, v46
	;; [unrolled: 5-line block ×3, first 2 shown]
	v_add_co_u32 v139, vcc_lo, v137, v44
	v_add_co_ci_u32_e64 v140, null, v138, v45, vcc_lo
	v_lshlrev_b64 v[44:45], 4, v[48:49]
	v_add_nc_u32_e32 v48, s6, v46
	v_ashrrev_i32_e32 v47, 31, v46
	v_add_co_u32 v141, vcc_lo, v137, v42
	v_add_co_ci_u32_e64 v142, null, v138, v43, vcc_lo
	v_ashrrev_i32_e32 v49, 31, v48
	v_lshlrev_b64 v[42:43], 4, v[46:47]
	v_add_co_u32 v143, vcc_lo, v137, v44
	v_add_co_ci_u32_e64 v144, null, v138, v45, vcc_lo
	v_lshlrev_b64 v[44:45], 4, v[48:49]
	v_add_nc_u32_e32 v46, s6, v48
	v_add_co_u32 v145, vcc_lo, v137, v42
	v_add_co_ci_u32_e64 v146, null, v138, v43, vcc_lo
	v_ashrrev_i32_e32 v47, 31, v46
	v_add_co_u32 v147, vcc_lo, v137, v44
	v_add_co_ci_u32_e64 v148, null, v138, v45, vcc_lo
	v_add_co_u32 v44, vcc_lo, v137, v136
	v_add_co_ci_u32_e64 v45, null, 0, v138, vcc_lo
	v_lshlrev_b64 v[42:43], 4, v[46:47]
	v_add_co_u32 v46, vcc_lo, v44, s8
	v_add_co_ci_u32_e64 v47, null, s9, v45, vcc_lo
	s_max_i32 s0, s18, 31
	v_add_co_u32 v149, vcc_lo, v137, v42
	v_add_co_ci_u32_e64 v150, null, v138, v43, vcc_lo
	s_clause 0x1e
	global_load_dwordx4 v[122:125], v[44:45], off
	global_load_dwordx4 v[110:113], v[46:47], off
	;; [unrolled: 1-line block ×31, first 2 shown]
	v_mul_lo_u32 v134, s0, v1
	s_cmp_lt_i32 s18, 2
	v_lshl_add_u32 v1, v134, 4, 0
	v_add_nc_u32_e32 v126, v1, v136
	v_lshlrev_b32_e32 v136, 4, v134
	v_mov_b32_e32 v134, 0
	s_waitcnt vmcnt(30)
	ds_write2_b64 v126, v[122:123], v[124:125] offset1:1
	s_waitcnt vmcnt(0) lgkmcnt(0)
	s_barrier
	buffer_gl0_inv
	ds_read2_b64 v[126:129], v1 offset1:1
	s_cbranch_scc1 .LBB60_6
; %bb.4:
	v_add3_u32 v135, v136, 0, 16
	v_mov_b32_e32 v134, 0
	s_mov_b32 s3, 1
	s_inst_prefetch 0x1
	.p2align	6
.LBB60_5:                               ; =>This Inner Loop Header: Depth=1
	ds_read2_b64 v[139:142], v135 offset1:1
	s_waitcnt lgkmcnt(1)
	v_cmp_gt_f64_e32 vcc_lo, 0, v[126:127]
	v_cmp_gt_f64_e64 s0, 0, v[128:129]
	v_xor_b32_e32 v144, 0x80000000, v127
	v_xor_b32_e32 v146, 0x80000000, v129
	v_mov_b32_e32 v143, v126
	v_mov_b32_e32 v145, v128
	v_add_nc_u32_e32 v135, 16, v135
	s_waitcnt lgkmcnt(0)
	v_cmp_gt_f64_e64 s1, 0, v[139:140]
	v_cmp_gt_f64_e64 s2, 0, v[141:142]
	v_xor_b32_e32 v148, 0x80000000, v140
	v_xor_b32_e32 v150, 0x80000000, v142
	v_mov_b32_e32 v147, v139
	v_mov_b32_e32 v149, v141
	v_cndmask_b32_e32 v144, v127, v144, vcc_lo
	v_cndmask_b32_e64 v146, v129, v146, s0
	v_add_f64 v[143:144], v[143:144], v[145:146]
	v_cndmask_b32_e64 v148, v140, v148, s1
	v_cndmask_b32_e64 v150, v142, v150, s2
	v_add_f64 v[145:146], v[147:148], v[149:150]
	v_cmp_lt_f64_e32 vcc_lo, v[143:144], v[145:146]
	v_cndmask_b32_e32 v127, v127, v140, vcc_lo
	v_cndmask_b32_e32 v126, v126, v139, vcc_lo
	;; [unrolled: 1-line block ×4, first 2 shown]
	v_cndmask_b32_e64 v134, v134, s3, vcc_lo
	s_add_i32 s3, s3, 1
	s_cmp_eq_u32 s18, s3
	s_cbranch_scc0 .LBB60_5
.LBB60_6:
	s_inst_prefetch 0x2
	s_waitcnt lgkmcnt(0)
	v_cmp_neq_f64_e32 vcc_lo, 0, v[126:127]
	v_cmp_neq_f64_e64 s0, 0, v[128:129]
	v_mov_b32_e32 v139, 1
	v_mov_b32_e32 v141, 1
	s_or_b32 s1, vcc_lo, s0
	s_and_saveexec_b32 s0, s1
	s_cbranch_execz .LBB60_12
; %bb.7:
	v_cmp_ngt_f64_e64 s1, |v[126:127]|, |v[128:129]|
	s_and_saveexec_b32 s2, s1
	s_xor_b32 s1, exec_lo, s2
	s_cbranch_execz .LBB60_9
; %bb.8:
	v_div_scale_f64 v[139:140], null, v[128:129], v[128:129], v[126:127]
	v_div_scale_f64 v[145:146], vcc_lo, v[126:127], v[128:129], v[126:127]
	v_rcp_f64_e32 v[141:142], v[139:140]
	v_fma_f64 v[143:144], -v[139:140], v[141:142], 1.0
	v_fma_f64 v[141:142], v[141:142], v[143:144], v[141:142]
	v_fma_f64 v[143:144], -v[139:140], v[141:142], 1.0
	v_fma_f64 v[141:142], v[141:142], v[143:144], v[141:142]
	v_mul_f64 v[143:144], v[145:146], v[141:142]
	v_fma_f64 v[139:140], -v[139:140], v[143:144], v[145:146]
	v_div_fmas_f64 v[139:140], v[139:140], v[141:142], v[143:144]
	v_div_fixup_f64 v[139:140], v[139:140], v[128:129], v[126:127]
	v_fma_f64 v[126:127], v[126:127], v[139:140], v[128:129]
	v_div_scale_f64 v[128:129], null, v[126:127], v[126:127], 1.0
	v_rcp_f64_e32 v[141:142], v[128:129]
	v_fma_f64 v[143:144], -v[128:129], v[141:142], 1.0
	v_fma_f64 v[141:142], v[141:142], v[143:144], v[141:142]
	v_fma_f64 v[143:144], -v[128:129], v[141:142], 1.0
	v_fma_f64 v[141:142], v[141:142], v[143:144], v[141:142]
	v_div_scale_f64 v[143:144], vcc_lo, 1.0, v[126:127], 1.0
	v_mul_f64 v[145:146], v[143:144], v[141:142]
	v_fma_f64 v[128:129], -v[128:129], v[145:146], v[143:144]
	v_div_fmas_f64 v[128:129], v[128:129], v[141:142], v[145:146]
	v_div_fixup_f64 v[128:129], v[128:129], v[126:127], 1.0
	v_mul_f64 v[126:127], v[139:140], v[128:129]
	v_xor_b32_e32 v129, 0x80000000, v129
.LBB60_9:
	s_andn2_saveexec_b32 s1, s1
	s_cbranch_execz .LBB60_11
; %bb.10:
	v_div_scale_f64 v[139:140], null, v[126:127], v[126:127], v[128:129]
	v_div_scale_f64 v[145:146], vcc_lo, v[128:129], v[126:127], v[128:129]
	v_rcp_f64_e32 v[141:142], v[139:140]
	v_fma_f64 v[143:144], -v[139:140], v[141:142], 1.0
	v_fma_f64 v[141:142], v[141:142], v[143:144], v[141:142]
	v_fma_f64 v[143:144], -v[139:140], v[141:142], 1.0
	v_fma_f64 v[141:142], v[141:142], v[143:144], v[141:142]
	v_mul_f64 v[143:144], v[145:146], v[141:142]
	v_fma_f64 v[139:140], -v[139:140], v[143:144], v[145:146]
	v_div_fmas_f64 v[139:140], v[139:140], v[141:142], v[143:144]
	v_div_fixup_f64 v[139:140], v[139:140], v[126:127], v[128:129]
	v_fma_f64 v[126:127], v[128:129], v[139:140], v[126:127]
	v_div_scale_f64 v[128:129], null, v[126:127], v[126:127], 1.0
	v_rcp_f64_e32 v[141:142], v[128:129]
	v_fma_f64 v[143:144], -v[128:129], v[141:142], 1.0
	v_fma_f64 v[141:142], v[141:142], v[143:144], v[141:142]
	v_fma_f64 v[143:144], -v[128:129], v[141:142], 1.0
	v_fma_f64 v[141:142], v[141:142], v[143:144], v[141:142]
	v_div_scale_f64 v[143:144], vcc_lo, 1.0, v[126:127], 1.0
	v_mul_f64 v[145:146], v[143:144], v[141:142]
	v_fma_f64 v[128:129], -v[128:129], v[145:146], v[143:144]
	v_div_fmas_f64 v[128:129], v[128:129], v[141:142], v[145:146]
	v_div_fixup_f64 v[126:127], v[128:129], v[126:127], 1.0
	v_mul_f64 v[128:129], v[139:140], -v[126:127]
.LBB60_11:
	s_or_b32 exec_lo, exec_lo, s1
	v_mov_b32_e32 v141, 0
	v_mov_b32_e32 v139, 2
.LBB60_12:
	s_or_b32 exec_lo, exec_lo, s0
	s_mov_b32 s0, exec_lo
	v_cmpx_ne_u32_e64 v0, v134
	s_xor_b32 s0, exec_lo, s0
	s_cbranch_execz .LBB60_18
; %bb.13:
	s_mov_b32 s1, exec_lo
	v_cmpx_eq_u32_e32 0, v0
	s_cbranch_execz .LBB60_17
; %bb.14:
	v_cmp_ne_u32_e32 vcc_lo, 0, v134
	s_xor_b32 s2, s16, -1
	s_and_b32 s3, s2, vcc_lo
	s_and_saveexec_b32 s2, s3
	s_cbranch_execz .LBB60_16
; %bb.15:
	v_ashrrev_i32_e32 v135, 31, v134
	v_lshlrev_b64 v[142:143], 2, v[134:135]
	v_add_co_u32 v142, vcc_lo, v132, v142
	v_add_co_ci_u32_e64 v143, null, v133, v143, vcc_lo
	s_clause 0x1
	global_load_dword v0, v[142:143], off
	global_load_dword v135, v[132:133], off
	s_waitcnt vmcnt(1)
	global_store_dword v[132:133], v0, off
	s_waitcnt vmcnt(0)
	global_store_dword v[142:143], v135, off
.LBB60_16:
	s_or_b32 exec_lo, exec_lo, s2
	v_mov_b32_e32 v0, v134
.LBB60_17:
	s_or_b32 exec_lo, exec_lo, s1
.LBB60_18:
	s_or_saveexec_b32 s0, s0
	v_mov_b32_e32 v140, v0
	s_xor_b32 exec_lo, exec_lo, s0
	s_cbranch_execz .LBB60_20
; %bb.19:
	v_mov_b32_e32 v140, 0
	ds_write2_b64 v1, v[110:111], v[112:113] offset0:2 offset1:3
	ds_write2_b64 v1, v[118:119], v[120:121] offset0:4 offset1:5
	;; [unrolled: 1-line block ×30, first 2 shown]
.LBB60_20:
	s_or_b32 exec_lo, exec_lo, s0
	s_mov_b32 s0, exec_lo
	s_waitcnt lgkmcnt(0)
	s_waitcnt_vscnt null, 0x0
	s_barrier
	buffer_gl0_inv
	v_cmpx_lt_i32_e32 0, v140
	s_cbranch_execz .LBB60_22
; %bb.21:
	v_mul_f64 v[134:135], v[128:129], v[124:125]
	v_mul_f64 v[124:125], v[126:127], v[124:125]
	v_fma_f64 v[134:135], v[126:127], v[122:123], -v[134:135]
	v_fma_f64 v[124:125], v[128:129], v[122:123], v[124:125]
	ds_read2_b64 v[126:129], v1 offset0:2 offset1:3
	s_waitcnt lgkmcnt(0)
	v_mul_f64 v[122:123], v[128:129], v[124:125]
	v_fma_f64 v[122:123], v[126:127], v[134:135], -v[122:123]
	v_mul_f64 v[126:127], v[126:127], v[124:125]
	v_add_f64 v[110:111], v[110:111], -v[122:123]
	v_fma_f64 v[126:127], v[128:129], v[134:135], v[126:127]
	v_add_f64 v[112:113], v[112:113], -v[126:127]
	ds_read2_b64 v[126:129], v1 offset0:4 offset1:5
	s_waitcnt lgkmcnt(0)
	v_mul_f64 v[122:123], v[128:129], v[124:125]
	v_fma_f64 v[122:123], v[126:127], v[134:135], -v[122:123]
	v_mul_f64 v[126:127], v[126:127], v[124:125]
	v_add_f64 v[118:119], v[118:119], -v[122:123]
	v_fma_f64 v[126:127], v[128:129], v[134:135], v[126:127]
	v_add_f64 v[120:121], v[120:121], -v[126:127]
	;; [unrolled: 8-line block ×29, first 2 shown]
	ds_read2_b64 v[126:129], v1 offset0:60 offset1:61
	s_waitcnt lgkmcnt(0)
	v_mul_f64 v[122:123], v[128:129], v[124:125]
	v_fma_f64 v[122:123], v[126:127], v[134:135], -v[122:123]
	v_mul_f64 v[126:127], v[126:127], v[124:125]
	v_add_f64 v[2:3], v[2:3], -v[122:123]
	v_fma_f64 v[126:127], v[128:129], v[134:135], v[126:127]
	v_mov_b32_e32 v122, v134
	v_mov_b32_e32 v123, v135
	v_add_f64 v[4:5], v[4:5], -v[126:127]
.LBB60_22:
	s_or_b32 exec_lo, exec_lo, s0
	v_lshl_add_u32 v126, v140, 4, v1
	s_barrier
	buffer_gl0_inv
	v_mov_b32_e32 v134, 1
	ds_write2_b64 v126, v[110:111], v[112:113] offset1:1
	s_waitcnt lgkmcnt(0)
	s_barrier
	buffer_gl0_inv
	ds_read2_b64 v[126:129], v1 offset0:2 offset1:3
	s_cmp_lt_i32 s18, 3
	s_cbranch_scc1 .LBB60_25
; %bb.23:
	v_add3_u32 v135, v136, 0, 32
	v_mov_b32_e32 v134, 1
	s_mov_b32 s1, 2
	s_inst_prefetch 0x1
	.p2align	6
.LBB60_24:                              ; =>This Inner Loop Header: Depth=1
	s_waitcnt lgkmcnt(0)
	v_cmp_gt_f64_e32 vcc_lo, 0, v[128:129]
	v_cmp_gt_f64_e64 s0, 0, v[126:127]
	ds_read2_b64 v[142:145], v135 offset1:1
	v_xor_b32_e32 v147, 0x80000000, v127
	v_xor_b32_e32 v149, 0x80000000, v129
	v_mov_b32_e32 v146, v126
	v_mov_b32_e32 v148, v128
	v_add_nc_u32_e32 v135, 16, v135
	s_waitcnt lgkmcnt(0)
	v_xor_b32_e32 v151, 0x80000000, v145
	v_cndmask_b32_e64 v147, v127, v147, s0
	v_cndmask_b32_e32 v149, v129, v149, vcc_lo
	v_cmp_gt_f64_e32 vcc_lo, 0, v[144:145]
	v_cmp_gt_f64_e64 s0, 0, v[142:143]
	v_mov_b32_e32 v150, v144
	v_add_f64 v[146:147], v[146:147], v[148:149]
	v_xor_b32_e32 v149, 0x80000000, v143
	v_mov_b32_e32 v148, v142
	v_cndmask_b32_e32 v151, v145, v151, vcc_lo
	v_cndmask_b32_e64 v149, v143, v149, s0
	v_add_f64 v[148:149], v[148:149], v[150:151]
	v_cmp_lt_f64_e32 vcc_lo, v[146:147], v[148:149]
	v_cndmask_b32_e32 v127, v127, v143, vcc_lo
	v_cndmask_b32_e32 v126, v126, v142, vcc_lo
	;; [unrolled: 1-line block ×4, first 2 shown]
	v_cndmask_b32_e64 v134, v134, s1, vcc_lo
	s_add_i32 s1, s1, 1
	s_cmp_lg_u32 s18, s1
	s_cbranch_scc1 .LBB60_24
.LBB60_25:
	s_inst_prefetch 0x2
	s_waitcnt lgkmcnt(0)
	v_cmp_neq_f64_e32 vcc_lo, 0, v[126:127]
	v_cmp_neq_f64_e64 s0, 0, v[128:129]
	s_or_b32 s1, vcc_lo, s0
	s_and_saveexec_b32 s0, s1
	s_cbranch_execz .LBB60_31
; %bb.26:
	v_cmp_ngt_f64_e64 s1, |v[126:127]|, |v[128:129]|
	s_and_saveexec_b32 s2, s1
	s_xor_b32 s1, exec_lo, s2
	s_cbranch_execz .LBB60_28
; %bb.27:
	v_div_scale_f64 v[142:143], null, v[128:129], v[128:129], v[126:127]
	v_div_scale_f64 v[148:149], vcc_lo, v[126:127], v[128:129], v[126:127]
	v_rcp_f64_e32 v[144:145], v[142:143]
	v_fma_f64 v[146:147], -v[142:143], v[144:145], 1.0
	v_fma_f64 v[144:145], v[144:145], v[146:147], v[144:145]
	v_fma_f64 v[146:147], -v[142:143], v[144:145], 1.0
	v_fma_f64 v[144:145], v[144:145], v[146:147], v[144:145]
	v_mul_f64 v[146:147], v[148:149], v[144:145]
	v_fma_f64 v[142:143], -v[142:143], v[146:147], v[148:149]
	v_div_fmas_f64 v[142:143], v[142:143], v[144:145], v[146:147]
	v_div_fixup_f64 v[142:143], v[142:143], v[128:129], v[126:127]
	v_fma_f64 v[126:127], v[126:127], v[142:143], v[128:129]
	v_div_scale_f64 v[128:129], null, v[126:127], v[126:127], 1.0
	v_rcp_f64_e32 v[144:145], v[128:129]
	v_fma_f64 v[146:147], -v[128:129], v[144:145], 1.0
	v_fma_f64 v[144:145], v[144:145], v[146:147], v[144:145]
	v_fma_f64 v[146:147], -v[128:129], v[144:145], 1.0
	v_fma_f64 v[144:145], v[144:145], v[146:147], v[144:145]
	v_div_scale_f64 v[146:147], vcc_lo, 1.0, v[126:127], 1.0
	v_mul_f64 v[148:149], v[146:147], v[144:145]
	v_fma_f64 v[128:129], -v[128:129], v[148:149], v[146:147]
	v_div_fmas_f64 v[128:129], v[128:129], v[144:145], v[148:149]
	v_div_fixup_f64 v[128:129], v[128:129], v[126:127], 1.0
	v_mul_f64 v[126:127], v[142:143], v[128:129]
	v_xor_b32_e32 v129, 0x80000000, v129
.LBB60_28:
	s_andn2_saveexec_b32 s1, s1
	s_cbranch_execz .LBB60_30
; %bb.29:
	v_div_scale_f64 v[142:143], null, v[126:127], v[126:127], v[128:129]
	v_div_scale_f64 v[148:149], vcc_lo, v[128:129], v[126:127], v[128:129]
	v_rcp_f64_e32 v[144:145], v[142:143]
	v_fma_f64 v[146:147], -v[142:143], v[144:145], 1.0
	v_fma_f64 v[144:145], v[144:145], v[146:147], v[144:145]
	v_fma_f64 v[146:147], -v[142:143], v[144:145], 1.0
	v_fma_f64 v[144:145], v[144:145], v[146:147], v[144:145]
	v_mul_f64 v[146:147], v[148:149], v[144:145]
	v_fma_f64 v[142:143], -v[142:143], v[146:147], v[148:149]
	v_div_fmas_f64 v[142:143], v[142:143], v[144:145], v[146:147]
	v_div_fixup_f64 v[142:143], v[142:143], v[126:127], v[128:129]
	v_fma_f64 v[126:127], v[128:129], v[142:143], v[126:127]
	v_div_scale_f64 v[128:129], null, v[126:127], v[126:127], 1.0
	v_rcp_f64_e32 v[144:145], v[128:129]
	v_fma_f64 v[146:147], -v[128:129], v[144:145], 1.0
	v_fma_f64 v[144:145], v[144:145], v[146:147], v[144:145]
	v_fma_f64 v[146:147], -v[128:129], v[144:145], 1.0
	v_fma_f64 v[144:145], v[144:145], v[146:147], v[144:145]
	v_div_scale_f64 v[146:147], vcc_lo, 1.0, v[126:127], 1.0
	v_mul_f64 v[148:149], v[146:147], v[144:145]
	v_fma_f64 v[128:129], -v[128:129], v[148:149], v[146:147]
	v_div_fmas_f64 v[128:129], v[128:129], v[144:145], v[148:149]
	v_div_fixup_f64 v[126:127], v[128:129], v[126:127], 1.0
	v_mul_f64 v[128:129], v[142:143], -v[126:127]
.LBB60_30:
	s_or_b32 exec_lo, exec_lo, s1
	v_mov_b32_e32 v139, v141
.LBB60_31:
	s_or_b32 exec_lo, exec_lo, s0
	s_mov_b32 s0, exec_lo
	v_cmpx_ne_u32_e64 v140, v134
	s_xor_b32 s0, exec_lo, s0
	s_cbranch_execz .LBB60_37
; %bb.32:
	s_mov_b32 s1, exec_lo
	v_cmpx_eq_u32_e32 1, v140
	s_cbranch_execz .LBB60_36
; %bb.33:
	v_cmp_ne_u32_e32 vcc_lo, 1, v134
	s_xor_b32 s2, s16, -1
	s_and_b32 s3, s2, vcc_lo
	s_and_saveexec_b32 s2, s3
	s_cbranch_execz .LBB60_35
; %bb.34:
	v_ashrrev_i32_e32 v135, 31, v134
	v_lshlrev_b64 v[140:141], 2, v[134:135]
	v_add_co_u32 v140, vcc_lo, v132, v140
	v_add_co_ci_u32_e64 v141, null, v133, v141, vcc_lo
	s_clause 0x1
	global_load_dword v0, v[140:141], off
	global_load_dword v135, v[132:133], off offset:4
	s_waitcnt vmcnt(1)
	global_store_dword v[132:133], v0, off offset:4
	s_waitcnt vmcnt(0)
	global_store_dword v[140:141], v135, off
.LBB60_35:
	s_or_b32 exec_lo, exec_lo, s2
	v_mov_b32_e32 v140, v134
	v_mov_b32_e32 v0, v134
.LBB60_36:
	s_or_b32 exec_lo, exec_lo, s1
.LBB60_37:
	s_andn2_saveexec_b32 s0, s0
	s_cbranch_execz .LBB60_39
; %bb.38:
	v_mov_b32_e32 v140, 1
	ds_write2_b64 v1, v[118:119], v[120:121] offset0:4 offset1:5
	ds_write2_b64 v1, v[114:115], v[116:117] offset0:6 offset1:7
	;; [unrolled: 1-line block ×29, first 2 shown]
.LBB60_39:
	s_or_b32 exec_lo, exec_lo, s0
	s_mov_b32 s0, exec_lo
	s_waitcnt lgkmcnt(0)
	s_waitcnt_vscnt null, 0x0
	s_barrier
	buffer_gl0_inv
	v_cmpx_lt_i32_e32 1, v140
	s_cbranch_execz .LBB60_41
; %bb.40:
	v_mul_f64 v[134:135], v[128:129], v[112:113]
	v_mul_f64 v[112:113], v[126:127], v[112:113]
	v_fma_f64 v[134:135], v[126:127], v[110:111], -v[134:135]
	v_fma_f64 v[112:113], v[128:129], v[110:111], v[112:113]
	ds_read2_b64 v[126:129], v1 offset0:4 offset1:5
	s_waitcnt lgkmcnt(0)
	v_mul_f64 v[110:111], v[128:129], v[112:113]
	v_fma_f64 v[110:111], v[126:127], v[134:135], -v[110:111]
	v_mul_f64 v[126:127], v[126:127], v[112:113]
	v_add_f64 v[118:119], v[118:119], -v[110:111]
	v_fma_f64 v[126:127], v[128:129], v[134:135], v[126:127]
	v_add_f64 v[120:121], v[120:121], -v[126:127]
	ds_read2_b64 v[126:129], v1 offset0:6 offset1:7
	s_waitcnt lgkmcnt(0)
	v_mul_f64 v[110:111], v[128:129], v[112:113]
	v_fma_f64 v[110:111], v[126:127], v[134:135], -v[110:111]
	v_mul_f64 v[126:127], v[126:127], v[112:113]
	v_add_f64 v[114:115], v[114:115], -v[110:111]
	v_fma_f64 v[126:127], v[128:129], v[134:135], v[126:127]
	v_add_f64 v[116:117], v[116:117], -v[126:127]
	;; [unrolled: 8-line block ×28, first 2 shown]
	ds_read2_b64 v[126:129], v1 offset0:60 offset1:61
	s_waitcnt lgkmcnt(0)
	v_mul_f64 v[110:111], v[128:129], v[112:113]
	v_fma_f64 v[110:111], v[126:127], v[134:135], -v[110:111]
	v_mul_f64 v[126:127], v[126:127], v[112:113]
	v_add_f64 v[2:3], v[2:3], -v[110:111]
	v_fma_f64 v[126:127], v[128:129], v[134:135], v[126:127]
	v_mov_b32_e32 v110, v134
	v_mov_b32_e32 v111, v135
	v_add_f64 v[4:5], v[4:5], -v[126:127]
.LBB60_41:
	s_or_b32 exec_lo, exec_lo, s0
	v_lshl_add_u32 v126, v140, 4, v1
	s_barrier
	buffer_gl0_inv
	v_mov_b32_e32 v134, 2
	ds_write2_b64 v126, v[118:119], v[120:121] offset1:1
	s_waitcnt lgkmcnt(0)
	s_barrier
	buffer_gl0_inv
	ds_read2_b64 v[126:129], v1 offset0:4 offset1:5
	s_cmp_lt_i32 s18, 4
	s_cbranch_scc1 .LBB60_44
; %bb.42:
	v_add3_u32 v135, v136, 0, 48
	v_mov_b32_e32 v134, 2
	s_mov_b32 s1, 3
	s_inst_prefetch 0x1
	.p2align	6
.LBB60_43:                              ; =>This Inner Loop Header: Depth=1
	s_waitcnt lgkmcnt(0)
	v_cmp_gt_f64_e32 vcc_lo, 0, v[128:129]
	v_cmp_gt_f64_e64 s0, 0, v[126:127]
	ds_read2_b64 v[141:144], v135 offset1:1
	v_xor_b32_e32 v146, 0x80000000, v127
	v_xor_b32_e32 v148, 0x80000000, v129
	v_mov_b32_e32 v145, v126
	v_mov_b32_e32 v147, v128
	v_add_nc_u32_e32 v135, 16, v135
	s_waitcnt lgkmcnt(0)
	v_xor_b32_e32 v150, 0x80000000, v144
	v_cndmask_b32_e64 v146, v127, v146, s0
	v_cndmask_b32_e32 v148, v129, v148, vcc_lo
	v_cmp_gt_f64_e32 vcc_lo, 0, v[143:144]
	v_cmp_gt_f64_e64 s0, 0, v[141:142]
	v_mov_b32_e32 v149, v143
	v_add_f64 v[145:146], v[145:146], v[147:148]
	v_xor_b32_e32 v148, 0x80000000, v142
	v_mov_b32_e32 v147, v141
	v_cndmask_b32_e32 v150, v144, v150, vcc_lo
	v_cndmask_b32_e64 v148, v142, v148, s0
	v_add_f64 v[147:148], v[147:148], v[149:150]
	v_cmp_lt_f64_e32 vcc_lo, v[145:146], v[147:148]
	v_cndmask_b32_e32 v127, v127, v142, vcc_lo
	v_cndmask_b32_e32 v126, v126, v141, vcc_lo
	v_cndmask_b32_e32 v129, v129, v144, vcc_lo
	v_cndmask_b32_e32 v128, v128, v143, vcc_lo
	v_cndmask_b32_e64 v134, v134, s1, vcc_lo
	s_add_i32 s1, s1, 1
	s_cmp_lg_u32 s18, s1
	s_cbranch_scc1 .LBB60_43
.LBB60_44:
	s_inst_prefetch 0x2
	s_waitcnt lgkmcnt(0)
	v_cmp_eq_f64_e32 vcc_lo, 0, v[126:127]
	v_cmp_eq_f64_e64 s0, 0, v[128:129]
	s_and_b32 s0, vcc_lo, s0
	s_and_saveexec_b32 s1, s0
	s_xor_b32 s0, exec_lo, s1
; %bb.45:
	v_cmp_ne_u32_e32 vcc_lo, 0, v139
	v_cndmask_b32_e32 v139, 3, v139, vcc_lo
; %bb.46:
	s_andn2_saveexec_b32 s0, s0
	s_cbranch_execz .LBB60_52
; %bb.47:
	v_cmp_ngt_f64_e64 s1, |v[126:127]|, |v[128:129]|
	s_and_saveexec_b32 s2, s1
	s_xor_b32 s1, exec_lo, s2
	s_cbranch_execz .LBB60_49
; %bb.48:
	v_div_scale_f64 v[141:142], null, v[128:129], v[128:129], v[126:127]
	v_div_scale_f64 v[147:148], vcc_lo, v[126:127], v[128:129], v[126:127]
	v_rcp_f64_e32 v[143:144], v[141:142]
	v_fma_f64 v[145:146], -v[141:142], v[143:144], 1.0
	v_fma_f64 v[143:144], v[143:144], v[145:146], v[143:144]
	v_fma_f64 v[145:146], -v[141:142], v[143:144], 1.0
	v_fma_f64 v[143:144], v[143:144], v[145:146], v[143:144]
	v_mul_f64 v[145:146], v[147:148], v[143:144]
	v_fma_f64 v[141:142], -v[141:142], v[145:146], v[147:148]
	v_div_fmas_f64 v[141:142], v[141:142], v[143:144], v[145:146]
	v_div_fixup_f64 v[141:142], v[141:142], v[128:129], v[126:127]
	v_fma_f64 v[126:127], v[126:127], v[141:142], v[128:129]
	v_div_scale_f64 v[128:129], null, v[126:127], v[126:127], 1.0
	v_rcp_f64_e32 v[143:144], v[128:129]
	v_fma_f64 v[145:146], -v[128:129], v[143:144], 1.0
	v_fma_f64 v[143:144], v[143:144], v[145:146], v[143:144]
	v_fma_f64 v[145:146], -v[128:129], v[143:144], 1.0
	v_fma_f64 v[143:144], v[143:144], v[145:146], v[143:144]
	v_div_scale_f64 v[145:146], vcc_lo, 1.0, v[126:127], 1.0
	v_mul_f64 v[147:148], v[145:146], v[143:144]
	v_fma_f64 v[128:129], -v[128:129], v[147:148], v[145:146]
	v_div_fmas_f64 v[128:129], v[128:129], v[143:144], v[147:148]
	v_div_fixup_f64 v[128:129], v[128:129], v[126:127], 1.0
	v_mul_f64 v[126:127], v[141:142], v[128:129]
	v_xor_b32_e32 v129, 0x80000000, v129
.LBB60_49:
	s_andn2_saveexec_b32 s1, s1
	s_cbranch_execz .LBB60_51
; %bb.50:
	v_div_scale_f64 v[141:142], null, v[126:127], v[126:127], v[128:129]
	v_div_scale_f64 v[147:148], vcc_lo, v[128:129], v[126:127], v[128:129]
	v_rcp_f64_e32 v[143:144], v[141:142]
	v_fma_f64 v[145:146], -v[141:142], v[143:144], 1.0
	v_fma_f64 v[143:144], v[143:144], v[145:146], v[143:144]
	v_fma_f64 v[145:146], -v[141:142], v[143:144], 1.0
	v_fma_f64 v[143:144], v[143:144], v[145:146], v[143:144]
	v_mul_f64 v[145:146], v[147:148], v[143:144]
	v_fma_f64 v[141:142], -v[141:142], v[145:146], v[147:148]
	v_div_fmas_f64 v[141:142], v[141:142], v[143:144], v[145:146]
	v_div_fixup_f64 v[141:142], v[141:142], v[126:127], v[128:129]
	v_fma_f64 v[126:127], v[128:129], v[141:142], v[126:127]
	v_div_scale_f64 v[128:129], null, v[126:127], v[126:127], 1.0
	v_rcp_f64_e32 v[143:144], v[128:129]
	v_fma_f64 v[145:146], -v[128:129], v[143:144], 1.0
	v_fma_f64 v[143:144], v[143:144], v[145:146], v[143:144]
	v_fma_f64 v[145:146], -v[128:129], v[143:144], 1.0
	v_fma_f64 v[143:144], v[143:144], v[145:146], v[143:144]
	v_div_scale_f64 v[145:146], vcc_lo, 1.0, v[126:127], 1.0
	v_mul_f64 v[147:148], v[145:146], v[143:144]
	v_fma_f64 v[128:129], -v[128:129], v[147:148], v[145:146]
	v_div_fmas_f64 v[128:129], v[128:129], v[143:144], v[147:148]
	v_div_fixup_f64 v[126:127], v[128:129], v[126:127], 1.0
	v_mul_f64 v[128:129], v[141:142], -v[126:127]
.LBB60_51:
	s_or_b32 exec_lo, exec_lo, s1
.LBB60_52:
	s_or_b32 exec_lo, exec_lo, s0
	s_mov_b32 s0, exec_lo
	v_cmpx_ne_u32_e64 v140, v134
	s_xor_b32 s0, exec_lo, s0
	s_cbranch_execz .LBB60_58
; %bb.53:
	s_mov_b32 s1, exec_lo
	v_cmpx_eq_u32_e32 2, v140
	s_cbranch_execz .LBB60_57
; %bb.54:
	v_cmp_ne_u32_e32 vcc_lo, 2, v134
	s_xor_b32 s2, s16, -1
	s_and_b32 s3, s2, vcc_lo
	s_and_saveexec_b32 s2, s3
	s_cbranch_execz .LBB60_56
; %bb.55:
	v_ashrrev_i32_e32 v135, 31, v134
	v_lshlrev_b64 v[140:141], 2, v[134:135]
	v_add_co_u32 v140, vcc_lo, v132, v140
	v_add_co_ci_u32_e64 v141, null, v133, v141, vcc_lo
	s_clause 0x1
	global_load_dword v0, v[140:141], off
	global_load_dword v135, v[132:133], off offset:8
	s_waitcnt vmcnt(1)
	global_store_dword v[132:133], v0, off offset:8
	s_waitcnt vmcnt(0)
	global_store_dword v[140:141], v135, off
.LBB60_56:
	s_or_b32 exec_lo, exec_lo, s2
	v_mov_b32_e32 v140, v134
	v_mov_b32_e32 v0, v134
.LBB60_57:
	s_or_b32 exec_lo, exec_lo, s1
.LBB60_58:
	s_andn2_saveexec_b32 s0, s0
	s_cbranch_execz .LBB60_60
; %bb.59:
	v_mov_b32_e32 v140, 2
	ds_write2_b64 v1, v[114:115], v[116:117] offset0:6 offset1:7
	ds_write2_b64 v1, v[106:107], v[108:109] offset0:8 offset1:9
	;; [unrolled: 1-line block ×28, first 2 shown]
.LBB60_60:
	s_or_b32 exec_lo, exec_lo, s0
	s_mov_b32 s0, exec_lo
	s_waitcnt lgkmcnt(0)
	s_waitcnt_vscnt null, 0x0
	s_barrier
	buffer_gl0_inv
	v_cmpx_lt_i32_e32 2, v140
	s_cbranch_execz .LBB60_62
; %bb.61:
	v_mul_f64 v[134:135], v[128:129], v[120:121]
	v_mul_f64 v[120:121], v[126:127], v[120:121]
	v_fma_f64 v[134:135], v[126:127], v[118:119], -v[134:135]
	v_fma_f64 v[120:121], v[128:129], v[118:119], v[120:121]
	ds_read2_b64 v[126:129], v1 offset0:6 offset1:7
	s_waitcnt lgkmcnt(0)
	v_mul_f64 v[118:119], v[128:129], v[120:121]
	v_fma_f64 v[118:119], v[126:127], v[134:135], -v[118:119]
	v_mul_f64 v[126:127], v[126:127], v[120:121]
	v_add_f64 v[114:115], v[114:115], -v[118:119]
	v_fma_f64 v[126:127], v[128:129], v[134:135], v[126:127]
	v_add_f64 v[116:117], v[116:117], -v[126:127]
	ds_read2_b64 v[126:129], v1 offset0:8 offset1:9
	s_waitcnt lgkmcnt(0)
	v_mul_f64 v[118:119], v[128:129], v[120:121]
	v_fma_f64 v[118:119], v[126:127], v[134:135], -v[118:119]
	v_mul_f64 v[126:127], v[126:127], v[120:121]
	v_add_f64 v[106:107], v[106:107], -v[118:119]
	v_fma_f64 v[126:127], v[128:129], v[134:135], v[126:127]
	v_add_f64 v[108:109], v[108:109], -v[126:127]
	;; [unrolled: 8-line block ×27, first 2 shown]
	ds_read2_b64 v[126:129], v1 offset0:60 offset1:61
	s_waitcnt lgkmcnt(0)
	v_mul_f64 v[118:119], v[128:129], v[120:121]
	v_fma_f64 v[118:119], v[126:127], v[134:135], -v[118:119]
	v_mul_f64 v[126:127], v[126:127], v[120:121]
	v_add_f64 v[2:3], v[2:3], -v[118:119]
	v_fma_f64 v[126:127], v[128:129], v[134:135], v[126:127]
	v_mov_b32_e32 v118, v134
	v_mov_b32_e32 v119, v135
	v_add_f64 v[4:5], v[4:5], -v[126:127]
.LBB60_62:
	s_or_b32 exec_lo, exec_lo, s0
	v_lshl_add_u32 v126, v140, 4, v1
	s_barrier
	buffer_gl0_inv
	v_mov_b32_e32 v134, 3
	ds_write2_b64 v126, v[114:115], v[116:117] offset1:1
	s_waitcnt lgkmcnt(0)
	s_barrier
	buffer_gl0_inv
	ds_read2_b64 v[126:129], v1 offset0:6 offset1:7
	s_cmp_lt_i32 s18, 5
	s_mov_b32 s1, 4
	s_cbranch_scc1 .LBB60_65
; %bb.63:
	v_add3_u32 v135, v136, 0, 64
	v_mov_b32_e32 v134, 3
	s_inst_prefetch 0x1
	.p2align	6
.LBB60_64:                              ; =>This Inner Loop Header: Depth=1
	s_waitcnt lgkmcnt(0)
	v_cmp_gt_f64_e32 vcc_lo, 0, v[128:129]
	v_cmp_gt_f64_e64 s0, 0, v[126:127]
	ds_read2_b64 v[141:144], v135 offset1:1
	v_xor_b32_e32 v146, 0x80000000, v127
	v_xor_b32_e32 v148, 0x80000000, v129
	v_mov_b32_e32 v145, v126
	v_mov_b32_e32 v147, v128
	v_add_nc_u32_e32 v135, 16, v135
	s_waitcnt lgkmcnt(0)
	v_xor_b32_e32 v150, 0x80000000, v144
	v_cndmask_b32_e64 v146, v127, v146, s0
	v_cndmask_b32_e32 v148, v129, v148, vcc_lo
	v_cmp_gt_f64_e32 vcc_lo, 0, v[143:144]
	v_cmp_gt_f64_e64 s0, 0, v[141:142]
	v_mov_b32_e32 v149, v143
	v_add_f64 v[145:146], v[145:146], v[147:148]
	v_xor_b32_e32 v148, 0x80000000, v142
	v_mov_b32_e32 v147, v141
	v_cndmask_b32_e32 v150, v144, v150, vcc_lo
	v_cndmask_b32_e64 v148, v142, v148, s0
	v_add_f64 v[147:148], v[147:148], v[149:150]
	v_cmp_lt_f64_e32 vcc_lo, v[145:146], v[147:148]
	v_cndmask_b32_e32 v127, v127, v142, vcc_lo
	v_cndmask_b32_e32 v126, v126, v141, vcc_lo
	;; [unrolled: 1-line block ×4, first 2 shown]
	v_cndmask_b32_e64 v134, v134, s1, vcc_lo
	s_add_i32 s1, s1, 1
	s_cmp_lg_u32 s18, s1
	s_cbranch_scc1 .LBB60_64
.LBB60_65:
	s_inst_prefetch 0x2
	s_waitcnt lgkmcnt(0)
	v_cmp_eq_f64_e32 vcc_lo, 0, v[126:127]
	v_cmp_eq_f64_e64 s0, 0, v[128:129]
	s_and_b32 s0, vcc_lo, s0
	s_and_saveexec_b32 s1, s0
	s_xor_b32 s0, exec_lo, s1
; %bb.66:
	v_cmp_ne_u32_e32 vcc_lo, 0, v139
	v_cndmask_b32_e32 v139, 4, v139, vcc_lo
; %bb.67:
	s_andn2_saveexec_b32 s0, s0
	s_cbranch_execz .LBB60_73
; %bb.68:
	v_cmp_ngt_f64_e64 s1, |v[126:127]|, |v[128:129]|
	s_and_saveexec_b32 s2, s1
	s_xor_b32 s1, exec_lo, s2
	s_cbranch_execz .LBB60_70
; %bb.69:
	v_div_scale_f64 v[141:142], null, v[128:129], v[128:129], v[126:127]
	v_div_scale_f64 v[147:148], vcc_lo, v[126:127], v[128:129], v[126:127]
	v_rcp_f64_e32 v[143:144], v[141:142]
	v_fma_f64 v[145:146], -v[141:142], v[143:144], 1.0
	v_fma_f64 v[143:144], v[143:144], v[145:146], v[143:144]
	v_fma_f64 v[145:146], -v[141:142], v[143:144], 1.0
	v_fma_f64 v[143:144], v[143:144], v[145:146], v[143:144]
	v_mul_f64 v[145:146], v[147:148], v[143:144]
	v_fma_f64 v[141:142], -v[141:142], v[145:146], v[147:148]
	v_div_fmas_f64 v[141:142], v[141:142], v[143:144], v[145:146]
	v_div_fixup_f64 v[141:142], v[141:142], v[128:129], v[126:127]
	v_fma_f64 v[126:127], v[126:127], v[141:142], v[128:129]
	v_div_scale_f64 v[128:129], null, v[126:127], v[126:127], 1.0
	v_rcp_f64_e32 v[143:144], v[128:129]
	v_fma_f64 v[145:146], -v[128:129], v[143:144], 1.0
	v_fma_f64 v[143:144], v[143:144], v[145:146], v[143:144]
	v_fma_f64 v[145:146], -v[128:129], v[143:144], 1.0
	v_fma_f64 v[143:144], v[143:144], v[145:146], v[143:144]
	v_div_scale_f64 v[145:146], vcc_lo, 1.0, v[126:127], 1.0
	v_mul_f64 v[147:148], v[145:146], v[143:144]
	v_fma_f64 v[128:129], -v[128:129], v[147:148], v[145:146]
	v_div_fmas_f64 v[128:129], v[128:129], v[143:144], v[147:148]
	v_div_fixup_f64 v[128:129], v[128:129], v[126:127], 1.0
	v_mul_f64 v[126:127], v[141:142], v[128:129]
	v_xor_b32_e32 v129, 0x80000000, v129
.LBB60_70:
	s_andn2_saveexec_b32 s1, s1
	s_cbranch_execz .LBB60_72
; %bb.71:
	v_div_scale_f64 v[141:142], null, v[126:127], v[126:127], v[128:129]
	v_div_scale_f64 v[147:148], vcc_lo, v[128:129], v[126:127], v[128:129]
	v_rcp_f64_e32 v[143:144], v[141:142]
	v_fma_f64 v[145:146], -v[141:142], v[143:144], 1.0
	v_fma_f64 v[143:144], v[143:144], v[145:146], v[143:144]
	v_fma_f64 v[145:146], -v[141:142], v[143:144], 1.0
	v_fma_f64 v[143:144], v[143:144], v[145:146], v[143:144]
	v_mul_f64 v[145:146], v[147:148], v[143:144]
	v_fma_f64 v[141:142], -v[141:142], v[145:146], v[147:148]
	v_div_fmas_f64 v[141:142], v[141:142], v[143:144], v[145:146]
	v_div_fixup_f64 v[141:142], v[141:142], v[126:127], v[128:129]
	v_fma_f64 v[126:127], v[128:129], v[141:142], v[126:127]
	v_div_scale_f64 v[128:129], null, v[126:127], v[126:127], 1.0
	v_rcp_f64_e32 v[143:144], v[128:129]
	v_fma_f64 v[145:146], -v[128:129], v[143:144], 1.0
	v_fma_f64 v[143:144], v[143:144], v[145:146], v[143:144]
	v_fma_f64 v[145:146], -v[128:129], v[143:144], 1.0
	v_fma_f64 v[143:144], v[143:144], v[145:146], v[143:144]
	v_div_scale_f64 v[145:146], vcc_lo, 1.0, v[126:127], 1.0
	v_mul_f64 v[147:148], v[145:146], v[143:144]
	v_fma_f64 v[128:129], -v[128:129], v[147:148], v[145:146]
	v_div_fmas_f64 v[128:129], v[128:129], v[143:144], v[147:148]
	v_div_fixup_f64 v[126:127], v[128:129], v[126:127], 1.0
	v_mul_f64 v[128:129], v[141:142], -v[126:127]
.LBB60_72:
	s_or_b32 exec_lo, exec_lo, s1
.LBB60_73:
	s_or_b32 exec_lo, exec_lo, s0
	s_mov_b32 s0, exec_lo
	v_cmpx_ne_u32_e64 v140, v134
	s_xor_b32 s0, exec_lo, s0
	s_cbranch_execz .LBB60_79
; %bb.74:
	s_mov_b32 s1, exec_lo
	v_cmpx_eq_u32_e32 3, v140
	s_cbranch_execz .LBB60_78
; %bb.75:
	v_cmp_ne_u32_e32 vcc_lo, 3, v134
	s_xor_b32 s2, s16, -1
	s_and_b32 s3, s2, vcc_lo
	s_and_saveexec_b32 s2, s3
	s_cbranch_execz .LBB60_77
; %bb.76:
	v_ashrrev_i32_e32 v135, 31, v134
	v_lshlrev_b64 v[140:141], 2, v[134:135]
	v_add_co_u32 v140, vcc_lo, v132, v140
	v_add_co_ci_u32_e64 v141, null, v133, v141, vcc_lo
	s_clause 0x1
	global_load_dword v0, v[140:141], off
	global_load_dword v135, v[132:133], off offset:12
	s_waitcnt vmcnt(1)
	global_store_dword v[132:133], v0, off offset:12
	s_waitcnt vmcnt(0)
	global_store_dword v[140:141], v135, off
.LBB60_77:
	s_or_b32 exec_lo, exec_lo, s2
	v_mov_b32_e32 v140, v134
	v_mov_b32_e32 v0, v134
.LBB60_78:
	s_or_b32 exec_lo, exec_lo, s1
.LBB60_79:
	s_andn2_saveexec_b32 s0, s0
	s_cbranch_execz .LBB60_81
; %bb.80:
	v_mov_b32_e32 v140, 3
	ds_write2_b64 v1, v[106:107], v[108:109] offset0:8 offset1:9
	ds_write2_b64 v1, v[102:103], v[104:105] offset0:10 offset1:11
	;; [unrolled: 1-line block ×27, first 2 shown]
.LBB60_81:
	s_or_b32 exec_lo, exec_lo, s0
	s_mov_b32 s0, exec_lo
	s_waitcnt lgkmcnt(0)
	s_waitcnt_vscnt null, 0x0
	s_barrier
	buffer_gl0_inv
	v_cmpx_lt_i32_e32 3, v140
	s_cbranch_execz .LBB60_83
; %bb.82:
	v_mul_f64 v[134:135], v[128:129], v[116:117]
	v_mul_f64 v[116:117], v[126:127], v[116:117]
	v_fma_f64 v[134:135], v[126:127], v[114:115], -v[134:135]
	v_fma_f64 v[116:117], v[128:129], v[114:115], v[116:117]
	ds_read2_b64 v[126:129], v1 offset0:8 offset1:9
	s_waitcnt lgkmcnt(0)
	v_mul_f64 v[114:115], v[128:129], v[116:117]
	v_fma_f64 v[114:115], v[126:127], v[134:135], -v[114:115]
	v_mul_f64 v[126:127], v[126:127], v[116:117]
	v_add_f64 v[106:107], v[106:107], -v[114:115]
	v_fma_f64 v[126:127], v[128:129], v[134:135], v[126:127]
	v_add_f64 v[108:109], v[108:109], -v[126:127]
	ds_read2_b64 v[126:129], v1 offset0:10 offset1:11
	s_waitcnt lgkmcnt(0)
	v_mul_f64 v[114:115], v[128:129], v[116:117]
	v_fma_f64 v[114:115], v[126:127], v[134:135], -v[114:115]
	v_mul_f64 v[126:127], v[126:127], v[116:117]
	v_add_f64 v[102:103], v[102:103], -v[114:115]
	v_fma_f64 v[126:127], v[128:129], v[134:135], v[126:127]
	v_add_f64 v[104:105], v[104:105], -v[126:127]
	;; [unrolled: 8-line block ×26, first 2 shown]
	ds_read2_b64 v[126:129], v1 offset0:60 offset1:61
	s_waitcnt lgkmcnt(0)
	v_mul_f64 v[114:115], v[128:129], v[116:117]
	v_fma_f64 v[114:115], v[126:127], v[134:135], -v[114:115]
	v_mul_f64 v[126:127], v[126:127], v[116:117]
	v_add_f64 v[2:3], v[2:3], -v[114:115]
	v_fma_f64 v[126:127], v[128:129], v[134:135], v[126:127]
	v_mov_b32_e32 v114, v134
	v_mov_b32_e32 v115, v135
	v_add_f64 v[4:5], v[4:5], -v[126:127]
.LBB60_83:
	s_or_b32 exec_lo, exec_lo, s0
	v_lshl_add_u32 v126, v140, 4, v1
	s_barrier
	buffer_gl0_inv
	v_mov_b32_e32 v134, 4
	ds_write2_b64 v126, v[106:107], v[108:109] offset1:1
	s_waitcnt lgkmcnt(0)
	s_barrier
	buffer_gl0_inv
	ds_read2_b64 v[126:129], v1 offset0:8 offset1:9
	s_cmp_lt_i32 s18, 6
	s_cbranch_scc1 .LBB60_86
; %bb.84:
	v_mov_b32_e32 v134, 4
	v_add3_u32 v135, v136, 0, 0x50
	s_mov_b32 s1, 5
	s_inst_prefetch 0x1
	.p2align	6
.LBB60_85:                              ; =>This Inner Loop Header: Depth=1
	s_waitcnt lgkmcnt(0)
	v_cmp_gt_f64_e32 vcc_lo, 0, v[128:129]
	v_cmp_gt_f64_e64 s0, 0, v[126:127]
	ds_read2_b64 v[141:144], v135 offset1:1
	v_xor_b32_e32 v146, 0x80000000, v127
	v_xor_b32_e32 v148, 0x80000000, v129
	v_mov_b32_e32 v145, v126
	v_mov_b32_e32 v147, v128
	v_add_nc_u32_e32 v135, 16, v135
	s_waitcnt lgkmcnt(0)
	v_xor_b32_e32 v150, 0x80000000, v144
	v_cndmask_b32_e64 v146, v127, v146, s0
	v_cndmask_b32_e32 v148, v129, v148, vcc_lo
	v_cmp_gt_f64_e32 vcc_lo, 0, v[143:144]
	v_cmp_gt_f64_e64 s0, 0, v[141:142]
	v_mov_b32_e32 v149, v143
	v_add_f64 v[145:146], v[145:146], v[147:148]
	v_xor_b32_e32 v148, 0x80000000, v142
	v_mov_b32_e32 v147, v141
	v_cndmask_b32_e32 v150, v144, v150, vcc_lo
	v_cndmask_b32_e64 v148, v142, v148, s0
	v_add_f64 v[147:148], v[147:148], v[149:150]
	v_cmp_lt_f64_e32 vcc_lo, v[145:146], v[147:148]
	v_cndmask_b32_e32 v127, v127, v142, vcc_lo
	v_cndmask_b32_e32 v126, v126, v141, vcc_lo
	;; [unrolled: 1-line block ×4, first 2 shown]
	v_cndmask_b32_e64 v134, v134, s1, vcc_lo
	s_add_i32 s1, s1, 1
	s_cmp_lg_u32 s18, s1
	s_cbranch_scc1 .LBB60_85
.LBB60_86:
	s_inst_prefetch 0x2
	s_waitcnt lgkmcnt(0)
	v_cmp_eq_f64_e32 vcc_lo, 0, v[126:127]
	v_cmp_eq_f64_e64 s0, 0, v[128:129]
	s_and_b32 s0, vcc_lo, s0
	s_and_saveexec_b32 s1, s0
	s_xor_b32 s0, exec_lo, s1
; %bb.87:
	v_cmp_ne_u32_e32 vcc_lo, 0, v139
	v_cndmask_b32_e32 v139, 5, v139, vcc_lo
; %bb.88:
	s_andn2_saveexec_b32 s0, s0
	s_cbranch_execz .LBB60_94
; %bb.89:
	v_cmp_ngt_f64_e64 s1, |v[126:127]|, |v[128:129]|
	s_and_saveexec_b32 s2, s1
	s_xor_b32 s1, exec_lo, s2
	s_cbranch_execz .LBB60_91
; %bb.90:
	v_div_scale_f64 v[141:142], null, v[128:129], v[128:129], v[126:127]
	v_div_scale_f64 v[147:148], vcc_lo, v[126:127], v[128:129], v[126:127]
	v_rcp_f64_e32 v[143:144], v[141:142]
	v_fma_f64 v[145:146], -v[141:142], v[143:144], 1.0
	v_fma_f64 v[143:144], v[143:144], v[145:146], v[143:144]
	v_fma_f64 v[145:146], -v[141:142], v[143:144], 1.0
	v_fma_f64 v[143:144], v[143:144], v[145:146], v[143:144]
	v_mul_f64 v[145:146], v[147:148], v[143:144]
	v_fma_f64 v[141:142], -v[141:142], v[145:146], v[147:148]
	v_div_fmas_f64 v[141:142], v[141:142], v[143:144], v[145:146]
	v_div_fixup_f64 v[141:142], v[141:142], v[128:129], v[126:127]
	v_fma_f64 v[126:127], v[126:127], v[141:142], v[128:129]
	v_div_scale_f64 v[128:129], null, v[126:127], v[126:127], 1.0
	v_rcp_f64_e32 v[143:144], v[128:129]
	v_fma_f64 v[145:146], -v[128:129], v[143:144], 1.0
	v_fma_f64 v[143:144], v[143:144], v[145:146], v[143:144]
	v_fma_f64 v[145:146], -v[128:129], v[143:144], 1.0
	v_fma_f64 v[143:144], v[143:144], v[145:146], v[143:144]
	v_div_scale_f64 v[145:146], vcc_lo, 1.0, v[126:127], 1.0
	v_mul_f64 v[147:148], v[145:146], v[143:144]
	v_fma_f64 v[128:129], -v[128:129], v[147:148], v[145:146]
	v_div_fmas_f64 v[128:129], v[128:129], v[143:144], v[147:148]
	v_div_fixup_f64 v[128:129], v[128:129], v[126:127], 1.0
	v_mul_f64 v[126:127], v[141:142], v[128:129]
	v_xor_b32_e32 v129, 0x80000000, v129
.LBB60_91:
	s_andn2_saveexec_b32 s1, s1
	s_cbranch_execz .LBB60_93
; %bb.92:
	v_div_scale_f64 v[141:142], null, v[126:127], v[126:127], v[128:129]
	v_div_scale_f64 v[147:148], vcc_lo, v[128:129], v[126:127], v[128:129]
	v_rcp_f64_e32 v[143:144], v[141:142]
	v_fma_f64 v[145:146], -v[141:142], v[143:144], 1.0
	v_fma_f64 v[143:144], v[143:144], v[145:146], v[143:144]
	v_fma_f64 v[145:146], -v[141:142], v[143:144], 1.0
	v_fma_f64 v[143:144], v[143:144], v[145:146], v[143:144]
	v_mul_f64 v[145:146], v[147:148], v[143:144]
	v_fma_f64 v[141:142], -v[141:142], v[145:146], v[147:148]
	v_div_fmas_f64 v[141:142], v[141:142], v[143:144], v[145:146]
	v_div_fixup_f64 v[141:142], v[141:142], v[126:127], v[128:129]
	v_fma_f64 v[126:127], v[128:129], v[141:142], v[126:127]
	v_div_scale_f64 v[128:129], null, v[126:127], v[126:127], 1.0
	v_rcp_f64_e32 v[143:144], v[128:129]
	v_fma_f64 v[145:146], -v[128:129], v[143:144], 1.0
	v_fma_f64 v[143:144], v[143:144], v[145:146], v[143:144]
	v_fma_f64 v[145:146], -v[128:129], v[143:144], 1.0
	v_fma_f64 v[143:144], v[143:144], v[145:146], v[143:144]
	v_div_scale_f64 v[145:146], vcc_lo, 1.0, v[126:127], 1.0
	v_mul_f64 v[147:148], v[145:146], v[143:144]
	v_fma_f64 v[128:129], -v[128:129], v[147:148], v[145:146]
	v_div_fmas_f64 v[128:129], v[128:129], v[143:144], v[147:148]
	v_div_fixup_f64 v[126:127], v[128:129], v[126:127], 1.0
	v_mul_f64 v[128:129], v[141:142], -v[126:127]
.LBB60_93:
	s_or_b32 exec_lo, exec_lo, s1
.LBB60_94:
	s_or_b32 exec_lo, exec_lo, s0
	s_mov_b32 s0, exec_lo
	v_cmpx_ne_u32_e64 v140, v134
	s_xor_b32 s0, exec_lo, s0
	s_cbranch_execz .LBB60_100
; %bb.95:
	s_mov_b32 s1, exec_lo
	v_cmpx_eq_u32_e32 4, v140
	s_cbranch_execz .LBB60_99
; %bb.96:
	v_cmp_ne_u32_e32 vcc_lo, 4, v134
	s_xor_b32 s2, s16, -1
	s_and_b32 s3, s2, vcc_lo
	s_and_saveexec_b32 s2, s3
	s_cbranch_execz .LBB60_98
; %bb.97:
	v_ashrrev_i32_e32 v135, 31, v134
	v_lshlrev_b64 v[140:141], 2, v[134:135]
	v_add_co_u32 v140, vcc_lo, v132, v140
	v_add_co_ci_u32_e64 v141, null, v133, v141, vcc_lo
	s_clause 0x1
	global_load_dword v0, v[140:141], off
	global_load_dword v135, v[132:133], off offset:16
	s_waitcnt vmcnt(1)
	global_store_dword v[132:133], v0, off offset:16
	s_waitcnt vmcnt(0)
	global_store_dword v[140:141], v135, off
.LBB60_98:
	s_or_b32 exec_lo, exec_lo, s2
	v_mov_b32_e32 v140, v134
	v_mov_b32_e32 v0, v134
.LBB60_99:
	s_or_b32 exec_lo, exec_lo, s1
.LBB60_100:
	s_andn2_saveexec_b32 s0, s0
	s_cbranch_execz .LBB60_102
; %bb.101:
	v_mov_b32_e32 v140, 4
	ds_write2_b64 v1, v[102:103], v[104:105] offset0:10 offset1:11
	ds_write2_b64 v1, v[98:99], v[100:101] offset0:12 offset1:13
	;; [unrolled: 1-line block ×26, first 2 shown]
.LBB60_102:
	s_or_b32 exec_lo, exec_lo, s0
	s_mov_b32 s0, exec_lo
	s_waitcnt lgkmcnt(0)
	s_waitcnt_vscnt null, 0x0
	s_barrier
	buffer_gl0_inv
	v_cmpx_lt_i32_e32 4, v140
	s_cbranch_execz .LBB60_104
; %bb.103:
	v_mul_f64 v[134:135], v[128:129], v[108:109]
	v_mul_f64 v[108:109], v[126:127], v[108:109]
	v_fma_f64 v[134:135], v[126:127], v[106:107], -v[134:135]
	v_fma_f64 v[108:109], v[128:129], v[106:107], v[108:109]
	ds_read2_b64 v[126:129], v1 offset0:10 offset1:11
	s_waitcnt lgkmcnt(0)
	v_mul_f64 v[106:107], v[128:129], v[108:109]
	v_fma_f64 v[106:107], v[126:127], v[134:135], -v[106:107]
	v_mul_f64 v[126:127], v[126:127], v[108:109]
	v_add_f64 v[102:103], v[102:103], -v[106:107]
	v_fma_f64 v[126:127], v[128:129], v[134:135], v[126:127]
	v_add_f64 v[104:105], v[104:105], -v[126:127]
	ds_read2_b64 v[126:129], v1 offset0:12 offset1:13
	s_waitcnt lgkmcnt(0)
	v_mul_f64 v[106:107], v[128:129], v[108:109]
	v_fma_f64 v[106:107], v[126:127], v[134:135], -v[106:107]
	v_mul_f64 v[126:127], v[126:127], v[108:109]
	v_add_f64 v[98:99], v[98:99], -v[106:107]
	v_fma_f64 v[126:127], v[128:129], v[134:135], v[126:127]
	v_add_f64 v[100:101], v[100:101], -v[126:127]
	;; [unrolled: 8-line block ×25, first 2 shown]
	ds_read2_b64 v[126:129], v1 offset0:60 offset1:61
	s_waitcnt lgkmcnt(0)
	v_mul_f64 v[106:107], v[128:129], v[108:109]
	v_fma_f64 v[106:107], v[126:127], v[134:135], -v[106:107]
	v_mul_f64 v[126:127], v[126:127], v[108:109]
	v_add_f64 v[2:3], v[2:3], -v[106:107]
	v_fma_f64 v[126:127], v[128:129], v[134:135], v[126:127]
	v_mov_b32_e32 v106, v134
	v_mov_b32_e32 v107, v135
	v_add_f64 v[4:5], v[4:5], -v[126:127]
.LBB60_104:
	s_or_b32 exec_lo, exec_lo, s0
	v_lshl_add_u32 v126, v140, 4, v1
	s_barrier
	buffer_gl0_inv
	v_mov_b32_e32 v134, 5
	ds_write2_b64 v126, v[102:103], v[104:105] offset1:1
	s_waitcnt lgkmcnt(0)
	s_barrier
	buffer_gl0_inv
	ds_read2_b64 v[126:129], v1 offset0:10 offset1:11
	s_cmp_lt_i32 s18, 7
	s_cbranch_scc1 .LBB60_107
; %bb.105:
	v_add3_u32 v135, v136, 0, 0x60
	v_mov_b32_e32 v134, 5
	s_mov_b32 s1, 6
	s_inst_prefetch 0x1
	.p2align	6
.LBB60_106:                             ; =>This Inner Loop Header: Depth=1
	s_waitcnt lgkmcnt(0)
	v_cmp_gt_f64_e32 vcc_lo, 0, v[128:129]
	v_cmp_gt_f64_e64 s0, 0, v[126:127]
	ds_read2_b64 v[141:144], v135 offset1:1
	v_xor_b32_e32 v146, 0x80000000, v127
	v_xor_b32_e32 v148, 0x80000000, v129
	v_mov_b32_e32 v145, v126
	v_mov_b32_e32 v147, v128
	v_add_nc_u32_e32 v135, 16, v135
	s_waitcnt lgkmcnt(0)
	v_xor_b32_e32 v150, 0x80000000, v144
	v_cndmask_b32_e64 v146, v127, v146, s0
	v_cndmask_b32_e32 v148, v129, v148, vcc_lo
	v_cmp_gt_f64_e32 vcc_lo, 0, v[143:144]
	v_cmp_gt_f64_e64 s0, 0, v[141:142]
	v_mov_b32_e32 v149, v143
	v_add_f64 v[145:146], v[145:146], v[147:148]
	v_xor_b32_e32 v148, 0x80000000, v142
	v_mov_b32_e32 v147, v141
	v_cndmask_b32_e32 v150, v144, v150, vcc_lo
	v_cndmask_b32_e64 v148, v142, v148, s0
	v_add_f64 v[147:148], v[147:148], v[149:150]
	v_cmp_lt_f64_e32 vcc_lo, v[145:146], v[147:148]
	v_cndmask_b32_e32 v127, v127, v142, vcc_lo
	v_cndmask_b32_e32 v126, v126, v141, vcc_lo
	;; [unrolled: 1-line block ×4, first 2 shown]
	v_cndmask_b32_e64 v134, v134, s1, vcc_lo
	s_add_i32 s1, s1, 1
	s_cmp_lg_u32 s18, s1
	s_cbranch_scc1 .LBB60_106
.LBB60_107:
	s_inst_prefetch 0x2
	s_waitcnt lgkmcnt(0)
	v_cmp_eq_f64_e32 vcc_lo, 0, v[126:127]
	v_cmp_eq_f64_e64 s0, 0, v[128:129]
	s_and_b32 s0, vcc_lo, s0
	s_and_saveexec_b32 s1, s0
	s_xor_b32 s0, exec_lo, s1
; %bb.108:
	v_cmp_ne_u32_e32 vcc_lo, 0, v139
	v_cndmask_b32_e32 v139, 6, v139, vcc_lo
; %bb.109:
	s_andn2_saveexec_b32 s0, s0
	s_cbranch_execz .LBB60_115
; %bb.110:
	v_cmp_ngt_f64_e64 s1, |v[126:127]|, |v[128:129]|
	s_and_saveexec_b32 s2, s1
	s_xor_b32 s1, exec_lo, s2
	s_cbranch_execz .LBB60_112
; %bb.111:
	v_div_scale_f64 v[141:142], null, v[128:129], v[128:129], v[126:127]
	v_div_scale_f64 v[147:148], vcc_lo, v[126:127], v[128:129], v[126:127]
	v_rcp_f64_e32 v[143:144], v[141:142]
	v_fma_f64 v[145:146], -v[141:142], v[143:144], 1.0
	v_fma_f64 v[143:144], v[143:144], v[145:146], v[143:144]
	v_fma_f64 v[145:146], -v[141:142], v[143:144], 1.0
	v_fma_f64 v[143:144], v[143:144], v[145:146], v[143:144]
	v_mul_f64 v[145:146], v[147:148], v[143:144]
	v_fma_f64 v[141:142], -v[141:142], v[145:146], v[147:148]
	v_div_fmas_f64 v[141:142], v[141:142], v[143:144], v[145:146]
	v_div_fixup_f64 v[141:142], v[141:142], v[128:129], v[126:127]
	v_fma_f64 v[126:127], v[126:127], v[141:142], v[128:129]
	v_div_scale_f64 v[128:129], null, v[126:127], v[126:127], 1.0
	v_rcp_f64_e32 v[143:144], v[128:129]
	v_fma_f64 v[145:146], -v[128:129], v[143:144], 1.0
	v_fma_f64 v[143:144], v[143:144], v[145:146], v[143:144]
	v_fma_f64 v[145:146], -v[128:129], v[143:144], 1.0
	v_fma_f64 v[143:144], v[143:144], v[145:146], v[143:144]
	v_div_scale_f64 v[145:146], vcc_lo, 1.0, v[126:127], 1.0
	v_mul_f64 v[147:148], v[145:146], v[143:144]
	v_fma_f64 v[128:129], -v[128:129], v[147:148], v[145:146]
	v_div_fmas_f64 v[128:129], v[128:129], v[143:144], v[147:148]
	v_div_fixup_f64 v[128:129], v[128:129], v[126:127], 1.0
	v_mul_f64 v[126:127], v[141:142], v[128:129]
	v_xor_b32_e32 v129, 0x80000000, v129
.LBB60_112:
	s_andn2_saveexec_b32 s1, s1
	s_cbranch_execz .LBB60_114
; %bb.113:
	v_div_scale_f64 v[141:142], null, v[126:127], v[126:127], v[128:129]
	v_div_scale_f64 v[147:148], vcc_lo, v[128:129], v[126:127], v[128:129]
	v_rcp_f64_e32 v[143:144], v[141:142]
	v_fma_f64 v[145:146], -v[141:142], v[143:144], 1.0
	v_fma_f64 v[143:144], v[143:144], v[145:146], v[143:144]
	v_fma_f64 v[145:146], -v[141:142], v[143:144], 1.0
	v_fma_f64 v[143:144], v[143:144], v[145:146], v[143:144]
	v_mul_f64 v[145:146], v[147:148], v[143:144]
	v_fma_f64 v[141:142], -v[141:142], v[145:146], v[147:148]
	v_div_fmas_f64 v[141:142], v[141:142], v[143:144], v[145:146]
	v_div_fixup_f64 v[141:142], v[141:142], v[126:127], v[128:129]
	v_fma_f64 v[126:127], v[128:129], v[141:142], v[126:127]
	v_div_scale_f64 v[128:129], null, v[126:127], v[126:127], 1.0
	v_rcp_f64_e32 v[143:144], v[128:129]
	v_fma_f64 v[145:146], -v[128:129], v[143:144], 1.0
	v_fma_f64 v[143:144], v[143:144], v[145:146], v[143:144]
	v_fma_f64 v[145:146], -v[128:129], v[143:144], 1.0
	v_fma_f64 v[143:144], v[143:144], v[145:146], v[143:144]
	v_div_scale_f64 v[145:146], vcc_lo, 1.0, v[126:127], 1.0
	v_mul_f64 v[147:148], v[145:146], v[143:144]
	v_fma_f64 v[128:129], -v[128:129], v[147:148], v[145:146]
	v_div_fmas_f64 v[128:129], v[128:129], v[143:144], v[147:148]
	v_div_fixup_f64 v[126:127], v[128:129], v[126:127], 1.0
	v_mul_f64 v[128:129], v[141:142], -v[126:127]
.LBB60_114:
	s_or_b32 exec_lo, exec_lo, s1
.LBB60_115:
	s_or_b32 exec_lo, exec_lo, s0
	s_mov_b32 s0, exec_lo
	v_cmpx_ne_u32_e64 v140, v134
	s_xor_b32 s0, exec_lo, s0
	s_cbranch_execz .LBB60_121
; %bb.116:
	s_mov_b32 s1, exec_lo
	v_cmpx_eq_u32_e32 5, v140
	s_cbranch_execz .LBB60_120
; %bb.117:
	v_cmp_ne_u32_e32 vcc_lo, 5, v134
	s_xor_b32 s2, s16, -1
	s_and_b32 s3, s2, vcc_lo
	s_and_saveexec_b32 s2, s3
	s_cbranch_execz .LBB60_119
; %bb.118:
	v_ashrrev_i32_e32 v135, 31, v134
	v_lshlrev_b64 v[140:141], 2, v[134:135]
	v_add_co_u32 v140, vcc_lo, v132, v140
	v_add_co_ci_u32_e64 v141, null, v133, v141, vcc_lo
	s_clause 0x1
	global_load_dword v0, v[140:141], off
	global_load_dword v135, v[132:133], off offset:20
	s_waitcnt vmcnt(1)
	global_store_dword v[132:133], v0, off offset:20
	s_waitcnt vmcnt(0)
	global_store_dword v[140:141], v135, off
.LBB60_119:
	s_or_b32 exec_lo, exec_lo, s2
	v_mov_b32_e32 v140, v134
	v_mov_b32_e32 v0, v134
.LBB60_120:
	s_or_b32 exec_lo, exec_lo, s1
.LBB60_121:
	s_andn2_saveexec_b32 s0, s0
	s_cbranch_execz .LBB60_123
; %bb.122:
	v_mov_b32_e32 v140, 5
	ds_write2_b64 v1, v[98:99], v[100:101] offset0:12 offset1:13
	ds_write2_b64 v1, v[94:95], v[96:97] offset0:14 offset1:15
	;; [unrolled: 1-line block ×25, first 2 shown]
.LBB60_123:
	s_or_b32 exec_lo, exec_lo, s0
	s_mov_b32 s0, exec_lo
	s_waitcnt lgkmcnt(0)
	s_waitcnt_vscnt null, 0x0
	s_barrier
	buffer_gl0_inv
	v_cmpx_lt_i32_e32 5, v140
	s_cbranch_execz .LBB60_125
; %bb.124:
	v_mul_f64 v[134:135], v[128:129], v[104:105]
	v_mul_f64 v[104:105], v[126:127], v[104:105]
	v_fma_f64 v[134:135], v[126:127], v[102:103], -v[134:135]
	v_fma_f64 v[104:105], v[128:129], v[102:103], v[104:105]
	ds_read2_b64 v[126:129], v1 offset0:12 offset1:13
	s_waitcnt lgkmcnt(0)
	v_mul_f64 v[102:103], v[128:129], v[104:105]
	v_fma_f64 v[102:103], v[126:127], v[134:135], -v[102:103]
	v_mul_f64 v[126:127], v[126:127], v[104:105]
	v_add_f64 v[98:99], v[98:99], -v[102:103]
	v_fma_f64 v[126:127], v[128:129], v[134:135], v[126:127]
	v_add_f64 v[100:101], v[100:101], -v[126:127]
	ds_read2_b64 v[126:129], v1 offset0:14 offset1:15
	s_waitcnt lgkmcnt(0)
	v_mul_f64 v[102:103], v[128:129], v[104:105]
	v_fma_f64 v[102:103], v[126:127], v[134:135], -v[102:103]
	v_mul_f64 v[126:127], v[126:127], v[104:105]
	v_add_f64 v[94:95], v[94:95], -v[102:103]
	v_fma_f64 v[126:127], v[128:129], v[134:135], v[126:127]
	v_add_f64 v[96:97], v[96:97], -v[126:127]
	;; [unrolled: 8-line block ×24, first 2 shown]
	ds_read2_b64 v[126:129], v1 offset0:60 offset1:61
	s_waitcnt lgkmcnt(0)
	v_mul_f64 v[102:103], v[128:129], v[104:105]
	v_fma_f64 v[102:103], v[126:127], v[134:135], -v[102:103]
	v_mul_f64 v[126:127], v[126:127], v[104:105]
	v_add_f64 v[2:3], v[2:3], -v[102:103]
	v_fma_f64 v[126:127], v[128:129], v[134:135], v[126:127]
	v_mov_b32_e32 v102, v134
	v_mov_b32_e32 v103, v135
	v_add_f64 v[4:5], v[4:5], -v[126:127]
.LBB60_125:
	s_or_b32 exec_lo, exec_lo, s0
	v_lshl_add_u32 v126, v140, 4, v1
	s_barrier
	buffer_gl0_inv
	v_mov_b32_e32 v134, 6
	ds_write2_b64 v126, v[98:99], v[100:101] offset1:1
	s_waitcnt lgkmcnt(0)
	s_barrier
	buffer_gl0_inv
	ds_read2_b64 v[126:129], v1 offset0:12 offset1:13
	s_cmp_lt_i32 s18, 8
	s_cbranch_scc1 .LBB60_128
; %bb.126:
	v_add3_u32 v135, v136, 0, 0x70
	v_mov_b32_e32 v134, 6
	s_mov_b32 s1, 7
	s_inst_prefetch 0x1
	.p2align	6
.LBB60_127:                             ; =>This Inner Loop Header: Depth=1
	s_waitcnt lgkmcnt(0)
	v_cmp_gt_f64_e32 vcc_lo, 0, v[128:129]
	v_cmp_gt_f64_e64 s0, 0, v[126:127]
	ds_read2_b64 v[141:144], v135 offset1:1
	v_xor_b32_e32 v146, 0x80000000, v127
	v_xor_b32_e32 v148, 0x80000000, v129
	v_mov_b32_e32 v145, v126
	v_mov_b32_e32 v147, v128
	v_add_nc_u32_e32 v135, 16, v135
	s_waitcnt lgkmcnt(0)
	v_xor_b32_e32 v150, 0x80000000, v144
	v_cndmask_b32_e64 v146, v127, v146, s0
	v_cndmask_b32_e32 v148, v129, v148, vcc_lo
	v_cmp_gt_f64_e32 vcc_lo, 0, v[143:144]
	v_cmp_gt_f64_e64 s0, 0, v[141:142]
	v_mov_b32_e32 v149, v143
	v_add_f64 v[145:146], v[145:146], v[147:148]
	v_xor_b32_e32 v148, 0x80000000, v142
	v_mov_b32_e32 v147, v141
	v_cndmask_b32_e32 v150, v144, v150, vcc_lo
	v_cndmask_b32_e64 v148, v142, v148, s0
	v_add_f64 v[147:148], v[147:148], v[149:150]
	v_cmp_lt_f64_e32 vcc_lo, v[145:146], v[147:148]
	v_cndmask_b32_e32 v127, v127, v142, vcc_lo
	v_cndmask_b32_e32 v126, v126, v141, vcc_lo
	v_cndmask_b32_e32 v129, v129, v144, vcc_lo
	v_cndmask_b32_e32 v128, v128, v143, vcc_lo
	v_cndmask_b32_e64 v134, v134, s1, vcc_lo
	s_add_i32 s1, s1, 1
	s_cmp_lg_u32 s18, s1
	s_cbranch_scc1 .LBB60_127
.LBB60_128:
	s_inst_prefetch 0x2
	s_waitcnt lgkmcnt(0)
	v_cmp_eq_f64_e32 vcc_lo, 0, v[126:127]
	v_cmp_eq_f64_e64 s0, 0, v[128:129]
	s_and_b32 s0, vcc_lo, s0
	s_and_saveexec_b32 s1, s0
	s_xor_b32 s0, exec_lo, s1
; %bb.129:
	v_cmp_ne_u32_e32 vcc_lo, 0, v139
	v_cndmask_b32_e32 v139, 7, v139, vcc_lo
; %bb.130:
	s_andn2_saveexec_b32 s0, s0
	s_cbranch_execz .LBB60_136
; %bb.131:
	v_cmp_ngt_f64_e64 s1, |v[126:127]|, |v[128:129]|
	s_and_saveexec_b32 s2, s1
	s_xor_b32 s1, exec_lo, s2
	s_cbranch_execz .LBB60_133
; %bb.132:
	v_div_scale_f64 v[141:142], null, v[128:129], v[128:129], v[126:127]
	v_div_scale_f64 v[147:148], vcc_lo, v[126:127], v[128:129], v[126:127]
	v_rcp_f64_e32 v[143:144], v[141:142]
	v_fma_f64 v[145:146], -v[141:142], v[143:144], 1.0
	v_fma_f64 v[143:144], v[143:144], v[145:146], v[143:144]
	v_fma_f64 v[145:146], -v[141:142], v[143:144], 1.0
	v_fma_f64 v[143:144], v[143:144], v[145:146], v[143:144]
	v_mul_f64 v[145:146], v[147:148], v[143:144]
	v_fma_f64 v[141:142], -v[141:142], v[145:146], v[147:148]
	v_div_fmas_f64 v[141:142], v[141:142], v[143:144], v[145:146]
	v_div_fixup_f64 v[141:142], v[141:142], v[128:129], v[126:127]
	v_fma_f64 v[126:127], v[126:127], v[141:142], v[128:129]
	v_div_scale_f64 v[128:129], null, v[126:127], v[126:127], 1.0
	v_rcp_f64_e32 v[143:144], v[128:129]
	v_fma_f64 v[145:146], -v[128:129], v[143:144], 1.0
	v_fma_f64 v[143:144], v[143:144], v[145:146], v[143:144]
	v_fma_f64 v[145:146], -v[128:129], v[143:144], 1.0
	v_fma_f64 v[143:144], v[143:144], v[145:146], v[143:144]
	v_div_scale_f64 v[145:146], vcc_lo, 1.0, v[126:127], 1.0
	v_mul_f64 v[147:148], v[145:146], v[143:144]
	v_fma_f64 v[128:129], -v[128:129], v[147:148], v[145:146]
	v_div_fmas_f64 v[128:129], v[128:129], v[143:144], v[147:148]
	v_div_fixup_f64 v[128:129], v[128:129], v[126:127], 1.0
	v_mul_f64 v[126:127], v[141:142], v[128:129]
	v_xor_b32_e32 v129, 0x80000000, v129
.LBB60_133:
	s_andn2_saveexec_b32 s1, s1
	s_cbranch_execz .LBB60_135
; %bb.134:
	v_div_scale_f64 v[141:142], null, v[126:127], v[126:127], v[128:129]
	v_div_scale_f64 v[147:148], vcc_lo, v[128:129], v[126:127], v[128:129]
	v_rcp_f64_e32 v[143:144], v[141:142]
	v_fma_f64 v[145:146], -v[141:142], v[143:144], 1.0
	v_fma_f64 v[143:144], v[143:144], v[145:146], v[143:144]
	v_fma_f64 v[145:146], -v[141:142], v[143:144], 1.0
	v_fma_f64 v[143:144], v[143:144], v[145:146], v[143:144]
	v_mul_f64 v[145:146], v[147:148], v[143:144]
	v_fma_f64 v[141:142], -v[141:142], v[145:146], v[147:148]
	v_div_fmas_f64 v[141:142], v[141:142], v[143:144], v[145:146]
	v_div_fixup_f64 v[141:142], v[141:142], v[126:127], v[128:129]
	v_fma_f64 v[126:127], v[128:129], v[141:142], v[126:127]
	v_div_scale_f64 v[128:129], null, v[126:127], v[126:127], 1.0
	v_rcp_f64_e32 v[143:144], v[128:129]
	v_fma_f64 v[145:146], -v[128:129], v[143:144], 1.0
	v_fma_f64 v[143:144], v[143:144], v[145:146], v[143:144]
	v_fma_f64 v[145:146], -v[128:129], v[143:144], 1.0
	v_fma_f64 v[143:144], v[143:144], v[145:146], v[143:144]
	v_div_scale_f64 v[145:146], vcc_lo, 1.0, v[126:127], 1.0
	v_mul_f64 v[147:148], v[145:146], v[143:144]
	v_fma_f64 v[128:129], -v[128:129], v[147:148], v[145:146]
	v_div_fmas_f64 v[128:129], v[128:129], v[143:144], v[147:148]
	v_div_fixup_f64 v[126:127], v[128:129], v[126:127], 1.0
	v_mul_f64 v[128:129], v[141:142], -v[126:127]
.LBB60_135:
	s_or_b32 exec_lo, exec_lo, s1
.LBB60_136:
	s_or_b32 exec_lo, exec_lo, s0
	s_mov_b32 s0, exec_lo
	v_cmpx_ne_u32_e64 v140, v134
	s_xor_b32 s0, exec_lo, s0
	s_cbranch_execz .LBB60_142
; %bb.137:
	s_mov_b32 s1, exec_lo
	v_cmpx_eq_u32_e32 6, v140
	s_cbranch_execz .LBB60_141
; %bb.138:
	v_cmp_ne_u32_e32 vcc_lo, 6, v134
	s_xor_b32 s2, s16, -1
	s_and_b32 s3, s2, vcc_lo
	s_and_saveexec_b32 s2, s3
	s_cbranch_execz .LBB60_140
; %bb.139:
	v_ashrrev_i32_e32 v135, 31, v134
	v_lshlrev_b64 v[140:141], 2, v[134:135]
	v_add_co_u32 v140, vcc_lo, v132, v140
	v_add_co_ci_u32_e64 v141, null, v133, v141, vcc_lo
	s_clause 0x1
	global_load_dword v0, v[140:141], off
	global_load_dword v135, v[132:133], off offset:24
	s_waitcnt vmcnt(1)
	global_store_dword v[132:133], v0, off offset:24
	s_waitcnt vmcnt(0)
	global_store_dword v[140:141], v135, off
.LBB60_140:
	s_or_b32 exec_lo, exec_lo, s2
	v_mov_b32_e32 v140, v134
	v_mov_b32_e32 v0, v134
.LBB60_141:
	s_or_b32 exec_lo, exec_lo, s1
.LBB60_142:
	s_andn2_saveexec_b32 s0, s0
	s_cbranch_execz .LBB60_144
; %bb.143:
	v_mov_b32_e32 v140, 6
	ds_write2_b64 v1, v[94:95], v[96:97] offset0:14 offset1:15
	ds_write2_b64 v1, v[90:91], v[92:93] offset0:16 offset1:17
	ds_write2_b64 v1, v[86:87], v[88:89] offset0:18 offset1:19
	ds_write2_b64 v1, v[82:83], v[84:85] offset0:20 offset1:21
	ds_write2_b64 v1, v[78:79], v[80:81] offset0:22 offset1:23
	ds_write2_b64 v1, v[74:75], v[76:77] offset0:24 offset1:25
	ds_write2_b64 v1, v[70:71], v[72:73] offset0:26 offset1:27
	ds_write2_b64 v1, v[66:67], v[68:69] offset0:28 offset1:29
	ds_write2_b64 v1, v[62:63], v[64:65] offset0:30 offset1:31
	ds_write2_b64 v1, v[58:59], v[60:61] offset0:32 offset1:33
	ds_write2_b64 v1, v[54:55], v[56:57] offset0:34 offset1:35
	ds_write2_b64 v1, v[50:51], v[52:53] offset0:36 offset1:37
	ds_write2_b64 v1, v[46:47], v[48:49] offset0:38 offset1:39
	ds_write2_b64 v1, v[42:43], v[44:45] offset0:40 offset1:41
	ds_write2_b64 v1, v[38:39], v[40:41] offset0:42 offset1:43
	ds_write2_b64 v1, v[34:35], v[36:37] offset0:44 offset1:45
	ds_write2_b64 v1, v[30:31], v[32:33] offset0:46 offset1:47
	ds_write2_b64 v1, v[26:27], v[28:29] offset0:48 offset1:49
	ds_write2_b64 v1, v[22:23], v[24:25] offset0:50 offset1:51
	ds_write2_b64 v1, v[18:19], v[20:21] offset0:52 offset1:53
	ds_write2_b64 v1, v[14:15], v[16:17] offset0:54 offset1:55
	ds_write2_b64 v1, v[10:11], v[12:13] offset0:56 offset1:57
	ds_write2_b64 v1, v[6:7], v[8:9] offset0:58 offset1:59
	ds_write2_b64 v1, v[2:3], v[4:5] offset0:60 offset1:61
.LBB60_144:
	s_or_b32 exec_lo, exec_lo, s0
	s_mov_b32 s0, exec_lo
	s_waitcnt lgkmcnt(0)
	s_waitcnt_vscnt null, 0x0
	s_barrier
	buffer_gl0_inv
	v_cmpx_lt_i32_e32 6, v140
	s_cbranch_execz .LBB60_146
; %bb.145:
	v_mul_f64 v[134:135], v[128:129], v[100:101]
	v_mul_f64 v[100:101], v[126:127], v[100:101]
	v_fma_f64 v[134:135], v[126:127], v[98:99], -v[134:135]
	v_fma_f64 v[100:101], v[128:129], v[98:99], v[100:101]
	ds_read2_b64 v[126:129], v1 offset0:14 offset1:15
	s_waitcnt lgkmcnt(0)
	v_mul_f64 v[98:99], v[128:129], v[100:101]
	v_fma_f64 v[98:99], v[126:127], v[134:135], -v[98:99]
	v_mul_f64 v[126:127], v[126:127], v[100:101]
	v_add_f64 v[94:95], v[94:95], -v[98:99]
	v_fma_f64 v[126:127], v[128:129], v[134:135], v[126:127]
	v_add_f64 v[96:97], v[96:97], -v[126:127]
	ds_read2_b64 v[126:129], v1 offset0:16 offset1:17
	s_waitcnt lgkmcnt(0)
	v_mul_f64 v[98:99], v[128:129], v[100:101]
	v_fma_f64 v[98:99], v[126:127], v[134:135], -v[98:99]
	v_mul_f64 v[126:127], v[126:127], v[100:101]
	v_add_f64 v[90:91], v[90:91], -v[98:99]
	v_fma_f64 v[126:127], v[128:129], v[134:135], v[126:127]
	v_add_f64 v[92:93], v[92:93], -v[126:127]
	;; [unrolled: 8-line block ×23, first 2 shown]
	ds_read2_b64 v[126:129], v1 offset0:60 offset1:61
	s_waitcnt lgkmcnt(0)
	v_mul_f64 v[98:99], v[128:129], v[100:101]
	v_fma_f64 v[98:99], v[126:127], v[134:135], -v[98:99]
	v_mul_f64 v[126:127], v[126:127], v[100:101]
	v_add_f64 v[2:3], v[2:3], -v[98:99]
	v_fma_f64 v[126:127], v[128:129], v[134:135], v[126:127]
	v_mov_b32_e32 v98, v134
	v_mov_b32_e32 v99, v135
	v_add_f64 v[4:5], v[4:5], -v[126:127]
.LBB60_146:
	s_or_b32 exec_lo, exec_lo, s0
	v_lshl_add_u32 v126, v140, 4, v1
	s_barrier
	buffer_gl0_inv
	v_mov_b32_e32 v134, 7
	ds_write2_b64 v126, v[94:95], v[96:97] offset1:1
	s_waitcnt lgkmcnt(0)
	s_barrier
	buffer_gl0_inv
	ds_read2_b64 v[126:129], v1 offset0:14 offset1:15
	s_cmp_lt_i32 s18, 9
	s_cbranch_scc1 .LBB60_149
; %bb.147:
	v_add3_u32 v135, v136, 0, 0x80
	v_mov_b32_e32 v134, 7
	s_mov_b32 s1, 8
	s_inst_prefetch 0x1
	.p2align	6
.LBB60_148:                             ; =>This Inner Loop Header: Depth=1
	s_waitcnt lgkmcnt(0)
	v_cmp_gt_f64_e32 vcc_lo, 0, v[128:129]
	v_cmp_gt_f64_e64 s0, 0, v[126:127]
	ds_read2_b64 v[141:144], v135 offset1:1
	v_xor_b32_e32 v146, 0x80000000, v127
	v_xor_b32_e32 v148, 0x80000000, v129
	v_mov_b32_e32 v145, v126
	v_mov_b32_e32 v147, v128
	v_add_nc_u32_e32 v135, 16, v135
	s_waitcnt lgkmcnt(0)
	v_xor_b32_e32 v150, 0x80000000, v144
	v_cndmask_b32_e64 v146, v127, v146, s0
	v_cndmask_b32_e32 v148, v129, v148, vcc_lo
	v_cmp_gt_f64_e32 vcc_lo, 0, v[143:144]
	v_cmp_gt_f64_e64 s0, 0, v[141:142]
	v_mov_b32_e32 v149, v143
	v_add_f64 v[145:146], v[145:146], v[147:148]
	v_xor_b32_e32 v148, 0x80000000, v142
	v_mov_b32_e32 v147, v141
	v_cndmask_b32_e32 v150, v144, v150, vcc_lo
	v_cndmask_b32_e64 v148, v142, v148, s0
	v_add_f64 v[147:148], v[147:148], v[149:150]
	v_cmp_lt_f64_e32 vcc_lo, v[145:146], v[147:148]
	v_cndmask_b32_e32 v127, v127, v142, vcc_lo
	v_cndmask_b32_e32 v126, v126, v141, vcc_lo
	;; [unrolled: 1-line block ×4, first 2 shown]
	v_cndmask_b32_e64 v134, v134, s1, vcc_lo
	s_add_i32 s1, s1, 1
	s_cmp_lg_u32 s18, s1
	s_cbranch_scc1 .LBB60_148
.LBB60_149:
	s_inst_prefetch 0x2
	s_waitcnt lgkmcnt(0)
	v_cmp_eq_f64_e32 vcc_lo, 0, v[126:127]
	v_cmp_eq_f64_e64 s0, 0, v[128:129]
	s_and_b32 s0, vcc_lo, s0
	s_and_saveexec_b32 s1, s0
	s_xor_b32 s0, exec_lo, s1
; %bb.150:
	v_cmp_ne_u32_e32 vcc_lo, 0, v139
	v_cndmask_b32_e32 v139, 8, v139, vcc_lo
; %bb.151:
	s_andn2_saveexec_b32 s0, s0
	s_cbranch_execz .LBB60_157
; %bb.152:
	v_cmp_ngt_f64_e64 s1, |v[126:127]|, |v[128:129]|
	s_and_saveexec_b32 s2, s1
	s_xor_b32 s1, exec_lo, s2
	s_cbranch_execz .LBB60_154
; %bb.153:
	v_div_scale_f64 v[141:142], null, v[128:129], v[128:129], v[126:127]
	v_div_scale_f64 v[147:148], vcc_lo, v[126:127], v[128:129], v[126:127]
	v_rcp_f64_e32 v[143:144], v[141:142]
	v_fma_f64 v[145:146], -v[141:142], v[143:144], 1.0
	v_fma_f64 v[143:144], v[143:144], v[145:146], v[143:144]
	v_fma_f64 v[145:146], -v[141:142], v[143:144], 1.0
	v_fma_f64 v[143:144], v[143:144], v[145:146], v[143:144]
	v_mul_f64 v[145:146], v[147:148], v[143:144]
	v_fma_f64 v[141:142], -v[141:142], v[145:146], v[147:148]
	v_div_fmas_f64 v[141:142], v[141:142], v[143:144], v[145:146]
	v_div_fixup_f64 v[141:142], v[141:142], v[128:129], v[126:127]
	v_fma_f64 v[126:127], v[126:127], v[141:142], v[128:129]
	v_div_scale_f64 v[128:129], null, v[126:127], v[126:127], 1.0
	v_rcp_f64_e32 v[143:144], v[128:129]
	v_fma_f64 v[145:146], -v[128:129], v[143:144], 1.0
	v_fma_f64 v[143:144], v[143:144], v[145:146], v[143:144]
	v_fma_f64 v[145:146], -v[128:129], v[143:144], 1.0
	v_fma_f64 v[143:144], v[143:144], v[145:146], v[143:144]
	v_div_scale_f64 v[145:146], vcc_lo, 1.0, v[126:127], 1.0
	v_mul_f64 v[147:148], v[145:146], v[143:144]
	v_fma_f64 v[128:129], -v[128:129], v[147:148], v[145:146]
	v_div_fmas_f64 v[128:129], v[128:129], v[143:144], v[147:148]
	v_div_fixup_f64 v[128:129], v[128:129], v[126:127], 1.0
	v_mul_f64 v[126:127], v[141:142], v[128:129]
	v_xor_b32_e32 v129, 0x80000000, v129
.LBB60_154:
	s_andn2_saveexec_b32 s1, s1
	s_cbranch_execz .LBB60_156
; %bb.155:
	v_div_scale_f64 v[141:142], null, v[126:127], v[126:127], v[128:129]
	v_div_scale_f64 v[147:148], vcc_lo, v[128:129], v[126:127], v[128:129]
	v_rcp_f64_e32 v[143:144], v[141:142]
	v_fma_f64 v[145:146], -v[141:142], v[143:144], 1.0
	v_fma_f64 v[143:144], v[143:144], v[145:146], v[143:144]
	v_fma_f64 v[145:146], -v[141:142], v[143:144], 1.0
	v_fma_f64 v[143:144], v[143:144], v[145:146], v[143:144]
	v_mul_f64 v[145:146], v[147:148], v[143:144]
	v_fma_f64 v[141:142], -v[141:142], v[145:146], v[147:148]
	v_div_fmas_f64 v[141:142], v[141:142], v[143:144], v[145:146]
	v_div_fixup_f64 v[141:142], v[141:142], v[126:127], v[128:129]
	v_fma_f64 v[126:127], v[128:129], v[141:142], v[126:127]
	v_div_scale_f64 v[128:129], null, v[126:127], v[126:127], 1.0
	v_rcp_f64_e32 v[143:144], v[128:129]
	v_fma_f64 v[145:146], -v[128:129], v[143:144], 1.0
	v_fma_f64 v[143:144], v[143:144], v[145:146], v[143:144]
	v_fma_f64 v[145:146], -v[128:129], v[143:144], 1.0
	v_fma_f64 v[143:144], v[143:144], v[145:146], v[143:144]
	v_div_scale_f64 v[145:146], vcc_lo, 1.0, v[126:127], 1.0
	v_mul_f64 v[147:148], v[145:146], v[143:144]
	v_fma_f64 v[128:129], -v[128:129], v[147:148], v[145:146]
	v_div_fmas_f64 v[128:129], v[128:129], v[143:144], v[147:148]
	v_div_fixup_f64 v[126:127], v[128:129], v[126:127], 1.0
	v_mul_f64 v[128:129], v[141:142], -v[126:127]
.LBB60_156:
	s_or_b32 exec_lo, exec_lo, s1
.LBB60_157:
	s_or_b32 exec_lo, exec_lo, s0
	s_mov_b32 s0, exec_lo
	v_cmpx_ne_u32_e64 v140, v134
	s_xor_b32 s0, exec_lo, s0
	s_cbranch_execz .LBB60_163
; %bb.158:
	s_mov_b32 s1, exec_lo
	v_cmpx_eq_u32_e32 7, v140
	s_cbranch_execz .LBB60_162
; %bb.159:
	v_cmp_ne_u32_e32 vcc_lo, 7, v134
	s_xor_b32 s2, s16, -1
	s_and_b32 s3, s2, vcc_lo
	s_and_saveexec_b32 s2, s3
	s_cbranch_execz .LBB60_161
; %bb.160:
	v_ashrrev_i32_e32 v135, 31, v134
	v_lshlrev_b64 v[140:141], 2, v[134:135]
	v_add_co_u32 v140, vcc_lo, v132, v140
	v_add_co_ci_u32_e64 v141, null, v133, v141, vcc_lo
	s_clause 0x1
	global_load_dword v0, v[140:141], off
	global_load_dword v135, v[132:133], off offset:28
	s_waitcnt vmcnt(1)
	global_store_dword v[132:133], v0, off offset:28
	s_waitcnt vmcnt(0)
	global_store_dword v[140:141], v135, off
.LBB60_161:
	s_or_b32 exec_lo, exec_lo, s2
	v_mov_b32_e32 v140, v134
	v_mov_b32_e32 v0, v134
.LBB60_162:
	s_or_b32 exec_lo, exec_lo, s1
.LBB60_163:
	s_andn2_saveexec_b32 s0, s0
	s_cbranch_execz .LBB60_165
; %bb.164:
	v_mov_b32_e32 v140, 7
	ds_write2_b64 v1, v[90:91], v[92:93] offset0:16 offset1:17
	ds_write2_b64 v1, v[86:87], v[88:89] offset0:18 offset1:19
	;; [unrolled: 1-line block ×23, first 2 shown]
.LBB60_165:
	s_or_b32 exec_lo, exec_lo, s0
	s_mov_b32 s0, exec_lo
	s_waitcnt lgkmcnt(0)
	s_waitcnt_vscnt null, 0x0
	s_barrier
	buffer_gl0_inv
	v_cmpx_lt_i32_e32 7, v140
	s_cbranch_execz .LBB60_167
; %bb.166:
	v_mul_f64 v[134:135], v[128:129], v[96:97]
	v_mul_f64 v[96:97], v[126:127], v[96:97]
	v_fma_f64 v[134:135], v[126:127], v[94:95], -v[134:135]
	v_fma_f64 v[96:97], v[128:129], v[94:95], v[96:97]
	ds_read2_b64 v[126:129], v1 offset0:16 offset1:17
	s_waitcnt lgkmcnt(0)
	v_mul_f64 v[94:95], v[128:129], v[96:97]
	v_fma_f64 v[94:95], v[126:127], v[134:135], -v[94:95]
	v_mul_f64 v[126:127], v[126:127], v[96:97]
	v_add_f64 v[90:91], v[90:91], -v[94:95]
	v_fma_f64 v[126:127], v[128:129], v[134:135], v[126:127]
	v_add_f64 v[92:93], v[92:93], -v[126:127]
	ds_read2_b64 v[126:129], v1 offset0:18 offset1:19
	s_waitcnt lgkmcnt(0)
	v_mul_f64 v[94:95], v[128:129], v[96:97]
	v_fma_f64 v[94:95], v[126:127], v[134:135], -v[94:95]
	v_mul_f64 v[126:127], v[126:127], v[96:97]
	v_add_f64 v[86:87], v[86:87], -v[94:95]
	v_fma_f64 v[126:127], v[128:129], v[134:135], v[126:127]
	v_add_f64 v[88:89], v[88:89], -v[126:127]
	;; [unrolled: 8-line block ×22, first 2 shown]
	ds_read2_b64 v[126:129], v1 offset0:60 offset1:61
	s_waitcnt lgkmcnt(0)
	v_mul_f64 v[94:95], v[128:129], v[96:97]
	v_fma_f64 v[94:95], v[126:127], v[134:135], -v[94:95]
	v_mul_f64 v[126:127], v[126:127], v[96:97]
	v_add_f64 v[2:3], v[2:3], -v[94:95]
	v_fma_f64 v[126:127], v[128:129], v[134:135], v[126:127]
	v_mov_b32_e32 v94, v134
	v_mov_b32_e32 v95, v135
	v_add_f64 v[4:5], v[4:5], -v[126:127]
.LBB60_167:
	s_or_b32 exec_lo, exec_lo, s0
	v_lshl_add_u32 v126, v140, 4, v1
	s_barrier
	buffer_gl0_inv
	v_mov_b32_e32 v134, 8
	ds_write2_b64 v126, v[90:91], v[92:93] offset1:1
	s_waitcnt lgkmcnt(0)
	s_barrier
	buffer_gl0_inv
	ds_read2_b64 v[126:129], v1 offset0:16 offset1:17
	s_cmp_lt_i32 s18, 10
	s_cbranch_scc1 .LBB60_170
; %bb.168:
	v_add3_u32 v135, v136, 0, 0x90
	v_mov_b32_e32 v134, 8
	s_mov_b32 s1, 9
	s_inst_prefetch 0x1
	.p2align	6
.LBB60_169:                             ; =>This Inner Loop Header: Depth=1
	s_waitcnt lgkmcnt(0)
	v_cmp_gt_f64_e32 vcc_lo, 0, v[128:129]
	v_cmp_gt_f64_e64 s0, 0, v[126:127]
	ds_read2_b64 v[141:144], v135 offset1:1
	v_xor_b32_e32 v146, 0x80000000, v127
	v_xor_b32_e32 v148, 0x80000000, v129
	v_mov_b32_e32 v145, v126
	v_mov_b32_e32 v147, v128
	v_add_nc_u32_e32 v135, 16, v135
	s_waitcnt lgkmcnt(0)
	v_xor_b32_e32 v150, 0x80000000, v144
	v_cndmask_b32_e64 v146, v127, v146, s0
	v_cndmask_b32_e32 v148, v129, v148, vcc_lo
	v_cmp_gt_f64_e32 vcc_lo, 0, v[143:144]
	v_cmp_gt_f64_e64 s0, 0, v[141:142]
	v_mov_b32_e32 v149, v143
	v_add_f64 v[145:146], v[145:146], v[147:148]
	v_xor_b32_e32 v148, 0x80000000, v142
	v_mov_b32_e32 v147, v141
	v_cndmask_b32_e32 v150, v144, v150, vcc_lo
	v_cndmask_b32_e64 v148, v142, v148, s0
	v_add_f64 v[147:148], v[147:148], v[149:150]
	v_cmp_lt_f64_e32 vcc_lo, v[145:146], v[147:148]
	v_cndmask_b32_e32 v127, v127, v142, vcc_lo
	v_cndmask_b32_e32 v126, v126, v141, vcc_lo
	v_cndmask_b32_e32 v129, v129, v144, vcc_lo
	v_cndmask_b32_e32 v128, v128, v143, vcc_lo
	v_cndmask_b32_e64 v134, v134, s1, vcc_lo
	s_add_i32 s1, s1, 1
	s_cmp_lg_u32 s18, s1
	s_cbranch_scc1 .LBB60_169
.LBB60_170:
	s_inst_prefetch 0x2
	s_waitcnt lgkmcnt(0)
	v_cmp_eq_f64_e32 vcc_lo, 0, v[126:127]
	v_cmp_eq_f64_e64 s0, 0, v[128:129]
	s_and_b32 s0, vcc_lo, s0
	s_and_saveexec_b32 s1, s0
	s_xor_b32 s0, exec_lo, s1
; %bb.171:
	v_cmp_ne_u32_e32 vcc_lo, 0, v139
	v_cndmask_b32_e32 v139, 9, v139, vcc_lo
; %bb.172:
	s_andn2_saveexec_b32 s0, s0
	s_cbranch_execz .LBB60_178
; %bb.173:
	v_cmp_ngt_f64_e64 s1, |v[126:127]|, |v[128:129]|
	s_and_saveexec_b32 s2, s1
	s_xor_b32 s1, exec_lo, s2
	s_cbranch_execz .LBB60_175
; %bb.174:
	v_div_scale_f64 v[141:142], null, v[128:129], v[128:129], v[126:127]
	v_div_scale_f64 v[147:148], vcc_lo, v[126:127], v[128:129], v[126:127]
	v_rcp_f64_e32 v[143:144], v[141:142]
	v_fma_f64 v[145:146], -v[141:142], v[143:144], 1.0
	v_fma_f64 v[143:144], v[143:144], v[145:146], v[143:144]
	v_fma_f64 v[145:146], -v[141:142], v[143:144], 1.0
	v_fma_f64 v[143:144], v[143:144], v[145:146], v[143:144]
	v_mul_f64 v[145:146], v[147:148], v[143:144]
	v_fma_f64 v[141:142], -v[141:142], v[145:146], v[147:148]
	v_div_fmas_f64 v[141:142], v[141:142], v[143:144], v[145:146]
	v_div_fixup_f64 v[141:142], v[141:142], v[128:129], v[126:127]
	v_fma_f64 v[126:127], v[126:127], v[141:142], v[128:129]
	v_div_scale_f64 v[128:129], null, v[126:127], v[126:127], 1.0
	v_rcp_f64_e32 v[143:144], v[128:129]
	v_fma_f64 v[145:146], -v[128:129], v[143:144], 1.0
	v_fma_f64 v[143:144], v[143:144], v[145:146], v[143:144]
	v_fma_f64 v[145:146], -v[128:129], v[143:144], 1.0
	v_fma_f64 v[143:144], v[143:144], v[145:146], v[143:144]
	v_div_scale_f64 v[145:146], vcc_lo, 1.0, v[126:127], 1.0
	v_mul_f64 v[147:148], v[145:146], v[143:144]
	v_fma_f64 v[128:129], -v[128:129], v[147:148], v[145:146]
	v_div_fmas_f64 v[128:129], v[128:129], v[143:144], v[147:148]
	v_div_fixup_f64 v[128:129], v[128:129], v[126:127], 1.0
	v_mul_f64 v[126:127], v[141:142], v[128:129]
	v_xor_b32_e32 v129, 0x80000000, v129
.LBB60_175:
	s_andn2_saveexec_b32 s1, s1
	s_cbranch_execz .LBB60_177
; %bb.176:
	v_div_scale_f64 v[141:142], null, v[126:127], v[126:127], v[128:129]
	v_div_scale_f64 v[147:148], vcc_lo, v[128:129], v[126:127], v[128:129]
	v_rcp_f64_e32 v[143:144], v[141:142]
	v_fma_f64 v[145:146], -v[141:142], v[143:144], 1.0
	v_fma_f64 v[143:144], v[143:144], v[145:146], v[143:144]
	v_fma_f64 v[145:146], -v[141:142], v[143:144], 1.0
	v_fma_f64 v[143:144], v[143:144], v[145:146], v[143:144]
	v_mul_f64 v[145:146], v[147:148], v[143:144]
	v_fma_f64 v[141:142], -v[141:142], v[145:146], v[147:148]
	v_div_fmas_f64 v[141:142], v[141:142], v[143:144], v[145:146]
	v_div_fixup_f64 v[141:142], v[141:142], v[126:127], v[128:129]
	v_fma_f64 v[126:127], v[128:129], v[141:142], v[126:127]
	v_div_scale_f64 v[128:129], null, v[126:127], v[126:127], 1.0
	v_rcp_f64_e32 v[143:144], v[128:129]
	v_fma_f64 v[145:146], -v[128:129], v[143:144], 1.0
	v_fma_f64 v[143:144], v[143:144], v[145:146], v[143:144]
	v_fma_f64 v[145:146], -v[128:129], v[143:144], 1.0
	v_fma_f64 v[143:144], v[143:144], v[145:146], v[143:144]
	v_div_scale_f64 v[145:146], vcc_lo, 1.0, v[126:127], 1.0
	v_mul_f64 v[147:148], v[145:146], v[143:144]
	v_fma_f64 v[128:129], -v[128:129], v[147:148], v[145:146]
	v_div_fmas_f64 v[128:129], v[128:129], v[143:144], v[147:148]
	v_div_fixup_f64 v[126:127], v[128:129], v[126:127], 1.0
	v_mul_f64 v[128:129], v[141:142], -v[126:127]
.LBB60_177:
	s_or_b32 exec_lo, exec_lo, s1
.LBB60_178:
	s_or_b32 exec_lo, exec_lo, s0
	s_mov_b32 s0, exec_lo
	v_cmpx_ne_u32_e64 v140, v134
	s_xor_b32 s0, exec_lo, s0
	s_cbranch_execz .LBB60_184
; %bb.179:
	s_mov_b32 s1, exec_lo
	v_cmpx_eq_u32_e32 8, v140
	s_cbranch_execz .LBB60_183
; %bb.180:
	v_cmp_ne_u32_e32 vcc_lo, 8, v134
	s_xor_b32 s2, s16, -1
	s_and_b32 s3, s2, vcc_lo
	s_and_saveexec_b32 s2, s3
	s_cbranch_execz .LBB60_182
; %bb.181:
	v_ashrrev_i32_e32 v135, 31, v134
	v_lshlrev_b64 v[140:141], 2, v[134:135]
	v_add_co_u32 v140, vcc_lo, v132, v140
	v_add_co_ci_u32_e64 v141, null, v133, v141, vcc_lo
	s_clause 0x1
	global_load_dword v0, v[140:141], off
	global_load_dword v135, v[132:133], off offset:32
	s_waitcnt vmcnt(1)
	global_store_dword v[132:133], v0, off offset:32
	s_waitcnt vmcnt(0)
	global_store_dword v[140:141], v135, off
.LBB60_182:
	s_or_b32 exec_lo, exec_lo, s2
	v_mov_b32_e32 v140, v134
	v_mov_b32_e32 v0, v134
.LBB60_183:
	s_or_b32 exec_lo, exec_lo, s1
.LBB60_184:
	s_andn2_saveexec_b32 s0, s0
	s_cbranch_execz .LBB60_186
; %bb.185:
	v_mov_b32_e32 v140, 8
	ds_write2_b64 v1, v[86:87], v[88:89] offset0:18 offset1:19
	ds_write2_b64 v1, v[82:83], v[84:85] offset0:20 offset1:21
	ds_write2_b64 v1, v[78:79], v[80:81] offset0:22 offset1:23
	ds_write2_b64 v1, v[74:75], v[76:77] offset0:24 offset1:25
	ds_write2_b64 v1, v[70:71], v[72:73] offset0:26 offset1:27
	ds_write2_b64 v1, v[66:67], v[68:69] offset0:28 offset1:29
	ds_write2_b64 v1, v[62:63], v[64:65] offset0:30 offset1:31
	ds_write2_b64 v1, v[58:59], v[60:61] offset0:32 offset1:33
	ds_write2_b64 v1, v[54:55], v[56:57] offset0:34 offset1:35
	ds_write2_b64 v1, v[50:51], v[52:53] offset0:36 offset1:37
	ds_write2_b64 v1, v[46:47], v[48:49] offset0:38 offset1:39
	ds_write2_b64 v1, v[42:43], v[44:45] offset0:40 offset1:41
	ds_write2_b64 v1, v[38:39], v[40:41] offset0:42 offset1:43
	ds_write2_b64 v1, v[34:35], v[36:37] offset0:44 offset1:45
	ds_write2_b64 v1, v[30:31], v[32:33] offset0:46 offset1:47
	ds_write2_b64 v1, v[26:27], v[28:29] offset0:48 offset1:49
	ds_write2_b64 v1, v[22:23], v[24:25] offset0:50 offset1:51
	ds_write2_b64 v1, v[18:19], v[20:21] offset0:52 offset1:53
	ds_write2_b64 v1, v[14:15], v[16:17] offset0:54 offset1:55
	ds_write2_b64 v1, v[10:11], v[12:13] offset0:56 offset1:57
	ds_write2_b64 v1, v[6:7], v[8:9] offset0:58 offset1:59
	ds_write2_b64 v1, v[2:3], v[4:5] offset0:60 offset1:61
.LBB60_186:
	s_or_b32 exec_lo, exec_lo, s0
	s_mov_b32 s0, exec_lo
	s_waitcnt lgkmcnt(0)
	s_waitcnt_vscnt null, 0x0
	s_barrier
	buffer_gl0_inv
	v_cmpx_lt_i32_e32 8, v140
	s_cbranch_execz .LBB60_188
; %bb.187:
	v_mul_f64 v[134:135], v[128:129], v[92:93]
	v_mul_f64 v[92:93], v[126:127], v[92:93]
	v_fma_f64 v[134:135], v[126:127], v[90:91], -v[134:135]
	v_fma_f64 v[92:93], v[128:129], v[90:91], v[92:93]
	ds_read2_b64 v[126:129], v1 offset0:18 offset1:19
	s_waitcnt lgkmcnt(0)
	v_mul_f64 v[90:91], v[128:129], v[92:93]
	v_fma_f64 v[90:91], v[126:127], v[134:135], -v[90:91]
	v_mul_f64 v[126:127], v[126:127], v[92:93]
	v_add_f64 v[86:87], v[86:87], -v[90:91]
	v_fma_f64 v[126:127], v[128:129], v[134:135], v[126:127]
	v_add_f64 v[88:89], v[88:89], -v[126:127]
	ds_read2_b64 v[126:129], v1 offset0:20 offset1:21
	s_waitcnt lgkmcnt(0)
	v_mul_f64 v[90:91], v[128:129], v[92:93]
	v_fma_f64 v[90:91], v[126:127], v[134:135], -v[90:91]
	v_mul_f64 v[126:127], v[126:127], v[92:93]
	v_add_f64 v[82:83], v[82:83], -v[90:91]
	v_fma_f64 v[126:127], v[128:129], v[134:135], v[126:127]
	v_add_f64 v[84:85], v[84:85], -v[126:127]
	;; [unrolled: 8-line block ×21, first 2 shown]
	ds_read2_b64 v[126:129], v1 offset0:60 offset1:61
	s_waitcnt lgkmcnt(0)
	v_mul_f64 v[90:91], v[128:129], v[92:93]
	v_fma_f64 v[90:91], v[126:127], v[134:135], -v[90:91]
	v_mul_f64 v[126:127], v[126:127], v[92:93]
	v_add_f64 v[2:3], v[2:3], -v[90:91]
	v_fma_f64 v[126:127], v[128:129], v[134:135], v[126:127]
	v_mov_b32_e32 v90, v134
	v_mov_b32_e32 v91, v135
	v_add_f64 v[4:5], v[4:5], -v[126:127]
.LBB60_188:
	s_or_b32 exec_lo, exec_lo, s0
	v_lshl_add_u32 v126, v140, 4, v1
	s_barrier
	buffer_gl0_inv
	v_mov_b32_e32 v134, 9
	ds_write2_b64 v126, v[86:87], v[88:89] offset1:1
	s_waitcnt lgkmcnt(0)
	s_barrier
	buffer_gl0_inv
	ds_read2_b64 v[126:129], v1 offset0:18 offset1:19
	s_cmp_lt_i32 s18, 11
	s_cbranch_scc1 .LBB60_191
; %bb.189:
	v_add3_u32 v135, v136, 0, 0xa0
	v_mov_b32_e32 v134, 9
	s_mov_b32 s1, 10
	s_inst_prefetch 0x1
	.p2align	6
.LBB60_190:                             ; =>This Inner Loop Header: Depth=1
	s_waitcnt lgkmcnt(0)
	v_cmp_gt_f64_e32 vcc_lo, 0, v[128:129]
	v_cmp_gt_f64_e64 s0, 0, v[126:127]
	ds_read2_b64 v[141:144], v135 offset1:1
	v_xor_b32_e32 v146, 0x80000000, v127
	v_xor_b32_e32 v148, 0x80000000, v129
	v_mov_b32_e32 v145, v126
	v_mov_b32_e32 v147, v128
	v_add_nc_u32_e32 v135, 16, v135
	s_waitcnt lgkmcnt(0)
	v_xor_b32_e32 v150, 0x80000000, v144
	v_cndmask_b32_e64 v146, v127, v146, s0
	v_cndmask_b32_e32 v148, v129, v148, vcc_lo
	v_cmp_gt_f64_e32 vcc_lo, 0, v[143:144]
	v_cmp_gt_f64_e64 s0, 0, v[141:142]
	v_mov_b32_e32 v149, v143
	v_add_f64 v[145:146], v[145:146], v[147:148]
	v_xor_b32_e32 v148, 0x80000000, v142
	v_mov_b32_e32 v147, v141
	v_cndmask_b32_e32 v150, v144, v150, vcc_lo
	v_cndmask_b32_e64 v148, v142, v148, s0
	v_add_f64 v[147:148], v[147:148], v[149:150]
	v_cmp_lt_f64_e32 vcc_lo, v[145:146], v[147:148]
	v_cndmask_b32_e32 v127, v127, v142, vcc_lo
	v_cndmask_b32_e32 v126, v126, v141, vcc_lo
	;; [unrolled: 1-line block ×4, first 2 shown]
	v_cndmask_b32_e64 v134, v134, s1, vcc_lo
	s_add_i32 s1, s1, 1
	s_cmp_lg_u32 s18, s1
	s_cbranch_scc1 .LBB60_190
.LBB60_191:
	s_inst_prefetch 0x2
	s_waitcnt lgkmcnt(0)
	v_cmp_eq_f64_e32 vcc_lo, 0, v[126:127]
	v_cmp_eq_f64_e64 s0, 0, v[128:129]
	s_and_b32 s0, vcc_lo, s0
	s_and_saveexec_b32 s1, s0
	s_xor_b32 s0, exec_lo, s1
; %bb.192:
	v_cmp_ne_u32_e32 vcc_lo, 0, v139
	v_cndmask_b32_e32 v139, 10, v139, vcc_lo
; %bb.193:
	s_andn2_saveexec_b32 s0, s0
	s_cbranch_execz .LBB60_199
; %bb.194:
	v_cmp_ngt_f64_e64 s1, |v[126:127]|, |v[128:129]|
	s_and_saveexec_b32 s2, s1
	s_xor_b32 s1, exec_lo, s2
	s_cbranch_execz .LBB60_196
; %bb.195:
	v_div_scale_f64 v[141:142], null, v[128:129], v[128:129], v[126:127]
	v_div_scale_f64 v[147:148], vcc_lo, v[126:127], v[128:129], v[126:127]
	v_rcp_f64_e32 v[143:144], v[141:142]
	v_fma_f64 v[145:146], -v[141:142], v[143:144], 1.0
	v_fma_f64 v[143:144], v[143:144], v[145:146], v[143:144]
	v_fma_f64 v[145:146], -v[141:142], v[143:144], 1.0
	v_fma_f64 v[143:144], v[143:144], v[145:146], v[143:144]
	v_mul_f64 v[145:146], v[147:148], v[143:144]
	v_fma_f64 v[141:142], -v[141:142], v[145:146], v[147:148]
	v_div_fmas_f64 v[141:142], v[141:142], v[143:144], v[145:146]
	v_div_fixup_f64 v[141:142], v[141:142], v[128:129], v[126:127]
	v_fma_f64 v[126:127], v[126:127], v[141:142], v[128:129]
	v_div_scale_f64 v[128:129], null, v[126:127], v[126:127], 1.0
	v_rcp_f64_e32 v[143:144], v[128:129]
	v_fma_f64 v[145:146], -v[128:129], v[143:144], 1.0
	v_fma_f64 v[143:144], v[143:144], v[145:146], v[143:144]
	v_fma_f64 v[145:146], -v[128:129], v[143:144], 1.0
	v_fma_f64 v[143:144], v[143:144], v[145:146], v[143:144]
	v_div_scale_f64 v[145:146], vcc_lo, 1.0, v[126:127], 1.0
	v_mul_f64 v[147:148], v[145:146], v[143:144]
	v_fma_f64 v[128:129], -v[128:129], v[147:148], v[145:146]
	v_div_fmas_f64 v[128:129], v[128:129], v[143:144], v[147:148]
	v_div_fixup_f64 v[128:129], v[128:129], v[126:127], 1.0
	v_mul_f64 v[126:127], v[141:142], v[128:129]
	v_xor_b32_e32 v129, 0x80000000, v129
.LBB60_196:
	s_andn2_saveexec_b32 s1, s1
	s_cbranch_execz .LBB60_198
; %bb.197:
	v_div_scale_f64 v[141:142], null, v[126:127], v[126:127], v[128:129]
	v_div_scale_f64 v[147:148], vcc_lo, v[128:129], v[126:127], v[128:129]
	v_rcp_f64_e32 v[143:144], v[141:142]
	v_fma_f64 v[145:146], -v[141:142], v[143:144], 1.0
	v_fma_f64 v[143:144], v[143:144], v[145:146], v[143:144]
	v_fma_f64 v[145:146], -v[141:142], v[143:144], 1.0
	v_fma_f64 v[143:144], v[143:144], v[145:146], v[143:144]
	v_mul_f64 v[145:146], v[147:148], v[143:144]
	v_fma_f64 v[141:142], -v[141:142], v[145:146], v[147:148]
	v_div_fmas_f64 v[141:142], v[141:142], v[143:144], v[145:146]
	v_div_fixup_f64 v[141:142], v[141:142], v[126:127], v[128:129]
	v_fma_f64 v[126:127], v[128:129], v[141:142], v[126:127]
	v_div_scale_f64 v[128:129], null, v[126:127], v[126:127], 1.0
	v_rcp_f64_e32 v[143:144], v[128:129]
	v_fma_f64 v[145:146], -v[128:129], v[143:144], 1.0
	v_fma_f64 v[143:144], v[143:144], v[145:146], v[143:144]
	v_fma_f64 v[145:146], -v[128:129], v[143:144], 1.0
	v_fma_f64 v[143:144], v[143:144], v[145:146], v[143:144]
	v_div_scale_f64 v[145:146], vcc_lo, 1.0, v[126:127], 1.0
	v_mul_f64 v[147:148], v[145:146], v[143:144]
	v_fma_f64 v[128:129], -v[128:129], v[147:148], v[145:146]
	v_div_fmas_f64 v[128:129], v[128:129], v[143:144], v[147:148]
	v_div_fixup_f64 v[126:127], v[128:129], v[126:127], 1.0
	v_mul_f64 v[128:129], v[141:142], -v[126:127]
.LBB60_198:
	s_or_b32 exec_lo, exec_lo, s1
.LBB60_199:
	s_or_b32 exec_lo, exec_lo, s0
	s_mov_b32 s0, exec_lo
	v_cmpx_ne_u32_e64 v140, v134
	s_xor_b32 s0, exec_lo, s0
	s_cbranch_execz .LBB60_205
; %bb.200:
	s_mov_b32 s1, exec_lo
	v_cmpx_eq_u32_e32 9, v140
	s_cbranch_execz .LBB60_204
; %bb.201:
	v_cmp_ne_u32_e32 vcc_lo, 9, v134
	s_xor_b32 s2, s16, -1
	s_and_b32 s3, s2, vcc_lo
	s_and_saveexec_b32 s2, s3
	s_cbranch_execz .LBB60_203
; %bb.202:
	v_ashrrev_i32_e32 v135, 31, v134
	v_lshlrev_b64 v[140:141], 2, v[134:135]
	v_add_co_u32 v140, vcc_lo, v132, v140
	v_add_co_ci_u32_e64 v141, null, v133, v141, vcc_lo
	s_clause 0x1
	global_load_dword v0, v[140:141], off
	global_load_dword v135, v[132:133], off offset:36
	s_waitcnt vmcnt(1)
	global_store_dword v[132:133], v0, off offset:36
	s_waitcnt vmcnt(0)
	global_store_dword v[140:141], v135, off
.LBB60_203:
	s_or_b32 exec_lo, exec_lo, s2
	v_mov_b32_e32 v140, v134
	v_mov_b32_e32 v0, v134
.LBB60_204:
	s_or_b32 exec_lo, exec_lo, s1
.LBB60_205:
	s_andn2_saveexec_b32 s0, s0
	s_cbranch_execz .LBB60_207
; %bb.206:
	v_mov_b32_e32 v140, 9
	ds_write2_b64 v1, v[82:83], v[84:85] offset0:20 offset1:21
	ds_write2_b64 v1, v[78:79], v[80:81] offset0:22 offset1:23
	;; [unrolled: 1-line block ×21, first 2 shown]
.LBB60_207:
	s_or_b32 exec_lo, exec_lo, s0
	s_mov_b32 s0, exec_lo
	s_waitcnt lgkmcnt(0)
	s_waitcnt_vscnt null, 0x0
	s_barrier
	buffer_gl0_inv
	v_cmpx_lt_i32_e32 9, v140
	s_cbranch_execz .LBB60_209
; %bb.208:
	v_mul_f64 v[134:135], v[128:129], v[88:89]
	v_mul_f64 v[88:89], v[126:127], v[88:89]
	v_fma_f64 v[134:135], v[126:127], v[86:87], -v[134:135]
	v_fma_f64 v[88:89], v[128:129], v[86:87], v[88:89]
	ds_read2_b64 v[126:129], v1 offset0:20 offset1:21
	s_waitcnt lgkmcnt(0)
	v_mul_f64 v[86:87], v[128:129], v[88:89]
	v_fma_f64 v[86:87], v[126:127], v[134:135], -v[86:87]
	v_mul_f64 v[126:127], v[126:127], v[88:89]
	v_add_f64 v[82:83], v[82:83], -v[86:87]
	v_fma_f64 v[126:127], v[128:129], v[134:135], v[126:127]
	v_add_f64 v[84:85], v[84:85], -v[126:127]
	ds_read2_b64 v[126:129], v1 offset0:22 offset1:23
	s_waitcnt lgkmcnt(0)
	v_mul_f64 v[86:87], v[128:129], v[88:89]
	v_fma_f64 v[86:87], v[126:127], v[134:135], -v[86:87]
	v_mul_f64 v[126:127], v[126:127], v[88:89]
	v_add_f64 v[78:79], v[78:79], -v[86:87]
	v_fma_f64 v[126:127], v[128:129], v[134:135], v[126:127]
	v_add_f64 v[80:81], v[80:81], -v[126:127]
	ds_read2_b64 v[126:129], v1 offset0:24 offset1:25
	s_waitcnt lgkmcnt(0)
	v_mul_f64 v[86:87], v[128:129], v[88:89]
	v_fma_f64 v[86:87], v[126:127], v[134:135], -v[86:87]
	v_mul_f64 v[126:127], v[126:127], v[88:89]
	v_add_f64 v[74:75], v[74:75], -v[86:87]
	v_fma_f64 v[126:127], v[128:129], v[134:135], v[126:127]
	v_add_f64 v[76:77], v[76:77], -v[126:127]
	ds_read2_b64 v[126:129], v1 offset0:26 offset1:27
	s_waitcnt lgkmcnt(0)
	v_mul_f64 v[86:87], v[128:129], v[88:89]
	v_fma_f64 v[86:87], v[126:127], v[134:135], -v[86:87]
	v_mul_f64 v[126:127], v[126:127], v[88:89]
	v_add_f64 v[70:71], v[70:71], -v[86:87]
	v_fma_f64 v[126:127], v[128:129], v[134:135], v[126:127]
	v_add_f64 v[72:73], v[72:73], -v[126:127]
	ds_read2_b64 v[126:129], v1 offset0:28 offset1:29
	s_waitcnt lgkmcnt(0)
	v_mul_f64 v[86:87], v[128:129], v[88:89]
	v_fma_f64 v[86:87], v[126:127], v[134:135], -v[86:87]
	v_mul_f64 v[126:127], v[126:127], v[88:89]
	v_add_f64 v[66:67], v[66:67], -v[86:87]
	v_fma_f64 v[126:127], v[128:129], v[134:135], v[126:127]
	v_add_f64 v[68:69], v[68:69], -v[126:127]
	ds_read2_b64 v[126:129], v1 offset0:30 offset1:31
	s_waitcnt lgkmcnt(0)
	v_mul_f64 v[86:87], v[128:129], v[88:89]
	v_fma_f64 v[86:87], v[126:127], v[134:135], -v[86:87]
	v_mul_f64 v[126:127], v[126:127], v[88:89]
	v_add_f64 v[62:63], v[62:63], -v[86:87]
	v_fma_f64 v[126:127], v[128:129], v[134:135], v[126:127]
	v_add_f64 v[64:65], v[64:65], -v[126:127]
	ds_read2_b64 v[126:129], v1 offset0:32 offset1:33
	s_waitcnt lgkmcnt(0)
	v_mul_f64 v[86:87], v[128:129], v[88:89]
	v_fma_f64 v[86:87], v[126:127], v[134:135], -v[86:87]
	v_mul_f64 v[126:127], v[126:127], v[88:89]
	v_add_f64 v[58:59], v[58:59], -v[86:87]
	v_fma_f64 v[126:127], v[128:129], v[134:135], v[126:127]
	v_add_f64 v[60:61], v[60:61], -v[126:127]
	ds_read2_b64 v[126:129], v1 offset0:34 offset1:35
	s_waitcnt lgkmcnt(0)
	v_mul_f64 v[86:87], v[128:129], v[88:89]
	v_fma_f64 v[86:87], v[126:127], v[134:135], -v[86:87]
	v_mul_f64 v[126:127], v[126:127], v[88:89]
	v_add_f64 v[54:55], v[54:55], -v[86:87]
	v_fma_f64 v[126:127], v[128:129], v[134:135], v[126:127]
	v_add_f64 v[56:57], v[56:57], -v[126:127]
	ds_read2_b64 v[126:129], v1 offset0:36 offset1:37
	s_waitcnt lgkmcnt(0)
	v_mul_f64 v[86:87], v[128:129], v[88:89]
	v_fma_f64 v[86:87], v[126:127], v[134:135], -v[86:87]
	v_mul_f64 v[126:127], v[126:127], v[88:89]
	v_add_f64 v[50:51], v[50:51], -v[86:87]
	v_fma_f64 v[126:127], v[128:129], v[134:135], v[126:127]
	v_add_f64 v[52:53], v[52:53], -v[126:127]
	ds_read2_b64 v[126:129], v1 offset0:38 offset1:39
	s_waitcnt lgkmcnt(0)
	v_mul_f64 v[86:87], v[128:129], v[88:89]
	v_fma_f64 v[86:87], v[126:127], v[134:135], -v[86:87]
	v_mul_f64 v[126:127], v[126:127], v[88:89]
	v_add_f64 v[46:47], v[46:47], -v[86:87]
	v_fma_f64 v[126:127], v[128:129], v[134:135], v[126:127]
	v_add_f64 v[48:49], v[48:49], -v[126:127]
	ds_read2_b64 v[126:129], v1 offset0:40 offset1:41
	s_waitcnt lgkmcnt(0)
	v_mul_f64 v[86:87], v[128:129], v[88:89]
	v_fma_f64 v[86:87], v[126:127], v[134:135], -v[86:87]
	v_mul_f64 v[126:127], v[126:127], v[88:89]
	v_add_f64 v[42:43], v[42:43], -v[86:87]
	v_fma_f64 v[126:127], v[128:129], v[134:135], v[126:127]
	v_add_f64 v[44:45], v[44:45], -v[126:127]
	ds_read2_b64 v[126:129], v1 offset0:42 offset1:43
	s_waitcnt lgkmcnt(0)
	v_mul_f64 v[86:87], v[128:129], v[88:89]
	v_fma_f64 v[86:87], v[126:127], v[134:135], -v[86:87]
	v_mul_f64 v[126:127], v[126:127], v[88:89]
	v_add_f64 v[38:39], v[38:39], -v[86:87]
	v_fma_f64 v[126:127], v[128:129], v[134:135], v[126:127]
	v_add_f64 v[40:41], v[40:41], -v[126:127]
	ds_read2_b64 v[126:129], v1 offset0:44 offset1:45
	s_waitcnt lgkmcnt(0)
	v_mul_f64 v[86:87], v[128:129], v[88:89]
	v_fma_f64 v[86:87], v[126:127], v[134:135], -v[86:87]
	v_mul_f64 v[126:127], v[126:127], v[88:89]
	v_add_f64 v[34:35], v[34:35], -v[86:87]
	v_fma_f64 v[126:127], v[128:129], v[134:135], v[126:127]
	v_add_f64 v[36:37], v[36:37], -v[126:127]
	ds_read2_b64 v[126:129], v1 offset0:46 offset1:47
	s_waitcnt lgkmcnt(0)
	v_mul_f64 v[86:87], v[128:129], v[88:89]
	v_fma_f64 v[86:87], v[126:127], v[134:135], -v[86:87]
	v_mul_f64 v[126:127], v[126:127], v[88:89]
	v_add_f64 v[30:31], v[30:31], -v[86:87]
	v_fma_f64 v[126:127], v[128:129], v[134:135], v[126:127]
	v_add_f64 v[32:33], v[32:33], -v[126:127]
	ds_read2_b64 v[126:129], v1 offset0:48 offset1:49
	s_waitcnt lgkmcnt(0)
	v_mul_f64 v[86:87], v[128:129], v[88:89]
	v_fma_f64 v[86:87], v[126:127], v[134:135], -v[86:87]
	v_mul_f64 v[126:127], v[126:127], v[88:89]
	v_add_f64 v[26:27], v[26:27], -v[86:87]
	v_fma_f64 v[126:127], v[128:129], v[134:135], v[126:127]
	v_add_f64 v[28:29], v[28:29], -v[126:127]
	ds_read2_b64 v[126:129], v1 offset0:50 offset1:51
	s_waitcnt lgkmcnt(0)
	v_mul_f64 v[86:87], v[128:129], v[88:89]
	v_fma_f64 v[86:87], v[126:127], v[134:135], -v[86:87]
	v_mul_f64 v[126:127], v[126:127], v[88:89]
	v_add_f64 v[22:23], v[22:23], -v[86:87]
	v_fma_f64 v[126:127], v[128:129], v[134:135], v[126:127]
	v_add_f64 v[24:25], v[24:25], -v[126:127]
	ds_read2_b64 v[126:129], v1 offset0:52 offset1:53
	s_waitcnt lgkmcnt(0)
	v_mul_f64 v[86:87], v[128:129], v[88:89]
	v_fma_f64 v[86:87], v[126:127], v[134:135], -v[86:87]
	v_mul_f64 v[126:127], v[126:127], v[88:89]
	v_add_f64 v[18:19], v[18:19], -v[86:87]
	v_fma_f64 v[126:127], v[128:129], v[134:135], v[126:127]
	v_add_f64 v[20:21], v[20:21], -v[126:127]
	ds_read2_b64 v[126:129], v1 offset0:54 offset1:55
	s_waitcnt lgkmcnt(0)
	v_mul_f64 v[86:87], v[128:129], v[88:89]
	v_fma_f64 v[86:87], v[126:127], v[134:135], -v[86:87]
	v_mul_f64 v[126:127], v[126:127], v[88:89]
	v_add_f64 v[14:15], v[14:15], -v[86:87]
	v_fma_f64 v[126:127], v[128:129], v[134:135], v[126:127]
	v_add_f64 v[16:17], v[16:17], -v[126:127]
	ds_read2_b64 v[126:129], v1 offset0:56 offset1:57
	s_waitcnt lgkmcnt(0)
	v_mul_f64 v[86:87], v[128:129], v[88:89]
	v_fma_f64 v[86:87], v[126:127], v[134:135], -v[86:87]
	v_mul_f64 v[126:127], v[126:127], v[88:89]
	v_add_f64 v[10:11], v[10:11], -v[86:87]
	v_fma_f64 v[126:127], v[128:129], v[134:135], v[126:127]
	v_add_f64 v[12:13], v[12:13], -v[126:127]
	ds_read2_b64 v[126:129], v1 offset0:58 offset1:59
	s_waitcnt lgkmcnt(0)
	v_mul_f64 v[86:87], v[128:129], v[88:89]
	v_fma_f64 v[86:87], v[126:127], v[134:135], -v[86:87]
	v_mul_f64 v[126:127], v[126:127], v[88:89]
	v_add_f64 v[6:7], v[6:7], -v[86:87]
	v_fma_f64 v[126:127], v[128:129], v[134:135], v[126:127]
	v_add_f64 v[8:9], v[8:9], -v[126:127]
	ds_read2_b64 v[126:129], v1 offset0:60 offset1:61
	s_waitcnt lgkmcnt(0)
	v_mul_f64 v[86:87], v[128:129], v[88:89]
	v_fma_f64 v[86:87], v[126:127], v[134:135], -v[86:87]
	v_mul_f64 v[126:127], v[126:127], v[88:89]
	v_add_f64 v[2:3], v[2:3], -v[86:87]
	v_fma_f64 v[126:127], v[128:129], v[134:135], v[126:127]
	v_mov_b32_e32 v86, v134
	v_mov_b32_e32 v87, v135
	v_add_f64 v[4:5], v[4:5], -v[126:127]
.LBB60_209:
	s_or_b32 exec_lo, exec_lo, s0
	v_lshl_add_u32 v126, v140, 4, v1
	s_barrier
	buffer_gl0_inv
	v_mov_b32_e32 v134, 10
	ds_write2_b64 v126, v[82:83], v[84:85] offset1:1
	s_waitcnt lgkmcnt(0)
	s_barrier
	buffer_gl0_inv
	ds_read2_b64 v[126:129], v1 offset0:20 offset1:21
	s_cmp_lt_i32 s18, 12
	s_cbranch_scc1 .LBB60_212
; %bb.210:
	v_add3_u32 v135, v136, 0, 0xb0
	v_mov_b32_e32 v134, 10
	s_mov_b32 s1, 11
	s_inst_prefetch 0x1
	.p2align	6
.LBB60_211:                             ; =>This Inner Loop Header: Depth=1
	s_waitcnt lgkmcnt(0)
	v_cmp_gt_f64_e32 vcc_lo, 0, v[128:129]
	v_cmp_gt_f64_e64 s0, 0, v[126:127]
	ds_read2_b64 v[141:144], v135 offset1:1
	v_xor_b32_e32 v146, 0x80000000, v127
	v_xor_b32_e32 v148, 0x80000000, v129
	v_mov_b32_e32 v145, v126
	v_mov_b32_e32 v147, v128
	v_add_nc_u32_e32 v135, 16, v135
	s_waitcnt lgkmcnt(0)
	v_xor_b32_e32 v150, 0x80000000, v144
	v_cndmask_b32_e64 v146, v127, v146, s0
	v_cndmask_b32_e32 v148, v129, v148, vcc_lo
	v_cmp_gt_f64_e32 vcc_lo, 0, v[143:144]
	v_cmp_gt_f64_e64 s0, 0, v[141:142]
	v_mov_b32_e32 v149, v143
	v_add_f64 v[145:146], v[145:146], v[147:148]
	v_xor_b32_e32 v148, 0x80000000, v142
	v_mov_b32_e32 v147, v141
	v_cndmask_b32_e32 v150, v144, v150, vcc_lo
	v_cndmask_b32_e64 v148, v142, v148, s0
	v_add_f64 v[147:148], v[147:148], v[149:150]
	v_cmp_lt_f64_e32 vcc_lo, v[145:146], v[147:148]
	v_cndmask_b32_e32 v127, v127, v142, vcc_lo
	v_cndmask_b32_e32 v126, v126, v141, vcc_lo
	;; [unrolled: 1-line block ×4, first 2 shown]
	v_cndmask_b32_e64 v134, v134, s1, vcc_lo
	s_add_i32 s1, s1, 1
	s_cmp_lg_u32 s18, s1
	s_cbranch_scc1 .LBB60_211
.LBB60_212:
	s_inst_prefetch 0x2
	s_waitcnt lgkmcnt(0)
	v_cmp_eq_f64_e32 vcc_lo, 0, v[126:127]
	v_cmp_eq_f64_e64 s0, 0, v[128:129]
	s_and_b32 s0, vcc_lo, s0
	s_and_saveexec_b32 s1, s0
	s_xor_b32 s0, exec_lo, s1
; %bb.213:
	v_cmp_ne_u32_e32 vcc_lo, 0, v139
	v_cndmask_b32_e32 v139, 11, v139, vcc_lo
; %bb.214:
	s_andn2_saveexec_b32 s0, s0
	s_cbranch_execz .LBB60_220
; %bb.215:
	v_cmp_ngt_f64_e64 s1, |v[126:127]|, |v[128:129]|
	s_and_saveexec_b32 s2, s1
	s_xor_b32 s1, exec_lo, s2
	s_cbranch_execz .LBB60_217
; %bb.216:
	v_div_scale_f64 v[141:142], null, v[128:129], v[128:129], v[126:127]
	v_div_scale_f64 v[147:148], vcc_lo, v[126:127], v[128:129], v[126:127]
	v_rcp_f64_e32 v[143:144], v[141:142]
	v_fma_f64 v[145:146], -v[141:142], v[143:144], 1.0
	v_fma_f64 v[143:144], v[143:144], v[145:146], v[143:144]
	v_fma_f64 v[145:146], -v[141:142], v[143:144], 1.0
	v_fma_f64 v[143:144], v[143:144], v[145:146], v[143:144]
	v_mul_f64 v[145:146], v[147:148], v[143:144]
	v_fma_f64 v[141:142], -v[141:142], v[145:146], v[147:148]
	v_div_fmas_f64 v[141:142], v[141:142], v[143:144], v[145:146]
	v_div_fixup_f64 v[141:142], v[141:142], v[128:129], v[126:127]
	v_fma_f64 v[126:127], v[126:127], v[141:142], v[128:129]
	v_div_scale_f64 v[128:129], null, v[126:127], v[126:127], 1.0
	v_rcp_f64_e32 v[143:144], v[128:129]
	v_fma_f64 v[145:146], -v[128:129], v[143:144], 1.0
	v_fma_f64 v[143:144], v[143:144], v[145:146], v[143:144]
	v_fma_f64 v[145:146], -v[128:129], v[143:144], 1.0
	v_fma_f64 v[143:144], v[143:144], v[145:146], v[143:144]
	v_div_scale_f64 v[145:146], vcc_lo, 1.0, v[126:127], 1.0
	v_mul_f64 v[147:148], v[145:146], v[143:144]
	v_fma_f64 v[128:129], -v[128:129], v[147:148], v[145:146]
	v_div_fmas_f64 v[128:129], v[128:129], v[143:144], v[147:148]
	v_div_fixup_f64 v[128:129], v[128:129], v[126:127], 1.0
	v_mul_f64 v[126:127], v[141:142], v[128:129]
	v_xor_b32_e32 v129, 0x80000000, v129
.LBB60_217:
	s_andn2_saveexec_b32 s1, s1
	s_cbranch_execz .LBB60_219
; %bb.218:
	v_div_scale_f64 v[141:142], null, v[126:127], v[126:127], v[128:129]
	v_div_scale_f64 v[147:148], vcc_lo, v[128:129], v[126:127], v[128:129]
	v_rcp_f64_e32 v[143:144], v[141:142]
	v_fma_f64 v[145:146], -v[141:142], v[143:144], 1.0
	v_fma_f64 v[143:144], v[143:144], v[145:146], v[143:144]
	v_fma_f64 v[145:146], -v[141:142], v[143:144], 1.0
	v_fma_f64 v[143:144], v[143:144], v[145:146], v[143:144]
	v_mul_f64 v[145:146], v[147:148], v[143:144]
	v_fma_f64 v[141:142], -v[141:142], v[145:146], v[147:148]
	v_div_fmas_f64 v[141:142], v[141:142], v[143:144], v[145:146]
	v_div_fixup_f64 v[141:142], v[141:142], v[126:127], v[128:129]
	v_fma_f64 v[126:127], v[128:129], v[141:142], v[126:127]
	v_div_scale_f64 v[128:129], null, v[126:127], v[126:127], 1.0
	v_rcp_f64_e32 v[143:144], v[128:129]
	v_fma_f64 v[145:146], -v[128:129], v[143:144], 1.0
	v_fma_f64 v[143:144], v[143:144], v[145:146], v[143:144]
	v_fma_f64 v[145:146], -v[128:129], v[143:144], 1.0
	v_fma_f64 v[143:144], v[143:144], v[145:146], v[143:144]
	v_div_scale_f64 v[145:146], vcc_lo, 1.0, v[126:127], 1.0
	v_mul_f64 v[147:148], v[145:146], v[143:144]
	v_fma_f64 v[128:129], -v[128:129], v[147:148], v[145:146]
	v_div_fmas_f64 v[128:129], v[128:129], v[143:144], v[147:148]
	v_div_fixup_f64 v[126:127], v[128:129], v[126:127], 1.0
	v_mul_f64 v[128:129], v[141:142], -v[126:127]
.LBB60_219:
	s_or_b32 exec_lo, exec_lo, s1
.LBB60_220:
	s_or_b32 exec_lo, exec_lo, s0
	s_mov_b32 s0, exec_lo
	v_cmpx_ne_u32_e64 v140, v134
	s_xor_b32 s0, exec_lo, s0
	s_cbranch_execz .LBB60_226
; %bb.221:
	s_mov_b32 s1, exec_lo
	v_cmpx_eq_u32_e32 10, v140
	s_cbranch_execz .LBB60_225
; %bb.222:
	v_cmp_ne_u32_e32 vcc_lo, 10, v134
	s_xor_b32 s2, s16, -1
	s_and_b32 s3, s2, vcc_lo
	s_and_saveexec_b32 s2, s3
	s_cbranch_execz .LBB60_224
; %bb.223:
	v_ashrrev_i32_e32 v135, 31, v134
	v_lshlrev_b64 v[140:141], 2, v[134:135]
	v_add_co_u32 v140, vcc_lo, v132, v140
	v_add_co_ci_u32_e64 v141, null, v133, v141, vcc_lo
	s_clause 0x1
	global_load_dword v0, v[140:141], off
	global_load_dword v135, v[132:133], off offset:40
	s_waitcnt vmcnt(1)
	global_store_dword v[132:133], v0, off offset:40
	s_waitcnt vmcnt(0)
	global_store_dword v[140:141], v135, off
.LBB60_224:
	s_or_b32 exec_lo, exec_lo, s2
	v_mov_b32_e32 v140, v134
	v_mov_b32_e32 v0, v134
.LBB60_225:
	s_or_b32 exec_lo, exec_lo, s1
.LBB60_226:
	s_andn2_saveexec_b32 s0, s0
	s_cbranch_execz .LBB60_228
; %bb.227:
	v_mov_b32_e32 v140, 10
	ds_write2_b64 v1, v[78:79], v[80:81] offset0:22 offset1:23
	ds_write2_b64 v1, v[74:75], v[76:77] offset0:24 offset1:25
	;; [unrolled: 1-line block ×20, first 2 shown]
.LBB60_228:
	s_or_b32 exec_lo, exec_lo, s0
	s_mov_b32 s0, exec_lo
	s_waitcnt lgkmcnt(0)
	s_waitcnt_vscnt null, 0x0
	s_barrier
	buffer_gl0_inv
	v_cmpx_lt_i32_e32 10, v140
	s_cbranch_execz .LBB60_230
; %bb.229:
	v_mul_f64 v[134:135], v[128:129], v[84:85]
	v_mul_f64 v[84:85], v[126:127], v[84:85]
	v_fma_f64 v[134:135], v[126:127], v[82:83], -v[134:135]
	v_fma_f64 v[84:85], v[128:129], v[82:83], v[84:85]
	ds_read2_b64 v[126:129], v1 offset0:22 offset1:23
	s_waitcnt lgkmcnt(0)
	v_mul_f64 v[82:83], v[128:129], v[84:85]
	v_fma_f64 v[82:83], v[126:127], v[134:135], -v[82:83]
	v_mul_f64 v[126:127], v[126:127], v[84:85]
	v_add_f64 v[78:79], v[78:79], -v[82:83]
	v_fma_f64 v[126:127], v[128:129], v[134:135], v[126:127]
	v_add_f64 v[80:81], v[80:81], -v[126:127]
	ds_read2_b64 v[126:129], v1 offset0:24 offset1:25
	s_waitcnt lgkmcnt(0)
	v_mul_f64 v[82:83], v[128:129], v[84:85]
	v_fma_f64 v[82:83], v[126:127], v[134:135], -v[82:83]
	v_mul_f64 v[126:127], v[126:127], v[84:85]
	v_add_f64 v[74:75], v[74:75], -v[82:83]
	v_fma_f64 v[126:127], v[128:129], v[134:135], v[126:127]
	v_add_f64 v[76:77], v[76:77], -v[126:127]
	;; [unrolled: 8-line block ×19, first 2 shown]
	ds_read2_b64 v[126:129], v1 offset0:60 offset1:61
	s_waitcnt lgkmcnt(0)
	v_mul_f64 v[82:83], v[128:129], v[84:85]
	v_fma_f64 v[82:83], v[126:127], v[134:135], -v[82:83]
	v_mul_f64 v[126:127], v[126:127], v[84:85]
	v_add_f64 v[2:3], v[2:3], -v[82:83]
	v_fma_f64 v[126:127], v[128:129], v[134:135], v[126:127]
	v_mov_b32_e32 v82, v134
	v_mov_b32_e32 v83, v135
	v_add_f64 v[4:5], v[4:5], -v[126:127]
.LBB60_230:
	s_or_b32 exec_lo, exec_lo, s0
	v_lshl_add_u32 v126, v140, 4, v1
	s_barrier
	buffer_gl0_inv
	v_mov_b32_e32 v134, 11
	ds_write2_b64 v126, v[78:79], v[80:81] offset1:1
	s_waitcnt lgkmcnt(0)
	s_barrier
	buffer_gl0_inv
	ds_read2_b64 v[126:129], v1 offset0:22 offset1:23
	s_cmp_lt_i32 s18, 13
	s_cbranch_scc1 .LBB60_233
; %bb.231:
	v_add3_u32 v135, v136, 0, 0xc0
	v_mov_b32_e32 v134, 11
	s_mov_b32 s1, 12
	s_inst_prefetch 0x1
	.p2align	6
.LBB60_232:                             ; =>This Inner Loop Header: Depth=1
	s_waitcnt lgkmcnt(0)
	v_cmp_gt_f64_e32 vcc_lo, 0, v[128:129]
	v_cmp_gt_f64_e64 s0, 0, v[126:127]
	ds_read2_b64 v[141:144], v135 offset1:1
	v_xor_b32_e32 v146, 0x80000000, v127
	v_xor_b32_e32 v148, 0x80000000, v129
	v_mov_b32_e32 v145, v126
	v_mov_b32_e32 v147, v128
	v_add_nc_u32_e32 v135, 16, v135
	s_waitcnt lgkmcnt(0)
	v_xor_b32_e32 v150, 0x80000000, v144
	v_cndmask_b32_e64 v146, v127, v146, s0
	v_cndmask_b32_e32 v148, v129, v148, vcc_lo
	v_cmp_gt_f64_e32 vcc_lo, 0, v[143:144]
	v_cmp_gt_f64_e64 s0, 0, v[141:142]
	v_mov_b32_e32 v149, v143
	v_add_f64 v[145:146], v[145:146], v[147:148]
	v_xor_b32_e32 v148, 0x80000000, v142
	v_mov_b32_e32 v147, v141
	v_cndmask_b32_e32 v150, v144, v150, vcc_lo
	v_cndmask_b32_e64 v148, v142, v148, s0
	v_add_f64 v[147:148], v[147:148], v[149:150]
	v_cmp_lt_f64_e32 vcc_lo, v[145:146], v[147:148]
	v_cndmask_b32_e32 v127, v127, v142, vcc_lo
	v_cndmask_b32_e32 v126, v126, v141, vcc_lo
	;; [unrolled: 1-line block ×4, first 2 shown]
	v_cndmask_b32_e64 v134, v134, s1, vcc_lo
	s_add_i32 s1, s1, 1
	s_cmp_lg_u32 s18, s1
	s_cbranch_scc1 .LBB60_232
.LBB60_233:
	s_inst_prefetch 0x2
	s_waitcnt lgkmcnt(0)
	v_cmp_eq_f64_e32 vcc_lo, 0, v[126:127]
	v_cmp_eq_f64_e64 s0, 0, v[128:129]
	s_and_b32 s0, vcc_lo, s0
	s_and_saveexec_b32 s1, s0
	s_xor_b32 s0, exec_lo, s1
; %bb.234:
	v_cmp_ne_u32_e32 vcc_lo, 0, v139
	v_cndmask_b32_e32 v139, 12, v139, vcc_lo
; %bb.235:
	s_andn2_saveexec_b32 s0, s0
	s_cbranch_execz .LBB60_241
; %bb.236:
	v_cmp_ngt_f64_e64 s1, |v[126:127]|, |v[128:129]|
	s_and_saveexec_b32 s2, s1
	s_xor_b32 s1, exec_lo, s2
	s_cbranch_execz .LBB60_238
; %bb.237:
	v_div_scale_f64 v[141:142], null, v[128:129], v[128:129], v[126:127]
	v_div_scale_f64 v[147:148], vcc_lo, v[126:127], v[128:129], v[126:127]
	v_rcp_f64_e32 v[143:144], v[141:142]
	v_fma_f64 v[145:146], -v[141:142], v[143:144], 1.0
	v_fma_f64 v[143:144], v[143:144], v[145:146], v[143:144]
	v_fma_f64 v[145:146], -v[141:142], v[143:144], 1.0
	v_fma_f64 v[143:144], v[143:144], v[145:146], v[143:144]
	v_mul_f64 v[145:146], v[147:148], v[143:144]
	v_fma_f64 v[141:142], -v[141:142], v[145:146], v[147:148]
	v_div_fmas_f64 v[141:142], v[141:142], v[143:144], v[145:146]
	v_div_fixup_f64 v[141:142], v[141:142], v[128:129], v[126:127]
	v_fma_f64 v[126:127], v[126:127], v[141:142], v[128:129]
	v_div_scale_f64 v[128:129], null, v[126:127], v[126:127], 1.0
	v_rcp_f64_e32 v[143:144], v[128:129]
	v_fma_f64 v[145:146], -v[128:129], v[143:144], 1.0
	v_fma_f64 v[143:144], v[143:144], v[145:146], v[143:144]
	v_fma_f64 v[145:146], -v[128:129], v[143:144], 1.0
	v_fma_f64 v[143:144], v[143:144], v[145:146], v[143:144]
	v_div_scale_f64 v[145:146], vcc_lo, 1.0, v[126:127], 1.0
	v_mul_f64 v[147:148], v[145:146], v[143:144]
	v_fma_f64 v[128:129], -v[128:129], v[147:148], v[145:146]
	v_div_fmas_f64 v[128:129], v[128:129], v[143:144], v[147:148]
	v_div_fixup_f64 v[128:129], v[128:129], v[126:127], 1.0
	v_mul_f64 v[126:127], v[141:142], v[128:129]
	v_xor_b32_e32 v129, 0x80000000, v129
.LBB60_238:
	s_andn2_saveexec_b32 s1, s1
	s_cbranch_execz .LBB60_240
; %bb.239:
	v_div_scale_f64 v[141:142], null, v[126:127], v[126:127], v[128:129]
	v_div_scale_f64 v[147:148], vcc_lo, v[128:129], v[126:127], v[128:129]
	v_rcp_f64_e32 v[143:144], v[141:142]
	v_fma_f64 v[145:146], -v[141:142], v[143:144], 1.0
	v_fma_f64 v[143:144], v[143:144], v[145:146], v[143:144]
	v_fma_f64 v[145:146], -v[141:142], v[143:144], 1.0
	v_fma_f64 v[143:144], v[143:144], v[145:146], v[143:144]
	v_mul_f64 v[145:146], v[147:148], v[143:144]
	v_fma_f64 v[141:142], -v[141:142], v[145:146], v[147:148]
	v_div_fmas_f64 v[141:142], v[141:142], v[143:144], v[145:146]
	v_div_fixup_f64 v[141:142], v[141:142], v[126:127], v[128:129]
	v_fma_f64 v[126:127], v[128:129], v[141:142], v[126:127]
	v_div_scale_f64 v[128:129], null, v[126:127], v[126:127], 1.0
	v_rcp_f64_e32 v[143:144], v[128:129]
	v_fma_f64 v[145:146], -v[128:129], v[143:144], 1.0
	v_fma_f64 v[143:144], v[143:144], v[145:146], v[143:144]
	v_fma_f64 v[145:146], -v[128:129], v[143:144], 1.0
	v_fma_f64 v[143:144], v[143:144], v[145:146], v[143:144]
	v_div_scale_f64 v[145:146], vcc_lo, 1.0, v[126:127], 1.0
	v_mul_f64 v[147:148], v[145:146], v[143:144]
	v_fma_f64 v[128:129], -v[128:129], v[147:148], v[145:146]
	v_div_fmas_f64 v[128:129], v[128:129], v[143:144], v[147:148]
	v_div_fixup_f64 v[126:127], v[128:129], v[126:127], 1.0
	v_mul_f64 v[128:129], v[141:142], -v[126:127]
.LBB60_240:
	s_or_b32 exec_lo, exec_lo, s1
.LBB60_241:
	s_or_b32 exec_lo, exec_lo, s0
	s_mov_b32 s0, exec_lo
	v_cmpx_ne_u32_e64 v140, v134
	s_xor_b32 s0, exec_lo, s0
	s_cbranch_execz .LBB60_247
; %bb.242:
	s_mov_b32 s1, exec_lo
	v_cmpx_eq_u32_e32 11, v140
	s_cbranch_execz .LBB60_246
; %bb.243:
	v_cmp_ne_u32_e32 vcc_lo, 11, v134
	s_xor_b32 s2, s16, -1
	s_and_b32 s3, s2, vcc_lo
	s_and_saveexec_b32 s2, s3
	s_cbranch_execz .LBB60_245
; %bb.244:
	v_ashrrev_i32_e32 v135, 31, v134
	v_lshlrev_b64 v[140:141], 2, v[134:135]
	v_add_co_u32 v140, vcc_lo, v132, v140
	v_add_co_ci_u32_e64 v141, null, v133, v141, vcc_lo
	s_clause 0x1
	global_load_dword v0, v[140:141], off
	global_load_dword v135, v[132:133], off offset:44
	s_waitcnt vmcnt(1)
	global_store_dword v[132:133], v0, off offset:44
	s_waitcnt vmcnt(0)
	global_store_dword v[140:141], v135, off
.LBB60_245:
	s_or_b32 exec_lo, exec_lo, s2
	v_mov_b32_e32 v140, v134
	v_mov_b32_e32 v0, v134
.LBB60_246:
	s_or_b32 exec_lo, exec_lo, s1
.LBB60_247:
	s_andn2_saveexec_b32 s0, s0
	s_cbranch_execz .LBB60_249
; %bb.248:
	v_mov_b32_e32 v140, 11
	ds_write2_b64 v1, v[74:75], v[76:77] offset0:24 offset1:25
	ds_write2_b64 v1, v[70:71], v[72:73] offset0:26 offset1:27
	;; [unrolled: 1-line block ×19, first 2 shown]
.LBB60_249:
	s_or_b32 exec_lo, exec_lo, s0
	s_mov_b32 s0, exec_lo
	s_waitcnt lgkmcnt(0)
	s_waitcnt_vscnt null, 0x0
	s_barrier
	buffer_gl0_inv
	v_cmpx_lt_i32_e32 11, v140
	s_cbranch_execz .LBB60_251
; %bb.250:
	v_mul_f64 v[134:135], v[128:129], v[80:81]
	v_mul_f64 v[80:81], v[126:127], v[80:81]
	v_fma_f64 v[134:135], v[126:127], v[78:79], -v[134:135]
	v_fma_f64 v[80:81], v[128:129], v[78:79], v[80:81]
	ds_read2_b64 v[126:129], v1 offset0:24 offset1:25
	s_waitcnt lgkmcnt(0)
	v_mul_f64 v[78:79], v[128:129], v[80:81]
	v_fma_f64 v[78:79], v[126:127], v[134:135], -v[78:79]
	v_mul_f64 v[126:127], v[126:127], v[80:81]
	v_add_f64 v[74:75], v[74:75], -v[78:79]
	v_fma_f64 v[126:127], v[128:129], v[134:135], v[126:127]
	v_add_f64 v[76:77], v[76:77], -v[126:127]
	ds_read2_b64 v[126:129], v1 offset0:26 offset1:27
	s_waitcnt lgkmcnt(0)
	v_mul_f64 v[78:79], v[128:129], v[80:81]
	v_fma_f64 v[78:79], v[126:127], v[134:135], -v[78:79]
	v_mul_f64 v[126:127], v[126:127], v[80:81]
	v_add_f64 v[70:71], v[70:71], -v[78:79]
	v_fma_f64 v[126:127], v[128:129], v[134:135], v[126:127]
	v_add_f64 v[72:73], v[72:73], -v[126:127]
	;; [unrolled: 8-line block ×18, first 2 shown]
	ds_read2_b64 v[126:129], v1 offset0:60 offset1:61
	s_waitcnt lgkmcnt(0)
	v_mul_f64 v[78:79], v[128:129], v[80:81]
	v_fma_f64 v[78:79], v[126:127], v[134:135], -v[78:79]
	v_mul_f64 v[126:127], v[126:127], v[80:81]
	v_add_f64 v[2:3], v[2:3], -v[78:79]
	v_fma_f64 v[126:127], v[128:129], v[134:135], v[126:127]
	v_mov_b32_e32 v78, v134
	v_mov_b32_e32 v79, v135
	v_add_f64 v[4:5], v[4:5], -v[126:127]
.LBB60_251:
	s_or_b32 exec_lo, exec_lo, s0
	v_lshl_add_u32 v126, v140, 4, v1
	s_barrier
	buffer_gl0_inv
	v_mov_b32_e32 v134, 12
	ds_write2_b64 v126, v[74:75], v[76:77] offset1:1
	s_waitcnt lgkmcnt(0)
	s_barrier
	buffer_gl0_inv
	ds_read2_b64 v[126:129], v1 offset0:24 offset1:25
	s_cmp_lt_i32 s18, 14
	s_cbranch_scc1 .LBB60_254
; %bb.252:
	v_add3_u32 v135, v136, 0, 0xd0
	v_mov_b32_e32 v134, 12
	s_mov_b32 s1, 13
	s_inst_prefetch 0x1
	.p2align	6
.LBB60_253:                             ; =>This Inner Loop Header: Depth=1
	s_waitcnt lgkmcnt(0)
	v_cmp_gt_f64_e32 vcc_lo, 0, v[128:129]
	v_cmp_gt_f64_e64 s0, 0, v[126:127]
	ds_read2_b64 v[141:144], v135 offset1:1
	v_xor_b32_e32 v146, 0x80000000, v127
	v_xor_b32_e32 v148, 0x80000000, v129
	v_mov_b32_e32 v145, v126
	v_mov_b32_e32 v147, v128
	v_add_nc_u32_e32 v135, 16, v135
	s_waitcnt lgkmcnt(0)
	v_xor_b32_e32 v150, 0x80000000, v144
	v_cndmask_b32_e64 v146, v127, v146, s0
	v_cndmask_b32_e32 v148, v129, v148, vcc_lo
	v_cmp_gt_f64_e32 vcc_lo, 0, v[143:144]
	v_cmp_gt_f64_e64 s0, 0, v[141:142]
	v_mov_b32_e32 v149, v143
	v_add_f64 v[145:146], v[145:146], v[147:148]
	v_xor_b32_e32 v148, 0x80000000, v142
	v_mov_b32_e32 v147, v141
	v_cndmask_b32_e32 v150, v144, v150, vcc_lo
	v_cndmask_b32_e64 v148, v142, v148, s0
	v_add_f64 v[147:148], v[147:148], v[149:150]
	v_cmp_lt_f64_e32 vcc_lo, v[145:146], v[147:148]
	v_cndmask_b32_e32 v127, v127, v142, vcc_lo
	v_cndmask_b32_e32 v126, v126, v141, vcc_lo
	;; [unrolled: 1-line block ×4, first 2 shown]
	v_cndmask_b32_e64 v134, v134, s1, vcc_lo
	s_add_i32 s1, s1, 1
	s_cmp_lg_u32 s18, s1
	s_cbranch_scc1 .LBB60_253
.LBB60_254:
	s_inst_prefetch 0x2
	s_waitcnt lgkmcnt(0)
	v_cmp_eq_f64_e32 vcc_lo, 0, v[126:127]
	v_cmp_eq_f64_e64 s0, 0, v[128:129]
	s_and_b32 s0, vcc_lo, s0
	s_and_saveexec_b32 s1, s0
	s_xor_b32 s0, exec_lo, s1
; %bb.255:
	v_cmp_ne_u32_e32 vcc_lo, 0, v139
	v_cndmask_b32_e32 v139, 13, v139, vcc_lo
; %bb.256:
	s_andn2_saveexec_b32 s0, s0
	s_cbranch_execz .LBB60_262
; %bb.257:
	v_cmp_ngt_f64_e64 s1, |v[126:127]|, |v[128:129]|
	s_and_saveexec_b32 s2, s1
	s_xor_b32 s1, exec_lo, s2
	s_cbranch_execz .LBB60_259
; %bb.258:
	v_div_scale_f64 v[141:142], null, v[128:129], v[128:129], v[126:127]
	v_div_scale_f64 v[147:148], vcc_lo, v[126:127], v[128:129], v[126:127]
	v_rcp_f64_e32 v[143:144], v[141:142]
	v_fma_f64 v[145:146], -v[141:142], v[143:144], 1.0
	v_fma_f64 v[143:144], v[143:144], v[145:146], v[143:144]
	v_fma_f64 v[145:146], -v[141:142], v[143:144], 1.0
	v_fma_f64 v[143:144], v[143:144], v[145:146], v[143:144]
	v_mul_f64 v[145:146], v[147:148], v[143:144]
	v_fma_f64 v[141:142], -v[141:142], v[145:146], v[147:148]
	v_div_fmas_f64 v[141:142], v[141:142], v[143:144], v[145:146]
	v_div_fixup_f64 v[141:142], v[141:142], v[128:129], v[126:127]
	v_fma_f64 v[126:127], v[126:127], v[141:142], v[128:129]
	v_div_scale_f64 v[128:129], null, v[126:127], v[126:127], 1.0
	v_rcp_f64_e32 v[143:144], v[128:129]
	v_fma_f64 v[145:146], -v[128:129], v[143:144], 1.0
	v_fma_f64 v[143:144], v[143:144], v[145:146], v[143:144]
	v_fma_f64 v[145:146], -v[128:129], v[143:144], 1.0
	v_fma_f64 v[143:144], v[143:144], v[145:146], v[143:144]
	v_div_scale_f64 v[145:146], vcc_lo, 1.0, v[126:127], 1.0
	v_mul_f64 v[147:148], v[145:146], v[143:144]
	v_fma_f64 v[128:129], -v[128:129], v[147:148], v[145:146]
	v_div_fmas_f64 v[128:129], v[128:129], v[143:144], v[147:148]
	v_div_fixup_f64 v[128:129], v[128:129], v[126:127], 1.0
	v_mul_f64 v[126:127], v[141:142], v[128:129]
	v_xor_b32_e32 v129, 0x80000000, v129
.LBB60_259:
	s_andn2_saveexec_b32 s1, s1
	s_cbranch_execz .LBB60_261
; %bb.260:
	v_div_scale_f64 v[141:142], null, v[126:127], v[126:127], v[128:129]
	v_div_scale_f64 v[147:148], vcc_lo, v[128:129], v[126:127], v[128:129]
	v_rcp_f64_e32 v[143:144], v[141:142]
	v_fma_f64 v[145:146], -v[141:142], v[143:144], 1.0
	v_fma_f64 v[143:144], v[143:144], v[145:146], v[143:144]
	v_fma_f64 v[145:146], -v[141:142], v[143:144], 1.0
	v_fma_f64 v[143:144], v[143:144], v[145:146], v[143:144]
	v_mul_f64 v[145:146], v[147:148], v[143:144]
	v_fma_f64 v[141:142], -v[141:142], v[145:146], v[147:148]
	v_div_fmas_f64 v[141:142], v[141:142], v[143:144], v[145:146]
	v_div_fixup_f64 v[141:142], v[141:142], v[126:127], v[128:129]
	v_fma_f64 v[126:127], v[128:129], v[141:142], v[126:127]
	v_div_scale_f64 v[128:129], null, v[126:127], v[126:127], 1.0
	v_rcp_f64_e32 v[143:144], v[128:129]
	v_fma_f64 v[145:146], -v[128:129], v[143:144], 1.0
	v_fma_f64 v[143:144], v[143:144], v[145:146], v[143:144]
	v_fma_f64 v[145:146], -v[128:129], v[143:144], 1.0
	v_fma_f64 v[143:144], v[143:144], v[145:146], v[143:144]
	v_div_scale_f64 v[145:146], vcc_lo, 1.0, v[126:127], 1.0
	v_mul_f64 v[147:148], v[145:146], v[143:144]
	v_fma_f64 v[128:129], -v[128:129], v[147:148], v[145:146]
	v_div_fmas_f64 v[128:129], v[128:129], v[143:144], v[147:148]
	v_div_fixup_f64 v[126:127], v[128:129], v[126:127], 1.0
	v_mul_f64 v[128:129], v[141:142], -v[126:127]
.LBB60_261:
	s_or_b32 exec_lo, exec_lo, s1
.LBB60_262:
	s_or_b32 exec_lo, exec_lo, s0
	s_mov_b32 s0, exec_lo
	v_cmpx_ne_u32_e64 v140, v134
	s_xor_b32 s0, exec_lo, s0
	s_cbranch_execz .LBB60_268
; %bb.263:
	s_mov_b32 s1, exec_lo
	v_cmpx_eq_u32_e32 12, v140
	s_cbranch_execz .LBB60_267
; %bb.264:
	v_cmp_ne_u32_e32 vcc_lo, 12, v134
	s_xor_b32 s2, s16, -1
	s_and_b32 s3, s2, vcc_lo
	s_and_saveexec_b32 s2, s3
	s_cbranch_execz .LBB60_266
; %bb.265:
	v_ashrrev_i32_e32 v135, 31, v134
	v_lshlrev_b64 v[140:141], 2, v[134:135]
	v_add_co_u32 v140, vcc_lo, v132, v140
	v_add_co_ci_u32_e64 v141, null, v133, v141, vcc_lo
	s_clause 0x1
	global_load_dword v0, v[140:141], off
	global_load_dword v135, v[132:133], off offset:48
	s_waitcnt vmcnt(1)
	global_store_dword v[132:133], v0, off offset:48
	s_waitcnt vmcnt(0)
	global_store_dword v[140:141], v135, off
.LBB60_266:
	s_or_b32 exec_lo, exec_lo, s2
	v_mov_b32_e32 v140, v134
	v_mov_b32_e32 v0, v134
.LBB60_267:
	s_or_b32 exec_lo, exec_lo, s1
.LBB60_268:
	s_andn2_saveexec_b32 s0, s0
	s_cbranch_execz .LBB60_270
; %bb.269:
	v_mov_b32_e32 v140, 12
	ds_write2_b64 v1, v[70:71], v[72:73] offset0:26 offset1:27
	ds_write2_b64 v1, v[66:67], v[68:69] offset0:28 offset1:29
	;; [unrolled: 1-line block ×18, first 2 shown]
.LBB60_270:
	s_or_b32 exec_lo, exec_lo, s0
	s_mov_b32 s0, exec_lo
	s_waitcnt lgkmcnt(0)
	s_waitcnt_vscnt null, 0x0
	s_barrier
	buffer_gl0_inv
	v_cmpx_lt_i32_e32 12, v140
	s_cbranch_execz .LBB60_272
; %bb.271:
	v_mul_f64 v[134:135], v[128:129], v[76:77]
	v_mul_f64 v[76:77], v[126:127], v[76:77]
	v_fma_f64 v[134:135], v[126:127], v[74:75], -v[134:135]
	v_fma_f64 v[76:77], v[128:129], v[74:75], v[76:77]
	ds_read2_b64 v[126:129], v1 offset0:26 offset1:27
	s_waitcnt lgkmcnt(0)
	v_mul_f64 v[74:75], v[128:129], v[76:77]
	v_fma_f64 v[74:75], v[126:127], v[134:135], -v[74:75]
	v_mul_f64 v[126:127], v[126:127], v[76:77]
	v_add_f64 v[70:71], v[70:71], -v[74:75]
	v_fma_f64 v[126:127], v[128:129], v[134:135], v[126:127]
	v_add_f64 v[72:73], v[72:73], -v[126:127]
	ds_read2_b64 v[126:129], v1 offset0:28 offset1:29
	s_waitcnt lgkmcnt(0)
	v_mul_f64 v[74:75], v[128:129], v[76:77]
	v_fma_f64 v[74:75], v[126:127], v[134:135], -v[74:75]
	v_mul_f64 v[126:127], v[126:127], v[76:77]
	v_add_f64 v[66:67], v[66:67], -v[74:75]
	v_fma_f64 v[126:127], v[128:129], v[134:135], v[126:127]
	v_add_f64 v[68:69], v[68:69], -v[126:127]
	;; [unrolled: 8-line block ×17, first 2 shown]
	ds_read2_b64 v[126:129], v1 offset0:60 offset1:61
	s_waitcnt lgkmcnt(0)
	v_mul_f64 v[74:75], v[128:129], v[76:77]
	v_fma_f64 v[74:75], v[126:127], v[134:135], -v[74:75]
	v_mul_f64 v[126:127], v[126:127], v[76:77]
	v_add_f64 v[2:3], v[2:3], -v[74:75]
	v_fma_f64 v[126:127], v[128:129], v[134:135], v[126:127]
	v_mov_b32_e32 v74, v134
	v_mov_b32_e32 v75, v135
	v_add_f64 v[4:5], v[4:5], -v[126:127]
.LBB60_272:
	s_or_b32 exec_lo, exec_lo, s0
	v_lshl_add_u32 v126, v140, 4, v1
	s_barrier
	buffer_gl0_inv
	v_mov_b32_e32 v134, 13
	ds_write2_b64 v126, v[70:71], v[72:73] offset1:1
	s_waitcnt lgkmcnt(0)
	s_barrier
	buffer_gl0_inv
	ds_read2_b64 v[126:129], v1 offset0:26 offset1:27
	s_cmp_lt_i32 s18, 15
	s_cbranch_scc1 .LBB60_275
; %bb.273:
	v_add3_u32 v135, v136, 0, 0xe0
	v_mov_b32_e32 v134, 13
	s_mov_b32 s1, 14
	s_inst_prefetch 0x1
	.p2align	6
.LBB60_274:                             ; =>This Inner Loop Header: Depth=1
	s_waitcnt lgkmcnt(0)
	v_cmp_gt_f64_e32 vcc_lo, 0, v[128:129]
	v_cmp_gt_f64_e64 s0, 0, v[126:127]
	ds_read2_b64 v[141:144], v135 offset1:1
	v_xor_b32_e32 v146, 0x80000000, v127
	v_xor_b32_e32 v148, 0x80000000, v129
	v_mov_b32_e32 v145, v126
	v_mov_b32_e32 v147, v128
	v_add_nc_u32_e32 v135, 16, v135
	s_waitcnt lgkmcnt(0)
	v_xor_b32_e32 v150, 0x80000000, v144
	v_cndmask_b32_e64 v146, v127, v146, s0
	v_cndmask_b32_e32 v148, v129, v148, vcc_lo
	v_cmp_gt_f64_e32 vcc_lo, 0, v[143:144]
	v_cmp_gt_f64_e64 s0, 0, v[141:142]
	v_mov_b32_e32 v149, v143
	v_add_f64 v[145:146], v[145:146], v[147:148]
	v_xor_b32_e32 v148, 0x80000000, v142
	v_mov_b32_e32 v147, v141
	v_cndmask_b32_e32 v150, v144, v150, vcc_lo
	v_cndmask_b32_e64 v148, v142, v148, s0
	v_add_f64 v[147:148], v[147:148], v[149:150]
	v_cmp_lt_f64_e32 vcc_lo, v[145:146], v[147:148]
	v_cndmask_b32_e32 v127, v127, v142, vcc_lo
	v_cndmask_b32_e32 v126, v126, v141, vcc_lo
	;; [unrolled: 1-line block ×4, first 2 shown]
	v_cndmask_b32_e64 v134, v134, s1, vcc_lo
	s_add_i32 s1, s1, 1
	s_cmp_lg_u32 s18, s1
	s_cbranch_scc1 .LBB60_274
.LBB60_275:
	s_inst_prefetch 0x2
	s_waitcnt lgkmcnt(0)
	v_cmp_eq_f64_e32 vcc_lo, 0, v[126:127]
	v_cmp_eq_f64_e64 s0, 0, v[128:129]
	s_and_b32 s0, vcc_lo, s0
	s_and_saveexec_b32 s1, s0
	s_xor_b32 s0, exec_lo, s1
; %bb.276:
	v_cmp_ne_u32_e32 vcc_lo, 0, v139
	v_cndmask_b32_e32 v139, 14, v139, vcc_lo
; %bb.277:
	s_andn2_saveexec_b32 s0, s0
	s_cbranch_execz .LBB60_283
; %bb.278:
	v_cmp_ngt_f64_e64 s1, |v[126:127]|, |v[128:129]|
	s_and_saveexec_b32 s2, s1
	s_xor_b32 s1, exec_lo, s2
	s_cbranch_execz .LBB60_280
; %bb.279:
	v_div_scale_f64 v[141:142], null, v[128:129], v[128:129], v[126:127]
	v_div_scale_f64 v[147:148], vcc_lo, v[126:127], v[128:129], v[126:127]
	v_rcp_f64_e32 v[143:144], v[141:142]
	v_fma_f64 v[145:146], -v[141:142], v[143:144], 1.0
	v_fma_f64 v[143:144], v[143:144], v[145:146], v[143:144]
	v_fma_f64 v[145:146], -v[141:142], v[143:144], 1.0
	v_fma_f64 v[143:144], v[143:144], v[145:146], v[143:144]
	v_mul_f64 v[145:146], v[147:148], v[143:144]
	v_fma_f64 v[141:142], -v[141:142], v[145:146], v[147:148]
	v_div_fmas_f64 v[141:142], v[141:142], v[143:144], v[145:146]
	v_div_fixup_f64 v[141:142], v[141:142], v[128:129], v[126:127]
	v_fma_f64 v[126:127], v[126:127], v[141:142], v[128:129]
	v_div_scale_f64 v[128:129], null, v[126:127], v[126:127], 1.0
	v_rcp_f64_e32 v[143:144], v[128:129]
	v_fma_f64 v[145:146], -v[128:129], v[143:144], 1.0
	v_fma_f64 v[143:144], v[143:144], v[145:146], v[143:144]
	v_fma_f64 v[145:146], -v[128:129], v[143:144], 1.0
	v_fma_f64 v[143:144], v[143:144], v[145:146], v[143:144]
	v_div_scale_f64 v[145:146], vcc_lo, 1.0, v[126:127], 1.0
	v_mul_f64 v[147:148], v[145:146], v[143:144]
	v_fma_f64 v[128:129], -v[128:129], v[147:148], v[145:146]
	v_div_fmas_f64 v[128:129], v[128:129], v[143:144], v[147:148]
	v_div_fixup_f64 v[128:129], v[128:129], v[126:127], 1.0
	v_mul_f64 v[126:127], v[141:142], v[128:129]
	v_xor_b32_e32 v129, 0x80000000, v129
.LBB60_280:
	s_andn2_saveexec_b32 s1, s1
	s_cbranch_execz .LBB60_282
; %bb.281:
	v_div_scale_f64 v[141:142], null, v[126:127], v[126:127], v[128:129]
	v_div_scale_f64 v[147:148], vcc_lo, v[128:129], v[126:127], v[128:129]
	v_rcp_f64_e32 v[143:144], v[141:142]
	v_fma_f64 v[145:146], -v[141:142], v[143:144], 1.0
	v_fma_f64 v[143:144], v[143:144], v[145:146], v[143:144]
	v_fma_f64 v[145:146], -v[141:142], v[143:144], 1.0
	v_fma_f64 v[143:144], v[143:144], v[145:146], v[143:144]
	v_mul_f64 v[145:146], v[147:148], v[143:144]
	v_fma_f64 v[141:142], -v[141:142], v[145:146], v[147:148]
	v_div_fmas_f64 v[141:142], v[141:142], v[143:144], v[145:146]
	v_div_fixup_f64 v[141:142], v[141:142], v[126:127], v[128:129]
	v_fma_f64 v[126:127], v[128:129], v[141:142], v[126:127]
	v_div_scale_f64 v[128:129], null, v[126:127], v[126:127], 1.0
	v_rcp_f64_e32 v[143:144], v[128:129]
	v_fma_f64 v[145:146], -v[128:129], v[143:144], 1.0
	v_fma_f64 v[143:144], v[143:144], v[145:146], v[143:144]
	v_fma_f64 v[145:146], -v[128:129], v[143:144], 1.0
	v_fma_f64 v[143:144], v[143:144], v[145:146], v[143:144]
	v_div_scale_f64 v[145:146], vcc_lo, 1.0, v[126:127], 1.0
	v_mul_f64 v[147:148], v[145:146], v[143:144]
	v_fma_f64 v[128:129], -v[128:129], v[147:148], v[145:146]
	v_div_fmas_f64 v[128:129], v[128:129], v[143:144], v[147:148]
	v_div_fixup_f64 v[126:127], v[128:129], v[126:127], 1.0
	v_mul_f64 v[128:129], v[141:142], -v[126:127]
.LBB60_282:
	s_or_b32 exec_lo, exec_lo, s1
.LBB60_283:
	s_or_b32 exec_lo, exec_lo, s0
	s_mov_b32 s0, exec_lo
	v_cmpx_ne_u32_e64 v140, v134
	s_xor_b32 s0, exec_lo, s0
	s_cbranch_execz .LBB60_289
; %bb.284:
	s_mov_b32 s1, exec_lo
	v_cmpx_eq_u32_e32 13, v140
	s_cbranch_execz .LBB60_288
; %bb.285:
	v_cmp_ne_u32_e32 vcc_lo, 13, v134
	s_xor_b32 s2, s16, -1
	s_and_b32 s3, s2, vcc_lo
	s_and_saveexec_b32 s2, s3
	s_cbranch_execz .LBB60_287
; %bb.286:
	v_ashrrev_i32_e32 v135, 31, v134
	v_lshlrev_b64 v[140:141], 2, v[134:135]
	v_add_co_u32 v140, vcc_lo, v132, v140
	v_add_co_ci_u32_e64 v141, null, v133, v141, vcc_lo
	s_clause 0x1
	global_load_dword v0, v[140:141], off
	global_load_dword v135, v[132:133], off offset:52
	s_waitcnt vmcnt(1)
	global_store_dword v[132:133], v0, off offset:52
	s_waitcnt vmcnt(0)
	global_store_dword v[140:141], v135, off
.LBB60_287:
	s_or_b32 exec_lo, exec_lo, s2
	v_mov_b32_e32 v140, v134
	v_mov_b32_e32 v0, v134
.LBB60_288:
	s_or_b32 exec_lo, exec_lo, s1
.LBB60_289:
	s_andn2_saveexec_b32 s0, s0
	s_cbranch_execz .LBB60_291
; %bb.290:
	v_mov_b32_e32 v140, 13
	ds_write2_b64 v1, v[66:67], v[68:69] offset0:28 offset1:29
	ds_write2_b64 v1, v[62:63], v[64:65] offset0:30 offset1:31
	;; [unrolled: 1-line block ×17, first 2 shown]
.LBB60_291:
	s_or_b32 exec_lo, exec_lo, s0
	s_mov_b32 s0, exec_lo
	s_waitcnt lgkmcnt(0)
	s_waitcnt_vscnt null, 0x0
	s_barrier
	buffer_gl0_inv
	v_cmpx_lt_i32_e32 13, v140
	s_cbranch_execz .LBB60_293
; %bb.292:
	v_mul_f64 v[134:135], v[128:129], v[72:73]
	v_mul_f64 v[72:73], v[126:127], v[72:73]
	v_fma_f64 v[134:135], v[126:127], v[70:71], -v[134:135]
	v_fma_f64 v[72:73], v[128:129], v[70:71], v[72:73]
	ds_read2_b64 v[126:129], v1 offset0:28 offset1:29
	s_waitcnt lgkmcnt(0)
	v_mul_f64 v[70:71], v[128:129], v[72:73]
	v_fma_f64 v[70:71], v[126:127], v[134:135], -v[70:71]
	v_mul_f64 v[126:127], v[126:127], v[72:73]
	v_add_f64 v[66:67], v[66:67], -v[70:71]
	v_fma_f64 v[126:127], v[128:129], v[134:135], v[126:127]
	v_add_f64 v[68:69], v[68:69], -v[126:127]
	ds_read2_b64 v[126:129], v1 offset0:30 offset1:31
	s_waitcnt lgkmcnt(0)
	v_mul_f64 v[70:71], v[128:129], v[72:73]
	v_fma_f64 v[70:71], v[126:127], v[134:135], -v[70:71]
	v_mul_f64 v[126:127], v[126:127], v[72:73]
	v_add_f64 v[62:63], v[62:63], -v[70:71]
	v_fma_f64 v[126:127], v[128:129], v[134:135], v[126:127]
	v_add_f64 v[64:65], v[64:65], -v[126:127]
	;; [unrolled: 8-line block ×16, first 2 shown]
	ds_read2_b64 v[126:129], v1 offset0:60 offset1:61
	s_waitcnt lgkmcnt(0)
	v_mul_f64 v[70:71], v[128:129], v[72:73]
	v_fma_f64 v[70:71], v[126:127], v[134:135], -v[70:71]
	v_mul_f64 v[126:127], v[126:127], v[72:73]
	v_add_f64 v[2:3], v[2:3], -v[70:71]
	v_fma_f64 v[126:127], v[128:129], v[134:135], v[126:127]
	v_mov_b32_e32 v70, v134
	v_mov_b32_e32 v71, v135
	v_add_f64 v[4:5], v[4:5], -v[126:127]
.LBB60_293:
	s_or_b32 exec_lo, exec_lo, s0
	v_lshl_add_u32 v126, v140, 4, v1
	s_barrier
	buffer_gl0_inv
	v_mov_b32_e32 v134, 14
	ds_write2_b64 v126, v[66:67], v[68:69] offset1:1
	s_waitcnt lgkmcnt(0)
	s_barrier
	buffer_gl0_inv
	ds_read2_b64 v[126:129], v1 offset0:28 offset1:29
	s_cmp_lt_i32 s18, 16
	s_cbranch_scc1 .LBB60_296
; %bb.294:
	v_add3_u32 v135, v136, 0, 0xf0
	v_mov_b32_e32 v134, 14
	s_mov_b32 s1, 15
	s_inst_prefetch 0x1
	.p2align	6
.LBB60_295:                             ; =>This Inner Loop Header: Depth=1
	s_waitcnt lgkmcnt(0)
	v_cmp_gt_f64_e32 vcc_lo, 0, v[128:129]
	v_cmp_gt_f64_e64 s0, 0, v[126:127]
	ds_read2_b64 v[141:144], v135 offset1:1
	v_xor_b32_e32 v146, 0x80000000, v127
	v_xor_b32_e32 v148, 0x80000000, v129
	v_mov_b32_e32 v145, v126
	v_mov_b32_e32 v147, v128
	v_add_nc_u32_e32 v135, 16, v135
	s_waitcnt lgkmcnt(0)
	v_xor_b32_e32 v150, 0x80000000, v144
	v_cndmask_b32_e64 v146, v127, v146, s0
	v_cndmask_b32_e32 v148, v129, v148, vcc_lo
	v_cmp_gt_f64_e32 vcc_lo, 0, v[143:144]
	v_cmp_gt_f64_e64 s0, 0, v[141:142]
	v_mov_b32_e32 v149, v143
	v_add_f64 v[145:146], v[145:146], v[147:148]
	v_xor_b32_e32 v148, 0x80000000, v142
	v_mov_b32_e32 v147, v141
	v_cndmask_b32_e32 v150, v144, v150, vcc_lo
	v_cndmask_b32_e64 v148, v142, v148, s0
	v_add_f64 v[147:148], v[147:148], v[149:150]
	v_cmp_lt_f64_e32 vcc_lo, v[145:146], v[147:148]
	v_cndmask_b32_e32 v127, v127, v142, vcc_lo
	v_cndmask_b32_e32 v126, v126, v141, vcc_lo
	;; [unrolled: 1-line block ×4, first 2 shown]
	v_cndmask_b32_e64 v134, v134, s1, vcc_lo
	s_add_i32 s1, s1, 1
	s_cmp_lg_u32 s18, s1
	s_cbranch_scc1 .LBB60_295
.LBB60_296:
	s_inst_prefetch 0x2
	s_waitcnt lgkmcnt(0)
	v_cmp_eq_f64_e32 vcc_lo, 0, v[126:127]
	v_cmp_eq_f64_e64 s0, 0, v[128:129]
	s_and_b32 s0, vcc_lo, s0
	s_and_saveexec_b32 s1, s0
	s_xor_b32 s0, exec_lo, s1
; %bb.297:
	v_cmp_ne_u32_e32 vcc_lo, 0, v139
	v_cndmask_b32_e32 v139, 15, v139, vcc_lo
; %bb.298:
	s_andn2_saveexec_b32 s0, s0
	s_cbranch_execz .LBB60_304
; %bb.299:
	v_cmp_ngt_f64_e64 s1, |v[126:127]|, |v[128:129]|
	s_and_saveexec_b32 s2, s1
	s_xor_b32 s1, exec_lo, s2
	s_cbranch_execz .LBB60_301
; %bb.300:
	v_div_scale_f64 v[141:142], null, v[128:129], v[128:129], v[126:127]
	v_div_scale_f64 v[147:148], vcc_lo, v[126:127], v[128:129], v[126:127]
	v_rcp_f64_e32 v[143:144], v[141:142]
	v_fma_f64 v[145:146], -v[141:142], v[143:144], 1.0
	v_fma_f64 v[143:144], v[143:144], v[145:146], v[143:144]
	v_fma_f64 v[145:146], -v[141:142], v[143:144], 1.0
	v_fma_f64 v[143:144], v[143:144], v[145:146], v[143:144]
	v_mul_f64 v[145:146], v[147:148], v[143:144]
	v_fma_f64 v[141:142], -v[141:142], v[145:146], v[147:148]
	v_div_fmas_f64 v[141:142], v[141:142], v[143:144], v[145:146]
	v_div_fixup_f64 v[141:142], v[141:142], v[128:129], v[126:127]
	v_fma_f64 v[126:127], v[126:127], v[141:142], v[128:129]
	v_div_scale_f64 v[128:129], null, v[126:127], v[126:127], 1.0
	v_rcp_f64_e32 v[143:144], v[128:129]
	v_fma_f64 v[145:146], -v[128:129], v[143:144], 1.0
	v_fma_f64 v[143:144], v[143:144], v[145:146], v[143:144]
	v_fma_f64 v[145:146], -v[128:129], v[143:144], 1.0
	v_fma_f64 v[143:144], v[143:144], v[145:146], v[143:144]
	v_div_scale_f64 v[145:146], vcc_lo, 1.0, v[126:127], 1.0
	v_mul_f64 v[147:148], v[145:146], v[143:144]
	v_fma_f64 v[128:129], -v[128:129], v[147:148], v[145:146]
	v_div_fmas_f64 v[128:129], v[128:129], v[143:144], v[147:148]
	v_div_fixup_f64 v[128:129], v[128:129], v[126:127], 1.0
	v_mul_f64 v[126:127], v[141:142], v[128:129]
	v_xor_b32_e32 v129, 0x80000000, v129
.LBB60_301:
	s_andn2_saveexec_b32 s1, s1
	s_cbranch_execz .LBB60_303
; %bb.302:
	v_div_scale_f64 v[141:142], null, v[126:127], v[126:127], v[128:129]
	v_div_scale_f64 v[147:148], vcc_lo, v[128:129], v[126:127], v[128:129]
	v_rcp_f64_e32 v[143:144], v[141:142]
	v_fma_f64 v[145:146], -v[141:142], v[143:144], 1.0
	v_fma_f64 v[143:144], v[143:144], v[145:146], v[143:144]
	v_fma_f64 v[145:146], -v[141:142], v[143:144], 1.0
	v_fma_f64 v[143:144], v[143:144], v[145:146], v[143:144]
	v_mul_f64 v[145:146], v[147:148], v[143:144]
	v_fma_f64 v[141:142], -v[141:142], v[145:146], v[147:148]
	v_div_fmas_f64 v[141:142], v[141:142], v[143:144], v[145:146]
	v_div_fixup_f64 v[141:142], v[141:142], v[126:127], v[128:129]
	v_fma_f64 v[126:127], v[128:129], v[141:142], v[126:127]
	v_div_scale_f64 v[128:129], null, v[126:127], v[126:127], 1.0
	v_rcp_f64_e32 v[143:144], v[128:129]
	v_fma_f64 v[145:146], -v[128:129], v[143:144], 1.0
	v_fma_f64 v[143:144], v[143:144], v[145:146], v[143:144]
	v_fma_f64 v[145:146], -v[128:129], v[143:144], 1.0
	v_fma_f64 v[143:144], v[143:144], v[145:146], v[143:144]
	v_div_scale_f64 v[145:146], vcc_lo, 1.0, v[126:127], 1.0
	v_mul_f64 v[147:148], v[145:146], v[143:144]
	v_fma_f64 v[128:129], -v[128:129], v[147:148], v[145:146]
	v_div_fmas_f64 v[128:129], v[128:129], v[143:144], v[147:148]
	v_div_fixup_f64 v[126:127], v[128:129], v[126:127], 1.0
	v_mul_f64 v[128:129], v[141:142], -v[126:127]
.LBB60_303:
	s_or_b32 exec_lo, exec_lo, s1
.LBB60_304:
	s_or_b32 exec_lo, exec_lo, s0
	s_mov_b32 s0, exec_lo
	v_cmpx_ne_u32_e64 v140, v134
	s_xor_b32 s0, exec_lo, s0
	s_cbranch_execz .LBB60_310
; %bb.305:
	s_mov_b32 s1, exec_lo
	v_cmpx_eq_u32_e32 14, v140
	s_cbranch_execz .LBB60_309
; %bb.306:
	v_cmp_ne_u32_e32 vcc_lo, 14, v134
	s_xor_b32 s2, s16, -1
	s_and_b32 s3, s2, vcc_lo
	s_and_saveexec_b32 s2, s3
	s_cbranch_execz .LBB60_308
; %bb.307:
	v_ashrrev_i32_e32 v135, 31, v134
	v_lshlrev_b64 v[140:141], 2, v[134:135]
	v_add_co_u32 v140, vcc_lo, v132, v140
	v_add_co_ci_u32_e64 v141, null, v133, v141, vcc_lo
	s_clause 0x1
	global_load_dword v0, v[140:141], off
	global_load_dword v135, v[132:133], off offset:56
	s_waitcnt vmcnt(1)
	global_store_dword v[132:133], v0, off offset:56
	s_waitcnt vmcnt(0)
	global_store_dword v[140:141], v135, off
.LBB60_308:
	s_or_b32 exec_lo, exec_lo, s2
	v_mov_b32_e32 v140, v134
	v_mov_b32_e32 v0, v134
.LBB60_309:
	s_or_b32 exec_lo, exec_lo, s1
.LBB60_310:
	s_andn2_saveexec_b32 s0, s0
	s_cbranch_execz .LBB60_312
; %bb.311:
	v_mov_b32_e32 v140, 14
	ds_write2_b64 v1, v[62:63], v[64:65] offset0:30 offset1:31
	ds_write2_b64 v1, v[58:59], v[60:61] offset0:32 offset1:33
	;; [unrolled: 1-line block ×16, first 2 shown]
.LBB60_312:
	s_or_b32 exec_lo, exec_lo, s0
	s_mov_b32 s0, exec_lo
	s_waitcnt lgkmcnt(0)
	s_waitcnt_vscnt null, 0x0
	s_barrier
	buffer_gl0_inv
	v_cmpx_lt_i32_e32 14, v140
	s_cbranch_execz .LBB60_314
; %bb.313:
	v_mul_f64 v[134:135], v[126:127], v[68:69]
	v_mul_f64 v[68:69], v[128:129], v[68:69]
	v_fma_f64 v[134:135], v[128:129], v[66:67], v[134:135]
	v_fma_f64 v[66:67], v[126:127], v[66:67], -v[68:69]
	ds_read2_b64 v[126:129], v1 offset0:30 offset1:31
	s_waitcnt lgkmcnt(0)
	v_mul_f64 v[68:69], v[128:129], v[134:135]
	v_fma_f64 v[68:69], v[126:127], v[66:67], -v[68:69]
	v_mul_f64 v[126:127], v[126:127], v[134:135]
	v_add_f64 v[62:63], v[62:63], -v[68:69]
	v_fma_f64 v[126:127], v[128:129], v[66:67], v[126:127]
	v_add_f64 v[64:65], v[64:65], -v[126:127]
	ds_read2_b64 v[126:129], v1 offset0:32 offset1:33
	s_waitcnt lgkmcnt(0)
	v_mul_f64 v[68:69], v[128:129], v[134:135]
	v_fma_f64 v[68:69], v[126:127], v[66:67], -v[68:69]
	v_mul_f64 v[126:127], v[126:127], v[134:135]
	v_add_f64 v[58:59], v[58:59], -v[68:69]
	v_fma_f64 v[126:127], v[128:129], v[66:67], v[126:127]
	v_add_f64 v[60:61], v[60:61], -v[126:127]
	;; [unrolled: 8-line block ×15, first 2 shown]
	ds_read2_b64 v[126:129], v1 offset0:60 offset1:61
	s_waitcnt lgkmcnt(0)
	v_mul_f64 v[68:69], v[128:129], v[134:135]
	v_fma_f64 v[68:69], v[126:127], v[66:67], -v[68:69]
	v_mul_f64 v[126:127], v[126:127], v[134:135]
	v_add_f64 v[2:3], v[2:3], -v[68:69]
	v_fma_f64 v[126:127], v[128:129], v[66:67], v[126:127]
	v_mov_b32_e32 v68, v134
	v_mov_b32_e32 v69, v135
	v_add_f64 v[4:5], v[4:5], -v[126:127]
.LBB60_314:
	s_or_b32 exec_lo, exec_lo, s0
	v_lshl_add_u32 v126, v140, 4, v1
	s_barrier
	buffer_gl0_inv
	v_mov_b32_e32 v134, 15
	ds_write2_b64 v126, v[62:63], v[64:65] offset1:1
	s_waitcnt lgkmcnt(0)
	s_barrier
	buffer_gl0_inv
	ds_read2_b64 v[126:129], v1 offset0:30 offset1:31
	s_cmp_lt_i32 s18, 17
	s_cbranch_scc1 .LBB60_317
; %bb.315:
	v_add3_u32 v135, v136, 0, 0x100
	v_mov_b32_e32 v134, 15
	s_mov_b32 s1, 16
	s_inst_prefetch 0x1
	.p2align	6
.LBB60_316:                             ; =>This Inner Loop Header: Depth=1
	s_waitcnt lgkmcnt(0)
	v_cmp_gt_f64_e32 vcc_lo, 0, v[128:129]
	v_cmp_gt_f64_e64 s0, 0, v[126:127]
	ds_read2_b64 v[141:144], v135 offset1:1
	v_xor_b32_e32 v146, 0x80000000, v127
	v_xor_b32_e32 v148, 0x80000000, v129
	v_mov_b32_e32 v145, v126
	v_mov_b32_e32 v147, v128
	v_add_nc_u32_e32 v135, 16, v135
	s_waitcnt lgkmcnt(0)
	v_xor_b32_e32 v150, 0x80000000, v144
	v_cndmask_b32_e64 v146, v127, v146, s0
	v_cndmask_b32_e32 v148, v129, v148, vcc_lo
	v_cmp_gt_f64_e32 vcc_lo, 0, v[143:144]
	v_cmp_gt_f64_e64 s0, 0, v[141:142]
	v_mov_b32_e32 v149, v143
	v_add_f64 v[145:146], v[145:146], v[147:148]
	v_xor_b32_e32 v148, 0x80000000, v142
	v_mov_b32_e32 v147, v141
	v_cndmask_b32_e32 v150, v144, v150, vcc_lo
	v_cndmask_b32_e64 v148, v142, v148, s0
	v_add_f64 v[147:148], v[147:148], v[149:150]
	v_cmp_lt_f64_e32 vcc_lo, v[145:146], v[147:148]
	v_cndmask_b32_e32 v127, v127, v142, vcc_lo
	v_cndmask_b32_e32 v126, v126, v141, vcc_lo
	;; [unrolled: 1-line block ×4, first 2 shown]
	v_cndmask_b32_e64 v134, v134, s1, vcc_lo
	s_add_i32 s1, s1, 1
	s_cmp_lg_u32 s18, s1
	s_cbranch_scc1 .LBB60_316
.LBB60_317:
	s_inst_prefetch 0x2
	s_waitcnt lgkmcnt(0)
	v_cmp_eq_f64_e32 vcc_lo, 0, v[126:127]
	v_cmp_eq_f64_e64 s0, 0, v[128:129]
	s_and_b32 s0, vcc_lo, s0
	s_and_saveexec_b32 s1, s0
	s_xor_b32 s0, exec_lo, s1
; %bb.318:
	v_cmp_ne_u32_e32 vcc_lo, 0, v139
	v_cndmask_b32_e32 v139, 16, v139, vcc_lo
; %bb.319:
	s_andn2_saveexec_b32 s0, s0
	s_cbranch_execz .LBB60_325
; %bb.320:
	v_cmp_ngt_f64_e64 s1, |v[126:127]|, |v[128:129]|
	s_and_saveexec_b32 s2, s1
	s_xor_b32 s1, exec_lo, s2
	s_cbranch_execz .LBB60_322
; %bb.321:
	v_div_scale_f64 v[141:142], null, v[128:129], v[128:129], v[126:127]
	v_div_scale_f64 v[147:148], vcc_lo, v[126:127], v[128:129], v[126:127]
	v_rcp_f64_e32 v[143:144], v[141:142]
	v_fma_f64 v[145:146], -v[141:142], v[143:144], 1.0
	v_fma_f64 v[143:144], v[143:144], v[145:146], v[143:144]
	v_fma_f64 v[145:146], -v[141:142], v[143:144], 1.0
	v_fma_f64 v[143:144], v[143:144], v[145:146], v[143:144]
	v_mul_f64 v[145:146], v[147:148], v[143:144]
	v_fma_f64 v[141:142], -v[141:142], v[145:146], v[147:148]
	v_div_fmas_f64 v[141:142], v[141:142], v[143:144], v[145:146]
	v_div_fixup_f64 v[141:142], v[141:142], v[128:129], v[126:127]
	v_fma_f64 v[126:127], v[126:127], v[141:142], v[128:129]
	v_div_scale_f64 v[128:129], null, v[126:127], v[126:127], 1.0
	v_rcp_f64_e32 v[143:144], v[128:129]
	v_fma_f64 v[145:146], -v[128:129], v[143:144], 1.0
	v_fma_f64 v[143:144], v[143:144], v[145:146], v[143:144]
	v_fma_f64 v[145:146], -v[128:129], v[143:144], 1.0
	v_fma_f64 v[143:144], v[143:144], v[145:146], v[143:144]
	v_div_scale_f64 v[145:146], vcc_lo, 1.0, v[126:127], 1.0
	v_mul_f64 v[147:148], v[145:146], v[143:144]
	v_fma_f64 v[128:129], -v[128:129], v[147:148], v[145:146]
	v_div_fmas_f64 v[128:129], v[128:129], v[143:144], v[147:148]
	v_div_fixup_f64 v[128:129], v[128:129], v[126:127], 1.0
	v_mul_f64 v[126:127], v[141:142], v[128:129]
	v_xor_b32_e32 v129, 0x80000000, v129
.LBB60_322:
	s_andn2_saveexec_b32 s1, s1
	s_cbranch_execz .LBB60_324
; %bb.323:
	v_div_scale_f64 v[141:142], null, v[126:127], v[126:127], v[128:129]
	v_div_scale_f64 v[147:148], vcc_lo, v[128:129], v[126:127], v[128:129]
	v_rcp_f64_e32 v[143:144], v[141:142]
	v_fma_f64 v[145:146], -v[141:142], v[143:144], 1.0
	v_fma_f64 v[143:144], v[143:144], v[145:146], v[143:144]
	v_fma_f64 v[145:146], -v[141:142], v[143:144], 1.0
	v_fma_f64 v[143:144], v[143:144], v[145:146], v[143:144]
	v_mul_f64 v[145:146], v[147:148], v[143:144]
	v_fma_f64 v[141:142], -v[141:142], v[145:146], v[147:148]
	v_div_fmas_f64 v[141:142], v[141:142], v[143:144], v[145:146]
	v_div_fixup_f64 v[141:142], v[141:142], v[126:127], v[128:129]
	v_fma_f64 v[126:127], v[128:129], v[141:142], v[126:127]
	v_div_scale_f64 v[128:129], null, v[126:127], v[126:127], 1.0
	v_rcp_f64_e32 v[143:144], v[128:129]
	v_fma_f64 v[145:146], -v[128:129], v[143:144], 1.0
	v_fma_f64 v[143:144], v[143:144], v[145:146], v[143:144]
	v_fma_f64 v[145:146], -v[128:129], v[143:144], 1.0
	v_fma_f64 v[143:144], v[143:144], v[145:146], v[143:144]
	v_div_scale_f64 v[145:146], vcc_lo, 1.0, v[126:127], 1.0
	v_mul_f64 v[147:148], v[145:146], v[143:144]
	v_fma_f64 v[128:129], -v[128:129], v[147:148], v[145:146]
	v_div_fmas_f64 v[128:129], v[128:129], v[143:144], v[147:148]
	v_div_fixup_f64 v[126:127], v[128:129], v[126:127], 1.0
	v_mul_f64 v[128:129], v[141:142], -v[126:127]
.LBB60_324:
	s_or_b32 exec_lo, exec_lo, s1
.LBB60_325:
	s_or_b32 exec_lo, exec_lo, s0
	s_mov_b32 s0, exec_lo
	v_cmpx_ne_u32_e64 v140, v134
	s_xor_b32 s0, exec_lo, s0
	s_cbranch_execz .LBB60_331
; %bb.326:
	s_mov_b32 s1, exec_lo
	v_cmpx_eq_u32_e32 15, v140
	s_cbranch_execz .LBB60_330
; %bb.327:
	v_cmp_ne_u32_e32 vcc_lo, 15, v134
	s_xor_b32 s2, s16, -1
	s_and_b32 s3, s2, vcc_lo
	s_and_saveexec_b32 s2, s3
	s_cbranch_execz .LBB60_329
; %bb.328:
	v_ashrrev_i32_e32 v135, 31, v134
	v_lshlrev_b64 v[140:141], 2, v[134:135]
	v_add_co_u32 v140, vcc_lo, v132, v140
	v_add_co_ci_u32_e64 v141, null, v133, v141, vcc_lo
	s_clause 0x1
	global_load_dword v0, v[140:141], off
	global_load_dword v135, v[132:133], off offset:60
	s_waitcnt vmcnt(1)
	global_store_dword v[132:133], v0, off offset:60
	s_waitcnt vmcnt(0)
	global_store_dword v[140:141], v135, off
.LBB60_329:
	s_or_b32 exec_lo, exec_lo, s2
	v_mov_b32_e32 v140, v134
	v_mov_b32_e32 v0, v134
.LBB60_330:
	s_or_b32 exec_lo, exec_lo, s1
.LBB60_331:
	s_andn2_saveexec_b32 s0, s0
	s_cbranch_execz .LBB60_333
; %bb.332:
	v_mov_b32_e32 v140, 15
	ds_write2_b64 v1, v[58:59], v[60:61] offset0:32 offset1:33
	ds_write2_b64 v1, v[54:55], v[56:57] offset0:34 offset1:35
	ds_write2_b64 v1, v[50:51], v[52:53] offset0:36 offset1:37
	ds_write2_b64 v1, v[46:47], v[48:49] offset0:38 offset1:39
	ds_write2_b64 v1, v[42:43], v[44:45] offset0:40 offset1:41
	ds_write2_b64 v1, v[38:39], v[40:41] offset0:42 offset1:43
	ds_write2_b64 v1, v[34:35], v[36:37] offset0:44 offset1:45
	ds_write2_b64 v1, v[30:31], v[32:33] offset0:46 offset1:47
	ds_write2_b64 v1, v[26:27], v[28:29] offset0:48 offset1:49
	ds_write2_b64 v1, v[22:23], v[24:25] offset0:50 offset1:51
	ds_write2_b64 v1, v[18:19], v[20:21] offset0:52 offset1:53
	ds_write2_b64 v1, v[14:15], v[16:17] offset0:54 offset1:55
	ds_write2_b64 v1, v[10:11], v[12:13] offset0:56 offset1:57
	ds_write2_b64 v1, v[6:7], v[8:9] offset0:58 offset1:59
	ds_write2_b64 v1, v[2:3], v[4:5] offset0:60 offset1:61
.LBB60_333:
	s_or_b32 exec_lo, exec_lo, s0
	s_mov_b32 s0, exec_lo
	s_waitcnt lgkmcnt(0)
	s_waitcnt_vscnt null, 0x0
	s_barrier
	buffer_gl0_inv
	v_cmpx_lt_i32_e32 15, v140
	s_cbranch_execz .LBB60_335
; %bb.334:
	v_mul_f64 v[134:135], v[126:127], v[64:65]
	v_mul_f64 v[64:65], v[128:129], v[64:65]
	v_fma_f64 v[134:135], v[128:129], v[62:63], v[134:135]
	v_fma_f64 v[62:63], v[126:127], v[62:63], -v[64:65]
	ds_read2_b64 v[126:129], v1 offset0:32 offset1:33
	s_waitcnt lgkmcnt(0)
	v_mul_f64 v[64:65], v[128:129], v[134:135]
	v_fma_f64 v[64:65], v[126:127], v[62:63], -v[64:65]
	v_mul_f64 v[126:127], v[126:127], v[134:135]
	v_add_f64 v[58:59], v[58:59], -v[64:65]
	v_fma_f64 v[126:127], v[128:129], v[62:63], v[126:127]
	v_add_f64 v[60:61], v[60:61], -v[126:127]
	ds_read2_b64 v[126:129], v1 offset0:34 offset1:35
	s_waitcnt lgkmcnt(0)
	v_mul_f64 v[64:65], v[128:129], v[134:135]
	v_fma_f64 v[64:65], v[126:127], v[62:63], -v[64:65]
	v_mul_f64 v[126:127], v[126:127], v[134:135]
	v_add_f64 v[54:55], v[54:55], -v[64:65]
	v_fma_f64 v[126:127], v[128:129], v[62:63], v[126:127]
	v_add_f64 v[56:57], v[56:57], -v[126:127]
	;; [unrolled: 8-line block ×14, first 2 shown]
	ds_read2_b64 v[126:129], v1 offset0:60 offset1:61
	s_waitcnt lgkmcnt(0)
	v_mul_f64 v[64:65], v[128:129], v[134:135]
	v_fma_f64 v[64:65], v[126:127], v[62:63], -v[64:65]
	v_mul_f64 v[126:127], v[126:127], v[134:135]
	v_add_f64 v[2:3], v[2:3], -v[64:65]
	v_fma_f64 v[126:127], v[128:129], v[62:63], v[126:127]
	v_mov_b32_e32 v64, v134
	v_mov_b32_e32 v65, v135
	v_add_f64 v[4:5], v[4:5], -v[126:127]
.LBB60_335:
	s_or_b32 exec_lo, exec_lo, s0
	v_lshl_add_u32 v126, v140, 4, v1
	s_barrier
	buffer_gl0_inv
	v_mov_b32_e32 v134, 16
	ds_write2_b64 v126, v[58:59], v[60:61] offset1:1
	s_waitcnt lgkmcnt(0)
	s_barrier
	buffer_gl0_inv
	ds_read2_b64 v[126:129], v1 offset0:32 offset1:33
	s_cmp_lt_i32 s18, 18
	s_cbranch_scc1 .LBB60_338
; %bb.336:
	v_add3_u32 v135, v136, 0, 0x110
	v_mov_b32_e32 v134, 16
	s_mov_b32 s1, 17
	s_inst_prefetch 0x1
	.p2align	6
.LBB60_337:                             ; =>This Inner Loop Header: Depth=1
	s_waitcnt lgkmcnt(0)
	v_cmp_gt_f64_e32 vcc_lo, 0, v[128:129]
	v_cmp_gt_f64_e64 s0, 0, v[126:127]
	ds_read2_b64 v[141:144], v135 offset1:1
	v_xor_b32_e32 v146, 0x80000000, v127
	v_xor_b32_e32 v148, 0x80000000, v129
	v_mov_b32_e32 v145, v126
	v_mov_b32_e32 v147, v128
	v_add_nc_u32_e32 v135, 16, v135
	s_waitcnt lgkmcnt(0)
	v_xor_b32_e32 v150, 0x80000000, v144
	v_cndmask_b32_e64 v146, v127, v146, s0
	v_cndmask_b32_e32 v148, v129, v148, vcc_lo
	v_cmp_gt_f64_e32 vcc_lo, 0, v[143:144]
	v_cmp_gt_f64_e64 s0, 0, v[141:142]
	v_mov_b32_e32 v149, v143
	v_add_f64 v[145:146], v[145:146], v[147:148]
	v_xor_b32_e32 v148, 0x80000000, v142
	v_mov_b32_e32 v147, v141
	v_cndmask_b32_e32 v150, v144, v150, vcc_lo
	v_cndmask_b32_e64 v148, v142, v148, s0
	v_add_f64 v[147:148], v[147:148], v[149:150]
	v_cmp_lt_f64_e32 vcc_lo, v[145:146], v[147:148]
	v_cndmask_b32_e32 v127, v127, v142, vcc_lo
	v_cndmask_b32_e32 v126, v126, v141, vcc_lo
	;; [unrolled: 1-line block ×4, first 2 shown]
	v_cndmask_b32_e64 v134, v134, s1, vcc_lo
	s_add_i32 s1, s1, 1
	s_cmp_lg_u32 s18, s1
	s_cbranch_scc1 .LBB60_337
.LBB60_338:
	s_inst_prefetch 0x2
	s_waitcnt lgkmcnt(0)
	v_cmp_eq_f64_e32 vcc_lo, 0, v[126:127]
	v_cmp_eq_f64_e64 s0, 0, v[128:129]
	s_and_b32 s0, vcc_lo, s0
	s_and_saveexec_b32 s1, s0
	s_xor_b32 s0, exec_lo, s1
; %bb.339:
	v_cmp_ne_u32_e32 vcc_lo, 0, v139
	v_cndmask_b32_e32 v139, 17, v139, vcc_lo
; %bb.340:
	s_andn2_saveexec_b32 s0, s0
	s_cbranch_execz .LBB60_346
; %bb.341:
	v_cmp_ngt_f64_e64 s1, |v[126:127]|, |v[128:129]|
	s_and_saveexec_b32 s2, s1
	s_xor_b32 s1, exec_lo, s2
	s_cbranch_execz .LBB60_343
; %bb.342:
	v_div_scale_f64 v[141:142], null, v[128:129], v[128:129], v[126:127]
	v_div_scale_f64 v[147:148], vcc_lo, v[126:127], v[128:129], v[126:127]
	v_rcp_f64_e32 v[143:144], v[141:142]
	v_fma_f64 v[145:146], -v[141:142], v[143:144], 1.0
	v_fma_f64 v[143:144], v[143:144], v[145:146], v[143:144]
	v_fma_f64 v[145:146], -v[141:142], v[143:144], 1.0
	v_fma_f64 v[143:144], v[143:144], v[145:146], v[143:144]
	v_mul_f64 v[145:146], v[147:148], v[143:144]
	v_fma_f64 v[141:142], -v[141:142], v[145:146], v[147:148]
	v_div_fmas_f64 v[141:142], v[141:142], v[143:144], v[145:146]
	v_div_fixup_f64 v[141:142], v[141:142], v[128:129], v[126:127]
	v_fma_f64 v[126:127], v[126:127], v[141:142], v[128:129]
	v_div_scale_f64 v[128:129], null, v[126:127], v[126:127], 1.0
	v_rcp_f64_e32 v[143:144], v[128:129]
	v_fma_f64 v[145:146], -v[128:129], v[143:144], 1.0
	v_fma_f64 v[143:144], v[143:144], v[145:146], v[143:144]
	v_fma_f64 v[145:146], -v[128:129], v[143:144], 1.0
	v_fma_f64 v[143:144], v[143:144], v[145:146], v[143:144]
	v_div_scale_f64 v[145:146], vcc_lo, 1.0, v[126:127], 1.0
	v_mul_f64 v[147:148], v[145:146], v[143:144]
	v_fma_f64 v[128:129], -v[128:129], v[147:148], v[145:146]
	v_div_fmas_f64 v[128:129], v[128:129], v[143:144], v[147:148]
	v_div_fixup_f64 v[128:129], v[128:129], v[126:127], 1.0
	v_mul_f64 v[126:127], v[141:142], v[128:129]
	v_xor_b32_e32 v129, 0x80000000, v129
.LBB60_343:
	s_andn2_saveexec_b32 s1, s1
	s_cbranch_execz .LBB60_345
; %bb.344:
	v_div_scale_f64 v[141:142], null, v[126:127], v[126:127], v[128:129]
	v_div_scale_f64 v[147:148], vcc_lo, v[128:129], v[126:127], v[128:129]
	v_rcp_f64_e32 v[143:144], v[141:142]
	v_fma_f64 v[145:146], -v[141:142], v[143:144], 1.0
	v_fma_f64 v[143:144], v[143:144], v[145:146], v[143:144]
	v_fma_f64 v[145:146], -v[141:142], v[143:144], 1.0
	v_fma_f64 v[143:144], v[143:144], v[145:146], v[143:144]
	v_mul_f64 v[145:146], v[147:148], v[143:144]
	v_fma_f64 v[141:142], -v[141:142], v[145:146], v[147:148]
	v_div_fmas_f64 v[141:142], v[141:142], v[143:144], v[145:146]
	v_div_fixup_f64 v[141:142], v[141:142], v[126:127], v[128:129]
	v_fma_f64 v[126:127], v[128:129], v[141:142], v[126:127]
	v_div_scale_f64 v[128:129], null, v[126:127], v[126:127], 1.0
	v_rcp_f64_e32 v[143:144], v[128:129]
	v_fma_f64 v[145:146], -v[128:129], v[143:144], 1.0
	v_fma_f64 v[143:144], v[143:144], v[145:146], v[143:144]
	v_fma_f64 v[145:146], -v[128:129], v[143:144], 1.0
	v_fma_f64 v[143:144], v[143:144], v[145:146], v[143:144]
	v_div_scale_f64 v[145:146], vcc_lo, 1.0, v[126:127], 1.0
	v_mul_f64 v[147:148], v[145:146], v[143:144]
	v_fma_f64 v[128:129], -v[128:129], v[147:148], v[145:146]
	v_div_fmas_f64 v[128:129], v[128:129], v[143:144], v[147:148]
	v_div_fixup_f64 v[126:127], v[128:129], v[126:127], 1.0
	v_mul_f64 v[128:129], v[141:142], -v[126:127]
.LBB60_345:
	s_or_b32 exec_lo, exec_lo, s1
.LBB60_346:
	s_or_b32 exec_lo, exec_lo, s0
	s_mov_b32 s0, exec_lo
	v_cmpx_ne_u32_e64 v140, v134
	s_xor_b32 s0, exec_lo, s0
	s_cbranch_execz .LBB60_352
; %bb.347:
	s_mov_b32 s1, exec_lo
	v_cmpx_eq_u32_e32 16, v140
	s_cbranch_execz .LBB60_351
; %bb.348:
	v_cmp_ne_u32_e32 vcc_lo, 16, v134
	s_xor_b32 s2, s16, -1
	s_and_b32 s3, s2, vcc_lo
	s_and_saveexec_b32 s2, s3
	s_cbranch_execz .LBB60_350
; %bb.349:
	v_ashrrev_i32_e32 v135, 31, v134
	v_lshlrev_b64 v[140:141], 2, v[134:135]
	v_add_co_u32 v140, vcc_lo, v132, v140
	v_add_co_ci_u32_e64 v141, null, v133, v141, vcc_lo
	s_clause 0x1
	global_load_dword v0, v[140:141], off
	global_load_dword v135, v[132:133], off offset:64
	s_waitcnt vmcnt(1)
	global_store_dword v[132:133], v0, off offset:64
	s_waitcnt vmcnt(0)
	global_store_dword v[140:141], v135, off
.LBB60_350:
	s_or_b32 exec_lo, exec_lo, s2
	v_mov_b32_e32 v140, v134
	v_mov_b32_e32 v0, v134
.LBB60_351:
	s_or_b32 exec_lo, exec_lo, s1
.LBB60_352:
	s_andn2_saveexec_b32 s0, s0
	s_cbranch_execz .LBB60_354
; %bb.353:
	v_mov_b32_e32 v140, 16
	ds_write2_b64 v1, v[54:55], v[56:57] offset0:34 offset1:35
	ds_write2_b64 v1, v[50:51], v[52:53] offset0:36 offset1:37
	;; [unrolled: 1-line block ×14, first 2 shown]
.LBB60_354:
	s_or_b32 exec_lo, exec_lo, s0
	s_mov_b32 s0, exec_lo
	s_waitcnt lgkmcnt(0)
	s_waitcnt_vscnt null, 0x0
	s_barrier
	buffer_gl0_inv
	v_cmpx_lt_i32_e32 16, v140
	s_cbranch_execz .LBB60_356
; %bb.355:
	v_mul_f64 v[134:135], v[126:127], v[60:61]
	v_mul_f64 v[60:61], v[128:129], v[60:61]
	v_fma_f64 v[134:135], v[128:129], v[58:59], v[134:135]
	v_fma_f64 v[58:59], v[126:127], v[58:59], -v[60:61]
	ds_read2_b64 v[126:129], v1 offset0:34 offset1:35
	s_waitcnt lgkmcnt(0)
	v_mul_f64 v[60:61], v[128:129], v[134:135]
	v_fma_f64 v[60:61], v[126:127], v[58:59], -v[60:61]
	v_mul_f64 v[126:127], v[126:127], v[134:135]
	v_add_f64 v[54:55], v[54:55], -v[60:61]
	v_fma_f64 v[126:127], v[128:129], v[58:59], v[126:127]
	v_add_f64 v[56:57], v[56:57], -v[126:127]
	ds_read2_b64 v[126:129], v1 offset0:36 offset1:37
	s_waitcnt lgkmcnt(0)
	v_mul_f64 v[60:61], v[128:129], v[134:135]
	v_fma_f64 v[60:61], v[126:127], v[58:59], -v[60:61]
	v_mul_f64 v[126:127], v[126:127], v[134:135]
	v_add_f64 v[50:51], v[50:51], -v[60:61]
	v_fma_f64 v[126:127], v[128:129], v[58:59], v[126:127]
	v_add_f64 v[52:53], v[52:53], -v[126:127]
	;; [unrolled: 8-line block ×13, first 2 shown]
	ds_read2_b64 v[126:129], v1 offset0:60 offset1:61
	s_waitcnt lgkmcnt(0)
	v_mul_f64 v[60:61], v[128:129], v[134:135]
	v_fma_f64 v[60:61], v[126:127], v[58:59], -v[60:61]
	v_mul_f64 v[126:127], v[126:127], v[134:135]
	v_add_f64 v[2:3], v[2:3], -v[60:61]
	v_fma_f64 v[126:127], v[128:129], v[58:59], v[126:127]
	v_mov_b32_e32 v60, v134
	v_mov_b32_e32 v61, v135
	v_add_f64 v[4:5], v[4:5], -v[126:127]
.LBB60_356:
	s_or_b32 exec_lo, exec_lo, s0
	v_lshl_add_u32 v126, v140, 4, v1
	s_barrier
	buffer_gl0_inv
	v_mov_b32_e32 v134, 17
	ds_write2_b64 v126, v[54:55], v[56:57] offset1:1
	s_waitcnt lgkmcnt(0)
	s_barrier
	buffer_gl0_inv
	ds_read2_b64 v[126:129], v1 offset0:34 offset1:35
	s_cmp_lt_i32 s18, 19
	s_cbranch_scc1 .LBB60_359
; %bb.357:
	v_add3_u32 v135, v136, 0, 0x120
	v_mov_b32_e32 v134, 17
	s_mov_b32 s1, 18
	s_inst_prefetch 0x1
	.p2align	6
.LBB60_358:                             ; =>This Inner Loop Header: Depth=1
	s_waitcnt lgkmcnt(0)
	v_cmp_gt_f64_e32 vcc_lo, 0, v[128:129]
	v_cmp_gt_f64_e64 s0, 0, v[126:127]
	ds_read2_b64 v[141:144], v135 offset1:1
	v_xor_b32_e32 v146, 0x80000000, v127
	v_xor_b32_e32 v148, 0x80000000, v129
	v_mov_b32_e32 v145, v126
	v_mov_b32_e32 v147, v128
	v_add_nc_u32_e32 v135, 16, v135
	s_waitcnt lgkmcnt(0)
	v_xor_b32_e32 v150, 0x80000000, v144
	v_cndmask_b32_e64 v146, v127, v146, s0
	v_cndmask_b32_e32 v148, v129, v148, vcc_lo
	v_cmp_gt_f64_e32 vcc_lo, 0, v[143:144]
	v_cmp_gt_f64_e64 s0, 0, v[141:142]
	v_mov_b32_e32 v149, v143
	v_add_f64 v[145:146], v[145:146], v[147:148]
	v_xor_b32_e32 v148, 0x80000000, v142
	v_mov_b32_e32 v147, v141
	v_cndmask_b32_e32 v150, v144, v150, vcc_lo
	v_cndmask_b32_e64 v148, v142, v148, s0
	v_add_f64 v[147:148], v[147:148], v[149:150]
	v_cmp_lt_f64_e32 vcc_lo, v[145:146], v[147:148]
	v_cndmask_b32_e32 v127, v127, v142, vcc_lo
	v_cndmask_b32_e32 v126, v126, v141, vcc_lo
	;; [unrolled: 1-line block ×4, first 2 shown]
	v_cndmask_b32_e64 v134, v134, s1, vcc_lo
	s_add_i32 s1, s1, 1
	s_cmp_lg_u32 s18, s1
	s_cbranch_scc1 .LBB60_358
.LBB60_359:
	s_inst_prefetch 0x2
	s_waitcnt lgkmcnt(0)
	v_cmp_eq_f64_e32 vcc_lo, 0, v[126:127]
	v_cmp_eq_f64_e64 s0, 0, v[128:129]
	s_and_b32 s0, vcc_lo, s0
	s_and_saveexec_b32 s1, s0
	s_xor_b32 s0, exec_lo, s1
; %bb.360:
	v_cmp_ne_u32_e32 vcc_lo, 0, v139
	v_cndmask_b32_e32 v139, 18, v139, vcc_lo
; %bb.361:
	s_andn2_saveexec_b32 s0, s0
	s_cbranch_execz .LBB60_367
; %bb.362:
	v_cmp_ngt_f64_e64 s1, |v[126:127]|, |v[128:129]|
	s_and_saveexec_b32 s2, s1
	s_xor_b32 s1, exec_lo, s2
	s_cbranch_execz .LBB60_364
; %bb.363:
	v_div_scale_f64 v[141:142], null, v[128:129], v[128:129], v[126:127]
	v_div_scale_f64 v[147:148], vcc_lo, v[126:127], v[128:129], v[126:127]
	v_rcp_f64_e32 v[143:144], v[141:142]
	v_fma_f64 v[145:146], -v[141:142], v[143:144], 1.0
	v_fma_f64 v[143:144], v[143:144], v[145:146], v[143:144]
	v_fma_f64 v[145:146], -v[141:142], v[143:144], 1.0
	v_fma_f64 v[143:144], v[143:144], v[145:146], v[143:144]
	v_mul_f64 v[145:146], v[147:148], v[143:144]
	v_fma_f64 v[141:142], -v[141:142], v[145:146], v[147:148]
	v_div_fmas_f64 v[141:142], v[141:142], v[143:144], v[145:146]
	v_div_fixup_f64 v[141:142], v[141:142], v[128:129], v[126:127]
	v_fma_f64 v[126:127], v[126:127], v[141:142], v[128:129]
	v_div_scale_f64 v[128:129], null, v[126:127], v[126:127], 1.0
	v_rcp_f64_e32 v[143:144], v[128:129]
	v_fma_f64 v[145:146], -v[128:129], v[143:144], 1.0
	v_fma_f64 v[143:144], v[143:144], v[145:146], v[143:144]
	v_fma_f64 v[145:146], -v[128:129], v[143:144], 1.0
	v_fma_f64 v[143:144], v[143:144], v[145:146], v[143:144]
	v_div_scale_f64 v[145:146], vcc_lo, 1.0, v[126:127], 1.0
	v_mul_f64 v[147:148], v[145:146], v[143:144]
	v_fma_f64 v[128:129], -v[128:129], v[147:148], v[145:146]
	v_div_fmas_f64 v[128:129], v[128:129], v[143:144], v[147:148]
	v_div_fixup_f64 v[128:129], v[128:129], v[126:127], 1.0
	v_mul_f64 v[126:127], v[141:142], v[128:129]
	v_xor_b32_e32 v129, 0x80000000, v129
.LBB60_364:
	s_andn2_saveexec_b32 s1, s1
	s_cbranch_execz .LBB60_366
; %bb.365:
	v_div_scale_f64 v[141:142], null, v[126:127], v[126:127], v[128:129]
	v_div_scale_f64 v[147:148], vcc_lo, v[128:129], v[126:127], v[128:129]
	v_rcp_f64_e32 v[143:144], v[141:142]
	v_fma_f64 v[145:146], -v[141:142], v[143:144], 1.0
	v_fma_f64 v[143:144], v[143:144], v[145:146], v[143:144]
	v_fma_f64 v[145:146], -v[141:142], v[143:144], 1.0
	v_fma_f64 v[143:144], v[143:144], v[145:146], v[143:144]
	v_mul_f64 v[145:146], v[147:148], v[143:144]
	v_fma_f64 v[141:142], -v[141:142], v[145:146], v[147:148]
	v_div_fmas_f64 v[141:142], v[141:142], v[143:144], v[145:146]
	v_div_fixup_f64 v[141:142], v[141:142], v[126:127], v[128:129]
	v_fma_f64 v[126:127], v[128:129], v[141:142], v[126:127]
	v_div_scale_f64 v[128:129], null, v[126:127], v[126:127], 1.0
	v_rcp_f64_e32 v[143:144], v[128:129]
	v_fma_f64 v[145:146], -v[128:129], v[143:144], 1.0
	v_fma_f64 v[143:144], v[143:144], v[145:146], v[143:144]
	v_fma_f64 v[145:146], -v[128:129], v[143:144], 1.0
	v_fma_f64 v[143:144], v[143:144], v[145:146], v[143:144]
	v_div_scale_f64 v[145:146], vcc_lo, 1.0, v[126:127], 1.0
	v_mul_f64 v[147:148], v[145:146], v[143:144]
	v_fma_f64 v[128:129], -v[128:129], v[147:148], v[145:146]
	v_div_fmas_f64 v[128:129], v[128:129], v[143:144], v[147:148]
	v_div_fixup_f64 v[126:127], v[128:129], v[126:127], 1.0
	v_mul_f64 v[128:129], v[141:142], -v[126:127]
.LBB60_366:
	s_or_b32 exec_lo, exec_lo, s1
.LBB60_367:
	s_or_b32 exec_lo, exec_lo, s0
	s_mov_b32 s0, exec_lo
	v_cmpx_ne_u32_e64 v140, v134
	s_xor_b32 s0, exec_lo, s0
	s_cbranch_execz .LBB60_373
; %bb.368:
	s_mov_b32 s1, exec_lo
	v_cmpx_eq_u32_e32 17, v140
	s_cbranch_execz .LBB60_372
; %bb.369:
	v_cmp_ne_u32_e32 vcc_lo, 17, v134
	s_xor_b32 s2, s16, -1
	s_and_b32 s3, s2, vcc_lo
	s_and_saveexec_b32 s2, s3
	s_cbranch_execz .LBB60_371
; %bb.370:
	v_ashrrev_i32_e32 v135, 31, v134
	v_lshlrev_b64 v[140:141], 2, v[134:135]
	v_add_co_u32 v140, vcc_lo, v132, v140
	v_add_co_ci_u32_e64 v141, null, v133, v141, vcc_lo
	s_clause 0x1
	global_load_dword v0, v[140:141], off
	global_load_dword v135, v[132:133], off offset:68
	s_waitcnt vmcnt(1)
	global_store_dword v[132:133], v0, off offset:68
	s_waitcnt vmcnt(0)
	global_store_dword v[140:141], v135, off
.LBB60_371:
	s_or_b32 exec_lo, exec_lo, s2
	v_mov_b32_e32 v140, v134
	v_mov_b32_e32 v0, v134
.LBB60_372:
	s_or_b32 exec_lo, exec_lo, s1
.LBB60_373:
	s_andn2_saveexec_b32 s0, s0
	s_cbranch_execz .LBB60_375
; %bb.374:
	v_mov_b32_e32 v140, 17
	ds_write2_b64 v1, v[50:51], v[52:53] offset0:36 offset1:37
	ds_write2_b64 v1, v[46:47], v[48:49] offset0:38 offset1:39
	;; [unrolled: 1-line block ×13, first 2 shown]
.LBB60_375:
	s_or_b32 exec_lo, exec_lo, s0
	s_mov_b32 s0, exec_lo
	s_waitcnt lgkmcnt(0)
	s_waitcnt_vscnt null, 0x0
	s_barrier
	buffer_gl0_inv
	v_cmpx_lt_i32_e32 17, v140
	s_cbranch_execz .LBB60_377
; %bb.376:
	v_mul_f64 v[134:135], v[126:127], v[56:57]
	v_mul_f64 v[56:57], v[128:129], v[56:57]
	v_fma_f64 v[134:135], v[128:129], v[54:55], v[134:135]
	v_fma_f64 v[54:55], v[126:127], v[54:55], -v[56:57]
	ds_read2_b64 v[126:129], v1 offset0:36 offset1:37
	s_waitcnt lgkmcnt(0)
	v_mul_f64 v[56:57], v[128:129], v[134:135]
	v_fma_f64 v[56:57], v[126:127], v[54:55], -v[56:57]
	v_mul_f64 v[126:127], v[126:127], v[134:135]
	v_add_f64 v[50:51], v[50:51], -v[56:57]
	v_fma_f64 v[126:127], v[128:129], v[54:55], v[126:127]
	v_add_f64 v[52:53], v[52:53], -v[126:127]
	ds_read2_b64 v[126:129], v1 offset0:38 offset1:39
	s_waitcnt lgkmcnt(0)
	v_mul_f64 v[56:57], v[128:129], v[134:135]
	v_fma_f64 v[56:57], v[126:127], v[54:55], -v[56:57]
	v_mul_f64 v[126:127], v[126:127], v[134:135]
	v_add_f64 v[46:47], v[46:47], -v[56:57]
	v_fma_f64 v[126:127], v[128:129], v[54:55], v[126:127]
	v_add_f64 v[48:49], v[48:49], -v[126:127]
	;; [unrolled: 8-line block ×12, first 2 shown]
	ds_read2_b64 v[126:129], v1 offset0:60 offset1:61
	s_waitcnt lgkmcnt(0)
	v_mul_f64 v[56:57], v[128:129], v[134:135]
	v_fma_f64 v[56:57], v[126:127], v[54:55], -v[56:57]
	v_mul_f64 v[126:127], v[126:127], v[134:135]
	v_add_f64 v[2:3], v[2:3], -v[56:57]
	v_fma_f64 v[126:127], v[128:129], v[54:55], v[126:127]
	v_mov_b32_e32 v56, v134
	v_mov_b32_e32 v57, v135
	v_add_f64 v[4:5], v[4:5], -v[126:127]
.LBB60_377:
	s_or_b32 exec_lo, exec_lo, s0
	v_lshl_add_u32 v126, v140, 4, v1
	s_barrier
	buffer_gl0_inv
	v_mov_b32_e32 v134, 18
	ds_write2_b64 v126, v[50:51], v[52:53] offset1:1
	s_waitcnt lgkmcnt(0)
	s_barrier
	buffer_gl0_inv
	ds_read2_b64 v[126:129], v1 offset0:36 offset1:37
	s_cmp_lt_i32 s18, 20
	s_cbranch_scc1 .LBB60_380
; %bb.378:
	v_add3_u32 v135, v136, 0, 0x130
	v_mov_b32_e32 v134, 18
	s_mov_b32 s1, 19
	s_inst_prefetch 0x1
	.p2align	6
.LBB60_379:                             ; =>This Inner Loop Header: Depth=1
	s_waitcnt lgkmcnt(0)
	v_cmp_gt_f64_e32 vcc_lo, 0, v[128:129]
	v_cmp_gt_f64_e64 s0, 0, v[126:127]
	ds_read2_b64 v[141:144], v135 offset1:1
	v_xor_b32_e32 v146, 0x80000000, v127
	v_xor_b32_e32 v148, 0x80000000, v129
	v_mov_b32_e32 v145, v126
	v_mov_b32_e32 v147, v128
	v_add_nc_u32_e32 v135, 16, v135
	s_waitcnt lgkmcnt(0)
	v_xor_b32_e32 v150, 0x80000000, v144
	v_cndmask_b32_e64 v146, v127, v146, s0
	v_cndmask_b32_e32 v148, v129, v148, vcc_lo
	v_cmp_gt_f64_e32 vcc_lo, 0, v[143:144]
	v_cmp_gt_f64_e64 s0, 0, v[141:142]
	v_mov_b32_e32 v149, v143
	v_add_f64 v[145:146], v[145:146], v[147:148]
	v_xor_b32_e32 v148, 0x80000000, v142
	v_mov_b32_e32 v147, v141
	v_cndmask_b32_e32 v150, v144, v150, vcc_lo
	v_cndmask_b32_e64 v148, v142, v148, s0
	v_add_f64 v[147:148], v[147:148], v[149:150]
	v_cmp_lt_f64_e32 vcc_lo, v[145:146], v[147:148]
	v_cndmask_b32_e32 v127, v127, v142, vcc_lo
	v_cndmask_b32_e32 v126, v126, v141, vcc_lo
	;; [unrolled: 1-line block ×4, first 2 shown]
	v_cndmask_b32_e64 v134, v134, s1, vcc_lo
	s_add_i32 s1, s1, 1
	s_cmp_lg_u32 s18, s1
	s_cbranch_scc1 .LBB60_379
.LBB60_380:
	s_inst_prefetch 0x2
	s_waitcnt lgkmcnt(0)
	v_cmp_eq_f64_e32 vcc_lo, 0, v[126:127]
	v_cmp_eq_f64_e64 s0, 0, v[128:129]
	s_and_b32 s0, vcc_lo, s0
	s_and_saveexec_b32 s1, s0
	s_xor_b32 s0, exec_lo, s1
; %bb.381:
	v_cmp_ne_u32_e32 vcc_lo, 0, v139
	v_cndmask_b32_e32 v139, 19, v139, vcc_lo
; %bb.382:
	s_andn2_saveexec_b32 s0, s0
	s_cbranch_execz .LBB60_388
; %bb.383:
	v_cmp_ngt_f64_e64 s1, |v[126:127]|, |v[128:129]|
	s_and_saveexec_b32 s2, s1
	s_xor_b32 s1, exec_lo, s2
	s_cbranch_execz .LBB60_385
; %bb.384:
	v_div_scale_f64 v[141:142], null, v[128:129], v[128:129], v[126:127]
	v_div_scale_f64 v[147:148], vcc_lo, v[126:127], v[128:129], v[126:127]
	v_rcp_f64_e32 v[143:144], v[141:142]
	v_fma_f64 v[145:146], -v[141:142], v[143:144], 1.0
	v_fma_f64 v[143:144], v[143:144], v[145:146], v[143:144]
	v_fma_f64 v[145:146], -v[141:142], v[143:144], 1.0
	v_fma_f64 v[143:144], v[143:144], v[145:146], v[143:144]
	v_mul_f64 v[145:146], v[147:148], v[143:144]
	v_fma_f64 v[141:142], -v[141:142], v[145:146], v[147:148]
	v_div_fmas_f64 v[141:142], v[141:142], v[143:144], v[145:146]
	v_div_fixup_f64 v[141:142], v[141:142], v[128:129], v[126:127]
	v_fma_f64 v[126:127], v[126:127], v[141:142], v[128:129]
	v_div_scale_f64 v[128:129], null, v[126:127], v[126:127], 1.0
	v_rcp_f64_e32 v[143:144], v[128:129]
	v_fma_f64 v[145:146], -v[128:129], v[143:144], 1.0
	v_fma_f64 v[143:144], v[143:144], v[145:146], v[143:144]
	v_fma_f64 v[145:146], -v[128:129], v[143:144], 1.0
	v_fma_f64 v[143:144], v[143:144], v[145:146], v[143:144]
	v_div_scale_f64 v[145:146], vcc_lo, 1.0, v[126:127], 1.0
	v_mul_f64 v[147:148], v[145:146], v[143:144]
	v_fma_f64 v[128:129], -v[128:129], v[147:148], v[145:146]
	v_div_fmas_f64 v[128:129], v[128:129], v[143:144], v[147:148]
	v_div_fixup_f64 v[128:129], v[128:129], v[126:127], 1.0
	v_mul_f64 v[126:127], v[141:142], v[128:129]
	v_xor_b32_e32 v129, 0x80000000, v129
.LBB60_385:
	s_andn2_saveexec_b32 s1, s1
	s_cbranch_execz .LBB60_387
; %bb.386:
	v_div_scale_f64 v[141:142], null, v[126:127], v[126:127], v[128:129]
	v_div_scale_f64 v[147:148], vcc_lo, v[128:129], v[126:127], v[128:129]
	v_rcp_f64_e32 v[143:144], v[141:142]
	v_fma_f64 v[145:146], -v[141:142], v[143:144], 1.0
	v_fma_f64 v[143:144], v[143:144], v[145:146], v[143:144]
	v_fma_f64 v[145:146], -v[141:142], v[143:144], 1.0
	v_fma_f64 v[143:144], v[143:144], v[145:146], v[143:144]
	v_mul_f64 v[145:146], v[147:148], v[143:144]
	v_fma_f64 v[141:142], -v[141:142], v[145:146], v[147:148]
	v_div_fmas_f64 v[141:142], v[141:142], v[143:144], v[145:146]
	v_div_fixup_f64 v[141:142], v[141:142], v[126:127], v[128:129]
	v_fma_f64 v[126:127], v[128:129], v[141:142], v[126:127]
	v_div_scale_f64 v[128:129], null, v[126:127], v[126:127], 1.0
	v_rcp_f64_e32 v[143:144], v[128:129]
	v_fma_f64 v[145:146], -v[128:129], v[143:144], 1.0
	v_fma_f64 v[143:144], v[143:144], v[145:146], v[143:144]
	v_fma_f64 v[145:146], -v[128:129], v[143:144], 1.0
	v_fma_f64 v[143:144], v[143:144], v[145:146], v[143:144]
	v_div_scale_f64 v[145:146], vcc_lo, 1.0, v[126:127], 1.0
	v_mul_f64 v[147:148], v[145:146], v[143:144]
	v_fma_f64 v[128:129], -v[128:129], v[147:148], v[145:146]
	v_div_fmas_f64 v[128:129], v[128:129], v[143:144], v[147:148]
	v_div_fixup_f64 v[126:127], v[128:129], v[126:127], 1.0
	v_mul_f64 v[128:129], v[141:142], -v[126:127]
.LBB60_387:
	s_or_b32 exec_lo, exec_lo, s1
.LBB60_388:
	s_or_b32 exec_lo, exec_lo, s0
	s_mov_b32 s0, exec_lo
	v_cmpx_ne_u32_e64 v140, v134
	s_xor_b32 s0, exec_lo, s0
	s_cbranch_execz .LBB60_394
; %bb.389:
	s_mov_b32 s1, exec_lo
	v_cmpx_eq_u32_e32 18, v140
	s_cbranch_execz .LBB60_393
; %bb.390:
	v_cmp_ne_u32_e32 vcc_lo, 18, v134
	s_xor_b32 s2, s16, -1
	s_and_b32 s3, s2, vcc_lo
	s_and_saveexec_b32 s2, s3
	s_cbranch_execz .LBB60_392
; %bb.391:
	v_ashrrev_i32_e32 v135, 31, v134
	v_lshlrev_b64 v[140:141], 2, v[134:135]
	v_add_co_u32 v140, vcc_lo, v132, v140
	v_add_co_ci_u32_e64 v141, null, v133, v141, vcc_lo
	s_clause 0x1
	global_load_dword v0, v[140:141], off
	global_load_dword v135, v[132:133], off offset:72
	s_waitcnt vmcnt(1)
	global_store_dword v[132:133], v0, off offset:72
	s_waitcnt vmcnt(0)
	global_store_dword v[140:141], v135, off
.LBB60_392:
	s_or_b32 exec_lo, exec_lo, s2
	v_mov_b32_e32 v140, v134
	v_mov_b32_e32 v0, v134
.LBB60_393:
	s_or_b32 exec_lo, exec_lo, s1
.LBB60_394:
	s_andn2_saveexec_b32 s0, s0
	s_cbranch_execz .LBB60_396
; %bb.395:
	v_mov_b32_e32 v140, 18
	ds_write2_b64 v1, v[46:47], v[48:49] offset0:38 offset1:39
	ds_write2_b64 v1, v[42:43], v[44:45] offset0:40 offset1:41
	;; [unrolled: 1-line block ×12, first 2 shown]
.LBB60_396:
	s_or_b32 exec_lo, exec_lo, s0
	s_mov_b32 s0, exec_lo
	s_waitcnt lgkmcnt(0)
	s_waitcnt_vscnt null, 0x0
	s_barrier
	buffer_gl0_inv
	v_cmpx_lt_i32_e32 18, v140
	s_cbranch_execz .LBB60_398
; %bb.397:
	v_mul_f64 v[134:135], v[126:127], v[52:53]
	v_mul_f64 v[52:53], v[128:129], v[52:53]
	v_fma_f64 v[134:135], v[128:129], v[50:51], v[134:135]
	v_fma_f64 v[50:51], v[126:127], v[50:51], -v[52:53]
	ds_read2_b64 v[126:129], v1 offset0:38 offset1:39
	s_waitcnt lgkmcnt(0)
	v_mul_f64 v[52:53], v[128:129], v[134:135]
	v_fma_f64 v[52:53], v[126:127], v[50:51], -v[52:53]
	v_mul_f64 v[126:127], v[126:127], v[134:135]
	v_add_f64 v[46:47], v[46:47], -v[52:53]
	v_fma_f64 v[126:127], v[128:129], v[50:51], v[126:127]
	v_add_f64 v[48:49], v[48:49], -v[126:127]
	ds_read2_b64 v[126:129], v1 offset0:40 offset1:41
	s_waitcnt lgkmcnt(0)
	v_mul_f64 v[52:53], v[128:129], v[134:135]
	v_fma_f64 v[52:53], v[126:127], v[50:51], -v[52:53]
	v_mul_f64 v[126:127], v[126:127], v[134:135]
	v_add_f64 v[42:43], v[42:43], -v[52:53]
	v_fma_f64 v[126:127], v[128:129], v[50:51], v[126:127]
	v_add_f64 v[44:45], v[44:45], -v[126:127]
	;; [unrolled: 8-line block ×11, first 2 shown]
	ds_read2_b64 v[126:129], v1 offset0:60 offset1:61
	s_waitcnt lgkmcnt(0)
	v_mul_f64 v[52:53], v[128:129], v[134:135]
	v_fma_f64 v[52:53], v[126:127], v[50:51], -v[52:53]
	v_mul_f64 v[126:127], v[126:127], v[134:135]
	v_add_f64 v[2:3], v[2:3], -v[52:53]
	v_fma_f64 v[126:127], v[128:129], v[50:51], v[126:127]
	v_mov_b32_e32 v52, v134
	v_mov_b32_e32 v53, v135
	v_add_f64 v[4:5], v[4:5], -v[126:127]
.LBB60_398:
	s_or_b32 exec_lo, exec_lo, s0
	v_lshl_add_u32 v126, v140, 4, v1
	s_barrier
	buffer_gl0_inv
	v_mov_b32_e32 v134, 19
	ds_write2_b64 v126, v[46:47], v[48:49] offset1:1
	s_waitcnt lgkmcnt(0)
	s_barrier
	buffer_gl0_inv
	ds_read2_b64 v[126:129], v1 offset0:38 offset1:39
	s_cmp_lt_i32 s18, 21
	s_cbranch_scc1 .LBB60_401
; %bb.399:
	v_add3_u32 v135, v136, 0, 0x140
	v_mov_b32_e32 v134, 19
	s_mov_b32 s1, 20
	s_inst_prefetch 0x1
	.p2align	6
.LBB60_400:                             ; =>This Inner Loop Header: Depth=1
	s_waitcnt lgkmcnt(0)
	v_cmp_gt_f64_e32 vcc_lo, 0, v[128:129]
	v_cmp_gt_f64_e64 s0, 0, v[126:127]
	ds_read2_b64 v[141:144], v135 offset1:1
	v_xor_b32_e32 v146, 0x80000000, v127
	v_xor_b32_e32 v148, 0x80000000, v129
	v_mov_b32_e32 v145, v126
	v_mov_b32_e32 v147, v128
	v_add_nc_u32_e32 v135, 16, v135
	s_waitcnt lgkmcnt(0)
	v_xor_b32_e32 v150, 0x80000000, v144
	v_cndmask_b32_e64 v146, v127, v146, s0
	v_cndmask_b32_e32 v148, v129, v148, vcc_lo
	v_cmp_gt_f64_e32 vcc_lo, 0, v[143:144]
	v_cmp_gt_f64_e64 s0, 0, v[141:142]
	v_mov_b32_e32 v149, v143
	v_add_f64 v[145:146], v[145:146], v[147:148]
	v_xor_b32_e32 v148, 0x80000000, v142
	v_mov_b32_e32 v147, v141
	v_cndmask_b32_e32 v150, v144, v150, vcc_lo
	v_cndmask_b32_e64 v148, v142, v148, s0
	v_add_f64 v[147:148], v[147:148], v[149:150]
	v_cmp_lt_f64_e32 vcc_lo, v[145:146], v[147:148]
	v_cndmask_b32_e32 v127, v127, v142, vcc_lo
	v_cndmask_b32_e32 v126, v126, v141, vcc_lo
	;; [unrolled: 1-line block ×4, first 2 shown]
	v_cndmask_b32_e64 v134, v134, s1, vcc_lo
	s_add_i32 s1, s1, 1
	s_cmp_lg_u32 s18, s1
	s_cbranch_scc1 .LBB60_400
.LBB60_401:
	s_inst_prefetch 0x2
	s_waitcnt lgkmcnt(0)
	v_cmp_eq_f64_e32 vcc_lo, 0, v[126:127]
	v_cmp_eq_f64_e64 s0, 0, v[128:129]
	s_and_b32 s0, vcc_lo, s0
	s_and_saveexec_b32 s1, s0
	s_xor_b32 s0, exec_lo, s1
; %bb.402:
	v_cmp_ne_u32_e32 vcc_lo, 0, v139
	v_cndmask_b32_e32 v139, 20, v139, vcc_lo
; %bb.403:
	s_andn2_saveexec_b32 s0, s0
	s_cbranch_execz .LBB60_409
; %bb.404:
	v_cmp_ngt_f64_e64 s1, |v[126:127]|, |v[128:129]|
	s_and_saveexec_b32 s2, s1
	s_xor_b32 s1, exec_lo, s2
	s_cbranch_execz .LBB60_406
; %bb.405:
	v_div_scale_f64 v[141:142], null, v[128:129], v[128:129], v[126:127]
	v_div_scale_f64 v[147:148], vcc_lo, v[126:127], v[128:129], v[126:127]
	v_rcp_f64_e32 v[143:144], v[141:142]
	v_fma_f64 v[145:146], -v[141:142], v[143:144], 1.0
	v_fma_f64 v[143:144], v[143:144], v[145:146], v[143:144]
	v_fma_f64 v[145:146], -v[141:142], v[143:144], 1.0
	v_fma_f64 v[143:144], v[143:144], v[145:146], v[143:144]
	v_mul_f64 v[145:146], v[147:148], v[143:144]
	v_fma_f64 v[141:142], -v[141:142], v[145:146], v[147:148]
	v_div_fmas_f64 v[141:142], v[141:142], v[143:144], v[145:146]
	v_div_fixup_f64 v[141:142], v[141:142], v[128:129], v[126:127]
	v_fma_f64 v[126:127], v[126:127], v[141:142], v[128:129]
	v_div_scale_f64 v[128:129], null, v[126:127], v[126:127], 1.0
	v_rcp_f64_e32 v[143:144], v[128:129]
	v_fma_f64 v[145:146], -v[128:129], v[143:144], 1.0
	v_fma_f64 v[143:144], v[143:144], v[145:146], v[143:144]
	v_fma_f64 v[145:146], -v[128:129], v[143:144], 1.0
	v_fma_f64 v[143:144], v[143:144], v[145:146], v[143:144]
	v_div_scale_f64 v[145:146], vcc_lo, 1.0, v[126:127], 1.0
	v_mul_f64 v[147:148], v[145:146], v[143:144]
	v_fma_f64 v[128:129], -v[128:129], v[147:148], v[145:146]
	v_div_fmas_f64 v[128:129], v[128:129], v[143:144], v[147:148]
	v_div_fixup_f64 v[128:129], v[128:129], v[126:127], 1.0
	v_mul_f64 v[126:127], v[141:142], v[128:129]
	v_xor_b32_e32 v129, 0x80000000, v129
.LBB60_406:
	s_andn2_saveexec_b32 s1, s1
	s_cbranch_execz .LBB60_408
; %bb.407:
	v_div_scale_f64 v[141:142], null, v[126:127], v[126:127], v[128:129]
	v_div_scale_f64 v[147:148], vcc_lo, v[128:129], v[126:127], v[128:129]
	v_rcp_f64_e32 v[143:144], v[141:142]
	v_fma_f64 v[145:146], -v[141:142], v[143:144], 1.0
	v_fma_f64 v[143:144], v[143:144], v[145:146], v[143:144]
	v_fma_f64 v[145:146], -v[141:142], v[143:144], 1.0
	v_fma_f64 v[143:144], v[143:144], v[145:146], v[143:144]
	v_mul_f64 v[145:146], v[147:148], v[143:144]
	v_fma_f64 v[141:142], -v[141:142], v[145:146], v[147:148]
	v_div_fmas_f64 v[141:142], v[141:142], v[143:144], v[145:146]
	v_div_fixup_f64 v[141:142], v[141:142], v[126:127], v[128:129]
	v_fma_f64 v[126:127], v[128:129], v[141:142], v[126:127]
	v_div_scale_f64 v[128:129], null, v[126:127], v[126:127], 1.0
	v_rcp_f64_e32 v[143:144], v[128:129]
	v_fma_f64 v[145:146], -v[128:129], v[143:144], 1.0
	v_fma_f64 v[143:144], v[143:144], v[145:146], v[143:144]
	v_fma_f64 v[145:146], -v[128:129], v[143:144], 1.0
	v_fma_f64 v[143:144], v[143:144], v[145:146], v[143:144]
	v_div_scale_f64 v[145:146], vcc_lo, 1.0, v[126:127], 1.0
	v_mul_f64 v[147:148], v[145:146], v[143:144]
	v_fma_f64 v[128:129], -v[128:129], v[147:148], v[145:146]
	v_div_fmas_f64 v[128:129], v[128:129], v[143:144], v[147:148]
	v_div_fixup_f64 v[126:127], v[128:129], v[126:127], 1.0
	v_mul_f64 v[128:129], v[141:142], -v[126:127]
.LBB60_408:
	s_or_b32 exec_lo, exec_lo, s1
.LBB60_409:
	s_or_b32 exec_lo, exec_lo, s0
	s_mov_b32 s0, exec_lo
	v_cmpx_ne_u32_e64 v140, v134
	s_xor_b32 s0, exec_lo, s0
	s_cbranch_execz .LBB60_415
; %bb.410:
	s_mov_b32 s1, exec_lo
	v_cmpx_eq_u32_e32 19, v140
	s_cbranch_execz .LBB60_414
; %bb.411:
	v_cmp_ne_u32_e32 vcc_lo, 19, v134
	s_xor_b32 s2, s16, -1
	s_and_b32 s3, s2, vcc_lo
	s_and_saveexec_b32 s2, s3
	s_cbranch_execz .LBB60_413
; %bb.412:
	v_ashrrev_i32_e32 v135, 31, v134
	v_lshlrev_b64 v[140:141], 2, v[134:135]
	v_add_co_u32 v140, vcc_lo, v132, v140
	v_add_co_ci_u32_e64 v141, null, v133, v141, vcc_lo
	s_clause 0x1
	global_load_dword v0, v[140:141], off
	global_load_dword v135, v[132:133], off offset:76
	s_waitcnt vmcnt(1)
	global_store_dword v[132:133], v0, off offset:76
	s_waitcnt vmcnt(0)
	global_store_dword v[140:141], v135, off
.LBB60_413:
	s_or_b32 exec_lo, exec_lo, s2
	v_mov_b32_e32 v140, v134
	v_mov_b32_e32 v0, v134
.LBB60_414:
	s_or_b32 exec_lo, exec_lo, s1
.LBB60_415:
	s_andn2_saveexec_b32 s0, s0
	s_cbranch_execz .LBB60_417
; %bb.416:
	v_mov_b32_e32 v140, 19
	ds_write2_b64 v1, v[42:43], v[44:45] offset0:40 offset1:41
	ds_write2_b64 v1, v[38:39], v[40:41] offset0:42 offset1:43
	;; [unrolled: 1-line block ×11, first 2 shown]
.LBB60_417:
	s_or_b32 exec_lo, exec_lo, s0
	s_mov_b32 s0, exec_lo
	s_waitcnt lgkmcnt(0)
	s_waitcnt_vscnt null, 0x0
	s_barrier
	buffer_gl0_inv
	v_cmpx_lt_i32_e32 19, v140
	s_cbranch_execz .LBB60_419
; %bb.418:
	v_mul_f64 v[134:135], v[126:127], v[48:49]
	v_mul_f64 v[48:49], v[128:129], v[48:49]
	v_fma_f64 v[134:135], v[128:129], v[46:47], v[134:135]
	v_fma_f64 v[46:47], v[126:127], v[46:47], -v[48:49]
	ds_read2_b64 v[126:129], v1 offset0:40 offset1:41
	s_waitcnt lgkmcnt(0)
	v_mul_f64 v[48:49], v[128:129], v[134:135]
	v_fma_f64 v[48:49], v[126:127], v[46:47], -v[48:49]
	v_mul_f64 v[126:127], v[126:127], v[134:135]
	v_add_f64 v[42:43], v[42:43], -v[48:49]
	v_fma_f64 v[126:127], v[128:129], v[46:47], v[126:127]
	v_add_f64 v[44:45], v[44:45], -v[126:127]
	ds_read2_b64 v[126:129], v1 offset0:42 offset1:43
	s_waitcnt lgkmcnt(0)
	v_mul_f64 v[48:49], v[128:129], v[134:135]
	v_fma_f64 v[48:49], v[126:127], v[46:47], -v[48:49]
	v_mul_f64 v[126:127], v[126:127], v[134:135]
	v_add_f64 v[38:39], v[38:39], -v[48:49]
	v_fma_f64 v[126:127], v[128:129], v[46:47], v[126:127]
	v_add_f64 v[40:41], v[40:41], -v[126:127]
	;; [unrolled: 8-line block ×10, first 2 shown]
	ds_read2_b64 v[126:129], v1 offset0:60 offset1:61
	s_waitcnt lgkmcnt(0)
	v_mul_f64 v[48:49], v[128:129], v[134:135]
	v_fma_f64 v[48:49], v[126:127], v[46:47], -v[48:49]
	v_mul_f64 v[126:127], v[126:127], v[134:135]
	v_add_f64 v[2:3], v[2:3], -v[48:49]
	v_fma_f64 v[126:127], v[128:129], v[46:47], v[126:127]
	v_mov_b32_e32 v48, v134
	v_mov_b32_e32 v49, v135
	v_add_f64 v[4:5], v[4:5], -v[126:127]
.LBB60_419:
	s_or_b32 exec_lo, exec_lo, s0
	v_lshl_add_u32 v126, v140, 4, v1
	s_barrier
	buffer_gl0_inv
	v_mov_b32_e32 v134, 20
	ds_write2_b64 v126, v[42:43], v[44:45] offset1:1
	s_waitcnt lgkmcnt(0)
	s_barrier
	buffer_gl0_inv
	ds_read2_b64 v[126:129], v1 offset0:40 offset1:41
	s_cmp_lt_i32 s18, 22
	s_cbranch_scc1 .LBB60_422
; %bb.420:
	v_add3_u32 v135, v136, 0, 0x150
	v_mov_b32_e32 v134, 20
	s_mov_b32 s1, 21
	s_inst_prefetch 0x1
	.p2align	6
.LBB60_421:                             ; =>This Inner Loop Header: Depth=1
	s_waitcnt lgkmcnt(0)
	v_cmp_gt_f64_e32 vcc_lo, 0, v[128:129]
	v_cmp_gt_f64_e64 s0, 0, v[126:127]
	ds_read2_b64 v[141:144], v135 offset1:1
	v_xor_b32_e32 v146, 0x80000000, v127
	v_xor_b32_e32 v148, 0x80000000, v129
	v_mov_b32_e32 v145, v126
	v_mov_b32_e32 v147, v128
	v_add_nc_u32_e32 v135, 16, v135
	s_waitcnt lgkmcnt(0)
	v_xor_b32_e32 v150, 0x80000000, v144
	v_cndmask_b32_e64 v146, v127, v146, s0
	v_cndmask_b32_e32 v148, v129, v148, vcc_lo
	v_cmp_gt_f64_e32 vcc_lo, 0, v[143:144]
	v_cmp_gt_f64_e64 s0, 0, v[141:142]
	v_mov_b32_e32 v149, v143
	v_add_f64 v[145:146], v[145:146], v[147:148]
	v_xor_b32_e32 v148, 0x80000000, v142
	v_mov_b32_e32 v147, v141
	v_cndmask_b32_e32 v150, v144, v150, vcc_lo
	v_cndmask_b32_e64 v148, v142, v148, s0
	v_add_f64 v[147:148], v[147:148], v[149:150]
	v_cmp_lt_f64_e32 vcc_lo, v[145:146], v[147:148]
	v_cndmask_b32_e32 v127, v127, v142, vcc_lo
	v_cndmask_b32_e32 v126, v126, v141, vcc_lo
	;; [unrolled: 1-line block ×4, first 2 shown]
	v_cndmask_b32_e64 v134, v134, s1, vcc_lo
	s_add_i32 s1, s1, 1
	s_cmp_lg_u32 s18, s1
	s_cbranch_scc1 .LBB60_421
.LBB60_422:
	s_inst_prefetch 0x2
	s_waitcnt lgkmcnt(0)
	v_cmp_eq_f64_e32 vcc_lo, 0, v[126:127]
	v_cmp_eq_f64_e64 s0, 0, v[128:129]
	s_and_b32 s0, vcc_lo, s0
	s_and_saveexec_b32 s1, s0
	s_xor_b32 s0, exec_lo, s1
; %bb.423:
	v_cmp_ne_u32_e32 vcc_lo, 0, v139
	v_cndmask_b32_e32 v139, 21, v139, vcc_lo
; %bb.424:
	s_andn2_saveexec_b32 s0, s0
	s_cbranch_execz .LBB60_430
; %bb.425:
	v_cmp_ngt_f64_e64 s1, |v[126:127]|, |v[128:129]|
	s_and_saveexec_b32 s2, s1
	s_xor_b32 s1, exec_lo, s2
	s_cbranch_execz .LBB60_427
; %bb.426:
	v_div_scale_f64 v[141:142], null, v[128:129], v[128:129], v[126:127]
	v_div_scale_f64 v[147:148], vcc_lo, v[126:127], v[128:129], v[126:127]
	v_rcp_f64_e32 v[143:144], v[141:142]
	v_fma_f64 v[145:146], -v[141:142], v[143:144], 1.0
	v_fma_f64 v[143:144], v[143:144], v[145:146], v[143:144]
	v_fma_f64 v[145:146], -v[141:142], v[143:144], 1.0
	v_fma_f64 v[143:144], v[143:144], v[145:146], v[143:144]
	v_mul_f64 v[145:146], v[147:148], v[143:144]
	v_fma_f64 v[141:142], -v[141:142], v[145:146], v[147:148]
	v_div_fmas_f64 v[141:142], v[141:142], v[143:144], v[145:146]
	v_div_fixup_f64 v[141:142], v[141:142], v[128:129], v[126:127]
	v_fma_f64 v[126:127], v[126:127], v[141:142], v[128:129]
	v_div_scale_f64 v[128:129], null, v[126:127], v[126:127], 1.0
	v_rcp_f64_e32 v[143:144], v[128:129]
	v_fma_f64 v[145:146], -v[128:129], v[143:144], 1.0
	v_fma_f64 v[143:144], v[143:144], v[145:146], v[143:144]
	v_fma_f64 v[145:146], -v[128:129], v[143:144], 1.0
	v_fma_f64 v[143:144], v[143:144], v[145:146], v[143:144]
	v_div_scale_f64 v[145:146], vcc_lo, 1.0, v[126:127], 1.0
	v_mul_f64 v[147:148], v[145:146], v[143:144]
	v_fma_f64 v[128:129], -v[128:129], v[147:148], v[145:146]
	v_div_fmas_f64 v[128:129], v[128:129], v[143:144], v[147:148]
	v_div_fixup_f64 v[128:129], v[128:129], v[126:127], 1.0
	v_mul_f64 v[126:127], v[141:142], v[128:129]
	v_xor_b32_e32 v129, 0x80000000, v129
.LBB60_427:
	s_andn2_saveexec_b32 s1, s1
	s_cbranch_execz .LBB60_429
; %bb.428:
	v_div_scale_f64 v[141:142], null, v[126:127], v[126:127], v[128:129]
	v_div_scale_f64 v[147:148], vcc_lo, v[128:129], v[126:127], v[128:129]
	v_rcp_f64_e32 v[143:144], v[141:142]
	v_fma_f64 v[145:146], -v[141:142], v[143:144], 1.0
	v_fma_f64 v[143:144], v[143:144], v[145:146], v[143:144]
	v_fma_f64 v[145:146], -v[141:142], v[143:144], 1.0
	v_fma_f64 v[143:144], v[143:144], v[145:146], v[143:144]
	v_mul_f64 v[145:146], v[147:148], v[143:144]
	v_fma_f64 v[141:142], -v[141:142], v[145:146], v[147:148]
	v_div_fmas_f64 v[141:142], v[141:142], v[143:144], v[145:146]
	v_div_fixup_f64 v[141:142], v[141:142], v[126:127], v[128:129]
	v_fma_f64 v[126:127], v[128:129], v[141:142], v[126:127]
	v_div_scale_f64 v[128:129], null, v[126:127], v[126:127], 1.0
	v_rcp_f64_e32 v[143:144], v[128:129]
	v_fma_f64 v[145:146], -v[128:129], v[143:144], 1.0
	v_fma_f64 v[143:144], v[143:144], v[145:146], v[143:144]
	v_fma_f64 v[145:146], -v[128:129], v[143:144], 1.0
	v_fma_f64 v[143:144], v[143:144], v[145:146], v[143:144]
	v_div_scale_f64 v[145:146], vcc_lo, 1.0, v[126:127], 1.0
	v_mul_f64 v[147:148], v[145:146], v[143:144]
	v_fma_f64 v[128:129], -v[128:129], v[147:148], v[145:146]
	v_div_fmas_f64 v[128:129], v[128:129], v[143:144], v[147:148]
	v_div_fixup_f64 v[126:127], v[128:129], v[126:127], 1.0
	v_mul_f64 v[128:129], v[141:142], -v[126:127]
.LBB60_429:
	s_or_b32 exec_lo, exec_lo, s1
.LBB60_430:
	s_or_b32 exec_lo, exec_lo, s0
	s_mov_b32 s0, exec_lo
	v_cmpx_ne_u32_e64 v140, v134
	s_xor_b32 s0, exec_lo, s0
	s_cbranch_execz .LBB60_436
; %bb.431:
	s_mov_b32 s1, exec_lo
	v_cmpx_eq_u32_e32 20, v140
	s_cbranch_execz .LBB60_435
; %bb.432:
	v_cmp_ne_u32_e32 vcc_lo, 20, v134
	s_xor_b32 s2, s16, -1
	s_and_b32 s3, s2, vcc_lo
	s_and_saveexec_b32 s2, s3
	s_cbranch_execz .LBB60_434
; %bb.433:
	v_ashrrev_i32_e32 v135, 31, v134
	v_lshlrev_b64 v[140:141], 2, v[134:135]
	v_add_co_u32 v140, vcc_lo, v132, v140
	v_add_co_ci_u32_e64 v141, null, v133, v141, vcc_lo
	s_clause 0x1
	global_load_dword v0, v[140:141], off
	global_load_dword v135, v[132:133], off offset:80
	s_waitcnt vmcnt(1)
	global_store_dword v[132:133], v0, off offset:80
	s_waitcnt vmcnt(0)
	global_store_dword v[140:141], v135, off
.LBB60_434:
	s_or_b32 exec_lo, exec_lo, s2
	v_mov_b32_e32 v140, v134
	v_mov_b32_e32 v0, v134
.LBB60_435:
	s_or_b32 exec_lo, exec_lo, s1
.LBB60_436:
	s_andn2_saveexec_b32 s0, s0
	s_cbranch_execz .LBB60_438
; %bb.437:
	v_mov_b32_e32 v140, 20
	ds_write2_b64 v1, v[38:39], v[40:41] offset0:42 offset1:43
	ds_write2_b64 v1, v[34:35], v[36:37] offset0:44 offset1:45
	ds_write2_b64 v1, v[30:31], v[32:33] offset0:46 offset1:47
	ds_write2_b64 v1, v[26:27], v[28:29] offset0:48 offset1:49
	ds_write2_b64 v1, v[22:23], v[24:25] offset0:50 offset1:51
	ds_write2_b64 v1, v[18:19], v[20:21] offset0:52 offset1:53
	ds_write2_b64 v1, v[14:15], v[16:17] offset0:54 offset1:55
	ds_write2_b64 v1, v[10:11], v[12:13] offset0:56 offset1:57
	ds_write2_b64 v1, v[6:7], v[8:9] offset0:58 offset1:59
	ds_write2_b64 v1, v[2:3], v[4:5] offset0:60 offset1:61
.LBB60_438:
	s_or_b32 exec_lo, exec_lo, s0
	s_mov_b32 s0, exec_lo
	s_waitcnt lgkmcnt(0)
	s_waitcnt_vscnt null, 0x0
	s_barrier
	buffer_gl0_inv
	v_cmpx_lt_i32_e32 20, v140
	s_cbranch_execz .LBB60_440
; %bb.439:
	v_mul_f64 v[134:135], v[126:127], v[44:45]
	v_mul_f64 v[44:45], v[128:129], v[44:45]
	v_fma_f64 v[134:135], v[128:129], v[42:43], v[134:135]
	v_fma_f64 v[42:43], v[126:127], v[42:43], -v[44:45]
	ds_read2_b64 v[126:129], v1 offset0:42 offset1:43
	s_waitcnt lgkmcnt(0)
	v_mul_f64 v[44:45], v[128:129], v[134:135]
	v_fma_f64 v[44:45], v[126:127], v[42:43], -v[44:45]
	v_mul_f64 v[126:127], v[126:127], v[134:135]
	v_add_f64 v[38:39], v[38:39], -v[44:45]
	v_fma_f64 v[126:127], v[128:129], v[42:43], v[126:127]
	v_add_f64 v[40:41], v[40:41], -v[126:127]
	ds_read2_b64 v[126:129], v1 offset0:44 offset1:45
	s_waitcnt lgkmcnt(0)
	v_mul_f64 v[44:45], v[128:129], v[134:135]
	v_fma_f64 v[44:45], v[126:127], v[42:43], -v[44:45]
	v_mul_f64 v[126:127], v[126:127], v[134:135]
	v_add_f64 v[34:35], v[34:35], -v[44:45]
	v_fma_f64 v[126:127], v[128:129], v[42:43], v[126:127]
	v_add_f64 v[36:37], v[36:37], -v[126:127]
	;; [unrolled: 8-line block ×9, first 2 shown]
	ds_read2_b64 v[126:129], v1 offset0:60 offset1:61
	s_waitcnt lgkmcnt(0)
	v_mul_f64 v[44:45], v[128:129], v[134:135]
	v_fma_f64 v[44:45], v[126:127], v[42:43], -v[44:45]
	v_mul_f64 v[126:127], v[126:127], v[134:135]
	v_add_f64 v[2:3], v[2:3], -v[44:45]
	v_fma_f64 v[126:127], v[128:129], v[42:43], v[126:127]
	v_mov_b32_e32 v44, v134
	v_mov_b32_e32 v45, v135
	v_add_f64 v[4:5], v[4:5], -v[126:127]
.LBB60_440:
	s_or_b32 exec_lo, exec_lo, s0
	v_lshl_add_u32 v126, v140, 4, v1
	s_barrier
	buffer_gl0_inv
	v_mov_b32_e32 v134, 21
	ds_write2_b64 v126, v[38:39], v[40:41] offset1:1
	s_waitcnt lgkmcnt(0)
	s_barrier
	buffer_gl0_inv
	ds_read2_b64 v[126:129], v1 offset0:42 offset1:43
	s_cmp_lt_i32 s18, 23
	s_cbranch_scc1 .LBB60_443
; %bb.441:
	v_add3_u32 v135, v136, 0, 0x160
	v_mov_b32_e32 v134, 21
	s_mov_b32 s1, 22
	s_inst_prefetch 0x1
	.p2align	6
.LBB60_442:                             ; =>This Inner Loop Header: Depth=1
	s_waitcnt lgkmcnt(0)
	v_cmp_gt_f64_e32 vcc_lo, 0, v[128:129]
	v_cmp_gt_f64_e64 s0, 0, v[126:127]
	ds_read2_b64 v[141:144], v135 offset1:1
	v_xor_b32_e32 v146, 0x80000000, v127
	v_xor_b32_e32 v148, 0x80000000, v129
	v_mov_b32_e32 v145, v126
	v_mov_b32_e32 v147, v128
	v_add_nc_u32_e32 v135, 16, v135
	s_waitcnt lgkmcnt(0)
	v_xor_b32_e32 v150, 0x80000000, v144
	v_cndmask_b32_e64 v146, v127, v146, s0
	v_cndmask_b32_e32 v148, v129, v148, vcc_lo
	v_cmp_gt_f64_e32 vcc_lo, 0, v[143:144]
	v_cmp_gt_f64_e64 s0, 0, v[141:142]
	v_mov_b32_e32 v149, v143
	v_add_f64 v[145:146], v[145:146], v[147:148]
	v_xor_b32_e32 v148, 0x80000000, v142
	v_mov_b32_e32 v147, v141
	v_cndmask_b32_e32 v150, v144, v150, vcc_lo
	v_cndmask_b32_e64 v148, v142, v148, s0
	v_add_f64 v[147:148], v[147:148], v[149:150]
	v_cmp_lt_f64_e32 vcc_lo, v[145:146], v[147:148]
	v_cndmask_b32_e32 v127, v127, v142, vcc_lo
	v_cndmask_b32_e32 v126, v126, v141, vcc_lo
	;; [unrolled: 1-line block ×4, first 2 shown]
	v_cndmask_b32_e64 v134, v134, s1, vcc_lo
	s_add_i32 s1, s1, 1
	s_cmp_lg_u32 s18, s1
	s_cbranch_scc1 .LBB60_442
.LBB60_443:
	s_inst_prefetch 0x2
	s_waitcnt lgkmcnt(0)
	v_cmp_eq_f64_e32 vcc_lo, 0, v[126:127]
	v_cmp_eq_f64_e64 s0, 0, v[128:129]
	s_and_b32 s0, vcc_lo, s0
	s_and_saveexec_b32 s1, s0
	s_xor_b32 s0, exec_lo, s1
; %bb.444:
	v_cmp_ne_u32_e32 vcc_lo, 0, v139
	v_cndmask_b32_e32 v139, 22, v139, vcc_lo
; %bb.445:
	s_andn2_saveexec_b32 s0, s0
	s_cbranch_execz .LBB60_451
; %bb.446:
	v_cmp_ngt_f64_e64 s1, |v[126:127]|, |v[128:129]|
	s_and_saveexec_b32 s2, s1
	s_xor_b32 s1, exec_lo, s2
	s_cbranch_execz .LBB60_448
; %bb.447:
	v_div_scale_f64 v[141:142], null, v[128:129], v[128:129], v[126:127]
	v_div_scale_f64 v[147:148], vcc_lo, v[126:127], v[128:129], v[126:127]
	v_rcp_f64_e32 v[143:144], v[141:142]
	v_fma_f64 v[145:146], -v[141:142], v[143:144], 1.0
	v_fma_f64 v[143:144], v[143:144], v[145:146], v[143:144]
	v_fma_f64 v[145:146], -v[141:142], v[143:144], 1.0
	v_fma_f64 v[143:144], v[143:144], v[145:146], v[143:144]
	v_mul_f64 v[145:146], v[147:148], v[143:144]
	v_fma_f64 v[141:142], -v[141:142], v[145:146], v[147:148]
	v_div_fmas_f64 v[141:142], v[141:142], v[143:144], v[145:146]
	v_div_fixup_f64 v[141:142], v[141:142], v[128:129], v[126:127]
	v_fma_f64 v[126:127], v[126:127], v[141:142], v[128:129]
	v_div_scale_f64 v[128:129], null, v[126:127], v[126:127], 1.0
	v_rcp_f64_e32 v[143:144], v[128:129]
	v_fma_f64 v[145:146], -v[128:129], v[143:144], 1.0
	v_fma_f64 v[143:144], v[143:144], v[145:146], v[143:144]
	v_fma_f64 v[145:146], -v[128:129], v[143:144], 1.0
	v_fma_f64 v[143:144], v[143:144], v[145:146], v[143:144]
	v_div_scale_f64 v[145:146], vcc_lo, 1.0, v[126:127], 1.0
	v_mul_f64 v[147:148], v[145:146], v[143:144]
	v_fma_f64 v[128:129], -v[128:129], v[147:148], v[145:146]
	v_div_fmas_f64 v[128:129], v[128:129], v[143:144], v[147:148]
	v_div_fixup_f64 v[128:129], v[128:129], v[126:127], 1.0
	v_mul_f64 v[126:127], v[141:142], v[128:129]
	v_xor_b32_e32 v129, 0x80000000, v129
.LBB60_448:
	s_andn2_saveexec_b32 s1, s1
	s_cbranch_execz .LBB60_450
; %bb.449:
	v_div_scale_f64 v[141:142], null, v[126:127], v[126:127], v[128:129]
	v_div_scale_f64 v[147:148], vcc_lo, v[128:129], v[126:127], v[128:129]
	v_rcp_f64_e32 v[143:144], v[141:142]
	v_fma_f64 v[145:146], -v[141:142], v[143:144], 1.0
	v_fma_f64 v[143:144], v[143:144], v[145:146], v[143:144]
	v_fma_f64 v[145:146], -v[141:142], v[143:144], 1.0
	v_fma_f64 v[143:144], v[143:144], v[145:146], v[143:144]
	v_mul_f64 v[145:146], v[147:148], v[143:144]
	v_fma_f64 v[141:142], -v[141:142], v[145:146], v[147:148]
	v_div_fmas_f64 v[141:142], v[141:142], v[143:144], v[145:146]
	v_div_fixup_f64 v[141:142], v[141:142], v[126:127], v[128:129]
	v_fma_f64 v[126:127], v[128:129], v[141:142], v[126:127]
	v_div_scale_f64 v[128:129], null, v[126:127], v[126:127], 1.0
	v_rcp_f64_e32 v[143:144], v[128:129]
	v_fma_f64 v[145:146], -v[128:129], v[143:144], 1.0
	v_fma_f64 v[143:144], v[143:144], v[145:146], v[143:144]
	v_fma_f64 v[145:146], -v[128:129], v[143:144], 1.0
	v_fma_f64 v[143:144], v[143:144], v[145:146], v[143:144]
	v_div_scale_f64 v[145:146], vcc_lo, 1.0, v[126:127], 1.0
	v_mul_f64 v[147:148], v[145:146], v[143:144]
	v_fma_f64 v[128:129], -v[128:129], v[147:148], v[145:146]
	v_div_fmas_f64 v[128:129], v[128:129], v[143:144], v[147:148]
	v_div_fixup_f64 v[126:127], v[128:129], v[126:127], 1.0
	v_mul_f64 v[128:129], v[141:142], -v[126:127]
.LBB60_450:
	s_or_b32 exec_lo, exec_lo, s1
.LBB60_451:
	s_or_b32 exec_lo, exec_lo, s0
	s_mov_b32 s0, exec_lo
	v_cmpx_ne_u32_e64 v140, v134
	s_xor_b32 s0, exec_lo, s0
	s_cbranch_execz .LBB60_457
; %bb.452:
	s_mov_b32 s1, exec_lo
	v_cmpx_eq_u32_e32 21, v140
	s_cbranch_execz .LBB60_456
; %bb.453:
	v_cmp_ne_u32_e32 vcc_lo, 21, v134
	s_xor_b32 s2, s16, -1
	s_and_b32 s3, s2, vcc_lo
	s_and_saveexec_b32 s2, s3
	s_cbranch_execz .LBB60_455
; %bb.454:
	v_ashrrev_i32_e32 v135, 31, v134
	v_lshlrev_b64 v[140:141], 2, v[134:135]
	v_add_co_u32 v140, vcc_lo, v132, v140
	v_add_co_ci_u32_e64 v141, null, v133, v141, vcc_lo
	s_clause 0x1
	global_load_dword v0, v[140:141], off
	global_load_dword v135, v[132:133], off offset:84
	s_waitcnt vmcnt(1)
	global_store_dword v[132:133], v0, off offset:84
	s_waitcnt vmcnt(0)
	global_store_dword v[140:141], v135, off
.LBB60_455:
	s_or_b32 exec_lo, exec_lo, s2
	v_mov_b32_e32 v140, v134
	v_mov_b32_e32 v0, v134
.LBB60_456:
	s_or_b32 exec_lo, exec_lo, s1
.LBB60_457:
	s_andn2_saveexec_b32 s0, s0
	s_cbranch_execz .LBB60_459
; %bb.458:
	v_mov_b32_e32 v140, 21
	ds_write2_b64 v1, v[34:35], v[36:37] offset0:44 offset1:45
	ds_write2_b64 v1, v[30:31], v[32:33] offset0:46 offset1:47
	;; [unrolled: 1-line block ×9, first 2 shown]
.LBB60_459:
	s_or_b32 exec_lo, exec_lo, s0
	s_mov_b32 s0, exec_lo
	s_waitcnt lgkmcnt(0)
	s_waitcnt_vscnt null, 0x0
	s_barrier
	buffer_gl0_inv
	v_cmpx_lt_i32_e32 21, v140
	s_cbranch_execz .LBB60_461
; %bb.460:
	v_mul_f64 v[134:135], v[126:127], v[40:41]
	v_mul_f64 v[40:41], v[128:129], v[40:41]
	v_fma_f64 v[134:135], v[128:129], v[38:39], v[134:135]
	v_fma_f64 v[38:39], v[126:127], v[38:39], -v[40:41]
	ds_read2_b64 v[126:129], v1 offset0:44 offset1:45
	s_waitcnt lgkmcnt(0)
	v_mul_f64 v[40:41], v[128:129], v[134:135]
	v_fma_f64 v[40:41], v[126:127], v[38:39], -v[40:41]
	v_mul_f64 v[126:127], v[126:127], v[134:135]
	v_add_f64 v[34:35], v[34:35], -v[40:41]
	v_fma_f64 v[126:127], v[128:129], v[38:39], v[126:127]
	v_add_f64 v[36:37], v[36:37], -v[126:127]
	ds_read2_b64 v[126:129], v1 offset0:46 offset1:47
	s_waitcnt lgkmcnt(0)
	v_mul_f64 v[40:41], v[128:129], v[134:135]
	v_fma_f64 v[40:41], v[126:127], v[38:39], -v[40:41]
	v_mul_f64 v[126:127], v[126:127], v[134:135]
	v_add_f64 v[30:31], v[30:31], -v[40:41]
	v_fma_f64 v[126:127], v[128:129], v[38:39], v[126:127]
	v_add_f64 v[32:33], v[32:33], -v[126:127]
	;; [unrolled: 8-line block ×8, first 2 shown]
	ds_read2_b64 v[126:129], v1 offset0:60 offset1:61
	s_waitcnt lgkmcnt(0)
	v_mul_f64 v[40:41], v[128:129], v[134:135]
	v_fma_f64 v[40:41], v[126:127], v[38:39], -v[40:41]
	v_mul_f64 v[126:127], v[126:127], v[134:135]
	v_add_f64 v[2:3], v[2:3], -v[40:41]
	v_fma_f64 v[126:127], v[128:129], v[38:39], v[126:127]
	v_mov_b32_e32 v40, v134
	v_mov_b32_e32 v41, v135
	v_add_f64 v[4:5], v[4:5], -v[126:127]
.LBB60_461:
	s_or_b32 exec_lo, exec_lo, s0
	v_lshl_add_u32 v126, v140, 4, v1
	s_barrier
	buffer_gl0_inv
	v_mov_b32_e32 v134, 22
	ds_write2_b64 v126, v[34:35], v[36:37] offset1:1
	s_waitcnt lgkmcnt(0)
	s_barrier
	buffer_gl0_inv
	ds_read2_b64 v[126:129], v1 offset0:44 offset1:45
	s_cmp_lt_i32 s18, 24
	s_cbranch_scc1 .LBB60_464
; %bb.462:
	v_add3_u32 v135, v136, 0, 0x170
	v_mov_b32_e32 v134, 22
	s_mov_b32 s1, 23
	s_inst_prefetch 0x1
	.p2align	6
.LBB60_463:                             ; =>This Inner Loop Header: Depth=1
	s_waitcnt lgkmcnt(0)
	v_cmp_gt_f64_e32 vcc_lo, 0, v[128:129]
	v_cmp_gt_f64_e64 s0, 0, v[126:127]
	ds_read2_b64 v[141:144], v135 offset1:1
	v_xor_b32_e32 v146, 0x80000000, v127
	v_xor_b32_e32 v148, 0x80000000, v129
	v_mov_b32_e32 v145, v126
	v_mov_b32_e32 v147, v128
	v_add_nc_u32_e32 v135, 16, v135
	s_waitcnt lgkmcnt(0)
	v_xor_b32_e32 v150, 0x80000000, v144
	v_cndmask_b32_e64 v146, v127, v146, s0
	v_cndmask_b32_e32 v148, v129, v148, vcc_lo
	v_cmp_gt_f64_e32 vcc_lo, 0, v[143:144]
	v_cmp_gt_f64_e64 s0, 0, v[141:142]
	v_mov_b32_e32 v149, v143
	v_add_f64 v[145:146], v[145:146], v[147:148]
	v_xor_b32_e32 v148, 0x80000000, v142
	v_mov_b32_e32 v147, v141
	v_cndmask_b32_e32 v150, v144, v150, vcc_lo
	v_cndmask_b32_e64 v148, v142, v148, s0
	v_add_f64 v[147:148], v[147:148], v[149:150]
	v_cmp_lt_f64_e32 vcc_lo, v[145:146], v[147:148]
	v_cndmask_b32_e32 v127, v127, v142, vcc_lo
	v_cndmask_b32_e32 v126, v126, v141, vcc_lo
	;; [unrolled: 1-line block ×4, first 2 shown]
	v_cndmask_b32_e64 v134, v134, s1, vcc_lo
	s_add_i32 s1, s1, 1
	s_cmp_lg_u32 s18, s1
	s_cbranch_scc1 .LBB60_463
.LBB60_464:
	s_inst_prefetch 0x2
	s_waitcnt lgkmcnt(0)
	v_cmp_eq_f64_e32 vcc_lo, 0, v[126:127]
	v_cmp_eq_f64_e64 s0, 0, v[128:129]
	s_and_b32 s0, vcc_lo, s0
	s_and_saveexec_b32 s1, s0
	s_xor_b32 s0, exec_lo, s1
; %bb.465:
	v_cmp_ne_u32_e32 vcc_lo, 0, v139
	v_cndmask_b32_e32 v139, 23, v139, vcc_lo
; %bb.466:
	s_andn2_saveexec_b32 s0, s0
	s_cbranch_execz .LBB60_472
; %bb.467:
	v_cmp_ngt_f64_e64 s1, |v[126:127]|, |v[128:129]|
	s_and_saveexec_b32 s2, s1
	s_xor_b32 s1, exec_lo, s2
	s_cbranch_execz .LBB60_469
; %bb.468:
	v_div_scale_f64 v[141:142], null, v[128:129], v[128:129], v[126:127]
	v_div_scale_f64 v[147:148], vcc_lo, v[126:127], v[128:129], v[126:127]
	v_rcp_f64_e32 v[143:144], v[141:142]
	v_fma_f64 v[145:146], -v[141:142], v[143:144], 1.0
	v_fma_f64 v[143:144], v[143:144], v[145:146], v[143:144]
	v_fma_f64 v[145:146], -v[141:142], v[143:144], 1.0
	v_fma_f64 v[143:144], v[143:144], v[145:146], v[143:144]
	v_mul_f64 v[145:146], v[147:148], v[143:144]
	v_fma_f64 v[141:142], -v[141:142], v[145:146], v[147:148]
	v_div_fmas_f64 v[141:142], v[141:142], v[143:144], v[145:146]
	v_div_fixup_f64 v[141:142], v[141:142], v[128:129], v[126:127]
	v_fma_f64 v[126:127], v[126:127], v[141:142], v[128:129]
	v_div_scale_f64 v[128:129], null, v[126:127], v[126:127], 1.0
	v_rcp_f64_e32 v[143:144], v[128:129]
	v_fma_f64 v[145:146], -v[128:129], v[143:144], 1.0
	v_fma_f64 v[143:144], v[143:144], v[145:146], v[143:144]
	v_fma_f64 v[145:146], -v[128:129], v[143:144], 1.0
	v_fma_f64 v[143:144], v[143:144], v[145:146], v[143:144]
	v_div_scale_f64 v[145:146], vcc_lo, 1.0, v[126:127], 1.0
	v_mul_f64 v[147:148], v[145:146], v[143:144]
	v_fma_f64 v[128:129], -v[128:129], v[147:148], v[145:146]
	v_div_fmas_f64 v[128:129], v[128:129], v[143:144], v[147:148]
	v_div_fixup_f64 v[128:129], v[128:129], v[126:127], 1.0
	v_mul_f64 v[126:127], v[141:142], v[128:129]
	v_xor_b32_e32 v129, 0x80000000, v129
.LBB60_469:
	s_andn2_saveexec_b32 s1, s1
	s_cbranch_execz .LBB60_471
; %bb.470:
	v_div_scale_f64 v[141:142], null, v[126:127], v[126:127], v[128:129]
	v_div_scale_f64 v[147:148], vcc_lo, v[128:129], v[126:127], v[128:129]
	v_rcp_f64_e32 v[143:144], v[141:142]
	v_fma_f64 v[145:146], -v[141:142], v[143:144], 1.0
	v_fma_f64 v[143:144], v[143:144], v[145:146], v[143:144]
	v_fma_f64 v[145:146], -v[141:142], v[143:144], 1.0
	v_fma_f64 v[143:144], v[143:144], v[145:146], v[143:144]
	v_mul_f64 v[145:146], v[147:148], v[143:144]
	v_fma_f64 v[141:142], -v[141:142], v[145:146], v[147:148]
	v_div_fmas_f64 v[141:142], v[141:142], v[143:144], v[145:146]
	v_div_fixup_f64 v[141:142], v[141:142], v[126:127], v[128:129]
	v_fma_f64 v[126:127], v[128:129], v[141:142], v[126:127]
	v_div_scale_f64 v[128:129], null, v[126:127], v[126:127], 1.0
	v_rcp_f64_e32 v[143:144], v[128:129]
	v_fma_f64 v[145:146], -v[128:129], v[143:144], 1.0
	v_fma_f64 v[143:144], v[143:144], v[145:146], v[143:144]
	v_fma_f64 v[145:146], -v[128:129], v[143:144], 1.0
	v_fma_f64 v[143:144], v[143:144], v[145:146], v[143:144]
	v_div_scale_f64 v[145:146], vcc_lo, 1.0, v[126:127], 1.0
	v_mul_f64 v[147:148], v[145:146], v[143:144]
	v_fma_f64 v[128:129], -v[128:129], v[147:148], v[145:146]
	v_div_fmas_f64 v[128:129], v[128:129], v[143:144], v[147:148]
	v_div_fixup_f64 v[126:127], v[128:129], v[126:127], 1.0
	v_mul_f64 v[128:129], v[141:142], -v[126:127]
.LBB60_471:
	s_or_b32 exec_lo, exec_lo, s1
.LBB60_472:
	s_or_b32 exec_lo, exec_lo, s0
	s_mov_b32 s0, exec_lo
	v_cmpx_ne_u32_e64 v140, v134
	s_xor_b32 s0, exec_lo, s0
	s_cbranch_execz .LBB60_478
; %bb.473:
	s_mov_b32 s1, exec_lo
	v_cmpx_eq_u32_e32 22, v140
	s_cbranch_execz .LBB60_477
; %bb.474:
	v_cmp_ne_u32_e32 vcc_lo, 22, v134
	s_xor_b32 s2, s16, -1
	s_and_b32 s3, s2, vcc_lo
	s_and_saveexec_b32 s2, s3
	s_cbranch_execz .LBB60_476
; %bb.475:
	v_ashrrev_i32_e32 v135, 31, v134
	v_lshlrev_b64 v[140:141], 2, v[134:135]
	v_add_co_u32 v140, vcc_lo, v132, v140
	v_add_co_ci_u32_e64 v141, null, v133, v141, vcc_lo
	s_clause 0x1
	global_load_dword v0, v[140:141], off
	global_load_dword v135, v[132:133], off offset:88
	s_waitcnt vmcnt(1)
	global_store_dword v[132:133], v0, off offset:88
	s_waitcnt vmcnt(0)
	global_store_dword v[140:141], v135, off
.LBB60_476:
	s_or_b32 exec_lo, exec_lo, s2
	v_mov_b32_e32 v140, v134
	v_mov_b32_e32 v0, v134
.LBB60_477:
	s_or_b32 exec_lo, exec_lo, s1
.LBB60_478:
	s_andn2_saveexec_b32 s0, s0
	s_cbranch_execz .LBB60_480
; %bb.479:
	v_mov_b32_e32 v140, 22
	ds_write2_b64 v1, v[30:31], v[32:33] offset0:46 offset1:47
	ds_write2_b64 v1, v[26:27], v[28:29] offset0:48 offset1:49
	;; [unrolled: 1-line block ×8, first 2 shown]
.LBB60_480:
	s_or_b32 exec_lo, exec_lo, s0
	s_mov_b32 s0, exec_lo
	s_waitcnt lgkmcnt(0)
	s_waitcnt_vscnt null, 0x0
	s_barrier
	buffer_gl0_inv
	v_cmpx_lt_i32_e32 22, v140
	s_cbranch_execz .LBB60_482
; %bb.481:
	v_mul_f64 v[134:135], v[126:127], v[36:37]
	v_mul_f64 v[36:37], v[128:129], v[36:37]
	v_fma_f64 v[134:135], v[128:129], v[34:35], v[134:135]
	v_fma_f64 v[34:35], v[126:127], v[34:35], -v[36:37]
	ds_read2_b64 v[126:129], v1 offset0:46 offset1:47
	s_waitcnt lgkmcnt(0)
	v_mul_f64 v[36:37], v[128:129], v[134:135]
	v_fma_f64 v[36:37], v[126:127], v[34:35], -v[36:37]
	v_mul_f64 v[126:127], v[126:127], v[134:135]
	v_add_f64 v[30:31], v[30:31], -v[36:37]
	v_fma_f64 v[126:127], v[128:129], v[34:35], v[126:127]
	v_add_f64 v[32:33], v[32:33], -v[126:127]
	ds_read2_b64 v[126:129], v1 offset0:48 offset1:49
	s_waitcnt lgkmcnt(0)
	v_mul_f64 v[36:37], v[128:129], v[134:135]
	v_fma_f64 v[36:37], v[126:127], v[34:35], -v[36:37]
	v_mul_f64 v[126:127], v[126:127], v[134:135]
	v_add_f64 v[26:27], v[26:27], -v[36:37]
	v_fma_f64 v[126:127], v[128:129], v[34:35], v[126:127]
	v_add_f64 v[28:29], v[28:29], -v[126:127]
	;; [unrolled: 8-line block ×7, first 2 shown]
	ds_read2_b64 v[126:129], v1 offset0:60 offset1:61
	s_waitcnt lgkmcnt(0)
	v_mul_f64 v[36:37], v[128:129], v[134:135]
	v_fma_f64 v[36:37], v[126:127], v[34:35], -v[36:37]
	v_mul_f64 v[126:127], v[126:127], v[134:135]
	v_add_f64 v[2:3], v[2:3], -v[36:37]
	v_fma_f64 v[126:127], v[128:129], v[34:35], v[126:127]
	v_mov_b32_e32 v36, v134
	v_mov_b32_e32 v37, v135
	v_add_f64 v[4:5], v[4:5], -v[126:127]
.LBB60_482:
	s_or_b32 exec_lo, exec_lo, s0
	v_lshl_add_u32 v126, v140, 4, v1
	s_barrier
	buffer_gl0_inv
	v_mov_b32_e32 v134, 23
	ds_write2_b64 v126, v[30:31], v[32:33] offset1:1
	s_waitcnt lgkmcnt(0)
	s_barrier
	buffer_gl0_inv
	ds_read2_b64 v[126:129], v1 offset0:46 offset1:47
	s_cmp_lt_i32 s18, 25
	s_cbranch_scc1 .LBB60_485
; %bb.483:
	v_add3_u32 v135, v136, 0, 0x180
	v_mov_b32_e32 v134, 23
	s_mov_b32 s1, 24
	s_inst_prefetch 0x1
	.p2align	6
.LBB60_484:                             ; =>This Inner Loop Header: Depth=1
	s_waitcnt lgkmcnt(0)
	v_cmp_gt_f64_e32 vcc_lo, 0, v[128:129]
	v_cmp_gt_f64_e64 s0, 0, v[126:127]
	ds_read2_b64 v[141:144], v135 offset1:1
	v_xor_b32_e32 v146, 0x80000000, v127
	v_xor_b32_e32 v148, 0x80000000, v129
	v_mov_b32_e32 v145, v126
	v_mov_b32_e32 v147, v128
	v_add_nc_u32_e32 v135, 16, v135
	s_waitcnt lgkmcnt(0)
	v_xor_b32_e32 v150, 0x80000000, v144
	v_cndmask_b32_e64 v146, v127, v146, s0
	v_cndmask_b32_e32 v148, v129, v148, vcc_lo
	v_cmp_gt_f64_e32 vcc_lo, 0, v[143:144]
	v_cmp_gt_f64_e64 s0, 0, v[141:142]
	v_mov_b32_e32 v149, v143
	v_add_f64 v[145:146], v[145:146], v[147:148]
	v_xor_b32_e32 v148, 0x80000000, v142
	v_mov_b32_e32 v147, v141
	v_cndmask_b32_e32 v150, v144, v150, vcc_lo
	v_cndmask_b32_e64 v148, v142, v148, s0
	v_add_f64 v[147:148], v[147:148], v[149:150]
	v_cmp_lt_f64_e32 vcc_lo, v[145:146], v[147:148]
	v_cndmask_b32_e32 v127, v127, v142, vcc_lo
	v_cndmask_b32_e32 v126, v126, v141, vcc_lo
	;; [unrolled: 1-line block ×4, first 2 shown]
	v_cndmask_b32_e64 v134, v134, s1, vcc_lo
	s_add_i32 s1, s1, 1
	s_cmp_lg_u32 s18, s1
	s_cbranch_scc1 .LBB60_484
.LBB60_485:
	s_inst_prefetch 0x2
	s_waitcnt lgkmcnt(0)
	v_cmp_eq_f64_e32 vcc_lo, 0, v[126:127]
	v_cmp_eq_f64_e64 s0, 0, v[128:129]
	s_and_b32 s0, vcc_lo, s0
	s_and_saveexec_b32 s1, s0
	s_xor_b32 s0, exec_lo, s1
; %bb.486:
	v_cmp_ne_u32_e32 vcc_lo, 0, v139
	v_cndmask_b32_e32 v139, 24, v139, vcc_lo
; %bb.487:
	s_andn2_saveexec_b32 s0, s0
	s_cbranch_execz .LBB60_493
; %bb.488:
	v_cmp_ngt_f64_e64 s1, |v[126:127]|, |v[128:129]|
	s_and_saveexec_b32 s2, s1
	s_xor_b32 s1, exec_lo, s2
	s_cbranch_execz .LBB60_490
; %bb.489:
	v_div_scale_f64 v[141:142], null, v[128:129], v[128:129], v[126:127]
	v_div_scale_f64 v[147:148], vcc_lo, v[126:127], v[128:129], v[126:127]
	v_rcp_f64_e32 v[143:144], v[141:142]
	v_fma_f64 v[145:146], -v[141:142], v[143:144], 1.0
	v_fma_f64 v[143:144], v[143:144], v[145:146], v[143:144]
	v_fma_f64 v[145:146], -v[141:142], v[143:144], 1.0
	v_fma_f64 v[143:144], v[143:144], v[145:146], v[143:144]
	v_mul_f64 v[145:146], v[147:148], v[143:144]
	v_fma_f64 v[141:142], -v[141:142], v[145:146], v[147:148]
	v_div_fmas_f64 v[141:142], v[141:142], v[143:144], v[145:146]
	v_div_fixup_f64 v[141:142], v[141:142], v[128:129], v[126:127]
	v_fma_f64 v[126:127], v[126:127], v[141:142], v[128:129]
	v_div_scale_f64 v[128:129], null, v[126:127], v[126:127], 1.0
	v_rcp_f64_e32 v[143:144], v[128:129]
	v_fma_f64 v[145:146], -v[128:129], v[143:144], 1.0
	v_fma_f64 v[143:144], v[143:144], v[145:146], v[143:144]
	v_fma_f64 v[145:146], -v[128:129], v[143:144], 1.0
	v_fma_f64 v[143:144], v[143:144], v[145:146], v[143:144]
	v_div_scale_f64 v[145:146], vcc_lo, 1.0, v[126:127], 1.0
	v_mul_f64 v[147:148], v[145:146], v[143:144]
	v_fma_f64 v[128:129], -v[128:129], v[147:148], v[145:146]
	v_div_fmas_f64 v[128:129], v[128:129], v[143:144], v[147:148]
	v_div_fixup_f64 v[128:129], v[128:129], v[126:127], 1.0
	v_mul_f64 v[126:127], v[141:142], v[128:129]
	v_xor_b32_e32 v129, 0x80000000, v129
.LBB60_490:
	s_andn2_saveexec_b32 s1, s1
	s_cbranch_execz .LBB60_492
; %bb.491:
	v_div_scale_f64 v[141:142], null, v[126:127], v[126:127], v[128:129]
	v_div_scale_f64 v[147:148], vcc_lo, v[128:129], v[126:127], v[128:129]
	v_rcp_f64_e32 v[143:144], v[141:142]
	v_fma_f64 v[145:146], -v[141:142], v[143:144], 1.0
	v_fma_f64 v[143:144], v[143:144], v[145:146], v[143:144]
	v_fma_f64 v[145:146], -v[141:142], v[143:144], 1.0
	v_fma_f64 v[143:144], v[143:144], v[145:146], v[143:144]
	v_mul_f64 v[145:146], v[147:148], v[143:144]
	v_fma_f64 v[141:142], -v[141:142], v[145:146], v[147:148]
	v_div_fmas_f64 v[141:142], v[141:142], v[143:144], v[145:146]
	v_div_fixup_f64 v[141:142], v[141:142], v[126:127], v[128:129]
	v_fma_f64 v[126:127], v[128:129], v[141:142], v[126:127]
	v_div_scale_f64 v[128:129], null, v[126:127], v[126:127], 1.0
	v_rcp_f64_e32 v[143:144], v[128:129]
	v_fma_f64 v[145:146], -v[128:129], v[143:144], 1.0
	v_fma_f64 v[143:144], v[143:144], v[145:146], v[143:144]
	v_fma_f64 v[145:146], -v[128:129], v[143:144], 1.0
	v_fma_f64 v[143:144], v[143:144], v[145:146], v[143:144]
	v_div_scale_f64 v[145:146], vcc_lo, 1.0, v[126:127], 1.0
	v_mul_f64 v[147:148], v[145:146], v[143:144]
	v_fma_f64 v[128:129], -v[128:129], v[147:148], v[145:146]
	v_div_fmas_f64 v[128:129], v[128:129], v[143:144], v[147:148]
	v_div_fixup_f64 v[126:127], v[128:129], v[126:127], 1.0
	v_mul_f64 v[128:129], v[141:142], -v[126:127]
.LBB60_492:
	s_or_b32 exec_lo, exec_lo, s1
.LBB60_493:
	s_or_b32 exec_lo, exec_lo, s0
	s_mov_b32 s0, exec_lo
	v_cmpx_ne_u32_e64 v140, v134
	s_xor_b32 s0, exec_lo, s0
	s_cbranch_execz .LBB60_499
; %bb.494:
	s_mov_b32 s1, exec_lo
	v_cmpx_eq_u32_e32 23, v140
	s_cbranch_execz .LBB60_498
; %bb.495:
	v_cmp_ne_u32_e32 vcc_lo, 23, v134
	s_xor_b32 s2, s16, -1
	s_and_b32 s3, s2, vcc_lo
	s_and_saveexec_b32 s2, s3
	s_cbranch_execz .LBB60_497
; %bb.496:
	v_ashrrev_i32_e32 v135, 31, v134
	v_lshlrev_b64 v[140:141], 2, v[134:135]
	v_add_co_u32 v140, vcc_lo, v132, v140
	v_add_co_ci_u32_e64 v141, null, v133, v141, vcc_lo
	s_clause 0x1
	global_load_dword v0, v[140:141], off
	global_load_dword v135, v[132:133], off offset:92
	s_waitcnt vmcnt(1)
	global_store_dword v[132:133], v0, off offset:92
	s_waitcnt vmcnt(0)
	global_store_dword v[140:141], v135, off
.LBB60_497:
	s_or_b32 exec_lo, exec_lo, s2
	v_mov_b32_e32 v140, v134
	v_mov_b32_e32 v0, v134
.LBB60_498:
	s_or_b32 exec_lo, exec_lo, s1
.LBB60_499:
	s_andn2_saveexec_b32 s0, s0
	s_cbranch_execz .LBB60_501
; %bb.500:
	v_mov_b32_e32 v140, 23
	ds_write2_b64 v1, v[26:27], v[28:29] offset0:48 offset1:49
	ds_write2_b64 v1, v[22:23], v[24:25] offset0:50 offset1:51
	;; [unrolled: 1-line block ×7, first 2 shown]
.LBB60_501:
	s_or_b32 exec_lo, exec_lo, s0
	s_mov_b32 s0, exec_lo
	s_waitcnt lgkmcnt(0)
	s_waitcnt_vscnt null, 0x0
	s_barrier
	buffer_gl0_inv
	v_cmpx_lt_i32_e32 23, v140
	s_cbranch_execz .LBB60_503
; %bb.502:
	v_mul_f64 v[134:135], v[126:127], v[32:33]
	v_mul_f64 v[32:33], v[128:129], v[32:33]
	v_fma_f64 v[134:135], v[128:129], v[30:31], v[134:135]
	v_fma_f64 v[30:31], v[126:127], v[30:31], -v[32:33]
	ds_read2_b64 v[126:129], v1 offset0:48 offset1:49
	s_waitcnt lgkmcnt(0)
	v_mul_f64 v[32:33], v[128:129], v[134:135]
	v_fma_f64 v[32:33], v[126:127], v[30:31], -v[32:33]
	v_mul_f64 v[126:127], v[126:127], v[134:135]
	v_add_f64 v[26:27], v[26:27], -v[32:33]
	v_fma_f64 v[126:127], v[128:129], v[30:31], v[126:127]
	v_add_f64 v[28:29], v[28:29], -v[126:127]
	ds_read2_b64 v[126:129], v1 offset0:50 offset1:51
	s_waitcnt lgkmcnt(0)
	v_mul_f64 v[32:33], v[128:129], v[134:135]
	v_fma_f64 v[32:33], v[126:127], v[30:31], -v[32:33]
	v_mul_f64 v[126:127], v[126:127], v[134:135]
	v_add_f64 v[22:23], v[22:23], -v[32:33]
	v_fma_f64 v[126:127], v[128:129], v[30:31], v[126:127]
	v_add_f64 v[24:25], v[24:25], -v[126:127]
	;; [unrolled: 8-line block ×6, first 2 shown]
	ds_read2_b64 v[126:129], v1 offset0:60 offset1:61
	s_waitcnt lgkmcnt(0)
	v_mul_f64 v[32:33], v[128:129], v[134:135]
	v_fma_f64 v[32:33], v[126:127], v[30:31], -v[32:33]
	v_mul_f64 v[126:127], v[126:127], v[134:135]
	v_add_f64 v[2:3], v[2:3], -v[32:33]
	v_fma_f64 v[126:127], v[128:129], v[30:31], v[126:127]
	v_mov_b32_e32 v32, v134
	v_mov_b32_e32 v33, v135
	v_add_f64 v[4:5], v[4:5], -v[126:127]
.LBB60_503:
	s_or_b32 exec_lo, exec_lo, s0
	v_lshl_add_u32 v126, v140, 4, v1
	s_barrier
	buffer_gl0_inv
	v_mov_b32_e32 v134, 24
	ds_write2_b64 v126, v[26:27], v[28:29] offset1:1
	s_waitcnt lgkmcnt(0)
	s_barrier
	buffer_gl0_inv
	ds_read2_b64 v[126:129], v1 offset0:48 offset1:49
	s_cmp_lt_i32 s18, 26
	s_cbranch_scc1 .LBB60_506
; %bb.504:
	v_add3_u32 v135, v136, 0, 0x190
	v_mov_b32_e32 v134, 24
	s_mov_b32 s1, 25
	s_inst_prefetch 0x1
	.p2align	6
.LBB60_505:                             ; =>This Inner Loop Header: Depth=1
	s_waitcnt lgkmcnt(0)
	v_cmp_gt_f64_e32 vcc_lo, 0, v[128:129]
	v_cmp_gt_f64_e64 s0, 0, v[126:127]
	ds_read2_b64 v[141:144], v135 offset1:1
	v_xor_b32_e32 v146, 0x80000000, v127
	v_xor_b32_e32 v148, 0x80000000, v129
	v_mov_b32_e32 v145, v126
	v_mov_b32_e32 v147, v128
	v_add_nc_u32_e32 v135, 16, v135
	s_waitcnt lgkmcnt(0)
	v_xor_b32_e32 v150, 0x80000000, v144
	v_cndmask_b32_e64 v146, v127, v146, s0
	v_cndmask_b32_e32 v148, v129, v148, vcc_lo
	v_cmp_gt_f64_e32 vcc_lo, 0, v[143:144]
	v_cmp_gt_f64_e64 s0, 0, v[141:142]
	v_mov_b32_e32 v149, v143
	v_add_f64 v[145:146], v[145:146], v[147:148]
	v_xor_b32_e32 v148, 0x80000000, v142
	v_mov_b32_e32 v147, v141
	v_cndmask_b32_e32 v150, v144, v150, vcc_lo
	v_cndmask_b32_e64 v148, v142, v148, s0
	v_add_f64 v[147:148], v[147:148], v[149:150]
	v_cmp_lt_f64_e32 vcc_lo, v[145:146], v[147:148]
	v_cndmask_b32_e32 v127, v127, v142, vcc_lo
	v_cndmask_b32_e32 v126, v126, v141, vcc_lo
	;; [unrolled: 1-line block ×4, first 2 shown]
	v_cndmask_b32_e64 v134, v134, s1, vcc_lo
	s_add_i32 s1, s1, 1
	s_cmp_lg_u32 s18, s1
	s_cbranch_scc1 .LBB60_505
.LBB60_506:
	s_inst_prefetch 0x2
	s_waitcnt lgkmcnt(0)
	v_cmp_eq_f64_e32 vcc_lo, 0, v[126:127]
	v_cmp_eq_f64_e64 s0, 0, v[128:129]
	s_and_b32 s0, vcc_lo, s0
	s_and_saveexec_b32 s1, s0
	s_xor_b32 s0, exec_lo, s1
; %bb.507:
	v_cmp_ne_u32_e32 vcc_lo, 0, v139
	v_cndmask_b32_e32 v139, 25, v139, vcc_lo
; %bb.508:
	s_andn2_saveexec_b32 s0, s0
	s_cbranch_execz .LBB60_514
; %bb.509:
	v_cmp_ngt_f64_e64 s1, |v[126:127]|, |v[128:129]|
	s_and_saveexec_b32 s2, s1
	s_xor_b32 s1, exec_lo, s2
	s_cbranch_execz .LBB60_511
; %bb.510:
	v_div_scale_f64 v[141:142], null, v[128:129], v[128:129], v[126:127]
	v_div_scale_f64 v[147:148], vcc_lo, v[126:127], v[128:129], v[126:127]
	v_rcp_f64_e32 v[143:144], v[141:142]
	v_fma_f64 v[145:146], -v[141:142], v[143:144], 1.0
	v_fma_f64 v[143:144], v[143:144], v[145:146], v[143:144]
	v_fma_f64 v[145:146], -v[141:142], v[143:144], 1.0
	v_fma_f64 v[143:144], v[143:144], v[145:146], v[143:144]
	v_mul_f64 v[145:146], v[147:148], v[143:144]
	v_fma_f64 v[141:142], -v[141:142], v[145:146], v[147:148]
	v_div_fmas_f64 v[141:142], v[141:142], v[143:144], v[145:146]
	v_div_fixup_f64 v[141:142], v[141:142], v[128:129], v[126:127]
	v_fma_f64 v[126:127], v[126:127], v[141:142], v[128:129]
	v_div_scale_f64 v[128:129], null, v[126:127], v[126:127], 1.0
	v_rcp_f64_e32 v[143:144], v[128:129]
	v_fma_f64 v[145:146], -v[128:129], v[143:144], 1.0
	v_fma_f64 v[143:144], v[143:144], v[145:146], v[143:144]
	v_fma_f64 v[145:146], -v[128:129], v[143:144], 1.0
	v_fma_f64 v[143:144], v[143:144], v[145:146], v[143:144]
	v_div_scale_f64 v[145:146], vcc_lo, 1.0, v[126:127], 1.0
	v_mul_f64 v[147:148], v[145:146], v[143:144]
	v_fma_f64 v[128:129], -v[128:129], v[147:148], v[145:146]
	v_div_fmas_f64 v[128:129], v[128:129], v[143:144], v[147:148]
	v_div_fixup_f64 v[128:129], v[128:129], v[126:127], 1.0
	v_mul_f64 v[126:127], v[141:142], v[128:129]
	v_xor_b32_e32 v129, 0x80000000, v129
.LBB60_511:
	s_andn2_saveexec_b32 s1, s1
	s_cbranch_execz .LBB60_513
; %bb.512:
	v_div_scale_f64 v[141:142], null, v[126:127], v[126:127], v[128:129]
	v_div_scale_f64 v[147:148], vcc_lo, v[128:129], v[126:127], v[128:129]
	v_rcp_f64_e32 v[143:144], v[141:142]
	v_fma_f64 v[145:146], -v[141:142], v[143:144], 1.0
	v_fma_f64 v[143:144], v[143:144], v[145:146], v[143:144]
	v_fma_f64 v[145:146], -v[141:142], v[143:144], 1.0
	v_fma_f64 v[143:144], v[143:144], v[145:146], v[143:144]
	v_mul_f64 v[145:146], v[147:148], v[143:144]
	v_fma_f64 v[141:142], -v[141:142], v[145:146], v[147:148]
	v_div_fmas_f64 v[141:142], v[141:142], v[143:144], v[145:146]
	v_div_fixup_f64 v[141:142], v[141:142], v[126:127], v[128:129]
	v_fma_f64 v[126:127], v[128:129], v[141:142], v[126:127]
	v_div_scale_f64 v[128:129], null, v[126:127], v[126:127], 1.0
	v_rcp_f64_e32 v[143:144], v[128:129]
	v_fma_f64 v[145:146], -v[128:129], v[143:144], 1.0
	v_fma_f64 v[143:144], v[143:144], v[145:146], v[143:144]
	v_fma_f64 v[145:146], -v[128:129], v[143:144], 1.0
	v_fma_f64 v[143:144], v[143:144], v[145:146], v[143:144]
	v_div_scale_f64 v[145:146], vcc_lo, 1.0, v[126:127], 1.0
	v_mul_f64 v[147:148], v[145:146], v[143:144]
	v_fma_f64 v[128:129], -v[128:129], v[147:148], v[145:146]
	v_div_fmas_f64 v[128:129], v[128:129], v[143:144], v[147:148]
	v_div_fixup_f64 v[126:127], v[128:129], v[126:127], 1.0
	v_mul_f64 v[128:129], v[141:142], -v[126:127]
.LBB60_513:
	s_or_b32 exec_lo, exec_lo, s1
.LBB60_514:
	s_or_b32 exec_lo, exec_lo, s0
	s_mov_b32 s0, exec_lo
	v_cmpx_ne_u32_e64 v140, v134
	s_xor_b32 s0, exec_lo, s0
	s_cbranch_execz .LBB60_520
; %bb.515:
	s_mov_b32 s1, exec_lo
	v_cmpx_eq_u32_e32 24, v140
	s_cbranch_execz .LBB60_519
; %bb.516:
	v_cmp_ne_u32_e32 vcc_lo, 24, v134
	s_xor_b32 s2, s16, -1
	s_and_b32 s3, s2, vcc_lo
	s_and_saveexec_b32 s2, s3
	s_cbranch_execz .LBB60_518
; %bb.517:
	v_ashrrev_i32_e32 v135, 31, v134
	v_lshlrev_b64 v[140:141], 2, v[134:135]
	v_add_co_u32 v140, vcc_lo, v132, v140
	v_add_co_ci_u32_e64 v141, null, v133, v141, vcc_lo
	s_clause 0x1
	global_load_dword v0, v[140:141], off
	global_load_dword v135, v[132:133], off offset:96
	s_waitcnt vmcnt(1)
	global_store_dword v[132:133], v0, off offset:96
	s_waitcnt vmcnt(0)
	global_store_dword v[140:141], v135, off
.LBB60_518:
	s_or_b32 exec_lo, exec_lo, s2
	v_mov_b32_e32 v140, v134
	v_mov_b32_e32 v0, v134
.LBB60_519:
	s_or_b32 exec_lo, exec_lo, s1
.LBB60_520:
	s_andn2_saveexec_b32 s0, s0
	s_cbranch_execz .LBB60_522
; %bb.521:
	v_mov_b32_e32 v140, 24
	ds_write2_b64 v1, v[22:23], v[24:25] offset0:50 offset1:51
	ds_write2_b64 v1, v[18:19], v[20:21] offset0:52 offset1:53
	;; [unrolled: 1-line block ×6, first 2 shown]
.LBB60_522:
	s_or_b32 exec_lo, exec_lo, s0
	s_mov_b32 s0, exec_lo
	s_waitcnt lgkmcnt(0)
	s_waitcnt_vscnt null, 0x0
	s_barrier
	buffer_gl0_inv
	v_cmpx_lt_i32_e32 24, v140
	s_cbranch_execz .LBB60_524
; %bb.523:
	v_mul_f64 v[134:135], v[126:127], v[28:29]
	v_mul_f64 v[28:29], v[128:129], v[28:29]
	v_fma_f64 v[134:135], v[128:129], v[26:27], v[134:135]
	v_fma_f64 v[26:27], v[126:127], v[26:27], -v[28:29]
	ds_read2_b64 v[126:129], v1 offset0:50 offset1:51
	s_waitcnt lgkmcnt(0)
	v_mul_f64 v[28:29], v[128:129], v[134:135]
	v_fma_f64 v[28:29], v[126:127], v[26:27], -v[28:29]
	v_mul_f64 v[126:127], v[126:127], v[134:135]
	v_add_f64 v[22:23], v[22:23], -v[28:29]
	v_fma_f64 v[126:127], v[128:129], v[26:27], v[126:127]
	v_add_f64 v[24:25], v[24:25], -v[126:127]
	ds_read2_b64 v[126:129], v1 offset0:52 offset1:53
	s_waitcnt lgkmcnt(0)
	v_mul_f64 v[28:29], v[128:129], v[134:135]
	v_fma_f64 v[28:29], v[126:127], v[26:27], -v[28:29]
	v_mul_f64 v[126:127], v[126:127], v[134:135]
	v_add_f64 v[18:19], v[18:19], -v[28:29]
	v_fma_f64 v[126:127], v[128:129], v[26:27], v[126:127]
	v_add_f64 v[20:21], v[20:21], -v[126:127]
	ds_read2_b64 v[126:129], v1 offset0:54 offset1:55
	s_waitcnt lgkmcnt(0)
	v_mul_f64 v[28:29], v[128:129], v[134:135]
	v_fma_f64 v[28:29], v[126:127], v[26:27], -v[28:29]
	v_mul_f64 v[126:127], v[126:127], v[134:135]
	v_add_f64 v[14:15], v[14:15], -v[28:29]
	v_fma_f64 v[126:127], v[128:129], v[26:27], v[126:127]
	v_add_f64 v[16:17], v[16:17], -v[126:127]
	ds_read2_b64 v[126:129], v1 offset0:56 offset1:57
	s_waitcnt lgkmcnt(0)
	v_mul_f64 v[28:29], v[128:129], v[134:135]
	v_fma_f64 v[28:29], v[126:127], v[26:27], -v[28:29]
	v_mul_f64 v[126:127], v[126:127], v[134:135]
	v_add_f64 v[10:11], v[10:11], -v[28:29]
	v_fma_f64 v[126:127], v[128:129], v[26:27], v[126:127]
	v_add_f64 v[12:13], v[12:13], -v[126:127]
	ds_read2_b64 v[126:129], v1 offset0:58 offset1:59
	s_waitcnt lgkmcnt(0)
	v_mul_f64 v[28:29], v[128:129], v[134:135]
	v_fma_f64 v[28:29], v[126:127], v[26:27], -v[28:29]
	v_mul_f64 v[126:127], v[126:127], v[134:135]
	v_add_f64 v[6:7], v[6:7], -v[28:29]
	v_fma_f64 v[126:127], v[128:129], v[26:27], v[126:127]
	v_add_f64 v[8:9], v[8:9], -v[126:127]
	ds_read2_b64 v[126:129], v1 offset0:60 offset1:61
	s_waitcnt lgkmcnt(0)
	v_mul_f64 v[28:29], v[128:129], v[134:135]
	v_fma_f64 v[28:29], v[126:127], v[26:27], -v[28:29]
	v_mul_f64 v[126:127], v[126:127], v[134:135]
	v_add_f64 v[2:3], v[2:3], -v[28:29]
	v_fma_f64 v[126:127], v[128:129], v[26:27], v[126:127]
	v_mov_b32_e32 v28, v134
	v_mov_b32_e32 v29, v135
	v_add_f64 v[4:5], v[4:5], -v[126:127]
.LBB60_524:
	s_or_b32 exec_lo, exec_lo, s0
	v_lshl_add_u32 v126, v140, 4, v1
	s_barrier
	buffer_gl0_inv
	v_mov_b32_e32 v134, 25
	ds_write2_b64 v126, v[22:23], v[24:25] offset1:1
	s_waitcnt lgkmcnt(0)
	s_barrier
	buffer_gl0_inv
	ds_read2_b64 v[126:129], v1 offset0:50 offset1:51
	s_cmp_lt_i32 s18, 27
	s_cbranch_scc1 .LBB60_527
; %bb.525:
	v_add3_u32 v135, v136, 0, 0x1a0
	v_mov_b32_e32 v134, 25
	s_mov_b32 s1, 26
	s_inst_prefetch 0x1
	.p2align	6
.LBB60_526:                             ; =>This Inner Loop Header: Depth=1
	s_waitcnt lgkmcnt(0)
	v_cmp_gt_f64_e32 vcc_lo, 0, v[128:129]
	v_cmp_gt_f64_e64 s0, 0, v[126:127]
	ds_read2_b64 v[141:144], v135 offset1:1
	v_xor_b32_e32 v146, 0x80000000, v127
	v_xor_b32_e32 v148, 0x80000000, v129
	v_mov_b32_e32 v145, v126
	v_mov_b32_e32 v147, v128
	v_add_nc_u32_e32 v135, 16, v135
	s_waitcnt lgkmcnt(0)
	v_xor_b32_e32 v150, 0x80000000, v144
	v_cndmask_b32_e64 v146, v127, v146, s0
	v_cndmask_b32_e32 v148, v129, v148, vcc_lo
	v_cmp_gt_f64_e32 vcc_lo, 0, v[143:144]
	v_cmp_gt_f64_e64 s0, 0, v[141:142]
	v_mov_b32_e32 v149, v143
	v_add_f64 v[145:146], v[145:146], v[147:148]
	v_xor_b32_e32 v148, 0x80000000, v142
	v_mov_b32_e32 v147, v141
	v_cndmask_b32_e32 v150, v144, v150, vcc_lo
	v_cndmask_b32_e64 v148, v142, v148, s0
	v_add_f64 v[147:148], v[147:148], v[149:150]
	v_cmp_lt_f64_e32 vcc_lo, v[145:146], v[147:148]
	v_cndmask_b32_e32 v127, v127, v142, vcc_lo
	v_cndmask_b32_e32 v126, v126, v141, vcc_lo
	;; [unrolled: 1-line block ×4, first 2 shown]
	v_cndmask_b32_e64 v134, v134, s1, vcc_lo
	s_add_i32 s1, s1, 1
	s_cmp_lg_u32 s18, s1
	s_cbranch_scc1 .LBB60_526
.LBB60_527:
	s_inst_prefetch 0x2
	s_waitcnt lgkmcnt(0)
	v_cmp_eq_f64_e32 vcc_lo, 0, v[126:127]
	v_cmp_eq_f64_e64 s0, 0, v[128:129]
	s_and_b32 s0, vcc_lo, s0
	s_and_saveexec_b32 s1, s0
	s_xor_b32 s0, exec_lo, s1
; %bb.528:
	v_cmp_ne_u32_e32 vcc_lo, 0, v139
	v_cndmask_b32_e32 v139, 26, v139, vcc_lo
; %bb.529:
	s_andn2_saveexec_b32 s0, s0
	s_cbranch_execz .LBB60_535
; %bb.530:
	v_cmp_ngt_f64_e64 s1, |v[126:127]|, |v[128:129]|
	s_and_saveexec_b32 s2, s1
	s_xor_b32 s1, exec_lo, s2
	s_cbranch_execz .LBB60_532
; %bb.531:
	v_div_scale_f64 v[141:142], null, v[128:129], v[128:129], v[126:127]
	v_div_scale_f64 v[147:148], vcc_lo, v[126:127], v[128:129], v[126:127]
	v_rcp_f64_e32 v[143:144], v[141:142]
	v_fma_f64 v[145:146], -v[141:142], v[143:144], 1.0
	v_fma_f64 v[143:144], v[143:144], v[145:146], v[143:144]
	v_fma_f64 v[145:146], -v[141:142], v[143:144], 1.0
	v_fma_f64 v[143:144], v[143:144], v[145:146], v[143:144]
	v_mul_f64 v[145:146], v[147:148], v[143:144]
	v_fma_f64 v[141:142], -v[141:142], v[145:146], v[147:148]
	v_div_fmas_f64 v[141:142], v[141:142], v[143:144], v[145:146]
	v_div_fixup_f64 v[141:142], v[141:142], v[128:129], v[126:127]
	v_fma_f64 v[126:127], v[126:127], v[141:142], v[128:129]
	v_div_scale_f64 v[128:129], null, v[126:127], v[126:127], 1.0
	v_rcp_f64_e32 v[143:144], v[128:129]
	v_fma_f64 v[145:146], -v[128:129], v[143:144], 1.0
	v_fma_f64 v[143:144], v[143:144], v[145:146], v[143:144]
	v_fma_f64 v[145:146], -v[128:129], v[143:144], 1.0
	v_fma_f64 v[143:144], v[143:144], v[145:146], v[143:144]
	v_div_scale_f64 v[145:146], vcc_lo, 1.0, v[126:127], 1.0
	v_mul_f64 v[147:148], v[145:146], v[143:144]
	v_fma_f64 v[128:129], -v[128:129], v[147:148], v[145:146]
	v_div_fmas_f64 v[128:129], v[128:129], v[143:144], v[147:148]
	v_div_fixup_f64 v[128:129], v[128:129], v[126:127], 1.0
	v_mul_f64 v[126:127], v[141:142], v[128:129]
	v_xor_b32_e32 v129, 0x80000000, v129
.LBB60_532:
	s_andn2_saveexec_b32 s1, s1
	s_cbranch_execz .LBB60_534
; %bb.533:
	v_div_scale_f64 v[141:142], null, v[126:127], v[126:127], v[128:129]
	v_div_scale_f64 v[147:148], vcc_lo, v[128:129], v[126:127], v[128:129]
	v_rcp_f64_e32 v[143:144], v[141:142]
	v_fma_f64 v[145:146], -v[141:142], v[143:144], 1.0
	v_fma_f64 v[143:144], v[143:144], v[145:146], v[143:144]
	v_fma_f64 v[145:146], -v[141:142], v[143:144], 1.0
	v_fma_f64 v[143:144], v[143:144], v[145:146], v[143:144]
	v_mul_f64 v[145:146], v[147:148], v[143:144]
	v_fma_f64 v[141:142], -v[141:142], v[145:146], v[147:148]
	v_div_fmas_f64 v[141:142], v[141:142], v[143:144], v[145:146]
	v_div_fixup_f64 v[141:142], v[141:142], v[126:127], v[128:129]
	v_fma_f64 v[126:127], v[128:129], v[141:142], v[126:127]
	v_div_scale_f64 v[128:129], null, v[126:127], v[126:127], 1.0
	v_rcp_f64_e32 v[143:144], v[128:129]
	v_fma_f64 v[145:146], -v[128:129], v[143:144], 1.0
	v_fma_f64 v[143:144], v[143:144], v[145:146], v[143:144]
	v_fma_f64 v[145:146], -v[128:129], v[143:144], 1.0
	v_fma_f64 v[143:144], v[143:144], v[145:146], v[143:144]
	v_div_scale_f64 v[145:146], vcc_lo, 1.0, v[126:127], 1.0
	v_mul_f64 v[147:148], v[145:146], v[143:144]
	v_fma_f64 v[128:129], -v[128:129], v[147:148], v[145:146]
	v_div_fmas_f64 v[128:129], v[128:129], v[143:144], v[147:148]
	v_div_fixup_f64 v[126:127], v[128:129], v[126:127], 1.0
	v_mul_f64 v[128:129], v[141:142], -v[126:127]
.LBB60_534:
	s_or_b32 exec_lo, exec_lo, s1
.LBB60_535:
	s_or_b32 exec_lo, exec_lo, s0
	s_mov_b32 s0, exec_lo
	v_cmpx_ne_u32_e64 v140, v134
	s_xor_b32 s0, exec_lo, s0
	s_cbranch_execz .LBB60_541
; %bb.536:
	s_mov_b32 s1, exec_lo
	v_cmpx_eq_u32_e32 25, v140
	s_cbranch_execz .LBB60_540
; %bb.537:
	v_cmp_ne_u32_e32 vcc_lo, 25, v134
	s_xor_b32 s2, s16, -1
	s_and_b32 s3, s2, vcc_lo
	s_and_saveexec_b32 s2, s3
	s_cbranch_execz .LBB60_539
; %bb.538:
	v_ashrrev_i32_e32 v135, 31, v134
	v_lshlrev_b64 v[140:141], 2, v[134:135]
	v_add_co_u32 v140, vcc_lo, v132, v140
	v_add_co_ci_u32_e64 v141, null, v133, v141, vcc_lo
	s_clause 0x1
	global_load_dword v0, v[140:141], off
	global_load_dword v135, v[132:133], off offset:100
	s_waitcnt vmcnt(1)
	global_store_dword v[132:133], v0, off offset:100
	s_waitcnt vmcnt(0)
	global_store_dword v[140:141], v135, off
.LBB60_539:
	s_or_b32 exec_lo, exec_lo, s2
	v_mov_b32_e32 v140, v134
	v_mov_b32_e32 v0, v134
.LBB60_540:
	s_or_b32 exec_lo, exec_lo, s1
.LBB60_541:
	s_andn2_saveexec_b32 s0, s0
	s_cbranch_execz .LBB60_543
; %bb.542:
	v_mov_b32_e32 v140, 25
	ds_write2_b64 v1, v[18:19], v[20:21] offset0:52 offset1:53
	ds_write2_b64 v1, v[14:15], v[16:17] offset0:54 offset1:55
	;; [unrolled: 1-line block ×5, first 2 shown]
.LBB60_543:
	s_or_b32 exec_lo, exec_lo, s0
	s_mov_b32 s0, exec_lo
	s_waitcnt lgkmcnt(0)
	s_waitcnt_vscnt null, 0x0
	s_barrier
	buffer_gl0_inv
	v_cmpx_lt_i32_e32 25, v140
	s_cbranch_execz .LBB60_545
; %bb.544:
	v_mul_f64 v[134:135], v[126:127], v[24:25]
	v_mul_f64 v[24:25], v[128:129], v[24:25]
	v_fma_f64 v[134:135], v[128:129], v[22:23], v[134:135]
	v_fma_f64 v[22:23], v[126:127], v[22:23], -v[24:25]
	ds_read2_b64 v[126:129], v1 offset0:52 offset1:53
	s_waitcnt lgkmcnt(0)
	v_mul_f64 v[24:25], v[128:129], v[134:135]
	v_fma_f64 v[24:25], v[126:127], v[22:23], -v[24:25]
	v_mul_f64 v[126:127], v[126:127], v[134:135]
	v_add_f64 v[18:19], v[18:19], -v[24:25]
	v_fma_f64 v[126:127], v[128:129], v[22:23], v[126:127]
	v_add_f64 v[20:21], v[20:21], -v[126:127]
	ds_read2_b64 v[126:129], v1 offset0:54 offset1:55
	s_waitcnt lgkmcnt(0)
	v_mul_f64 v[24:25], v[128:129], v[134:135]
	v_fma_f64 v[24:25], v[126:127], v[22:23], -v[24:25]
	v_mul_f64 v[126:127], v[126:127], v[134:135]
	v_add_f64 v[14:15], v[14:15], -v[24:25]
	v_fma_f64 v[126:127], v[128:129], v[22:23], v[126:127]
	v_add_f64 v[16:17], v[16:17], -v[126:127]
	;; [unrolled: 8-line block ×4, first 2 shown]
	ds_read2_b64 v[126:129], v1 offset0:60 offset1:61
	s_waitcnt lgkmcnt(0)
	v_mul_f64 v[24:25], v[128:129], v[134:135]
	v_fma_f64 v[24:25], v[126:127], v[22:23], -v[24:25]
	v_mul_f64 v[126:127], v[126:127], v[134:135]
	v_add_f64 v[2:3], v[2:3], -v[24:25]
	v_fma_f64 v[126:127], v[128:129], v[22:23], v[126:127]
	v_mov_b32_e32 v24, v134
	v_mov_b32_e32 v25, v135
	v_add_f64 v[4:5], v[4:5], -v[126:127]
.LBB60_545:
	s_or_b32 exec_lo, exec_lo, s0
	v_lshl_add_u32 v126, v140, 4, v1
	s_barrier
	buffer_gl0_inv
	v_mov_b32_e32 v134, 26
	ds_write2_b64 v126, v[18:19], v[20:21] offset1:1
	s_waitcnt lgkmcnt(0)
	s_barrier
	buffer_gl0_inv
	ds_read2_b64 v[126:129], v1 offset0:52 offset1:53
	s_cmp_lt_i32 s18, 28
	s_cbranch_scc1 .LBB60_548
; %bb.546:
	v_add3_u32 v135, v136, 0, 0x1b0
	v_mov_b32_e32 v134, 26
	s_mov_b32 s1, 27
	s_inst_prefetch 0x1
	.p2align	6
.LBB60_547:                             ; =>This Inner Loop Header: Depth=1
	s_waitcnt lgkmcnt(0)
	v_cmp_gt_f64_e32 vcc_lo, 0, v[128:129]
	v_cmp_gt_f64_e64 s0, 0, v[126:127]
	ds_read2_b64 v[141:144], v135 offset1:1
	v_xor_b32_e32 v146, 0x80000000, v127
	v_xor_b32_e32 v148, 0x80000000, v129
	v_mov_b32_e32 v145, v126
	v_mov_b32_e32 v147, v128
	v_add_nc_u32_e32 v135, 16, v135
	s_waitcnt lgkmcnt(0)
	v_xor_b32_e32 v150, 0x80000000, v144
	v_cndmask_b32_e64 v146, v127, v146, s0
	v_cndmask_b32_e32 v148, v129, v148, vcc_lo
	v_cmp_gt_f64_e32 vcc_lo, 0, v[143:144]
	v_cmp_gt_f64_e64 s0, 0, v[141:142]
	v_mov_b32_e32 v149, v143
	v_add_f64 v[145:146], v[145:146], v[147:148]
	v_xor_b32_e32 v148, 0x80000000, v142
	v_mov_b32_e32 v147, v141
	v_cndmask_b32_e32 v150, v144, v150, vcc_lo
	v_cndmask_b32_e64 v148, v142, v148, s0
	v_add_f64 v[147:148], v[147:148], v[149:150]
	v_cmp_lt_f64_e32 vcc_lo, v[145:146], v[147:148]
	v_cndmask_b32_e32 v127, v127, v142, vcc_lo
	v_cndmask_b32_e32 v126, v126, v141, vcc_lo
	;; [unrolled: 1-line block ×4, first 2 shown]
	v_cndmask_b32_e64 v134, v134, s1, vcc_lo
	s_add_i32 s1, s1, 1
	s_cmp_lg_u32 s18, s1
	s_cbranch_scc1 .LBB60_547
.LBB60_548:
	s_inst_prefetch 0x2
	s_waitcnt lgkmcnt(0)
	v_cmp_eq_f64_e32 vcc_lo, 0, v[126:127]
	v_cmp_eq_f64_e64 s0, 0, v[128:129]
	s_and_b32 s0, vcc_lo, s0
	s_and_saveexec_b32 s1, s0
	s_xor_b32 s0, exec_lo, s1
; %bb.549:
	v_cmp_ne_u32_e32 vcc_lo, 0, v139
	v_cndmask_b32_e32 v139, 27, v139, vcc_lo
; %bb.550:
	s_andn2_saveexec_b32 s0, s0
	s_cbranch_execz .LBB60_556
; %bb.551:
	v_cmp_ngt_f64_e64 s1, |v[126:127]|, |v[128:129]|
	s_and_saveexec_b32 s2, s1
	s_xor_b32 s1, exec_lo, s2
	s_cbranch_execz .LBB60_553
; %bb.552:
	v_div_scale_f64 v[141:142], null, v[128:129], v[128:129], v[126:127]
	v_div_scale_f64 v[147:148], vcc_lo, v[126:127], v[128:129], v[126:127]
	v_rcp_f64_e32 v[143:144], v[141:142]
	v_fma_f64 v[145:146], -v[141:142], v[143:144], 1.0
	v_fma_f64 v[143:144], v[143:144], v[145:146], v[143:144]
	v_fma_f64 v[145:146], -v[141:142], v[143:144], 1.0
	v_fma_f64 v[143:144], v[143:144], v[145:146], v[143:144]
	v_mul_f64 v[145:146], v[147:148], v[143:144]
	v_fma_f64 v[141:142], -v[141:142], v[145:146], v[147:148]
	v_div_fmas_f64 v[141:142], v[141:142], v[143:144], v[145:146]
	v_div_fixup_f64 v[141:142], v[141:142], v[128:129], v[126:127]
	v_fma_f64 v[126:127], v[126:127], v[141:142], v[128:129]
	v_div_scale_f64 v[128:129], null, v[126:127], v[126:127], 1.0
	v_rcp_f64_e32 v[143:144], v[128:129]
	v_fma_f64 v[145:146], -v[128:129], v[143:144], 1.0
	v_fma_f64 v[143:144], v[143:144], v[145:146], v[143:144]
	v_fma_f64 v[145:146], -v[128:129], v[143:144], 1.0
	v_fma_f64 v[143:144], v[143:144], v[145:146], v[143:144]
	v_div_scale_f64 v[145:146], vcc_lo, 1.0, v[126:127], 1.0
	v_mul_f64 v[147:148], v[145:146], v[143:144]
	v_fma_f64 v[128:129], -v[128:129], v[147:148], v[145:146]
	v_div_fmas_f64 v[128:129], v[128:129], v[143:144], v[147:148]
	v_div_fixup_f64 v[128:129], v[128:129], v[126:127], 1.0
	v_mul_f64 v[126:127], v[141:142], v[128:129]
	v_xor_b32_e32 v129, 0x80000000, v129
.LBB60_553:
	s_andn2_saveexec_b32 s1, s1
	s_cbranch_execz .LBB60_555
; %bb.554:
	v_div_scale_f64 v[141:142], null, v[126:127], v[126:127], v[128:129]
	v_div_scale_f64 v[147:148], vcc_lo, v[128:129], v[126:127], v[128:129]
	v_rcp_f64_e32 v[143:144], v[141:142]
	v_fma_f64 v[145:146], -v[141:142], v[143:144], 1.0
	v_fma_f64 v[143:144], v[143:144], v[145:146], v[143:144]
	v_fma_f64 v[145:146], -v[141:142], v[143:144], 1.0
	v_fma_f64 v[143:144], v[143:144], v[145:146], v[143:144]
	v_mul_f64 v[145:146], v[147:148], v[143:144]
	v_fma_f64 v[141:142], -v[141:142], v[145:146], v[147:148]
	v_div_fmas_f64 v[141:142], v[141:142], v[143:144], v[145:146]
	v_div_fixup_f64 v[141:142], v[141:142], v[126:127], v[128:129]
	v_fma_f64 v[126:127], v[128:129], v[141:142], v[126:127]
	v_div_scale_f64 v[128:129], null, v[126:127], v[126:127], 1.0
	v_rcp_f64_e32 v[143:144], v[128:129]
	v_fma_f64 v[145:146], -v[128:129], v[143:144], 1.0
	v_fma_f64 v[143:144], v[143:144], v[145:146], v[143:144]
	v_fma_f64 v[145:146], -v[128:129], v[143:144], 1.0
	v_fma_f64 v[143:144], v[143:144], v[145:146], v[143:144]
	v_div_scale_f64 v[145:146], vcc_lo, 1.0, v[126:127], 1.0
	v_mul_f64 v[147:148], v[145:146], v[143:144]
	v_fma_f64 v[128:129], -v[128:129], v[147:148], v[145:146]
	v_div_fmas_f64 v[128:129], v[128:129], v[143:144], v[147:148]
	v_div_fixup_f64 v[126:127], v[128:129], v[126:127], 1.0
	v_mul_f64 v[128:129], v[141:142], -v[126:127]
.LBB60_555:
	s_or_b32 exec_lo, exec_lo, s1
.LBB60_556:
	s_or_b32 exec_lo, exec_lo, s0
	s_mov_b32 s0, exec_lo
	v_cmpx_ne_u32_e64 v140, v134
	s_xor_b32 s0, exec_lo, s0
	s_cbranch_execz .LBB60_562
; %bb.557:
	s_mov_b32 s1, exec_lo
	v_cmpx_eq_u32_e32 26, v140
	s_cbranch_execz .LBB60_561
; %bb.558:
	v_cmp_ne_u32_e32 vcc_lo, 26, v134
	s_xor_b32 s2, s16, -1
	s_and_b32 s3, s2, vcc_lo
	s_and_saveexec_b32 s2, s3
	s_cbranch_execz .LBB60_560
; %bb.559:
	v_ashrrev_i32_e32 v135, 31, v134
	v_lshlrev_b64 v[140:141], 2, v[134:135]
	v_add_co_u32 v140, vcc_lo, v132, v140
	v_add_co_ci_u32_e64 v141, null, v133, v141, vcc_lo
	s_clause 0x1
	global_load_dword v0, v[140:141], off
	global_load_dword v135, v[132:133], off offset:104
	s_waitcnt vmcnt(1)
	global_store_dword v[132:133], v0, off offset:104
	s_waitcnt vmcnt(0)
	global_store_dword v[140:141], v135, off
.LBB60_560:
	s_or_b32 exec_lo, exec_lo, s2
	v_mov_b32_e32 v140, v134
	v_mov_b32_e32 v0, v134
.LBB60_561:
	s_or_b32 exec_lo, exec_lo, s1
.LBB60_562:
	s_andn2_saveexec_b32 s0, s0
	s_cbranch_execz .LBB60_564
; %bb.563:
	v_mov_b32_e32 v140, 26
	ds_write2_b64 v1, v[14:15], v[16:17] offset0:54 offset1:55
	ds_write2_b64 v1, v[10:11], v[12:13] offset0:56 offset1:57
	;; [unrolled: 1-line block ×4, first 2 shown]
.LBB60_564:
	s_or_b32 exec_lo, exec_lo, s0
	s_mov_b32 s0, exec_lo
	s_waitcnt lgkmcnt(0)
	s_waitcnt_vscnt null, 0x0
	s_barrier
	buffer_gl0_inv
	v_cmpx_lt_i32_e32 26, v140
	s_cbranch_execz .LBB60_566
; %bb.565:
	v_mul_f64 v[134:135], v[126:127], v[20:21]
	v_mul_f64 v[20:21], v[128:129], v[20:21]
	v_fma_f64 v[134:135], v[128:129], v[18:19], v[134:135]
	v_fma_f64 v[18:19], v[126:127], v[18:19], -v[20:21]
	ds_read2_b64 v[126:129], v1 offset0:54 offset1:55
	s_waitcnt lgkmcnt(0)
	v_mul_f64 v[20:21], v[128:129], v[134:135]
	v_fma_f64 v[20:21], v[126:127], v[18:19], -v[20:21]
	v_mul_f64 v[126:127], v[126:127], v[134:135]
	v_add_f64 v[14:15], v[14:15], -v[20:21]
	v_fma_f64 v[126:127], v[128:129], v[18:19], v[126:127]
	v_add_f64 v[16:17], v[16:17], -v[126:127]
	ds_read2_b64 v[126:129], v1 offset0:56 offset1:57
	s_waitcnt lgkmcnt(0)
	v_mul_f64 v[20:21], v[128:129], v[134:135]
	v_fma_f64 v[20:21], v[126:127], v[18:19], -v[20:21]
	v_mul_f64 v[126:127], v[126:127], v[134:135]
	v_add_f64 v[10:11], v[10:11], -v[20:21]
	v_fma_f64 v[126:127], v[128:129], v[18:19], v[126:127]
	v_add_f64 v[12:13], v[12:13], -v[126:127]
	;; [unrolled: 8-line block ×3, first 2 shown]
	ds_read2_b64 v[126:129], v1 offset0:60 offset1:61
	s_waitcnt lgkmcnt(0)
	v_mul_f64 v[20:21], v[128:129], v[134:135]
	v_fma_f64 v[20:21], v[126:127], v[18:19], -v[20:21]
	v_mul_f64 v[126:127], v[126:127], v[134:135]
	v_add_f64 v[2:3], v[2:3], -v[20:21]
	v_fma_f64 v[126:127], v[128:129], v[18:19], v[126:127]
	v_mov_b32_e32 v20, v134
	v_mov_b32_e32 v21, v135
	v_add_f64 v[4:5], v[4:5], -v[126:127]
.LBB60_566:
	s_or_b32 exec_lo, exec_lo, s0
	v_lshl_add_u32 v126, v140, 4, v1
	s_barrier
	buffer_gl0_inv
	v_mov_b32_e32 v134, 27
	ds_write2_b64 v126, v[14:15], v[16:17] offset1:1
	s_waitcnt lgkmcnt(0)
	s_barrier
	buffer_gl0_inv
	ds_read2_b64 v[126:129], v1 offset0:54 offset1:55
	s_cmp_lt_i32 s18, 29
	s_cbranch_scc1 .LBB60_569
; %bb.567:
	v_add3_u32 v135, v136, 0, 0x1c0
	v_mov_b32_e32 v134, 27
	s_mov_b32 s1, 28
	s_inst_prefetch 0x1
	.p2align	6
.LBB60_568:                             ; =>This Inner Loop Header: Depth=1
	s_waitcnt lgkmcnt(0)
	v_cmp_gt_f64_e32 vcc_lo, 0, v[128:129]
	v_cmp_gt_f64_e64 s0, 0, v[126:127]
	ds_read2_b64 v[141:144], v135 offset1:1
	v_xor_b32_e32 v146, 0x80000000, v127
	v_xor_b32_e32 v148, 0x80000000, v129
	v_mov_b32_e32 v145, v126
	v_mov_b32_e32 v147, v128
	v_add_nc_u32_e32 v135, 16, v135
	s_waitcnt lgkmcnt(0)
	v_xor_b32_e32 v150, 0x80000000, v144
	v_cndmask_b32_e64 v146, v127, v146, s0
	v_cndmask_b32_e32 v148, v129, v148, vcc_lo
	v_cmp_gt_f64_e32 vcc_lo, 0, v[143:144]
	v_cmp_gt_f64_e64 s0, 0, v[141:142]
	v_mov_b32_e32 v149, v143
	v_add_f64 v[145:146], v[145:146], v[147:148]
	v_xor_b32_e32 v148, 0x80000000, v142
	v_mov_b32_e32 v147, v141
	v_cndmask_b32_e32 v150, v144, v150, vcc_lo
	v_cndmask_b32_e64 v148, v142, v148, s0
	v_add_f64 v[147:148], v[147:148], v[149:150]
	v_cmp_lt_f64_e32 vcc_lo, v[145:146], v[147:148]
	v_cndmask_b32_e32 v127, v127, v142, vcc_lo
	v_cndmask_b32_e32 v126, v126, v141, vcc_lo
	;; [unrolled: 1-line block ×4, first 2 shown]
	v_cndmask_b32_e64 v134, v134, s1, vcc_lo
	s_add_i32 s1, s1, 1
	s_cmp_lg_u32 s18, s1
	s_cbranch_scc1 .LBB60_568
.LBB60_569:
	s_inst_prefetch 0x2
	s_waitcnt lgkmcnt(0)
	v_cmp_eq_f64_e32 vcc_lo, 0, v[126:127]
	v_cmp_eq_f64_e64 s0, 0, v[128:129]
	s_and_b32 s0, vcc_lo, s0
	s_and_saveexec_b32 s1, s0
	s_xor_b32 s0, exec_lo, s1
; %bb.570:
	v_cmp_ne_u32_e32 vcc_lo, 0, v139
	v_cndmask_b32_e32 v139, 28, v139, vcc_lo
; %bb.571:
	s_andn2_saveexec_b32 s0, s0
	s_cbranch_execz .LBB60_577
; %bb.572:
	v_cmp_ngt_f64_e64 s1, |v[126:127]|, |v[128:129]|
	s_and_saveexec_b32 s2, s1
	s_xor_b32 s1, exec_lo, s2
	s_cbranch_execz .LBB60_574
; %bb.573:
	v_div_scale_f64 v[141:142], null, v[128:129], v[128:129], v[126:127]
	v_div_scale_f64 v[147:148], vcc_lo, v[126:127], v[128:129], v[126:127]
	v_rcp_f64_e32 v[143:144], v[141:142]
	v_fma_f64 v[145:146], -v[141:142], v[143:144], 1.0
	v_fma_f64 v[143:144], v[143:144], v[145:146], v[143:144]
	v_fma_f64 v[145:146], -v[141:142], v[143:144], 1.0
	v_fma_f64 v[143:144], v[143:144], v[145:146], v[143:144]
	v_mul_f64 v[145:146], v[147:148], v[143:144]
	v_fma_f64 v[141:142], -v[141:142], v[145:146], v[147:148]
	v_div_fmas_f64 v[141:142], v[141:142], v[143:144], v[145:146]
	v_div_fixup_f64 v[141:142], v[141:142], v[128:129], v[126:127]
	v_fma_f64 v[126:127], v[126:127], v[141:142], v[128:129]
	v_div_scale_f64 v[128:129], null, v[126:127], v[126:127], 1.0
	v_rcp_f64_e32 v[143:144], v[128:129]
	v_fma_f64 v[145:146], -v[128:129], v[143:144], 1.0
	v_fma_f64 v[143:144], v[143:144], v[145:146], v[143:144]
	v_fma_f64 v[145:146], -v[128:129], v[143:144], 1.0
	v_fma_f64 v[143:144], v[143:144], v[145:146], v[143:144]
	v_div_scale_f64 v[145:146], vcc_lo, 1.0, v[126:127], 1.0
	v_mul_f64 v[147:148], v[145:146], v[143:144]
	v_fma_f64 v[128:129], -v[128:129], v[147:148], v[145:146]
	v_div_fmas_f64 v[128:129], v[128:129], v[143:144], v[147:148]
	v_div_fixup_f64 v[128:129], v[128:129], v[126:127], 1.0
	v_mul_f64 v[126:127], v[141:142], v[128:129]
	v_xor_b32_e32 v129, 0x80000000, v129
.LBB60_574:
	s_andn2_saveexec_b32 s1, s1
	s_cbranch_execz .LBB60_576
; %bb.575:
	v_div_scale_f64 v[141:142], null, v[126:127], v[126:127], v[128:129]
	v_div_scale_f64 v[147:148], vcc_lo, v[128:129], v[126:127], v[128:129]
	v_rcp_f64_e32 v[143:144], v[141:142]
	v_fma_f64 v[145:146], -v[141:142], v[143:144], 1.0
	v_fma_f64 v[143:144], v[143:144], v[145:146], v[143:144]
	v_fma_f64 v[145:146], -v[141:142], v[143:144], 1.0
	v_fma_f64 v[143:144], v[143:144], v[145:146], v[143:144]
	v_mul_f64 v[145:146], v[147:148], v[143:144]
	v_fma_f64 v[141:142], -v[141:142], v[145:146], v[147:148]
	v_div_fmas_f64 v[141:142], v[141:142], v[143:144], v[145:146]
	v_div_fixup_f64 v[141:142], v[141:142], v[126:127], v[128:129]
	v_fma_f64 v[126:127], v[128:129], v[141:142], v[126:127]
	v_div_scale_f64 v[128:129], null, v[126:127], v[126:127], 1.0
	v_rcp_f64_e32 v[143:144], v[128:129]
	v_fma_f64 v[145:146], -v[128:129], v[143:144], 1.0
	v_fma_f64 v[143:144], v[143:144], v[145:146], v[143:144]
	v_fma_f64 v[145:146], -v[128:129], v[143:144], 1.0
	v_fma_f64 v[143:144], v[143:144], v[145:146], v[143:144]
	v_div_scale_f64 v[145:146], vcc_lo, 1.0, v[126:127], 1.0
	v_mul_f64 v[147:148], v[145:146], v[143:144]
	v_fma_f64 v[128:129], -v[128:129], v[147:148], v[145:146]
	v_div_fmas_f64 v[128:129], v[128:129], v[143:144], v[147:148]
	v_div_fixup_f64 v[126:127], v[128:129], v[126:127], 1.0
	v_mul_f64 v[128:129], v[141:142], -v[126:127]
.LBB60_576:
	s_or_b32 exec_lo, exec_lo, s1
.LBB60_577:
	s_or_b32 exec_lo, exec_lo, s0
	s_mov_b32 s0, exec_lo
	v_cmpx_ne_u32_e64 v140, v134
	s_xor_b32 s0, exec_lo, s0
	s_cbranch_execz .LBB60_583
; %bb.578:
	s_mov_b32 s1, exec_lo
	v_cmpx_eq_u32_e32 27, v140
	s_cbranch_execz .LBB60_582
; %bb.579:
	v_cmp_ne_u32_e32 vcc_lo, 27, v134
	s_xor_b32 s2, s16, -1
	s_and_b32 s3, s2, vcc_lo
	s_and_saveexec_b32 s2, s3
	s_cbranch_execz .LBB60_581
; %bb.580:
	v_ashrrev_i32_e32 v135, 31, v134
	v_lshlrev_b64 v[140:141], 2, v[134:135]
	v_add_co_u32 v140, vcc_lo, v132, v140
	v_add_co_ci_u32_e64 v141, null, v133, v141, vcc_lo
	s_clause 0x1
	global_load_dword v0, v[140:141], off
	global_load_dword v135, v[132:133], off offset:108
	s_waitcnt vmcnt(1)
	global_store_dword v[132:133], v0, off offset:108
	s_waitcnt vmcnt(0)
	global_store_dword v[140:141], v135, off
.LBB60_581:
	s_or_b32 exec_lo, exec_lo, s2
	v_mov_b32_e32 v140, v134
	v_mov_b32_e32 v0, v134
.LBB60_582:
	s_or_b32 exec_lo, exec_lo, s1
.LBB60_583:
	s_andn2_saveexec_b32 s0, s0
	s_cbranch_execz .LBB60_585
; %bb.584:
	v_mov_b32_e32 v140, 27
	ds_write2_b64 v1, v[10:11], v[12:13] offset0:56 offset1:57
	ds_write2_b64 v1, v[6:7], v[8:9] offset0:58 offset1:59
	;; [unrolled: 1-line block ×3, first 2 shown]
.LBB60_585:
	s_or_b32 exec_lo, exec_lo, s0
	s_mov_b32 s0, exec_lo
	s_waitcnt lgkmcnt(0)
	s_waitcnt_vscnt null, 0x0
	s_barrier
	buffer_gl0_inv
	v_cmpx_lt_i32_e32 27, v140
	s_cbranch_execz .LBB60_587
; %bb.586:
	v_mul_f64 v[134:135], v[126:127], v[16:17]
	v_mul_f64 v[16:17], v[128:129], v[16:17]
	v_fma_f64 v[134:135], v[128:129], v[14:15], v[134:135]
	v_fma_f64 v[14:15], v[126:127], v[14:15], -v[16:17]
	ds_read2_b64 v[126:129], v1 offset0:56 offset1:57
	s_waitcnt lgkmcnt(0)
	v_mul_f64 v[16:17], v[128:129], v[134:135]
	v_fma_f64 v[16:17], v[126:127], v[14:15], -v[16:17]
	v_mul_f64 v[126:127], v[126:127], v[134:135]
	v_add_f64 v[10:11], v[10:11], -v[16:17]
	v_fma_f64 v[126:127], v[128:129], v[14:15], v[126:127]
	v_add_f64 v[12:13], v[12:13], -v[126:127]
	ds_read2_b64 v[126:129], v1 offset0:58 offset1:59
	s_waitcnt lgkmcnt(0)
	v_mul_f64 v[16:17], v[128:129], v[134:135]
	v_fma_f64 v[16:17], v[126:127], v[14:15], -v[16:17]
	v_mul_f64 v[126:127], v[126:127], v[134:135]
	v_add_f64 v[6:7], v[6:7], -v[16:17]
	v_fma_f64 v[126:127], v[128:129], v[14:15], v[126:127]
	v_add_f64 v[8:9], v[8:9], -v[126:127]
	ds_read2_b64 v[126:129], v1 offset0:60 offset1:61
	s_waitcnt lgkmcnt(0)
	v_mul_f64 v[16:17], v[128:129], v[134:135]
	v_fma_f64 v[16:17], v[126:127], v[14:15], -v[16:17]
	v_mul_f64 v[126:127], v[126:127], v[134:135]
	v_add_f64 v[2:3], v[2:3], -v[16:17]
	v_fma_f64 v[126:127], v[128:129], v[14:15], v[126:127]
	v_mov_b32_e32 v16, v134
	v_mov_b32_e32 v17, v135
	v_add_f64 v[4:5], v[4:5], -v[126:127]
.LBB60_587:
	s_or_b32 exec_lo, exec_lo, s0
	v_lshl_add_u32 v126, v140, 4, v1
	s_barrier
	buffer_gl0_inv
	v_mov_b32_e32 v134, 28
	ds_write2_b64 v126, v[10:11], v[12:13] offset1:1
	s_waitcnt lgkmcnt(0)
	s_barrier
	buffer_gl0_inv
	ds_read2_b64 v[126:129], v1 offset0:56 offset1:57
	s_cmp_lt_i32 s18, 30
	s_cbranch_scc1 .LBB60_590
; %bb.588:
	v_add3_u32 v135, v136, 0, 0x1d0
	v_mov_b32_e32 v134, 28
	s_mov_b32 s1, 29
	s_inst_prefetch 0x1
	.p2align	6
.LBB60_589:                             ; =>This Inner Loop Header: Depth=1
	s_waitcnt lgkmcnt(0)
	v_cmp_gt_f64_e32 vcc_lo, 0, v[128:129]
	v_cmp_gt_f64_e64 s0, 0, v[126:127]
	ds_read2_b64 v[141:144], v135 offset1:1
	v_xor_b32_e32 v146, 0x80000000, v127
	v_xor_b32_e32 v148, 0x80000000, v129
	v_mov_b32_e32 v145, v126
	v_mov_b32_e32 v147, v128
	v_add_nc_u32_e32 v135, 16, v135
	s_waitcnt lgkmcnt(0)
	v_xor_b32_e32 v150, 0x80000000, v144
	v_cndmask_b32_e64 v146, v127, v146, s0
	v_cndmask_b32_e32 v148, v129, v148, vcc_lo
	v_cmp_gt_f64_e32 vcc_lo, 0, v[143:144]
	v_cmp_gt_f64_e64 s0, 0, v[141:142]
	v_mov_b32_e32 v149, v143
	v_add_f64 v[145:146], v[145:146], v[147:148]
	v_xor_b32_e32 v148, 0x80000000, v142
	v_mov_b32_e32 v147, v141
	v_cndmask_b32_e32 v150, v144, v150, vcc_lo
	v_cndmask_b32_e64 v148, v142, v148, s0
	v_add_f64 v[147:148], v[147:148], v[149:150]
	v_cmp_lt_f64_e32 vcc_lo, v[145:146], v[147:148]
	v_cndmask_b32_e32 v127, v127, v142, vcc_lo
	v_cndmask_b32_e32 v126, v126, v141, vcc_lo
	v_cndmask_b32_e32 v129, v129, v144, vcc_lo
	v_cndmask_b32_e32 v128, v128, v143, vcc_lo
	v_cndmask_b32_e64 v134, v134, s1, vcc_lo
	s_add_i32 s1, s1, 1
	s_cmp_lg_u32 s18, s1
	s_cbranch_scc1 .LBB60_589
.LBB60_590:
	s_inst_prefetch 0x2
	s_waitcnt lgkmcnt(0)
	v_cmp_eq_f64_e32 vcc_lo, 0, v[126:127]
	v_cmp_eq_f64_e64 s0, 0, v[128:129]
	s_and_b32 s0, vcc_lo, s0
	s_and_saveexec_b32 s1, s0
	s_xor_b32 s0, exec_lo, s1
; %bb.591:
	v_cmp_ne_u32_e32 vcc_lo, 0, v139
	v_cndmask_b32_e32 v139, 29, v139, vcc_lo
; %bb.592:
	s_andn2_saveexec_b32 s0, s0
	s_cbranch_execz .LBB60_598
; %bb.593:
	v_cmp_ngt_f64_e64 s1, |v[126:127]|, |v[128:129]|
	s_and_saveexec_b32 s2, s1
	s_xor_b32 s1, exec_lo, s2
	s_cbranch_execz .LBB60_595
; %bb.594:
	v_div_scale_f64 v[141:142], null, v[128:129], v[128:129], v[126:127]
	v_div_scale_f64 v[147:148], vcc_lo, v[126:127], v[128:129], v[126:127]
	v_rcp_f64_e32 v[143:144], v[141:142]
	v_fma_f64 v[145:146], -v[141:142], v[143:144], 1.0
	v_fma_f64 v[143:144], v[143:144], v[145:146], v[143:144]
	v_fma_f64 v[145:146], -v[141:142], v[143:144], 1.0
	v_fma_f64 v[143:144], v[143:144], v[145:146], v[143:144]
	v_mul_f64 v[145:146], v[147:148], v[143:144]
	v_fma_f64 v[141:142], -v[141:142], v[145:146], v[147:148]
	v_div_fmas_f64 v[141:142], v[141:142], v[143:144], v[145:146]
	v_div_fixup_f64 v[141:142], v[141:142], v[128:129], v[126:127]
	v_fma_f64 v[126:127], v[126:127], v[141:142], v[128:129]
	v_div_scale_f64 v[128:129], null, v[126:127], v[126:127], 1.0
	v_rcp_f64_e32 v[143:144], v[128:129]
	v_fma_f64 v[145:146], -v[128:129], v[143:144], 1.0
	v_fma_f64 v[143:144], v[143:144], v[145:146], v[143:144]
	v_fma_f64 v[145:146], -v[128:129], v[143:144], 1.0
	v_fma_f64 v[143:144], v[143:144], v[145:146], v[143:144]
	v_div_scale_f64 v[145:146], vcc_lo, 1.0, v[126:127], 1.0
	v_mul_f64 v[147:148], v[145:146], v[143:144]
	v_fma_f64 v[128:129], -v[128:129], v[147:148], v[145:146]
	v_div_fmas_f64 v[128:129], v[128:129], v[143:144], v[147:148]
	v_div_fixup_f64 v[128:129], v[128:129], v[126:127], 1.0
	v_mul_f64 v[126:127], v[141:142], v[128:129]
	v_xor_b32_e32 v129, 0x80000000, v129
.LBB60_595:
	s_andn2_saveexec_b32 s1, s1
	s_cbranch_execz .LBB60_597
; %bb.596:
	v_div_scale_f64 v[141:142], null, v[126:127], v[126:127], v[128:129]
	v_div_scale_f64 v[147:148], vcc_lo, v[128:129], v[126:127], v[128:129]
	v_rcp_f64_e32 v[143:144], v[141:142]
	v_fma_f64 v[145:146], -v[141:142], v[143:144], 1.0
	v_fma_f64 v[143:144], v[143:144], v[145:146], v[143:144]
	v_fma_f64 v[145:146], -v[141:142], v[143:144], 1.0
	v_fma_f64 v[143:144], v[143:144], v[145:146], v[143:144]
	v_mul_f64 v[145:146], v[147:148], v[143:144]
	v_fma_f64 v[141:142], -v[141:142], v[145:146], v[147:148]
	v_div_fmas_f64 v[141:142], v[141:142], v[143:144], v[145:146]
	v_div_fixup_f64 v[141:142], v[141:142], v[126:127], v[128:129]
	v_fma_f64 v[126:127], v[128:129], v[141:142], v[126:127]
	v_div_scale_f64 v[128:129], null, v[126:127], v[126:127], 1.0
	v_rcp_f64_e32 v[143:144], v[128:129]
	v_fma_f64 v[145:146], -v[128:129], v[143:144], 1.0
	v_fma_f64 v[143:144], v[143:144], v[145:146], v[143:144]
	v_fma_f64 v[145:146], -v[128:129], v[143:144], 1.0
	v_fma_f64 v[143:144], v[143:144], v[145:146], v[143:144]
	v_div_scale_f64 v[145:146], vcc_lo, 1.0, v[126:127], 1.0
	v_mul_f64 v[147:148], v[145:146], v[143:144]
	v_fma_f64 v[128:129], -v[128:129], v[147:148], v[145:146]
	v_div_fmas_f64 v[128:129], v[128:129], v[143:144], v[147:148]
	v_div_fixup_f64 v[126:127], v[128:129], v[126:127], 1.0
	v_mul_f64 v[128:129], v[141:142], -v[126:127]
.LBB60_597:
	s_or_b32 exec_lo, exec_lo, s1
.LBB60_598:
	s_or_b32 exec_lo, exec_lo, s0
	s_mov_b32 s0, exec_lo
	v_cmpx_ne_u32_e64 v140, v134
	s_xor_b32 s0, exec_lo, s0
	s_cbranch_execz .LBB60_604
; %bb.599:
	s_mov_b32 s1, exec_lo
	v_cmpx_eq_u32_e32 28, v140
	s_cbranch_execz .LBB60_603
; %bb.600:
	v_cmp_ne_u32_e32 vcc_lo, 28, v134
	s_xor_b32 s2, s16, -1
	s_and_b32 s3, s2, vcc_lo
	s_and_saveexec_b32 s2, s3
	s_cbranch_execz .LBB60_602
; %bb.601:
	v_ashrrev_i32_e32 v135, 31, v134
	v_lshlrev_b64 v[140:141], 2, v[134:135]
	v_add_co_u32 v140, vcc_lo, v132, v140
	v_add_co_ci_u32_e64 v141, null, v133, v141, vcc_lo
	s_clause 0x1
	global_load_dword v0, v[140:141], off
	global_load_dword v135, v[132:133], off offset:112
	s_waitcnt vmcnt(1)
	global_store_dword v[132:133], v0, off offset:112
	s_waitcnt vmcnt(0)
	global_store_dword v[140:141], v135, off
.LBB60_602:
	s_or_b32 exec_lo, exec_lo, s2
	v_mov_b32_e32 v140, v134
	v_mov_b32_e32 v0, v134
.LBB60_603:
	s_or_b32 exec_lo, exec_lo, s1
.LBB60_604:
	s_andn2_saveexec_b32 s0, s0
	s_cbranch_execz .LBB60_606
; %bb.605:
	v_mov_b32_e32 v140, 28
	ds_write2_b64 v1, v[6:7], v[8:9] offset0:58 offset1:59
	ds_write2_b64 v1, v[2:3], v[4:5] offset0:60 offset1:61
.LBB60_606:
	s_or_b32 exec_lo, exec_lo, s0
	s_mov_b32 s0, exec_lo
	s_waitcnt lgkmcnt(0)
	s_waitcnt_vscnt null, 0x0
	s_barrier
	buffer_gl0_inv
	v_cmpx_lt_i32_e32 28, v140
	s_cbranch_execz .LBB60_608
; %bb.607:
	v_mul_f64 v[134:135], v[126:127], v[12:13]
	v_mul_f64 v[12:13], v[128:129], v[12:13]
	ds_read2_b64 v[141:144], v1 offset0:58 offset1:59
	ds_read2_b64 v[145:148], v1 offset0:60 offset1:61
	v_fma_f64 v[128:129], v[128:129], v[10:11], v[134:135]
	v_fma_f64 v[10:11], v[126:127], v[10:11], -v[12:13]
	s_waitcnt lgkmcnt(1)
	v_mul_f64 v[12:13], v[143:144], v[128:129]
	v_mul_f64 v[126:127], v[141:142], v[128:129]
	s_waitcnt lgkmcnt(0)
	v_mul_f64 v[134:135], v[147:148], v[128:129]
	v_mul_f64 v[149:150], v[145:146], v[128:129]
	v_fma_f64 v[12:13], v[141:142], v[10:11], -v[12:13]
	v_fma_f64 v[126:127], v[143:144], v[10:11], v[126:127]
	v_fma_f64 v[134:135], v[145:146], v[10:11], -v[134:135]
	v_fma_f64 v[141:142], v[147:148], v[10:11], v[149:150]
	v_add_f64 v[6:7], v[6:7], -v[12:13]
	v_add_f64 v[8:9], v[8:9], -v[126:127]
	;; [unrolled: 1-line block ×4, first 2 shown]
	v_mov_b32_e32 v12, v128
	v_mov_b32_e32 v13, v129
.LBB60_608:
	s_or_b32 exec_lo, exec_lo, s0
	v_lshl_add_u32 v126, v140, 4, v1
	s_barrier
	buffer_gl0_inv
	v_mov_b32_e32 v134, 29
	ds_write2_b64 v126, v[6:7], v[8:9] offset1:1
	s_waitcnt lgkmcnt(0)
	s_barrier
	buffer_gl0_inv
	ds_read2_b64 v[126:129], v1 offset0:58 offset1:59
	s_cmp_lt_i32 s18, 31
	s_cbranch_scc1 .LBB60_611
; %bb.609:
	v_add3_u32 v135, v136, 0, 0x1e0
	v_mov_b32_e32 v134, 29
	s_mov_b32 s1, 30
	s_inst_prefetch 0x1
	.p2align	6
.LBB60_610:                             ; =>This Inner Loop Header: Depth=1
	s_waitcnt lgkmcnt(0)
	v_cmp_gt_f64_e32 vcc_lo, 0, v[128:129]
	v_cmp_gt_f64_e64 s0, 0, v[126:127]
	ds_read2_b64 v[141:144], v135 offset1:1
	v_xor_b32_e32 v146, 0x80000000, v127
	v_xor_b32_e32 v148, 0x80000000, v129
	v_mov_b32_e32 v145, v126
	v_mov_b32_e32 v147, v128
	v_add_nc_u32_e32 v135, 16, v135
	s_waitcnt lgkmcnt(0)
	v_xor_b32_e32 v150, 0x80000000, v144
	v_cndmask_b32_e64 v146, v127, v146, s0
	v_cndmask_b32_e32 v148, v129, v148, vcc_lo
	v_cmp_gt_f64_e32 vcc_lo, 0, v[143:144]
	v_cmp_gt_f64_e64 s0, 0, v[141:142]
	v_mov_b32_e32 v149, v143
	v_add_f64 v[145:146], v[145:146], v[147:148]
	v_xor_b32_e32 v148, 0x80000000, v142
	v_mov_b32_e32 v147, v141
	v_cndmask_b32_e32 v150, v144, v150, vcc_lo
	v_cndmask_b32_e64 v148, v142, v148, s0
	v_add_f64 v[147:148], v[147:148], v[149:150]
	v_cmp_lt_f64_e32 vcc_lo, v[145:146], v[147:148]
	v_cndmask_b32_e32 v127, v127, v142, vcc_lo
	v_cndmask_b32_e32 v126, v126, v141, vcc_lo
	v_cndmask_b32_e32 v129, v129, v144, vcc_lo
	v_cndmask_b32_e32 v128, v128, v143, vcc_lo
	v_cndmask_b32_e64 v134, v134, s1, vcc_lo
	s_add_i32 s1, s1, 1
	s_cmp_lg_u32 s18, s1
	s_cbranch_scc1 .LBB60_610
.LBB60_611:
	s_inst_prefetch 0x2
	s_waitcnt lgkmcnt(0)
	v_cmp_eq_f64_e32 vcc_lo, 0, v[126:127]
	v_cmp_eq_f64_e64 s0, 0, v[128:129]
	s_and_b32 s0, vcc_lo, s0
	s_and_saveexec_b32 s1, s0
	s_xor_b32 s0, exec_lo, s1
; %bb.612:
	v_cmp_ne_u32_e32 vcc_lo, 0, v139
	v_cndmask_b32_e32 v139, 30, v139, vcc_lo
; %bb.613:
	s_andn2_saveexec_b32 s0, s0
	s_cbranch_execz .LBB60_619
; %bb.614:
	v_cmp_ngt_f64_e64 s1, |v[126:127]|, |v[128:129]|
	s_and_saveexec_b32 s2, s1
	s_xor_b32 s1, exec_lo, s2
	s_cbranch_execz .LBB60_616
; %bb.615:
	v_div_scale_f64 v[141:142], null, v[128:129], v[128:129], v[126:127]
	v_div_scale_f64 v[147:148], vcc_lo, v[126:127], v[128:129], v[126:127]
	v_rcp_f64_e32 v[143:144], v[141:142]
	v_fma_f64 v[145:146], -v[141:142], v[143:144], 1.0
	v_fma_f64 v[143:144], v[143:144], v[145:146], v[143:144]
	v_fma_f64 v[145:146], -v[141:142], v[143:144], 1.0
	v_fma_f64 v[143:144], v[143:144], v[145:146], v[143:144]
	v_mul_f64 v[145:146], v[147:148], v[143:144]
	v_fma_f64 v[141:142], -v[141:142], v[145:146], v[147:148]
	v_div_fmas_f64 v[141:142], v[141:142], v[143:144], v[145:146]
	v_div_fixup_f64 v[141:142], v[141:142], v[128:129], v[126:127]
	v_fma_f64 v[126:127], v[126:127], v[141:142], v[128:129]
	v_div_scale_f64 v[128:129], null, v[126:127], v[126:127], 1.0
	v_rcp_f64_e32 v[143:144], v[128:129]
	v_fma_f64 v[145:146], -v[128:129], v[143:144], 1.0
	v_fma_f64 v[143:144], v[143:144], v[145:146], v[143:144]
	v_fma_f64 v[145:146], -v[128:129], v[143:144], 1.0
	v_fma_f64 v[143:144], v[143:144], v[145:146], v[143:144]
	v_div_scale_f64 v[145:146], vcc_lo, 1.0, v[126:127], 1.0
	v_mul_f64 v[147:148], v[145:146], v[143:144]
	v_fma_f64 v[128:129], -v[128:129], v[147:148], v[145:146]
	v_div_fmas_f64 v[128:129], v[128:129], v[143:144], v[147:148]
	v_div_fixup_f64 v[128:129], v[128:129], v[126:127], 1.0
	v_mul_f64 v[126:127], v[141:142], v[128:129]
	v_xor_b32_e32 v129, 0x80000000, v129
.LBB60_616:
	s_andn2_saveexec_b32 s1, s1
	s_cbranch_execz .LBB60_618
; %bb.617:
	v_div_scale_f64 v[141:142], null, v[126:127], v[126:127], v[128:129]
	v_div_scale_f64 v[147:148], vcc_lo, v[128:129], v[126:127], v[128:129]
	v_rcp_f64_e32 v[143:144], v[141:142]
	v_fma_f64 v[145:146], -v[141:142], v[143:144], 1.0
	v_fma_f64 v[143:144], v[143:144], v[145:146], v[143:144]
	v_fma_f64 v[145:146], -v[141:142], v[143:144], 1.0
	v_fma_f64 v[143:144], v[143:144], v[145:146], v[143:144]
	v_mul_f64 v[145:146], v[147:148], v[143:144]
	v_fma_f64 v[141:142], -v[141:142], v[145:146], v[147:148]
	v_div_fmas_f64 v[141:142], v[141:142], v[143:144], v[145:146]
	v_div_fixup_f64 v[141:142], v[141:142], v[126:127], v[128:129]
	v_fma_f64 v[126:127], v[128:129], v[141:142], v[126:127]
	v_div_scale_f64 v[128:129], null, v[126:127], v[126:127], 1.0
	v_rcp_f64_e32 v[143:144], v[128:129]
	v_fma_f64 v[145:146], -v[128:129], v[143:144], 1.0
	v_fma_f64 v[143:144], v[143:144], v[145:146], v[143:144]
	v_fma_f64 v[145:146], -v[128:129], v[143:144], 1.0
	v_fma_f64 v[143:144], v[143:144], v[145:146], v[143:144]
	v_div_scale_f64 v[145:146], vcc_lo, 1.0, v[126:127], 1.0
	v_mul_f64 v[147:148], v[145:146], v[143:144]
	v_fma_f64 v[128:129], -v[128:129], v[147:148], v[145:146]
	v_div_fmas_f64 v[128:129], v[128:129], v[143:144], v[147:148]
	v_div_fixup_f64 v[126:127], v[128:129], v[126:127], 1.0
	v_mul_f64 v[128:129], v[141:142], -v[126:127]
.LBB60_618:
	s_or_b32 exec_lo, exec_lo, s1
.LBB60_619:
	s_or_b32 exec_lo, exec_lo, s0
	s_mov_b32 s0, exec_lo
	v_cmpx_ne_u32_e64 v140, v134
	s_xor_b32 s0, exec_lo, s0
	s_cbranch_execz .LBB60_625
; %bb.620:
	s_mov_b32 s1, exec_lo
	v_cmpx_eq_u32_e32 29, v140
	s_cbranch_execz .LBB60_624
; %bb.621:
	v_cmp_ne_u32_e32 vcc_lo, 29, v134
	s_xor_b32 s2, s16, -1
	s_and_b32 s3, s2, vcc_lo
	s_and_saveexec_b32 s2, s3
	s_cbranch_execz .LBB60_623
; %bb.622:
	v_ashrrev_i32_e32 v135, 31, v134
	v_lshlrev_b64 v[140:141], 2, v[134:135]
	v_add_co_u32 v140, vcc_lo, v132, v140
	v_add_co_ci_u32_e64 v141, null, v133, v141, vcc_lo
	s_clause 0x1
	global_load_dword v0, v[140:141], off
	global_load_dword v135, v[132:133], off offset:116
	s_waitcnt vmcnt(1)
	global_store_dword v[132:133], v0, off offset:116
	s_waitcnt vmcnt(0)
	global_store_dword v[140:141], v135, off
.LBB60_623:
	s_or_b32 exec_lo, exec_lo, s2
	v_mov_b32_e32 v140, v134
	v_mov_b32_e32 v0, v134
.LBB60_624:
	s_or_b32 exec_lo, exec_lo, s1
.LBB60_625:
	s_andn2_saveexec_b32 s0, s0
; %bb.626:
	v_mov_b32_e32 v140, 29
	ds_write2_b64 v1, v[2:3], v[4:5] offset0:60 offset1:61
; %bb.627:
	s_or_b32 exec_lo, exec_lo, s0
	s_mov_b32 s0, exec_lo
	s_waitcnt lgkmcnt(0)
	s_waitcnt_vscnt null, 0x0
	s_barrier
	buffer_gl0_inv
	v_cmpx_lt_i32_e32 29, v140
	s_cbranch_execz .LBB60_629
; %bb.628:
	v_mul_f64 v[134:135], v[126:127], v[8:9]
	v_mul_f64 v[8:9], v[128:129], v[8:9]
	ds_read2_b64 v[141:144], v1 offset0:60 offset1:61
	v_fma_f64 v[128:129], v[128:129], v[6:7], v[134:135]
	v_fma_f64 v[6:7], v[126:127], v[6:7], -v[8:9]
	s_waitcnt lgkmcnt(0)
	v_mul_f64 v[8:9], v[143:144], v[128:129]
	v_mul_f64 v[126:127], v[141:142], v[128:129]
	v_fma_f64 v[8:9], v[141:142], v[6:7], -v[8:9]
	v_fma_f64 v[126:127], v[143:144], v[6:7], v[126:127]
	v_add_f64 v[2:3], v[2:3], -v[8:9]
	v_add_f64 v[4:5], v[4:5], -v[126:127]
	v_mov_b32_e32 v8, v128
	v_mov_b32_e32 v9, v129
.LBB60_629:
	s_or_b32 exec_lo, exec_lo, s0
	v_lshl_add_u32 v126, v140, 4, v1
	s_barrier
	buffer_gl0_inv
	v_mov_b32_e32 v134, 30
	ds_write2_b64 v126, v[2:3], v[4:5] offset1:1
	s_waitcnt lgkmcnt(0)
	s_barrier
	buffer_gl0_inv
	ds_read2_b64 v[126:129], v1 offset0:60 offset1:61
	s_cmp_lt_i32 s18, 32
	s_cbranch_scc1 .LBB60_632
; %bb.630:
	v_add3_u32 v1, v136, 0, 0x1f0
	v_mov_b32_e32 v134, 30
	s_mov_b32 s1, 31
	s_inst_prefetch 0x1
	.p2align	6
.LBB60_631:                             ; =>This Inner Loop Header: Depth=1
	s_waitcnt lgkmcnt(0)
	v_cmp_gt_f64_e32 vcc_lo, 0, v[128:129]
	v_cmp_gt_f64_e64 s0, 0, v[126:127]
	ds_read2_b64 v[141:144], v1 offset1:1
	v_xor_b32_e32 v136, 0x80000000, v127
	v_xor_b32_e32 v146, 0x80000000, v129
	v_mov_b32_e32 v135, v126
	v_mov_b32_e32 v145, v128
	v_add_nc_u32_e32 v1, 16, v1
	s_waitcnt lgkmcnt(0)
	v_xor_b32_e32 v148, 0x80000000, v144
	v_cndmask_b32_e64 v136, v127, v136, s0
	v_cndmask_b32_e32 v146, v129, v146, vcc_lo
	v_cmp_gt_f64_e32 vcc_lo, 0, v[143:144]
	v_cmp_gt_f64_e64 s0, 0, v[141:142]
	v_mov_b32_e32 v147, v143
	v_add_f64 v[135:136], v[135:136], v[145:146]
	v_xor_b32_e32 v146, 0x80000000, v142
	v_mov_b32_e32 v145, v141
	v_cndmask_b32_e32 v148, v144, v148, vcc_lo
	v_cndmask_b32_e64 v146, v142, v146, s0
	v_add_f64 v[145:146], v[145:146], v[147:148]
	v_cmp_lt_f64_e32 vcc_lo, v[135:136], v[145:146]
	v_cndmask_b32_e32 v127, v127, v142, vcc_lo
	v_cndmask_b32_e32 v126, v126, v141, vcc_lo
	;; [unrolled: 1-line block ×4, first 2 shown]
	v_cndmask_b32_e64 v134, v134, s1, vcc_lo
	s_add_i32 s1, s1, 1
	s_cmp_lg_u32 s18, s1
	s_cbranch_scc1 .LBB60_631
.LBB60_632:
	s_inst_prefetch 0x2
	s_waitcnt lgkmcnt(0)
	v_cmp_eq_f64_e32 vcc_lo, 0, v[126:127]
	v_cmp_eq_f64_e64 s0, 0, v[128:129]
	s_and_b32 s0, vcc_lo, s0
	s_and_saveexec_b32 s1, s0
	s_xor_b32 s0, exec_lo, s1
; %bb.633:
	v_cmp_ne_u32_e32 vcc_lo, 0, v139
	v_cndmask_b32_e32 v139, 31, v139, vcc_lo
; %bb.634:
	s_andn2_saveexec_b32 s0, s0
	s_cbranch_execz .LBB60_640
; %bb.635:
	v_cmp_ngt_f64_e64 s1, |v[126:127]|, |v[128:129]|
	s_and_saveexec_b32 s2, s1
	s_xor_b32 s1, exec_lo, s2
	s_cbranch_execz .LBB60_637
; %bb.636:
	v_div_scale_f64 v[135:136], null, v[128:129], v[128:129], v[126:127]
	v_div_scale_f64 v[145:146], vcc_lo, v[126:127], v[128:129], v[126:127]
	v_rcp_f64_e32 v[141:142], v[135:136]
	v_fma_f64 v[143:144], -v[135:136], v[141:142], 1.0
	v_fma_f64 v[141:142], v[141:142], v[143:144], v[141:142]
	v_fma_f64 v[143:144], -v[135:136], v[141:142], 1.0
	v_fma_f64 v[141:142], v[141:142], v[143:144], v[141:142]
	v_mul_f64 v[143:144], v[145:146], v[141:142]
	v_fma_f64 v[135:136], -v[135:136], v[143:144], v[145:146]
	v_div_fmas_f64 v[135:136], v[135:136], v[141:142], v[143:144]
	v_div_fixup_f64 v[135:136], v[135:136], v[128:129], v[126:127]
	v_fma_f64 v[126:127], v[126:127], v[135:136], v[128:129]
	v_div_scale_f64 v[128:129], null, v[126:127], v[126:127], 1.0
	v_rcp_f64_e32 v[141:142], v[128:129]
	v_fma_f64 v[143:144], -v[128:129], v[141:142], 1.0
	v_fma_f64 v[141:142], v[141:142], v[143:144], v[141:142]
	v_fma_f64 v[143:144], -v[128:129], v[141:142], 1.0
	v_fma_f64 v[141:142], v[141:142], v[143:144], v[141:142]
	v_div_scale_f64 v[143:144], vcc_lo, 1.0, v[126:127], 1.0
	v_mul_f64 v[145:146], v[143:144], v[141:142]
	v_fma_f64 v[128:129], -v[128:129], v[145:146], v[143:144]
	v_div_fmas_f64 v[128:129], v[128:129], v[141:142], v[145:146]
	v_div_fixup_f64 v[128:129], v[128:129], v[126:127], 1.0
	v_mul_f64 v[126:127], v[135:136], v[128:129]
	v_xor_b32_e32 v129, 0x80000000, v129
.LBB60_637:
	s_andn2_saveexec_b32 s1, s1
	s_cbranch_execz .LBB60_639
; %bb.638:
	v_div_scale_f64 v[135:136], null, v[126:127], v[126:127], v[128:129]
	v_div_scale_f64 v[145:146], vcc_lo, v[128:129], v[126:127], v[128:129]
	v_rcp_f64_e32 v[141:142], v[135:136]
	v_fma_f64 v[143:144], -v[135:136], v[141:142], 1.0
	v_fma_f64 v[141:142], v[141:142], v[143:144], v[141:142]
	v_fma_f64 v[143:144], -v[135:136], v[141:142], 1.0
	v_fma_f64 v[141:142], v[141:142], v[143:144], v[141:142]
	v_mul_f64 v[143:144], v[145:146], v[141:142]
	v_fma_f64 v[135:136], -v[135:136], v[143:144], v[145:146]
	v_div_fmas_f64 v[135:136], v[135:136], v[141:142], v[143:144]
	v_div_fixup_f64 v[135:136], v[135:136], v[126:127], v[128:129]
	v_fma_f64 v[126:127], v[128:129], v[135:136], v[126:127]
	v_div_scale_f64 v[128:129], null, v[126:127], v[126:127], 1.0
	v_rcp_f64_e32 v[141:142], v[128:129]
	v_fma_f64 v[143:144], -v[128:129], v[141:142], 1.0
	v_fma_f64 v[141:142], v[141:142], v[143:144], v[141:142]
	v_fma_f64 v[143:144], -v[128:129], v[141:142], 1.0
	v_fma_f64 v[141:142], v[141:142], v[143:144], v[141:142]
	v_div_scale_f64 v[143:144], vcc_lo, 1.0, v[126:127], 1.0
	v_mul_f64 v[145:146], v[143:144], v[141:142]
	v_fma_f64 v[128:129], -v[128:129], v[145:146], v[143:144]
	v_div_fmas_f64 v[128:129], v[128:129], v[141:142], v[145:146]
	v_div_fixup_f64 v[126:127], v[128:129], v[126:127], 1.0
	v_mul_f64 v[128:129], v[135:136], -v[126:127]
.LBB60_639:
	s_or_b32 exec_lo, exec_lo, s1
.LBB60_640:
	s_or_b32 exec_lo, exec_lo, s0
	v_mov_b32_e32 v135, 30
	s_mov_b32 s0, exec_lo
	v_cmpx_ne_u32_e64 v140, v134
	s_cbranch_execz .LBB60_646
; %bb.641:
	s_mov_b32 s1, exec_lo
	v_cmpx_eq_u32_e32 30, v140
	s_cbranch_execz .LBB60_645
; %bb.642:
	v_cmp_ne_u32_e32 vcc_lo, 30, v134
	s_xor_b32 s2, s16, -1
	s_and_b32 s3, s2, vcc_lo
	s_and_saveexec_b32 s2, s3
	s_cbranch_execz .LBB60_644
; %bb.643:
	v_ashrrev_i32_e32 v135, 31, v134
	v_lshlrev_b64 v[0:1], 2, v[134:135]
	v_add_co_u32 v0, vcc_lo, v132, v0
	v_add_co_ci_u32_e64 v1, null, v133, v1, vcc_lo
	s_clause 0x1
	global_load_dword v135, v[0:1], off
	global_load_dword v136, v[132:133], off offset:120
	s_waitcnt vmcnt(1)
	global_store_dword v[132:133], v135, off offset:120
	s_waitcnt vmcnt(0)
	global_store_dword v[0:1], v136, off
.LBB60_644:
	s_or_b32 exec_lo, exec_lo, s2
	v_mov_b32_e32 v140, v134
	v_mov_b32_e32 v0, v134
.LBB60_645:
	s_or_b32 exec_lo, exec_lo, s1
	v_mov_b32_e32 v135, v140
.LBB60_646:
	s_or_b32 exec_lo, exec_lo, s0
	s_mov_b32 s0, exec_lo
	s_waitcnt_vscnt null, 0x0
	s_barrier
	buffer_gl0_inv
	v_cmpx_lt_i32_e32 30, v135
	s_cbranch_execz .LBB60_648
; %bb.647:
	v_mul_f64 v[132:133], v[128:129], v[4:5]
	v_mul_f64 v[4:5], v[126:127], v[4:5]
	v_fma_f64 v[126:127], v[126:127], v[2:3], -v[132:133]
	v_fma_f64 v[4:5], v[128:129], v[2:3], v[4:5]
	v_mov_b32_e32 v2, v126
	v_mov_b32_e32 v3, v127
.LBB60_648:
	s_or_b32 exec_lo, exec_lo, s0
	v_ashrrev_i32_e32 v136, 31, v135
	s_mov_b32 s0, exec_lo
	s_barrier
	buffer_gl0_inv
	v_cmpx_gt_i32_e32 31, v135
	s_cbranch_execz .LBB60_650
; %bb.649:
	v_mul_lo_u32 v1, s15, v130
	v_mul_lo_u32 v128, s14, v131
	v_mad_u64_u32 v[126:127], null, s14, v130, 0
	s_lshl_b64 s[2:3], s[12:13], 2
	v_add3_u32 v0, v0, s17, 1
	v_add3_u32 v127, v127, v128, v1
	v_lshlrev_b64 v[126:127], 2, v[126:127]
	v_add_co_u32 v1, vcc_lo, s10, v126
	v_add_co_ci_u32_e64 v128, null, s11, v127, vcc_lo
	v_lshlrev_b64 v[126:127], 2, v[135:136]
	v_add_co_u32 v1, vcc_lo, v1, s2
	v_add_co_ci_u32_e64 v128, null, s3, v128, vcc_lo
	v_add_co_u32 v126, vcc_lo, v1, v126
	v_add_co_ci_u32_e64 v127, null, v128, v127, vcc_lo
	global_store_dword v[126:127], v0, off
.LBB60_650:
	s_or_b32 exec_lo, exec_lo, s0
	s_mov_b32 s1, exec_lo
	v_cmpx_eq_u32_e32 0, v135
	s_cbranch_execz .LBB60_653
; %bb.651:
	v_lshlrev_b64 v[0:1], 2, v[130:131]
	v_cmp_ne_u32_e64 s0, 0, v139
	v_add_co_u32 v0, vcc_lo, s4, v0
	v_add_co_ci_u32_e64 v1, null, s5, v1, vcc_lo
	global_load_dword v126, v[0:1], off
	s_waitcnt vmcnt(0)
	v_cmp_eq_u32_e32 vcc_lo, 0, v126
	s_and_b32 s0, vcc_lo, s0
	s_and_b32 exec_lo, exec_lo, s0
	s_cbranch_execz .LBB60_653
; %bb.652:
	v_add_nc_u32_e32 v126, s17, v139
	global_store_dword v[0:1], v126, off
.LBB60_653:
	s_or_b32 exec_lo, exec_lo, s1
	v_lshlrev_b64 v[126:127], 4, v[135:136]
	v_add3_u32 v0, s6, s6, v135
	v_add_nc_u32_e32 v128, s6, v0
	v_add_co_u32 v126, vcc_lo, v137, v126
	v_add_co_ci_u32_e64 v127, null, v138, v127, vcc_lo
	v_ashrrev_i32_e32 v1, 31, v0
	v_ashrrev_i32_e32 v129, 31, v128
	global_store_dwordx4 v[126:127], v[122:125], off
	v_add_co_u32 v122, vcc_lo, v126, s8
	v_add_nc_u32_e32 v126, s6, v128
	v_lshlrev_b64 v[0:1], 4, v[0:1]
	v_lshlrev_b64 v[124:125], 4, v[128:129]
	v_add_co_ci_u32_e64 v123, null, s9, v127, vcc_lo
	v_add_nc_u32_e32 v128, s6, v126
	v_ashrrev_i32_e32 v127, 31, v126
	v_add_co_u32 v0, vcc_lo, v137, v0
	v_add_co_ci_u32_e64 v1, null, v138, v1, vcc_lo
	v_add_co_u32 v124, vcc_lo, v137, v124
	global_store_dwordx4 v[122:123], v[110:113], off
	v_add_nc_u32_e32 v112, s6, v128
	v_add_co_ci_u32_e64 v125, null, v138, v125, vcc_lo
	v_ashrrev_i32_e32 v129, 31, v128
	v_lshlrev_b64 v[110:111], 4, v[126:127]
	global_store_dwordx4 v[0:1], v[118:121], off
	global_store_dwordx4 v[124:125], v[114:117], off
	v_add_nc_u32_e32 v114, s6, v112
	v_ashrrev_i32_e32 v113, 31, v112
	v_lshlrev_b64 v[0:1], 4, v[128:129]
	v_add_co_u32 v110, vcc_lo, v137, v110
	v_add_nc_u32_e32 v116, s6, v114
	v_add_co_ci_u32_e64 v111, null, v138, v111, vcc_lo
	v_add_co_u32 v0, vcc_lo, v137, v0
	v_ashrrev_i32_e32 v115, 31, v114
	v_add_co_ci_u32_e64 v1, null, v138, v1, vcc_lo
	v_ashrrev_i32_e32 v117, 31, v116
	v_lshlrev_b64 v[112:113], 4, v[112:113]
	global_store_dwordx4 v[110:111], v[106:109], off
	global_store_dwordx4 v[0:1], v[102:105], off
	v_lshlrev_b64 v[0:1], 4, v[114:115]
	v_add_nc_u32_e32 v106, s6, v116
	v_lshlrev_b64 v[104:105], 4, v[116:117]
	v_add_co_u32 v102, vcc_lo, v137, v112
	v_add_co_ci_u32_e64 v103, null, v138, v113, vcc_lo
	v_add_co_u32 v0, vcc_lo, v137, v0
	v_add_co_ci_u32_e64 v1, null, v138, v1, vcc_lo
	v_add_co_u32 v104, vcc_lo, v137, v104
	v_add_nc_u32_e32 v108, s6, v106
	v_add_co_ci_u32_e64 v105, null, v138, v105, vcc_lo
	v_ashrrev_i32_e32 v107, 31, v106
	global_store_dwordx4 v[102:103], v[98:101], off
	global_store_dwordx4 v[0:1], v[94:97], off
	global_store_dwordx4 v[104:105], v[90:93], off
	v_add_nc_u32_e32 v90, s6, v108
	v_ashrrev_i32_e32 v109, 31, v108
	v_lshlrev_b64 v[98:99], 4, v[106:107]
	v_add_nc_u32_e32 v94, s6, v90
	v_lshlrev_b64 v[0:1], 4, v[108:109]
	v_ashrrev_i32_e32 v91, 31, v90
	v_add_co_u32 v92, vcc_lo, v137, v98
	v_add_nc_u32_e32 v96, s6, v94
	v_add_co_ci_u32_e64 v93, null, v138, v99, vcc_lo
	v_add_co_u32 v0, vcc_lo, v137, v0
	v_ashrrev_i32_e32 v95, 31, v94
	v_add_co_ci_u32_e64 v1, null, v138, v1, vcc_lo
	v_ashrrev_i32_e32 v97, 31, v96
	v_lshlrev_b64 v[90:91], 4, v[90:91]
	global_store_dwordx4 v[92:93], v[86:89], off
	global_store_dwordx4 v[0:1], v[82:85], off
	v_lshlrev_b64 v[0:1], 4, v[94:95]
	v_add_nc_u32_e32 v86, s6, v96
	v_lshlrev_b64 v[84:85], 4, v[96:97]
	v_add_co_u32 v82, vcc_lo, v137, v90
	v_add_co_ci_u32_e64 v83, null, v138, v91, vcc_lo
	v_add_co_u32 v0, vcc_lo, v137, v0
	v_add_co_ci_u32_e64 v1, null, v138, v1, vcc_lo
	v_add_co_u32 v84, vcc_lo, v137, v84
	v_add_nc_u32_e32 v88, s6, v86
	v_add_co_ci_u32_e64 v85, null, v138, v85, vcc_lo
	v_ashrrev_i32_e32 v87, 31, v86
	global_store_dwordx4 v[82:83], v[78:81], off
	global_store_dwordx4 v[0:1], v[74:77], off
	global_store_dwordx4 v[84:85], v[70:73], off
	v_add_nc_u32_e32 v70, s6, v88
	v_ashrrev_i32_e32 v89, 31, v88
	v_lshlrev_b64 v[78:79], 4, v[86:87]
	v_add_nc_u32_e32 v74, s6, v70
	v_lshlrev_b64 v[0:1], 4, v[88:89]
	v_ashrrev_i32_e32 v71, 31, v70
	v_add_co_u32 v72, vcc_lo, v137, v78
	v_add_nc_u32_e32 v76, s6, v74
	v_add_co_ci_u32_e64 v73, null, v138, v79, vcc_lo
	v_add_co_u32 v0, vcc_lo, v137, v0
	v_ashrrev_i32_e32 v75, 31, v74
	v_add_co_ci_u32_e64 v1, null, v138, v1, vcc_lo
	v_ashrrev_i32_e32 v77, 31, v76
	v_lshlrev_b64 v[70:71], 4, v[70:71]
	global_store_dwordx4 v[72:73], v[66:69], off
	global_store_dwordx4 v[0:1], v[62:65], off
	v_lshlrev_b64 v[0:1], 4, v[74:75]
	v_add_nc_u32_e32 v66, s6, v76
	v_lshlrev_b64 v[64:65], 4, v[76:77]
	v_add_co_u32 v62, vcc_lo, v137, v70
	v_add_co_ci_u32_e64 v63, null, v138, v71, vcc_lo
	v_add_co_u32 v0, vcc_lo, v137, v0
	v_add_co_ci_u32_e64 v1, null, v138, v1, vcc_lo
	v_add_co_u32 v64, vcc_lo, v137, v64
	v_add_nc_u32_e32 v68, s6, v66
	v_add_co_ci_u32_e64 v65, null, v138, v65, vcc_lo
	v_ashrrev_i32_e32 v67, 31, v66
	global_store_dwordx4 v[62:63], v[58:61], off
	global_store_dwordx4 v[0:1], v[54:57], off
	global_store_dwordx4 v[64:65], v[50:53], off
	v_add_nc_u32_e32 v50, s6, v68
	v_ashrrev_i32_e32 v69, 31, v68
	v_lshlrev_b64 v[58:59], 4, v[66:67]
	v_add_nc_u32_e32 v54, s6, v50
	v_lshlrev_b64 v[0:1], 4, v[68:69]
	v_ashrrev_i32_e32 v51, 31, v50
	v_add_co_u32 v52, vcc_lo, v137, v58
	v_add_nc_u32_e32 v56, s6, v54
	v_add_co_ci_u32_e64 v53, null, v138, v59, vcc_lo
	v_add_co_u32 v0, vcc_lo, v137, v0
	v_ashrrev_i32_e32 v55, 31, v54
	v_add_co_ci_u32_e64 v1, null, v138, v1, vcc_lo
	v_ashrrev_i32_e32 v57, 31, v56
	v_lshlrev_b64 v[50:51], 4, v[50:51]
	global_store_dwordx4 v[52:53], v[46:49], off
	global_store_dwordx4 v[0:1], v[42:45], off
	v_lshlrev_b64 v[0:1], 4, v[54:55]
	v_add_nc_u32_e32 v46, s6, v56
	v_lshlrev_b64 v[44:45], 4, v[56:57]
	v_add_co_u32 v42, vcc_lo, v137, v50
	v_add_co_ci_u32_e64 v43, null, v138, v51, vcc_lo
	v_add_co_u32 v0, vcc_lo, v137, v0
	v_add_nc_u32_e32 v48, s6, v46
	v_add_co_ci_u32_e64 v1, null, v138, v1, vcc_lo
	v_add_co_u32 v44, vcc_lo, v137, v44
	v_ashrrev_i32_e32 v47, 31, v46
	v_add_co_ci_u32_e64 v45, null, v138, v45, vcc_lo
	v_ashrrev_i32_e32 v49, 31, v48
	global_store_dwordx4 v[42:43], v[38:41], off
	v_lshlrev_b64 v[38:39], 4, v[46:47]
	global_store_dwordx4 v[0:1], v[34:37], off
	global_store_dwordx4 v[44:45], v[30:33], off
	v_add_nc_u32_e32 v30, s6, v48
	v_lshlrev_b64 v[0:1], 4, v[48:49]
	v_add_co_u32 v32, vcc_lo, v137, v38
	v_add_nc_u32_e32 v34, s6, v30
	v_add_co_ci_u32_e64 v33, null, v138, v39, vcc_lo
	v_add_co_u32 v0, vcc_lo, v137, v0
	v_add_co_ci_u32_e64 v1, null, v138, v1, vcc_lo
	v_add_nc_u32_e32 v36, s6, v34
	v_ashrrev_i32_e32 v31, 31, v30
	global_store_dwordx4 v[32:33], v[26:29], off
	global_store_dwordx4 v[0:1], v[22:25], off
	v_ashrrev_i32_e32 v35, 31, v34
	v_add_nc_u32_e32 v22, s6, v36
	v_lshlrev_b64 v[26:27], 4, v[30:31]
	v_ashrrev_i32_e32 v37, 31, v36
	v_lshlrev_b64 v[0:1], 4, v[34:35]
	v_add_nc_u32_e32 v28, s6, v22
	v_ashrrev_i32_e32 v23, 31, v22
	v_add_co_u32 v24, vcc_lo, v137, v26
	v_add_co_ci_u32_e64 v25, null, v138, v27, vcc_lo
	v_ashrrev_i32_e32 v29, 31, v28
	v_lshlrev_b64 v[26:27], 4, v[36:37]
	v_lshlrev_b64 v[22:23], 4, v[22:23]
	v_add_co_u32 v0, vcc_lo, v137, v0
	v_lshlrev_b64 v[28:29], 4, v[28:29]
	v_add_co_ci_u32_e64 v1, null, v138, v1, vcc_lo
	v_add_co_u32 v26, vcc_lo, v137, v26
	v_add_co_ci_u32_e64 v27, null, v138, v27, vcc_lo
	v_add_co_u32 v22, vcc_lo, v137, v22
	;; [unrolled: 2-line block ×3, first 2 shown]
	v_add_co_ci_u32_e64 v29, null, v138, v29, vcc_lo
	global_store_dwordx4 v[24:25], v[18:21], off
	global_store_dwordx4 v[0:1], v[14:17], off
	;; [unrolled: 1-line block ×5, first 2 shown]
.LBB60_654:
	s_endpgm
	.section	.rodata,"a",@progbits
	.p2align	6, 0x0
	.amdhsa_kernel _ZN9rocsolver6v33100L18getf2_small_kernelILi31E19rocblas_complex_numIdEiiPS3_EEvT1_T3_lS5_lPS5_llPT2_S5_S5_S7_l
		.amdhsa_group_segment_fixed_size 0
		.amdhsa_private_segment_fixed_size 0
		.amdhsa_kernarg_size 352
		.amdhsa_user_sgpr_count 6
		.amdhsa_user_sgpr_private_segment_buffer 1
		.amdhsa_user_sgpr_dispatch_ptr 0
		.amdhsa_user_sgpr_queue_ptr 0
		.amdhsa_user_sgpr_kernarg_segment_ptr 1
		.amdhsa_user_sgpr_dispatch_id 0
		.amdhsa_user_sgpr_flat_scratch_init 0
		.amdhsa_user_sgpr_private_segment_size 0
		.amdhsa_wavefront_size32 1
		.amdhsa_uses_dynamic_stack 0
		.amdhsa_system_sgpr_private_segment_wavefront_offset 0
		.amdhsa_system_sgpr_workgroup_id_x 1
		.amdhsa_system_sgpr_workgroup_id_y 1
		.amdhsa_system_sgpr_workgroup_id_z 0
		.amdhsa_system_sgpr_workgroup_info 0
		.amdhsa_system_vgpr_workitem_id 1
		.amdhsa_next_free_vgpr 152
		.amdhsa_next_free_sgpr 19
		.amdhsa_reserve_vcc 1
		.amdhsa_reserve_flat_scratch 0
		.amdhsa_float_round_mode_32 0
		.amdhsa_float_round_mode_16_64 0
		.amdhsa_float_denorm_mode_32 3
		.amdhsa_float_denorm_mode_16_64 3
		.amdhsa_dx10_clamp 1
		.amdhsa_ieee_mode 1
		.amdhsa_fp16_overflow 0
		.amdhsa_workgroup_processor_mode 1
		.amdhsa_memory_ordered 1
		.amdhsa_forward_progress 1
		.amdhsa_shared_vgpr_count 0
		.amdhsa_exception_fp_ieee_invalid_op 0
		.amdhsa_exception_fp_denorm_src 0
		.amdhsa_exception_fp_ieee_div_zero 0
		.amdhsa_exception_fp_ieee_overflow 0
		.amdhsa_exception_fp_ieee_underflow 0
		.amdhsa_exception_fp_ieee_inexact 0
		.amdhsa_exception_int_div_zero 0
	.end_amdhsa_kernel
	.section	.text._ZN9rocsolver6v33100L18getf2_small_kernelILi31E19rocblas_complex_numIdEiiPS3_EEvT1_T3_lS5_lPS5_llPT2_S5_S5_S7_l,"axG",@progbits,_ZN9rocsolver6v33100L18getf2_small_kernelILi31E19rocblas_complex_numIdEiiPS3_EEvT1_T3_lS5_lPS5_llPT2_S5_S5_S7_l,comdat
.Lfunc_end60:
	.size	_ZN9rocsolver6v33100L18getf2_small_kernelILi31E19rocblas_complex_numIdEiiPS3_EEvT1_T3_lS5_lPS5_llPT2_S5_S5_S7_l, .Lfunc_end60-_ZN9rocsolver6v33100L18getf2_small_kernelILi31E19rocblas_complex_numIdEiiPS3_EEvT1_T3_lS5_lPS5_llPT2_S5_S5_S7_l
                                        ; -- End function
	.set _ZN9rocsolver6v33100L18getf2_small_kernelILi31E19rocblas_complex_numIdEiiPS3_EEvT1_T3_lS5_lPS5_llPT2_S5_S5_S7_l.num_vgpr, 152
	.set _ZN9rocsolver6v33100L18getf2_small_kernelILi31E19rocblas_complex_numIdEiiPS3_EEvT1_T3_lS5_lPS5_llPT2_S5_S5_S7_l.num_agpr, 0
	.set _ZN9rocsolver6v33100L18getf2_small_kernelILi31E19rocblas_complex_numIdEiiPS3_EEvT1_T3_lS5_lPS5_llPT2_S5_S5_S7_l.numbered_sgpr, 19
	.set _ZN9rocsolver6v33100L18getf2_small_kernelILi31E19rocblas_complex_numIdEiiPS3_EEvT1_T3_lS5_lPS5_llPT2_S5_S5_S7_l.num_named_barrier, 0
	.set _ZN9rocsolver6v33100L18getf2_small_kernelILi31E19rocblas_complex_numIdEiiPS3_EEvT1_T3_lS5_lPS5_llPT2_S5_S5_S7_l.private_seg_size, 0
	.set _ZN9rocsolver6v33100L18getf2_small_kernelILi31E19rocblas_complex_numIdEiiPS3_EEvT1_T3_lS5_lPS5_llPT2_S5_S5_S7_l.uses_vcc, 1
	.set _ZN9rocsolver6v33100L18getf2_small_kernelILi31E19rocblas_complex_numIdEiiPS3_EEvT1_T3_lS5_lPS5_llPT2_S5_S5_S7_l.uses_flat_scratch, 0
	.set _ZN9rocsolver6v33100L18getf2_small_kernelILi31E19rocblas_complex_numIdEiiPS3_EEvT1_T3_lS5_lPS5_llPT2_S5_S5_S7_l.has_dyn_sized_stack, 0
	.set _ZN9rocsolver6v33100L18getf2_small_kernelILi31E19rocblas_complex_numIdEiiPS3_EEvT1_T3_lS5_lPS5_llPT2_S5_S5_S7_l.has_recursion, 0
	.set _ZN9rocsolver6v33100L18getf2_small_kernelILi31E19rocblas_complex_numIdEiiPS3_EEvT1_T3_lS5_lPS5_llPT2_S5_S5_S7_l.has_indirect_call, 0
	.section	.AMDGPU.csdata,"",@progbits
; Kernel info:
; codeLenInByte = 65032
; TotalNumSgprs: 21
; NumVgprs: 152
; ScratchSize: 0
; MemoryBound: 0
; FloatMode: 240
; IeeeMode: 1
; LDSByteSize: 0 bytes/workgroup (compile time only)
; SGPRBlocks: 0
; VGPRBlocks: 18
; NumSGPRsForWavesPerEU: 21
; NumVGPRsForWavesPerEU: 152
; Occupancy: 6
; WaveLimiterHint : 0
; COMPUTE_PGM_RSRC2:SCRATCH_EN: 0
; COMPUTE_PGM_RSRC2:USER_SGPR: 6
; COMPUTE_PGM_RSRC2:TRAP_HANDLER: 0
; COMPUTE_PGM_RSRC2:TGID_X_EN: 1
; COMPUTE_PGM_RSRC2:TGID_Y_EN: 1
; COMPUTE_PGM_RSRC2:TGID_Z_EN: 0
; COMPUTE_PGM_RSRC2:TIDIG_COMP_CNT: 1
	.section	.text._ZN9rocsolver6v33100L23getf2_npvt_small_kernelILi31E19rocblas_complex_numIdEiiPS3_EEvT1_T3_lS5_lPT2_S5_S5_,"axG",@progbits,_ZN9rocsolver6v33100L23getf2_npvt_small_kernelILi31E19rocblas_complex_numIdEiiPS3_EEvT1_T3_lS5_lPT2_S5_S5_,comdat
	.globl	_ZN9rocsolver6v33100L23getf2_npvt_small_kernelILi31E19rocblas_complex_numIdEiiPS3_EEvT1_T3_lS5_lPT2_S5_S5_ ; -- Begin function _ZN9rocsolver6v33100L23getf2_npvt_small_kernelILi31E19rocblas_complex_numIdEiiPS3_EEvT1_T3_lS5_lPT2_S5_S5_
	.p2align	8
	.type	_ZN9rocsolver6v33100L23getf2_npvt_small_kernelILi31E19rocblas_complex_numIdEiiPS3_EEvT1_T3_lS5_lPT2_S5_S5_,@function
_ZN9rocsolver6v33100L23getf2_npvt_small_kernelILi31E19rocblas_complex_numIdEiiPS3_EEvT1_T3_lS5_lPT2_S5_S5_: ; @_ZN9rocsolver6v33100L23getf2_npvt_small_kernelILi31E19rocblas_complex_numIdEiiPS3_EEvT1_T3_lS5_lPT2_S5_S5_
; %bb.0:
	s_mov_b64 s[18:19], s[2:3]
	s_mov_b64 s[16:17], s[0:1]
	s_clause 0x1
	s_load_dword s0, s[4:5], 0x44
	s_load_dwordx2 s[12:13], s[4:5], 0x30
	s_add_u32 s16, s16, s8
	s_addc_u32 s17, s17, 0
	s_waitcnt lgkmcnt(0)
	s_lshr_b32 s14, s0, 16
	s_mov_b32 s0, exec_lo
	v_mad_u64_u32 v[254:255], null, s7, s14, v[1:2]
	v_cmpx_gt_i32_e64 s12, v254
	s_cbranch_execz .LBB61_284
; %bb.1:
	s_clause 0x2
	s_load_dwordx4 s[8:11], s[4:5], 0x20
	s_load_dword s6, s[4:5], 0x18
	s_load_dwordx4 s[0:3], s[4:5], 0x8
	v_ashrrev_i32_e32 v255, 31, v254
	s_mulk_i32 s14, 0x1f0
	v_mad_u32_u24 v250, 0x1f0, v1, 0
	s_waitcnt lgkmcnt(0)
	v_mul_lo_u32 v5, s9, v254
	v_mul_lo_u32 v7, s8, v255
	v_mad_u64_u32 v[2:3], null, s8, v254, 0
	v_add3_u32 v4, s6, s6, v0
	s_lshl_b64 s[2:3], s[2:3], 4
	s_ashr_i32 s7, s6, 31
	v_add_nc_u32_e32 v6, s6, v4
	v_add3_u32 v3, v3, v7, v5
	v_ashrrev_i32_e32 v5, 31, v4
	v_add_nc_u32_e32 v8, s6, v6
	v_lshlrev_b64 v[2:3], 4, v[2:3]
	v_ashrrev_i32_e32 v7, 31, v6
	v_lshlrev_b64 v[4:5], 4, v[4:5]
	v_ashrrev_i32_e32 v9, 31, v8
	v_add_nc_u32_e32 v10, s6, v8
	v_add_co_u32 v12, vcc_lo, s0, v2
	v_add_co_ci_u32_e64 v13, null, s1, v3, vcc_lo
	v_lshlrev_b64 v[2:3], 4, v[8:9]
	v_add_nc_u32_e32 v8, s6, v10
	v_add_co_u32 v14, vcc_lo, v12, s2
	v_lshlrev_b64 v[6:7], 4, v[6:7]
	v_add_co_ci_u32_e64 v15, null, s3, v13, vcc_lo
	v_ashrrev_i32_e32 v11, 31, v10
	v_add_nc_u32_e32 v12, s6, v8
	v_add_co_u32 v20, vcc_lo, v14, v4
	v_ashrrev_i32_e32 v9, 31, v8
	v_add_co_ci_u32_e64 v21, null, v15, v5, vcc_lo
	v_add_co_u32 v18, vcc_lo, v14, v6
	v_lshlrev_b64 v[10:11], 4, v[10:11]
	v_add_co_ci_u32_e64 v19, null, v15, v7, vcc_lo
	v_add_co_u32 v16, vcc_lo, v14, v2
	v_add_nc_u32_e32 v4, s6, v12
	v_add_co_ci_u32_e64 v17, null, v15, v3, vcc_lo
	v_lshlrev_b64 v[2:3], 4, v[8:9]
	v_ashrrev_i32_e32 v13, 31, v12
	v_ashrrev_i32_e32 v5, 31, v4
	v_add_nc_u32_e32 v8, s6, v4
	v_add_co_u32 v10, vcc_lo, v14, v10
	v_lshlrev_b64 v[6:7], 4, v[12:13]
	v_add_co_ci_u32_e64 v11, null, v15, v11, vcc_lo
	v_add_co_u32 v12, vcc_lo, v14, v2
	v_add_co_ci_u32_e64 v13, null, v15, v3, vcc_lo
	v_lshlrev_b64 v[2:3], 4, v[4:5]
	v_ashrrev_i32_e32 v9, 31, v8
	v_add_nc_u32_e32 v4, s6, v8
	v_add_co_u32 v22, vcc_lo, v14, v6
	v_add_co_ci_u32_e64 v23, null, v15, v7, vcc_lo
	v_lshlrev_b64 v[6:7], 4, v[8:9]
	v_ashrrev_i32_e32 v5, 31, v4
	v_add_nc_u32_e32 v8, s6, v4
	;; [unrolled: 5-line block ×19, first 2 shown]
	v_add_co_u32 v136, vcc_lo, v14, v6
	v_add_co_ci_u32_e64 v137, null, v15, v7, vcc_lo
	v_lshlrev_b64 v[6:7], 4, v[8:9]
	v_add_nc_u32_e32 v8, s6, v4
	v_ashrrev_i32_e32 v5, 31, v4
	v_add_co_u32 v140, vcc_lo, v14, v2
	v_add_co_ci_u32_e64 v141, null, v15, v3, vcc_lo
	v_ashrrev_i32_e32 v9, 31, v8
	v_lshlrev_b64 v[2:3], 4, v[4:5]
	v_add_co_u32 v138, vcc_lo, v14, v6
	v_add_nc_u32_e32 v6, s6, v8
	v_lshlrev_b64 v[4:5], 4, v[8:9]
	v_lshlrev_b32_e32 v8, 4, v0
	v_add_co_ci_u32_e64 v139, null, v15, v7, vcc_lo
	v_add_co_u32 v142, vcc_lo, v14, v2
	v_add_co_ci_u32_e64 v143, null, v15, v3, vcc_lo
	v_add_co_u32 v4, vcc_lo, v14, v4
	v_ashrrev_i32_e32 v7, 31, v6
	v_add_co_ci_u32_e64 v5, null, v15, v5, vcc_lo
	v_add_co_u32 v8, vcc_lo, v14, v8
	v_add_co_ci_u32_e64 v9, null, 0, v15, vcc_lo
	s_lshl_b64 s[0:1], s[6:7], 4
	v_lshlrev_b64 v[2:3], 4, v[6:7]
	v_add_co_u32 v6, vcc_lo, v8, s0
	v_add_co_ci_u32_e64 v7, null, s1, v9, vcc_lo
	buffer_store_dword v8, off, s[16:19], 0 offset:256 ; 4-byte Folded Spill
	buffer_store_dword v9, off, s[16:19], 0 offset:260 ; 4-byte Folded Spill
	v_add_co_u32 v2, vcc_lo, v14, v2
	v_add_co_ci_u32_e64 v3, null, v15, v3, vcc_lo
	v_cmp_ne_u32_e64 s1, 0, v0
	v_cmp_eq_u32_e64 s0, 0, v0
	global_load_dwordx4 v[122:125], v[8:9], off
	buffer_store_dword v6, off, s[16:19], 0 offset:232 ; 4-byte Folded Spill
	buffer_store_dword v7, off, s[16:19], 0 offset:236 ; 4-byte Folded Spill
	global_load_dwordx4 v[118:121], v[6:7], off
	buffer_store_dword v20, off, s[16:19], 0 offset:16 ; 4-byte Folded Spill
	buffer_store_dword v21, off, s[16:19], 0 offset:20 ; 4-byte Folded Spill
	;; [unrolled: 3-line block ×3, first 2 shown]
	global_load_dwordx4 v[110:113], v[18:19], off
	buffer_store_dword v16, off, s[16:19], 0 ; 4-byte Folded Spill
	buffer_store_dword v17, off, s[16:19], 0 offset:4 ; 4-byte Folded Spill
	global_load_dwordx4 v[106:109], v[16:17], off
	buffer_store_dword v10, off, s[16:19], 0 offset:24 ; 4-byte Folded Spill
	buffer_store_dword v11, off, s[16:19], 0 offset:28 ; 4-byte Folded Spill
	global_load_dwordx4 v[102:105], v[10:11], off
	buffer_store_dword v12, off, s[16:19], 0 offset:32 ; 4-byte Folded Spill
	;; [unrolled: 3-line block ×17, first 2 shown]
	buffer_store_dword v129, off, s[16:19], 0 offset:156 ; 4-byte Folded Spill
	v_lshlrev_b32_e32 v126, 4, v1
	global_load_dwordx4 v[38:41], v[128:129], off
	buffer_store_dword v130, off, s[16:19], 0 offset:160 ; 4-byte Folded Spill
	buffer_store_dword v131, off, s[16:19], 0 offset:164 ; 4-byte Folded Spill
	global_load_dwordx4 v[34:37], v[130:131], off
	buffer_store_dword v132, off, s[16:19], 0 offset:168 ; 4-byte Folded Spill
	buffer_store_dword v133, off, s[16:19], 0 offset:172 ; 4-byte Folded Spill
	;; [unrolled: 3-line block ×9, first 2 shown]
	global_load_dwordx4 v[2:5], v[2:3], off
	s_waitcnt vmcnt(0)
	v_mov_b32_e32 v1, v2
	v_mov_b32_e32 v2, v3
	v_mov_b32_e32 v3, v4
	v_mov_b32_e32 v4, v5
	v_add3_u32 v5, 0, s14, v126
	s_and_saveexec_b32 s3, s0
	s_cbranch_execz .LBB61_8
; %bb.2:
	ds_write2_b64 v5, v[122:123], v[124:125] offset1:1
	ds_write2_b64 v250, v[118:119], v[120:121] offset0:2 offset1:3
	ds_write2_b64 v250, v[114:115], v[116:117] offset0:4 offset1:5
	;; [unrolled: 1-line block ×30, first 2 shown]
	ds_read2_b64 v[126:129], v5 offset1:1
	s_waitcnt lgkmcnt(0)
	v_cmp_neq_f64_e32 vcc_lo, 0, v[126:127]
	v_cmp_neq_f64_e64 s2, 0, v[128:129]
	s_or_b32 s2, vcc_lo, s2
	s_and_b32 exec_lo, exec_lo, s2
	s_cbranch_execz .LBB61_8
; %bb.3:
	v_cmp_ngt_f64_e64 s2, |v[126:127]|, |v[128:129]|
                                        ; implicit-def: $vgpr130_vgpr131
	s_and_saveexec_b32 s4, s2
	s_xor_b32 s2, exec_lo, s4
                                        ; implicit-def: $vgpr132_vgpr133
	s_cbranch_execz .LBB61_5
; %bb.4:
	v_div_scale_f64 v[130:131], null, v[128:129], v[128:129], v[126:127]
	v_div_scale_f64 v[136:137], vcc_lo, v[126:127], v[128:129], v[126:127]
	v_rcp_f64_e32 v[132:133], v[130:131]
	v_fma_f64 v[134:135], -v[130:131], v[132:133], 1.0
	v_fma_f64 v[132:133], v[132:133], v[134:135], v[132:133]
	v_fma_f64 v[134:135], -v[130:131], v[132:133], 1.0
	v_fma_f64 v[132:133], v[132:133], v[134:135], v[132:133]
	v_mul_f64 v[134:135], v[136:137], v[132:133]
	v_fma_f64 v[130:131], -v[130:131], v[134:135], v[136:137]
	v_div_fmas_f64 v[130:131], v[130:131], v[132:133], v[134:135]
	v_div_fixup_f64 v[130:131], v[130:131], v[128:129], v[126:127]
	v_fma_f64 v[126:127], v[126:127], v[130:131], v[128:129]
	v_div_scale_f64 v[128:129], null, v[126:127], v[126:127], 1.0
	v_rcp_f64_e32 v[132:133], v[128:129]
	v_fma_f64 v[134:135], -v[128:129], v[132:133], 1.0
	v_fma_f64 v[132:133], v[132:133], v[134:135], v[132:133]
	v_fma_f64 v[134:135], -v[128:129], v[132:133], 1.0
	v_fma_f64 v[132:133], v[132:133], v[134:135], v[132:133]
	v_div_scale_f64 v[134:135], vcc_lo, 1.0, v[126:127], 1.0
	v_mul_f64 v[136:137], v[134:135], v[132:133]
	v_fma_f64 v[128:129], -v[128:129], v[136:137], v[134:135]
	v_div_fmas_f64 v[128:129], v[128:129], v[132:133], v[136:137]
	v_div_fixup_f64 v[132:133], v[128:129], v[126:127], 1.0
                                        ; implicit-def: $vgpr126_vgpr127
	v_mul_f64 v[130:131], v[130:131], v[132:133]
	v_xor_b32_e32 v133, 0x80000000, v133
.LBB61_5:
	s_andn2_saveexec_b32 s2, s2
	s_cbranch_execz .LBB61_7
; %bb.6:
	v_div_scale_f64 v[130:131], null, v[126:127], v[126:127], v[128:129]
	v_div_scale_f64 v[136:137], vcc_lo, v[128:129], v[126:127], v[128:129]
	v_rcp_f64_e32 v[132:133], v[130:131]
	v_fma_f64 v[134:135], -v[130:131], v[132:133], 1.0
	v_fma_f64 v[132:133], v[132:133], v[134:135], v[132:133]
	v_fma_f64 v[134:135], -v[130:131], v[132:133], 1.0
	v_fma_f64 v[132:133], v[132:133], v[134:135], v[132:133]
	v_mul_f64 v[134:135], v[136:137], v[132:133]
	v_fma_f64 v[130:131], -v[130:131], v[134:135], v[136:137]
	v_div_fmas_f64 v[130:131], v[130:131], v[132:133], v[134:135]
	v_div_fixup_f64 v[132:133], v[130:131], v[126:127], v[128:129]
	v_fma_f64 v[126:127], v[128:129], v[132:133], v[126:127]
	v_div_scale_f64 v[128:129], null, v[126:127], v[126:127], 1.0
	v_rcp_f64_e32 v[130:131], v[128:129]
	v_fma_f64 v[134:135], -v[128:129], v[130:131], 1.0
	v_fma_f64 v[130:131], v[130:131], v[134:135], v[130:131]
	v_fma_f64 v[134:135], -v[128:129], v[130:131], 1.0
	v_fma_f64 v[130:131], v[130:131], v[134:135], v[130:131]
	v_div_scale_f64 v[134:135], vcc_lo, 1.0, v[126:127], 1.0
	v_mul_f64 v[136:137], v[134:135], v[130:131]
	v_fma_f64 v[128:129], -v[128:129], v[136:137], v[134:135]
	v_div_fmas_f64 v[128:129], v[128:129], v[130:131], v[136:137]
	v_div_fixup_f64 v[130:131], v[128:129], v[126:127], 1.0
	v_mul_f64 v[132:133], v[132:133], -v[130:131]
.LBB61_7:
	s_or_b32 exec_lo, exec_lo, s2
	ds_write2_b64 v5, v[130:131], v[132:133] offset1:1
.LBB61_8:
	s_or_b32 exec_lo, exec_lo, s3
	s_waitcnt lgkmcnt(0)
	s_waitcnt_vscnt null, 0x0
	s_barrier
	buffer_gl0_inv
	ds_read2_b64 v[126:129], v5 offset1:1
	s_waitcnt lgkmcnt(0)
	buffer_store_dword v126, off, s[16:19], 0 offset:240 ; 4-byte Folded Spill
	buffer_store_dword v127, off, s[16:19], 0 offset:244 ; 4-byte Folded Spill
	;; [unrolled: 1-line block ×4, first 2 shown]
	s_and_saveexec_b32 s2, s1
	s_cbranch_execz .LBB61_10
; %bb.9:
	s_clause 0x3
	buffer_load_dword v126, off, s[16:19], 0 offset:240
	buffer_load_dword v127, off, s[16:19], 0 offset:244
	;; [unrolled: 1-line block ×4, first 2 shown]
	ds_read2_b64 v[132:135], v250 offset0:2 offset1:3
	s_waitcnt vmcnt(0)
	v_mul_f64 v[130:131], v[128:129], v[124:125]
	v_mul_f64 v[124:125], v[126:127], v[124:125]
	v_fma_f64 v[130:131], v[126:127], v[122:123], -v[130:131]
	v_fma_f64 v[124:125], v[128:129], v[122:123], v[124:125]
	s_waitcnt lgkmcnt(0)
	v_mul_f64 v[122:123], v[134:135], v[124:125]
	v_fma_f64 v[122:123], v[132:133], v[130:131], -v[122:123]
	v_mul_f64 v[132:133], v[132:133], v[124:125]
	v_add_f64 v[118:119], v[118:119], -v[122:123]
	v_fma_f64 v[132:133], v[134:135], v[130:131], v[132:133]
	v_add_f64 v[120:121], v[120:121], -v[132:133]
	ds_read2_b64 v[132:135], v250 offset0:4 offset1:5
	s_waitcnt lgkmcnt(0)
	v_mul_f64 v[122:123], v[134:135], v[124:125]
	v_fma_f64 v[122:123], v[132:133], v[130:131], -v[122:123]
	v_mul_f64 v[132:133], v[132:133], v[124:125]
	v_add_f64 v[114:115], v[114:115], -v[122:123]
	v_fma_f64 v[132:133], v[134:135], v[130:131], v[132:133]
	v_add_f64 v[116:117], v[116:117], -v[132:133]
	ds_read2_b64 v[132:135], v250 offset0:6 offset1:7
	;; [unrolled: 8-line block ×29, first 2 shown]
	s_waitcnt lgkmcnt(0)
	v_mul_f64 v[122:123], v[134:135], v[124:125]
	v_fma_f64 v[122:123], v[132:133], v[130:131], -v[122:123]
	v_mul_f64 v[132:133], v[132:133], v[124:125]
	v_add_f64 v[1:2], v[1:2], -v[122:123]
	v_fma_f64 v[132:133], v[134:135], v[130:131], v[132:133]
	v_mov_b32_e32 v122, v130
	v_mov_b32_e32 v123, v131
	v_add_f64 v[3:4], v[3:4], -v[132:133]
.LBB61_10:
	s_or_b32 exec_lo, exec_lo, s2
	s_mov_b32 s2, exec_lo
	s_waitcnt_vscnt null, 0x0
	s_barrier
	buffer_gl0_inv
	v_cmpx_eq_u32_e32 1, v0
	s_cbranch_execz .LBB61_17
; %bb.11:
	ds_write2_b64 v5, v[118:119], v[120:121] offset1:1
	ds_write2_b64 v250, v[114:115], v[116:117] offset0:4 offset1:5
	ds_write2_b64 v250, v[110:111], v[112:113] offset0:6 offset1:7
	;; [unrolled: 1-line block ×29, first 2 shown]
	ds_read2_b64 v[130:133], v5 offset1:1
	s_waitcnt lgkmcnt(0)
	v_cmp_neq_f64_e32 vcc_lo, 0, v[130:131]
	v_cmp_neq_f64_e64 s1, 0, v[132:133]
	s_or_b32 s1, vcc_lo, s1
	s_and_b32 exec_lo, exec_lo, s1
	s_cbranch_execz .LBB61_17
; %bb.12:
	v_cmp_ngt_f64_e64 s1, |v[130:131]|, |v[132:133]|
                                        ; implicit-def: $vgpr134_vgpr135
	s_and_saveexec_b32 s3, s1
	s_xor_b32 s1, exec_lo, s3
                                        ; implicit-def: $vgpr136_vgpr137
	s_cbranch_execz .LBB61_14
; %bb.13:
	v_div_scale_f64 v[134:135], null, v[132:133], v[132:133], v[130:131]
	v_div_scale_f64 v[140:141], vcc_lo, v[130:131], v[132:133], v[130:131]
	v_rcp_f64_e32 v[136:137], v[134:135]
	v_fma_f64 v[138:139], -v[134:135], v[136:137], 1.0
	v_fma_f64 v[136:137], v[136:137], v[138:139], v[136:137]
	v_fma_f64 v[138:139], -v[134:135], v[136:137], 1.0
	v_fma_f64 v[136:137], v[136:137], v[138:139], v[136:137]
	v_mul_f64 v[138:139], v[140:141], v[136:137]
	v_fma_f64 v[134:135], -v[134:135], v[138:139], v[140:141]
	v_div_fmas_f64 v[134:135], v[134:135], v[136:137], v[138:139]
	v_div_fixup_f64 v[134:135], v[134:135], v[132:133], v[130:131]
	v_fma_f64 v[130:131], v[130:131], v[134:135], v[132:133]
	v_div_scale_f64 v[132:133], null, v[130:131], v[130:131], 1.0
	v_rcp_f64_e32 v[136:137], v[132:133]
	v_fma_f64 v[138:139], -v[132:133], v[136:137], 1.0
	v_fma_f64 v[136:137], v[136:137], v[138:139], v[136:137]
	v_fma_f64 v[138:139], -v[132:133], v[136:137], 1.0
	v_fma_f64 v[136:137], v[136:137], v[138:139], v[136:137]
	v_div_scale_f64 v[138:139], vcc_lo, 1.0, v[130:131], 1.0
	v_mul_f64 v[140:141], v[138:139], v[136:137]
	v_fma_f64 v[132:133], -v[132:133], v[140:141], v[138:139]
	v_div_fmas_f64 v[132:133], v[132:133], v[136:137], v[140:141]
	v_div_fixup_f64 v[136:137], v[132:133], v[130:131], 1.0
                                        ; implicit-def: $vgpr130_vgpr131
	v_mul_f64 v[134:135], v[134:135], v[136:137]
	v_xor_b32_e32 v137, 0x80000000, v137
.LBB61_14:
	s_andn2_saveexec_b32 s1, s1
	s_cbranch_execz .LBB61_16
; %bb.15:
	v_div_scale_f64 v[134:135], null, v[130:131], v[130:131], v[132:133]
	v_div_scale_f64 v[140:141], vcc_lo, v[132:133], v[130:131], v[132:133]
	v_rcp_f64_e32 v[136:137], v[134:135]
	v_fma_f64 v[138:139], -v[134:135], v[136:137], 1.0
	v_fma_f64 v[136:137], v[136:137], v[138:139], v[136:137]
	v_fma_f64 v[138:139], -v[134:135], v[136:137], 1.0
	v_fma_f64 v[136:137], v[136:137], v[138:139], v[136:137]
	v_mul_f64 v[138:139], v[140:141], v[136:137]
	v_fma_f64 v[134:135], -v[134:135], v[138:139], v[140:141]
	v_div_fmas_f64 v[134:135], v[134:135], v[136:137], v[138:139]
	v_div_fixup_f64 v[136:137], v[134:135], v[130:131], v[132:133]
	v_fma_f64 v[130:131], v[132:133], v[136:137], v[130:131]
	v_div_scale_f64 v[132:133], null, v[130:131], v[130:131], 1.0
	v_rcp_f64_e32 v[134:135], v[132:133]
	v_fma_f64 v[138:139], -v[132:133], v[134:135], 1.0
	v_fma_f64 v[134:135], v[134:135], v[138:139], v[134:135]
	v_fma_f64 v[138:139], -v[132:133], v[134:135], 1.0
	v_fma_f64 v[134:135], v[134:135], v[138:139], v[134:135]
	v_div_scale_f64 v[138:139], vcc_lo, 1.0, v[130:131], 1.0
	v_mul_f64 v[140:141], v[138:139], v[134:135]
	v_fma_f64 v[132:133], -v[132:133], v[140:141], v[138:139]
	v_div_fmas_f64 v[132:133], v[132:133], v[134:135], v[140:141]
	v_div_fixup_f64 v[134:135], v[132:133], v[130:131], 1.0
	v_mul_f64 v[136:137], v[136:137], -v[134:135]
.LBB61_16:
	s_or_b32 exec_lo, exec_lo, s1
	ds_write2_b64 v5, v[134:135], v[136:137] offset1:1
.LBB61_17:
	s_or_b32 exec_lo, exec_lo, s2
	s_waitcnt lgkmcnt(0)
	s_barrier
	buffer_gl0_inv
	ds_read2_b64 v[130:133], v5 offset1:1
	s_mov_b32 s1, exec_lo
	v_cmpx_lt_u32_e32 1, v0
	s_cbranch_execz .LBB61_19
; %bb.18:
	s_waitcnt lgkmcnt(0)
	v_mul_f64 v[134:135], v[132:133], v[120:121]
	v_mul_f64 v[120:121], v[130:131], v[120:121]
	ds_read2_b64 v[136:139], v250 offset0:4 offset1:5
	v_fma_f64 v[134:135], v[130:131], v[118:119], -v[134:135]
	v_fma_f64 v[120:121], v[132:133], v[118:119], v[120:121]
	s_waitcnt lgkmcnt(0)
	v_mul_f64 v[118:119], v[138:139], v[120:121]
	v_fma_f64 v[118:119], v[136:137], v[134:135], -v[118:119]
	v_mul_f64 v[136:137], v[136:137], v[120:121]
	v_add_f64 v[114:115], v[114:115], -v[118:119]
	v_fma_f64 v[136:137], v[138:139], v[134:135], v[136:137]
	v_add_f64 v[116:117], v[116:117], -v[136:137]
	ds_read2_b64 v[136:139], v250 offset0:6 offset1:7
	s_waitcnt lgkmcnt(0)
	v_mul_f64 v[118:119], v[138:139], v[120:121]
	v_fma_f64 v[118:119], v[136:137], v[134:135], -v[118:119]
	v_mul_f64 v[136:137], v[136:137], v[120:121]
	v_add_f64 v[110:111], v[110:111], -v[118:119]
	v_fma_f64 v[136:137], v[138:139], v[134:135], v[136:137]
	v_add_f64 v[112:113], v[112:113], -v[136:137]
	ds_read2_b64 v[136:139], v250 offset0:8 offset1:9
	;; [unrolled: 8-line block ×28, first 2 shown]
	s_waitcnt lgkmcnt(0)
	v_mul_f64 v[118:119], v[138:139], v[120:121]
	v_fma_f64 v[118:119], v[136:137], v[134:135], -v[118:119]
	v_mul_f64 v[136:137], v[136:137], v[120:121]
	v_add_f64 v[1:2], v[1:2], -v[118:119]
	v_fma_f64 v[136:137], v[138:139], v[134:135], v[136:137]
	v_mov_b32_e32 v118, v134
	v_mov_b32_e32 v119, v135
	v_add_f64 v[3:4], v[3:4], -v[136:137]
.LBB61_19:
	s_or_b32 exec_lo, exec_lo, s1
	s_mov_b32 s2, exec_lo
	s_waitcnt lgkmcnt(0)
	s_barrier
	buffer_gl0_inv
	v_cmpx_eq_u32_e32 2, v0
	s_cbranch_execz .LBB61_26
; %bb.20:
	ds_write2_b64 v5, v[114:115], v[116:117] offset1:1
	ds_write2_b64 v250, v[110:111], v[112:113] offset0:6 offset1:7
	ds_write2_b64 v250, v[106:107], v[108:109] offset0:8 offset1:9
	;; [unrolled: 1-line block ×28, first 2 shown]
	ds_read2_b64 v[134:137], v5 offset1:1
	s_waitcnt lgkmcnt(0)
	v_cmp_neq_f64_e32 vcc_lo, 0, v[134:135]
	v_cmp_neq_f64_e64 s1, 0, v[136:137]
	s_or_b32 s1, vcc_lo, s1
	s_and_b32 exec_lo, exec_lo, s1
	s_cbranch_execz .LBB61_26
; %bb.21:
	v_cmp_ngt_f64_e64 s1, |v[134:135]|, |v[136:137]|
                                        ; implicit-def: $vgpr138_vgpr139
	s_and_saveexec_b32 s3, s1
	s_xor_b32 s1, exec_lo, s3
                                        ; implicit-def: $vgpr140_vgpr141
	s_cbranch_execz .LBB61_23
; %bb.22:
	v_div_scale_f64 v[138:139], null, v[136:137], v[136:137], v[134:135]
	v_div_scale_f64 v[144:145], vcc_lo, v[134:135], v[136:137], v[134:135]
	v_rcp_f64_e32 v[140:141], v[138:139]
	v_fma_f64 v[142:143], -v[138:139], v[140:141], 1.0
	v_fma_f64 v[140:141], v[140:141], v[142:143], v[140:141]
	v_fma_f64 v[142:143], -v[138:139], v[140:141], 1.0
	v_fma_f64 v[140:141], v[140:141], v[142:143], v[140:141]
	v_mul_f64 v[142:143], v[144:145], v[140:141]
	v_fma_f64 v[138:139], -v[138:139], v[142:143], v[144:145]
	v_div_fmas_f64 v[138:139], v[138:139], v[140:141], v[142:143]
	v_div_fixup_f64 v[138:139], v[138:139], v[136:137], v[134:135]
	v_fma_f64 v[134:135], v[134:135], v[138:139], v[136:137]
	v_div_scale_f64 v[136:137], null, v[134:135], v[134:135], 1.0
	v_rcp_f64_e32 v[140:141], v[136:137]
	v_fma_f64 v[142:143], -v[136:137], v[140:141], 1.0
	v_fma_f64 v[140:141], v[140:141], v[142:143], v[140:141]
	v_fma_f64 v[142:143], -v[136:137], v[140:141], 1.0
	v_fma_f64 v[140:141], v[140:141], v[142:143], v[140:141]
	v_div_scale_f64 v[142:143], vcc_lo, 1.0, v[134:135], 1.0
	v_mul_f64 v[144:145], v[142:143], v[140:141]
	v_fma_f64 v[136:137], -v[136:137], v[144:145], v[142:143]
	v_div_fmas_f64 v[136:137], v[136:137], v[140:141], v[144:145]
	v_div_fixup_f64 v[140:141], v[136:137], v[134:135], 1.0
                                        ; implicit-def: $vgpr134_vgpr135
	v_mul_f64 v[138:139], v[138:139], v[140:141]
	v_xor_b32_e32 v141, 0x80000000, v141
.LBB61_23:
	s_andn2_saveexec_b32 s1, s1
	s_cbranch_execz .LBB61_25
; %bb.24:
	v_div_scale_f64 v[138:139], null, v[134:135], v[134:135], v[136:137]
	v_div_scale_f64 v[144:145], vcc_lo, v[136:137], v[134:135], v[136:137]
	v_rcp_f64_e32 v[140:141], v[138:139]
	v_fma_f64 v[142:143], -v[138:139], v[140:141], 1.0
	v_fma_f64 v[140:141], v[140:141], v[142:143], v[140:141]
	v_fma_f64 v[142:143], -v[138:139], v[140:141], 1.0
	v_fma_f64 v[140:141], v[140:141], v[142:143], v[140:141]
	v_mul_f64 v[142:143], v[144:145], v[140:141]
	v_fma_f64 v[138:139], -v[138:139], v[142:143], v[144:145]
	v_div_fmas_f64 v[138:139], v[138:139], v[140:141], v[142:143]
	v_div_fixup_f64 v[140:141], v[138:139], v[134:135], v[136:137]
	v_fma_f64 v[134:135], v[136:137], v[140:141], v[134:135]
	v_div_scale_f64 v[136:137], null, v[134:135], v[134:135], 1.0
	v_rcp_f64_e32 v[138:139], v[136:137]
	v_fma_f64 v[142:143], -v[136:137], v[138:139], 1.0
	v_fma_f64 v[138:139], v[138:139], v[142:143], v[138:139]
	v_fma_f64 v[142:143], -v[136:137], v[138:139], 1.0
	v_fma_f64 v[138:139], v[138:139], v[142:143], v[138:139]
	v_div_scale_f64 v[142:143], vcc_lo, 1.0, v[134:135], 1.0
	v_mul_f64 v[144:145], v[142:143], v[138:139]
	v_fma_f64 v[136:137], -v[136:137], v[144:145], v[142:143]
	v_div_fmas_f64 v[136:137], v[136:137], v[138:139], v[144:145]
	v_div_fixup_f64 v[138:139], v[136:137], v[134:135], 1.0
	v_mul_f64 v[140:141], v[140:141], -v[138:139]
.LBB61_25:
	s_or_b32 exec_lo, exec_lo, s1
	ds_write2_b64 v5, v[138:139], v[140:141] offset1:1
.LBB61_26:
	s_or_b32 exec_lo, exec_lo, s2
	s_waitcnt lgkmcnt(0)
	s_barrier
	buffer_gl0_inv
	ds_read2_b64 v[134:137], v5 offset1:1
	s_mov_b32 s1, exec_lo
	v_cmpx_lt_u32_e32 2, v0
	s_cbranch_execz .LBB61_28
; %bb.27:
	s_waitcnt lgkmcnt(0)
	v_mul_f64 v[138:139], v[136:137], v[116:117]
	v_mul_f64 v[116:117], v[134:135], v[116:117]
	ds_read2_b64 v[140:143], v250 offset0:6 offset1:7
	v_fma_f64 v[138:139], v[134:135], v[114:115], -v[138:139]
	v_fma_f64 v[116:117], v[136:137], v[114:115], v[116:117]
	s_waitcnt lgkmcnt(0)
	v_mul_f64 v[114:115], v[142:143], v[116:117]
	v_fma_f64 v[114:115], v[140:141], v[138:139], -v[114:115]
	v_mul_f64 v[140:141], v[140:141], v[116:117]
	v_add_f64 v[110:111], v[110:111], -v[114:115]
	v_fma_f64 v[140:141], v[142:143], v[138:139], v[140:141]
	v_add_f64 v[112:113], v[112:113], -v[140:141]
	ds_read2_b64 v[140:143], v250 offset0:8 offset1:9
	s_waitcnt lgkmcnt(0)
	v_mul_f64 v[114:115], v[142:143], v[116:117]
	v_fma_f64 v[114:115], v[140:141], v[138:139], -v[114:115]
	v_mul_f64 v[140:141], v[140:141], v[116:117]
	v_add_f64 v[106:107], v[106:107], -v[114:115]
	v_fma_f64 v[140:141], v[142:143], v[138:139], v[140:141]
	v_add_f64 v[108:109], v[108:109], -v[140:141]
	ds_read2_b64 v[140:143], v250 offset0:10 offset1:11
	;; [unrolled: 8-line block ×27, first 2 shown]
	s_waitcnt lgkmcnt(0)
	v_mul_f64 v[114:115], v[142:143], v[116:117]
	v_fma_f64 v[114:115], v[140:141], v[138:139], -v[114:115]
	v_mul_f64 v[140:141], v[140:141], v[116:117]
	v_add_f64 v[1:2], v[1:2], -v[114:115]
	v_fma_f64 v[140:141], v[142:143], v[138:139], v[140:141]
	v_mov_b32_e32 v114, v138
	v_mov_b32_e32 v115, v139
	v_add_f64 v[3:4], v[3:4], -v[140:141]
.LBB61_28:
	s_or_b32 exec_lo, exec_lo, s1
	s_mov_b32 s2, exec_lo
	s_waitcnt lgkmcnt(0)
	s_barrier
	buffer_gl0_inv
	v_cmpx_eq_u32_e32 3, v0
	s_cbranch_execz .LBB61_35
; %bb.29:
	ds_write2_b64 v5, v[110:111], v[112:113] offset1:1
	ds_write2_b64 v250, v[106:107], v[108:109] offset0:8 offset1:9
	ds_write2_b64 v250, v[102:103], v[104:105] offset0:10 offset1:11
	;; [unrolled: 1-line block ×27, first 2 shown]
	ds_read2_b64 v[138:141], v5 offset1:1
	s_waitcnt lgkmcnt(0)
	v_cmp_neq_f64_e32 vcc_lo, 0, v[138:139]
	v_cmp_neq_f64_e64 s1, 0, v[140:141]
	s_or_b32 s1, vcc_lo, s1
	s_and_b32 exec_lo, exec_lo, s1
	s_cbranch_execz .LBB61_35
; %bb.30:
	v_cmp_ngt_f64_e64 s1, |v[138:139]|, |v[140:141]|
                                        ; implicit-def: $vgpr142_vgpr143
	s_and_saveexec_b32 s3, s1
	s_xor_b32 s1, exec_lo, s3
                                        ; implicit-def: $vgpr144_vgpr145
	s_cbranch_execz .LBB61_32
; %bb.31:
	v_div_scale_f64 v[142:143], null, v[140:141], v[140:141], v[138:139]
	v_div_scale_f64 v[148:149], vcc_lo, v[138:139], v[140:141], v[138:139]
	v_rcp_f64_e32 v[144:145], v[142:143]
	v_fma_f64 v[146:147], -v[142:143], v[144:145], 1.0
	v_fma_f64 v[144:145], v[144:145], v[146:147], v[144:145]
	v_fma_f64 v[146:147], -v[142:143], v[144:145], 1.0
	v_fma_f64 v[144:145], v[144:145], v[146:147], v[144:145]
	v_mul_f64 v[146:147], v[148:149], v[144:145]
	v_fma_f64 v[142:143], -v[142:143], v[146:147], v[148:149]
	v_div_fmas_f64 v[142:143], v[142:143], v[144:145], v[146:147]
	v_div_fixup_f64 v[142:143], v[142:143], v[140:141], v[138:139]
	v_fma_f64 v[138:139], v[138:139], v[142:143], v[140:141]
	v_div_scale_f64 v[140:141], null, v[138:139], v[138:139], 1.0
	v_rcp_f64_e32 v[144:145], v[140:141]
	v_fma_f64 v[146:147], -v[140:141], v[144:145], 1.0
	v_fma_f64 v[144:145], v[144:145], v[146:147], v[144:145]
	v_fma_f64 v[146:147], -v[140:141], v[144:145], 1.0
	v_fma_f64 v[144:145], v[144:145], v[146:147], v[144:145]
	v_div_scale_f64 v[146:147], vcc_lo, 1.0, v[138:139], 1.0
	v_mul_f64 v[148:149], v[146:147], v[144:145]
	v_fma_f64 v[140:141], -v[140:141], v[148:149], v[146:147]
	v_div_fmas_f64 v[140:141], v[140:141], v[144:145], v[148:149]
	v_div_fixup_f64 v[144:145], v[140:141], v[138:139], 1.0
                                        ; implicit-def: $vgpr138_vgpr139
	v_mul_f64 v[142:143], v[142:143], v[144:145]
	v_xor_b32_e32 v145, 0x80000000, v145
.LBB61_32:
	s_andn2_saveexec_b32 s1, s1
	s_cbranch_execz .LBB61_34
; %bb.33:
	v_div_scale_f64 v[142:143], null, v[138:139], v[138:139], v[140:141]
	v_div_scale_f64 v[148:149], vcc_lo, v[140:141], v[138:139], v[140:141]
	v_rcp_f64_e32 v[144:145], v[142:143]
	v_fma_f64 v[146:147], -v[142:143], v[144:145], 1.0
	v_fma_f64 v[144:145], v[144:145], v[146:147], v[144:145]
	v_fma_f64 v[146:147], -v[142:143], v[144:145], 1.0
	v_fma_f64 v[144:145], v[144:145], v[146:147], v[144:145]
	v_mul_f64 v[146:147], v[148:149], v[144:145]
	v_fma_f64 v[142:143], -v[142:143], v[146:147], v[148:149]
	v_div_fmas_f64 v[142:143], v[142:143], v[144:145], v[146:147]
	v_div_fixup_f64 v[144:145], v[142:143], v[138:139], v[140:141]
	v_fma_f64 v[138:139], v[140:141], v[144:145], v[138:139]
	v_div_scale_f64 v[140:141], null, v[138:139], v[138:139], 1.0
	v_rcp_f64_e32 v[142:143], v[140:141]
	v_fma_f64 v[146:147], -v[140:141], v[142:143], 1.0
	v_fma_f64 v[142:143], v[142:143], v[146:147], v[142:143]
	v_fma_f64 v[146:147], -v[140:141], v[142:143], 1.0
	v_fma_f64 v[142:143], v[142:143], v[146:147], v[142:143]
	v_div_scale_f64 v[146:147], vcc_lo, 1.0, v[138:139], 1.0
	v_mul_f64 v[148:149], v[146:147], v[142:143]
	v_fma_f64 v[140:141], -v[140:141], v[148:149], v[146:147]
	v_div_fmas_f64 v[140:141], v[140:141], v[142:143], v[148:149]
	v_div_fixup_f64 v[142:143], v[140:141], v[138:139], 1.0
	v_mul_f64 v[144:145], v[144:145], -v[142:143]
.LBB61_34:
	s_or_b32 exec_lo, exec_lo, s1
	ds_write2_b64 v5, v[142:143], v[144:145] offset1:1
.LBB61_35:
	s_or_b32 exec_lo, exec_lo, s2
	s_waitcnt lgkmcnt(0)
	s_barrier
	buffer_gl0_inv
	ds_read2_b64 v[138:141], v5 offset1:1
	s_mov_b32 s1, exec_lo
	v_cmpx_lt_u32_e32 3, v0
	s_cbranch_execz .LBB61_37
; %bb.36:
	s_waitcnt lgkmcnt(0)
	v_mul_f64 v[142:143], v[140:141], v[112:113]
	v_mul_f64 v[112:113], v[138:139], v[112:113]
	ds_read2_b64 v[144:147], v250 offset0:8 offset1:9
	v_fma_f64 v[142:143], v[138:139], v[110:111], -v[142:143]
	v_fma_f64 v[112:113], v[140:141], v[110:111], v[112:113]
	s_waitcnt lgkmcnt(0)
	v_mul_f64 v[110:111], v[146:147], v[112:113]
	v_fma_f64 v[110:111], v[144:145], v[142:143], -v[110:111]
	v_mul_f64 v[144:145], v[144:145], v[112:113]
	v_add_f64 v[106:107], v[106:107], -v[110:111]
	v_fma_f64 v[144:145], v[146:147], v[142:143], v[144:145]
	v_add_f64 v[108:109], v[108:109], -v[144:145]
	ds_read2_b64 v[144:147], v250 offset0:10 offset1:11
	s_waitcnt lgkmcnt(0)
	v_mul_f64 v[110:111], v[146:147], v[112:113]
	v_fma_f64 v[110:111], v[144:145], v[142:143], -v[110:111]
	v_mul_f64 v[144:145], v[144:145], v[112:113]
	v_add_f64 v[102:103], v[102:103], -v[110:111]
	v_fma_f64 v[144:145], v[146:147], v[142:143], v[144:145]
	v_add_f64 v[104:105], v[104:105], -v[144:145]
	ds_read2_b64 v[144:147], v250 offset0:12 offset1:13
	;; [unrolled: 8-line block ×26, first 2 shown]
	s_waitcnt lgkmcnt(0)
	v_mul_f64 v[110:111], v[146:147], v[112:113]
	v_fma_f64 v[110:111], v[144:145], v[142:143], -v[110:111]
	v_mul_f64 v[144:145], v[144:145], v[112:113]
	v_add_f64 v[1:2], v[1:2], -v[110:111]
	v_fma_f64 v[144:145], v[146:147], v[142:143], v[144:145]
	v_mov_b32_e32 v110, v142
	v_mov_b32_e32 v111, v143
	v_add_f64 v[3:4], v[3:4], -v[144:145]
.LBB61_37:
	s_or_b32 exec_lo, exec_lo, s1
	s_mov_b32 s2, exec_lo
	s_waitcnt lgkmcnt(0)
	s_barrier
	buffer_gl0_inv
	v_cmpx_eq_u32_e32 4, v0
	s_cbranch_execz .LBB61_44
; %bb.38:
	ds_write2_b64 v5, v[106:107], v[108:109] offset1:1
	ds_write2_b64 v250, v[102:103], v[104:105] offset0:10 offset1:11
	ds_write2_b64 v250, v[98:99], v[100:101] offset0:12 offset1:13
	;; [unrolled: 1-line block ×26, first 2 shown]
	ds_read2_b64 v[142:145], v5 offset1:1
	s_waitcnt lgkmcnt(0)
	v_cmp_neq_f64_e32 vcc_lo, 0, v[142:143]
	v_cmp_neq_f64_e64 s1, 0, v[144:145]
	s_or_b32 s1, vcc_lo, s1
	s_and_b32 exec_lo, exec_lo, s1
	s_cbranch_execz .LBB61_44
; %bb.39:
	v_cmp_ngt_f64_e64 s1, |v[142:143]|, |v[144:145]|
                                        ; implicit-def: $vgpr146_vgpr147
	s_and_saveexec_b32 s3, s1
	s_xor_b32 s1, exec_lo, s3
                                        ; implicit-def: $vgpr148_vgpr149
	s_cbranch_execz .LBB61_41
; %bb.40:
	v_div_scale_f64 v[146:147], null, v[144:145], v[144:145], v[142:143]
	v_div_scale_f64 v[152:153], vcc_lo, v[142:143], v[144:145], v[142:143]
	v_rcp_f64_e32 v[148:149], v[146:147]
	v_fma_f64 v[150:151], -v[146:147], v[148:149], 1.0
	v_fma_f64 v[148:149], v[148:149], v[150:151], v[148:149]
	v_fma_f64 v[150:151], -v[146:147], v[148:149], 1.0
	v_fma_f64 v[148:149], v[148:149], v[150:151], v[148:149]
	v_mul_f64 v[150:151], v[152:153], v[148:149]
	v_fma_f64 v[146:147], -v[146:147], v[150:151], v[152:153]
	v_div_fmas_f64 v[146:147], v[146:147], v[148:149], v[150:151]
	v_div_fixup_f64 v[146:147], v[146:147], v[144:145], v[142:143]
	v_fma_f64 v[142:143], v[142:143], v[146:147], v[144:145]
	v_div_scale_f64 v[144:145], null, v[142:143], v[142:143], 1.0
	v_rcp_f64_e32 v[148:149], v[144:145]
	v_fma_f64 v[150:151], -v[144:145], v[148:149], 1.0
	v_fma_f64 v[148:149], v[148:149], v[150:151], v[148:149]
	v_fma_f64 v[150:151], -v[144:145], v[148:149], 1.0
	v_fma_f64 v[148:149], v[148:149], v[150:151], v[148:149]
	v_div_scale_f64 v[150:151], vcc_lo, 1.0, v[142:143], 1.0
	v_mul_f64 v[152:153], v[150:151], v[148:149]
	v_fma_f64 v[144:145], -v[144:145], v[152:153], v[150:151]
	v_div_fmas_f64 v[144:145], v[144:145], v[148:149], v[152:153]
	v_div_fixup_f64 v[148:149], v[144:145], v[142:143], 1.0
                                        ; implicit-def: $vgpr142_vgpr143
	v_mul_f64 v[146:147], v[146:147], v[148:149]
	v_xor_b32_e32 v149, 0x80000000, v149
.LBB61_41:
	s_andn2_saveexec_b32 s1, s1
	s_cbranch_execz .LBB61_43
; %bb.42:
	v_div_scale_f64 v[146:147], null, v[142:143], v[142:143], v[144:145]
	v_div_scale_f64 v[152:153], vcc_lo, v[144:145], v[142:143], v[144:145]
	v_rcp_f64_e32 v[148:149], v[146:147]
	v_fma_f64 v[150:151], -v[146:147], v[148:149], 1.0
	v_fma_f64 v[148:149], v[148:149], v[150:151], v[148:149]
	v_fma_f64 v[150:151], -v[146:147], v[148:149], 1.0
	v_fma_f64 v[148:149], v[148:149], v[150:151], v[148:149]
	v_mul_f64 v[150:151], v[152:153], v[148:149]
	v_fma_f64 v[146:147], -v[146:147], v[150:151], v[152:153]
	v_div_fmas_f64 v[146:147], v[146:147], v[148:149], v[150:151]
	v_div_fixup_f64 v[148:149], v[146:147], v[142:143], v[144:145]
	v_fma_f64 v[142:143], v[144:145], v[148:149], v[142:143]
	v_div_scale_f64 v[144:145], null, v[142:143], v[142:143], 1.0
	v_rcp_f64_e32 v[146:147], v[144:145]
	v_fma_f64 v[150:151], -v[144:145], v[146:147], 1.0
	v_fma_f64 v[146:147], v[146:147], v[150:151], v[146:147]
	v_fma_f64 v[150:151], -v[144:145], v[146:147], 1.0
	v_fma_f64 v[146:147], v[146:147], v[150:151], v[146:147]
	v_div_scale_f64 v[150:151], vcc_lo, 1.0, v[142:143], 1.0
	v_mul_f64 v[152:153], v[150:151], v[146:147]
	v_fma_f64 v[144:145], -v[144:145], v[152:153], v[150:151]
	v_div_fmas_f64 v[144:145], v[144:145], v[146:147], v[152:153]
	v_div_fixup_f64 v[146:147], v[144:145], v[142:143], 1.0
	v_mul_f64 v[148:149], v[148:149], -v[146:147]
.LBB61_43:
	s_or_b32 exec_lo, exec_lo, s1
	ds_write2_b64 v5, v[146:147], v[148:149] offset1:1
.LBB61_44:
	s_or_b32 exec_lo, exec_lo, s2
	s_waitcnt lgkmcnt(0)
	s_barrier
	buffer_gl0_inv
	ds_read2_b64 v[142:145], v5 offset1:1
	s_mov_b32 s1, exec_lo
	v_cmpx_lt_u32_e32 4, v0
	s_cbranch_execz .LBB61_46
; %bb.45:
	s_waitcnt lgkmcnt(0)
	v_mul_f64 v[146:147], v[144:145], v[108:109]
	v_mul_f64 v[108:109], v[142:143], v[108:109]
	ds_read2_b64 v[148:151], v250 offset0:10 offset1:11
	v_fma_f64 v[146:147], v[142:143], v[106:107], -v[146:147]
	v_fma_f64 v[108:109], v[144:145], v[106:107], v[108:109]
	s_waitcnt lgkmcnt(0)
	v_mul_f64 v[106:107], v[150:151], v[108:109]
	v_fma_f64 v[106:107], v[148:149], v[146:147], -v[106:107]
	v_mul_f64 v[148:149], v[148:149], v[108:109]
	v_add_f64 v[102:103], v[102:103], -v[106:107]
	v_fma_f64 v[148:149], v[150:151], v[146:147], v[148:149]
	v_add_f64 v[104:105], v[104:105], -v[148:149]
	ds_read2_b64 v[148:151], v250 offset0:12 offset1:13
	s_waitcnt lgkmcnt(0)
	v_mul_f64 v[106:107], v[150:151], v[108:109]
	v_fma_f64 v[106:107], v[148:149], v[146:147], -v[106:107]
	v_mul_f64 v[148:149], v[148:149], v[108:109]
	v_add_f64 v[98:99], v[98:99], -v[106:107]
	v_fma_f64 v[148:149], v[150:151], v[146:147], v[148:149]
	v_add_f64 v[100:101], v[100:101], -v[148:149]
	ds_read2_b64 v[148:151], v250 offset0:14 offset1:15
	;; [unrolled: 8-line block ×25, first 2 shown]
	s_waitcnt lgkmcnt(0)
	v_mul_f64 v[106:107], v[150:151], v[108:109]
	v_fma_f64 v[106:107], v[148:149], v[146:147], -v[106:107]
	v_mul_f64 v[148:149], v[148:149], v[108:109]
	v_add_f64 v[1:2], v[1:2], -v[106:107]
	v_fma_f64 v[148:149], v[150:151], v[146:147], v[148:149]
	v_mov_b32_e32 v106, v146
	v_mov_b32_e32 v107, v147
	v_add_f64 v[3:4], v[3:4], -v[148:149]
.LBB61_46:
	s_or_b32 exec_lo, exec_lo, s1
	s_mov_b32 s2, exec_lo
	s_waitcnt lgkmcnt(0)
	s_barrier
	buffer_gl0_inv
	v_cmpx_eq_u32_e32 5, v0
	s_cbranch_execz .LBB61_53
; %bb.47:
	ds_write2_b64 v5, v[102:103], v[104:105] offset1:1
	ds_write2_b64 v250, v[98:99], v[100:101] offset0:12 offset1:13
	ds_write2_b64 v250, v[94:95], v[96:97] offset0:14 offset1:15
	;; [unrolled: 1-line block ×25, first 2 shown]
	ds_read2_b64 v[146:149], v5 offset1:1
	s_waitcnt lgkmcnt(0)
	v_cmp_neq_f64_e32 vcc_lo, 0, v[146:147]
	v_cmp_neq_f64_e64 s1, 0, v[148:149]
	s_or_b32 s1, vcc_lo, s1
	s_and_b32 exec_lo, exec_lo, s1
	s_cbranch_execz .LBB61_53
; %bb.48:
	v_cmp_ngt_f64_e64 s1, |v[146:147]|, |v[148:149]|
                                        ; implicit-def: $vgpr150_vgpr151
	s_and_saveexec_b32 s3, s1
	s_xor_b32 s1, exec_lo, s3
                                        ; implicit-def: $vgpr152_vgpr153
	s_cbranch_execz .LBB61_50
; %bb.49:
	v_div_scale_f64 v[150:151], null, v[148:149], v[148:149], v[146:147]
	v_div_scale_f64 v[156:157], vcc_lo, v[146:147], v[148:149], v[146:147]
	v_rcp_f64_e32 v[152:153], v[150:151]
	v_fma_f64 v[154:155], -v[150:151], v[152:153], 1.0
	v_fma_f64 v[152:153], v[152:153], v[154:155], v[152:153]
	v_fma_f64 v[154:155], -v[150:151], v[152:153], 1.0
	v_fma_f64 v[152:153], v[152:153], v[154:155], v[152:153]
	v_mul_f64 v[154:155], v[156:157], v[152:153]
	v_fma_f64 v[150:151], -v[150:151], v[154:155], v[156:157]
	v_div_fmas_f64 v[150:151], v[150:151], v[152:153], v[154:155]
	v_div_fixup_f64 v[150:151], v[150:151], v[148:149], v[146:147]
	v_fma_f64 v[146:147], v[146:147], v[150:151], v[148:149]
	v_div_scale_f64 v[148:149], null, v[146:147], v[146:147], 1.0
	v_rcp_f64_e32 v[152:153], v[148:149]
	v_fma_f64 v[154:155], -v[148:149], v[152:153], 1.0
	v_fma_f64 v[152:153], v[152:153], v[154:155], v[152:153]
	v_fma_f64 v[154:155], -v[148:149], v[152:153], 1.0
	v_fma_f64 v[152:153], v[152:153], v[154:155], v[152:153]
	v_div_scale_f64 v[154:155], vcc_lo, 1.0, v[146:147], 1.0
	v_mul_f64 v[156:157], v[154:155], v[152:153]
	v_fma_f64 v[148:149], -v[148:149], v[156:157], v[154:155]
	v_div_fmas_f64 v[148:149], v[148:149], v[152:153], v[156:157]
	v_div_fixup_f64 v[152:153], v[148:149], v[146:147], 1.0
                                        ; implicit-def: $vgpr146_vgpr147
	v_mul_f64 v[150:151], v[150:151], v[152:153]
	v_xor_b32_e32 v153, 0x80000000, v153
.LBB61_50:
	s_andn2_saveexec_b32 s1, s1
	s_cbranch_execz .LBB61_52
; %bb.51:
	v_div_scale_f64 v[150:151], null, v[146:147], v[146:147], v[148:149]
	v_div_scale_f64 v[156:157], vcc_lo, v[148:149], v[146:147], v[148:149]
	v_rcp_f64_e32 v[152:153], v[150:151]
	v_fma_f64 v[154:155], -v[150:151], v[152:153], 1.0
	v_fma_f64 v[152:153], v[152:153], v[154:155], v[152:153]
	v_fma_f64 v[154:155], -v[150:151], v[152:153], 1.0
	v_fma_f64 v[152:153], v[152:153], v[154:155], v[152:153]
	v_mul_f64 v[154:155], v[156:157], v[152:153]
	v_fma_f64 v[150:151], -v[150:151], v[154:155], v[156:157]
	v_div_fmas_f64 v[150:151], v[150:151], v[152:153], v[154:155]
	v_div_fixup_f64 v[152:153], v[150:151], v[146:147], v[148:149]
	v_fma_f64 v[146:147], v[148:149], v[152:153], v[146:147]
	v_div_scale_f64 v[148:149], null, v[146:147], v[146:147], 1.0
	v_rcp_f64_e32 v[150:151], v[148:149]
	v_fma_f64 v[154:155], -v[148:149], v[150:151], 1.0
	v_fma_f64 v[150:151], v[150:151], v[154:155], v[150:151]
	v_fma_f64 v[154:155], -v[148:149], v[150:151], 1.0
	v_fma_f64 v[150:151], v[150:151], v[154:155], v[150:151]
	v_div_scale_f64 v[154:155], vcc_lo, 1.0, v[146:147], 1.0
	v_mul_f64 v[156:157], v[154:155], v[150:151]
	v_fma_f64 v[148:149], -v[148:149], v[156:157], v[154:155]
	v_div_fmas_f64 v[148:149], v[148:149], v[150:151], v[156:157]
	v_div_fixup_f64 v[150:151], v[148:149], v[146:147], 1.0
	v_mul_f64 v[152:153], v[152:153], -v[150:151]
.LBB61_52:
	s_or_b32 exec_lo, exec_lo, s1
	ds_write2_b64 v5, v[150:151], v[152:153] offset1:1
.LBB61_53:
	s_or_b32 exec_lo, exec_lo, s2
	s_waitcnt lgkmcnt(0)
	s_barrier
	buffer_gl0_inv
	ds_read2_b64 v[146:149], v5 offset1:1
	s_mov_b32 s1, exec_lo
	v_cmpx_lt_u32_e32 5, v0
	s_cbranch_execz .LBB61_55
; %bb.54:
	s_waitcnt lgkmcnt(0)
	v_mul_f64 v[150:151], v[148:149], v[104:105]
	v_mul_f64 v[104:105], v[146:147], v[104:105]
	ds_read2_b64 v[152:155], v250 offset0:12 offset1:13
	v_fma_f64 v[150:151], v[146:147], v[102:103], -v[150:151]
	v_fma_f64 v[104:105], v[148:149], v[102:103], v[104:105]
	s_waitcnt lgkmcnt(0)
	v_mul_f64 v[102:103], v[154:155], v[104:105]
	v_fma_f64 v[102:103], v[152:153], v[150:151], -v[102:103]
	v_mul_f64 v[152:153], v[152:153], v[104:105]
	v_add_f64 v[98:99], v[98:99], -v[102:103]
	v_fma_f64 v[152:153], v[154:155], v[150:151], v[152:153]
	v_add_f64 v[100:101], v[100:101], -v[152:153]
	ds_read2_b64 v[152:155], v250 offset0:14 offset1:15
	s_waitcnt lgkmcnt(0)
	v_mul_f64 v[102:103], v[154:155], v[104:105]
	v_fma_f64 v[102:103], v[152:153], v[150:151], -v[102:103]
	v_mul_f64 v[152:153], v[152:153], v[104:105]
	v_add_f64 v[94:95], v[94:95], -v[102:103]
	v_fma_f64 v[152:153], v[154:155], v[150:151], v[152:153]
	v_add_f64 v[96:97], v[96:97], -v[152:153]
	ds_read2_b64 v[152:155], v250 offset0:16 offset1:17
	;; [unrolled: 8-line block ×24, first 2 shown]
	s_waitcnt lgkmcnt(0)
	v_mul_f64 v[102:103], v[154:155], v[104:105]
	v_fma_f64 v[102:103], v[152:153], v[150:151], -v[102:103]
	v_mul_f64 v[152:153], v[152:153], v[104:105]
	v_add_f64 v[1:2], v[1:2], -v[102:103]
	v_fma_f64 v[152:153], v[154:155], v[150:151], v[152:153]
	v_mov_b32_e32 v102, v150
	v_mov_b32_e32 v103, v151
	v_add_f64 v[3:4], v[3:4], -v[152:153]
.LBB61_55:
	s_or_b32 exec_lo, exec_lo, s1
	s_mov_b32 s2, exec_lo
	s_waitcnt lgkmcnt(0)
	s_barrier
	buffer_gl0_inv
	v_cmpx_eq_u32_e32 6, v0
	s_cbranch_execz .LBB61_62
; %bb.56:
	ds_write2_b64 v5, v[98:99], v[100:101] offset1:1
	ds_write2_b64 v250, v[94:95], v[96:97] offset0:14 offset1:15
	ds_write2_b64 v250, v[90:91], v[92:93] offset0:16 offset1:17
	;; [unrolled: 1-line block ×24, first 2 shown]
	ds_read2_b64 v[150:153], v5 offset1:1
	s_waitcnt lgkmcnt(0)
	v_cmp_neq_f64_e32 vcc_lo, 0, v[150:151]
	v_cmp_neq_f64_e64 s1, 0, v[152:153]
	s_or_b32 s1, vcc_lo, s1
	s_and_b32 exec_lo, exec_lo, s1
	s_cbranch_execz .LBB61_62
; %bb.57:
	v_cmp_ngt_f64_e64 s1, |v[150:151]|, |v[152:153]|
                                        ; implicit-def: $vgpr154_vgpr155
	s_and_saveexec_b32 s3, s1
	s_xor_b32 s1, exec_lo, s3
                                        ; implicit-def: $vgpr156_vgpr157
	s_cbranch_execz .LBB61_59
; %bb.58:
	v_div_scale_f64 v[154:155], null, v[152:153], v[152:153], v[150:151]
	v_div_scale_f64 v[160:161], vcc_lo, v[150:151], v[152:153], v[150:151]
	v_rcp_f64_e32 v[156:157], v[154:155]
	v_fma_f64 v[158:159], -v[154:155], v[156:157], 1.0
	v_fma_f64 v[156:157], v[156:157], v[158:159], v[156:157]
	v_fma_f64 v[158:159], -v[154:155], v[156:157], 1.0
	v_fma_f64 v[156:157], v[156:157], v[158:159], v[156:157]
	v_mul_f64 v[158:159], v[160:161], v[156:157]
	v_fma_f64 v[154:155], -v[154:155], v[158:159], v[160:161]
	v_div_fmas_f64 v[154:155], v[154:155], v[156:157], v[158:159]
	v_div_fixup_f64 v[154:155], v[154:155], v[152:153], v[150:151]
	v_fma_f64 v[150:151], v[150:151], v[154:155], v[152:153]
	v_div_scale_f64 v[152:153], null, v[150:151], v[150:151], 1.0
	v_rcp_f64_e32 v[156:157], v[152:153]
	v_fma_f64 v[158:159], -v[152:153], v[156:157], 1.0
	v_fma_f64 v[156:157], v[156:157], v[158:159], v[156:157]
	v_fma_f64 v[158:159], -v[152:153], v[156:157], 1.0
	v_fma_f64 v[156:157], v[156:157], v[158:159], v[156:157]
	v_div_scale_f64 v[158:159], vcc_lo, 1.0, v[150:151], 1.0
	v_mul_f64 v[160:161], v[158:159], v[156:157]
	v_fma_f64 v[152:153], -v[152:153], v[160:161], v[158:159]
	v_div_fmas_f64 v[152:153], v[152:153], v[156:157], v[160:161]
	v_div_fixup_f64 v[156:157], v[152:153], v[150:151], 1.0
                                        ; implicit-def: $vgpr150_vgpr151
	v_mul_f64 v[154:155], v[154:155], v[156:157]
	v_xor_b32_e32 v157, 0x80000000, v157
.LBB61_59:
	s_andn2_saveexec_b32 s1, s1
	s_cbranch_execz .LBB61_61
; %bb.60:
	v_div_scale_f64 v[154:155], null, v[150:151], v[150:151], v[152:153]
	v_div_scale_f64 v[160:161], vcc_lo, v[152:153], v[150:151], v[152:153]
	v_rcp_f64_e32 v[156:157], v[154:155]
	v_fma_f64 v[158:159], -v[154:155], v[156:157], 1.0
	v_fma_f64 v[156:157], v[156:157], v[158:159], v[156:157]
	v_fma_f64 v[158:159], -v[154:155], v[156:157], 1.0
	v_fma_f64 v[156:157], v[156:157], v[158:159], v[156:157]
	v_mul_f64 v[158:159], v[160:161], v[156:157]
	v_fma_f64 v[154:155], -v[154:155], v[158:159], v[160:161]
	v_div_fmas_f64 v[154:155], v[154:155], v[156:157], v[158:159]
	v_div_fixup_f64 v[156:157], v[154:155], v[150:151], v[152:153]
	v_fma_f64 v[150:151], v[152:153], v[156:157], v[150:151]
	v_div_scale_f64 v[152:153], null, v[150:151], v[150:151], 1.0
	v_rcp_f64_e32 v[154:155], v[152:153]
	v_fma_f64 v[158:159], -v[152:153], v[154:155], 1.0
	v_fma_f64 v[154:155], v[154:155], v[158:159], v[154:155]
	v_fma_f64 v[158:159], -v[152:153], v[154:155], 1.0
	v_fma_f64 v[154:155], v[154:155], v[158:159], v[154:155]
	v_div_scale_f64 v[158:159], vcc_lo, 1.0, v[150:151], 1.0
	v_mul_f64 v[160:161], v[158:159], v[154:155]
	v_fma_f64 v[152:153], -v[152:153], v[160:161], v[158:159]
	v_div_fmas_f64 v[152:153], v[152:153], v[154:155], v[160:161]
	v_div_fixup_f64 v[154:155], v[152:153], v[150:151], 1.0
	v_mul_f64 v[156:157], v[156:157], -v[154:155]
.LBB61_61:
	s_or_b32 exec_lo, exec_lo, s1
	ds_write2_b64 v5, v[154:155], v[156:157] offset1:1
.LBB61_62:
	s_or_b32 exec_lo, exec_lo, s2
	s_waitcnt lgkmcnt(0)
	s_barrier
	buffer_gl0_inv
	ds_read2_b64 v[150:153], v5 offset1:1
	s_mov_b32 s1, exec_lo
	v_cmpx_lt_u32_e32 6, v0
	s_cbranch_execz .LBB61_64
; %bb.63:
	s_waitcnt lgkmcnt(0)
	v_mul_f64 v[154:155], v[152:153], v[100:101]
	v_mul_f64 v[100:101], v[150:151], v[100:101]
	ds_read2_b64 v[156:159], v250 offset0:14 offset1:15
	v_fma_f64 v[154:155], v[150:151], v[98:99], -v[154:155]
	v_fma_f64 v[100:101], v[152:153], v[98:99], v[100:101]
	s_waitcnt lgkmcnt(0)
	v_mul_f64 v[98:99], v[158:159], v[100:101]
	v_fma_f64 v[98:99], v[156:157], v[154:155], -v[98:99]
	v_mul_f64 v[156:157], v[156:157], v[100:101]
	v_add_f64 v[94:95], v[94:95], -v[98:99]
	v_fma_f64 v[156:157], v[158:159], v[154:155], v[156:157]
	v_add_f64 v[96:97], v[96:97], -v[156:157]
	ds_read2_b64 v[156:159], v250 offset0:16 offset1:17
	s_waitcnt lgkmcnt(0)
	v_mul_f64 v[98:99], v[158:159], v[100:101]
	v_fma_f64 v[98:99], v[156:157], v[154:155], -v[98:99]
	v_mul_f64 v[156:157], v[156:157], v[100:101]
	v_add_f64 v[90:91], v[90:91], -v[98:99]
	v_fma_f64 v[156:157], v[158:159], v[154:155], v[156:157]
	v_add_f64 v[92:93], v[92:93], -v[156:157]
	ds_read2_b64 v[156:159], v250 offset0:18 offset1:19
	;; [unrolled: 8-line block ×23, first 2 shown]
	s_waitcnt lgkmcnt(0)
	v_mul_f64 v[98:99], v[158:159], v[100:101]
	v_fma_f64 v[98:99], v[156:157], v[154:155], -v[98:99]
	v_mul_f64 v[156:157], v[156:157], v[100:101]
	v_add_f64 v[1:2], v[1:2], -v[98:99]
	v_fma_f64 v[156:157], v[158:159], v[154:155], v[156:157]
	v_mov_b32_e32 v98, v154
	v_mov_b32_e32 v99, v155
	v_add_f64 v[3:4], v[3:4], -v[156:157]
.LBB61_64:
	s_or_b32 exec_lo, exec_lo, s1
	s_mov_b32 s2, exec_lo
	s_waitcnt lgkmcnt(0)
	s_barrier
	buffer_gl0_inv
	v_cmpx_eq_u32_e32 7, v0
	s_cbranch_execz .LBB61_71
; %bb.65:
	ds_write2_b64 v5, v[94:95], v[96:97] offset1:1
	ds_write2_b64 v250, v[90:91], v[92:93] offset0:16 offset1:17
	ds_write2_b64 v250, v[86:87], v[88:89] offset0:18 offset1:19
	;; [unrolled: 1-line block ×23, first 2 shown]
	ds_read2_b64 v[154:157], v5 offset1:1
	s_waitcnt lgkmcnt(0)
	v_cmp_neq_f64_e32 vcc_lo, 0, v[154:155]
	v_cmp_neq_f64_e64 s1, 0, v[156:157]
	s_or_b32 s1, vcc_lo, s1
	s_and_b32 exec_lo, exec_lo, s1
	s_cbranch_execz .LBB61_71
; %bb.66:
	v_cmp_ngt_f64_e64 s1, |v[154:155]|, |v[156:157]|
                                        ; implicit-def: $vgpr158_vgpr159
	s_and_saveexec_b32 s3, s1
	s_xor_b32 s1, exec_lo, s3
                                        ; implicit-def: $vgpr160_vgpr161
	s_cbranch_execz .LBB61_68
; %bb.67:
	v_div_scale_f64 v[158:159], null, v[156:157], v[156:157], v[154:155]
	v_div_scale_f64 v[164:165], vcc_lo, v[154:155], v[156:157], v[154:155]
	v_rcp_f64_e32 v[160:161], v[158:159]
	v_fma_f64 v[162:163], -v[158:159], v[160:161], 1.0
	v_fma_f64 v[160:161], v[160:161], v[162:163], v[160:161]
	v_fma_f64 v[162:163], -v[158:159], v[160:161], 1.0
	v_fma_f64 v[160:161], v[160:161], v[162:163], v[160:161]
	v_mul_f64 v[162:163], v[164:165], v[160:161]
	v_fma_f64 v[158:159], -v[158:159], v[162:163], v[164:165]
	v_div_fmas_f64 v[158:159], v[158:159], v[160:161], v[162:163]
	v_div_fixup_f64 v[158:159], v[158:159], v[156:157], v[154:155]
	v_fma_f64 v[154:155], v[154:155], v[158:159], v[156:157]
	v_div_scale_f64 v[156:157], null, v[154:155], v[154:155], 1.0
	v_rcp_f64_e32 v[160:161], v[156:157]
	v_fma_f64 v[162:163], -v[156:157], v[160:161], 1.0
	v_fma_f64 v[160:161], v[160:161], v[162:163], v[160:161]
	v_fma_f64 v[162:163], -v[156:157], v[160:161], 1.0
	v_fma_f64 v[160:161], v[160:161], v[162:163], v[160:161]
	v_div_scale_f64 v[162:163], vcc_lo, 1.0, v[154:155], 1.0
	v_mul_f64 v[164:165], v[162:163], v[160:161]
	v_fma_f64 v[156:157], -v[156:157], v[164:165], v[162:163]
	v_div_fmas_f64 v[156:157], v[156:157], v[160:161], v[164:165]
	v_div_fixup_f64 v[160:161], v[156:157], v[154:155], 1.0
                                        ; implicit-def: $vgpr154_vgpr155
	v_mul_f64 v[158:159], v[158:159], v[160:161]
	v_xor_b32_e32 v161, 0x80000000, v161
.LBB61_68:
	s_andn2_saveexec_b32 s1, s1
	s_cbranch_execz .LBB61_70
; %bb.69:
	v_div_scale_f64 v[158:159], null, v[154:155], v[154:155], v[156:157]
	v_div_scale_f64 v[164:165], vcc_lo, v[156:157], v[154:155], v[156:157]
	v_rcp_f64_e32 v[160:161], v[158:159]
	v_fma_f64 v[162:163], -v[158:159], v[160:161], 1.0
	v_fma_f64 v[160:161], v[160:161], v[162:163], v[160:161]
	v_fma_f64 v[162:163], -v[158:159], v[160:161], 1.0
	v_fma_f64 v[160:161], v[160:161], v[162:163], v[160:161]
	v_mul_f64 v[162:163], v[164:165], v[160:161]
	v_fma_f64 v[158:159], -v[158:159], v[162:163], v[164:165]
	v_div_fmas_f64 v[158:159], v[158:159], v[160:161], v[162:163]
	v_div_fixup_f64 v[160:161], v[158:159], v[154:155], v[156:157]
	v_fma_f64 v[154:155], v[156:157], v[160:161], v[154:155]
	v_div_scale_f64 v[156:157], null, v[154:155], v[154:155], 1.0
	v_rcp_f64_e32 v[158:159], v[156:157]
	v_fma_f64 v[162:163], -v[156:157], v[158:159], 1.0
	v_fma_f64 v[158:159], v[158:159], v[162:163], v[158:159]
	v_fma_f64 v[162:163], -v[156:157], v[158:159], 1.0
	v_fma_f64 v[158:159], v[158:159], v[162:163], v[158:159]
	v_div_scale_f64 v[162:163], vcc_lo, 1.0, v[154:155], 1.0
	v_mul_f64 v[164:165], v[162:163], v[158:159]
	v_fma_f64 v[156:157], -v[156:157], v[164:165], v[162:163]
	v_div_fmas_f64 v[156:157], v[156:157], v[158:159], v[164:165]
	v_div_fixup_f64 v[158:159], v[156:157], v[154:155], 1.0
	v_mul_f64 v[160:161], v[160:161], -v[158:159]
.LBB61_70:
	s_or_b32 exec_lo, exec_lo, s1
	ds_write2_b64 v5, v[158:159], v[160:161] offset1:1
.LBB61_71:
	s_or_b32 exec_lo, exec_lo, s2
	s_waitcnt lgkmcnt(0)
	s_barrier
	buffer_gl0_inv
	ds_read2_b64 v[154:157], v5 offset1:1
	s_mov_b32 s1, exec_lo
	v_cmpx_lt_u32_e32 7, v0
	s_cbranch_execz .LBB61_73
; %bb.72:
	s_waitcnt lgkmcnt(0)
	v_mul_f64 v[158:159], v[156:157], v[96:97]
	v_mul_f64 v[96:97], v[154:155], v[96:97]
	ds_read2_b64 v[160:163], v250 offset0:16 offset1:17
	v_fma_f64 v[158:159], v[154:155], v[94:95], -v[158:159]
	v_fma_f64 v[96:97], v[156:157], v[94:95], v[96:97]
	s_waitcnt lgkmcnt(0)
	v_mul_f64 v[94:95], v[162:163], v[96:97]
	v_fma_f64 v[94:95], v[160:161], v[158:159], -v[94:95]
	v_mul_f64 v[160:161], v[160:161], v[96:97]
	v_add_f64 v[90:91], v[90:91], -v[94:95]
	v_fma_f64 v[160:161], v[162:163], v[158:159], v[160:161]
	v_add_f64 v[92:93], v[92:93], -v[160:161]
	ds_read2_b64 v[160:163], v250 offset0:18 offset1:19
	s_waitcnt lgkmcnt(0)
	v_mul_f64 v[94:95], v[162:163], v[96:97]
	v_fma_f64 v[94:95], v[160:161], v[158:159], -v[94:95]
	v_mul_f64 v[160:161], v[160:161], v[96:97]
	v_add_f64 v[86:87], v[86:87], -v[94:95]
	v_fma_f64 v[160:161], v[162:163], v[158:159], v[160:161]
	v_add_f64 v[88:89], v[88:89], -v[160:161]
	ds_read2_b64 v[160:163], v250 offset0:20 offset1:21
	;; [unrolled: 8-line block ×22, first 2 shown]
	s_waitcnt lgkmcnt(0)
	v_mul_f64 v[94:95], v[162:163], v[96:97]
	v_fma_f64 v[94:95], v[160:161], v[158:159], -v[94:95]
	v_mul_f64 v[160:161], v[160:161], v[96:97]
	v_add_f64 v[1:2], v[1:2], -v[94:95]
	v_fma_f64 v[160:161], v[162:163], v[158:159], v[160:161]
	v_mov_b32_e32 v94, v158
	v_mov_b32_e32 v95, v159
	v_add_f64 v[3:4], v[3:4], -v[160:161]
.LBB61_73:
	s_or_b32 exec_lo, exec_lo, s1
	s_mov_b32 s2, exec_lo
	s_waitcnt lgkmcnt(0)
	s_barrier
	buffer_gl0_inv
	v_cmpx_eq_u32_e32 8, v0
	s_cbranch_execz .LBB61_80
; %bb.74:
	ds_write2_b64 v5, v[90:91], v[92:93] offset1:1
	ds_write2_b64 v250, v[86:87], v[88:89] offset0:18 offset1:19
	ds_write2_b64 v250, v[82:83], v[84:85] offset0:20 offset1:21
	ds_write2_b64 v250, v[78:79], v[80:81] offset0:22 offset1:23
	ds_write2_b64 v250, v[74:75], v[76:77] offset0:24 offset1:25
	ds_write2_b64 v250, v[70:71], v[72:73] offset0:26 offset1:27
	ds_write2_b64 v250, v[66:67], v[68:69] offset0:28 offset1:29
	ds_write2_b64 v250, v[62:63], v[64:65] offset0:30 offset1:31
	ds_write2_b64 v250, v[58:59], v[60:61] offset0:32 offset1:33
	ds_write2_b64 v250, v[54:55], v[56:57] offset0:34 offset1:35
	ds_write2_b64 v250, v[50:51], v[52:53] offset0:36 offset1:37
	ds_write2_b64 v250, v[46:47], v[48:49] offset0:38 offset1:39
	ds_write2_b64 v250, v[42:43], v[44:45] offset0:40 offset1:41
	ds_write2_b64 v250, v[38:39], v[40:41] offset0:42 offset1:43
	ds_write2_b64 v250, v[34:35], v[36:37] offset0:44 offset1:45
	ds_write2_b64 v250, v[30:31], v[32:33] offset0:46 offset1:47
	ds_write2_b64 v250, v[26:27], v[28:29] offset0:48 offset1:49
	ds_write2_b64 v250, v[22:23], v[24:25] offset0:50 offset1:51
	ds_write2_b64 v250, v[18:19], v[20:21] offset0:52 offset1:53
	ds_write2_b64 v250, v[14:15], v[16:17] offset0:54 offset1:55
	ds_write2_b64 v250, v[10:11], v[12:13] offset0:56 offset1:57
	ds_write2_b64 v250, v[6:7], v[8:9] offset0:58 offset1:59
	ds_write2_b64 v250, v[1:2], v[3:4] offset0:60 offset1:61
	ds_read2_b64 v[158:161], v5 offset1:1
	s_waitcnt lgkmcnt(0)
	v_cmp_neq_f64_e32 vcc_lo, 0, v[158:159]
	v_cmp_neq_f64_e64 s1, 0, v[160:161]
	s_or_b32 s1, vcc_lo, s1
	s_and_b32 exec_lo, exec_lo, s1
	s_cbranch_execz .LBB61_80
; %bb.75:
	v_cmp_ngt_f64_e64 s1, |v[158:159]|, |v[160:161]|
                                        ; implicit-def: $vgpr162_vgpr163
	s_and_saveexec_b32 s3, s1
	s_xor_b32 s1, exec_lo, s3
                                        ; implicit-def: $vgpr164_vgpr165
	s_cbranch_execz .LBB61_77
; %bb.76:
	v_div_scale_f64 v[162:163], null, v[160:161], v[160:161], v[158:159]
	v_div_scale_f64 v[168:169], vcc_lo, v[158:159], v[160:161], v[158:159]
	v_rcp_f64_e32 v[164:165], v[162:163]
	v_fma_f64 v[166:167], -v[162:163], v[164:165], 1.0
	v_fma_f64 v[164:165], v[164:165], v[166:167], v[164:165]
	v_fma_f64 v[166:167], -v[162:163], v[164:165], 1.0
	v_fma_f64 v[164:165], v[164:165], v[166:167], v[164:165]
	v_mul_f64 v[166:167], v[168:169], v[164:165]
	v_fma_f64 v[162:163], -v[162:163], v[166:167], v[168:169]
	v_div_fmas_f64 v[162:163], v[162:163], v[164:165], v[166:167]
	v_div_fixup_f64 v[162:163], v[162:163], v[160:161], v[158:159]
	v_fma_f64 v[158:159], v[158:159], v[162:163], v[160:161]
	v_div_scale_f64 v[160:161], null, v[158:159], v[158:159], 1.0
	v_rcp_f64_e32 v[164:165], v[160:161]
	v_fma_f64 v[166:167], -v[160:161], v[164:165], 1.0
	v_fma_f64 v[164:165], v[164:165], v[166:167], v[164:165]
	v_fma_f64 v[166:167], -v[160:161], v[164:165], 1.0
	v_fma_f64 v[164:165], v[164:165], v[166:167], v[164:165]
	v_div_scale_f64 v[166:167], vcc_lo, 1.0, v[158:159], 1.0
	v_mul_f64 v[168:169], v[166:167], v[164:165]
	v_fma_f64 v[160:161], -v[160:161], v[168:169], v[166:167]
	v_div_fmas_f64 v[160:161], v[160:161], v[164:165], v[168:169]
	v_div_fixup_f64 v[164:165], v[160:161], v[158:159], 1.0
                                        ; implicit-def: $vgpr158_vgpr159
	v_mul_f64 v[162:163], v[162:163], v[164:165]
	v_xor_b32_e32 v165, 0x80000000, v165
.LBB61_77:
	s_andn2_saveexec_b32 s1, s1
	s_cbranch_execz .LBB61_79
; %bb.78:
	v_div_scale_f64 v[162:163], null, v[158:159], v[158:159], v[160:161]
	v_div_scale_f64 v[168:169], vcc_lo, v[160:161], v[158:159], v[160:161]
	v_rcp_f64_e32 v[164:165], v[162:163]
	v_fma_f64 v[166:167], -v[162:163], v[164:165], 1.0
	v_fma_f64 v[164:165], v[164:165], v[166:167], v[164:165]
	v_fma_f64 v[166:167], -v[162:163], v[164:165], 1.0
	v_fma_f64 v[164:165], v[164:165], v[166:167], v[164:165]
	v_mul_f64 v[166:167], v[168:169], v[164:165]
	v_fma_f64 v[162:163], -v[162:163], v[166:167], v[168:169]
	v_div_fmas_f64 v[162:163], v[162:163], v[164:165], v[166:167]
	v_div_fixup_f64 v[164:165], v[162:163], v[158:159], v[160:161]
	v_fma_f64 v[158:159], v[160:161], v[164:165], v[158:159]
	v_div_scale_f64 v[160:161], null, v[158:159], v[158:159], 1.0
	v_rcp_f64_e32 v[162:163], v[160:161]
	v_fma_f64 v[166:167], -v[160:161], v[162:163], 1.0
	v_fma_f64 v[162:163], v[162:163], v[166:167], v[162:163]
	v_fma_f64 v[166:167], -v[160:161], v[162:163], 1.0
	v_fma_f64 v[162:163], v[162:163], v[166:167], v[162:163]
	v_div_scale_f64 v[166:167], vcc_lo, 1.0, v[158:159], 1.0
	v_mul_f64 v[168:169], v[166:167], v[162:163]
	v_fma_f64 v[160:161], -v[160:161], v[168:169], v[166:167]
	v_div_fmas_f64 v[160:161], v[160:161], v[162:163], v[168:169]
	v_div_fixup_f64 v[162:163], v[160:161], v[158:159], 1.0
	v_mul_f64 v[164:165], v[164:165], -v[162:163]
.LBB61_79:
	s_or_b32 exec_lo, exec_lo, s1
	ds_write2_b64 v5, v[162:163], v[164:165] offset1:1
.LBB61_80:
	s_or_b32 exec_lo, exec_lo, s2
	s_waitcnt lgkmcnt(0)
	s_barrier
	buffer_gl0_inv
	ds_read2_b64 v[158:161], v5 offset1:1
	s_mov_b32 s1, exec_lo
	v_cmpx_lt_u32_e32 8, v0
	s_cbranch_execz .LBB61_82
; %bb.81:
	s_waitcnt lgkmcnt(0)
	v_mul_f64 v[162:163], v[160:161], v[92:93]
	v_mul_f64 v[92:93], v[158:159], v[92:93]
	ds_read2_b64 v[164:167], v250 offset0:18 offset1:19
	v_fma_f64 v[162:163], v[158:159], v[90:91], -v[162:163]
	v_fma_f64 v[92:93], v[160:161], v[90:91], v[92:93]
	s_waitcnt lgkmcnt(0)
	v_mul_f64 v[90:91], v[166:167], v[92:93]
	v_fma_f64 v[90:91], v[164:165], v[162:163], -v[90:91]
	v_mul_f64 v[164:165], v[164:165], v[92:93]
	v_add_f64 v[86:87], v[86:87], -v[90:91]
	v_fma_f64 v[164:165], v[166:167], v[162:163], v[164:165]
	v_add_f64 v[88:89], v[88:89], -v[164:165]
	ds_read2_b64 v[164:167], v250 offset0:20 offset1:21
	s_waitcnt lgkmcnt(0)
	v_mul_f64 v[90:91], v[166:167], v[92:93]
	v_fma_f64 v[90:91], v[164:165], v[162:163], -v[90:91]
	v_mul_f64 v[164:165], v[164:165], v[92:93]
	v_add_f64 v[82:83], v[82:83], -v[90:91]
	v_fma_f64 v[164:165], v[166:167], v[162:163], v[164:165]
	v_add_f64 v[84:85], v[84:85], -v[164:165]
	ds_read2_b64 v[164:167], v250 offset0:22 offset1:23
	s_waitcnt lgkmcnt(0)
	v_mul_f64 v[90:91], v[166:167], v[92:93]
	v_fma_f64 v[90:91], v[164:165], v[162:163], -v[90:91]
	v_mul_f64 v[164:165], v[164:165], v[92:93]
	v_add_f64 v[78:79], v[78:79], -v[90:91]
	v_fma_f64 v[164:165], v[166:167], v[162:163], v[164:165]
	v_add_f64 v[80:81], v[80:81], -v[164:165]
	ds_read2_b64 v[164:167], v250 offset0:24 offset1:25
	s_waitcnt lgkmcnt(0)
	v_mul_f64 v[90:91], v[166:167], v[92:93]
	v_fma_f64 v[90:91], v[164:165], v[162:163], -v[90:91]
	v_mul_f64 v[164:165], v[164:165], v[92:93]
	v_add_f64 v[74:75], v[74:75], -v[90:91]
	v_fma_f64 v[164:165], v[166:167], v[162:163], v[164:165]
	v_add_f64 v[76:77], v[76:77], -v[164:165]
	ds_read2_b64 v[164:167], v250 offset0:26 offset1:27
	s_waitcnt lgkmcnt(0)
	v_mul_f64 v[90:91], v[166:167], v[92:93]
	v_fma_f64 v[90:91], v[164:165], v[162:163], -v[90:91]
	v_mul_f64 v[164:165], v[164:165], v[92:93]
	v_add_f64 v[70:71], v[70:71], -v[90:91]
	v_fma_f64 v[164:165], v[166:167], v[162:163], v[164:165]
	v_add_f64 v[72:73], v[72:73], -v[164:165]
	ds_read2_b64 v[164:167], v250 offset0:28 offset1:29
	s_waitcnt lgkmcnt(0)
	v_mul_f64 v[90:91], v[166:167], v[92:93]
	v_fma_f64 v[90:91], v[164:165], v[162:163], -v[90:91]
	v_mul_f64 v[164:165], v[164:165], v[92:93]
	v_add_f64 v[66:67], v[66:67], -v[90:91]
	v_fma_f64 v[164:165], v[166:167], v[162:163], v[164:165]
	v_add_f64 v[68:69], v[68:69], -v[164:165]
	ds_read2_b64 v[164:167], v250 offset0:30 offset1:31
	s_waitcnt lgkmcnt(0)
	v_mul_f64 v[90:91], v[166:167], v[92:93]
	v_fma_f64 v[90:91], v[164:165], v[162:163], -v[90:91]
	v_mul_f64 v[164:165], v[164:165], v[92:93]
	v_add_f64 v[62:63], v[62:63], -v[90:91]
	v_fma_f64 v[164:165], v[166:167], v[162:163], v[164:165]
	v_add_f64 v[64:65], v[64:65], -v[164:165]
	ds_read2_b64 v[164:167], v250 offset0:32 offset1:33
	s_waitcnt lgkmcnt(0)
	v_mul_f64 v[90:91], v[166:167], v[92:93]
	v_fma_f64 v[90:91], v[164:165], v[162:163], -v[90:91]
	v_mul_f64 v[164:165], v[164:165], v[92:93]
	v_add_f64 v[58:59], v[58:59], -v[90:91]
	v_fma_f64 v[164:165], v[166:167], v[162:163], v[164:165]
	v_add_f64 v[60:61], v[60:61], -v[164:165]
	ds_read2_b64 v[164:167], v250 offset0:34 offset1:35
	s_waitcnt lgkmcnt(0)
	v_mul_f64 v[90:91], v[166:167], v[92:93]
	v_fma_f64 v[90:91], v[164:165], v[162:163], -v[90:91]
	v_mul_f64 v[164:165], v[164:165], v[92:93]
	v_add_f64 v[54:55], v[54:55], -v[90:91]
	v_fma_f64 v[164:165], v[166:167], v[162:163], v[164:165]
	v_add_f64 v[56:57], v[56:57], -v[164:165]
	ds_read2_b64 v[164:167], v250 offset0:36 offset1:37
	s_waitcnt lgkmcnt(0)
	v_mul_f64 v[90:91], v[166:167], v[92:93]
	v_fma_f64 v[90:91], v[164:165], v[162:163], -v[90:91]
	v_mul_f64 v[164:165], v[164:165], v[92:93]
	v_add_f64 v[50:51], v[50:51], -v[90:91]
	v_fma_f64 v[164:165], v[166:167], v[162:163], v[164:165]
	v_add_f64 v[52:53], v[52:53], -v[164:165]
	ds_read2_b64 v[164:167], v250 offset0:38 offset1:39
	s_waitcnt lgkmcnt(0)
	v_mul_f64 v[90:91], v[166:167], v[92:93]
	v_fma_f64 v[90:91], v[164:165], v[162:163], -v[90:91]
	v_mul_f64 v[164:165], v[164:165], v[92:93]
	v_add_f64 v[46:47], v[46:47], -v[90:91]
	v_fma_f64 v[164:165], v[166:167], v[162:163], v[164:165]
	v_add_f64 v[48:49], v[48:49], -v[164:165]
	ds_read2_b64 v[164:167], v250 offset0:40 offset1:41
	s_waitcnt lgkmcnt(0)
	v_mul_f64 v[90:91], v[166:167], v[92:93]
	v_fma_f64 v[90:91], v[164:165], v[162:163], -v[90:91]
	v_mul_f64 v[164:165], v[164:165], v[92:93]
	v_add_f64 v[42:43], v[42:43], -v[90:91]
	v_fma_f64 v[164:165], v[166:167], v[162:163], v[164:165]
	v_add_f64 v[44:45], v[44:45], -v[164:165]
	ds_read2_b64 v[164:167], v250 offset0:42 offset1:43
	s_waitcnt lgkmcnt(0)
	v_mul_f64 v[90:91], v[166:167], v[92:93]
	v_fma_f64 v[90:91], v[164:165], v[162:163], -v[90:91]
	v_mul_f64 v[164:165], v[164:165], v[92:93]
	v_add_f64 v[38:39], v[38:39], -v[90:91]
	v_fma_f64 v[164:165], v[166:167], v[162:163], v[164:165]
	v_add_f64 v[40:41], v[40:41], -v[164:165]
	ds_read2_b64 v[164:167], v250 offset0:44 offset1:45
	s_waitcnt lgkmcnt(0)
	v_mul_f64 v[90:91], v[166:167], v[92:93]
	v_fma_f64 v[90:91], v[164:165], v[162:163], -v[90:91]
	v_mul_f64 v[164:165], v[164:165], v[92:93]
	v_add_f64 v[34:35], v[34:35], -v[90:91]
	v_fma_f64 v[164:165], v[166:167], v[162:163], v[164:165]
	v_add_f64 v[36:37], v[36:37], -v[164:165]
	ds_read2_b64 v[164:167], v250 offset0:46 offset1:47
	s_waitcnt lgkmcnt(0)
	v_mul_f64 v[90:91], v[166:167], v[92:93]
	v_fma_f64 v[90:91], v[164:165], v[162:163], -v[90:91]
	v_mul_f64 v[164:165], v[164:165], v[92:93]
	v_add_f64 v[30:31], v[30:31], -v[90:91]
	v_fma_f64 v[164:165], v[166:167], v[162:163], v[164:165]
	v_add_f64 v[32:33], v[32:33], -v[164:165]
	ds_read2_b64 v[164:167], v250 offset0:48 offset1:49
	s_waitcnt lgkmcnt(0)
	v_mul_f64 v[90:91], v[166:167], v[92:93]
	v_fma_f64 v[90:91], v[164:165], v[162:163], -v[90:91]
	v_mul_f64 v[164:165], v[164:165], v[92:93]
	v_add_f64 v[26:27], v[26:27], -v[90:91]
	v_fma_f64 v[164:165], v[166:167], v[162:163], v[164:165]
	v_add_f64 v[28:29], v[28:29], -v[164:165]
	ds_read2_b64 v[164:167], v250 offset0:50 offset1:51
	s_waitcnt lgkmcnt(0)
	v_mul_f64 v[90:91], v[166:167], v[92:93]
	v_fma_f64 v[90:91], v[164:165], v[162:163], -v[90:91]
	v_mul_f64 v[164:165], v[164:165], v[92:93]
	v_add_f64 v[22:23], v[22:23], -v[90:91]
	v_fma_f64 v[164:165], v[166:167], v[162:163], v[164:165]
	v_add_f64 v[24:25], v[24:25], -v[164:165]
	ds_read2_b64 v[164:167], v250 offset0:52 offset1:53
	s_waitcnt lgkmcnt(0)
	v_mul_f64 v[90:91], v[166:167], v[92:93]
	v_fma_f64 v[90:91], v[164:165], v[162:163], -v[90:91]
	v_mul_f64 v[164:165], v[164:165], v[92:93]
	v_add_f64 v[18:19], v[18:19], -v[90:91]
	v_fma_f64 v[164:165], v[166:167], v[162:163], v[164:165]
	v_add_f64 v[20:21], v[20:21], -v[164:165]
	ds_read2_b64 v[164:167], v250 offset0:54 offset1:55
	s_waitcnt lgkmcnt(0)
	v_mul_f64 v[90:91], v[166:167], v[92:93]
	v_fma_f64 v[90:91], v[164:165], v[162:163], -v[90:91]
	v_mul_f64 v[164:165], v[164:165], v[92:93]
	v_add_f64 v[14:15], v[14:15], -v[90:91]
	v_fma_f64 v[164:165], v[166:167], v[162:163], v[164:165]
	v_add_f64 v[16:17], v[16:17], -v[164:165]
	ds_read2_b64 v[164:167], v250 offset0:56 offset1:57
	s_waitcnt lgkmcnt(0)
	v_mul_f64 v[90:91], v[166:167], v[92:93]
	v_fma_f64 v[90:91], v[164:165], v[162:163], -v[90:91]
	v_mul_f64 v[164:165], v[164:165], v[92:93]
	v_add_f64 v[10:11], v[10:11], -v[90:91]
	v_fma_f64 v[164:165], v[166:167], v[162:163], v[164:165]
	v_add_f64 v[12:13], v[12:13], -v[164:165]
	ds_read2_b64 v[164:167], v250 offset0:58 offset1:59
	s_waitcnt lgkmcnt(0)
	v_mul_f64 v[90:91], v[166:167], v[92:93]
	v_fma_f64 v[90:91], v[164:165], v[162:163], -v[90:91]
	v_mul_f64 v[164:165], v[164:165], v[92:93]
	v_add_f64 v[6:7], v[6:7], -v[90:91]
	v_fma_f64 v[164:165], v[166:167], v[162:163], v[164:165]
	v_add_f64 v[8:9], v[8:9], -v[164:165]
	ds_read2_b64 v[164:167], v250 offset0:60 offset1:61
	s_waitcnt lgkmcnt(0)
	v_mul_f64 v[90:91], v[166:167], v[92:93]
	v_fma_f64 v[90:91], v[164:165], v[162:163], -v[90:91]
	v_mul_f64 v[164:165], v[164:165], v[92:93]
	v_add_f64 v[1:2], v[1:2], -v[90:91]
	v_fma_f64 v[164:165], v[166:167], v[162:163], v[164:165]
	v_mov_b32_e32 v90, v162
	v_mov_b32_e32 v91, v163
	v_add_f64 v[3:4], v[3:4], -v[164:165]
.LBB61_82:
	s_or_b32 exec_lo, exec_lo, s1
	s_mov_b32 s2, exec_lo
	s_waitcnt lgkmcnt(0)
	s_barrier
	buffer_gl0_inv
	v_cmpx_eq_u32_e32 9, v0
	s_cbranch_execz .LBB61_89
; %bb.83:
	ds_write2_b64 v5, v[86:87], v[88:89] offset1:1
	ds_write2_b64 v250, v[82:83], v[84:85] offset0:20 offset1:21
	ds_write2_b64 v250, v[78:79], v[80:81] offset0:22 offset1:23
	;; [unrolled: 1-line block ×21, first 2 shown]
	ds_read2_b64 v[162:165], v5 offset1:1
	s_waitcnt lgkmcnt(0)
	v_cmp_neq_f64_e32 vcc_lo, 0, v[162:163]
	v_cmp_neq_f64_e64 s1, 0, v[164:165]
	s_or_b32 s1, vcc_lo, s1
	s_and_b32 exec_lo, exec_lo, s1
	s_cbranch_execz .LBB61_89
; %bb.84:
	v_cmp_ngt_f64_e64 s1, |v[162:163]|, |v[164:165]|
                                        ; implicit-def: $vgpr166_vgpr167
	s_and_saveexec_b32 s3, s1
	s_xor_b32 s1, exec_lo, s3
                                        ; implicit-def: $vgpr168_vgpr169
	s_cbranch_execz .LBB61_86
; %bb.85:
	v_div_scale_f64 v[166:167], null, v[164:165], v[164:165], v[162:163]
	v_div_scale_f64 v[172:173], vcc_lo, v[162:163], v[164:165], v[162:163]
	v_rcp_f64_e32 v[168:169], v[166:167]
	v_fma_f64 v[170:171], -v[166:167], v[168:169], 1.0
	v_fma_f64 v[168:169], v[168:169], v[170:171], v[168:169]
	v_fma_f64 v[170:171], -v[166:167], v[168:169], 1.0
	v_fma_f64 v[168:169], v[168:169], v[170:171], v[168:169]
	v_mul_f64 v[170:171], v[172:173], v[168:169]
	v_fma_f64 v[166:167], -v[166:167], v[170:171], v[172:173]
	v_div_fmas_f64 v[166:167], v[166:167], v[168:169], v[170:171]
	v_div_fixup_f64 v[166:167], v[166:167], v[164:165], v[162:163]
	v_fma_f64 v[162:163], v[162:163], v[166:167], v[164:165]
	v_div_scale_f64 v[164:165], null, v[162:163], v[162:163], 1.0
	v_rcp_f64_e32 v[168:169], v[164:165]
	v_fma_f64 v[170:171], -v[164:165], v[168:169], 1.0
	v_fma_f64 v[168:169], v[168:169], v[170:171], v[168:169]
	v_fma_f64 v[170:171], -v[164:165], v[168:169], 1.0
	v_fma_f64 v[168:169], v[168:169], v[170:171], v[168:169]
	v_div_scale_f64 v[170:171], vcc_lo, 1.0, v[162:163], 1.0
	v_mul_f64 v[172:173], v[170:171], v[168:169]
	v_fma_f64 v[164:165], -v[164:165], v[172:173], v[170:171]
	v_div_fmas_f64 v[164:165], v[164:165], v[168:169], v[172:173]
	v_div_fixup_f64 v[168:169], v[164:165], v[162:163], 1.0
                                        ; implicit-def: $vgpr162_vgpr163
	v_mul_f64 v[166:167], v[166:167], v[168:169]
	v_xor_b32_e32 v169, 0x80000000, v169
.LBB61_86:
	s_andn2_saveexec_b32 s1, s1
	s_cbranch_execz .LBB61_88
; %bb.87:
	v_div_scale_f64 v[166:167], null, v[162:163], v[162:163], v[164:165]
	v_div_scale_f64 v[172:173], vcc_lo, v[164:165], v[162:163], v[164:165]
	v_rcp_f64_e32 v[168:169], v[166:167]
	v_fma_f64 v[170:171], -v[166:167], v[168:169], 1.0
	v_fma_f64 v[168:169], v[168:169], v[170:171], v[168:169]
	v_fma_f64 v[170:171], -v[166:167], v[168:169], 1.0
	v_fma_f64 v[168:169], v[168:169], v[170:171], v[168:169]
	v_mul_f64 v[170:171], v[172:173], v[168:169]
	v_fma_f64 v[166:167], -v[166:167], v[170:171], v[172:173]
	v_div_fmas_f64 v[166:167], v[166:167], v[168:169], v[170:171]
	v_div_fixup_f64 v[168:169], v[166:167], v[162:163], v[164:165]
	v_fma_f64 v[162:163], v[164:165], v[168:169], v[162:163]
	v_div_scale_f64 v[164:165], null, v[162:163], v[162:163], 1.0
	v_rcp_f64_e32 v[166:167], v[164:165]
	v_fma_f64 v[170:171], -v[164:165], v[166:167], 1.0
	v_fma_f64 v[166:167], v[166:167], v[170:171], v[166:167]
	v_fma_f64 v[170:171], -v[164:165], v[166:167], 1.0
	v_fma_f64 v[166:167], v[166:167], v[170:171], v[166:167]
	v_div_scale_f64 v[170:171], vcc_lo, 1.0, v[162:163], 1.0
	v_mul_f64 v[172:173], v[170:171], v[166:167]
	v_fma_f64 v[164:165], -v[164:165], v[172:173], v[170:171]
	v_div_fmas_f64 v[164:165], v[164:165], v[166:167], v[172:173]
	v_div_fixup_f64 v[166:167], v[164:165], v[162:163], 1.0
	v_mul_f64 v[168:169], v[168:169], -v[166:167]
.LBB61_88:
	s_or_b32 exec_lo, exec_lo, s1
	ds_write2_b64 v5, v[166:167], v[168:169] offset1:1
.LBB61_89:
	s_or_b32 exec_lo, exec_lo, s2
	s_waitcnt lgkmcnt(0)
	s_barrier
	buffer_gl0_inv
	ds_read2_b64 v[162:165], v5 offset1:1
	s_mov_b32 s1, exec_lo
	v_cmpx_lt_u32_e32 9, v0
	s_cbranch_execz .LBB61_91
; %bb.90:
	s_waitcnt lgkmcnt(0)
	v_mul_f64 v[166:167], v[164:165], v[88:89]
	v_mul_f64 v[88:89], v[162:163], v[88:89]
	ds_read2_b64 v[168:171], v250 offset0:20 offset1:21
	v_fma_f64 v[166:167], v[162:163], v[86:87], -v[166:167]
	v_fma_f64 v[88:89], v[164:165], v[86:87], v[88:89]
	s_waitcnt lgkmcnt(0)
	v_mul_f64 v[86:87], v[170:171], v[88:89]
	v_fma_f64 v[86:87], v[168:169], v[166:167], -v[86:87]
	v_mul_f64 v[168:169], v[168:169], v[88:89]
	v_add_f64 v[82:83], v[82:83], -v[86:87]
	v_fma_f64 v[168:169], v[170:171], v[166:167], v[168:169]
	v_add_f64 v[84:85], v[84:85], -v[168:169]
	ds_read2_b64 v[168:171], v250 offset0:22 offset1:23
	s_waitcnt lgkmcnt(0)
	v_mul_f64 v[86:87], v[170:171], v[88:89]
	v_fma_f64 v[86:87], v[168:169], v[166:167], -v[86:87]
	v_mul_f64 v[168:169], v[168:169], v[88:89]
	v_add_f64 v[78:79], v[78:79], -v[86:87]
	v_fma_f64 v[168:169], v[170:171], v[166:167], v[168:169]
	v_add_f64 v[80:81], v[80:81], -v[168:169]
	ds_read2_b64 v[168:171], v250 offset0:24 offset1:25
	;; [unrolled: 8-line block ×20, first 2 shown]
	s_waitcnt lgkmcnt(0)
	v_mul_f64 v[86:87], v[170:171], v[88:89]
	v_fma_f64 v[86:87], v[168:169], v[166:167], -v[86:87]
	v_mul_f64 v[168:169], v[168:169], v[88:89]
	v_add_f64 v[1:2], v[1:2], -v[86:87]
	v_fma_f64 v[168:169], v[170:171], v[166:167], v[168:169]
	v_mov_b32_e32 v86, v166
	v_mov_b32_e32 v87, v167
	v_add_f64 v[3:4], v[3:4], -v[168:169]
.LBB61_91:
	s_or_b32 exec_lo, exec_lo, s1
	s_mov_b32 s2, exec_lo
	s_waitcnt lgkmcnt(0)
	s_barrier
	buffer_gl0_inv
	v_cmpx_eq_u32_e32 10, v0
	s_cbranch_execz .LBB61_98
; %bb.92:
	ds_write2_b64 v5, v[82:83], v[84:85] offset1:1
	ds_write2_b64 v250, v[78:79], v[80:81] offset0:22 offset1:23
	ds_write2_b64 v250, v[74:75], v[76:77] offset0:24 offset1:25
	;; [unrolled: 1-line block ×20, first 2 shown]
	ds_read2_b64 v[166:169], v5 offset1:1
	s_waitcnt lgkmcnt(0)
	v_cmp_neq_f64_e32 vcc_lo, 0, v[166:167]
	v_cmp_neq_f64_e64 s1, 0, v[168:169]
	s_or_b32 s1, vcc_lo, s1
	s_and_b32 exec_lo, exec_lo, s1
	s_cbranch_execz .LBB61_98
; %bb.93:
	v_cmp_ngt_f64_e64 s1, |v[166:167]|, |v[168:169]|
                                        ; implicit-def: $vgpr170_vgpr171
	s_and_saveexec_b32 s3, s1
	s_xor_b32 s1, exec_lo, s3
                                        ; implicit-def: $vgpr172_vgpr173
	s_cbranch_execz .LBB61_95
; %bb.94:
	v_div_scale_f64 v[170:171], null, v[168:169], v[168:169], v[166:167]
	v_div_scale_f64 v[176:177], vcc_lo, v[166:167], v[168:169], v[166:167]
	v_rcp_f64_e32 v[172:173], v[170:171]
	v_fma_f64 v[174:175], -v[170:171], v[172:173], 1.0
	v_fma_f64 v[172:173], v[172:173], v[174:175], v[172:173]
	v_fma_f64 v[174:175], -v[170:171], v[172:173], 1.0
	v_fma_f64 v[172:173], v[172:173], v[174:175], v[172:173]
	v_mul_f64 v[174:175], v[176:177], v[172:173]
	v_fma_f64 v[170:171], -v[170:171], v[174:175], v[176:177]
	v_div_fmas_f64 v[170:171], v[170:171], v[172:173], v[174:175]
	v_div_fixup_f64 v[170:171], v[170:171], v[168:169], v[166:167]
	v_fma_f64 v[166:167], v[166:167], v[170:171], v[168:169]
	v_div_scale_f64 v[168:169], null, v[166:167], v[166:167], 1.0
	v_rcp_f64_e32 v[172:173], v[168:169]
	v_fma_f64 v[174:175], -v[168:169], v[172:173], 1.0
	v_fma_f64 v[172:173], v[172:173], v[174:175], v[172:173]
	v_fma_f64 v[174:175], -v[168:169], v[172:173], 1.0
	v_fma_f64 v[172:173], v[172:173], v[174:175], v[172:173]
	v_div_scale_f64 v[174:175], vcc_lo, 1.0, v[166:167], 1.0
	v_mul_f64 v[176:177], v[174:175], v[172:173]
	v_fma_f64 v[168:169], -v[168:169], v[176:177], v[174:175]
	v_div_fmas_f64 v[168:169], v[168:169], v[172:173], v[176:177]
	v_div_fixup_f64 v[172:173], v[168:169], v[166:167], 1.0
                                        ; implicit-def: $vgpr166_vgpr167
	v_mul_f64 v[170:171], v[170:171], v[172:173]
	v_xor_b32_e32 v173, 0x80000000, v173
.LBB61_95:
	s_andn2_saveexec_b32 s1, s1
	s_cbranch_execz .LBB61_97
; %bb.96:
	v_div_scale_f64 v[170:171], null, v[166:167], v[166:167], v[168:169]
	v_div_scale_f64 v[176:177], vcc_lo, v[168:169], v[166:167], v[168:169]
	v_rcp_f64_e32 v[172:173], v[170:171]
	v_fma_f64 v[174:175], -v[170:171], v[172:173], 1.0
	v_fma_f64 v[172:173], v[172:173], v[174:175], v[172:173]
	v_fma_f64 v[174:175], -v[170:171], v[172:173], 1.0
	v_fma_f64 v[172:173], v[172:173], v[174:175], v[172:173]
	v_mul_f64 v[174:175], v[176:177], v[172:173]
	v_fma_f64 v[170:171], -v[170:171], v[174:175], v[176:177]
	v_div_fmas_f64 v[170:171], v[170:171], v[172:173], v[174:175]
	v_div_fixup_f64 v[172:173], v[170:171], v[166:167], v[168:169]
	v_fma_f64 v[166:167], v[168:169], v[172:173], v[166:167]
	v_div_scale_f64 v[168:169], null, v[166:167], v[166:167], 1.0
	v_rcp_f64_e32 v[170:171], v[168:169]
	v_fma_f64 v[174:175], -v[168:169], v[170:171], 1.0
	v_fma_f64 v[170:171], v[170:171], v[174:175], v[170:171]
	v_fma_f64 v[174:175], -v[168:169], v[170:171], 1.0
	v_fma_f64 v[170:171], v[170:171], v[174:175], v[170:171]
	v_div_scale_f64 v[174:175], vcc_lo, 1.0, v[166:167], 1.0
	v_mul_f64 v[176:177], v[174:175], v[170:171]
	v_fma_f64 v[168:169], -v[168:169], v[176:177], v[174:175]
	v_div_fmas_f64 v[168:169], v[168:169], v[170:171], v[176:177]
	v_div_fixup_f64 v[170:171], v[168:169], v[166:167], 1.0
	v_mul_f64 v[172:173], v[172:173], -v[170:171]
.LBB61_97:
	s_or_b32 exec_lo, exec_lo, s1
	ds_write2_b64 v5, v[170:171], v[172:173] offset1:1
.LBB61_98:
	s_or_b32 exec_lo, exec_lo, s2
	s_waitcnt lgkmcnt(0)
	s_barrier
	buffer_gl0_inv
	ds_read2_b64 v[166:169], v5 offset1:1
	s_mov_b32 s1, exec_lo
	v_cmpx_lt_u32_e32 10, v0
	s_cbranch_execz .LBB61_100
; %bb.99:
	s_waitcnt lgkmcnt(0)
	v_mul_f64 v[170:171], v[168:169], v[84:85]
	v_mul_f64 v[84:85], v[166:167], v[84:85]
	ds_read2_b64 v[172:175], v250 offset0:22 offset1:23
	v_fma_f64 v[170:171], v[166:167], v[82:83], -v[170:171]
	v_fma_f64 v[84:85], v[168:169], v[82:83], v[84:85]
	s_waitcnt lgkmcnt(0)
	v_mul_f64 v[82:83], v[174:175], v[84:85]
	v_fma_f64 v[82:83], v[172:173], v[170:171], -v[82:83]
	v_mul_f64 v[172:173], v[172:173], v[84:85]
	v_add_f64 v[78:79], v[78:79], -v[82:83]
	v_fma_f64 v[172:173], v[174:175], v[170:171], v[172:173]
	v_add_f64 v[80:81], v[80:81], -v[172:173]
	ds_read2_b64 v[172:175], v250 offset0:24 offset1:25
	s_waitcnt lgkmcnt(0)
	v_mul_f64 v[82:83], v[174:175], v[84:85]
	v_fma_f64 v[82:83], v[172:173], v[170:171], -v[82:83]
	v_mul_f64 v[172:173], v[172:173], v[84:85]
	v_add_f64 v[74:75], v[74:75], -v[82:83]
	v_fma_f64 v[172:173], v[174:175], v[170:171], v[172:173]
	v_add_f64 v[76:77], v[76:77], -v[172:173]
	ds_read2_b64 v[172:175], v250 offset0:26 offset1:27
	;; [unrolled: 8-line block ×19, first 2 shown]
	s_waitcnt lgkmcnt(0)
	v_mul_f64 v[82:83], v[174:175], v[84:85]
	v_fma_f64 v[82:83], v[172:173], v[170:171], -v[82:83]
	v_mul_f64 v[172:173], v[172:173], v[84:85]
	v_add_f64 v[1:2], v[1:2], -v[82:83]
	v_fma_f64 v[172:173], v[174:175], v[170:171], v[172:173]
	v_mov_b32_e32 v82, v170
	v_mov_b32_e32 v83, v171
	v_add_f64 v[3:4], v[3:4], -v[172:173]
.LBB61_100:
	s_or_b32 exec_lo, exec_lo, s1
	s_mov_b32 s2, exec_lo
	s_waitcnt lgkmcnt(0)
	s_barrier
	buffer_gl0_inv
	v_cmpx_eq_u32_e32 11, v0
	s_cbranch_execz .LBB61_107
; %bb.101:
	ds_write2_b64 v5, v[78:79], v[80:81] offset1:1
	ds_write2_b64 v250, v[74:75], v[76:77] offset0:24 offset1:25
	ds_write2_b64 v250, v[70:71], v[72:73] offset0:26 offset1:27
	;; [unrolled: 1-line block ×19, first 2 shown]
	ds_read2_b64 v[170:173], v5 offset1:1
	s_waitcnt lgkmcnt(0)
	v_cmp_neq_f64_e32 vcc_lo, 0, v[170:171]
	v_cmp_neq_f64_e64 s1, 0, v[172:173]
	s_or_b32 s1, vcc_lo, s1
	s_and_b32 exec_lo, exec_lo, s1
	s_cbranch_execz .LBB61_107
; %bb.102:
	v_cmp_ngt_f64_e64 s1, |v[170:171]|, |v[172:173]|
                                        ; implicit-def: $vgpr174_vgpr175
	s_and_saveexec_b32 s3, s1
	s_xor_b32 s1, exec_lo, s3
                                        ; implicit-def: $vgpr176_vgpr177
	s_cbranch_execz .LBB61_104
; %bb.103:
	v_div_scale_f64 v[174:175], null, v[172:173], v[172:173], v[170:171]
	v_div_scale_f64 v[180:181], vcc_lo, v[170:171], v[172:173], v[170:171]
	v_rcp_f64_e32 v[176:177], v[174:175]
	v_fma_f64 v[178:179], -v[174:175], v[176:177], 1.0
	v_fma_f64 v[176:177], v[176:177], v[178:179], v[176:177]
	v_fma_f64 v[178:179], -v[174:175], v[176:177], 1.0
	v_fma_f64 v[176:177], v[176:177], v[178:179], v[176:177]
	v_mul_f64 v[178:179], v[180:181], v[176:177]
	v_fma_f64 v[174:175], -v[174:175], v[178:179], v[180:181]
	v_div_fmas_f64 v[174:175], v[174:175], v[176:177], v[178:179]
	v_div_fixup_f64 v[174:175], v[174:175], v[172:173], v[170:171]
	v_fma_f64 v[170:171], v[170:171], v[174:175], v[172:173]
	v_div_scale_f64 v[172:173], null, v[170:171], v[170:171], 1.0
	v_rcp_f64_e32 v[176:177], v[172:173]
	v_fma_f64 v[178:179], -v[172:173], v[176:177], 1.0
	v_fma_f64 v[176:177], v[176:177], v[178:179], v[176:177]
	v_fma_f64 v[178:179], -v[172:173], v[176:177], 1.0
	v_fma_f64 v[176:177], v[176:177], v[178:179], v[176:177]
	v_div_scale_f64 v[178:179], vcc_lo, 1.0, v[170:171], 1.0
	v_mul_f64 v[180:181], v[178:179], v[176:177]
	v_fma_f64 v[172:173], -v[172:173], v[180:181], v[178:179]
	v_div_fmas_f64 v[172:173], v[172:173], v[176:177], v[180:181]
	v_div_fixup_f64 v[176:177], v[172:173], v[170:171], 1.0
                                        ; implicit-def: $vgpr170_vgpr171
	v_mul_f64 v[174:175], v[174:175], v[176:177]
	v_xor_b32_e32 v177, 0x80000000, v177
.LBB61_104:
	s_andn2_saveexec_b32 s1, s1
	s_cbranch_execz .LBB61_106
; %bb.105:
	v_div_scale_f64 v[174:175], null, v[170:171], v[170:171], v[172:173]
	v_div_scale_f64 v[180:181], vcc_lo, v[172:173], v[170:171], v[172:173]
	v_rcp_f64_e32 v[176:177], v[174:175]
	v_fma_f64 v[178:179], -v[174:175], v[176:177], 1.0
	v_fma_f64 v[176:177], v[176:177], v[178:179], v[176:177]
	v_fma_f64 v[178:179], -v[174:175], v[176:177], 1.0
	v_fma_f64 v[176:177], v[176:177], v[178:179], v[176:177]
	v_mul_f64 v[178:179], v[180:181], v[176:177]
	v_fma_f64 v[174:175], -v[174:175], v[178:179], v[180:181]
	v_div_fmas_f64 v[174:175], v[174:175], v[176:177], v[178:179]
	v_div_fixup_f64 v[176:177], v[174:175], v[170:171], v[172:173]
	v_fma_f64 v[170:171], v[172:173], v[176:177], v[170:171]
	v_div_scale_f64 v[172:173], null, v[170:171], v[170:171], 1.0
	v_rcp_f64_e32 v[174:175], v[172:173]
	v_fma_f64 v[178:179], -v[172:173], v[174:175], 1.0
	v_fma_f64 v[174:175], v[174:175], v[178:179], v[174:175]
	v_fma_f64 v[178:179], -v[172:173], v[174:175], 1.0
	v_fma_f64 v[174:175], v[174:175], v[178:179], v[174:175]
	v_div_scale_f64 v[178:179], vcc_lo, 1.0, v[170:171], 1.0
	v_mul_f64 v[180:181], v[178:179], v[174:175]
	v_fma_f64 v[172:173], -v[172:173], v[180:181], v[178:179]
	v_div_fmas_f64 v[172:173], v[172:173], v[174:175], v[180:181]
	v_div_fixup_f64 v[174:175], v[172:173], v[170:171], 1.0
	v_mul_f64 v[176:177], v[176:177], -v[174:175]
.LBB61_106:
	s_or_b32 exec_lo, exec_lo, s1
	ds_write2_b64 v5, v[174:175], v[176:177] offset1:1
.LBB61_107:
	s_or_b32 exec_lo, exec_lo, s2
	s_waitcnt lgkmcnt(0)
	s_barrier
	buffer_gl0_inv
	ds_read2_b64 v[170:173], v5 offset1:1
	s_mov_b32 s1, exec_lo
	v_cmpx_lt_u32_e32 11, v0
	s_cbranch_execz .LBB61_109
; %bb.108:
	s_waitcnt lgkmcnt(0)
	v_mul_f64 v[174:175], v[172:173], v[80:81]
	v_mul_f64 v[80:81], v[170:171], v[80:81]
	ds_read2_b64 v[176:179], v250 offset0:24 offset1:25
	v_fma_f64 v[174:175], v[170:171], v[78:79], -v[174:175]
	v_fma_f64 v[80:81], v[172:173], v[78:79], v[80:81]
	s_waitcnt lgkmcnt(0)
	v_mul_f64 v[78:79], v[178:179], v[80:81]
	v_fma_f64 v[78:79], v[176:177], v[174:175], -v[78:79]
	v_mul_f64 v[176:177], v[176:177], v[80:81]
	v_add_f64 v[74:75], v[74:75], -v[78:79]
	v_fma_f64 v[176:177], v[178:179], v[174:175], v[176:177]
	v_add_f64 v[76:77], v[76:77], -v[176:177]
	ds_read2_b64 v[176:179], v250 offset0:26 offset1:27
	s_waitcnt lgkmcnt(0)
	v_mul_f64 v[78:79], v[178:179], v[80:81]
	v_fma_f64 v[78:79], v[176:177], v[174:175], -v[78:79]
	v_mul_f64 v[176:177], v[176:177], v[80:81]
	v_add_f64 v[70:71], v[70:71], -v[78:79]
	v_fma_f64 v[176:177], v[178:179], v[174:175], v[176:177]
	v_add_f64 v[72:73], v[72:73], -v[176:177]
	ds_read2_b64 v[176:179], v250 offset0:28 offset1:29
	;; [unrolled: 8-line block ×18, first 2 shown]
	s_waitcnt lgkmcnt(0)
	v_mul_f64 v[78:79], v[178:179], v[80:81]
	v_fma_f64 v[78:79], v[176:177], v[174:175], -v[78:79]
	v_mul_f64 v[176:177], v[176:177], v[80:81]
	v_add_f64 v[1:2], v[1:2], -v[78:79]
	v_fma_f64 v[176:177], v[178:179], v[174:175], v[176:177]
	v_mov_b32_e32 v78, v174
	v_mov_b32_e32 v79, v175
	v_add_f64 v[3:4], v[3:4], -v[176:177]
.LBB61_109:
	s_or_b32 exec_lo, exec_lo, s1
	s_mov_b32 s2, exec_lo
	s_waitcnt lgkmcnt(0)
	s_barrier
	buffer_gl0_inv
	v_cmpx_eq_u32_e32 12, v0
	s_cbranch_execz .LBB61_116
; %bb.110:
	ds_write2_b64 v5, v[74:75], v[76:77] offset1:1
	ds_write2_b64 v250, v[70:71], v[72:73] offset0:26 offset1:27
	ds_write2_b64 v250, v[66:67], v[68:69] offset0:28 offset1:29
	;; [unrolled: 1-line block ×18, first 2 shown]
	ds_read2_b64 v[174:177], v5 offset1:1
	s_waitcnt lgkmcnt(0)
	v_cmp_neq_f64_e32 vcc_lo, 0, v[174:175]
	v_cmp_neq_f64_e64 s1, 0, v[176:177]
	s_or_b32 s1, vcc_lo, s1
	s_and_b32 exec_lo, exec_lo, s1
	s_cbranch_execz .LBB61_116
; %bb.111:
	v_cmp_ngt_f64_e64 s1, |v[174:175]|, |v[176:177]|
                                        ; implicit-def: $vgpr178_vgpr179
	s_and_saveexec_b32 s3, s1
	s_xor_b32 s1, exec_lo, s3
                                        ; implicit-def: $vgpr180_vgpr181
	s_cbranch_execz .LBB61_113
; %bb.112:
	v_div_scale_f64 v[178:179], null, v[176:177], v[176:177], v[174:175]
	v_div_scale_f64 v[184:185], vcc_lo, v[174:175], v[176:177], v[174:175]
	v_rcp_f64_e32 v[180:181], v[178:179]
	v_fma_f64 v[182:183], -v[178:179], v[180:181], 1.0
	v_fma_f64 v[180:181], v[180:181], v[182:183], v[180:181]
	v_fma_f64 v[182:183], -v[178:179], v[180:181], 1.0
	v_fma_f64 v[180:181], v[180:181], v[182:183], v[180:181]
	v_mul_f64 v[182:183], v[184:185], v[180:181]
	v_fma_f64 v[178:179], -v[178:179], v[182:183], v[184:185]
	v_div_fmas_f64 v[178:179], v[178:179], v[180:181], v[182:183]
	v_div_fixup_f64 v[178:179], v[178:179], v[176:177], v[174:175]
	v_fma_f64 v[174:175], v[174:175], v[178:179], v[176:177]
	v_div_scale_f64 v[176:177], null, v[174:175], v[174:175], 1.0
	v_rcp_f64_e32 v[180:181], v[176:177]
	v_fma_f64 v[182:183], -v[176:177], v[180:181], 1.0
	v_fma_f64 v[180:181], v[180:181], v[182:183], v[180:181]
	v_fma_f64 v[182:183], -v[176:177], v[180:181], 1.0
	v_fma_f64 v[180:181], v[180:181], v[182:183], v[180:181]
	v_div_scale_f64 v[182:183], vcc_lo, 1.0, v[174:175], 1.0
	v_mul_f64 v[184:185], v[182:183], v[180:181]
	v_fma_f64 v[176:177], -v[176:177], v[184:185], v[182:183]
	v_div_fmas_f64 v[176:177], v[176:177], v[180:181], v[184:185]
	v_div_fixup_f64 v[180:181], v[176:177], v[174:175], 1.0
                                        ; implicit-def: $vgpr174_vgpr175
	v_mul_f64 v[178:179], v[178:179], v[180:181]
	v_xor_b32_e32 v181, 0x80000000, v181
.LBB61_113:
	s_andn2_saveexec_b32 s1, s1
	s_cbranch_execz .LBB61_115
; %bb.114:
	v_div_scale_f64 v[178:179], null, v[174:175], v[174:175], v[176:177]
	v_div_scale_f64 v[184:185], vcc_lo, v[176:177], v[174:175], v[176:177]
	v_rcp_f64_e32 v[180:181], v[178:179]
	v_fma_f64 v[182:183], -v[178:179], v[180:181], 1.0
	v_fma_f64 v[180:181], v[180:181], v[182:183], v[180:181]
	v_fma_f64 v[182:183], -v[178:179], v[180:181], 1.0
	v_fma_f64 v[180:181], v[180:181], v[182:183], v[180:181]
	v_mul_f64 v[182:183], v[184:185], v[180:181]
	v_fma_f64 v[178:179], -v[178:179], v[182:183], v[184:185]
	v_div_fmas_f64 v[178:179], v[178:179], v[180:181], v[182:183]
	v_div_fixup_f64 v[180:181], v[178:179], v[174:175], v[176:177]
	v_fma_f64 v[174:175], v[176:177], v[180:181], v[174:175]
	v_div_scale_f64 v[176:177], null, v[174:175], v[174:175], 1.0
	v_rcp_f64_e32 v[178:179], v[176:177]
	v_fma_f64 v[182:183], -v[176:177], v[178:179], 1.0
	v_fma_f64 v[178:179], v[178:179], v[182:183], v[178:179]
	v_fma_f64 v[182:183], -v[176:177], v[178:179], 1.0
	v_fma_f64 v[178:179], v[178:179], v[182:183], v[178:179]
	v_div_scale_f64 v[182:183], vcc_lo, 1.0, v[174:175], 1.0
	v_mul_f64 v[184:185], v[182:183], v[178:179]
	v_fma_f64 v[176:177], -v[176:177], v[184:185], v[182:183]
	v_div_fmas_f64 v[176:177], v[176:177], v[178:179], v[184:185]
	v_div_fixup_f64 v[178:179], v[176:177], v[174:175], 1.0
	v_mul_f64 v[180:181], v[180:181], -v[178:179]
.LBB61_115:
	s_or_b32 exec_lo, exec_lo, s1
	ds_write2_b64 v5, v[178:179], v[180:181] offset1:1
.LBB61_116:
	s_or_b32 exec_lo, exec_lo, s2
	s_waitcnt lgkmcnt(0)
	s_barrier
	buffer_gl0_inv
	ds_read2_b64 v[174:177], v5 offset1:1
	s_mov_b32 s1, exec_lo
	v_cmpx_lt_u32_e32 12, v0
	s_cbranch_execz .LBB61_118
; %bb.117:
	s_waitcnt lgkmcnt(0)
	v_mul_f64 v[178:179], v[176:177], v[76:77]
	v_mul_f64 v[76:77], v[174:175], v[76:77]
	ds_read2_b64 v[180:183], v250 offset0:26 offset1:27
	v_fma_f64 v[178:179], v[174:175], v[74:75], -v[178:179]
	v_fma_f64 v[76:77], v[176:177], v[74:75], v[76:77]
	s_waitcnt lgkmcnt(0)
	v_mul_f64 v[74:75], v[182:183], v[76:77]
	v_fma_f64 v[74:75], v[180:181], v[178:179], -v[74:75]
	v_mul_f64 v[180:181], v[180:181], v[76:77]
	v_add_f64 v[70:71], v[70:71], -v[74:75]
	v_fma_f64 v[180:181], v[182:183], v[178:179], v[180:181]
	v_add_f64 v[72:73], v[72:73], -v[180:181]
	ds_read2_b64 v[180:183], v250 offset0:28 offset1:29
	s_waitcnt lgkmcnt(0)
	v_mul_f64 v[74:75], v[182:183], v[76:77]
	v_fma_f64 v[74:75], v[180:181], v[178:179], -v[74:75]
	v_mul_f64 v[180:181], v[180:181], v[76:77]
	v_add_f64 v[66:67], v[66:67], -v[74:75]
	v_fma_f64 v[180:181], v[182:183], v[178:179], v[180:181]
	v_add_f64 v[68:69], v[68:69], -v[180:181]
	ds_read2_b64 v[180:183], v250 offset0:30 offset1:31
	s_waitcnt lgkmcnt(0)
	v_mul_f64 v[74:75], v[182:183], v[76:77]
	v_fma_f64 v[74:75], v[180:181], v[178:179], -v[74:75]
	v_mul_f64 v[180:181], v[180:181], v[76:77]
	v_add_f64 v[62:63], v[62:63], -v[74:75]
	v_fma_f64 v[180:181], v[182:183], v[178:179], v[180:181]
	v_add_f64 v[64:65], v[64:65], -v[180:181]
	ds_read2_b64 v[180:183], v250 offset0:32 offset1:33
	s_waitcnt lgkmcnt(0)
	v_mul_f64 v[74:75], v[182:183], v[76:77]
	v_fma_f64 v[74:75], v[180:181], v[178:179], -v[74:75]
	v_mul_f64 v[180:181], v[180:181], v[76:77]
	v_add_f64 v[58:59], v[58:59], -v[74:75]
	v_fma_f64 v[180:181], v[182:183], v[178:179], v[180:181]
	v_add_f64 v[60:61], v[60:61], -v[180:181]
	ds_read2_b64 v[180:183], v250 offset0:34 offset1:35
	s_waitcnt lgkmcnt(0)
	v_mul_f64 v[74:75], v[182:183], v[76:77]
	v_fma_f64 v[74:75], v[180:181], v[178:179], -v[74:75]
	v_mul_f64 v[180:181], v[180:181], v[76:77]
	v_add_f64 v[54:55], v[54:55], -v[74:75]
	v_fma_f64 v[180:181], v[182:183], v[178:179], v[180:181]
	v_add_f64 v[56:57], v[56:57], -v[180:181]
	ds_read2_b64 v[180:183], v250 offset0:36 offset1:37
	s_waitcnt lgkmcnt(0)
	v_mul_f64 v[74:75], v[182:183], v[76:77]
	v_fma_f64 v[74:75], v[180:181], v[178:179], -v[74:75]
	v_mul_f64 v[180:181], v[180:181], v[76:77]
	v_add_f64 v[50:51], v[50:51], -v[74:75]
	v_fma_f64 v[180:181], v[182:183], v[178:179], v[180:181]
	v_add_f64 v[52:53], v[52:53], -v[180:181]
	ds_read2_b64 v[180:183], v250 offset0:38 offset1:39
	s_waitcnt lgkmcnt(0)
	v_mul_f64 v[74:75], v[182:183], v[76:77]
	v_fma_f64 v[74:75], v[180:181], v[178:179], -v[74:75]
	v_mul_f64 v[180:181], v[180:181], v[76:77]
	v_add_f64 v[46:47], v[46:47], -v[74:75]
	v_fma_f64 v[180:181], v[182:183], v[178:179], v[180:181]
	v_add_f64 v[48:49], v[48:49], -v[180:181]
	ds_read2_b64 v[180:183], v250 offset0:40 offset1:41
	s_waitcnt lgkmcnt(0)
	v_mul_f64 v[74:75], v[182:183], v[76:77]
	v_fma_f64 v[74:75], v[180:181], v[178:179], -v[74:75]
	v_mul_f64 v[180:181], v[180:181], v[76:77]
	v_add_f64 v[42:43], v[42:43], -v[74:75]
	v_fma_f64 v[180:181], v[182:183], v[178:179], v[180:181]
	v_add_f64 v[44:45], v[44:45], -v[180:181]
	ds_read2_b64 v[180:183], v250 offset0:42 offset1:43
	s_waitcnt lgkmcnt(0)
	v_mul_f64 v[74:75], v[182:183], v[76:77]
	v_fma_f64 v[74:75], v[180:181], v[178:179], -v[74:75]
	v_mul_f64 v[180:181], v[180:181], v[76:77]
	v_add_f64 v[38:39], v[38:39], -v[74:75]
	v_fma_f64 v[180:181], v[182:183], v[178:179], v[180:181]
	v_add_f64 v[40:41], v[40:41], -v[180:181]
	ds_read2_b64 v[180:183], v250 offset0:44 offset1:45
	s_waitcnt lgkmcnt(0)
	v_mul_f64 v[74:75], v[182:183], v[76:77]
	v_fma_f64 v[74:75], v[180:181], v[178:179], -v[74:75]
	v_mul_f64 v[180:181], v[180:181], v[76:77]
	v_add_f64 v[34:35], v[34:35], -v[74:75]
	v_fma_f64 v[180:181], v[182:183], v[178:179], v[180:181]
	v_add_f64 v[36:37], v[36:37], -v[180:181]
	ds_read2_b64 v[180:183], v250 offset0:46 offset1:47
	s_waitcnt lgkmcnt(0)
	v_mul_f64 v[74:75], v[182:183], v[76:77]
	v_fma_f64 v[74:75], v[180:181], v[178:179], -v[74:75]
	v_mul_f64 v[180:181], v[180:181], v[76:77]
	v_add_f64 v[30:31], v[30:31], -v[74:75]
	v_fma_f64 v[180:181], v[182:183], v[178:179], v[180:181]
	v_add_f64 v[32:33], v[32:33], -v[180:181]
	ds_read2_b64 v[180:183], v250 offset0:48 offset1:49
	s_waitcnt lgkmcnt(0)
	v_mul_f64 v[74:75], v[182:183], v[76:77]
	v_fma_f64 v[74:75], v[180:181], v[178:179], -v[74:75]
	v_mul_f64 v[180:181], v[180:181], v[76:77]
	v_add_f64 v[26:27], v[26:27], -v[74:75]
	v_fma_f64 v[180:181], v[182:183], v[178:179], v[180:181]
	v_add_f64 v[28:29], v[28:29], -v[180:181]
	ds_read2_b64 v[180:183], v250 offset0:50 offset1:51
	s_waitcnt lgkmcnt(0)
	v_mul_f64 v[74:75], v[182:183], v[76:77]
	v_fma_f64 v[74:75], v[180:181], v[178:179], -v[74:75]
	v_mul_f64 v[180:181], v[180:181], v[76:77]
	v_add_f64 v[22:23], v[22:23], -v[74:75]
	v_fma_f64 v[180:181], v[182:183], v[178:179], v[180:181]
	v_add_f64 v[24:25], v[24:25], -v[180:181]
	ds_read2_b64 v[180:183], v250 offset0:52 offset1:53
	s_waitcnt lgkmcnt(0)
	v_mul_f64 v[74:75], v[182:183], v[76:77]
	v_fma_f64 v[74:75], v[180:181], v[178:179], -v[74:75]
	v_mul_f64 v[180:181], v[180:181], v[76:77]
	v_add_f64 v[18:19], v[18:19], -v[74:75]
	v_fma_f64 v[180:181], v[182:183], v[178:179], v[180:181]
	v_add_f64 v[20:21], v[20:21], -v[180:181]
	ds_read2_b64 v[180:183], v250 offset0:54 offset1:55
	s_waitcnt lgkmcnt(0)
	v_mul_f64 v[74:75], v[182:183], v[76:77]
	v_fma_f64 v[74:75], v[180:181], v[178:179], -v[74:75]
	v_mul_f64 v[180:181], v[180:181], v[76:77]
	v_add_f64 v[14:15], v[14:15], -v[74:75]
	v_fma_f64 v[180:181], v[182:183], v[178:179], v[180:181]
	v_add_f64 v[16:17], v[16:17], -v[180:181]
	ds_read2_b64 v[180:183], v250 offset0:56 offset1:57
	s_waitcnt lgkmcnt(0)
	v_mul_f64 v[74:75], v[182:183], v[76:77]
	v_fma_f64 v[74:75], v[180:181], v[178:179], -v[74:75]
	v_mul_f64 v[180:181], v[180:181], v[76:77]
	v_add_f64 v[10:11], v[10:11], -v[74:75]
	v_fma_f64 v[180:181], v[182:183], v[178:179], v[180:181]
	v_add_f64 v[12:13], v[12:13], -v[180:181]
	ds_read2_b64 v[180:183], v250 offset0:58 offset1:59
	s_waitcnt lgkmcnt(0)
	v_mul_f64 v[74:75], v[182:183], v[76:77]
	v_fma_f64 v[74:75], v[180:181], v[178:179], -v[74:75]
	v_mul_f64 v[180:181], v[180:181], v[76:77]
	v_add_f64 v[6:7], v[6:7], -v[74:75]
	v_fma_f64 v[180:181], v[182:183], v[178:179], v[180:181]
	v_add_f64 v[8:9], v[8:9], -v[180:181]
	ds_read2_b64 v[180:183], v250 offset0:60 offset1:61
	s_waitcnt lgkmcnt(0)
	v_mul_f64 v[74:75], v[182:183], v[76:77]
	v_fma_f64 v[74:75], v[180:181], v[178:179], -v[74:75]
	v_mul_f64 v[180:181], v[180:181], v[76:77]
	v_add_f64 v[1:2], v[1:2], -v[74:75]
	v_fma_f64 v[180:181], v[182:183], v[178:179], v[180:181]
	v_mov_b32_e32 v74, v178
	v_mov_b32_e32 v75, v179
	v_add_f64 v[3:4], v[3:4], -v[180:181]
.LBB61_118:
	s_or_b32 exec_lo, exec_lo, s1
	s_mov_b32 s2, exec_lo
	s_waitcnt lgkmcnt(0)
	s_barrier
	buffer_gl0_inv
	v_cmpx_eq_u32_e32 13, v0
	s_cbranch_execz .LBB61_125
; %bb.119:
	ds_write2_b64 v5, v[70:71], v[72:73] offset1:1
	ds_write2_b64 v250, v[66:67], v[68:69] offset0:28 offset1:29
	ds_write2_b64 v250, v[62:63], v[64:65] offset0:30 offset1:31
	;; [unrolled: 1-line block ×17, first 2 shown]
	ds_read2_b64 v[178:181], v5 offset1:1
	s_waitcnt lgkmcnt(0)
	v_cmp_neq_f64_e32 vcc_lo, 0, v[178:179]
	v_cmp_neq_f64_e64 s1, 0, v[180:181]
	s_or_b32 s1, vcc_lo, s1
	s_and_b32 exec_lo, exec_lo, s1
	s_cbranch_execz .LBB61_125
; %bb.120:
	v_cmp_ngt_f64_e64 s1, |v[178:179]|, |v[180:181]|
                                        ; implicit-def: $vgpr182_vgpr183
	s_and_saveexec_b32 s3, s1
	s_xor_b32 s1, exec_lo, s3
                                        ; implicit-def: $vgpr184_vgpr185
	s_cbranch_execz .LBB61_122
; %bb.121:
	v_div_scale_f64 v[182:183], null, v[180:181], v[180:181], v[178:179]
	v_div_scale_f64 v[188:189], vcc_lo, v[178:179], v[180:181], v[178:179]
	v_rcp_f64_e32 v[184:185], v[182:183]
	v_fma_f64 v[186:187], -v[182:183], v[184:185], 1.0
	v_fma_f64 v[184:185], v[184:185], v[186:187], v[184:185]
	v_fma_f64 v[186:187], -v[182:183], v[184:185], 1.0
	v_fma_f64 v[184:185], v[184:185], v[186:187], v[184:185]
	v_mul_f64 v[186:187], v[188:189], v[184:185]
	v_fma_f64 v[182:183], -v[182:183], v[186:187], v[188:189]
	v_div_fmas_f64 v[182:183], v[182:183], v[184:185], v[186:187]
	v_div_fixup_f64 v[182:183], v[182:183], v[180:181], v[178:179]
	v_fma_f64 v[178:179], v[178:179], v[182:183], v[180:181]
	v_div_scale_f64 v[180:181], null, v[178:179], v[178:179], 1.0
	v_rcp_f64_e32 v[184:185], v[180:181]
	v_fma_f64 v[186:187], -v[180:181], v[184:185], 1.0
	v_fma_f64 v[184:185], v[184:185], v[186:187], v[184:185]
	v_fma_f64 v[186:187], -v[180:181], v[184:185], 1.0
	v_fma_f64 v[184:185], v[184:185], v[186:187], v[184:185]
	v_div_scale_f64 v[186:187], vcc_lo, 1.0, v[178:179], 1.0
	v_mul_f64 v[188:189], v[186:187], v[184:185]
	v_fma_f64 v[180:181], -v[180:181], v[188:189], v[186:187]
	v_div_fmas_f64 v[180:181], v[180:181], v[184:185], v[188:189]
	v_div_fixup_f64 v[184:185], v[180:181], v[178:179], 1.0
                                        ; implicit-def: $vgpr178_vgpr179
	v_mul_f64 v[182:183], v[182:183], v[184:185]
	v_xor_b32_e32 v185, 0x80000000, v185
.LBB61_122:
	s_andn2_saveexec_b32 s1, s1
	s_cbranch_execz .LBB61_124
; %bb.123:
	v_div_scale_f64 v[182:183], null, v[178:179], v[178:179], v[180:181]
	v_div_scale_f64 v[188:189], vcc_lo, v[180:181], v[178:179], v[180:181]
	v_rcp_f64_e32 v[184:185], v[182:183]
	v_fma_f64 v[186:187], -v[182:183], v[184:185], 1.0
	v_fma_f64 v[184:185], v[184:185], v[186:187], v[184:185]
	v_fma_f64 v[186:187], -v[182:183], v[184:185], 1.0
	v_fma_f64 v[184:185], v[184:185], v[186:187], v[184:185]
	v_mul_f64 v[186:187], v[188:189], v[184:185]
	v_fma_f64 v[182:183], -v[182:183], v[186:187], v[188:189]
	v_div_fmas_f64 v[182:183], v[182:183], v[184:185], v[186:187]
	v_div_fixup_f64 v[184:185], v[182:183], v[178:179], v[180:181]
	v_fma_f64 v[178:179], v[180:181], v[184:185], v[178:179]
	v_div_scale_f64 v[180:181], null, v[178:179], v[178:179], 1.0
	v_rcp_f64_e32 v[182:183], v[180:181]
	v_fma_f64 v[186:187], -v[180:181], v[182:183], 1.0
	v_fma_f64 v[182:183], v[182:183], v[186:187], v[182:183]
	v_fma_f64 v[186:187], -v[180:181], v[182:183], 1.0
	v_fma_f64 v[182:183], v[182:183], v[186:187], v[182:183]
	v_div_scale_f64 v[186:187], vcc_lo, 1.0, v[178:179], 1.0
	v_mul_f64 v[188:189], v[186:187], v[182:183]
	v_fma_f64 v[180:181], -v[180:181], v[188:189], v[186:187]
	v_div_fmas_f64 v[180:181], v[180:181], v[182:183], v[188:189]
	v_div_fixup_f64 v[182:183], v[180:181], v[178:179], 1.0
	v_mul_f64 v[184:185], v[184:185], -v[182:183]
.LBB61_124:
	s_or_b32 exec_lo, exec_lo, s1
	ds_write2_b64 v5, v[182:183], v[184:185] offset1:1
.LBB61_125:
	s_or_b32 exec_lo, exec_lo, s2
	s_waitcnt lgkmcnt(0)
	s_barrier
	buffer_gl0_inv
	ds_read2_b64 v[178:181], v5 offset1:1
	s_mov_b32 s1, exec_lo
	v_cmpx_lt_u32_e32 13, v0
	s_cbranch_execz .LBB61_127
; %bb.126:
	s_waitcnt lgkmcnt(0)
	v_mul_f64 v[182:183], v[180:181], v[72:73]
	v_mul_f64 v[72:73], v[178:179], v[72:73]
	ds_read2_b64 v[184:187], v250 offset0:28 offset1:29
	v_fma_f64 v[182:183], v[178:179], v[70:71], -v[182:183]
	v_fma_f64 v[72:73], v[180:181], v[70:71], v[72:73]
	s_waitcnt lgkmcnt(0)
	v_mul_f64 v[70:71], v[186:187], v[72:73]
	v_fma_f64 v[70:71], v[184:185], v[182:183], -v[70:71]
	v_mul_f64 v[184:185], v[184:185], v[72:73]
	v_add_f64 v[66:67], v[66:67], -v[70:71]
	v_fma_f64 v[184:185], v[186:187], v[182:183], v[184:185]
	v_add_f64 v[68:69], v[68:69], -v[184:185]
	ds_read2_b64 v[184:187], v250 offset0:30 offset1:31
	s_waitcnt lgkmcnt(0)
	v_mul_f64 v[70:71], v[186:187], v[72:73]
	v_fma_f64 v[70:71], v[184:185], v[182:183], -v[70:71]
	v_mul_f64 v[184:185], v[184:185], v[72:73]
	v_add_f64 v[62:63], v[62:63], -v[70:71]
	v_fma_f64 v[184:185], v[186:187], v[182:183], v[184:185]
	v_add_f64 v[64:65], v[64:65], -v[184:185]
	ds_read2_b64 v[184:187], v250 offset0:32 offset1:33
	;; [unrolled: 8-line block ×16, first 2 shown]
	s_waitcnt lgkmcnt(0)
	v_mul_f64 v[70:71], v[186:187], v[72:73]
	v_fma_f64 v[70:71], v[184:185], v[182:183], -v[70:71]
	v_mul_f64 v[184:185], v[184:185], v[72:73]
	v_add_f64 v[1:2], v[1:2], -v[70:71]
	v_fma_f64 v[184:185], v[186:187], v[182:183], v[184:185]
	v_mov_b32_e32 v70, v182
	v_mov_b32_e32 v71, v183
	v_add_f64 v[3:4], v[3:4], -v[184:185]
.LBB61_127:
	s_or_b32 exec_lo, exec_lo, s1
	s_mov_b32 s2, exec_lo
	s_waitcnt lgkmcnt(0)
	s_barrier
	buffer_gl0_inv
	v_cmpx_eq_u32_e32 14, v0
	s_cbranch_execz .LBB61_134
; %bb.128:
	ds_write2_b64 v5, v[66:67], v[68:69] offset1:1
	ds_write2_b64 v250, v[62:63], v[64:65] offset0:30 offset1:31
	ds_write2_b64 v250, v[58:59], v[60:61] offset0:32 offset1:33
	;; [unrolled: 1-line block ×16, first 2 shown]
	ds_read2_b64 v[182:185], v5 offset1:1
	s_waitcnt lgkmcnt(0)
	v_cmp_neq_f64_e32 vcc_lo, 0, v[182:183]
	v_cmp_neq_f64_e64 s1, 0, v[184:185]
	s_or_b32 s1, vcc_lo, s1
	s_and_b32 exec_lo, exec_lo, s1
	s_cbranch_execz .LBB61_134
; %bb.129:
	v_cmp_ngt_f64_e64 s1, |v[182:183]|, |v[184:185]|
                                        ; implicit-def: $vgpr186_vgpr187
	s_and_saveexec_b32 s3, s1
	s_xor_b32 s1, exec_lo, s3
                                        ; implicit-def: $vgpr188_vgpr189
	s_cbranch_execz .LBB61_131
; %bb.130:
	v_div_scale_f64 v[186:187], null, v[184:185], v[184:185], v[182:183]
	v_div_scale_f64 v[192:193], vcc_lo, v[182:183], v[184:185], v[182:183]
	v_rcp_f64_e32 v[188:189], v[186:187]
	v_fma_f64 v[190:191], -v[186:187], v[188:189], 1.0
	v_fma_f64 v[188:189], v[188:189], v[190:191], v[188:189]
	v_fma_f64 v[190:191], -v[186:187], v[188:189], 1.0
	v_fma_f64 v[188:189], v[188:189], v[190:191], v[188:189]
	v_mul_f64 v[190:191], v[192:193], v[188:189]
	v_fma_f64 v[186:187], -v[186:187], v[190:191], v[192:193]
	v_div_fmas_f64 v[186:187], v[186:187], v[188:189], v[190:191]
	v_div_fixup_f64 v[186:187], v[186:187], v[184:185], v[182:183]
	v_fma_f64 v[182:183], v[182:183], v[186:187], v[184:185]
	v_div_scale_f64 v[184:185], null, v[182:183], v[182:183], 1.0
	v_rcp_f64_e32 v[188:189], v[184:185]
	v_fma_f64 v[190:191], -v[184:185], v[188:189], 1.0
	v_fma_f64 v[188:189], v[188:189], v[190:191], v[188:189]
	v_fma_f64 v[190:191], -v[184:185], v[188:189], 1.0
	v_fma_f64 v[188:189], v[188:189], v[190:191], v[188:189]
	v_div_scale_f64 v[190:191], vcc_lo, 1.0, v[182:183], 1.0
	v_mul_f64 v[192:193], v[190:191], v[188:189]
	v_fma_f64 v[184:185], -v[184:185], v[192:193], v[190:191]
	v_div_fmas_f64 v[184:185], v[184:185], v[188:189], v[192:193]
	v_div_fixup_f64 v[188:189], v[184:185], v[182:183], 1.0
                                        ; implicit-def: $vgpr182_vgpr183
	v_mul_f64 v[186:187], v[186:187], v[188:189]
	v_xor_b32_e32 v189, 0x80000000, v189
.LBB61_131:
	s_andn2_saveexec_b32 s1, s1
	s_cbranch_execz .LBB61_133
; %bb.132:
	v_div_scale_f64 v[186:187], null, v[182:183], v[182:183], v[184:185]
	v_div_scale_f64 v[192:193], vcc_lo, v[184:185], v[182:183], v[184:185]
	v_rcp_f64_e32 v[188:189], v[186:187]
	v_fma_f64 v[190:191], -v[186:187], v[188:189], 1.0
	v_fma_f64 v[188:189], v[188:189], v[190:191], v[188:189]
	v_fma_f64 v[190:191], -v[186:187], v[188:189], 1.0
	v_fma_f64 v[188:189], v[188:189], v[190:191], v[188:189]
	v_mul_f64 v[190:191], v[192:193], v[188:189]
	v_fma_f64 v[186:187], -v[186:187], v[190:191], v[192:193]
	v_div_fmas_f64 v[186:187], v[186:187], v[188:189], v[190:191]
	v_div_fixup_f64 v[188:189], v[186:187], v[182:183], v[184:185]
	v_fma_f64 v[182:183], v[184:185], v[188:189], v[182:183]
	v_div_scale_f64 v[184:185], null, v[182:183], v[182:183], 1.0
	v_rcp_f64_e32 v[186:187], v[184:185]
	v_fma_f64 v[190:191], -v[184:185], v[186:187], 1.0
	v_fma_f64 v[186:187], v[186:187], v[190:191], v[186:187]
	v_fma_f64 v[190:191], -v[184:185], v[186:187], 1.0
	v_fma_f64 v[186:187], v[186:187], v[190:191], v[186:187]
	v_div_scale_f64 v[190:191], vcc_lo, 1.0, v[182:183], 1.0
	v_mul_f64 v[192:193], v[190:191], v[186:187]
	v_fma_f64 v[184:185], -v[184:185], v[192:193], v[190:191]
	v_div_fmas_f64 v[184:185], v[184:185], v[186:187], v[192:193]
	v_div_fixup_f64 v[186:187], v[184:185], v[182:183], 1.0
	v_mul_f64 v[188:189], v[188:189], -v[186:187]
.LBB61_133:
	s_or_b32 exec_lo, exec_lo, s1
	ds_write2_b64 v5, v[186:187], v[188:189] offset1:1
.LBB61_134:
	s_or_b32 exec_lo, exec_lo, s2
	s_waitcnt lgkmcnt(0)
	s_barrier
	buffer_gl0_inv
	ds_read2_b64 v[182:185], v5 offset1:1
	s_mov_b32 s1, exec_lo
	v_cmpx_lt_u32_e32 14, v0
	s_cbranch_execz .LBB61_136
; %bb.135:
	s_waitcnt lgkmcnt(0)
	v_mul_f64 v[186:187], v[182:183], v[68:69]
	v_mul_f64 v[68:69], v[184:185], v[68:69]
	ds_read2_b64 v[188:191], v250 offset0:30 offset1:31
	v_fma_f64 v[186:187], v[184:185], v[66:67], v[186:187]
	v_fma_f64 v[66:67], v[182:183], v[66:67], -v[68:69]
	s_waitcnt lgkmcnt(0)
	v_mul_f64 v[68:69], v[190:191], v[186:187]
	v_fma_f64 v[68:69], v[188:189], v[66:67], -v[68:69]
	v_mul_f64 v[188:189], v[188:189], v[186:187]
	v_add_f64 v[62:63], v[62:63], -v[68:69]
	v_fma_f64 v[188:189], v[190:191], v[66:67], v[188:189]
	v_add_f64 v[64:65], v[64:65], -v[188:189]
	ds_read2_b64 v[188:191], v250 offset0:32 offset1:33
	s_waitcnt lgkmcnt(0)
	v_mul_f64 v[68:69], v[190:191], v[186:187]
	v_fma_f64 v[68:69], v[188:189], v[66:67], -v[68:69]
	v_mul_f64 v[188:189], v[188:189], v[186:187]
	v_add_f64 v[58:59], v[58:59], -v[68:69]
	v_fma_f64 v[188:189], v[190:191], v[66:67], v[188:189]
	v_add_f64 v[60:61], v[60:61], -v[188:189]
	ds_read2_b64 v[188:191], v250 offset0:34 offset1:35
	;; [unrolled: 8-line block ×15, first 2 shown]
	s_waitcnt lgkmcnt(0)
	v_mul_f64 v[68:69], v[190:191], v[186:187]
	v_fma_f64 v[68:69], v[188:189], v[66:67], -v[68:69]
	v_mul_f64 v[188:189], v[188:189], v[186:187]
	v_add_f64 v[1:2], v[1:2], -v[68:69]
	v_fma_f64 v[188:189], v[190:191], v[66:67], v[188:189]
	v_mov_b32_e32 v68, v186
	v_mov_b32_e32 v69, v187
	v_add_f64 v[3:4], v[3:4], -v[188:189]
.LBB61_136:
	s_or_b32 exec_lo, exec_lo, s1
	s_mov_b32 s2, exec_lo
	s_waitcnt lgkmcnt(0)
	s_barrier
	buffer_gl0_inv
	v_cmpx_eq_u32_e32 15, v0
	s_cbranch_execz .LBB61_143
; %bb.137:
	ds_write2_b64 v5, v[62:63], v[64:65] offset1:1
	ds_write2_b64 v250, v[58:59], v[60:61] offset0:32 offset1:33
	ds_write2_b64 v250, v[54:55], v[56:57] offset0:34 offset1:35
	;; [unrolled: 1-line block ×15, first 2 shown]
	ds_read2_b64 v[186:189], v5 offset1:1
	s_waitcnt lgkmcnt(0)
	v_cmp_neq_f64_e32 vcc_lo, 0, v[186:187]
	v_cmp_neq_f64_e64 s1, 0, v[188:189]
	s_or_b32 s1, vcc_lo, s1
	s_and_b32 exec_lo, exec_lo, s1
	s_cbranch_execz .LBB61_143
; %bb.138:
	v_cmp_ngt_f64_e64 s1, |v[186:187]|, |v[188:189]|
                                        ; implicit-def: $vgpr190_vgpr191
	s_and_saveexec_b32 s3, s1
	s_xor_b32 s1, exec_lo, s3
                                        ; implicit-def: $vgpr192_vgpr193
	s_cbranch_execz .LBB61_140
; %bb.139:
	v_div_scale_f64 v[190:191], null, v[188:189], v[188:189], v[186:187]
	v_div_scale_f64 v[196:197], vcc_lo, v[186:187], v[188:189], v[186:187]
	v_rcp_f64_e32 v[192:193], v[190:191]
	v_fma_f64 v[194:195], -v[190:191], v[192:193], 1.0
	v_fma_f64 v[192:193], v[192:193], v[194:195], v[192:193]
	v_fma_f64 v[194:195], -v[190:191], v[192:193], 1.0
	v_fma_f64 v[192:193], v[192:193], v[194:195], v[192:193]
	v_mul_f64 v[194:195], v[196:197], v[192:193]
	v_fma_f64 v[190:191], -v[190:191], v[194:195], v[196:197]
	v_div_fmas_f64 v[190:191], v[190:191], v[192:193], v[194:195]
	v_div_fixup_f64 v[190:191], v[190:191], v[188:189], v[186:187]
	v_fma_f64 v[186:187], v[186:187], v[190:191], v[188:189]
	v_div_scale_f64 v[188:189], null, v[186:187], v[186:187], 1.0
	v_rcp_f64_e32 v[192:193], v[188:189]
	v_fma_f64 v[194:195], -v[188:189], v[192:193], 1.0
	v_fma_f64 v[192:193], v[192:193], v[194:195], v[192:193]
	v_fma_f64 v[194:195], -v[188:189], v[192:193], 1.0
	v_fma_f64 v[192:193], v[192:193], v[194:195], v[192:193]
	v_div_scale_f64 v[194:195], vcc_lo, 1.0, v[186:187], 1.0
	v_mul_f64 v[196:197], v[194:195], v[192:193]
	v_fma_f64 v[188:189], -v[188:189], v[196:197], v[194:195]
	v_div_fmas_f64 v[188:189], v[188:189], v[192:193], v[196:197]
	v_div_fixup_f64 v[192:193], v[188:189], v[186:187], 1.0
                                        ; implicit-def: $vgpr186_vgpr187
	v_mul_f64 v[190:191], v[190:191], v[192:193]
	v_xor_b32_e32 v193, 0x80000000, v193
.LBB61_140:
	s_andn2_saveexec_b32 s1, s1
	s_cbranch_execz .LBB61_142
; %bb.141:
	v_div_scale_f64 v[190:191], null, v[186:187], v[186:187], v[188:189]
	v_div_scale_f64 v[196:197], vcc_lo, v[188:189], v[186:187], v[188:189]
	v_rcp_f64_e32 v[192:193], v[190:191]
	v_fma_f64 v[194:195], -v[190:191], v[192:193], 1.0
	v_fma_f64 v[192:193], v[192:193], v[194:195], v[192:193]
	v_fma_f64 v[194:195], -v[190:191], v[192:193], 1.0
	v_fma_f64 v[192:193], v[192:193], v[194:195], v[192:193]
	v_mul_f64 v[194:195], v[196:197], v[192:193]
	v_fma_f64 v[190:191], -v[190:191], v[194:195], v[196:197]
	v_div_fmas_f64 v[190:191], v[190:191], v[192:193], v[194:195]
	v_div_fixup_f64 v[192:193], v[190:191], v[186:187], v[188:189]
	v_fma_f64 v[186:187], v[188:189], v[192:193], v[186:187]
	v_div_scale_f64 v[188:189], null, v[186:187], v[186:187], 1.0
	v_rcp_f64_e32 v[190:191], v[188:189]
	v_fma_f64 v[194:195], -v[188:189], v[190:191], 1.0
	v_fma_f64 v[190:191], v[190:191], v[194:195], v[190:191]
	v_fma_f64 v[194:195], -v[188:189], v[190:191], 1.0
	v_fma_f64 v[190:191], v[190:191], v[194:195], v[190:191]
	v_div_scale_f64 v[194:195], vcc_lo, 1.0, v[186:187], 1.0
	v_mul_f64 v[196:197], v[194:195], v[190:191]
	v_fma_f64 v[188:189], -v[188:189], v[196:197], v[194:195]
	v_div_fmas_f64 v[188:189], v[188:189], v[190:191], v[196:197]
	v_div_fixup_f64 v[190:191], v[188:189], v[186:187], 1.0
	v_mul_f64 v[192:193], v[192:193], -v[190:191]
.LBB61_142:
	s_or_b32 exec_lo, exec_lo, s1
	ds_write2_b64 v5, v[190:191], v[192:193] offset1:1
.LBB61_143:
	s_or_b32 exec_lo, exec_lo, s2
	s_waitcnt lgkmcnt(0)
	s_barrier
	buffer_gl0_inv
	ds_read2_b64 v[186:189], v5 offset1:1
	s_mov_b32 s1, exec_lo
	v_cmpx_lt_u32_e32 15, v0
	s_cbranch_execz .LBB61_145
; %bb.144:
	s_waitcnt lgkmcnt(0)
	v_mul_f64 v[190:191], v[186:187], v[64:65]
	v_mul_f64 v[64:65], v[188:189], v[64:65]
	ds_read2_b64 v[192:195], v250 offset0:32 offset1:33
	v_fma_f64 v[190:191], v[188:189], v[62:63], v[190:191]
	v_fma_f64 v[62:63], v[186:187], v[62:63], -v[64:65]
	s_waitcnt lgkmcnt(0)
	v_mul_f64 v[64:65], v[194:195], v[190:191]
	v_fma_f64 v[64:65], v[192:193], v[62:63], -v[64:65]
	v_mul_f64 v[192:193], v[192:193], v[190:191]
	v_add_f64 v[58:59], v[58:59], -v[64:65]
	v_fma_f64 v[192:193], v[194:195], v[62:63], v[192:193]
	v_add_f64 v[60:61], v[60:61], -v[192:193]
	ds_read2_b64 v[192:195], v250 offset0:34 offset1:35
	s_waitcnt lgkmcnt(0)
	v_mul_f64 v[64:65], v[194:195], v[190:191]
	v_fma_f64 v[64:65], v[192:193], v[62:63], -v[64:65]
	v_mul_f64 v[192:193], v[192:193], v[190:191]
	v_add_f64 v[54:55], v[54:55], -v[64:65]
	v_fma_f64 v[192:193], v[194:195], v[62:63], v[192:193]
	v_add_f64 v[56:57], v[56:57], -v[192:193]
	ds_read2_b64 v[192:195], v250 offset0:36 offset1:37
	;; [unrolled: 8-line block ×14, first 2 shown]
	s_waitcnt lgkmcnt(0)
	v_mul_f64 v[64:65], v[194:195], v[190:191]
	v_fma_f64 v[64:65], v[192:193], v[62:63], -v[64:65]
	v_mul_f64 v[192:193], v[192:193], v[190:191]
	v_add_f64 v[1:2], v[1:2], -v[64:65]
	v_fma_f64 v[192:193], v[194:195], v[62:63], v[192:193]
	v_mov_b32_e32 v64, v190
	v_mov_b32_e32 v65, v191
	v_add_f64 v[3:4], v[3:4], -v[192:193]
.LBB61_145:
	s_or_b32 exec_lo, exec_lo, s1
	s_mov_b32 s2, exec_lo
	s_waitcnt lgkmcnt(0)
	s_barrier
	buffer_gl0_inv
	v_cmpx_eq_u32_e32 16, v0
	s_cbranch_execz .LBB61_152
; %bb.146:
	ds_write2_b64 v5, v[58:59], v[60:61] offset1:1
	ds_write2_b64 v250, v[54:55], v[56:57] offset0:34 offset1:35
	ds_write2_b64 v250, v[50:51], v[52:53] offset0:36 offset1:37
	ds_write2_b64 v250, v[46:47], v[48:49] offset0:38 offset1:39
	ds_write2_b64 v250, v[42:43], v[44:45] offset0:40 offset1:41
	ds_write2_b64 v250, v[38:39], v[40:41] offset0:42 offset1:43
	ds_write2_b64 v250, v[34:35], v[36:37] offset0:44 offset1:45
	ds_write2_b64 v250, v[30:31], v[32:33] offset0:46 offset1:47
	ds_write2_b64 v250, v[26:27], v[28:29] offset0:48 offset1:49
	ds_write2_b64 v250, v[22:23], v[24:25] offset0:50 offset1:51
	ds_write2_b64 v250, v[18:19], v[20:21] offset0:52 offset1:53
	ds_write2_b64 v250, v[14:15], v[16:17] offset0:54 offset1:55
	ds_write2_b64 v250, v[10:11], v[12:13] offset0:56 offset1:57
	ds_write2_b64 v250, v[6:7], v[8:9] offset0:58 offset1:59
	ds_write2_b64 v250, v[1:2], v[3:4] offset0:60 offset1:61
	ds_read2_b64 v[190:193], v5 offset1:1
	s_waitcnt lgkmcnt(0)
	v_cmp_neq_f64_e32 vcc_lo, 0, v[190:191]
	v_cmp_neq_f64_e64 s1, 0, v[192:193]
	s_or_b32 s1, vcc_lo, s1
	s_and_b32 exec_lo, exec_lo, s1
	s_cbranch_execz .LBB61_152
; %bb.147:
	v_cmp_ngt_f64_e64 s1, |v[190:191]|, |v[192:193]|
                                        ; implicit-def: $vgpr194_vgpr195
	s_and_saveexec_b32 s3, s1
	s_xor_b32 s1, exec_lo, s3
                                        ; implicit-def: $vgpr196_vgpr197
	s_cbranch_execz .LBB61_149
; %bb.148:
	v_div_scale_f64 v[194:195], null, v[192:193], v[192:193], v[190:191]
	v_div_scale_f64 v[200:201], vcc_lo, v[190:191], v[192:193], v[190:191]
	v_rcp_f64_e32 v[196:197], v[194:195]
	v_fma_f64 v[198:199], -v[194:195], v[196:197], 1.0
	v_fma_f64 v[196:197], v[196:197], v[198:199], v[196:197]
	v_fma_f64 v[198:199], -v[194:195], v[196:197], 1.0
	v_fma_f64 v[196:197], v[196:197], v[198:199], v[196:197]
	v_mul_f64 v[198:199], v[200:201], v[196:197]
	v_fma_f64 v[194:195], -v[194:195], v[198:199], v[200:201]
	v_div_fmas_f64 v[194:195], v[194:195], v[196:197], v[198:199]
	v_div_fixup_f64 v[194:195], v[194:195], v[192:193], v[190:191]
	v_fma_f64 v[190:191], v[190:191], v[194:195], v[192:193]
	v_div_scale_f64 v[192:193], null, v[190:191], v[190:191], 1.0
	v_rcp_f64_e32 v[196:197], v[192:193]
	v_fma_f64 v[198:199], -v[192:193], v[196:197], 1.0
	v_fma_f64 v[196:197], v[196:197], v[198:199], v[196:197]
	v_fma_f64 v[198:199], -v[192:193], v[196:197], 1.0
	v_fma_f64 v[196:197], v[196:197], v[198:199], v[196:197]
	v_div_scale_f64 v[198:199], vcc_lo, 1.0, v[190:191], 1.0
	v_mul_f64 v[200:201], v[198:199], v[196:197]
	v_fma_f64 v[192:193], -v[192:193], v[200:201], v[198:199]
	v_div_fmas_f64 v[192:193], v[192:193], v[196:197], v[200:201]
	v_div_fixup_f64 v[196:197], v[192:193], v[190:191], 1.0
                                        ; implicit-def: $vgpr190_vgpr191
	v_mul_f64 v[194:195], v[194:195], v[196:197]
	v_xor_b32_e32 v197, 0x80000000, v197
.LBB61_149:
	s_andn2_saveexec_b32 s1, s1
	s_cbranch_execz .LBB61_151
; %bb.150:
	v_div_scale_f64 v[194:195], null, v[190:191], v[190:191], v[192:193]
	v_div_scale_f64 v[200:201], vcc_lo, v[192:193], v[190:191], v[192:193]
	v_rcp_f64_e32 v[196:197], v[194:195]
	v_fma_f64 v[198:199], -v[194:195], v[196:197], 1.0
	v_fma_f64 v[196:197], v[196:197], v[198:199], v[196:197]
	v_fma_f64 v[198:199], -v[194:195], v[196:197], 1.0
	v_fma_f64 v[196:197], v[196:197], v[198:199], v[196:197]
	v_mul_f64 v[198:199], v[200:201], v[196:197]
	v_fma_f64 v[194:195], -v[194:195], v[198:199], v[200:201]
	v_div_fmas_f64 v[194:195], v[194:195], v[196:197], v[198:199]
	v_div_fixup_f64 v[196:197], v[194:195], v[190:191], v[192:193]
	v_fma_f64 v[190:191], v[192:193], v[196:197], v[190:191]
	v_div_scale_f64 v[192:193], null, v[190:191], v[190:191], 1.0
	v_rcp_f64_e32 v[194:195], v[192:193]
	v_fma_f64 v[198:199], -v[192:193], v[194:195], 1.0
	v_fma_f64 v[194:195], v[194:195], v[198:199], v[194:195]
	v_fma_f64 v[198:199], -v[192:193], v[194:195], 1.0
	v_fma_f64 v[194:195], v[194:195], v[198:199], v[194:195]
	v_div_scale_f64 v[198:199], vcc_lo, 1.0, v[190:191], 1.0
	v_mul_f64 v[200:201], v[198:199], v[194:195]
	v_fma_f64 v[192:193], -v[192:193], v[200:201], v[198:199]
	v_div_fmas_f64 v[192:193], v[192:193], v[194:195], v[200:201]
	v_div_fixup_f64 v[194:195], v[192:193], v[190:191], 1.0
	v_mul_f64 v[196:197], v[196:197], -v[194:195]
.LBB61_151:
	s_or_b32 exec_lo, exec_lo, s1
	ds_write2_b64 v5, v[194:195], v[196:197] offset1:1
.LBB61_152:
	s_or_b32 exec_lo, exec_lo, s2
	s_waitcnt lgkmcnt(0)
	s_barrier
	buffer_gl0_inv
	ds_read2_b64 v[190:193], v5 offset1:1
	s_mov_b32 s1, exec_lo
	v_cmpx_lt_u32_e32 16, v0
	s_cbranch_execz .LBB61_154
; %bb.153:
	s_waitcnt lgkmcnt(0)
	v_mul_f64 v[194:195], v[190:191], v[60:61]
	v_mul_f64 v[60:61], v[192:193], v[60:61]
	ds_read2_b64 v[196:199], v250 offset0:34 offset1:35
	v_fma_f64 v[194:195], v[192:193], v[58:59], v[194:195]
	v_fma_f64 v[58:59], v[190:191], v[58:59], -v[60:61]
	s_waitcnt lgkmcnt(0)
	v_mul_f64 v[60:61], v[198:199], v[194:195]
	v_fma_f64 v[60:61], v[196:197], v[58:59], -v[60:61]
	v_mul_f64 v[196:197], v[196:197], v[194:195]
	v_add_f64 v[54:55], v[54:55], -v[60:61]
	v_fma_f64 v[196:197], v[198:199], v[58:59], v[196:197]
	v_add_f64 v[56:57], v[56:57], -v[196:197]
	ds_read2_b64 v[196:199], v250 offset0:36 offset1:37
	s_waitcnt lgkmcnt(0)
	v_mul_f64 v[60:61], v[198:199], v[194:195]
	v_fma_f64 v[60:61], v[196:197], v[58:59], -v[60:61]
	v_mul_f64 v[196:197], v[196:197], v[194:195]
	v_add_f64 v[50:51], v[50:51], -v[60:61]
	v_fma_f64 v[196:197], v[198:199], v[58:59], v[196:197]
	v_add_f64 v[52:53], v[52:53], -v[196:197]
	ds_read2_b64 v[196:199], v250 offset0:38 offset1:39
	;; [unrolled: 8-line block ×13, first 2 shown]
	s_waitcnt lgkmcnt(0)
	v_mul_f64 v[60:61], v[198:199], v[194:195]
	v_fma_f64 v[60:61], v[196:197], v[58:59], -v[60:61]
	v_mul_f64 v[196:197], v[196:197], v[194:195]
	v_add_f64 v[1:2], v[1:2], -v[60:61]
	v_fma_f64 v[196:197], v[198:199], v[58:59], v[196:197]
	v_mov_b32_e32 v60, v194
	v_mov_b32_e32 v61, v195
	v_add_f64 v[3:4], v[3:4], -v[196:197]
.LBB61_154:
	s_or_b32 exec_lo, exec_lo, s1
	s_mov_b32 s2, exec_lo
	s_waitcnt lgkmcnt(0)
	s_barrier
	buffer_gl0_inv
	v_cmpx_eq_u32_e32 17, v0
	s_cbranch_execz .LBB61_161
; %bb.155:
	ds_write2_b64 v5, v[54:55], v[56:57] offset1:1
	ds_write2_b64 v250, v[50:51], v[52:53] offset0:36 offset1:37
	ds_write2_b64 v250, v[46:47], v[48:49] offset0:38 offset1:39
	;; [unrolled: 1-line block ×13, first 2 shown]
	ds_read2_b64 v[194:197], v5 offset1:1
	s_waitcnt lgkmcnt(0)
	v_cmp_neq_f64_e32 vcc_lo, 0, v[194:195]
	v_cmp_neq_f64_e64 s1, 0, v[196:197]
	s_or_b32 s1, vcc_lo, s1
	s_and_b32 exec_lo, exec_lo, s1
	s_cbranch_execz .LBB61_161
; %bb.156:
	v_cmp_ngt_f64_e64 s1, |v[194:195]|, |v[196:197]|
                                        ; implicit-def: $vgpr198_vgpr199
	s_and_saveexec_b32 s3, s1
	s_xor_b32 s1, exec_lo, s3
                                        ; implicit-def: $vgpr200_vgpr201
	s_cbranch_execz .LBB61_158
; %bb.157:
	v_div_scale_f64 v[198:199], null, v[196:197], v[196:197], v[194:195]
	v_div_scale_f64 v[204:205], vcc_lo, v[194:195], v[196:197], v[194:195]
	v_rcp_f64_e32 v[200:201], v[198:199]
	v_fma_f64 v[202:203], -v[198:199], v[200:201], 1.0
	v_fma_f64 v[200:201], v[200:201], v[202:203], v[200:201]
	v_fma_f64 v[202:203], -v[198:199], v[200:201], 1.0
	v_fma_f64 v[200:201], v[200:201], v[202:203], v[200:201]
	v_mul_f64 v[202:203], v[204:205], v[200:201]
	v_fma_f64 v[198:199], -v[198:199], v[202:203], v[204:205]
	v_div_fmas_f64 v[198:199], v[198:199], v[200:201], v[202:203]
	v_div_fixup_f64 v[198:199], v[198:199], v[196:197], v[194:195]
	v_fma_f64 v[194:195], v[194:195], v[198:199], v[196:197]
	v_div_scale_f64 v[196:197], null, v[194:195], v[194:195], 1.0
	v_rcp_f64_e32 v[200:201], v[196:197]
	v_fma_f64 v[202:203], -v[196:197], v[200:201], 1.0
	v_fma_f64 v[200:201], v[200:201], v[202:203], v[200:201]
	v_fma_f64 v[202:203], -v[196:197], v[200:201], 1.0
	v_fma_f64 v[200:201], v[200:201], v[202:203], v[200:201]
	v_div_scale_f64 v[202:203], vcc_lo, 1.0, v[194:195], 1.0
	v_mul_f64 v[204:205], v[202:203], v[200:201]
	v_fma_f64 v[196:197], -v[196:197], v[204:205], v[202:203]
	v_div_fmas_f64 v[196:197], v[196:197], v[200:201], v[204:205]
	v_div_fixup_f64 v[200:201], v[196:197], v[194:195], 1.0
                                        ; implicit-def: $vgpr194_vgpr195
	v_mul_f64 v[198:199], v[198:199], v[200:201]
	v_xor_b32_e32 v201, 0x80000000, v201
.LBB61_158:
	s_andn2_saveexec_b32 s1, s1
	s_cbranch_execz .LBB61_160
; %bb.159:
	v_div_scale_f64 v[198:199], null, v[194:195], v[194:195], v[196:197]
	v_div_scale_f64 v[204:205], vcc_lo, v[196:197], v[194:195], v[196:197]
	v_rcp_f64_e32 v[200:201], v[198:199]
	v_fma_f64 v[202:203], -v[198:199], v[200:201], 1.0
	v_fma_f64 v[200:201], v[200:201], v[202:203], v[200:201]
	v_fma_f64 v[202:203], -v[198:199], v[200:201], 1.0
	v_fma_f64 v[200:201], v[200:201], v[202:203], v[200:201]
	v_mul_f64 v[202:203], v[204:205], v[200:201]
	v_fma_f64 v[198:199], -v[198:199], v[202:203], v[204:205]
	v_div_fmas_f64 v[198:199], v[198:199], v[200:201], v[202:203]
	v_div_fixup_f64 v[200:201], v[198:199], v[194:195], v[196:197]
	v_fma_f64 v[194:195], v[196:197], v[200:201], v[194:195]
	v_div_scale_f64 v[196:197], null, v[194:195], v[194:195], 1.0
	v_rcp_f64_e32 v[198:199], v[196:197]
	v_fma_f64 v[202:203], -v[196:197], v[198:199], 1.0
	v_fma_f64 v[198:199], v[198:199], v[202:203], v[198:199]
	v_fma_f64 v[202:203], -v[196:197], v[198:199], 1.0
	v_fma_f64 v[198:199], v[198:199], v[202:203], v[198:199]
	v_div_scale_f64 v[202:203], vcc_lo, 1.0, v[194:195], 1.0
	v_mul_f64 v[204:205], v[202:203], v[198:199]
	v_fma_f64 v[196:197], -v[196:197], v[204:205], v[202:203]
	v_div_fmas_f64 v[196:197], v[196:197], v[198:199], v[204:205]
	v_div_fixup_f64 v[198:199], v[196:197], v[194:195], 1.0
	v_mul_f64 v[200:201], v[200:201], -v[198:199]
.LBB61_160:
	s_or_b32 exec_lo, exec_lo, s1
	ds_write2_b64 v5, v[198:199], v[200:201] offset1:1
.LBB61_161:
	s_or_b32 exec_lo, exec_lo, s2
	s_waitcnt lgkmcnt(0)
	s_barrier
	buffer_gl0_inv
	ds_read2_b64 v[194:197], v5 offset1:1
	s_mov_b32 s1, exec_lo
	v_cmpx_lt_u32_e32 17, v0
	s_cbranch_execz .LBB61_163
; %bb.162:
	s_waitcnt lgkmcnt(0)
	v_mul_f64 v[198:199], v[194:195], v[56:57]
	v_mul_f64 v[56:57], v[196:197], v[56:57]
	v_fma_f64 v[202:203], v[196:197], v[54:55], v[198:199]
	ds_read2_b64 v[198:201], v250 offset0:36 offset1:37
	v_fma_f64 v[54:55], v[194:195], v[54:55], -v[56:57]
	s_waitcnt lgkmcnt(0)
	v_mul_f64 v[56:57], v[200:201], v[202:203]
	v_fma_f64 v[56:57], v[198:199], v[54:55], -v[56:57]
	v_mul_f64 v[198:199], v[198:199], v[202:203]
	v_add_f64 v[50:51], v[50:51], -v[56:57]
	v_fma_f64 v[198:199], v[200:201], v[54:55], v[198:199]
	v_add_f64 v[52:53], v[52:53], -v[198:199]
	ds_read2_b64 v[198:201], v250 offset0:38 offset1:39
	s_waitcnt lgkmcnt(0)
	v_mul_f64 v[56:57], v[200:201], v[202:203]
	v_fma_f64 v[56:57], v[198:199], v[54:55], -v[56:57]
	v_mul_f64 v[198:199], v[198:199], v[202:203]
	v_add_f64 v[46:47], v[46:47], -v[56:57]
	v_fma_f64 v[198:199], v[200:201], v[54:55], v[198:199]
	v_add_f64 v[48:49], v[48:49], -v[198:199]
	ds_read2_b64 v[198:201], v250 offset0:40 offset1:41
	;; [unrolled: 8-line block ×12, first 2 shown]
	s_waitcnt lgkmcnt(0)
	v_mul_f64 v[56:57], v[200:201], v[202:203]
	v_fma_f64 v[56:57], v[198:199], v[54:55], -v[56:57]
	v_mul_f64 v[198:199], v[198:199], v[202:203]
	v_add_f64 v[1:2], v[1:2], -v[56:57]
	v_fma_f64 v[198:199], v[200:201], v[54:55], v[198:199]
	v_mov_b32_e32 v56, v202
	v_mov_b32_e32 v57, v203
	v_add_f64 v[3:4], v[3:4], -v[198:199]
.LBB61_163:
	s_or_b32 exec_lo, exec_lo, s1
	s_mov_b32 s2, exec_lo
	s_waitcnt lgkmcnt(0)
	s_barrier
	buffer_gl0_inv
	v_cmpx_eq_u32_e32 18, v0
	s_cbranch_execz .LBB61_170
; %bb.164:
	ds_write2_b64 v5, v[50:51], v[52:53] offset1:1
	ds_write2_b64 v250, v[46:47], v[48:49] offset0:38 offset1:39
	ds_write2_b64 v250, v[42:43], v[44:45] offset0:40 offset1:41
	;; [unrolled: 1-line block ×12, first 2 shown]
	ds_read2_b64 v[198:201], v5 offset1:1
	s_waitcnt lgkmcnt(0)
	v_cmp_neq_f64_e32 vcc_lo, 0, v[198:199]
	v_cmp_neq_f64_e64 s1, 0, v[200:201]
	s_or_b32 s1, vcc_lo, s1
	s_and_b32 exec_lo, exec_lo, s1
	s_cbranch_execz .LBB61_170
; %bb.165:
	v_cmp_ngt_f64_e64 s1, |v[198:199]|, |v[200:201]|
                                        ; implicit-def: $vgpr202_vgpr203
	s_and_saveexec_b32 s3, s1
	s_xor_b32 s1, exec_lo, s3
                                        ; implicit-def: $vgpr204_vgpr205
	s_cbranch_execz .LBB61_167
; %bb.166:
	v_div_scale_f64 v[202:203], null, v[200:201], v[200:201], v[198:199]
	v_div_scale_f64 v[208:209], vcc_lo, v[198:199], v[200:201], v[198:199]
	v_rcp_f64_e32 v[204:205], v[202:203]
	v_fma_f64 v[206:207], -v[202:203], v[204:205], 1.0
	v_fma_f64 v[204:205], v[204:205], v[206:207], v[204:205]
	v_fma_f64 v[206:207], -v[202:203], v[204:205], 1.0
	v_fma_f64 v[204:205], v[204:205], v[206:207], v[204:205]
	v_mul_f64 v[206:207], v[208:209], v[204:205]
	v_fma_f64 v[202:203], -v[202:203], v[206:207], v[208:209]
	v_div_fmas_f64 v[202:203], v[202:203], v[204:205], v[206:207]
	v_div_fixup_f64 v[202:203], v[202:203], v[200:201], v[198:199]
	v_fma_f64 v[198:199], v[198:199], v[202:203], v[200:201]
	v_div_scale_f64 v[200:201], null, v[198:199], v[198:199], 1.0
	v_rcp_f64_e32 v[204:205], v[200:201]
	v_fma_f64 v[206:207], -v[200:201], v[204:205], 1.0
	v_fma_f64 v[204:205], v[204:205], v[206:207], v[204:205]
	v_fma_f64 v[206:207], -v[200:201], v[204:205], 1.0
	v_fma_f64 v[204:205], v[204:205], v[206:207], v[204:205]
	v_div_scale_f64 v[206:207], vcc_lo, 1.0, v[198:199], 1.0
	v_mul_f64 v[208:209], v[206:207], v[204:205]
	v_fma_f64 v[200:201], -v[200:201], v[208:209], v[206:207]
	v_div_fmas_f64 v[200:201], v[200:201], v[204:205], v[208:209]
	v_div_fixup_f64 v[204:205], v[200:201], v[198:199], 1.0
                                        ; implicit-def: $vgpr198_vgpr199
	v_mul_f64 v[202:203], v[202:203], v[204:205]
	v_xor_b32_e32 v205, 0x80000000, v205
.LBB61_167:
	s_andn2_saveexec_b32 s1, s1
	s_cbranch_execz .LBB61_169
; %bb.168:
	v_div_scale_f64 v[202:203], null, v[198:199], v[198:199], v[200:201]
	v_div_scale_f64 v[208:209], vcc_lo, v[200:201], v[198:199], v[200:201]
	v_rcp_f64_e32 v[204:205], v[202:203]
	v_fma_f64 v[206:207], -v[202:203], v[204:205], 1.0
	v_fma_f64 v[204:205], v[204:205], v[206:207], v[204:205]
	v_fma_f64 v[206:207], -v[202:203], v[204:205], 1.0
	v_fma_f64 v[204:205], v[204:205], v[206:207], v[204:205]
	v_mul_f64 v[206:207], v[208:209], v[204:205]
	v_fma_f64 v[202:203], -v[202:203], v[206:207], v[208:209]
	v_div_fmas_f64 v[202:203], v[202:203], v[204:205], v[206:207]
	v_div_fixup_f64 v[204:205], v[202:203], v[198:199], v[200:201]
	v_fma_f64 v[198:199], v[200:201], v[204:205], v[198:199]
	v_div_scale_f64 v[200:201], null, v[198:199], v[198:199], 1.0
	v_rcp_f64_e32 v[202:203], v[200:201]
	v_fma_f64 v[206:207], -v[200:201], v[202:203], 1.0
	v_fma_f64 v[202:203], v[202:203], v[206:207], v[202:203]
	v_fma_f64 v[206:207], -v[200:201], v[202:203], 1.0
	v_fma_f64 v[202:203], v[202:203], v[206:207], v[202:203]
	v_div_scale_f64 v[206:207], vcc_lo, 1.0, v[198:199], 1.0
	v_mul_f64 v[208:209], v[206:207], v[202:203]
	v_fma_f64 v[200:201], -v[200:201], v[208:209], v[206:207]
	v_div_fmas_f64 v[200:201], v[200:201], v[202:203], v[208:209]
	v_div_fixup_f64 v[202:203], v[200:201], v[198:199], 1.0
	v_mul_f64 v[204:205], v[204:205], -v[202:203]
.LBB61_169:
	s_or_b32 exec_lo, exec_lo, s1
	ds_write2_b64 v5, v[202:203], v[204:205] offset1:1
.LBB61_170:
	s_or_b32 exec_lo, exec_lo, s2
	s_waitcnt lgkmcnt(0)
	s_barrier
	buffer_gl0_inv
	ds_read2_b64 v[198:201], v5 offset1:1
	s_mov_b32 s1, exec_lo
	v_cmpx_lt_u32_e32 18, v0
	s_cbranch_execz .LBB61_172
; %bb.171:
	s_waitcnt lgkmcnt(0)
	v_mul_f64 v[202:203], v[198:199], v[52:53]
	v_mul_f64 v[52:53], v[200:201], v[52:53]
	v_fma_f64 v[206:207], v[200:201], v[50:51], v[202:203]
	ds_read2_b64 v[202:205], v250 offset0:38 offset1:39
	v_fma_f64 v[50:51], v[198:199], v[50:51], -v[52:53]
	s_waitcnt lgkmcnt(0)
	v_mul_f64 v[52:53], v[204:205], v[206:207]
	v_fma_f64 v[52:53], v[202:203], v[50:51], -v[52:53]
	v_mul_f64 v[202:203], v[202:203], v[206:207]
	v_add_f64 v[46:47], v[46:47], -v[52:53]
	v_fma_f64 v[202:203], v[204:205], v[50:51], v[202:203]
	v_add_f64 v[48:49], v[48:49], -v[202:203]
	ds_read2_b64 v[202:205], v250 offset0:40 offset1:41
	s_waitcnt lgkmcnt(0)
	v_mul_f64 v[52:53], v[204:205], v[206:207]
	v_fma_f64 v[52:53], v[202:203], v[50:51], -v[52:53]
	v_mul_f64 v[202:203], v[202:203], v[206:207]
	v_add_f64 v[42:43], v[42:43], -v[52:53]
	v_fma_f64 v[202:203], v[204:205], v[50:51], v[202:203]
	v_add_f64 v[44:45], v[44:45], -v[202:203]
	ds_read2_b64 v[202:205], v250 offset0:42 offset1:43
	;; [unrolled: 8-line block ×11, first 2 shown]
	s_waitcnt lgkmcnt(0)
	v_mul_f64 v[52:53], v[204:205], v[206:207]
	v_fma_f64 v[52:53], v[202:203], v[50:51], -v[52:53]
	v_mul_f64 v[202:203], v[202:203], v[206:207]
	v_add_f64 v[1:2], v[1:2], -v[52:53]
	v_fma_f64 v[202:203], v[204:205], v[50:51], v[202:203]
	v_mov_b32_e32 v52, v206
	v_mov_b32_e32 v53, v207
	v_add_f64 v[3:4], v[3:4], -v[202:203]
.LBB61_172:
	s_or_b32 exec_lo, exec_lo, s1
	s_mov_b32 s2, exec_lo
	s_waitcnt lgkmcnt(0)
	s_barrier
	buffer_gl0_inv
	v_cmpx_eq_u32_e32 19, v0
	s_cbranch_execz .LBB61_179
; %bb.173:
	ds_write2_b64 v5, v[46:47], v[48:49] offset1:1
	ds_write2_b64 v250, v[42:43], v[44:45] offset0:40 offset1:41
	ds_write2_b64 v250, v[38:39], v[40:41] offset0:42 offset1:43
	;; [unrolled: 1-line block ×11, first 2 shown]
	ds_read2_b64 v[202:205], v5 offset1:1
	s_waitcnt lgkmcnt(0)
	v_cmp_neq_f64_e32 vcc_lo, 0, v[202:203]
	v_cmp_neq_f64_e64 s1, 0, v[204:205]
	s_or_b32 s1, vcc_lo, s1
	s_and_b32 exec_lo, exec_lo, s1
	s_cbranch_execz .LBB61_179
; %bb.174:
	v_cmp_ngt_f64_e64 s1, |v[202:203]|, |v[204:205]|
                                        ; implicit-def: $vgpr206_vgpr207
	s_and_saveexec_b32 s3, s1
	s_xor_b32 s1, exec_lo, s3
                                        ; implicit-def: $vgpr208_vgpr209
	s_cbranch_execz .LBB61_176
; %bb.175:
	v_div_scale_f64 v[206:207], null, v[204:205], v[204:205], v[202:203]
	v_div_scale_f64 v[212:213], vcc_lo, v[202:203], v[204:205], v[202:203]
	v_rcp_f64_e32 v[208:209], v[206:207]
	v_fma_f64 v[210:211], -v[206:207], v[208:209], 1.0
	v_fma_f64 v[208:209], v[208:209], v[210:211], v[208:209]
	v_fma_f64 v[210:211], -v[206:207], v[208:209], 1.0
	v_fma_f64 v[208:209], v[208:209], v[210:211], v[208:209]
	v_mul_f64 v[210:211], v[212:213], v[208:209]
	v_fma_f64 v[206:207], -v[206:207], v[210:211], v[212:213]
	v_div_fmas_f64 v[206:207], v[206:207], v[208:209], v[210:211]
	v_div_fixup_f64 v[206:207], v[206:207], v[204:205], v[202:203]
	v_fma_f64 v[202:203], v[202:203], v[206:207], v[204:205]
	v_div_scale_f64 v[204:205], null, v[202:203], v[202:203], 1.0
	v_rcp_f64_e32 v[208:209], v[204:205]
	v_fma_f64 v[210:211], -v[204:205], v[208:209], 1.0
	v_fma_f64 v[208:209], v[208:209], v[210:211], v[208:209]
	v_fma_f64 v[210:211], -v[204:205], v[208:209], 1.0
	v_fma_f64 v[208:209], v[208:209], v[210:211], v[208:209]
	v_div_scale_f64 v[210:211], vcc_lo, 1.0, v[202:203], 1.0
	v_mul_f64 v[212:213], v[210:211], v[208:209]
	v_fma_f64 v[204:205], -v[204:205], v[212:213], v[210:211]
	v_div_fmas_f64 v[204:205], v[204:205], v[208:209], v[212:213]
	v_div_fixup_f64 v[208:209], v[204:205], v[202:203], 1.0
                                        ; implicit-def: $vgpr202_vgpr203
	v_mul_f64 v[206:207], v[206:207], v[208:209]
	v_xor_b32_e32 v209, 0x80000000, v209
.LBB61_176:
	s_andn2_saveexec_b32 s1, s1
	s_cbranch_execz .LBB61_178
; %bb.177:
	v_div_scale_f64 v[206:207], null, v[202:203], v[202:203], v[204:205]
	v_div_scale_f64 v[212:213], vcc_lo, v[204:205], v[202:203], v[204:205]
	v_rcp_f64_e32 v[208:209], v[206:207]
	v_fma_f64 v[210:211], -v[206:207], v[208:209], 1.0
	v_fma_f64 v[208:209], v[208:209], v[210:211], v[208:209]
	v_fma_f64 v[210:211], -v[206:207], v[208:209], 1.0
	v_fma_f64 v[208:209], v[208:209], v[210:211], v[208:209]
	v_mul_f64 v[210:211], v[212:213], v[208:209]
	v_fma_f64 v[206:207], -v[206:207], v[210:211], v[212:213]
	v_div_fmas_f64 v[206:207], v[206:207], v[208:209], v[210:211]
	v_div_fixup_f64 v[208:209], v[206:207], v[202:203], v[204:205]
	v_fma_f64 v[202:203], v[204:205], v[208:209], v[202:203]
	v_div_scale_f64 v[204:205], null, v[202:203], v[202:203], 1.0
	v_rcp_f64_e32 v[206:207], v[204:205]
	v_fma_f64 v[210:211], -v[204:205], v[206:207], 1.0
	v_fma_f64 v[206:207], v[206:207], v[210:211], v[206:207]
	v_fma_f64 v[210:211], -v[204:205], v[206:207], 1.0
	v_fma_f64 v[206:207], v[206:207], v[210:211], v[206:207]
	v_div_scale_f64 v[210:211], vcc_lo, 1.0, v[202:203], 1.0
	v_mul_f64 v[212:213], v[210:211], v[206:207]
	v_fma_f64 v[204:205], -v[204:205], v[212:213], v[210:211]
	v_div_fmas_f64 v[204:205], v[204:205], v[206:207], v[212:213]
	v_div_fixup_f64 v[206:207], v[204:205], v[202:203], 1.0
	v_mul_f64 v[208:209], v[208:209], -v[206:207]
.LBB61_178:
	s_or_b32 exec_lo, exec_lo, s1
	ds_write2_b64 v5, v[206:207], v[208:209] offset1:1
.LBB61_179:
	s_or_b32 exec_lo, exec_lo, s2
	s_waitcnt lgkmcnt(0)
	s_barrier
	buffer_gl0_inv
	ds_read2_b64 v[202:205], v5 offset1:1
	s_mov_b32 s1, exec_lo
	v_cmpx_lt_u32_e32 19, v0
	s_cbranch_execz .LBB61_181
; %bb.180:
	s_waitcnt lgkmcnt(0)
	v_mul_f64 v[206:207], v[202:203], v[48:49]
	v_mul_f64 v[48:49], v[204:205], v[48:49]
	v_fma_f64 v[210:211], v[204:205], v[46:47], v[206:207]
	ds_read2_b64 v[206:209], v250 offset0:40 offset1:41
	v_fma_f64 v[46:47], v[202:203], v[46:47], -v[48:49]
	s_waitcnt lgkmcnt(0)
	v_mul_f64 v[48:49], v[208:209], v[210:211]
	v_fma_f64 v[48:49], v[206:207], v[46:47], -v[48:49]
	v_mul_f64 v[206:207], v[206:207], v[210:211]
	v_add_f64 v[42:43], v[42:43], -v[48:49]
	v_fma_f64 v[206:207], v[208:209], v[46:47], v[206:207]
	v_add_f64 v[44:45], v[44:45], -v[206:207]
	ds_read2_b64 v[206:209], v250 offset0:42 offset1:43
	s_waitcnt lgkmcnt(0)
	v_mul_f64 v[48:49], v[208:209], v[210:211]
	v_fma_f64 v[48:49], v[206:207], v[46:47], -v[48:49]
	v_mul_f64 v[206:207], v[206:207], v[210:211]
	v_add_f64 v[38:39], v[38:39], -v[48:49]
	v_fma_f64 v[206:207], v[208:209], v[46:47], v[206:207]
	v_add_f64 v[40:41], v[40:41], -v[206:207]
	ds_read2_b64 v[206:209], v250 offset0:44 offset1:45
	;; [unrolled: 8-line block ×10, first 2 shown]
	s_waitcnt lgkmcnt(0)
	v_mul_f64 v[48:49], v[208:209], v[210:211]
	v_fma_f64 v[48:49], v[206:207], v[46:47], -v[48:49]
	v_mul_f64 v[206:207], v[206:207], v[210:211]
	v_add_f64 v[1:2], v[1:2], -v[48:49]
	v_fma_f64 v[206:207], v[208:209], v[46:47], v[206:207]
	v_mov_b32_e32 v48, v210
	v_mov_b32_e32 v49, v211
	v_add_f64 v[3:4], v[3:4], -v[206:207]
.LBB61_181:
	s_or_b32 exec_lo, exec_lo, s1
	s_mov_b32 s2, exec_lo
	s_waitcnt lgkmcnt(0)
	s_barrier
	buffer_gl0_inv
	v_cmpx_eq_u32_e32 20, v0
	s_cbranch_execz .LBB61_188
; %bb.182:
	ds_write2_b64 v5, v[42:43], v[44:45] offset1:1
	ds_write2_b64 v250, v[38:39], v[40:41] offset0:42 offset1:43
	ds_write2_b64 v250, v[34:35], v[36:37] offset0:44 offset1:45
	;; [unrolled: 1-line block ×10, first 2 shown]
	ds_read2_b64 v[206:209], v5 offset1:1
	s_waitcnt lgkmcnt(0)
	v_cmp_neq_f64_e32 vcc_lo, 0, v[206:207]
	v_cmp_neq_f64_e64 s1, 0, v[208:209]
	s_or_b32 s1, vcc_lo, s1
	s_and_b32 exec_lo, exec_lo, s1
	s_cbranch_execz .LBB61_188
; %bb.183:
	v_cmp_ngt_f64_e64 s1, |v[206:207]|, |v[208:209]|
                                        ; implicit-def: $vgpr210_vgpr211
	s_and_saveexec_b32 s3, s1
	s_xor_b32 s1, exec_lo, s3
                                        ; implicit-def: $vgpr212_vgpr213
	s_cbranch_execz .LBB61_185
; %bb.184:
	v_div_scale_f64 v[210:211], null, v[208:209], v[208:209], v[206:207]
	v_div_scale_f64 v[216:217], vcc_lo, v[206:207], v[208:209], v[206:207]
	v_rcp_f64_e32 v[212:213], v[210:211]
	v_fma_f64 v[214:215], -v[210:211], v[212:213], 1.0
	v_fma_f64 v[212:213], v[212:213], v[214:215], v[212:213]
	v_fma_f64 v[214:215], -v[210:211], v[212:213], 1.0
	v_fma_f64 v[212:213], v[212:213], v[214:215], v[212:213]
	v_mul_f64 v[214:215], v[216:217], v[212:213]
	v_fma_f64 v[210:211], -v[210:211], v[214:215], v[216:217]
	v_div_fmas_f64 v[210:211], v[210:211], v[212:213], v[214:215]
	v_div_fixup_f64 v[210:211], v[210:211], v[208:209], v[206:207]
	v_fma_f64 v[206:207], v[206:207], v[210:211], v[208:209]
	v_div_scale_f64 v[208:209], null, v[206:207], v[206:207], 1.0
	v_rcp_f64_e32 v[212:213], v[208:209]
	v_fma_f64 v[214:215], -v[208:209], v[212:213], 1.0
	v_fma_f64 v[212:213], v[212:213], v[214:215], v[212:213]
	v_fma_f64 v[214:215], -v[208:209], v[212:213], 1.0
	v_fma_f64 v[212:213], v[212:213], v[214:215], v[212:213]
	v_div_scale_f64 v[214:215], vcc_lo, 1.0, v[206:207], 1.0
	v_mul_f64 v[216:217], v[214:215], v[212:213]
	v_fma_f64 v[208:209], -v[208:209], v[216:217], v[214:215]
	v_div_fmas_f64 v[208:209], v[208:209], v[212:213], v[216:217]
	v_div_fixup_f64 v[212:213], v[208:209], v[206:207], 1.0
                                        ; implicit-def: $vgpr206_vgpr207
	v_mul_f64 v[210:211], v[210:211], v[212:213]
	v_xor_b32_e32 v213, 0x80000000, v213
.LBB61_185:
	s_andn2_saveexec_b32 s1, s1
	s_cbranch_execz .LBB61_187
; %bb.186:
	v_div_scale_f64 v[210:211], null, v[206:207], v[206:207], v[208:209]
	v_div_scale_f64 v[216:217], vcc_lo, v[208:209], v[206:207], v[208:209]
	v_rcp_f64_e32 v[212:213], v[210:211]
	v_fma_f64 v[214:215], -v[210:211], v[212:213], 1.0
	v_fma_f64 v[212:213], v[212:213], v[214:215], v[212:213]
	v_fma_f64 v[214:215], -v[210:211], v[212:213], 1.0
	v_fma_f64 v[212:213], v[212:213], v[214:215], v[212:213]
	v_mul_f64 v[214:215], v[216:217], v[212:213]
	v_fma_f64 v[210:211], -v[210:211], v[214:215], v[216:217]
	v_div_fmas_f64 v[210:211], v[210:211], v[212:213], v[214:215]
	v_div_fixup_f64 v[212:213], v[210:211], v[206:207], v[208:209]
	v_fma_f64 v[206:207], v[208:209], v[212:213], v[206:207]
	v_div_scale_f64 v[208:209], null, v[206:207], v[206:207], 1.0
	v_rcp_f64_e32 v[210:211], v[208:209]
	v_fma_f64 v[214:215], -v[208:209], v[210:211], 1.0
	v_fma_f64 v[210:211], v[210:211], v[214:215], v[210:211]
	v_fma_f64 v[214:215], -v[208:209], v[210:211], 1.0
	v_fma_f64 v[210:211], v[210:211], v[214:215], v[210:211]
	v_div_scale_f64 v[214:215], vcc_lo, 1.0, v[206:207], 1.0
	v_mul_f64 v[216:217], v[214:215], v[210:211]
	v_fma_f64 v[208:209], -v[208:209], v[216:217], v[214:215]
	v_div_fmas_f64 v[208:209], v[208:209], v[210:211], v[216:217]
	v_div_fixup_f64 v[210:211], v[208:209], v[206:207], 1.0
	v_mul_f64 v[212:213], v[212:213], -v[210:211]
.LBB61_187:
	s_or_b32 exec_lo, exec_lo, s1
	ds_write2_b64 v5, v[210:211], v[212:213] offset1:1
.LBB61_188:
	s_or_b32 exec_lo, exec_lo, s2
	s_waitcnt lgkmcnt(0)
	s_barrier
	buffer_gl0_inv
	ds_read2_b64 v[206:209], v5 offset1:1
	s_mov_b32 s1, exec_lo
	v_cmpx_lt_u32_e32 20, v0
	s_cbranch_execz .LBB61_190
; %bb.189:
	s_waitcnt lgkmcnt(0)
	v_mul_f64 v[210:211], v[206:207], v[44:45]
	v_mul_f64 v[44:45], v[208:209], v[44:45]
	v_fma_f64 v[214:215], v[208:209], v[42:43], v[210:211]
	ds_read2_b64 v[210:213], v250 offset0:42 offset1:43
	v_fma_f64 v[42:43], v[206:207], v[42:43], -v[44:45]
	s_waitcnt lgkmcnt(0)
	v_mul_f64 v[44:45], v[212:213], v[214:215]
	v_fma_f64 v[44:45], v[210:211], v[42:43], -v[44:45]
	v_mul_f64 v[210:211], v[210:211], v[214:215]
	v_add_f64 v[38:39], v[38:39], -v[44:45]
	v_fma_f64 v[210:211], v[212:213], v[42:43], v[210:211]
	v_add_f64 v[40:41], v[40:41], -v[210:211]
	ds_read2_b64 v[210:213], v250 offset0:44 offset1:45
	s_waitcnt lgkmcnt(0)
	v_mul_f64 v[44:45], v[212:213], v[214:215]
	v_fma_f64 v[44:45], v[210:211], v[42:43], -v[44:45]
	v_mul_f64 v[210:211], v[210:211], v[214:215]
	v_add_f64 v[34:35], v[34:35], -v[44:45]
	v_fma_f64 v[210:211], v[212:213], v[42:43], v[210:211]
	v_add_f64 v[36:37], v[36:37], -v[210:211]
	ds_read2_b64 v[210:213], v250 offset0:46 offset1:47
	;; [unrolled: 8-line block ×9, first 2 shown]
	s_waitcnt lgkmcnt(0)
	v_mul_f64 v[44:45], v[212:213], v[214:215]
	v_fma_f64 v[44:45], v[210:211], v[42:43], -v[44:45]
	v_mul_f64 v[210:211], v[210:211], v[214:215]
	v_add_f64 v[1:2], v[1:2], -v[44:45]
	v_fma_f64 v[210:211], v[212:213], v[42:43], v[210:211]
	v_mov_b32_e32 v44, v214
	v_mov_b32_e32 v45, v215
	v_add_f64 v[3:4], v[3:4], -v[210:211]
.LBB61_190:
	s_or_b32 exec_lo, exec_lo, s1
	s_mov_b32 s2, exec_lo
	s_waitcnt lgkmcnt(0)
	s_barrier
	buffer_gl0_inv
	v_cmpx_eq_u32_e32 21, v0
	s_cbranch_execz .LBB61_197
; %bb.191:
	ds_write2_b64 v5, v[38:39], v[40:41] offset1:1
	ds_write2_b64 v250, v[34:35], v[36:37] offset0:44 offset1:45
	ds_write2_b64 v250, v[30:31], v[32:33] offset0:46 offset1:47
	;; [unrolled: 1-line block ×9, first 2 shown]
	ds_read2_b64 v[210:213], v5 offset1:1
	s_waitcnt lgkmcnt(0)
	v_cmp_neq_f64_e32 vcc_lo, 0, v[210:211]
	v_cmp_neq_f64_e64 s1, 0, v[212:213]
	s_or_b32 s1, vcc_lo, s1
	s_and_b32 exec_lo, exec_lo, s1
	s_cbranch_execz .LBB61_197
; %bb.192:
	v_cmp_ngt_f64_e64 s1, |v[210:211]|, |v[212:213]|
                                        ; implicit-def: $vgpr214_vgpr215
	s_and_saveexec_b32 s3, s1
	s_xor_b32 s1, exec_lo, s3
                                        ; implicit-def: $vgpr216_vgpr217
	s_cbranch_execz .LBB61_194
; %bb.193:
	v_div_scale_f64 v[214:215], null, v[212:213], v[212:213], v[210:211]
	v_div_scale_f64 v[220:221], vcc_lo, v[210:211], v[212:213], v[210:211]
	v_rcp_f64_e32 v[216:217], v[214:215]
	v_fma_f64 v[218:219], -v[214:215], v[216:217], 1.0
	v_fma_f64 v[216:217], v[216:217], v[218:219], v[216:217]
	v_fma_f64 v[218:219], -v[214:215], v[216:217], 1.0
	v_fma_f64 v[216:217], v[216:217], v[218:219], v[216:217]
	v_mul_f64 v[218:219], v[220:221], v[216:217]
	v_fma_f64 v[214:215], -v[214:215], v[218:219], v[220:221]
	v_div_fmas_f64 v[214:215], v[214:215], v[216:217], v[218:219]
	v_div_fixup_f64 v[214:215], v[214:215], v[212:213], v[210:211]
	v_fma_f64 v[210:211], v[210:211], v[214:215], v[212:213]
	v_div_scale_f64 v[212:213], null, v[210:211], v[210:211], 1.0
	v_rcp_f64_e32 v[216:217], v[212:213]
	v_fma_f64 v[218:219], -v[212:213], v[216:217], 1.0
	v_fma_f64 v[216:217], v[216:217], v[218:219], v[216:217]
	v_fma_f64 v[218:219], -v[212:213], v[216:217], 1.0
	v_fma_f64 v[216:217], v[216:217], v[218:219], v[216:217]
	v_div_scale_f64 v[218:219], vcc_lo, 1.0, v[210:211], 1.0
	v_mul_f64 v[220:221], v[218:219], v[216:217]
	v_fma_f64 v[212:213], -v[212:213], v[220:221], v[218:219]
	v_div_fmas_f64 v[212:213], v[212:213], v[216:217], v[220:221]
	v_div_fixup_f64 v[216:217], v[212:213], v[210:211], 1.0
                                        ; implicit-def: $vgpr210_vgpr211
	v_mul_f64 v[214:215], v[214:215], v[216:217]
	v_xor_b32_e32 v217, 0x80000000, v217
.LBB61_194:
	s_andn2_saveexec_b32 s1, s1
	s_cbranch_execz .LBB61_196
; %bb.195:
	v_div_scale_f64 v[214:215], null, v[210:211], v[210:211], v[212:213]
	v_div_scale_f64 v[220:221], vcc_lo, v[212:213], v[210:211], v[212:213]
	v_rcp_f64_e32 v[216:217], v[214:215]
	v_fma_f64 v[218:219], -v[214:215], v[216:217], 1.0
	v_fma_f64 v[216:217], v[216:217], v[218:219], v[216:217]
	v_fma_f64 v[218:219], -v[214:215], v[216:217], 1.0
	v_fma_f64 v[216:217], v[216:217], v[218:219], v[216:217]
	v_mul_f64 v[218:219], v[220:221], v[216:217]
	v_fma_f64 v[214:215], -v[214:215], v[218:219], v[220:221]
	v_div_fmas_f64 v[214:215], v[214:215], v[216:217], v[218:219]
	v_div_fixup_f64 v[216:217], v[214:215], v[210:211], v[212:213]
	v_fma_f64 v[210:211], v[212:213], v[216:217], v[210:211]
	v_div_scale_f64 v[212:213], null, v[210:211], v[210:211], 1.0
	v_rcp_f64_e32 v[214:215], v[212:213]
	v_fma_f64 v[218:219], -v[212:213], v[214:215], 1.0
	v_fma_f64 v[214:215], v[214:215], v[218:219], v[214:215]
	v_fma_f64 v[218:219], -v[212:213], v[214:215], 1.0
	v_fma_f64 v[214:215], v[214:215], v[218:219], v[214:215]
	v_div_scale_f64 v[218:219], vcc_lo, 1.0, v[210:211], 1.0
	v_mul_f64 v[220:221], v[218:219], v[214:215]
	v_fma_f64 v[212:213], -v[212:213], v[220:221], v[218:219]
	v_div_fmas_f64 v[212:213], v[212:213], v[214:215], v[220:221]
	v_div_fixup_f64 v[214:215], v[212:213], v[210:211], 1.0
	v_mul_f64 v[216:217], v[216:217], -v[214:215]
.LBB61_196:
	s_or_b32 exec_lo, exec_lo, s1
	ds_write2_b64 v5, v[214:215], v[216:217] offset1:1
.LBB61_197:
	s_or_b32 exec_lo, exec_lo, s2
	s_waitcnt lgkmcnt(0)
	s_barrier
	buffer_gl0_inv
	ds_read2_b64 v[210:213], v5 offset1:1
	s_mov_b32 s1, exec_lo
	v_cmpx_lt_u32_e32 21, v0
	s_cbranch_execz .LBB61_199
; %bb.198:
	s_waitcnt lgkmcnt(0)
	v_mul_f64 v[214:215], v[210:211], v[40:41]
	v_mul_f64 v[40:41], v[212:213], v[40:41]
	v_fma_f64 v[218:219], v[212:213], v[38:39], v[214:215]
	ds_read2_b64 v[214:217], v250 offset0:44 offset1:45
	v_fma_f64 v[38:39], v[210:211], v[38:39], -v[40:41]
	s_waitcnt lgkmcnt(0)
	v_mul_f64 v[40:41], v[216:217], v[218:219]
	v_fma_f64 v[40:41], v[214:215], v[38:39], -v[40:41]
	v_mul_f64 v[214:215], v[214:215], v[218:219]
	v_add_f64 v[34:35], v[34:35], -v[40:41]
	v_fma_f64 v[214:215], v[216:217], v[38:39], v[214:215]
	v_add_f64 v[36:37], v[36:37], -v[214:215]
	ds_read2_b64 v[214:217], v250 offset0:46 offset1:47
	s_waitcnt lgkmcnt(0)
	v_mul_f64 v[40:41], v[216:217], v[218:219]
	v_fma_f64 v[40:41], v[214:215], v[38:39], -v[40:41]
	v_mul_f64 v[214:215], v[214:215], v[218:219]
	v_add_f64 v[30:31], v[30:31], -v[40:41]
	v_fma_f64 v[214:215], v[216:217], v[38:39], v[214:215]
	v_add_f64 v[32:33], v[32:33], -v[214:215]
	ds_read2_b64 v[214:217], v250 offset0:48 offset1:49
	;; [unrolled: 8-line block ×8, first 2 shown]
	s_waitcnt lgkmcnt(0)
	v_mul_f64 v[40:41], v[216:217], v[218:219]
	v_fma_f64 v[40:41], v[214:215], v[38:39], -v[40:41]
	v_mul_f64 v[214:215], v[214:215], v[218:219]
	v_add_f64 v[1:2], v[1:2], -v[40:41]
	v_fma_f64 v[214:215], v[216:217], v[38:39], v[214:215]
	v_mov_b32_e32 v40, v218
	v_mov_b32_e32 v41, v219
	v_add_f64 v[3:4], v[3:4], -v[214:215]
.LBB61_199:
	s_or_b32 exec_lo, exec_lo, s1
	s_mov_b32 s2, exec_lo
	s_waitcnt lgkmcnt(0)
	s_barrier
	buffer_gl0_inv
	v_cmpx_eq_u32_e32 22, v0
	s_cbranch_execz .LBB61_206
; %bb.200:
	ds_write2_b64 v5, v[34:35], v[36:37] offset1:1
	ds_write2_b64 v250, v[30:31], v[32:33] offset0:46 offset1:47
	ds_write2_b64 v250, v[26:27], v[28:29] offset0:48 offset1:49
	;; [unrolled: 1-line block ×8, first 2 shown]
	ds_read2_b64 v[214:217], v5 offset1:1
	s_waitcnt lgkmcnt(0)
	v_cmp_neq_f64_e32 vcc_lo, 0, v[214:215]
	v_cmp_neq_f64_e64 s1, 0, v[216:217]
	s_or_b32 s1, vcc_lo, s1
	s_and_b32 exec_lo, exec_lo, s1
	s_cbranch_execz .LBB61_206
; %bb.201:
	v_cmp_ngt_f64_e64 s1, |v[214:215]|, |v[216:217]|
                                        ; implicit-def: $vgpr218_vgpr219
	s_and_saveexec_b32 s3, s1
	s_xor_b32 s1, exec_lo, s3
                                        ; implicit-def: $vgpr220_vgpr221
	s_cbranch_execz .LBB61_203
; %bb.202:
	v_div_scale_f64 v[218:219], null, v[216:217], v[216:217], v[214:215]
	v_div_scale_f64 v[224:225], vcc_lo, v[214:215], v[216:217], v[214:215]
	v_rcp_f64_e32 v[220:221], v[218:219]
	v_fma_f64 v[222:223], -v[218:219], v[220:221], 1.0
	v_fma_f64 v[220:221], v[220:221], v[222:223], v[220:221]
	v_fma_f64 v[222:223], -v[218:219], v[220:221], 1.0
	v_fma_f64 v[220:221], v[220:221], v[222:223], v[220:221]
	v_mul_f64 v[222:223], v[224:225], v[220:221]
	v_fma_f64 v[218:219], -v[218:219], v[222:223], v[224:225]
	v_div_fmas_f64 v[218:219], v[218:219], v[220:221], v[222:223]
	v_div_fixup_f64 v[218:219], v[218:219], v[216:217], v[214:215]
	v_fma_f64 v[214:215], v[214:215], v[218:219], v[216:217]
	v_div_scale_f64 v[216:217], null, v[214:215], v[214:215], 1.0
	v_rcp_f64_e32 v[220:221], v[216:217]
	v_fma_f64 v[222:223], -v[216:217], v[220:221], 1.0
	v_fma_f64 v[220:221], v[220:221], v[222:223], v[220:221]
	v_fma_f64 v[222:223], -v[216:217], v[220:221], 1.0
	v_fma_f64 v[220:221], v[220:221], v[222:223], v[220:221]
	v_div_scale_f64 v[222:223], vcc_lo, 1.0, v[214:215], 1.0
	v_mul_f64 v[224:225], v[222:223], v[220:221]
	v_fma_f64 v[216:217], -v[216:217], v[224:225], v[222:223]
	v_div_fmas_f64 v[216:217], v[216:217], v[220:221], v[224:225]
	v_div_fixup_f64 v[220:221], v[216:217], v[214:215], 1.0
                                        ; implicit-def: $vgpr214_vgpr215
	v_mul_f64 v[218:219], v[218:219], v[220:221]
	v_xor_b32_e32 v221, 0x80000000, v221
.LBB61_203:
	s_andn2_saveexec_b32 s1, s1
	s_cbranch_execz .LBB61_205
; %bb.204:
	v_div_scale_f64 v[218:219], null, v[214:215], v[214:215], v[216:217]
	v_div_scale_f64 v[224:225], vcc_lo, v[216:217], v[214:215], v[216:217]
	v_rcp_f64_e32 v[220:221], v[218:219]
	v_fma_f64 v[222:223], -v[218:219], v[220:221], 1.0
	v_fma_f64 v[220:221], v[220:221], v[222:223], v[220:221]
	v_fma_f64 v[222:223], -v[218:219], v[220:221], 1.0
	v_fma_f64 v[220:221], v[220:221], v[222:223], v[220:221]
	v_mul_f64 v[222:223], v[224:225], v[220:221]
	v_fma_f64 v[218:219], -v[218:219], v[222:223], v[224:225]
	v_div_fmas_f64 v[218:219], v[218:219], v[220:221], v[222:223]
	v_div_fixup_f64 v[220:221], v[218:219], v[214:215], v[216:217]
	v_fma_f64 v[214:215], v[216:217], v[220:221], v[214:215]
	v_div_scale_f64 v[216:217], null, v[214:215], v[214:215], 1.0
	v_rcp_f64_e32 v[218:219], v[216:217]
	v_fma_f64 v[222:223], -v[216:217], v[218:219], 1.0
	v_fma_f64 v[218:219], v[218:219], v[222:223], v[218:219]
	v_fma_f64 v[222:223], -v[216:217], v[218:219], 1.0
	v_fma_f64 v[218:219], v[218:219], v[222:223], v[218:219]
	v_div_scale_f64 v[222:223], vcc_lo, 1.0, v[214:215], 1.0
	v_mul_f64 v[224:225], v[222:223], v[218:219]
	v_fma_f64 v[216:217], -v[216:217], v[224:225], v[222:223]
	v_div_fmas_f64 v[216:217], v[216:217], v[218:219], v[224:225]
	v_div_fixup_f64 v[218:219], v[216:217], v[214:215], 1.0
	v_mul_f64 v[220:221], v[220:221], -v[218:219]
.LBB61_205:
	s_or_b32 exec_lo, exec_lo, s1
	ds_write2_b64 v5, v[218:219], v[220:221] offset1:1
.LBB61_206:
	s_or_b32 exec_lo, exec_lo, s2
	s_waitcnt lgkmcnt(0)
	s_barrier
	buffer_gl0_inv
	ds_read2_b64 v[214:217], v5 offset1:1
	s_mov_b32 s1, exec_lo
	v_cmpx_lt_u32_e32 22, v0
	s_cbranch_execz .LBB61_208
; %bb.207:
	s_waitcnt lgkmcnt(0)
	v_mul_f64 v[218:219], v[214:215], v[36:37]
	v_mul_f64 v[36:37], v[216:217], v[36:37]
	v_fma_f64 v[222:223], v[216:217], v[34:35], v[218:219]
	ds_read2_b64 v[218:221], v250 offset0:46 offset1:47
	v_fma_f64 v[34:35], v[214:215], v[34:35], -v[36:37]
	s_waitcnt lgkmcnt(0)
	v_mul_f64 v[36:37], v[220:221], v[222:223]
	v_fma_f64 v[36:37], v[218:219], v[34:35], -v[36:37]
	v_mul_f64 v[218:219], v[218:219], v[222:223]
	v_add_f64 v[30:31], v[30:31], -v[36:37]
	v_fma_f64 v[218:219], v[220:221], v[34:35], v[218:219]
	v_add_f64 v[32:33], v[32:33], -v[218:219]
	ds_read2_b64 v[218:221], v250 offset0:48 offset1:49
	s_waitcnt lgkmcnt(0)
	v_mul_f64 v[36:37], v[220:221], v[222:223]
	v_fma_f64 v[36:37], v[218:219], v[34:35], -v[36:37]
	v_mul_f64 v[218:219], v[218:219], v[222:223]
	v_add_f64 v[26:27], v[26:27], -v[36:37]
	v_fma_f64 v[218:219], v[220:221], v[34:35], v[218:219]
	v_add_f64 v[28:29], v[28:29], -v[218:219]
	ds_read2_b64 v[218:221], v250 offset0:50 offset1:51
	;; [unrolled: 8-line block ×7, first 2 shown]
	s_waitcnt lgkmcnt(0)
	v_mul_f64 v[36:37], v[220:221], v[222:223]
	v_fma_f64 v[36:37], v[218:219], v[34:35], -v[36:37]
	v_mul_f64 v[218:219], v[218:219], v[222:223]
	v_add_f64 v[1:2], v[1:2], -v[36:37]
	v_fma_f64 v[218:219], v[220:221], v[34:35], v[218:219]
	v_mov_b32_e32 v36, v222
	v_mov_b32_e32 v37, v223
	v_add_f64 v[3:4], v[3:4], -v[218:219]
.LBB61_208:
	s_or_b32 exec_lo, exec_lo, s1
	s_mov_b32 s2, exec_lo
	s_waitcnt lgkmcnt(0)
	s_barrier
	buffer_gl0_inv
	v_cmpx_eq_u32_e32 23, v0
	s_cbranch_execz .LBB61_215
; %bb.209:
	ds_write2_b64 v5, v[30:31], v[32:33] offset1:1
	ds_write2_b64 v250, v[26:27], v[28:29] offset0:48 offset1:49
	ds_write2_b64 v250, v[22:23], v[24:25] offset0:50 offset1:51
	;; [unrolled: 1-line block ×7, first 2 shown]
	ds_read2_b64 v[218:221], v5 offset1:1
	s_waitcnt lgkmcnt(0)
	v_cmp_neq_f64_e32 vcc_lo, 0, v[218:219]
	v_cmp_neq_f64_e64 s1, 0, v[220:221]
	s_or_b32 s1, vcc_lo, s1
	s_and_b32 exec_lo, exec_lo, s1
	s_cbranch_execz .LBB61_215
; %bb.210:
	v_cmp_ngt_f64_e64 s1, |v[218:219]|, |v[220:221]|
                                        ; implicit-def: $vgpr222_vgpr223
	s_and_saveexec_b32 s3, s1
	s_xor_b32 s1, exec_lo, s3
                                        ; implicit-def: $vgpr224_vgpr225
	s_cbranch_execz .LBB61_212
; %bb.211:
	v_div_scale_f64 v[222:223], null, v[220:221], v[220:221], v[218:219]
	v_div_scale_f64 v[228:229], vcc_lo, v[218:219], v[220:221], v[218:219]
	v_rcp_f64_e32 v[224:225], v[222:223]
	v_fma_f64 v[226:227], -v[222:223], v[224:225], 1.0
	v_fma_f64 v[224:225], v[224:225], v[226:227], v[224:225]
	v_fma_f64 v[226:227], -v[222:223], v[224:225], 1.0
	v_fma_f64 v[224:225], v[224:225], v[226:227], v[224:225]
	v_mul_f64 v[226:227], v[228:229], v[224:225]
	v_fma_f64 v[222:223], -v[222:223], v[226:227], v[228:229]
	v_div_fmas_f64 v[222:223], v[222:223], v[224:225], v[226:227]
	v_div_fixup_f64 v[222:223], v[222:223], v[220:221], v[218:219]
	v_fma_f64 v[218:219], v[218:219], v[222:223], v[220:221]
	v_div_scale_f64 v[220:221], null, v[218:219], v[218:219], 1.0
	v_rcp_f64_e32 v[224:225], v[220:221]
	v_fma_f64 v[226:227], -v[220:221], v[224:225], 1.0
	v_fma_f64 v[224:225], v[224:225], v[226:227], v[224:225]
	v_fma_f64 v[226:227], -v[220:221], v[224:225], 1.0
	v_fma_f64 v[224:225], v[224:225], v[226:227], v[224:225]
	v_div_scale_f64 v[226:227], vcc_lo, 1.0, v[218:219], 1.0
	v_mul_f64 v[228:229], v[226:227], v[224:225]
	v_fma_f64 v[220:221], -v[220:221], v[228:229], v[226:227]
	v_div_fmas_f64 v[220:221], v[220:221], v[224:225], v[228:229]
	v_div_fixup_f64 v[224:225], v[220:221], v[218:219], 1.0
                                        ; implicit-def: $vgpr218_vgpr219
	v_mul_f64 v[222:223], v[222:223], v[224:225]
	v_xor_b32_e32 v225, 0x80000000, v225
.LBB61_212:
	s_andn2_saveexec_b32 s1, s1
	s_cbranch_execz .LBB61_214
; %bb.213:
	v_div_scale_f64 v[222:223], null, v[218:219], v[218:219], v[220:221]
	v_div_scale_f64 v[228:229], vcc_lo, v[220:221], v[218:219], v[220:221]
	v_rcp_f64_e32 v[224:225], v[222:223]
	v_fma_f64 v[226:227], -v[222:223], v[224:225], 1.0
	v_fma_f64 v[224:225], v[224:225], v[226:227], v[224:225]
	v_fma_f64 v[226:227], -v[222:223], v[224:225], 1.0
	v_fma_f64 v[224:225], v[224:225], v[226:227], v[224:225]
	v_mul_f64 v[226:227], v[228:229], v[224:225]
	v_fma_f64 v[222:223], -v[222:223], v[226:227], v[228:229]
	v_div_fmas_f64 v[222:223], v[222:223], v[224:225], v[226:227]
	v_div_fixup_f64 v[224:225], v[222:223], v[218:219], v[220:221]
	v_fma_f64 v[218:219], v[220:221], v[224:225], v[218:219]
	v_div_scale_f64 v[220:221], null, v[218:219], v[218:219], 1.0
	v_rcp_f64_e32 v[222:223], v[220:221]
	v_fma_f64 v[226:227], -v[220:221], v[222:223], 1.0
	v_fma_f64 v[222:223], v[222:223], v[226:227], v[222:223]
	v_fma_f64 v[226:227], -v[220:221], v[222:223], 1.0
	v_fma_f64 v[222:223], v[222:223], v[226:227], v[222:223]
	v_div_scale_f64 v[226:227], vcc_lo, 1.0, v[218:219], 1.0
	v_mul_f64 v[228:229], v[226:227], v[222:223]
	v_fma_f64 v[220:221], -v[220:221], v[228:229], v[226:227]
	v_div_fmas_f64 v[220:221], v[220:221], v[222:223], v[228:229]
	v_div_fixup_f64 v[222:223], v[220:221], v[218:219], 1.0
	v_mul_f64 v[224:225], v[224:225], -v[222:223]
.LBB61_214:
	s_or_b32 exec_lo, exec_lo, s1
	ds_write2_b64 v5, v[222:223], v[224:225] offset1:1
.LBB61_215:
	s_or_b32 exec_lo, exec_lo, s2
	s_waitcnt lgkmcnt(0)
	s_barrier
	buffer_gl0_inv
	ds_read2_b64 v[218:221], v5 offset1:1
	s_mov_b32 s1, exec_lo
	v_cmpx_lt_u32_e32 23, v0
	s_cbranch_execz .LBB61_217
; %bb.216:
	s_waitcnt lgkmcnt(0)
	v_mul_f64 v[222:223], v[218:219], v[32:33]
	v_mul_f64 v[32:33], v[220:221], v[32:33]
	v_fma_f64 v[226:227], v[220:221], v[30:31], v[222:223]
	ds_read2_b64 v[222:225], v250 offset0:48 offset1:49
	v_fma_f64 v[30:31], v[218:219], v[30:31], -v[32:33]
	s_waitcnt lgkmcnt(0)
	v_mul_f64 v[32:33], v[224:225], v[226:227]
	v_fma_f64 v[32:33], v[222:223], v[30:31], -v[32:33]
	v_mul_f64 v[222:223], v[222:223], v[226:227]
	v_add_f64 v[26:27], v[26:27], -v[32:33]
	v_fma_f64 v[222:223], v[224:225], v[30:31], v[222:223]
	v_add_f64 v[28:29], v[28:29], -v[222:223]
	ds_read2_b64 v[222:225], v250 offset0:50 offset1:51
	s_waitcnt lgkmcnt(0)
	v_mul_f64 v[32:33], v[224:225], v[226:227]
	v_fma_f64 v[32:33], v[222:223], v[30:31], -v[32:33]
	v_mul_f64 v[222:223], v[222:223], v[226:227]
	v_add_f64 v[22:23], v[22:23], -v[32:33]
	v_fma_f64 v[222:223], v[224:225], v[30:31], v[222:223]
	v_add_f64 v[24:25], v[24:25], -v[222:223]
	ds_read2_b64 v[222:225], v250 offset0:52 offset1:53
	;; [unrolled: 8-line block ×6, first 2 shown]
	s_waitcnt lgkmcnt(0)
	v_mul_f64 v[32:33], v[224:225], v[226:227]
	v_fma_f64 v[32:33], v[222:223], v[30:31], -v[32:33]
	v_mul_f64 v[222:223], v[222:223], v[226:227]
	v_add_f64 v[1:2], v[1:2], -v[32:33]
	v_fma_f64 v[222:223], v[224:225], v[30:31], v[222:223]
	v_mov_b32_e32 v32, v226
	v_mov_b32_e32 v33, v227
	v_add_f64 v[3:4], v[3:4], -v[222:223]
.LBB61_217:
	s_or_b32 exec_lo, exec_lo, s1
	s_mov_b32 s2, exec_lo
	s_waitcnt lgkmcnt(0)
	s_barrier
	buffer_gl0_inv
	v_cmpx_eq_u32_e32 24, v0
	s_cbranch_execz .LBB61_224
; %bb.218:
	ds_write2_b64 v5, v[26:27], v[28:29] offset1:1
	ds_write2_b64 v250, v[22:23], v[24:25] offset0:50 offset1:51
	ds_write2_b64 v250, v[18:19], v[20:21] offset0:52 offset1:53
	;; [unrolled: 1-line block ×6, first 2 shown]
	ds_read2_b64 v[222:225], v5 offset1:1
	s_waitcnt lgkmcnt(0)
	v_cmp_neq_f64_e32 vcc_lo, 0, v[222:223]
	v_cmp_neq_f64_e64 s1, 0, v[224:225]
	s_or_b32 s1, vcc_lo, s1
	s_and_b32 exec_lo, exec_lo, s1
	s_cbranch_execz .LBB61_224
; %bb.219:
	v_cmp_ngt_f64_e64 s1, |v[222:223]|, |v[224:225]|
                                        ; implicit-def: $vgpr226_vgpr227
	s_and_saveexec_b32 s3, s1
	s_xor_b32 s1, exec_lo, s3
                                        ; implicit-def: $vgpr228_vgpr229
	s_cbranch_execz .LBB61_221
; %bb.220:
	v_div_scale_f64 v[226:227], null, v[224:225], v[224:225], v[222:223]
	v_div_scale_f64 v[232:233], vcc_lo, v[222:223], v[224:225], v[222:223]
	v_rcp_f64_e32 v[228:229], v[226:227]
	v_fma_f64 v[230:231], -v[226:227], v[228:229], 1.0
	v_fma_f64 v[228:229], v[228:229], v[230:231], v[228:229]
	v_fma_f64 v[230:231], -v[226:227], v[228:229], 1.0
	v_fma_f64 v[228:229], v[228:229], v[230:231], v[228:229]
	v_mul_f64 v[230:231], v[232:233], v[228:229]
	v_fma_f64 v[226:227], -v[226:227], v[230:231], v[232:233]
	v_div_fmas_f64 v[226:227], v[226:227], v[228:229], v[230:231]
	v_div_fixup_f64 v[226:227], v[226:227], v[224:225], v[222:223]
	v_fma_f64 v[222:223], v[222:223], v[226:227], v[224:225]
	v_div_scale_f64 v[224:225], null, v[222:223], v[222:223], 1.0
	v_rcp_f64_e32 v[228:229], v[224:225]
	v_fma_f64 v[230:231], -v[224:225], v[228:229], 1.0
	v_fma_f64 v[228:229], v[228:229], v[230:231], v[228:229]
	v_fma_f64 v[230:231], -v[224:225], v[228:229], 1.0
	v_fma_f64 v[228:229], v[228:229], v[230:231], v[228:229]
	v_div_scale_f64 v[230:231], vcc_lo, 1.0, v[222:223], 1.0
	v_mul_f64 v[232:233], v[230:231], v[228:229]
	v_fma_f64 v[224:225], -v[224:225], v[232:233], v[230:231]
	v_div_fmas_f64 v[224:225], v[224:225], v[228:229], v[232:233]
	v_div_fixup_f64 v[228:229], v[224:225], v[222:223], 1.0
                                        ; implicit-def: $vgpr222_vgpr223
	v_mul_f64 v[226:227], v[226:227], v[228:229]
	v_xor_b32_e32 v229, 0x80000000, v229
.LBB61_221:
	s_andn2_saveexec_b32 s1, s1
	s_cbranch_execz .LBB61_223
; %bb.222:
	v_div_scale_f64 v[226:227], null, v[222:223], v[222:223], v[224:225]
	v_div_scale_f64 v[232:233], vcc_lo, v[224:225], v[222:223], v[224:225]
	v_rcp_f64_e32 v[228:229], v[226:227]
	v_fma_f64 v[230:231], -v[226:227], v[228:229], 1.0
	v_fma_f64 v[228:229], v[228:229], v[230:231], v[228:229]
	v_fma_f64 v[230:231], -v[226:227], v[228:229], 1.0
	v_fma_f64 v[228:229], v[228:229], v[230:231], v[228:229]
	v_mul_f64 v[230:231], v[232:233], v[228:229]
	v_fma_f64 v[226:227], -v[226:227], v[230:231], v[232:233]
	v_div_fmas_f64 v[226:227], v[226:227], v[228:229], v[230:231]
	v_div_fixup_f64 v[228:229], v[226:227], v[222:223], v[224:225]
	v_fma_f64 v[222:223], v[224:225], v[228:229], v[222:223]
	v_div_scale_f64 v[224:225], null, v[222:223], v[222:223], 1.0
	v_rcp_f64_e32 v[226:227], v[224:225]
	v_fma_f64 v[230:231], -v[224:225], v[226:227], 1.0
	v_fma_f64 v[226:227], v[226:227], v[230:231], v[226:227]
	v_fma_f64 v[230:231], -v[224:225], v[226:227], 1.0
	v_fma_f64 v[226:227], v[226:227], v[230:231], v[226:227]
	v_div_scale_f64 v[230:231], vcc_lo, 1.0, v[222:223], 1.0
	v_mul_f64 v[232:233], v[230:231], v[226:227]
	v_fma_f64 v[224:225], -v[224:225], v[232:233], v[230:231]
	v_div_fmas_f64 v[224:225], v[224:225], v[226:227], v[232:233]
	v_div_fixup_f64 v[226:227], v[224:225], v[222:223], 1.0
	v_mul_f64 v[228:229], v[228:229], -v[226:227]
.LBB61_223:
	s_or_b32 exec_lo, exec_lo, s1
	ds_write2_b64 v5, v[226:227], v[228:229] offset1:1
.LBB61_224:
	s_or_b32 exec_lo, exec_lo, s2
	s_waitcnt lgkmcnt(0)
	s_barrier
	buffer_gl0_inv
	ds_read2_b64 v[222:225], v5 offset1:1
	s_mov_b32 s1, exec_lo
	v_cmpx_lt_u32_e32 24, v0
	s_cbranch_execz .LBB61_226
; %bb.225:
	s_waitcnt lgkmcnt(0)
	v_mul_f64 v[226:227], v[222:223], v[28:29]
	v_mul_f64 v[28:29], v[224:225], v[28:29]
	v_fma_f64 v[230:231], v[224:225], v[26:27], v[226:227]
	ds_read2_b64 v[226:229], v250 offset0:50 offset1:51
	v_fma_f64 v[26:27], v[222:223], v[26:27], -v[28:29]
	s_waitcnt lgkmcnt(0)
	v_mul_f64 v[28:29], v[228:229], v[230:231]
	v_fma_f64 v[28:29], v[226:227], v[26:27], -v[28:29]
	v_mul_f64 v[226:227], v[226:227], v[230:231]
	v_add_f64 v[22:23], v[22:23], -v[28:29]
	v_fma_f64 v[226:227], v[228:229], v[26:27], v[226:227]
	v_add_f64 v[24:25], v[24:25], -v[226:227]
	ds_read2_b64 v[226:229], v250 offset0:52 offset1:53
	s_waitcnt lgkmcnt(0)
	v_mul_f64 v[28:29], v[228:229], v[230:231]
	v_fma_f64 v[28:29], v[226:227], v[26:27], -v[28:29]
	v_mul_f64 v[226:227], v[226:227], v[230:231]
	v_add_f64 v[18:19], v[18:19], -v[28:29]
	v_fma_f64 v[226:227], v[228:229], v[26:27], v[226:227]
	v_add_f64 v[20:21], v[20:21], -v[226:227]
	ds_read2_b64 v[226:229], v250 offset0:54 offset1:55
	;; [unrolled: 8-line block ×5, first 2 shown]
	s_waitcnt lgkmcnt(0)
	v_mul_f64 v[28:29], v[228:229], v[230:231]
	v_fma_f64 v[28:29], v[226:227], v[26:27], -v[28:29]
	v_mul_f64 v[226:227], v[226:227], v[230:231]
	v_add_f64 v[1:2], v[1:2], -v[28:29]
	v_fma_f64 v[226:227], v[228:229], v[26:27], v[226:227]
	v_mov_b32_e32 v28, v230
	v_mov_b32_e32 v29, v231
	v_add_f64 v[3:4], v[3:4], -v[226:227]
.LBB61_226:
	s_or_b32 exec_lo, exec_lo, s1
	s_mov_b32 s2, exec_lo
	s_waitcnt lgkmcnt(0)
	s_barrier
	buffer_gl0_inv
	v_cmpx_eq_u32_e32 25, v0
	s_cbranch_execz .LBB61_233
; %bb.227:
	ds_write2_b64 v5, v[22:23], v[24:25] offset1:1
	ds_write2_b64 v250, v[18:19], v[20:21] offset0:52 offset1:53
	ds_write2_b64 v250, v[14:15], v[16:17] offset0:54 offset1:55
	;; [unrolled: 1-line block ×5, first 2 shown]
	ds_read2_b64 v[226:229], v5 offset1:1
	s_waitcnt lgkmcnt(0)
	v_cmp_neq_f64_e32 vcc_lo, 0, v[226:227]
	v_cmp_neq_f64_e64 s1, 0, v[228:229]
	s_or_b32 s1, vcc_lo, s1
	s_and_b32 exec_lo, exec_lo, s1
	s_cbranch_execz .LBB61_233
; %bb.228:
	v_cmp_ngt_f64_e64 s1, |v[226:227]|, |v[228:229]|
                                        ; implicit-def: $vgpr230_vgpr231
	s_and_saveexec_b32 s3, s1
	s_xor_b32 s1, exec_lo, s3
                                        ; implicit-def: $vgpr232_vgpr233
	s_cbranch_execz .LBB61_230
; %bb.229:
	v_div_scale_f64 v[230:231], null, v[228:229], v[228:229], v[226:227]
	v_div_scale_f64 v[236:237], vcc_lo, v[226:227], v[228:229], v[226:227]
	v_rcp_f64_e32 v[232:233], v[230:231]
	v_fma_f64 v[234:235], -v[230:231], v[232:233], 1.0
	v_fma_f64 v[232:233], v[232:233], v[234:235], v[232:233]
	v_fma_f64 v[234:235], -v[230:231], v[232:233], 1.0
	v_fma_f64 v[232:233], v[232:233], v[234:235], v[232:233]
	v_mul_f64 v[234:235], v[236:237], v[232:233]
	v_fma_f64 v[230:231], -v[230:231], v[234:235], v[236:237]
	v_div_fmas_f64 v[230:231], v[230:231], v[232:233], v[234:235]
	v_div_fixup_f64 v[230:231], v[230:231], v[228:229], v[226:227]
	v_fma_f64 v[226:227], v[226:227], v[230:231], v[228:229]
	v_div_scale_f64 v[228:229], null, v[226:227], v[226:227], 1.0
	v_rcp_f64_e32 v[232:233], v[228:229]
	v_fma_f64 v[234:235], -v[228:229], v[232:233], 1.0
	v_fma_f64 v[232:233], v[232:233], v[234:235], v[232:233]
	v_fma_f64 v[234:235], -v[228:229], v[232:233], 1.0
	v_fma_f64 v[232:233], v[232:233], v[234:235], v[232:233]
	v_div_scale_f64 v[234:235], vcc_lo, 1.0, v[226:227], 1.0
	v_mul_f64 v[236:237], v[234:235], v[232:233]
	v_fma_f64 v[228:229], -v[228:229], v[236:237], v[234:235]
	v_div_fmas_f64 v[228:229], v[228:229], v[232:233], v[236:237]
	v_div_fixup_f64 v[232:233], v[228:229], v[226:227], 1.0
                                        ; implicit-def: $vgpr226_vgpr227
	v_mul_f64 v[230:231], v[230:231], v[232:233]
	v_xor_b32_e32 v233, 0x80000000, v233
.LBB61_230:
	s_andn2_saveexec_b32 s1, s1
	s_cbranch_execz .LBB61_232
; %bb.231:
	v_div_scale_f64 v[230:231], null, v[226:227], v[226:227], v[228:229]
	v_div_scale_f64 v[236:237], vcc_lo, v[228:229], v[226:227], v[228:229]
	v_rcp_f64_e32 v[232:233], v[230:231]
	v_fma_f64 v[234:235], -v[230:231], v[232:233], 1.0
	v_fma_f64 v[232:233], v[232:233], v[234:235], v[232:233]
	v_fma_f64 v[234:235], -v[230:231], v[232:233], 1.0
	v_fma_f64 v[232:233], v[232:233], v[234:235], v[232:233]
	v_mul_f64 v[234:235], v[236:237], v[232:233]
	v_fma_f64 v[230:231], -v[230:231], v[234:235], v[236:237]
	v_div_fmas_f64 v[230:231], v[230:231], v[232:233], v[234:235]
	v_div_fixup_f64 v[232:233], v[230:231], v[226:227], v[228:229]
	v_fma_f64 v[226:227], v[228:229], v[232:233], v[226:227]
	v_div_scale_f64 v[228:229], null, v[226:227], v[226:227], 1.0
	v_rcp_f64_e32 v[230:231], v[228:229]
	v_fma_f64 v[234:235], -v[228:229], v[230:231], 1.0
	v_fma_f64 v[230:231], v[230:231], v[234:235], v[230:231]
	v_fma_f64 v[234:235], -v[228:229], v[230:231], 1.0
	v_fma_f64 v[230:231], v[230:231], v[234:235], v[230:231]
	v_div_scale_f64 v[234:235], vcc_lo, 1.0, v[226:227], 1.0
	v_mul_f64 v[236:237], v[234:235], v[230:231]
	v_fma_f64 v[228:229], -v[228:229], v[236:237], v[234:235]
	v_div_fmas_f64 v[228:229], v[228:229], v[230:231], v[236:237]
	v_div_fixup_f64 v[230:231], v[228:229], v[226:227], 1.0
	v_mul_f64 v[232:233], v[232:233], -v[230:231]
.LBB61_232:
	s_or_b32 exec_lo, exec_lo, s1
	ds_write2_b64 v5, v[230:231], v[232:233] offset1:1
.LBB61_233:
	s_or_b32 exec_lo, exec_lo, s2
	s_waitcnt lgkmcnt(0)
	s_barrier
	buffer_gl0_inv
	ds_read2_b64 v[226:229], v5 offset1:1
	s_mov_b32 s1, exec_lo
	v_cmpx_lt_u32_e32 25, v0
	s_cbranch_execz .LBB61_235
; %bb.234:
	s_waitcnt lgkmcnt(0)
	v_mul_f64 v[230:231], v[226:227], v[24:25]
	v_mul_f64 v[24:25], v[228:229], v[24:25]
	v_fma_f64 v[234:235], v[228:229], v[22:23], v[230:231]
	ds_read2_b64 v[230:233], v250 offset0:52 offset1:53
	v_fma_f64 v[22:23], v[226:227], v[22:23], -v[24:25]
	s_waitcnt lgkmcnt(0)
	v_mul_f64 v[24:25], v[232:233], v[234:235]
	v_fma_f64 v[24:25], v[230:231], v[22:23], -v[24:25]
	v_mul_f64 v[230:231], v[230:231], v[234:235]
	v_add_f64 v[18:19], v[18:19], -v[24:25]
	v_fma_f64 v[230:231], v[232:233], v[22:23], v[230:231]
	v_add_f64 v[20:21], v[20:21], -v[230:231]
	ds_read2_b64 v[230:233], v250 offset0:54 offset1:55
	s_waitcnt lgkmcnt(0)
	v_mul_f64 v[24:25], v[232:233], v[234:235]
	v_fma_f64 v[24:25], v[230:231], v[22:23], -v[24:25]
	v_mul_f64 v[230:231], v[230:231], v[234:235]
	v_add_f64 v[14:15], v[14:15], -v[24:25]
	v_fma_f64 v[230:231], v[232:233], v[22:23], v[230:231]
	v_add_f64 v[16:17], v[16:17], -v[230:231]
	ds_read2_b64 v[230:233], v250 offset0:56 offset1:57
	;; [unrolled: 8-line block ×4, first 2 shown]
	s_waitcnt lgkmcnt(0)
	v_mul_f64 v[24:25], v[232:233], v[234:235]
	v_fma_f64 v[24:25], v[230:231], v[22:23], -v[24:25]
	v_mul_f64 v[230:231], v[230:231], v[234:235]
	v_add_f64 v[1:2], v[1:2], -v[24:25]
	v_fma_f64 v[230:231], v[232:233], v[22:23], v[230:231]
	v_mov_b32_e32 v24, v234
	v_mov_b32_e32 v25, v235
	v_add_f64 v[3:4], v[3:4], -v[230:231]
.LBB61_235:
	s_or_b32 exec_lo, exec_lo, s1
	s_mov_b32 s2, exec_lo
	s_waitcnt lgkmcnt(0)
	s_barrier
	buffer_gl0_inv
	v_cmpx_eq_u32_e32 26, v0
	s_cbranch_execz .LBB61_242
; %bb.236:
	ds_write2_b64 v5, v[18:19], v[20:21] offset1:1
	ds_write2_b64 v250, v[14:15], v[16:17] offset0:54 offset1:55
	ds_write2_b64 v250, v[10:11], v[12:13] offset0:56 offset1:57
	;; [unrolled: 1-line block ×4, first 2 shown]
	ds_read2_b64 v[230:233], v5 offset1:1
	s_waitcnt lgkmcnt(0)
	v_cmp_neq_f64_e32 vcc_lo, 0, v[230:231]
	v_cmp_neq_f64_e64 s1, 0, v[232:233]
	s_or_b32 s1, vcc_lo, s1
	s_and_b32 exec_lo, exec_lo, s1
	s_cbranch_execz .LBB61_242
; %bb.237:
	v_cmp_ngt_f64_e64 s1, |v[230:231]|, |v[232:233]|
                                        ; implicit-def: $vgpr234_vgpr235
	s_and_saveexec_b32 s3, s1
	s_xor_b32 s1, exec_lo, s3
                                        ; implicit-def: $vgpr236_vgpr237
	s_cbranch_execz .LBB61_239
; %bb.238:
	v_div_scale_f64 v[234:235], null, v[232:233], v[232:233], v[230:231]
	v_div_scale_f64 v[240:241], vcc_lo, v[230:231], v[232:233], v[230:231]
	v_rcp_f64_e32 v[236:237], v[234:235]
	v_fma_f64 v[238:239], -v[234:235], v[236:237], 1.0
	v_fma_f64 v[236:237], v[236:237], v[238:239], v[236:237]
	v_fma_f64 v[238:239], -v[234:235], v[236:237], 1.0
	v_fma_f64 v[236:237], v[236:237], v[238:239], v[236:237]
	v_mul_f64 v[238:239], v[240:241], v[236:237]
	v_fma_f64 v[234:235], -v[234:235], v[238:239], v[240:241]
	v_div_fmas_f64 v[234:235], v[234:235], v[236:237], v[238:239]
	v_div_fixup_f64 v[234:235], v[234:235], v[232:233], v[230:231]
	v_fma_f64 v[230:231], v[230:231], v[234:235], v[232:233]
	v_div_scale_f64 v[232:233], null, v[230:231], v[230:231], 1.0
	v_rcp_f64_e32 v[236:237], v[232:233]
	v_fma_f64 v[238:239], -v[232:233], v[236:237], 1.0
	v_fma_f64 v[236:237], v[236:237], v[238:239], v[236:237]
	v_fma_f64 v[238:239], -v[232:233], v[236:237], 1.0
	v_fma_f64 v[236:237], v[236:237], v[238:239], v[236:237]
	v_div_scale_f64 v[238:239], vcc_lo, 1.0, v[230:231], 1.0
	v_mul_f64 v[240:241], v[238:239], v[236:237]
	v_fma_f64 v[232:233], -v[232:233], v[240:241], v[238:239]
	v_div_fmas_f64 v[232:233], v[232:233], v[236:237], v[240:241]
	v_div_fixup_f64 v[236:237], v[232:233], v[230:231], 1.0
                                        ; implicit-def: $vgpr230_vgpr231
	v_mul_f64 v[234:235], v[234:235], v[236:237]
	v_xor_b32_e32 v237, 0x80000000, v237
.LBB61_239:
	s_andn2_saveexec_b32 s1, s1
	s_cbranch_execz .LBB61_241
; %bb.240:
	v_div_scale_f64 v[234:235], null, v[230:231], v[230:231], v[232:233]
	v_div_scale_f64 v[240:241], vcc_lo, v[232:233], v[230:231], v[232:233]
	v_rcp_f64_e32 v[236:237], v[234:235]
	v_fma_f64 v[238:239], -v[234:235], v[236:237], 1.0
	v_fma_f64 v[236:237], v[236:237], v[238:239], v[236:237]
	v_fma_f64 v[238:239], -v[234:235], v[236:237], 1.0
	v_fma_f64 v[236:237], v[236:237], v[238:239], v[236:237]
	v_mul_f64 v[238:239], v[240:241], v[236:237]
	v_fma_f64 v[234:235], -v[234:235], v[238:239], v[240:241]
	v_div_fmas_f64 v[234:235], v[234:235], v[236:237], v[238:239]
	v_div_fixup_f64 v[236:237], v[234:235], v[230:231], v[232:233]
	v_fma_f64 v[230:231], v[232:233], v[236:237], v[230:231]
	v_div_scale_f64 v[232:233], null, v[230:231], v[230:231], 1.0
	v_rcp_f64_e32 v[234:235], v[232:233]
	v_fma_f64 v[238:239], -v[232:233], v[234:235], 1.0
	v_fma_f64 v[234:235], v[234:235], v[238:239], v[234:235]
	v_fma_f64 v[238:239], -v[232:233], v[234:235], 1.0
	v_fma_f64 v[234:235], v[234:235], v[238:239], v[234:235]
	v_div_scale_f64 v[238:239], vcc_lo, 1.0, v[230:231], 1.0
	v_mul_f64 v[240:241], v[238:239], v[234:235]
	v_fma_f64 v[232:233], -v[232:233], v[240:241], v[238:239]
	v_div_fmas_f64 v[232:233], v[232:233], v[234:235], v[240:241]
	v_div_fixup_f64 v[234:235], v[232:233], v[230:231], 1.0
	v_mul_f64 v[236:237], v[236:237], -v[234:235]
.LBB61_241:
	s_or_b32 exec_lo, exec_lo, s1
	ds_write2_b64 v5, v[234:235], v[236:237] offset1:1
.LBB61_242:
	s_or_b32 exec_lo, exec_lo, s2
	s_waitcnt lgkmcnt(0)
	s_barrier
	buffer_gl0_inv
	ds_read2_b64 v[230:233], v5 offset1:1
	s_mov_b32 s1, exec_lo
	v_cmpx_lt_u32_e32 26, v0
	s_cbranch_execz .LBB61_244
; %bb.243:
	s_waitcnt lgkmcnt(0)
	v_mul_f64 v[234:235], v[230:231], v[20:21]
	v_mul_f64 v[20:21], v[232:233], v[20:21]
	v_fma_f64 v[238:239], v[232:233], v[18:19], v[234:235]
	ds_read2_b64 v[234:237], v250 offset0:54 offset1:55
	v_fma_f64 v[18:19], v[230:231], v[18:19], -v[20:21]
	s_waitcnt lgkmcnt(0)
	v_mul_f64 v[20:21], v[236:237], v[238:239]
	v_fma_f64 v[20:21], v[234:235], v[18:19], -v[20:21]
	v_mul_f64 v[234:235], v[234:235], v[238:239]
	v_add_f64 v[14:15], v[14:15], -v[20:21]
	v_fma_f64 v[234:235], v[236:237], v[18:19], v[234:235]
	v_add_f64 v[16:17], v[16:17], -v[234:235]
	ds_read2_b64 v[234:237], v250 offset0:56 offset1:57
	s_waitcnt lgkmcnt(0)
	v_mul_f64 v[20:21], v[236:237], v[238:239]
	v_fma_f64 v[20:21], v[234:235], v[18:19], -v[20:21]
	v_mul_f64 v[234:235], v[234:235], v[238:239]
	v_add_f64 v[10:11], v[10:11], -v[20:21]
	v_fma_f64 v[234:235], v[236:237], v[18:19], v[234:235]
	v_add_f64 v[12:13], v[12:13], -v[234:235]
	ds_read2_b64 v[234:237], v250 offset0:58 offset1:59
	;; [unrolled: 8-line block ×3, first 2 shown]
	s_waitcnt lgkmcnt(0)
	v_mul_f64 v[20:21], v[236:237], v[238:239]
	v_fma_f64 v[20:21], v[234:235], v[18:19], -v[20:21]
	v_mul_f64 v[234:235], v[234:235], v[238:239]
	v_add_f64 v[1:2], v[1:2], -v[20:21]
	v_fma_f64 v[234:235], v[236:237], v[18:19], v[234:235]
	v_mov_b32_e32 v20, v238
	v_mov_b32_e32 v21, v239
	v_add_f64 v[3:4], v[3:4], -v[234:235]
.LBB61_244:
	s_or_b32 exec_lo, exec_lo, s1
	s_mov_b32 s2, exec_lo
	s_waitcnt lgkmcnt(0)
	s_barrier
	buffer_gl0_inv
	v_cmpx_eq_u32_e32 27, v0
	s_cbranch_execz .LBB61_251
; %bb.245:
	ds_write2_b64 v5, v[14:15], v[16:17] offset1:1
	ds_write2_b64 v250, v[10:11], v[12:13] offset0:56 offset1:57
	ds_write2_b64 v250, v[6:7], v[8:9] offset0:58 offset1:59
	;; [unrolled: 1-line block ×3, first 2 shown]
	ds_read2_b64 v[234:237], v5 offset1:1
	s_waitcnt lgkmcnt(0)
	v_cmp_neq_f64_e32 vcc_lo, 0, v[234:235]
	v_cmp_neq_f64_e64 s1, 0, v[236:237]
	s_or_b32 s1, vcc_lo, s1
	s_and_b32 exec_lo, exec_lo, s1
	s_cbranch_execz .LBB61_251
; %bb.246:
	v_cmp_ngt_f64_e64 s1, |v[234:235]|, |v[236:237]|
                                        ; implicit-def: $vgpr238_vgpr239
	s_and_saveexec_b32 s3, s1
	s_xor_b32 s1, exec_lo, s3
                                        ; implicit-def: $vgpr240_vgpr241
	s_cbranch_execz .LBB61_248
; %bb.247:
	v_div_scale_f64 v[238:239], null, v[236:237], v[236:237], v[234:235]
	v_div_scale_f64 v[244:245], vcc_lo, v[234:235], v[236:237], v[234:235]
	v_rcp_f64_e32 v[240:241], v[238:239]
	v_fma_f64 v[242:243], -v[238:239], v[240:241], 1.0
	v_fma_f64 v[240:241], v[240:241], v[242:243], v[240:241]
	v_fma_f64 v[242:243], -v[238:239], v[240:241], 1.0
	v_fma_f64 v[240:241], v[240:241], v[242:243], v[240:241]
	v_mul_f64 v[242:243], v[244:245], v[240:241]
	v_fma_f64 v[238:239], -v[238:239], v[242:243], v[244:245]
	v_div_fmas_f64 v[238:239], v[238:239], v[240:241], v[242:243]
	v_div_fixup_f64 v[238:239], v[238:239], v[236:237], v[234:235]
	v_fma_f64 v[234:235], v[234:235], v[238:239], v[236:237]
	v_div_scale_f64 v[236:237], null, v[234:235], v[234:235], 1.0
	v_rcp_f64_e32 v[240:241], v[236:237]
	v_fma_f64 v[242:243], -v[236:237], v[240:241], 1.0
	v_fma_f64 v[240:241], v[240:241], v[242:243], v[240:241]
	v_fma_f64 v[242:243], -v[236:237], v[240:241], 1.0
	v_fma_f64 v[240:241], v[240:241], v[242:243], v[240:241]
	v_div_scale_f64 v[242:243], vcc_lo, 1.0, v[234:235], 1.0
	v_mul_f64 v[244:245], v[242:243], v[240:241]
	v_fma_f64 v[236:237], -v[236:237], v[244:245], v[242:243]
	v_div_fmas_f64 v[236:237], v[236:237], v[240:241], v[244:245]
	v_div_fixup_f64 v[240:241], v[236:237], v[234:235], 1.0
                                        ; implicit-def: $vgpr234_vgpr235
	v_mul_f64 v[238:239], v[238:239], v[240:241]
	v_xor_b32_e32 v241, 0x80000000, v241
.LBB61_248:
	s_andn2_saveexec_b32 s1, s1
	s_cbranch_execz .LBB61_250
; %bb.249:
	v_div_scale_f64 v[238:239], null, v[234:235], v[234:235], v[236:237]
	v_div_scale_f64 v[244:245], vcc_lo, v[236:237], v[234:235], v[236:237]
	v_rcp_f64_e32 v[240:241], v[238:239]
	v_fma_f64 v[242:243], -v[238:239], v[240:241], 1.0
	v_fma_f64 v[240:241], v[240:241], v[242:243], v[240:241]
	v_fma_f64 v[242:243], -v[238:239], v[240:241], 1.0
	v_fma_f64 v[240:241], v[240:241], v[242:243], v[240:241]
	v_mul_f64 v[242:243], v[244:245], v[240:241]
	v_fma_f64 v[238:239], -v[238:239], v[242:243], v[244:245]
	v_div_fmas_f64 v[238:239], v[238:239], v[240:241], v[242:243]
	v_div_fixup_f64 v[240:241], v[238:239], v[234:235], v[236:237]
	v_fma_f64 v[234:235], v[236:237], v[240:241], v[234:235]
	v_div_scale_f64 v[236:237], null, v[234:235], v[234:235], 1.0
	v_rcp_f64_e32 v[238:239], v[236:237]
	v_fma_f64 v[242:243], -v[236:237], v[238:239], 1.0
	v_fma_f64 v[238:239], v[238:239], v[242:243], v[238:239]
	v_fma_f64 v[242:243], -v[236:237], v[238:239], 1.0
	v_fma_f64 v[238:239], v[238:239], v[242:243], v[238:239]
	v_div_scale_f64 v[242:243], vcc_lo, 1.0, v[234:235], 1.0
	v_mul_f64 v[244:245], v[242:243], v[238:239]
	v_fma_f64 v[236:237], -v[236:237], v[244:245], v[242:243]
	v_div_fmas_f64 v[236:237], v[236:237], v[238:239], v[244:245]
	v_div_fixup_f64 v[238:239], v[236:237], v[234:235], 1.0
	v_mul_f64 v[240:241], v[240:241], -v[238:239]
.LBB61_250:
	s_or_b32 exec_lo, exec_lo, s1
	ds_write2_b64 v5, v[238:239], v[240:241] offset1:1
.LBB61_251:
	s_or_b32 exec_lo, exec_lo, s2
	s_waitcnt lgkmcnt(0)
	s_barrier
	buffer_gl0_inv
	ds_read2_b64 v[234:237], v5 offset1:1
	s_mov_b32 s1, exec_lo
	v_cmpx_lt_u32_e32 27, v0
	s_cbranch_execz .LBB61_253
; %bb.252:
	s_waitcnt lgkmcnt(0)
	v_mul_f64 v[238:239], v[234:235], v[16:17]
	v_mul_f64 v[16:17], v[236:237], v[16:17]
	v_fma_f64 v[242:243], v[236:237], v[14:15], v[238:239]
	ds_read2_b64 v[238:241], v250 offset0:56 offset1:57
	v_fma_f64 v[14:15], v[234:235], v[14:15], -v[16:17]
	s_waitcnt lgkmcnt(0)
	v_mul_f64 v[16:17], v[240:241], v[242:243]
	v_fma_f64 v[16:17], v[238:239], v[14:15], -v[16:17]
	v_mul_f64 v[238:239], v[238:239], v[242:243]
	v_add_f64 v[10:11], v[10:11], -v[16:17]
	v_fma_f64 v[238:239], v[240:241], v[14:15], v[238:239]
	v_add_f64 v[12:13], v[12:13], -v[238:239]
	ds_read2_b64 v[238:241], v250 offset0:58 offset1:59
	s_waitcnt lgkmcnt(0)
	v_mul_f64 v[16:17], v[240:241], v[242:243]
	v_fma_f64 v[16:17], v[238:239], v[14:15], -v[16:17]
	v_mul_f64 v[238:239], v[238:239], v[242:243]
	v_add_f64 v[6:7], v[6:7], -v[16:17]
	v_fma_f64 v[238:239], v[240:241], v[14:15], v[238:239]
	v_add_f64 v[8:9], v[8:9], -v[238:239]
	ds_read2_b64 v[238:241], v250 offset0:60 offset1:61
	s_waitcnt lgkmcnt(0)
	v_mul_f64 v[16:17], v[240:241], v[242:243]
	v_fma_f64 v[16:17], v[238:239], v[14:15], -v[16:17]
	v_mul_f64 v[238:239], v[238:239], v[242:243]
	v_add_f64 v[1:2], v[1:2], -v[16:17]
	v_fma_f64 v[238:239], v[240:241], v[14:15], v[238:239]
	v_mov_b32_e32 v16, v242
	v_mov_b32_e32 v17, v243
	v_add_f64 v[3:4], v[3:4], -v[238:239]
.LBB61_253:
	s_or_b32 exec_lo, exec_lo, s1
	s_mov_b32 s2, exec_lo
	s_waitcnt lgkmcnt(0)
	s_barrier
	buffer_gl0_inv
	v_cmpx_eq_u32_e32 28, v0
	s_cbranch_execz .LBB61_260
; %bb.254:
	ds_write2_b64 v5, v[10:11], v[12:13] offset1:1
	ds_write2_b64 v250, v[6:7], v[8:9] offset0:58 offset1:59
	ds_write2_b64 v250, v[1:2], v[3:4] offset0:60 offset1:61
	ds_read2_b64 v[238:241], v5 offset1:1
	s_waitcnt lgkmcnt(0)
	v_cmp_neq_f64_e32 vcc_lo, 0, v[238:239]
	v_cmp_neq_f64_e64 s1, 0, v[240:241]
	s_or_b32 s1, vcc_lo, s1
	s_and_b32 exec_lo, exec_lo, s1
	s_cbranch_execz .LBB61_260
; %bb.255:
	v_cmp_ngt_f64_e64 s1, |v[238:239]|, |v[240:241]|
                                        ; implicit-def: $vgpr242_vgpr243
	s_and_saveexec_b32 s3, s1
	s_xor_b32 s1, exec_lo, s3
                                        ; implicit-def: $vgpr244_vgpr245
	s_cbranch_execz .LBB61_257
; %bb.256:
	v_div_scale_f64 v[242:243], null, v[240:241], v[240:241], v[238:239]
	v_div_scale_f64 v[248:249], vcc_lo, v[238:239], v[240:241], v[238:239]
	v_rcp_f64_e32 v[244:245], v[242:243]
	v_fma_f64 v[246:247], -v[242:243], v[244:245], 1.0
	v_fma_f64 v[244:245], v[244:245], v[246:247], v[244:245]
	v_fma_f64 v[246:247], -v[242:243], v[244:245], 1.0
	v_fma_f64 v[244:245], v[244:245], v[246:247], v[244:245]
	v_mul_f64 v[246:247], v[248:249], v[244:245]
	v_fma_f64 v[242:243], -v[242:243], v[246:247], v[248:249]
	v_div_fmas_f64 v[242:243], v[242:243], v[244:245], v[246:247]
	v_div_fixup_f64 v[242:243], v[242:243], v[240:241], v[238:239]
	v_fma_f64 v[238:239], v[238:239], v[242:243], v[240:241]
	v_div_scale_f64 v[240:241], null, v[238:239], v[238:239], 1.0
	v_rcp_f64_e32 v[244:245], v[240:241]
	v_fma_f64 v[246:247], -v[240:241], v[244:245], 1.0
	v_fma_f64 v[244:245], v[244:245], v[246:247], v[244:245]
	v_fma_f64 v[246:247], -v[240:241], v[244:245], 1.0
	v_fma_f64 v[244:245], v[244:245], v[246:247], v[244:245]
	v_div_scale_f64 v[246:247], vcc_lo, 1.0, v[238:239], 1.0
	v_mul_f64 v[248:249], v[246:247], v[244:245]
	v_fma_f64 v[240:241], -v[240:241], v[248:249], v[246:247]
	v_div_fmas_f64 v[240:241], v[240:241], v[244:245], v[248:249]
	v_div_fixup_f64 v[244:245], v[240:241], v[238:239], 1.0
                                        ; implicit-def: $vgpr238_vgpr239
	v_mul_f64 v[242:243], v[242:243], v[244:245]
	v_xor_b32_e32 v245, 0x80000000, v245
.LBB61_257:
	s_andn2_saveexec_b32 s1, s1
	s_cbranch_execz .LBB61_259
; %bb.258:
	v_div_scale_f64 v[242:243], null, v[238:239], v[238:239], v[240:241]
	v_div_scale_f64 v[248:249], vcc_lo, v[240:241], v[238:239], v[240:241]
	v_rcp_f64_e32 v[244:245], v[242:243]
	v_fma_f64 v[246:247], -v[242:243], v[244:245], 1.0
	v_fma_f64 v[244:245], v[244:245], v[246:247], v[244:245]
	v_fma_f64 v[246:247], -v[242:243], v[244:245], 1.0
	v_fma_f64 v[244:245], v[244:245], v[246:247], v[244:245]
	v_mul_f64 v[246:247], v[248:249], v[244:245]
	v_fma_f64 v[242:243], -v[242:243], v[246:247], v[248:249]
	v_div_fmas_f64 v[242:243], v[242:243], v[244:245], v[246:247]
	v_div_fixup_f64 v[244:245], v[242:243], v[238:239], v[240:241]
	v_fma_f64 v[238:239], v[240:241], v[244:245], v[238:239]
	v_div_scale_f64 v[240:241], null, v[238:239], v[238:239], 1.0
	v_rcp_f64_e32 v[242:243], v[240:241]
	v_fma_f64 v[246:247], -v[240:241], v[242:243], 1.0
	v_fma_f64 v[242:243], v[242:243], v[246:247], v[242:243]
	v_fma_f64 v[246:247], -v[240:241], v[242:243], 1.0
	v_fma_f64 v[242:243], v[242:243], v[246:247], v[242:243]
	v_div_scale_f64 v[246:247], vcc_lo, 1.0, v[238:239], 1.0
	v_mul_f64 v[248:249], v[246:247], v[242:243]
	v_fma_f64 v[240:241], -v[240:241], v[248:249], v[246:247]
	v_div_fmas_f64 v[240:241], v[240:241], v[242:243], v[248:249]
	v_div_fixup_f64 v[242:243], v[240:241], v[238:239], 1.0
	v_mul_f64 v[244:245], v[244:245], -v[242:243]
.LBB61_259:
	s_or_b32 exec_lo, exec_lo, s1
	ds_write2_b64 v5, v[242:243], v[244:245] offset1:1
.LBB61_260:
	s_or_b32 exec_lo, exec_lo, s2
	s_waitcnt lgkmcnt(0)
	s_barrier
	buffer_gl0_inv
	ds_read2_b64 v[238:241], v5 offset1:1
	s_mov_b32 s1, exec_lo
	v_cmpx_lt_u32_e32 28, v0
	s_cbranch_execz .LBB61_262
; %bb.261:
	s_waitcnt lgkmcnt(0)
	v_mul_f64 v[242:243], v[238:239], v[12:13]
	v_mul_f64 v[12:13], v[240:241], v[12:13]
	v_fma_f64 v[246:247], v[240:241], v[10:11], v[242:243]
	ds_read2_b64 v[242:245], v250 offset0:58 offset1:59
	v_fma_f64 v[10:11], v[238:239], v[10:11], -v[12:13]
	s_waitcnt lgkmcnt(0)
	v_mul_f64 v[12:13], v[244:245], v[246:247]
	v_fma_f64 v[12:13], v[242:243], v[10:11], -v[12:13]
	v_mul_f64 v[242:243], v[242:243], v[246:247]
	v_add_f64 v[6:7], v[6:7], -v[12:13]
	v_fma_f64 v[242:243], v[244:245], v[10:11], v[242:243]
	v_add_f64 v[8:9], v[8:9], -v[242:243]
	ds_read2_b64 v[242:245], v250 offset0:60 offset1:61
	s_waitcnt lgkmcnt(0)
	v_mul_f64 v[12:13], v[244:245], v[246:247]
	v_fma_f64 v[12:13], v[242:243], v[10:11], -v[12:13]
	v_mul_f64 v[242:243], v[242:243], v[246:247]
	v_add_f64 v[1:2], v[1:2], -v[12:13]
	v_fma_f64 v[242:243], v[244:245], v[10:11], v[242:243]
	v_mov_b32_e32 v12, v246
	v_mov_b32_e32 v13, v247
	v_add_f64 v[3:4], v[3:4], -v[242:243]
.LBB61_262:
	s_or_b32 exec_lo, exec_lo, s1
	s_mov_b32 s2, exec_lo
	s_waitcnt lgkmcnt(0)
	s_barrier
	buffer_gl0_inv
	v_cmpx_eq_u32_e32 29, v0
	s_cbranch_execz .LBB61_269
; %bb.263:
	ds_write2_b64 v5, v[6:7], v[8:9] offset1:1
	ds_write2_b64 v250, v[1:2], v[3:4] offset0:60 offset1:61
	ds_read2_b64 v[242:245], v5 offset1:1
	s_waitcnt lgkmcnt(0)
	v_cmp_neq_f64_e32 vcc_lo, 0, v[242:243]
	v_cmp_neq_f64_e64 s1, 0, v[244:245]
	s_or_b32 s1, vcc_lo, s1
	s_and_b32 exec_lo, exec_lo, s1
	s_cbranch_execz .LBB61_269
; %bb.264:
	v_cmp_ngt_f64_e64 s1, |v[242:243]|, |v[244:245]|
                                        ; implicit-def: $vgpr246_vgpr247
	s_and_saveexec_b32 s3, s1
	s_xor_b32 s1, exec_lo, s3
                                        ; implicit-def: $vgpr248_vgpr249
	s_cbranch_execz .LBB61_266
; %bb.265:
	v_div_scale_f64 v[246:247], null, v[244:245], v[244:245], v[242:243]
	v_rcp_f64_e32 v[248:249], v[246:247]
	v_fma_f64 v[126:127], -v[246:247], v[248:249], 1.0
	v_fma_f64 v[126:127], v[248:249], v[126:127], v[248:249]
	v_div_scale_f64 v[248:249], vcc_lo, v[242:243], v[244:245], v[242:243]
	v_fma_f64 v[128:129], -v[246:247], v[126:127], 1.0
	v_fma_f64 v[126:127], v[126:127], v[128:129], v[126:127]
	v_mul_f64 v[128:129], v[248:249], v[126:127]
	v_fma_f64 v[246:247], -v[246:247], v[128:129], v[248:249]
	v_div_fmas_f64 v[126:127], v[246:247], v[126:127], v[128:129]
	v_div_fixup_f64 v[126:127], v[126:127], v[244:245], v[242:243]
	v_fma_f64 v[128:129], v[242:243], v[126:127], v[244:245]
	v_div_scale_f64 v[242:243], null, v[128:129], v[128:129], 1.0
	v_rcp_f64_e32 v[244:245], v[242:243]
	v_fma_f64 v[246:247], -v[242:243], v[244:245], 1.0
	v_fma_f64 v[244:245], v[244:245], v[246:247], v[244:245]
	v_fma_f64 v[246:247], -v[242:243], v[244:245], 1.0
	v_fma_f64 v[244:245], v[244:245], v[246:247], v[244:245]
	v_div_scale_f64 v[246:247], vcc_lo, 1.0, v[128:129], 1.0
	v_mul_f64 v[248:249], v[246:247], v[244:245]
	v_fma_f64 v[242:243], -v[242:243], v[248:249], v[246:247]
	v_div_fmas_f64 v[242:243], v[242:243], v[244:245], v[248:249]
	v_div_fixup_f64 v[248:249], v[242:243], v[128:129], 1.0
                                        ; implicit-def: $vgpr242_vgpr243
	v_mul_f64 v[246:247], v[126:127], v[248:249]
	v_xor_b32_e32 v249, 0x80000000, v249
.LBB61_266:
	s_andn2_saveexec_b32 s1, s1
	s_cbranch_execz .LBB61_268
; %bb.267:
	v_div_scale_f64 v[126:127], null, v[242:243], v[242:243], v[244:245]
	v_div_scale_f64 v[248:249], vcc_lo, v[244:245], v[242:243], v[244:245]
	v_rcp_f64_e32 v[128:129], v[126:127]
	v_fma_f64 v[246:247], -v[126:127], v[128:129], 1.0
	v_fma_f64 v[128:129], v[128:129], v[246:247], v[128:129]
	v_fma_f64 v[246:247], -v[126:127], v[128:129], 1.0
	v_fma_f64 v[128:129], v[128:129], v[246:247], v[128:129]
	v_mul_f64 v[246:247], v[248:249], v[128:129]
	v_fma_f64 v[126:127], -v[126:127], v[246:247], v[248:249]
	v_div_fmas_f64 v[126:127], v[126:127], v[128:129], v[246:247]
	v_div_fixup_f64 v[126:127], v[126:127], v[242:243], v[244:245]
	v_fma_f64 v[128:129], v[244:245], v[126:127], v[242:243]
	v_div_scale_f64 v[242:243], null, v[128:129], v[128:129], 1.0
	v_rcp_f64_e32 v[244:245], v[242:243]
	v_fma_f64 v[246:247], -v[242:243], v[244:245], 1.0
	v_fma_f64 v[244:245], v[244:245], v[246:247], v[244:245]
	v_fma_f64 v[246:247], -v[242:243], v[244:245], 1.0
	v_fma_f64 v[244:245], v[244:245], v[246:247], v[244:245]
	v_div_scale_f64 v[246:247], vcc_lo, 1.0, v[128:129], 1.0
	v_mul_f64 v[248:249], v[246:247], v[244:245]
	v_fma_f64 v[242:243], -v[242:243], v[248:249], v[246:247]
	v_div_fmas_f64 v[242:243], v[242:243], v[244:245], v[248:249]
	v_div_fixup_f64 v[246:247], v[242:243], v[128:129], 1.0
	v_mul_f64 v[248:249], v[126:127], -v[246:247]
.LBB61_268:
	s_or_b32 exec_lo, exec_lo, s1
	ds_write2_b64 v5, v[246:247], v[248:249] offset1:1
.LBB61_269:
	s_or_b32 exec_lo, exec_lo, s2
	s_waitcnt lgkmcnt(0)
	s_barrier
	buffer_gl0_inv
	ds_read2_b64 v[242:245], v5 offset1:1
	s_mov_b32 s1, exec_lo
	v_cmpx_lt_u32_e32 29, v0
	s_cbranch_execz .LBB61_271
; %bb.270:
	s_waitcnt lgkmcnt(0)
	v_mul_f64 v[126:127], v[242:243], v[8:9]
	v_mul_f64 v[8:9], v[244:245], v[8:9]
	ds_read2_b64 v[246:249], v250 offset0:60 offset1:61
	v_fma_f64 v[126:127], v[244:245], v[6:7], v[126:127]
	v_fma_f64 v[6:7], v[242:243], v[6:7], -v[8:9]
	s_waitcnt lgkmcnt(0)
	v_mul_f64 v[8:9], v[248:249], v[126:127]
	v_mul_f64 v[128:129], v[246:247], v[126:127]
	v_fma_f64 v[8:9], v[246:247], v[6:7], -v[8:9]
	v_fma_f64 v[128:129], v[248:249], v[6:7], v[128:129]
	v_add_f64 v[1:2], v[1:2], -v[8:9]
	v_add_f64 v[3:4], v[3:4], -v[128:129]
	v_mov_b32_e32 v8, v126
	v_mov_b32_e32 v9, v127
.LBB61_271:
	s_or_b32 exec_lo, exec_lo, s1
	s_mov_b32 s2, exec_lo
	s_waitcnt lgkmcnt(0)
	s_barrier
	buffer_gl0_inv
	v_cmpx_eq_u32_e32 30, v0
	s_cbranch_execz .LBB61_278
; %bb.272:
	v_cmp_neq_f64_e32 vcc_lo, 0, v[1:2]
	v_cmp_neq_f64_e64 s1, 0, v[3:4]
	ds_write2_b64 v5, v[1:2], v[3:4] offset1:1
	s_or_b32 s1, vcc_lo, s1
	s_and_b32 exec_lo, exec_lo, s1
	s_cbranch_execz .LBB61_278
; %bb.273:
	v_cmp_ngt_f64_e64 s1, |v[1:2]|, |v[3:4]|
                                        ; implicit-def: $vgpr246_vgpr247
	s_mov_b32 s3, exec_lo
	s_and_b32 s4, s3, s1
                                        ; implicit-def: $vgpr248_vgpr249
	buffer_store_dword v234, off, s[16:19], 0 offset:264 ; 4-byte Folded Spill
	buffer_store_dword v235, off, s[16:19], 0 offset:268 ; 4-byte Folded Spill
	;; [unrolled: 1-line block ×4, first 2 shown]
	s_xor_b32 s1, s4, s3
	s_mov_b32 exec_lo, s4
	s_cbranch_execz .LBB61_275
; %bb.274:
	v_div_scale_f64 v[126:127], null, v[3:4], v[3:4], v[1:2]
	v_div_scale_f64 v[248:249], vcc_lo, v[1:2], v[3:4], v[1:2]
	v_mov_b32_e32 v237, v9
	v_mov_b32_e32 v236, v8
	;; [unrolled: 1-line block ×18, first 2 shown]
	v_rcp_f64_e32 v[128:129], v[126:127]
	v_mov_b32_e32 v20, v24
	v_mov_b32_e32 v21, v25
	;; [unrolled: 1-line block ×23, first 2 shown]
	v_fma_f64 v[246:247], -v[126:127], v[128:129], 1.0
	v_mov_b32_e32 v43, v47
	v_mov_b32_e32 v44, v48
	;; [unrolled: 1-line block ×21, first 2 shown]
	v_fma_f64 v[128:129], v[128:129], v[246:247], v[128:129]
	v_mov_b32_e32 v60, v64
	v_mov_b32_e32 v61, v65
	;; [unrolled: 1-line block ×21, first 2 shown]
	v_fma_f64 v[246:247], -v[126:127], v[128:129], 1.0
	v_mov_b32_e32 v81, v85
	v_mov_b32_e32 v82, v226
	;; [unrolled: 1-line block ×21, first 2 shown]
	v_fma_f64 v[128:129], v[128:129], v[246:247], v[128:129]
	v_mov_b32_e32 v98, v102
	v_mov_b32_e32 v99, v103
	;; [unrolled: 1-line block ×21, first 2 shown]
	v_mul_f64 v[246:247], v[248:249], v[128:129]
	v_mov_b32_e32 v115, v119
	v_mov_b32_e32 v116, v120
	;; [unrolled: 1-line block ×21, first 2 shown]
	v_fma_f64 v[126:127], -v[126:127], v[246:247], v[248:249]
	v_mov_b32_e32 v213, v209
	v_mov_b32_e32 v212, v208
	;; [unrolled: 1-line block ×21, first 2 shown]
	v_div_fmas_f64 v[126:127], v[126:127], v[128:129], v[246:247]
	v_mov_b32_e32 v192, v188
	v_mov_b32_e32 v191, v187
	;; [unrolled: 1-line block ×21, first 2 shown]
	v_div_fixup_f64 v[126:127], v[126:127], v[3:4], v[1:2]
	v_mov_b32_e32 v171, v167
	v_mov_b32_e32 v170, v166
	;; [unrolled: 1-line block ×21, first 2 shown]
	v_fma_f64 v[128:129], v[1:2], v[126:127], v[3:4]
	v_mov_b32_e32 v150, v146
	v_mov_b32_e32 v149, v145
	v_mov_b32_e32 v148, v144
	v_mov_b32_e32 v147, v143
	v_mov_b32_e32 v146, v142
	v_mov_b32_e32 v145, v141
	v_mov_b32_e32 v144, v140
	v_mov_b32_e32 v143, v139
	v_mov_b32_e32 v142, v138
	v_mov_b32_e32 v141, v137
	v_mov_b32_e32 v140, v136
	v_mov_b32_e32 v139, v135
	v_mov_b32_e32 v138, v134
	v_mov_b32_e32 v137, v133
	v_mov_b32_e32 v136, v132
	v_mov_b32_e32 v135, v131
	v_mov_b32_e32 v134, v130
	v_div_scale_f64 v[246:247], null, v[128:129], v[128:129], 1.0
	v_rcp_f64_e32 v[248:249], v[246:247]
	v_fma_f64 v[250:251], -v[246:247], v[248:249], 1.0
	v_fma_f64 v[248:249], v[248:249], v[250:251], v[248:249]
	v_fma_f64 v[250:251], -v[246:247], v[248:249], 1.0
	v_fma_f64 v[248:249], v[248:249], v[250:251], v[248:249]
	v_div_scale_f64 v[250:251], vcc_lo, 1.0, v[128:129], 1.0
	v_mul_f64 v[130:131], v[250:251], v[248:249]
	v_fma_f64 v[132:133], -v[246:247], v[130:131], v[250:251]
	v_div_fmas_f64 v[130:131], v[132:133], v[248:249], v[130:131]
	v_div_fixup_f64 v[248:249], v[130:131], v[128:129], 1.0
	v_mov_b32_e32 v130, v134
	v_mov_b32_e32 v131, v135
	;; [unrolled: 1-line block ×226, first 2 shown]
	s_clause 0x3
	buffer_load_dword v234, off, s[16:19], 0 offset:264
	buffer_load_dword v235, off, s[16:19], 0 offset:268
	;; [unrolled: 1-line block ×4, first 2 shown]
	v_mul_f64 v[246:247], v[126:127], v[248:249]
	v_xor_b32_e32 v249, 0x80000000, v249
.LBB61_275:
	s_andn2_saveexec_b32 s1, s1
	s_cbranch_execz .LBB61_277
; %bb.276:
	v_div_scale_f64 v[126:127], null, v[1:2], v[1:2], v[3:4]
	v_mov_b32_e32 v253, v161
	v_mov_b32_e32 v252, v160
	;; [unrolled: 1-line block ×20, first 2 shown]
	v_rcp_f64_e32 v[128:129], v[126:127]
	v_mov_b32_e32 v145, v141
	v_mov_b32_e32 v144, v140
	;; [unrolled: 1-line block ×12, first 2 shown]
	s_waitcnt vmcnt(0)
	v_mov_b32_e32 v237, v9
	v_mov_b32_e32 v236, v8
	;; [unrolled: 1-line block ×11, first 2 shown]
	v_fma_f64 v[130:131], -v[126:127], v[128:129], 1.0
	v_mov_b32_e32 v13, v17
	v_mov_b32_e32 v14, v18
	;; [unrolled: 1-line block ×21, first 2 shown]
	v_fma_f64 v[128:129], v[128:129], v[130:131], v[128:129]
	v_mov_b32_e32 v34, v38
	v_mov_b32_e32 v35, v39
	v_mov_b32_e32 v36, v40
	v_mov_b32_e32 v37, v41
	v_mov_b32_e32 v38, v42
	v_mov_b32_e32 v39, v43
	v_mov_b32_e32 v40, v44
	v_mov_b32_e32 v41, v45
	v_mov_b32_e32 v42, v46
	v_mov_b32_e32 v43, v47
	v_mov_b32_e32 v44, v48
	v_mov_b32_e32 v45, v49
	v_mov_b32_e32 v46, v50
	v_mov_b32_e32 v47, v51
	v_mov_b32_e32 v48, v52
	v_mov_b32_e32 v49, v53
	v_mov_b32_e32 v50, v230
	v_mov_b32_e32 v51, v231
	v_mov_b32_e32 v52, v232
	v_mov_b32_e32 v53, v233
	v_mov_b32_e32 v233, v57
	v_fma_f64 v[130:131], -v[126:127], v[128:129], 1.0
	v_mov_b32_e32 v232, v56
	v_mov_b32_e32 v231, v55
	;; [unrolled: 1-line block ×40, first 2 shown]
	v_div_scale_f64 v[132:133], vcc_lo, v[3:4], v[1:2], v[3:4]
	v_fma_f64 v[128:129], v[128:129], v[130:131], v[128:129]
	v_mov_b32_e32 v87, v91
	v_mov_b32_e32 v88, v92
	;; [unrolled: 1-line block ×51, first 2 shown]
	v_mul_f64 v[130:131], v[132:133], v[128:129]
	v_mov_b32_e32 v162, v164
	v_mov_b32_e32 v163, v165
	;; [unrolled: 1-line block ×101, first 2 shown]
	v_fma_f64 v[126:127], -v[126:127], v[130:131], v[132:133]
	v_mov_b32_e32 v48, v44
	v_mov_b32_e32 v47, v43
	;; [unrolled: 1-line block ×43, first 2 shown]
	s_clause 0x3
	buffer_load_dword v234, off, s[16:19], 0 offset:264
	buffer_load_dword v235, off, s[16:19], 0 offset:268
	;; [unrolled: 1-line block ×4, first 2 shown]
	v_div_fmas_f64 v[126:127], v[126:127], v[128:129], v[130:131]
	v_div_fixup_f64 v[126:127], v[126:127], v[1:2], v[3:4]
	v_fma_f64 v[128:129], v[3:4], v[126:127], v[1:2]
	v_div_scale_f64 v[130:131], null, v[128:129], v[128:129], 1.0
	v_rcp_f64_e32 v[132:133], v[130:131]
	v_fma_f64 v[246:247], -v[130:131], v[132:133], 1.0
	v_fma_f64 v[132:133], v[132:133], v[246:247], v[132:133]
	v_fma_f64 v[246:247], -v[130:131], v[132:133], 1.0
	v_fma_f64 v[132:133], v[132:133], v[246:247], v[132:133]
	v_div_scale_f64 v[246:247], vcc_lo, 1.0, v[128:129], 1.0
	v_mul_f64 v[248:249], v[246:247], v[132:133]
	v_fma_f64 v[130:131], -v[130:131], v[248:249], v[246:247]
	v_div_fmas_f64 v[130:131], v[130:131], v[132:133], v[248:249]
	v_div_fixup_f64 v[246:247], v[130:131], v[128:129], 1.0
	v_mov_b32_e32 v130, v134
	v_mov_b32_e32 v131, v135
	;; [unrolled: 1-line block ×21, first 2 shown]
	v_mul_f64 v[248:249], v[126:127], -v[246:247]
	v_mov_b32_e32 v151, v155
	v_mov_b32_e32 v152, v156
	;; [unrolled: 1-line block ×11, first 2 shown]
.LBB61_277:
	s_or_b32 exec_lo, exec_lo, s1
	ds_write2_b64 v5, v[246:247], v[248:249] offset1:1
.LBB61_278:
	s_or_b32 exec_lo, exec_lo, s2
	s_waitcnt vmcnt(0) lgkmcnt(0)
	s_waitcnt_vscnt null, 0x0
	s_barrier
	buffer_gl0_inv
	ds_read2_b64 v[246:249], v5 offset1:1
	s_mov_b32 s1, exec_lo
	v_cmpx_lt_u32_e32 30, v0
	s_cbranch_execz .LBB61_280
; %bb.279:
	v_mov_b32_e32 v5, v4
	v_mov_b32_e32 v4, v3
	;; [unrolled: 1-line block ×4, first 2 shown]
	s_waitcnt lgkmcnt(0)
	v_mul_f64 v[0:1], v[248:249], v[4:5]
	v_mul_f64 v[4:5], v[246:247], v[4:5]
	v_fma_f64 v[0:1], v[246:247], v[2:3], -v[0:1]
	v_fma_f64 v[4:5], v[248:249], v[2:3], v[4:5]
	v_mov_b32_e32 v3, v1
	v_mov_b32_e32 v2, v0
	;; [unrolled: 1-line block ×6, first 2 shown]
.LBB61_280:
	s_or_b32 exec_lo, exec_lo, s1
	v_mov_b32_e32 v5, v4
	v_mov_b32_e32 v4, v3
	;; [unrolled: 1-line block ×4, first 2 shown]
	s_waitcnt lgkmcnt(0)
	s_barrier
	buffer_gl0_inv
	s_and_saveexec_b32 s7, s0
	s_cbranch_execz .LBB61_283
; %bb.281:
	s_clause 0x3
	buffer_load_dword v126, off, s[16:19], 0 offset:240
	buffer_load_dword v127, off, s[16:19], 0 offset:244
	;; [unrolled: 1-line block ×4, first 2 shown]
	v_cmp_neq_f64_e64 s5, 0, v[130:131]
	v_cmp_neq_f64_e64 s6, 0, v[132:133]
	v_cmp_eq_f64_e64 s1, 0, v[134:135]
	v_cmp_eq_f64_e64 s2, 0, v[136:137]
	v_lshlrev_b64 v[0:1], 2, v[254:255]
	v_cmp_eq_f64_e32 vcc_lo, 0, v[138:139]
	v_cmp_eq_f64_e64 s0, 0, v[140:141]
	s_or_b32 s5, s5, s6
	s_and_b32 s1, s1, s2
	v_cmp_eq_f64_e64 s2, 0, v[146:147]
	s_and_b32 s0, vcc_lo, s0
	s_waitcnt vmcnt(2)
	v_cmp_eq_f64_e64 s3, 0, v[126:127]
	s_waitcnt vmcnt(0)
	v_cmp_eq_f64_e64 s4, 0, v[128:129]
	s_and_b32 s4, s3, s4
	v_add_co_u32 v0, s3, s10, v0
	v_cndmask_b32_e64 v126, 0, 1, s4
	v_add_co_ci_u32_e64 v1, null, s11, v1, s3
	s_or_b32 s3, s5, s4
	v_cmp_eq_f64_e64 s4, 0, v[142:143]
	v_cndmask_b32_e64 v127, 2, v126, s3
	v_cmp_eq_f64_e64 s5, 0, v[144:145]
	global_load_dword v126, v[0:1], off
	v_cmp_eq_u32_e64 s3, 0, v127
	s_and_b32 s1, s1, s3
	v_cmp_eq_f64_e64 s3, 0, v[148:149]
	v_cndmask_b32_e64 v127, v127, 3, s1
	v_cmp_eq_u32_e64 s1, 0, v127
	s_and_b32 s0, s0, s1
	s_and_b32 s4, s4, s5
	v_cndmask_b32_e64 v127, v127, 4, s0
	v_cmp_eq_f64_e64 s0, 0, v[150:151]
	v_cmp_eq_f64_e64 s1, 0, v[152:153]
	;; [unrolled: 1-line block ×3, first 2 shown]
	v_cmp_eq_u32_e32 vcc_lo, 0, v127
	s_and_b32 s2, s2, s3
	s_and_b32 s4, s4, vcc_lo
	v_cmp_eq_f64_e64 s3, 0, v[160:161]
	v_cndmask_b32_e64 v127, v127, 5, s4
	v_cmp_eq_f64_e64 s4, 0, v[154:155]
	v_cmp_eq_u32_e32 vcc_lo, 0, v127
	s_and_b32 s2, s2, vcc_lo
	v_cndmask_b32_e64 v127, v127, 6, s2
	s_and_b32 s0, s0, s1
	v_cmp_eq_f64_e64 s2, 0, v[158:159]
	v_cmp_eq_f64_e64 s1, 0, v[164:165]
	v_cmp_eq_u32_e32 vcc_lo, 0, v127
	s_and_b32 s0, s0, vcc_lo
	s_and_b32 s4, s4, s5
	v_cndmask_b32_e64 v127, v127, 7, s0
	v_cmp_eq_f64_e64 s0, 0, v[162:163]
	v_cmp_eq_f64_e64 s5, 0, v[168:169]
	v_cmp_eq_u32_e32 vcc_lo, 0, v127
	s_and_b32 s4, s4, vcc_lo
	v_cndmask_b32_e64 v127, v127, 8, s4
	s_and_b32 s2, s2, s3
	v_cmp_eq_f64_e64 s4, 0, v[166:167]
	v_cmp_eq_f64_e64 s3, 0, v[172:173]
	v_cmp_eq_u32_e32 vcc_lo, 0, v127
	s_and_b32 s2, s2, vcc_lo
	s_and_b32 s0, s0, s1
	v_cndmask_b32_e64 v127, v127, 9, s2
	v_cmp_eq_f64_e64 s2, 0, v[170:171]
	;; [unrolled: 12-line block ×11, first 2 shown]
	v_cmp_eq_f64_e64 s1, 0, v[248:249]
	v_cmp_eq_u32_e32 vcc_lo, 0, v127
	s_and_b32 s0, s0, vcc_lo
	v_cndmask_b32_e64 v127, v127, 28, s0
	s_and_b32 s4, s4, s5
	v_cmp_eq_f64_e64 s0, 0, v[246:247]
	v_cmp_eq_u32_e32 vcc_lo, 0, v127
	s_and_b32 s4, s4, vcc_lo
	s_and_b32 s2, s2, s3
	v_cndmask_b32_e64 v127, v127, 29, s4
	v_cmp_eq_u32_e32 vcc_lo, 0, v127
	s_and_b32 s2, s2, vcc_lo
	v_cndmask_b32_e64 v127, v127, 30, s2
	s_and_b32 s0, s0, s1
	v_cmp_eq_u32_e32 vcc_lo, 0, v127
	s_and_b32 s0, s0, vcc_lo
	s_waitcnt vmcnt(0)
	v_cmp_eq_u32_e32 vcc_lo, 0, v126
	v_cndmask_b32_e64 v127, v127, 31, s0
	v_cmp_ne_u32_e64 s0, 0, v127
	s_and_b32 s0, vcc_lo, s0
	s_and_b32 exec_lo, exec_lo, s0
	s_cbranch_execz .LBB61_283
; %bb.282:
	v_add_nc_u32_e32 v126, s13, v127
	global_store_dword v[0:1], v126, off
.LBB61_283:
	s_or_b32 exec_lo, exec_lo, s7
	s_clause 0x1
	buffer_load_dword v0, off, s[16:19], 0 offset:256
	buffer_load_dword v1, off, s[16:19], 0 offset:260
	s_waitcnt vmcnt(0)
	global_store_dwordx4 v[0:1], v[122:125], off
	s_clause 0x1
	buffer_load_dword v0, off, s[16:19], 0 offset:232
	buffer_load_dword v1, off, s[16:19], 0 offset:236
	s_waitcnt vmcnt(0)
	global_store_dwordx4 v[0:1], v[118:121], off
	;; [unrolled: 5-line block ×4, first 2 shown]
	s_clause 0x1
	buffer_load_dword v0, off, s[16:19], 0
	buffer_load_dword v1, off, s[16:19], 0 offset:4
	s_waitcnt vmcnt(0)
	global_store_dwordx4 v[0:1], v[106:109], off
	s_clause 0x1
	buffer_load_dword v0, off, s[16:19], 0 offset:24
	buffer_load_dword v1, off, s[16:19], 0 offset:28
	s_waitcnt vmcnt(0)
	global_store_dwordx4 v[0:1], v[102:105], off
	s_clause 0x1
	buffer_load_dword v0, off, s[16:19], 0 offset:32
	;; [unrolled: 5-line block ×26, first 2 shown]
	buffer_load_dword v1, off, s[16:19], 0 offset:228
	s_waitcnt vmcnt(0)
	global_store_dwordx4 v[0:1], v[2:5], off
.LBB61_284:
	s_endpgm
	.section	.rodata,"a",@progbits
	.p2align	6, 0x0
	.amdhsa_kernel _ZN9rocsolver6v33100L23getf2_npvt_small_kernelILi31E19rocblas_complex_numIdEiiPS3_EEvT1_T3_lS5_lPT2_S5_S5_
		.amdhsa_group_segment_fixed_size 0
		.amdhsa_private_segment_fixed_size 284
		.amdhsa_kernarg_size 312
		.amdhsa_user_sgpr_count 6
		.amdhsa_user_sgpr_private_segment_buffer 1
		.amdhsa_user_sgpr_dispatch_ptr 0
		.amdhsa_user_sgpr_queue_ptr 0
		.amdhsa_user_sgpr_kernarg_segment_ptr 1
		.amdhsa_user_sgpr_dispatch_id 0
		.amdhsa_user_sgpr_flat_scratch_init 0
		.amdhsa_user_sgpr_private_segment_size 0
		.amdhsa_wavefront_size32 1
		.amdhsa_uses_dynamic_stack 0
		.amdhsa_system_sgpr_private_segment_wavefront_offset 1
		.amdhsa_system_sgpr_workgroup_id_x 1
		.amdhsa_system_sgpr_workgroup_id_y 1
		.amdhsa_system_sgpr_workgroup_id_z 0
		.amdhsa_system_sgpr_workgroup_info 0
		.amdhsa_system_vgpr_workitem_id 1
		.amdhsa_next_free_vgpr 256
		.amdhsa_next_free_sgpr 20
		.amdhsa_reserve_vcc 1
		.amdhsa_reserve_flat_scratch 0
		.amdhsa_float_round_mode_32 0
		.amdhsa_float_round_mode_16_64 0
		.amdhsa_float_denorm_mode_32 3
		.amdhsa_float_denorm_mode_16_64 3
		.amdhsa_dx10_clamp 1
		.amdhsa_ieee_mode 1
		.amdhsa_fp16_overflow 0
		.amdhsa_workgroup_processor_mode 1
		.amdhsa_memory_ordered 1
		.amdhsa_forward_progress 1
		.amdhsa_shared_vgpr_count 0
		.amdhsa_exception_fp_ieee_invalid_op 0
		.amdhsa_exception_fp_denorm_src 0
		.amdhsa_exception_fp_ieee_div_zero 0
		.amdhsa_exception_fp_ieee_overflow 0
		.amdhsa_exception_fp_ieee_underflow 0
		.amdhsa_exception_fp_ieee_inexact 0
		.amdhsa_exception_int_div_zero 0
	.end_amdhsa_kernel
	.section	.text._ZN9rocsolver6v33100L23getf2_npvt_small_kernelILi31E19rocblas_complex_numIdEiiPS3_EEvT1_T3_lS5_lPT2_S5_S5_,"axG",@progbits,_ZN9rocsolver6v33100L23getf2_npvt_small_kernelILi31E19rocblas_complex_numIdEiiPS3_EEvT1_T3_lS5_lPT2_S5_S5_,comdat
.Lfunc_end61:
	.size	_ZN9rocsolver6v33100L23getf2_npvt_small_kernelILi31E19rocblas_complex_numIdEiiPS3_EEvT1_T3_lS5_lPT2_S5_S5_, .Lfunc_end61-_ZN9rocsolver6v33100L23getf2_npvt_small_kernelILi31E19rocblas_complex_numIdEiiPS3_EEvT1_T3_lS5_lPT2_S5_S5_
                                        ; -- End function
	.set _ZN9rocsolver6v33100L23getf2_npvt_small_kernelILi31E19rocblas_complex_numIdEiiPS3_EEvT1_T3_lS5_lPT2_S5_S5_.num_vgpr, 256
	.set _ZN9rocsolver6v33100L23getf2_npvt_small_kernelILi31E19rocblas_complex_numIdEiiPS3_EEvT1_T3_lS5_lPT2_S5_S5_.num_agpr, 0
	.set _ZN9rocsolver6v33100L23getf2_npvt_small_kernelILi31E19rocblas_complex_numIdEiiPS3_EEvT1_T3_lS5_lPT2_S5_S5_.numbered_sgpr, 20
	.set _ZN9rocsolver6v33100L23getf2_npvt_small_kernelILi31E19rocblas_complex_numIdEiiPS3_EEvT1_T3_lS5_lPT2_S5_S5_.num_named_barrier, 0
	.set _ZN9rocsolver6v33100L23getf2_npvt_small_kernelILi31E19rocblas_complex_numIdEiiPS3_EEvT1_T3_lS5_lPT2_S5_S5_.private_seg_size, 284
	.set _ZN9rocsolver6v33100L23getf2_npvt_small_kernelILi31E19rocblas_complex_numIdEiiPS3_EEvT1_T3_lS5_lPT2_S5_S5_.uses_vcc, 1
	.set _ZN9rocsolver6v33100L23getf2_npvt_small_kernelILi31E19rocblas_complex_numIdEiiPS3_EEvT1_T3_lS5_lPT2_S5_S5_.uses_flat_scratch, 0
	.set _ZN9rocsolver6v33100L23getf2_npvt_small_kernelILi31E19rocblas_complex_numIdEiiPS3_EEvT1_T3_lS5_lPT2_S5_S5_.has_dyn_sized_stack, 0
	.set _ZN9rocsolver6v33100L23getf2_npvt_small_kernelILi31E19rocblas_complex_numIdEiiPS3_EEvT1_T3_lS5_lPT2_S5_S5_.has_recursion, 0
	.set _ZN9rocsolver6v33100L23getf2_npvt_small_kernelILi31E19rocblas_complex_numIdEiiPS3_EEvT1_T3_lS5_lPT2_S5_S5_.has_indirect_call, 0
	.section	.AMDGPU.csdata,"",@progbits
; Kernel info:
; codeLenInByte = 57112
; TotalNumSgprs: 22
; NumVgprs: 256
; ScratchSize: 284
; MemoryBound: 1
; FloatMode: 240
; IeeeMode: 1
; LDSByteSize: 0 bytes/workgroup (compile time only)
; SGPRBlocks: 0
; VGPRBlocks: 31
; NumSGPRsForWavesPerEU: 22
; NumVGPRsForWavesPerEU: 256
; Occupancy: 4
; WaveLimiterHint : 0
; COMPUTE_PGM_RSRC2:SCRATCH_EN: 1
; COMPUTE_PGM_RSRC2:USER_SGPR: 6
; COMPUTE_PGM_RSRC2:TRAP_HANDLER: 0
; COMPUTE_PGM_RSRC2:TGID_X_EN: 1
; COMPUTE_PGM_RSRC2:TGID_Y_EN: 1
; COMPUTE_PGM_RSRC2:TGID_Z_EN: 0
; COMPUTE_PGM_RSRC2:TIDIG_COMP_CNT: 1
	.section	.text._ZN9rocsolver6v33100L18getf2_small_kernelILi32E19rocblas_complex_numIdEiiPS3_EEvT1_T3_lS5_lPS5_llPT2_S5_S5_S7_l,"axG",@progbits,_ZN9rocsolver6v33100L18getf2_small_kernelILi32E19rocblas_complex_numIdEiiPS3_EEvT1_T3_lS5_lPS5_llPT2_S5_S5_S7_l,comdat
	.globl	_ZN9rocsolver6v33100L18getf2_small_kernelILi32E19rocblas_complex_numIdEiiPS3_EEvT1_T3_lS5_lPS5_llPT2_S5_S5_S7_l ; -- Begin function _ZN9rocsolver6v33100L18getf2_small_kernelILi32E19rocblas_complex_numIdEiiPS3_EEvT1_T3_lS5_lPS5_llPT2_S5_S5_S7_l
	.p2align	8
	.type	_ZN9rocsolver6v33100L18getf2_small_kernelILi32E19rocblas_complex_numIdEiiPS3_EEvT1_T3_lS5_lPS5_llPT2_S5_S5_S7_l,@function
_ZN9rocsolver6v33100L18getf2_small_kernelILi32E19rocblas_complex_numIdEiiPS3_EEvT1_T3_lS5_lPS5_llPT2_S5_S5_S7_l: ; @_ZN9rocsolver6v33100L18getf2_small_kernelILi32E19rocblas_complex_numIdEiiPS3_EEvT1_T3_lS5_lPS5_llPT2_S5_S5_S7_l
; %bb.0:
	s_clause 0x1
	s_load_dword s0, s[4:5], 0x6c
	s_load_dwordx2 s[16:17], s[4:5], 0x48
	s_waitcnt lgkmcnt(0)
	s_lshr_b32 s0, s0, 16
	v_mad_u64_u32 v[134:135], null, s7, s0, v[1:2]
	s_mov_b32 s0, exec_lo
	v_cmpx_gt_i32_e64 s16, v134
	s_cbranch_execz .LBB62_675
; %bb.1:
	s_load_dwordx4 s[0:3], s[4:5], 0x50
	v_mov_b32_e32 v136, 0
	v_ashrrev_i32_e32 v135, 31, v134
	v_mov_b32_e32 v137, 0
	s_waitcnt lgkmcnt(0)
	s_cmp_eq_u64 s[0:1], 0
	s_cselect_b32 s16, -1, 0
	s_and_b32 vcc_lo, exec_lo, s16
	s_cbranch_vccnz .LBB62_3
; %bb.2:
	v_mul_lo_u32 v4, s3, v134
	v_mul_lo_u32 v5, s2, v135
	v_mad_u64_u32 v[2:3], null, s2, v134, 0
	v_add3_u32 v3, v3, v5, v4
	v_lshlrev_b64 v[2:3], 2, v[2:3]
	v_add_co_u32 v136, vcc_lo, s0, v2
	v_add_co_ci_u32_e64 v137, null, s1, v3, vcc_lo
.LBB62_3:
	s_clause 0x2
	s_load_dwordx8 s[8:15], s[4:5], 0x20
	s_load_dword s6, s[4:5], 0x18
	s_load_dwordx4 s[0:3], s[4:5], 0x8
	v_lshlrev_b32_e32 v140, 4, v0
	s_clause 0x1
	s_load_dword s18, s[4:5], 0x0
	s_load_dwordx2 s[4:5], s[4:5], 0x40
	s_waitcnt lgkmcnt(0)
	v_mul_lo_u32 v5, s9, v134
	v_mul_lo_u32 v7, s8, v135
	v_mad_u64_u32 v[2:3], null, s8, v134, 0
	v_add3_u32 v4, s6, s6, v0
	s_lshl_b64 s[2:3], s[2:3], 4
	s_ashr_i32 s7, s6, 31
	s_lshl_b64 s[8:9], s[6:7], 4
	v_add_nc_u32_e32 v6, s6, v4
	v_add3_u32 v3, v3, v7, v5
	v_ashrrev_i32_e32 v5, 31, v4
	v_add_nc_u32_e32 v8, s6, v6
	v_lshlrev_b64 v[2:3], 4, v[2:3]
	v_ashrrev_i32_e32 v7, 31, v6
	v_lshlrev_b64 v[4:5], 4, v[4:5]
	v_ashrrev_i32_e32 v9, 31, v8
	v_add_nc_u32_e32 v10, s6, v8
	v_add_co_u32 v12, vcc_lo, s0, v2
	v_add_co_ci_u32_e64 v13, null, s1, v3, vcc_lo
	v_lshlrev_b64 v[2:3], 4, v[8:9]
	v_add_nc_u32_e32 v8, s6, v10
	v_add_co_u32 v141, vcc_lo, v12, s2
	v_ashrrev_i32_e32 v11, 31, v10
	v_lshlrev_b64 v[6:7], 4, v[6:7]
	v_add_nc_u32_e32 v12, s6, v8
	v_add_co_ci_u32_e64 v142, null, s3, v13, vcc_lo
	v_ashrrev_i32_e32 v9, 31, v8
	v_lshlrev_b64 v[10:11], 4, v[10:11]
	v_add_nc_u32_e32 v14, s6, v12
	v_ashrrev_i32_e32 v13, 31, v12
	v_add_co_u32 v4, vcc_lo, v141, v4
	v_add_co_ci_u32_e64 v5, null, v142, v5, vcc_lo
	v_add_nc_u32_e32 v16, s6, v14
	v_ashrrev_i32_e32 v15, 31, v14
	v_add_co_u32 v6, vcc_lo, v141, v6
	v_lshlrev_b64 v[8:9], 4, v[8:9]
	v_add_nc_u32_e32 v18, s6, v16
	v_ashrrev_i32_e32 v17, 31, v16
	v_add_co_ci_u32_e64 v7, null, v142, v7, vcc_lo
	v_add_co_u32 v2, vcc_lo, v141, v2
	v_add_nc_u32_e32 v20, s6, v18
	v_lshlrev_b64 v[12:13], 4, v[12:13]
	v_ashrrev_i32_e32 v19, 31, v18
	v_add_co_ci_u32_e64 v3, null, v142, v3, vcc_lo
	v_add_nc_u32_e32 v22, s6, v20
	v_add_co_u32 v10, vcc_lo, v141, v10
	v_lshlrev_b64 v[14:15], 4, v[14:15]
	v_ashrrev_i32_e32 v21, 31, v20
	v_add_nc_u32_e32 v24, s6, v22
	v_add_co_ci_u32_e64 v11, null, v142, v11, vcc_lo
	v_add_co_u32 v8, vcc_lo, v141, v8
	v_add_nc_u32_e32 v26, s6, v24
	v_lshlrev_b64 v[16:17], 4, v[16:17]
	v_ashrrev_i32_e32 v23, 31, v22
	v_add_co_ci_u32_e64 v9, null, v142, v9, vcc_lo
	v_add_nc_u32_e32 v28, s6, v26
	v_add_co_u32 v12, vcc_lo, v141, v12
	v_lshlrev_b64 v[18:19], 4, v[18:19]
	v_ashrrev_i32_e32 v25, 31, v24
	v_add_nc_u32_e32 v30, s6, v28
	;; [unrolled: 11-line block ×3, first 2 shown]
	v_add_co_ci_u32_e64 v17, null, v142, v17, vcc_lo
	v_add_co_u32 v18, vcc_lo, v141, v18
	v_add_nc_u32_e32 v38, s6, v36
	v_lshlrev_b64 v[24:25], 4, v[24:25]
	v_ashrrev_i32_e32 v31, 31, v30
	v_add_co_ci_u32_e64 v19, null, v142, v19, vcc_lo
	v_add_nc_u32_e32 v40, s6, v38
	v_add_co_u32 v20, vcc_lo, v141, v20
	v_lshlrev_b64 v[26:27], 4, v[26:27]
	v_ashrrev_i32_e32 v33, 31, v32
	v_add_co_ci_u32_e64 v21, null, v142, v21, vcc_lo
	v_add_co_u32 v22, vcc_lo, v141, v22
	v_lshlrev_b64 v[28:29], 4, v[28:29]
	v_ashrrev_i32_e32 v35, 31, v34
	v_add_co_ci_u32_e64 v23, null, v142, v23, vcc_lo
	v_add_co_u32 v24, vcc_lo, v141, v24
	v_lshlrev_b64 v[30:31], 4, v[30:31]
	v_add_nc_u32_e32 v42, s6, v40
	v_ashrrev_i32_e32 v37, 31, v36
	v_add_co_ci_u32_e64 v25, null, v142, v25, vcc_lo
	v_add_co_u32 v26, vcc_lo, v141, v26
	v_lshlrev_b64 v[32:33], 4, v[32:33]
	v_ashrrev_i32_e32 v39, 31, v38
	v_add_co_ci_u32_e64 v27, null, v142, v27, vcc_lo
	v_add_co_u32 v28, vcc_lo, v141, v28
	v_lshlrev_b64 v[34:35], 4, v[34:35]
	v_ashrrev_i32_e32 v41, 31, v40
	v_add_nc_u32_e32 v44, s6, v42
	v_add_co_ci_u32_e64 v29, null, v142, v29, vcc_lo
	v_add_co_u32 v30, vcc_lo, v141, v30
	v_lshlrev_b64 v[36:37], 4, v[36:37]
	v_ashrrev_i32_e32 v43, 31, v42
	v_add_co_ci_u32_e64 v31, null, v142, v31, vcc_lo
	v_add_co_u32 v32, vcc_lo, v141, v32
	v_lshlrev_b64 v[38:39], 4, v[38:39]
	v_add_co_ci_u32_e64 v33, null, v142, v33, vcc_lo
	v_add_co_u32 v34, vcc_lo, v141, v34
	v_lshlrev_b64 v[40:41], 4, v[40:41]
	v_add_nc_u32_e32 v46, s6, v44
	v_add_co_ci_u32_e64 v35, null, v142, v35, vcc_lo
	v_add_co_u32 v36, vcc_lo, v141, v36
	v_lshlrev_b64 v[42:43], 4, v[42:43]
	v_ashrrev_i32_e32 v45, 31, v44
	v_add_co_ci_u32_e64 v37, null, v142, v37, vcc_lo
	v_add_co_u32 v38, vcc_lo, v141, v38
	v_ashrrev_i32_e32 v47, 31, v46
	v_add_nc_u32_e32 v48, s6, v46
	v_add_co_ci_u32_e64 v39, null, v142, v39, vcc_lo
	v_add_co_u32 v40, vcc_lo, v141, v40
	v_lshlrev_b64 v[44:45], 4, v[44:45]
	v_add_co_ci_u32_e64 v41, null, v142, v41, vcc_lo
	v_add_co_u32 v130, vcc_lo, v141, v42
	v_add_co_ci_u32_e64 v131, null, v142, v43, vcc_lo
	v_lshlrev_b64 v[42:43], 4, v[46:47]
	v_ashrrev_i32_e32 v49, 31, v48
	v_add_nc_u32_e32 v46, s6, v48
	v_add_co_u32 v132, vcc_lo, v141, v44
	v_add_co_ci_u32_e64 v133, null, v142, v45, vcc_lo
	v_lshlrev_b64 v[44:45], 4, v[48:49]
	v_ashrrev_i32_e32 v47, 31, v46
	v_add_nc_u32_e32 v48, s6, v46
	;; [unrolled: 5-line block ×4, first 2 shown]
	v_add_co_u32 v145, vcc_lo, v141, v42
	v_add_co_ci_u32_e64 v146, null, v142, v43, vcc_lo
	v_lshlrev_b64 v[42:43], 4, v[46:47]
	v_add_nc_u32_e32 v46, s6, v48
	v_ashrrev_i32_e32 v49, 31, v48
	v_add_co_u32 v147, vcc_lo, v141, v44
	v_add_co_ci_u32_e64 v148, null, v142, v45, vcc_lo
	v_ashrrev_i32_e32 v47, 31, v46
	v_lshlrev_b64 v[44:45], 4, v[48:49]
	v_add_co_u32 v149, vcc_lo, v141, v42
	v_add_co_ci_u32_e64 v150, null, v142, v43, vcc_lo
	v_lshlrev_b64 v[42:43], 4, v[46:47]
	v_add_nc_u32_e32 v46, s6, v46
	v_add_co_u32 v151, vcc_lo, v141, v44
	v_add_co_ci_u32_e64 v152, null, v142, v45, vcc_lo
	v_ashrrev_i32_e32 v47, 31, v46
	v_add_co_u32 v153, vcc_lo, v141, v42
	v_add_co_ci_u32_e64 v154, null, v142, v43, vcc_lo
	v_add_co_u32 v44, vcc_lo, v141, v140
	v_add_co_ci_u32_e64 v45, null, 0, v142, vcc_lo
	v_lshlrev_b64 v[42:43], 4, v[46:47]
	v_add_co_u32 v46, vcc_lo, v44, s8
	v_add_co_ci_u32_e64 v47, null, s9, v45, vcc_lo
	s_max_i32 s0, s18, 32
	v_add_co_u32 v155, vcc_lo, v141, v42
	v_add_co_ci_u32_e64 v156, null, v142, v43, vcc_lo
	s_clause 0x1f
	global_load_dwordx4 v[122:125], v[44:45], off
	global_load_dwordx4 v[126:129], v[46:47], off
	;; [unrolled: 1-line block ×32, first 2 shown]
	v_mul_lo_u32 v138, s0, v1
	s_cmp_lt_i32 s18, 2
	v_lshl_add_u32 v1, v138, 4, 0
	v_add_nc_u32_e32 v130, v1, v140
	v_lshlrev_b32_e32 v140, 4, v138
	v_mov_b32_e32 v138, 0
	s_waitcnt vmcnt(31)
	ds_write2_b64 v130, v[122:123], v[124:125] offset1:1
	s_waitcnt vmcnt(0) lgkmcnt(0)
	s_barrier
	buffer_gl0_inv
	ds_read2_b64 v[130:133], v1 offset1:1
	s_cbranch_scc1 .LBB62_6
; %bb.4:
	v_add3_u32 v139, v140, 0, 16
	v_mov_b32_e32 v138, 0
	s_mov_b32 s3, 1
	s_inst_prefetch 0x1
	.p2align	6
.LBB62_5:                               ; =>This Inner Loop Header: Depth=1
	ds_read2_b64 v[143:146], v139 offset1:1
	s_waitcnt lgkmcnt(1)
	v_cmp_gt_f64_e32 vcc_lo, 0, v[130:131]
	v_cmp_gt_f64_e64 s0, 0, v[132:133]
	v_xor_b32_e32 v148, 0x80000000, v131
	v_xor_b32_e32 v150, 0x80000000, v133
	v_mov_b32_e32 v147, v130
	v_mov_b32_e32 v149, v132
	v_add_nc_u32_e32 v139, 16, v139
	s_waitcnt lgkmcnt(0)
	v_cmp_gt_f64_e64 s1, 0, v[143:144]
	v_cmp_gt_f64_e64 s2, 0, v[145:146]
	v_xor_b32_e32 v152, 0x80000000, v144
	v_xor_b32_e32 v154, 0x80000000, v146
	v_mov_b32_e32 v151, v143
	v_mov_b32_e32 v153, v145
	v_cndmask_b32_e32 v148, v131, v148, vcc_lo
	v_cndmask_b32_e64 v150, v133, v150, s0
	v_add_f64 v[147:148], v[147:148], v[149:150]
	v_cndmask_b32_e64 v152, v144, v152, s1
	v_cndmask_b32_e64 v154, v146, v154, s2
	v_add_f64 v[149:150], v[151:152], v[153:154]
	v_cmp_lt_f64_e32 vcc_lo, v[147:148], v[149:150]
	v_cndmask_b32_e32 v131, v131, v144, vcc_lo
	v_cndmask_b32_e32 v130, v130, v143, vcc_lo
	;; [unrolled: 1-line block ×4, first 2 shown]
	v_cndmask_b32_e64 v138, v138, s3, vcc_lo
	s_add_i32 s3, s3, 1
	s_cmp_eq_u32 s18, s3
	s_cbranch_scc0 .LBB62_5
.LBB62_6:
	s_inst_prefetch 0x2
	s_waitcnt lgkmcnt(0)
	v_cmp_neq_f64_e32 vcc_lo, 0, v[130:131]
	v_cmp_neq_f64_e64 s0, 0, v[132:133]
	v_mov_b32_e32 v143, 1
	v_mov_b32_e32 v145, 1
	s_or_b32 s1, vcc_lo, s0
	s_and_saveexec_b32 s0, s1
	s_cbranch_execz .LBB62_12
; %bb.7:
	v_cmp_ngt_f64_e64 s1, |v[130:131]|, |v[132:133]|
	s_and_saveexec_b32 s2, s1
	s_xor_b32 s1, exec_lo, s2
	s_cbranch_execz .LBB62_9
; %bb.8:
	v_div_scale_f64 v[143:144], null, v[132:133], v[132:133], v[130:131]
	v_div_scale_f64 v[149:150], vcc_lo, v[130:131], v[132:133], v[130:131]
	v_rcp_f64_e32 v[145:146], v[143:144]
	v_fma_f64 v[147:148], -v[143:144], v[145:146], 1.0
	v_fma_f64 v[145:146], v[145:146], v[147:148], v[145:146]
	v_fma_f64 v[147:148], -v[143:144], v[145:146], 1.0
	v_fma_f64 v[145:146], v[145:146], v[147:148], v[145:146]
	v_mul_f64 v[147:148], v[149:150], v[145:146]
	v_fma_f64 v[143:144], -v[143:144], v[147:148], v[149:150]
	v_div_fmas_f64 v[143:144], v[143:144], v[145:146], v[147:148]
	v_div_fixup_f64 v[143:144], v[143:144], v[132:133], v[130:131]
	v_fma_f64 v[130:131], v[130:131], v[143:144], v[132:133]
	v_div_scale_f64 v[132:133], null, v[130:131], v[130:131], 1.0
	v_rcp_f64_e32 v[145:146], v[132:133]
	v_fma_f64 v[147:148], -v[132:133], v[145:146], 1.0
	v_fma_f64 v[145:146], v[145:146], v[147:148], v[145:146]
	v_fma_f64 v[147:148], -v[132:133], v[145:146], 1.0
	v_fma_f64 v[145:146], v[145:146], v[147:148], v[145:146]
	v_div_scale_f64 v[147:148], vcc_lo, 1.0, v[130:131], 1.0
	v_mul_f64 v[149:150], v[147:148], v[145:146]
	v_fma_f64 v[132:133], -v[132:133], v[149:150], v[147:148]
	v_div_fmas_f64 v[132:133], v[132:133], v[145:146], v[149:150]
	v_div_fixup_f64 v[132:133], v[132:133], v[130:131], 1.0
	v_mul_f64 v[130:131], v[143:144], v[132:133]
	v_xor_b32_e32 v133, 0x80000000, v133
.LBB62_9:
	s_andn2_saveexec_b32 s1, s1
	s_cbranch_execz .LBB62_11
; %bb.10:
	v_div_scale_f64 v[143:144], null, v[130:131], v[130:131], v[132:133]
	v_div_scale_f64 v[149:150], vcc_lo, v[132:133], v[130:131], v[132:133]
	v_rcp_f64_e32 v[145:146], v[143:144]
	v_fma_f64 v[147:148], -v[143:144], v[145:146], 1.0
	v_fma_f64 v[145:146], v[145:146], v[147:148], v[145:146]
	v_fma_f64 v[147:148], -v[143:144], v[145:146], 1.0
	v_fma_f64 v[145:146], v[145:146], v[147:148], v[145:146]
	v_mul_f64 v[147:148], v[149:150], v[145:146]
	v_fma_f64 v[143:144], -v[143:144], v[147:148], v[149:150]
	v_div_fmas_f64 v[143:144], v[143:144], v[145:146], v[147:148]
	v_div_fixup_f64 v[143:144], v[143:144], v[130:131], v[132:133]
	v_fma_f64 v[130:131], v[132:133], v[143:144], v[130:131]
	v_div_scale_f64 v[132:133], null, v[130:131], v[130:131], 1.0
	v_rcp_f64_e32 v[145:146], v[132:133]
	v_fma_f64 v[147:148], -v[132:133], v[145:146], 1.0
	v_fma_f64 v[145:146], v[145:146], v[147:148], v[145:146]
	v_fma_f64 v[147:148], -v[132:133], v[145:146], 1.0
	v_fma_f64 v[145:146], v[145:146], v[147:148], v[145:146]
	v_div_scale_f64 v[147:148], vcc_lo, 1.0, v[130:131], 1.0
	v_mul_f64 v[149:150], v[147:148], v[145:146]
	v_fma_f64 v[132:133], -v[132:133], v[149:150], v[147:148]
	v_div_fmas_f64 v[132:133], v[132:133], v[145:146], v[149:150]
	v_div_fixup_f64 v[130:131], v[132:133], v[130:131], 1.0
	v_mul_f64 v[132:133], v[143:144], -v[130:131]
.LBB62_11:
	s_or_b32 exec_lo, exec_lo, s1
	v_mov_b32_e32 v145, 0
	v_mov_b32_e32 v143, 2
.LBB62_12:
	s_or_b32 exec_lo, exec_lo, s0
	s_mov_b32 s0, exec_lo
	v_cmpx_ne_u32_e64 v0, v138
	s_xor_b32 s0, exec_lo, s0
	s_cbranch_execz .LBB62_18
; %bb.13:
	s_mov_b32 s1, exec_lo
	v_cmpx_eq_u32_e32 0, v0
	s_cbranch_execz .LBB62_17
; %bb.14:
	v_cmp_ne_u32_e32 vcc_lo, 0, v138
	s_xor_b32 s2, s16, -1
	s_and_b32 s3, s2, vcc_lo
	s_and_saveexec_b32 s2, s3
	s_cbranch_execz .LBB62_16
; %bb.15:
	v_ashrrev_i32_e32 v139, 31, v138
	v_lshlrev_b64 v[146:147], 2, v[138:139]
	v_add_co_u32 v146, vcc_lo, v136, v146
	v_add_co_ci_u32_e64 v147, null, v137, v147, vcc_lo
	s_clause 0x1
	global_load_dword v0, v[146:147], off
	global_load_dword v139, v[136:137], off
	s_waitcnt vmcnt(1)
	global_store_dword v[136:137], v0, off
	s_waitcnt vmcnt(0)
	global_store_dword v[146:147], v139, off
.LBB62_16:
	s_or_b32 exec_lo, exec_lo, s2
	v_mov_b32_e32 v0, v138
.LBB62_17:
	s_or_b32 exec_lo, exec_lo, s1
.LBB62_18:
	s_or_saveexec_b32 s0, s0
	v_mov_b32_e32 v144, v0
	s_xor_b32 exec_lo, exec_lo, s0
	s_cbranch_execz .LBB62_20
; %bb.19:
	v_mov_b32_e32 v144, 0
	ds_write2_b64 v1, v[126:127], v[128:129] offset0:2 offset1:3
	ds_write2_b64 v1, v[118:119], v[120:121] offset0:4 offset1:5
	;; [unrolled: 1-line block ×31, first 2 shown]
.LBB62_20:
	s_or_b32 exec_lo, exec_lo, s0
	s_mov_b32 s0, exec_lo
	s_waitcnt lgkmcnt(0)
	s_waitcnt_vscnt null, 0x0
	s_barrier
	buffer_gl0_inv
	v_cmpx_lt_i32_e32 0, v144
	s_cbranch_execz .LBB62_22
; %bb.21:
	v_mul_f64 v[138:139], v[132:133], v[124:125]
	v_mul_f64 v[124:125], v[130:131], v[124:125]
	v_fma_f64 v[138:139], v[130:131], v[122:123], -v[138:139]
	v_fma_f64 v[124:125], v[132:133], v[122:123], v[124:125]
	ds_read2_b64 v[130:133], v1 offset0:2 offset1:3
	s_waitcnt lgkmcnt(0)
	v_mul_f64 v[122:123], v[132:133], v[124:125]
	v_fma_f64 v[122:123], v[130:131], v[138:139], -v[122:123]
	v_mul_f64 v[130:131], v[130:131], v[124:125]
	v_add_f64 v[126:127], v[126:127], -v[122:123]
	v_fma_f64 v[130:131], v[132:133], v[138:139], v[130:131]
	v_add_f64 v[128:129], v[128:129], -v[130:131]
	ds_read2_b64 v[130:133], v1 offset0:4 offset1:5
	s_waitcnt lgkmcnt(0)
	v_mul_f64 v[122:123], v[132:133], v[124:125]
	v_fma_f64 v[122:123], v[130:131], v[138:139], -v[122:123]
	v_mul_f64 v[130:131], v[130:131], v[124:125]
	v_add_f64 v[118:119], v[118:119], -v[122:123]
	v_fma_f64 v[130:131], v[132:133], v[138:139], v[130:131]
	v_add_f64 v[120:121], v[120:121], -v[130:131]
	;; [unrolled: 8-line block ×30, first 2 shown]
	ds_read2_b64 v[130:133], v1 offset0:62 offset1:63
	s_waitcnt lgkmcnt(0)
	v_mul_f64 v[122:123], v[132:133], v[124:125]
	v_fma_f64 v[122:123], v[130:131], v[138:139], -v[122:123]
	v_mul_f64 v[130:131], v[130:131], v[124:125]
	v_add_f64 v[2:3], v[2:3], -v[122:123]
	v_fma_f64 v[130:131], v[132:133], v[138:139], v[130:131]
	v_mov_b32_e32 v122, v138
	v_mov_b32_e32 v123, v139
	v_add_f64 v[4:5], v[4:5], -v[130:131]
.LBB62_22:
	s_or_b32 exec_lo, exec_lo, s0
	v_lshl_add_u32 v130, v144, 4, v1
	s_barrier
	buffer_gl0_inv
	v_mov_b32_e32 v138, 1
	ds_write2_b64 v130, v[126:127], v[128:129] offset1:1
	s_waitcnt lgkmcnt(0)
	s_barrier
	buffer_gl0_inv
	ds_read2_b64 v[130:133], v1 offset0:2 offset1:3
	s_cmp_lt_i32 s18, 3
	s_cbranch_scc1 .LBB62_25
; %bb.23:
	v_add3_u32 v139, v140, 0, 32
	v_mov_b32_e32 v138, 1
	s_mov_b32 s1, 2
	s_inst_prefetch 0x1
	.p2align	6
.LBB62_24:                              ; =>This Inner Loop Header: Depth=1
	s_waitcnt lgkmcnt(0)
	v_cmp_gt_f64_e32 vcc_lo, 0, v[132:133]
	v_cmp_gt_f64_e64 s0, 0, v[130:131]
	ds_read2_b64 v[146:149], v139 offset1:1
	v_xor_b32_e32 v151, 0x80000000, v131
	v_xor_b32_e32 v153, 0x80000000, v133
	v_mov_b32_e32 v150, v130
	v_mov_b32_e32 v152, v132
	v_add_nc_u32_e32 v139, 16, v139
	s_waitcnt lgkmcnt(0)
	v_xor_b32_e32 v155, 0x80000000, v149
	v_cndmask_b32_e64 v151, v131, v151, s0
	v_cndmask_b32_e32 v153, v133, v153, vcc_lo
	v_cmp_gt_f64_e32 vcc_lo, 0, v[148:149]
	v_cmp_gt_f64_e64 s0, 0, v[146:147]
	v_mov_b32_e32 v154, v148
	v_add_f64 v[150:151], v[150:151], v[152:153]
	v_xor_b32_e32 v153, 0x80000000, v147
	v_mov_b32_e32 v152, v146
	v_cndmask_b32_e32 v155, v149, v155, vcc_lo
	v_cndmask_b32_e64 v153, v147, v153, s0
	v_add_f64 v[152:153], v[152:153], v[154:155]
	v_cmp_lt_f64_e32 vcc_lo, v[150:151], v[152:153]
	v_cndmask_b32_e32 v131, v131, v147, vcc_lo
	v_cndmask_b32_e32 v130, v130, v146, vcc_lo
	;; [unrolled: 1-line block ×4, first 2 shown]
	v_cndmask_b32_e64 v138, v138, s1, vcc_lo
	s_add_i32 s1, s1, 1
	s_cmp_lg_u32 s18, s1
	s_cbranch_scc1 .LBB62_24
.LBB62_25:
	s_inst_prefetch 0x2
	s_waitcnt lgkmcnt(0)
	v_cmp_neq_f64_e32 vcc_lo, 0, v[130:131]
	v_cmp_neq_f64_e64 s0, 0, v[132:133]
	s_or_b32 s1, vcc_lo, s0
	s_and_saveexec_b32 s0, s1
	s_cbranch_execz .LBB62_31
; %bb.26:
	v_cmp_ngt_f64_e64 s1, |v[130:131]|, |v[132:133]|
	s_and_saveexec_b32 s2, s1
	s_xor_b32 s1, exec_lo, s2
	s_cbranch_execz .LBB62_28
; %bb.27:
	v_div_scale_f64 v[146:147], null, v[132:133], v[132:133], v[130:131]
	v_div_scale_f64 v[152:153], vcc_lo, v[130:131], v[132:133], v[130:131]
	v_rcp_f64_e32 v[148:149], v[146:147]
	v_fma_f64 v[150:151], -v[146:147], v[148:149], 1.0
	v_fma_f64 v[148:149], v[148:149], v[150:151], v[148:149]
	v_fma_f64 v[150:151], -v[146:147], v[148:149], 1.0
	v_fma_f64 v[148:149], v[148:149], v[150:151], v[148:149]
	v_mul_f64 v[150:151], v[152:153], v[148:149]
	v_fma_f64 v[146:147], -v[146:147], v[150:151], v[152:153]
	v_div_fmas_f64 v[146:147], v[146:147], v[148:149], v[150:151]
	v_div_fixup_f64 v[146:147], v[146:147], v[132:133], v[130:131]
	v_fma_f64 v[130:131], v[130:131], v[146:147], v[132:133]
	v_div_scale_f64 v[132:133], null, v[130:131], v[130:131], 1.0
	v_rcp_f64_e32 v[148:149], v[132:133]
	v_fma_f64 v[150:151], -v[132:133], v[148:149], 1.0
	v_fma_f64 v[148:149], v[148:149], v[150:151], v[148:149]
	v_fma_f64 v[150:151], -v[132:133], v[148:149], 1.0
	v_fma_f64 v[148:149], v[148:149], v[150:151], v[148:149]
	v_div_scale_f64 v[150:151], vcc_lo, 1.0, v[130:131], 1.0
	v_mul_f64 v[152:153], v[150:151], v[148:149]
	v_fma_f64 v[132:133], -v[132:133], v[152:153], v[150:151]
	v_div_fmas_f64 v[132:133], v[132:133], v[148:149], v[152:153]
	v_div_fixup_f64 v[132:133], v[132:133], v[130:131], 1.0
	v_mul_f64 v[130:131], v[146:147], v[132:133]
	v_xor_b32_e32 v133, 0x80000000, v133
.LBB62_28:
	s_andn2_saveexec_b32 s1, s1
	s_cbranch_execz .LBB62_30
; %bb.29:
	v_div_scale_f64 v[146:147], null, v[130:131], v[130:131], v[132:133]
	v_div_scale_f64 v[152:153], vcc_lo, v[132:133], v[130:131], v[132:133]
	v_rcp_f64_e32 v[148:149], v[146:147]
	v_fma_f64 v[150:151], -v[146:147], v[148:149], 1.0
	v_fma_f64 v[148:149], v[148:149], v[150:151], v[148:149]
	v_fma_f64 v[150:151], -v[146:147], v[148:149], 1.0
	v_fma_f64 v[148:149], v[148:149], v[150:151], v[148:149]
	v_mul_f64 v[150:151], v[152:153], v[148:149]
	v_fma_f64 v[146:147], -v[146:147], v[150:151], v[152:153]
	v_div_fmas_f64 v[146:147], v[146:147], v[148:149], v[150:151]
	v_div_fixup_f64 v[146:147], v[146:147], v[130:131], v[132:133]
	v_fma_f64 v[130:131], v[132:133], v[146:147], v[130:131]
	v_div_scale_f64 v[132:133], null, v[130:131], v[130:131], 1.0
	v_rcp_f64_e32 v[148:149], v[132:133]
	v_fma_f64 v[150:151], -v[132:133], v[148:149], 1.0
	v_fma_f64 v[148:149], v[148:149], v[150:151], v[148:149]
	v_fma_f64 v[150:151], -v[132:133], v[148:149], 1.0
	v_fma_f64 v[148:149], v[148:149], v[150:151], v[148:149]
	v_div_scale_f64 v[150:151], vcc_lo, 1.0, v[130:131], 1.0
	v_mul_f64 v[152:153], v[150:151], v[148:149]
	v_fma_f64 v[132:133], -v[132:133], v[152:153], v[150:151]
	v_div_fmas_f64 v[132:133], v[132:133], v[148:149], v[152:153]
	v_div_fixup_f64 v[130:131], v[132:133], v[130:131], 1.0
	v_mul_f64 v[132:133], v[146:147], -v[130:131]
.LBB62_30:
	s_or_b32 exec_lo, exec_lo, s1
	v_mov_b32_e32 v143, v145
.LBB62_31:
	s_or_b32 exec_lo, exec_lo, s0
	s_mov_b32 s0, exec_lo
	v_cmpx_ne_u32_e64 v144, v138
	s_xor_b32 s0, exec_lo, s0
	s_cbranch_execz .LBB62_37
; %bb.32:
	s_mov_b32 s1, exec_lo
	v_cmpx_eq_u32_e32 1, v144
	s_cbranch_execz .LBB62_36
; %bb.33:
	v_cmp_ne_u32_e32 vcc_lo, 1, v138
	s_xor_b32 s2, s16, -1
	s_and_b32 s3, s2, vcc_lo
	s_and_saveexec_b32 s2, s3
	s_cbranch_execz .LBB62_35
; %bb.34:
	v_ashrrev_i32_e32 v139, 31, v138
	v_lshlrev_b64 v[144:145], 2, v[138:139]
	v_add_co_u32 v144, vcc_lo, v136, v144
	v_add_co_ci_u32_e64 v145, null, v137, v145, vcc_lo
	s_clause 0x1
	global_load_dword v0, v[144:145], off
	global_load_dword v139, v[136:137], off offset:4
	s_waitcnt vmcnt(1)
	global_store_dword v[136:137], v0, off offset:4
	s_waitcnt vmcnt(0)
	global_store_dword v[144:145], v139, off
.LBB62_35:
	s_or_b32 exec_lo, exec_lo, s2
	v_mov_b32_e32 v144, v138
	v_mov_b32_e32 v0, v138
.LBB62_36:
	s_or_b32 exec_lo, exec_lo, s1
.LBB62_37:
	s_andn2_saveexec_b32 s0, s0
	s_cbranch_execz .LBB62_39
; %bb.38:
	v_mov_b32_e32 v144, 1
	ds_write2_b64 v1, v[118:119], v[120:121] offset0:4 offset1:5
	ds_write2_b64 v1, v[114:115], v[116:117] offset0:6 offset1:7
	;; [unrolled: 1-line block ×30, first 2 shown]
.LBB62_39:
	s_or_b32 exec_lo, exec_lo, s0
	s_mov_b32 s0, exec_lo
	s_waitcnt lgkmcnt(0)
	s_waitcnt_vscnt null, 0x0
	s_barrier
	buffer_gl0_inv
	v_cmpx_lt_i32_e32 1, v144
	s_cbranch_execz .LBB62_41
; %bb.40:
	v_mul_f64 v[138:139], v[132:133], v[128:129]
	v_mul_f64 v[128:129], v[130:131], v[128:129]
	v_fma_f64 v[138:139], v[130:131], v[126:127], -v[138:139]
	v_fma_f64 v[128:129], v[132:133], v[126:127], v[128:129]
	ds_read2_b64 v[130:133], v1 offset0:4 offset1:5
	s_waitcnt lgkmcnt(0)
	v_mul_f64 v[126:127], v[132:133], v[128:129]
	v_fma_f64 v[126:127], v[130:131], v[138:139], -v[126:127]
	v_mul_f64 v[130:131], v[130:131], v[128:129]
	v_add_f64 v[118:119], v[118:119], -v[126:127]
	v_fma_f64 v[130:131], v[132:133], v[138:139], v[130:131]
	v_add_f64 v[120:121], v[120:121], -v[130:131]
	ds_read2_b64 v[130:133], v1 offset0:6 offset1:7
	s_waitcnt lgkmcnt(0)
	v_mul_f64 v[126:127], v[132:133], v[128:129]
	v_fma_f64 v[126:127], v[130:131], v[138:139], -v[126:127]
	v_mul_f64 v[130:131], v[130:131], v[128:129]
	v_add_f64 v[114:115], v[114:115], -v[126:127]
	v_fma_f64 v[130:131], v[132:133], v[138:139], v[130:131]
	v_add_f64 v[116:117], v[116:117], -v[130:131]
	;; [unrolled: 8-line block ×29, first 2 shown]
	ds_read2_b64 v[130:133], v1 offset0:62 offset1:63
	s_waitcnt lgkmcnt(0)
	v_mul_f64 v[126:127], v[132:133], v[128:129]
	v_fma_f64 v[126:127], v[130:131], v[138:139], -v[126:127]
	v_mul_f64 v[130:131], v[130:131], v[128:129]
	v_add_f64 v[2:3], v[2:3], -v[126:127]
	v_fma_f64 v[130:131], v[132:133], v[138:139], v[130:131]
	v_mov_b32_e32 v126, v138
	v_mov_b32_e32 v127, v139
	v_add_f64 v[4:5], v[4:5], -v[130:131]
.LBB62_41:
	s_or_b32 exec_lo, exec_lo, s0
	v_lshl_add_u32 v130, v144, 4, v1
	s_barrier
	buffer_gl0_inv
	v_mov_b32_e32 v138, 2
	ds_write2_b64 v130, v[118:119], v[120:121] offset1:1
	s_waitcnt lgkmcnt(0)
	s_barrier
	buffer_gl0_inv
	ds_read2_b64 v[130:133], v1 offset0:4 offset1:5
	s_cmp_lt_i32 s18, 4
	s_cbranch_scc1 .LBB62_44
; %bb.42:
	v_add3_u32 v139, v140, 0, 48
	v_mov_b32_e32 v138, 2
	s_mov_b32 s1, 3
	s_inst_prefetch 0x1
	.p2align	6
.LBB62_43:                              ; =>This Inner Loop Header: Depth=1
	s_waitcnt lgkmcnt(0)
	v_cmp_gt_f64_e32 vcc_lo, 0, v[132:133]
	v_cmp_gt_f64_e64 s0, 0, v[130:131]
	ds_read2_b64 v[145:148], v139 offset1:1
	v_xor_b32_e32 v150, 0x80000000, v131
	v_xor_b32_e32 v152, 0x80000000, v133
	v_mov_b32_e32 v149, v130
	v_mov_b32_e32 v151, v132
	v_add_nc_u32_e32 v139, 16, v139
	s_waitcnt lgkmcnt(0)
	v_xor_b32_e32 v154, 0x80000000, v148
	v_cndmask_b32_e64 v150, v131, v150, s0
	v_cndmask_b32_e32 v152, v133, v152, vcc_lo
	v_cmp_gt_f64_e32 vcc_lo, 0, v[147:148]
	v_cmp_gt_f64_e64 s0, 0, v[145:146]
	v_mov_b32_e32 v153, v147
	v_add_f64 v[149:150], v[149:150], v[151:152]
	v_xor_b32_e32 v152, 0x80000000, v146
	v_mov_b32_e32 v151, v145
	v_cndmask_b32_e32 v154, v148, v154, vcc_lo
	v_cndmask_b32_e64 v152, v146, v152, s0
	v_add_f64 v[151:152], v[151:152], v[153:154]
	v_cmp_lt_f64_e32 vcc_lo, v[149:150], v[151:152]
	v_cndmask_b32_e32 v131, v131, v146, vcc_lo
	v_cndmask_b32_e32 v130, v130, v145, vcc_lo
	;; [unrolled: 1-line block ×4, first 2 shown]
	v_cndmask_b32_e64 v138, v138, s1, vcc_lo
	s_add_i32 s1, s1, 1
	s_cmp_lg_u32 s18, s1
	s_cbranch_scc1 .LBB62_43
.LBB62_44:
	s_inst_prefetch 0x2
	s_waitcnt lgkmcnt(0)
	v_cmp_eq_f64_e32 vcc_lo, 0, v[130:131]
	v_cmp_eq_f64_e64 s0, 0, v[132:133]
	s_and_b32 s0, vcc_lo, s0
	s_and_saveexec_b32 s1, s0
	s_xor_b32 s0, exec_lo, s1
; %bb.45:
	v_cmp_ne_u32_e32 vcc_lo, 0, v143
	v_cndmask_b32_e32 v143, 3, v143, vcc_lo
; %bb.46:
	s_andn2_saveexec_b32 s0, s0
	s_cbranch_execz .LBB62_52
; %bb.47:
	v_cmp_ngt_f64_e64 s1, |v[130:131]|, |v[132:133]|
	s_and_saveexec_b32 s2, s1
	s_xor_b32 s1, exec_lo, s2
	s_cbranch_execz .LBB62_49
; %bb.48:
	v_div_scale_f64 v[145:146], null, v[132:133], v[132:133], v[130:131]
	v_div_scale_f64 v[151:152], vcc_lo, v[130:131], v[132:133], v[130:131]
	v_rcp_f64_e32 v[147:148], v[145:146]
	v_fma_f64 v[149:150], -v[145:146], v[147:148], 1.0
	v_fma_f64 v[147:148], v[147:148], v[149:150], v[147:148]
	v_fma_f64 v[149:150], -v[145:146], v[147:148], 1.0
	v_fma_f64 v[147:148], v[147:148], v[149:150], v[147:148]
	v_mul_f64 v[149:150], v[151:152], v[147:148]
	v_fma_f64 v[145:146], -v[145:146], v[149:150], v[151:152]
	v_div_fmas_f64 v[145:146], v[145:146], v[147:148], v[149:150]
	v_div_fixup_f64 v[145:146], v[145:146], v[132:133], v[130:131]
	v_fma_f64 v[130:131], v[130:131], v[145:146], v[132:133]
	v_div_scale_f64 v[132:133], null, v[130:131], v[130:131], 1.0
	v_rcp_f64_e32 v[147:148], v[132:133]
	v_fma_f64 v[149:150], -v[132:133], v[147:148], 1.0
	v_fma_f64 v[147:148], v[147:148], v[149:150], v[147:148]
	v_fma_f64 v[149:150], -v[132:133], v[147:148], 1.0
	v_fma_f64 v[147:148], v[147:148], v[149:150], v[147:148]
	v_div_scale_f64 v[149:150], vcc_lo, 1.0, v[130:131], 1.0
	v_mul_f64 v[151:152], v[149:150], v[147:148]
	v_fma_f64 v[132:133], -v[132:133], v[151:152], v[149:150]
	v_div_fmas_f64 v[132:133], v[132:133], v[147:148], v[151:152]
	v_div_fixup_f64 v[132:133], v[132:133], v[130:131], 1.0
	v_mul_f64 v[130:131], v[145:146], v[132:133]
	v_xor_b32_e32 v133, 0x80000000, v133
.LBB62_49:
	s_andn2_saveexec_b32 s1, s1
	s_cbranch_execz .LBB62_51
; %bb.50:
	v_div_scale_f64 v[145:146], null, v[130:131], v[130:131], v[132:133]
	v_div_scale_f64 v[151:152], vcc_lo, v[132:133], v[130:131], v[132:133]
	v_rcp_f64_e32 v[147:148], v[145:146]
	v_fma_f64 v[149:150], -v[145:146], v[147:148], 1.0
	v_fma_f64 v[147:148], v[147:148], v[149:150], v[147:148]
	v_fma_f64 v[149:150], -v[145:146], v[147:148], 1.0
	v_fma_f64 v[147:148], v[147:148], v[149:150], v[147:148]
	v_mul_f64 v[149:150], v[151:152], v[147:148]
	v_fma_f64 v[145:146], -v[145:146], v[149:150], v[151:152]
	v_div_fmas_f64 v[145:146], v[145:146], v[147:148], v[149:150]
	v_div_fixup_f64 v[145:146], v[145:146], v[130:131], v[132:133]
	v_fma_f64 v[130:131], v[132:133], v[145:146], v[130:131]
	v_div_scale_f64 v[132:133], null, v[130:131], v[130:131], 1.0
	v_rcp_f64_e32 v[147:148], v[132:133]
	v_fma_f64 v[149:150], -v[132:133], v[147:148], 1.0
	v_fma_f64 v[147:148], v[147:148], v[149:150], v[147:148]
	v_fma_f64 v[149:150], -v[132:133], v[147:148], 1.0
	v_fma_f64 v[147:148], v[147:148], v[149:150], v[147:148]
	v_div_scale_f64 v[149:150], vcc_lo, 1.0, v[130:131], 1.0
	v_mul_f64 v[151:152], v[149:150], v[147:148]
	v_fma_f64 v[132:133], -v[132:133], v[151:152], v[149:150]
	v_div_fmas_f64 v[132:133], v[132:133], v[147:148], v[151:152]
	v_div_fixup_f64 v[130:131], v[132:133], v[130:131], 1.0
	v_mul_f64 v[132:133], v[145:146], -v[130:131]
.LBB62_51:
	s_or_b32 exec_lo, exec_lo, s1
.LBB62_52:
	s_or_b32 exec_lo, exec_lo, s0
	s_mov_b32 s0, exec_lo
	v_cmpx_ne_u32_e64 v144, v138
	s_xor_b32 s0, exec_lo, s0
	s_cbranch_execz .LBB62_58
; %bb.53:
	s_mov_b32 s1, exec_lo
	v_cmpx_eq_u32_e32 2, v144
	s_cbranch_execz .LBB62_57
; %bb.54:
	v_cmp_ne_u32_e32 vcc_lo, 2, v138
	s_xor_b32 s2, s16, -1
	s_and_b32 s3, s2, vcc_lo
	s_and_saveexec_b32 s2, s3
	s_cbranch_execz .LBB62_56
; %bb.55:
	v_ashrrev_i32_e32 v139, 31, v138
	v_lshlrev_b64 v[144:145], 2, v[138:139]
	v_add_co_u32 v144, vcc_lo, v136, v144
	v_add_co_ci_u32_e64 v145, null, v137, v145, vcc_lo
	s_clause 0x1
	global_load_dword v0, v[144:145], off
	global_load_dword v139, v[136:137], off offset:8
	s_waitcnt vmcnt(1)
	global_store_dword v[136:137], v0, off offset:8
	s_waitcnt vmcnt(0)
	global_store_dword v[144:145], v139, off
.LBB62_56:
	s_or_b32 exec_lo, exec_lo, s2
	v_mov_b32_e32 v144, v138
	v_mov_b32_e32 v0, v138
.LBB62_57:
	s_or_b32 exec_lo, exec_lo, s1
.LBB62_58:
	s_andn2_saveexec_b32 s0, s0
	s_cbranch_execz .LBB62_60
; %bb.59:
	v_mov_b32_e32 v144, 2
	ds_write2_b64 v1, v[114:115], v[116:117] offset0:6 offset1:7
	ds_write2_b64 v1, v[110:111], v[112:113] offset0:8 offset1:9
	;; [unrolled: 1-line block ×29, first 2 shown]
.LBB62_60:
	s_or_b32 exec_lo, exec_lo, s0
	s_mov_b32 s0, exec_lo
	s_waitcnt lgkmcnt(0)
	s_waitcnt_vscnt null, 0x0
	s_barrier
	buffer_gl0_inv
	v_cmpx_lt_i32_e32 2, v144
	s_cbranch_execz .LBB62_62
; %bb.61:
	v_mul_f64 v[138:139], v[132:133], v[120:121]
	v_mul_f64 v[120:121], v[130:131], v[120:121]
	v_fma_f64 v[138:139], v[130:131], v[118:119], -v[138:139]
	v_fma_f64 v[120:121], v[132:133], v[118:119], v[120:121]
	ds_read2_b64 v[130:133], v1 offset0:6 offset1:7
	s_waitcnt lgkmcnt(0)
	v_mul_f64 v[118:119], v[132:133], v[120:121]
	v_fma_f64 v[118:119], v[130:131], v[138:139], -v[118:119]
	v_mul_f64 v[130:131], v[130:131], v[120:121]
	v_add_f64 v[114:115], v[114:115], -v[118:119]
	v_fma_f64 v[130:131], v[132:133], v[138:139], v[130:131]
	v_add_f64 v[116:117], v[116:117], -v[130:131]
	ds_read2_b64 v[130:133], v1 offset0:8 offset1:9
	s_waitcnt lgkmcnt(0)
	v_mul_f64 v[118:119], v[132:133], v[120:121]
	v_fma_f64 v[118:119], v[130:131], v[138:139], -v[118:119]
	v_mul_f64 v[130:131], v[130:131], v[120:121]
	v_add_f64 v[110:111], v[110:111], -v[118:119]
	v_fma_f64 v[130:131], v[132:133], v[138:139], v[130:131]
	v_add_f64 v[112:113], v[112:113], -v[130:131]
	;; [unrolled: 8-line block ×28, first 2 shown]
	ds_read2_b64 v[130:133], v1 offset0:62 offset1:63
	s_waitcnt lgkmcnt(0)
	v_mul_f64 v[118:119], v[132:133], v[120:121]
	v_fma_f64 v[118:119], v[130:131], v[138:139], -v[118:119]
	v_mul_f64 v[130:131], v[130:131], v[120:121]
	v_add_f64 v[2:3], v[2:3], -v[118:119]
	v_fma_f64 v[130:131], v[132:133], v[138:139], v[130:131]
	v_mov_b32_e32 v118, v138
	v_mov_b32_e32 v119, v139
	v_add_f64 v[4:5], v[4:5], -v[130:131]
.LBB62_62:
	s_or_b32 exec_lo, exec_lo, s0
	v_lshl_add_u32 v130, v144, 4, v1
	s_barrier
	buffer_gl0_inv
	v_mov_b32_e32 v138, 3
	ds_write2_b64 v130, v[114:115], v[116:117] offset1:1
	s_waitcnt lgkmcnt(0)
	s_barrier
	buffer_gl0_inv
	ds_read2_b64 v[130:133], v1 offset0:6 offset1:7
	s_cmp_lt_i32 s18, 5
	s_mov_b32 s1, 4
	s_cbranch_scc1 .LBB62_65
; %bb.63:
	v_add3_u32 v139, v140, 0, 64
	v_mov_b32_e32 v138, 3
	s_inst_prefetch 0x1
	.p2align	6
.LBB62_64:                              ; =>This Inner Loop Header: Depth=1
	s_waitcnt lgkmcnt(0)
	v_cmp_gt_f64_e32 vcc_lo, 0, v[132:133]
	v_cmp_gt_f64_e64 s0, 0, v[130:131]
	ds_read2_b64 v[145:148], v139 offset1:1
	v_xor_b32_e32 v150, 0x80000000, v131
	v_xor_b32_e32 v152, 0x80000000, v133
	v_mov_b32_e32 v149, v130
	v_mov_b32_e32 v151, v132
	v_add_nc_u32_e32 v139, 16, v139
	s_waitcnt lgkmcnt(0)
	v_xor_b32_e32 v154, 0x80000000, v148
	v_cndmask_b32_e64 v150, v131, v150, s0
	v_cndmask_b32_e32 v152, v133, v152, vcc_lo
	v_cmp_gt_f64_e32 vcc_lo, 0, v[147:148]
	v_cmp_gt_f64_e64 s0, 0, v[145:146]
	v_mov_b32_e32 v153, v147
	v_add_f64 v[149:150], v[149:150], v[151:152]
	v_xor_b32_e32 v152, 0x80000000, v146
	v_mov_b32_e32 v151, v145
	v_cndmask_b32_e32 v154, v148, v154, vcc_lo
	v_cndmask_b32_e64 v152, v146, v152, s0
	v_add_f64 v[151:152], v[151:152], v[153:154]
	v_cmp_lt_f64_e32 vcc_lo, v[149:150], v[151:152]
	v_cndmask_b32_e32 v131, v131, v146, vcc_lo
	v_cndmask_b32_e32 v130, v130, v145, vcc_lo
	;; [unrolled: 1-line block ×4, first 2 shown]
	v_cndmask_b32_e64 v138, v138, s1, vcc_lo
	s_add_i32 s1, s1, 1
	s_cmp_lg_u32 s18, s1
	s_cbranch_scc1 .LBB62_64
.LBB62_65:
	s_inst_prefetch 0x2
	s_waitcnt lgkmcnt(0)
	v_cmp_eq_f64_e32 vcc_lo, 0, v[130:131]
	v_cmp_eq_f64_e64 s0, 0, v[132:133]
	s_and_b32 s0, vcc_lo, s0
	s_and_saveexec_b32 s1, s0
	s_xor_b32 s0, exec_lo, s1
; %bb.66:
	v_cmp_ne_u32_e32 vcc_lo, 0, v143
	v_cndmask_b32_e32 v143, 4, v143, vcc_lo
; %bb.67:
	s_andn2_saveexec_b32 s0, s0
	s_cbranch_execz .LBB62_73
; %bb.68:
	v_cmp_ngt_f64_e64 s1, |v[130:131]|, |v[132:133]|
	s_and_saveexec_b32 s2, s1
	s_xor_b32 s1, exec_lo, s2
	s_cbranch_execz .LBB62_70
; %bb.69:
	v_div_scale_f64 v[145:146], null, v[132:133], v[132:133], v[130:131]
	v_div_scale_f64 v[151:152], vcc_lo, v[130:131], v[132:133], v[130:131]
	v_rcp_f64_e32 v[147:148], v[145:146]
	v_fma_f64 v[149:150], -v[145:146], v[147:148], 1.0
	v_fma_f64 v[147:148], v[147:148], v[149:150], v[147:148]
	v_fma_f64 v[149:150], -v[145:146], v[147:148], 1.0
	v_fma_f64 v[147:148], v[147:148], v[149:150], v[147:148]
	v_mul_f64 v[149:150], v[151:152], v[147:148]
	v_fma_f64 v[145:146], -v[145:146], v[149:150], v[151:152]
	v_div_fmas_f64 v[145:146], v[145:146], v[147:148], v[149:150]
	v_div_fixup_f64 v[145:146], v[145:146], v[132:133], v[130:131]
	v_fma_f64 v[130:131], v[130:131], v[145:146], v[132:133]
	v_div_scale_f64 v[132:133], null, v[130:131], v[130:131], 1.0
	v_rcp_f64_e32 v[147:148], v[132:133]
	v_fma_f64 v[149:150], -v[132:133], v[147:148], 1.0
	v_fma_f64 v[147:148], v[147:148], v[149:150], v[147:148]
	v_fma_f64 v[149:150], -v[132:133], v[147:148], 1.0
	v_fma_f64 v[147:148], v[147:148], v[149:150], v[147:148]
	v_div_scale_f64 v[149:150], vcc_lo, 1.0, v[130:131], 1.0
	v_mul_f64 v[151:152], v[149:150], v[147:148]
	v_fma_f64 v[132:133], -v[132:133], v[151:152], v[149:150]
	v_div_fmas_f64 v[132:133], v[132:133], v[147:148], v[151:152]
	v_div_fixup_f64 v[132:133], v[132:133], v[130:131], 1.0
	v_mul_f64 v[130:131], v[145:146], v[132:133]
	v_xor_b32_e32 v133, 0x80000000, v133
.LBB62_70:
	s_andn2_saveexec_b32 s1, s1
	s_cbranch_execz .LBB62_72
; %bb.71:
	v_div_scale_f64 v[145:146], null, v[130:131], v[130:131], v[132:133]
	v_div_scale_f64 v[151:152], vcc_lo, v[132:133], v[130:131], v[132:133]
	v_rcp_f64_e32 v[147:148], v[145:146]
	v_fma_f64 v[149:150], -v[145:146], v[147:148], 1.0
	v_fma_f64 v[147:148], v[147:148], v[149:150], v[147:148]
	v_fma_f64 v[149:150], -v[145:146], v[147:148], 1.0
	v_fma_f64 v[147:148], v[147:148], v[149:150], v[147:148]
	v_mul_f64 v[149:150], v[151:152], v[147:148]
	v_fma_f64 v[145:146], -v[145:146], v[149:150], v[151:152]
	v_div_fmas_f64 v[145:146], v[145:146], v[147:148], v[149:150]
	v_div_fixup_f64 v[145:146], v[145:146], v[130:131], v[132:133]
	v_fma_f64 v[130:131], v[132:133], v[145:146], v[130:131]
	v_div_scale_f64 v[132:133], null, v[130:131], v[130:131], 1.0
	v_rcp_f64_e32 v[147:148], v[132:133]
	v_fma_f64 v[149:150], -v[132:133], v[147:148], 1.0
	v_fma_f64 v[147:148], v[147:148], v[149:150], v[147:148]
	v_fma_f64 v[149:150], -v[132:133], v[147:148], 1.0
	v_fma_f64 v[147:148], v[147:148], v[149:150], v[147:148]
	v_div_scale_f64 v[149:150], vcc_lo, 1.0, v[130:131], 1.0
	v_mul_f64 v[151:152], v[149:150], v[147:148]
	v_fma_f64 v[132:133], -v[132:133], v[151:152], v[149:150]
	v_div_fmas_f64 v[132:133], v[132:133], v[147:148], v[151:152]
	v_div_fixup_f64 v[130:131], v[132:133], v[130:131], 1.0
	v_mul_f64 v[132:133], v[145:146], -v[130:131]
.LBB62_72:
	s_or_b32 exec_lo, exec_lo, s1
.LBB62_73:
	s_or_b32 exec_lo, exec_lo, s0
	s_mov_b32 s0, exec_lo
	v_cmpx_ne_u32_e64 v144, v138
	s_xor_b32 s0, exec_lo, s0
	s_cbranch_execz .LBB62_79
; %bb.74:
	s_mov_b32 s1, exec_lo
	v_cmpx_eq_u32_e32 3, v144
	s_cbranch_execz .LBB62_78
; %bb.75:
	v_cmp_ne_u32_e32 vcc_lo, 3, v138
	s_xor_b32 s2, s16, -1
	s_and_b32 s3, s2, vcc_lo
	s_and_saveexec_b32 s2, s3
	s_cbranch_execz .LBB62_77
; %bb.76:
	v_ashrrev_i32_e32 v139, 31, v138
	v_lshlrev_b64 v[144:145], 2, v[138:139]
	v_add_co_u32 v144, vcc_lo, v136, v144
	v_add_co_ci_u32_e64 v145, null, v137, v145, vcc_lo
	s_clause 0x1
	global_load_dword v0, v[144:145], off
	global_load_dword v139, v[136:137], off offset:12
	s_waitcnt vmcnt(1)
	global_store_dword v[136:137], v0, off offset:12
	s_waitcnt vmcnt(0)
	global_store_dword v[144:145], v139, off
.LBB62_77:
	s_or_b32 exec_lo, exec_lo, s2
	v_mov_b32_e32 v144, v138
	v_mov_b32_e32 v0, v138
.LBB62_78:
	s_or_b32 exec_lo, exec_lo, s1
.LBB62_79:
	s_andn2_saveexec_b32 s0, s0
	s_cbranch_execz .LBB62_81
; %bb.80:
	v_mov_b32_e32 v144, 3
	ds_write2_b64 v1, v[110:111], v[112:113] offset0:8 offset1:9
	ds_write2_b64 v1, v[106:107], v[108:109] offset0:10 offset1:11
	;; [unrolled: 1-line block ×28, first 2 shown]
.LBB62_81:
	s_or_b32 exec_lo, exec_lo, s0
	s_mov_b32 s0, exec_lo
	s_waitcnt lgkmcnt(0)
	s_waitcnt_vscnt null, 0x0
	s_barrier
	buffer_gl0_inv
	v_cmpx_lt_i32_e32 3, v144
	s_cbranch_execz .LBB62_83
; %bb.82:
	v_mul_f64 v[138:139], v[132:133], v[116:117]
	v_mul_f64 v[116:117], v[130:131], v[116:117]
	v_fma_f64 v[138:139], v[130:131], v[114:115], -v[138:139]
	v_fma_f64 v[116:117], v[132:133], v[114:115], v[116:117]
	ds_read2_b64 v[130:133], v1 offset0:8 offset1:9
	s_waitcnt lgkmcnt(0)
	v_mul_f64 v[114:115], v[132:133], v[116:117]
	v_fma_f64 v[114:115], v[130:131], v[138:139], -v[114:115]
	v_mul_f64 v[130:131], v[130:131], v[116:117]
	v_add_f64 v[110:111], v[110:111], -v[114:115]
	v_fma_f64 v[130:131], v[132:133], v[138:139], v[130:131]
	v_add_f64 v[112:113], v[112:113], -v[130:131]
	ds_read2_b64 v[130:133], v1 offset0:10 offset1:11
	s_waitcnt lgkmcnt(0)
	v_mul_f64 v[114:115], v[132:133], v[116:117]
	v_fma_f64 v[114:115], v[130:131], v[138:139], -v[114:115]
	v_mul_f64 v[130:131], v[130:131], v[116:117]
	v_add_f64 v[106:107], v[106:107], -v[114:115]
	v_fma_f64 v[130:131], v[132:133], v[138:139], v[130:131]
	v_add_f64 v[108:109], v[108:109], -v[130:131]
	;; [unrolled: 8-line block ×27, first 2 shown]
	ds_read2_b64 v[130:133], v1 offset0:62 offset1:63
	s_waitcnt lgkmcnt(0)
	v_mul_f64 v[114:115], v[132:133], v[116:117]
	v_fma_f64 v[114:115], v[130:131], v[138:139], -v[114:115]
	v_mul_f64 v[130:131], v[130:131], v[116:117]
	v_add_f64 v[2:3], v[2:3], -v[114:115]
	v_fma_f64 v[130:131], v[132:133], v[138:139], v[130:131]
	v_mov_b32_e32 v114, v138
	v_mov_b32_e32 v115, v139
	v_add_f64 v[4:5], v[4:5], -v[130:131]
.LBB62_83:
	s_or_b32 exec_lo, exec_lo, s0
	v_lshl_add_u32 v130, v144, 4, v1
	s_barrier
	buffer_gl0_inv
	v_mov_b32_e32 v138, 4
	ds_write2_b64 v130, v[110:111], v[112:113] offset1:1
	s_waitcnt lgkmcnt(0)
	s_barrier
	buffer_gl0_inv
	ds_read2_b64 v[130:133], v1 offset0:8 offset1:9
	s_cmp_lt_i32 s18, 6
	s_cbranch_scc1 .LBB62_86
; %bb.84:
	v_mov_b32_e32 v138, 4
	v_add3_u32 v139, v140, 0, 0x50
	s_mov_b32 s1, 5
	s_inst_prefetch 0x1
	.p2align	6
.LBB62_85:                              ; =>This Inner Loop Header: Depth=1
	s_waitcnt lgkmcnt(0)
	v_cmp_gt_f64_e32 vcc_lo, 0, v[132:133]
	v_cmp_gt_f64_e64 s0, 0, v[130:131]
	ds_read2_b64 v[145:148], v139 offset1:1
	v_xor_b32_e32 v150, 0x80000000, v131
	v_xor_b32_e32 v152, 0x80000000, v133
	v_mov_b32_e32 v149, v130
	v_mov_b32_e32 v151, v132
	v_add_nc_u32_e32 v139, 16, v139
	s_waitcnt lgkmcnt(0)
	v_xor_b32_e32 v154, 0x80000000, v148
	v_cndmask_b32_e64 v150, v131, v150, s0
	v_cndmask_b32_e32 v152, v133, v152, vcc_lo
	v_cmp_gt_f64_e32 vcc_lo, 0, v[147:148]
	v_cmp_gt_f64_e64 s0, 0, v[145:146]
	v_mov_b32_e32 v153, v147
	v_add_f64 v[149:150], v[149:150], v[151:152]
	v_xor_b32_e32 v152, 0x80000000, v146
	v_mov_b32_e32 v151, v145
	v_cndmask_b32_e32 v154, v148, v154, vcc_lo
	v_cndmask_b32_e64 v152, v146, v152, s0
	v_add_f64 v[151:152], v[151:152], v[153:154]
	v_cmp_lt_f64_e32 vcc_lo, v[149:150], v[151:152]
	v_cndmask_b32_e32 v131, v131, v146, vcc_lo
	v_cndmask_b32_e32 v130, v130, v145, vcc_lo
	;; [unrolled: 1-line block ×4, first 2 shown]
	v_cndmask_b32_e64 v138, v138, s1, vcc_lo
	s_add_i32 s1, s1, 1
	s_cmp_lg_u32 s18, s1
	s_cbranch_scc1 .LBB62_85
.LBB62_86:
	s_inst_prefetch 0x2
	s_waitcnt lgkmcnt(0)
	v_cmp_eq_f64_e32 vcc_lo, 0, v[130:131]
	v_cmp_eq_f64_e64 s0, 0, v[132:133]
	s_and_b32 s0, vcc_lo, s0
	s_and_saveexec_b32 s1, s0
	s_xor_b32 s0, exec_lo, s1
; %bb.87:
	v_cmp_ne_u32_e32 vcc_lo, 0, v143
	v_cndmask_b32_e32 v143, 5, v143, vcc_lo
; %bb.88:
	s_andn2_saveexec_b32 s0, s0
	s_cbranch_execz .LBB62_94
; %bb.89:
	v_cmp_ngt_f64_e64 s1, |v[130:131]|, |v[132:133]|
	s_and_saveexec_b32 s2, s1
	s_xor_b32 s1, exec_lo, s2
	s_cbranch_execz .LBB62_91
; %bb.90:
	v_div_scale_f64 v[145:146], null, v[132:133], v[132:133], v[130:131]
	v_div_scale_f64 v[151:152], vcc_lo, v[130:131], v[132:133], v[130:131]
	v_rcp_f64_e32 v[147:148], v[145:146]
	v_fma_f64 v[149:150], -v[145:146], v[147:148], 1.0
	v_fma_f64 v[147:148], v[147:148], v[149:150], v[147:148]
	v_fma_f64 v[149:150], -v[145:146], v[147:148], 1.0
	v_fma_f64 v[147:148], v[147:148], v[149:150], v[147:148]
	v_mul_f64 v[149:150], v[151:152], v[147:148]
	v_fma_f64 v[145:146], -v[145:146], v[149:150], v[151:152]
	v_div_fmas_f64 v[145:146], v[145:146], v[147:148], v[149:150]
	v_div_fixup_f64 v[145:146], v[145:146], v[132:133], v[130:131]
	v_fma_f64 v[130:131], v[130:131], v[145:146], v[132:133]
	v_div_scale_f64 v[132:133], null, v[130:131], v[130:131], 1.0
	v_rcp_f64_e32 v[147:148], v[132:133]
	v_fma_f64 v[149:150], -v[132:133], v[147:148], 1.0
	v_fma_f64 v[147:148], v[147:148], v[149:150], v[147:148]
	v_fma_f64 v[149:150], -v[132:133], v[147:148], 1.0
	v_fma_f64 v[147:148], v[147:148], v[149:150], v[147:148]
	v_div_scale_f64 v[149:150], vcc_lo, 1.0, v[130:131], 1.0
	v_mul_f64 v[151:152], v[149:150], v[147:148]
	v_fma_f64 v[132:133], -v[132:133], v[151:152], v[149:150]
	v_div_fmas_f64 v[132:133], v[132:133], v[147:148], v[151:152]
	v_div_fixup_f64 v[132:133], v[132:133], v[130:131], 1.0
	v_mul_f64 v[130:131], v[145:146], v[132:133]
	v_xor_b32_e32 v133, 0x80000000, v133
.LBB62_91:
	s_andn2_saveexec_b32 s1, s1
	s_cbranch_execz .LBB62_93
; %bb.92:
	v_div_scale_f64 v[145:146], null, v[130:131], v[130:131], v[132:133]
	v_div_scale_f64 v[151:152], vcc_lo, v[132:133], v[130:131], v[132:133]
	v_rcp_f64_e32 v[147:148], v[145:146]
	v_fma_f64 v[149:150], -v[145:146], v[147:148], 1.0
	v_fma_f64 v[147:148], v[147:148], v[149:150], v[147:148]
	v_fma_f64 v[149:150], -v[145:146], v[147:148], 1.0
	v_fma_f64 v[147:148], v[147:148], v[149:150], v[147:148]
	v_mul_f64 v[149:150], v[151:152], v[147:148]
	v_fma_f64 v[145:146], -v[145:146], v[149:150], v[151:152]
	v_div_fmas_f64 v[145:146], v[145:146], v[147:148], v[149:150]
	v_div_fixup_f64 v[145:146], v[145:146], v[130:131], v[132:133]
	v_fma_f64 v[130:131], v[132:133], v[145:146], v[130:131]
	v_div_scale_f64 v[132:133], null, v[130:131], v[130:131], 1.0
	v_rcp_f64_e32 v[147:148], v[132:133]
	v_fma_f64 v[149:150], -v[132:133], v[147:148], 1.0
	v_fma_f64 v[147:148], v[147:148], v[149:150], v[147:148]
	v_fma_f64 v[149:150], -v[132:133], v[147:148], 1.0
	v_fma_f64 v[147:148], v[147:148], v[149:150], v[147:148]
	v_div_scale_f64 v[149:150], vcc_lo, 1.0, v[130:131], 1.0
	v_mul_f64 v[151:152], v[149:150], v[147:148]
	v_fma_f64 v[132:133], -v[132:133], v[151:152], v[149:150]
	v_div_fmas_f64 v[132:133], v[132:133], v[147:148], v[151:152]
	v_div_fixup_f64 v[130:131], v[132:133], v[130:131], 1.0
	v_mul_f64 v[132:133], v[145:146], -v[130:131]
.LBB62_93:
	s_or_b32 exec_lo, exec_lo, s1
.LBB62_94:
	s_or_b32 exec_lo, exec_lo, s0
	s_mov_b32 s0, exec_lo
	v_cmpx_ne_u32_e64 v144, v138
	s_xor_b32 s0, exec_lo, s0
	s_cbranch_execz .LBB62_100
; %bb.95:
	s_mov_b32 s1, exec_lo
	v_cmpx_eq_u32_e32 4, v144
	s_cbranch_execz .LBB62_99
; %bb.96:
	v_cmp_ne_u32_e32 vcc_lo, 4, v138
	s_xor_b32 s2, s16, -1
	s_and_b32 s3, s2, vcc_lo
	s_and_saveexec_b32 s2, s3
	s_cbranch_execz .LBB62_98
; %bb.97:
	v_ashrrev_i32_e32 v139, 31, v138
	v_lshlrev_b64 v[144:145], 2, v[138:139]
	v_add_co_u32 v144, vcc_lo, v136, v144
	v_add_co_ci_u32_e64 v145, null, v137, v145, vcc_lo
	s_clause 0x1
	global_load_dword v0, v[144:145], off
	global_load_dword v139, v[136:137], off offset:16
	s_waitcnt vmcnt(1)
	global_store_dword v[136:137], v0, off offset:16
	s_waitcnt vmcnt(0)
	global_store_dword v[144:145], v139, off
.LBB62_98:
	s_or_b32 exec_lo, exec_lo, s2
	v_mov_b32_e32 v144, v138
	v_mov_b32_e32 v0, v138
.LBB62_99:
	s_or_b32 exec_lo, exec_lo, s1
.LBB62_100:
	s_andn2_saveexec_b32 s0, s0
	s_cbranch_execz .LBB62_102
; %bb.101:
	v_mov_b32_e32 v144, 4
	ds_write2_b64 v1, v[106:107], v[108:109] offset0:10 offset1:11
	ds_write2_b64 v1, v[102:103], v[104:105] offset0:12 offset1:13
	;; [unrolled: 1-line block ×27, first 2 shown]
.LBB62_102:
	s_or_b32 exec_lo, exec_lo, s0
	s_mov_b32 s0, exec_lo
	s_waitcnt lgkmcnt(0)
	s_waitcnt_vscnt null, 0x0
	s_barrier
	buffer_gl0_inv
	v_cmpx_lt_i32_e32 4, v144
	s_cbranch_execz .LBB62_104
; %bb.103:
	v_mul_f64 v[138:139], v[132:133], v[112:113]
	v_mul_f64 v[112:113], v[130:131], v[112:113]
	v_fma_f64 v[138:139], v[130:131], v[110:111], -v[138:139]
	v_fma_f64 v[112:113], v[132:133], v[110:111], v[112:113]
	ds_read2_b64 v[130:133], v1 offset0:10 offset1:11
	s_waitcnt lgkmcnt(0)
	v_mul_f64 v[110:111], v[132:133], v[112:113]
	v_fma_f64 v[110:111], v[130:131], v[138:139], -v[110:111]
	v_mul_f64 v[130:131], v[130:131], v[112:113]
	v_add_f64 v[106:107], v[106:107], -v[110:111]
	v_fma_f64 v[130:131], v[132:133], v[138:139], v[130:131]
	v_add_f64 v[108:109], v[108:109], -v[130:131]
	ds_read2_b64 v[130:133], v1 offset0:12 offset1:13
	s_waitcnt lgkmcnt(0)
	v_mul_f64 v[110:111], v[132:133], v[112:113]
	v_fma_f64 v[110:111], v[130:131], v[138:139], -v[110:111]
	v_mul_f64 v[130:131], v[130:131], v[112:113]
	v_add_f64 v[102:103], v[102:103], -v[110:111]
	v_fma_f64 v[130:131], v[132:133], v[138:139], v[130:131]
	v_add_f64 v[104:105], v[104:105], -v[130:131]
	;; [unrolled: 8-line block ×26, first 2 shown]
	ds_read2_b64 v[130:133], v1 offset0:62 offset1:63
	s_waitcnt lgkmcnt(0)
	v_mul_f64 v[110:111], v[132:133], v[112:113]
	v_fma_f64 v[110:111], v[130:131], v[138:139], -v[110:111]
	v_mul_f64 v[130:131], v[130:131], v[112:113]
	v_add_f64 v[2:3], v[2:3], -v[110:111]
	v_fma_f64 v[130:131], v[132:133], v[138:139], v[130:131]
	v_mov_b32_e32 v110, v138
	v_mov_b32_e32 v111, v139
	v_add_f64 v[4:5], v[4:5], -v[130:131]
.LBB62_104:
	s_or_b32 exec_lo, exec_lo, s0
	v_lshl_add_u32 v130, v144, 4, v1
	s_barrier
	buffer_gl0_inv
	v_mov_b32_e32 v138, 5
	ds_write2_b64 v130, v[106:107], v[108:109] offset1:1
	s_waitcnt lgkmcnt(0)
	s_barrier
	buffer_gl0_inv
	ds_read2_b64 v[130:133], v1 offset0:10 offset1:11
	s_cmp_lt_i32 s18, 7
	s_cbranch_scc1 .LBB62_107
; %bb.105:
	v_add3_u32 v139, v140, 0, 0x60
	v_mov_b32_e32 v138, 5
	s_mov_b32 s1, 6
	s_inst_prefetch 0x1
	.p2align	6
.LBB62_106:                             ; =>This Inner Loop Header: Depth=1
	s_waitcnt lgkmcnt(0)
	v_cmp_gt_f64_e32 vcc_lo, 0, v[132:133]
	v_cmp_gt_f64_e64 s0, 0, v[130:131]
	ds_read2_b64 v[145:148], v139 offset1:1
	v_xor_b32_e32 v150, 0x80000000, v131
	v_xor_b32_e32 v152, 0x80000000, v133
	v_mov_b32_e32 v149, v130
	v_mov_b32_e32 v151, v132
	v_add_nc_u32_e32 v139, 16, v139
	s_waitcnt lgkmcnt(0)
	v_xor_b32_e32 v154, 0x80000000, v148
	v_cndmask_b32_e64 v150, v131, v150, s0
	v_cndmask_b32_e32 v152, v133, v152, vcc_lo
	v_cmp_gt_f64_e32 vcc_lo, 0, v[147:148]
	v_cmp_gt_f64_e64 s0, 0, v[145:146]
	v_mov_b32_e32 v153, v147
	v_add_f64 v[149:150], v[149:150], v[151:152]
	v_xor_b32_e32 v152, 0x80000000, v146
	v_mov_b32_e32 v151, v145
	v_cndmask_b32_e32 v154, v148, v154, vcc_lo
	v_cndmask_b32_e64 v152, v146, v152, s0
	v_add_f64 v[151:152], v[151:152], v[153:154]
	v_cmp_lt_f64_e32 vcc_lo, v[149:150], v[151:152]
	v_cndmask_b32_e32 v131, v131, v146, vcc_lo
	v_cndmask_b32_e32 v130, v130, v145, vcc_lo
	;; [unrolled: 1-line block ×4, first 2 shown]
	v_cndmask_b32_e64 v138, v138, s1, vcc_lo
	s_add_i32 s1, s1, 1
	s_cmp_lg_u32 s18, s1
	s_cbranch_scc1 .LBB62_106
.LBB62_107:
	s_inst_prefetch 0x2
	s_waitcnt lgkmcnt(0)
	v_cmp_eq_f64_e32 vcc_lo, 0, v[130:131]
	v_cmp_eq_f64_e64 s0, 0, v[132:133]
	s_and_b32 s0, vcc_lo, s0
	s_and_saveexec_b32 s1, s0
	s_xor_b32 s0, exec_lo, s1
; %bb.108:
	v_cmp_ne_u32_e32 vcc_lo, 0, v143
	v_cndmask_b32_e32 v143, 6, v143, vcc_lo
; %bb.109:
	s_andn2_saveexec_b32 s0, s0
	s_cbranch_execz .LBB62_115
; %bb.110:
	v_cmp_ngt_f64_e64 s1, |v[130:131]|, |v[132:133]|
	s_and_saveexec_b32 s2, s1
	s_xor_b32 s1, exec_lo, s2
	s_cbranch_execz .LBB62_112
; %bb.111:
	v_div_scale_f64 v[145:146], null, v[132:133], v[132:133], v[130:131]
	v_div_scale_f64 v[151:152], vcc_lo, v[130:131], v[132:133], v[130:131]
	v_rcp_f64_e32 v[147:148], v[145:146]
	v_fma_f64 v[149:150], -v[145:146], v[147:148], 1.0
	v_fma_f64 v[147:148], v[147:148], v[149:150], v[147:148]
	v_fma_f64 v[149:150], -v[145:146], v[147:148], 1.0
	v_fma_f64 v[147:148], v[147:148], v[149:150], v[147:148]
	v_mul_f64 v[149:150], v[151:152], v[147:148]
	v_fma_f64 v[145:146], -v[145:146], v[149:150], v[151:152]
	v_div_fmas_f64 v[145:146], v[145:146], v[147:148], v[149:150]
	v_div_fixup_f64 v[145:146], v[145:146], v[132:133], v[130:131]
	v_fma_f64 v[130:131], v[130:131], v[145:146], v[132:133]
	v_div_scale_f64 v[132:133], null, v[130:131], v[130:131], 1.0
	v_rcp_f64_e32 v[147:148], v[132:133]
	v_fma_f64 v[149:150], -v[132:133], v[147:148], 1.0
	v_fma_f64 v[147:148], v[147:148], v[149:150], v[147:148]
	v_fma_f64 v[149:150], -v[132:133], v[147:148], 1.0
	v_fma_f64 v[147:148], v[147:148], v[149:150], v[147:148]
	v_div_scale_f64 v[149:150], vcc_lo, 1.0, v[130:131], 1.0
	v_mul_f64 v[151:152], v[149:150], v[147:148]
	v_fma_f64 v[132:133], -v[132:133], v[151:152], v[149:150]
	v_div_fmas_f64 v[132:133], v[132:133], v[147:148], v[151:152]
	v_div_fixup_f64 v[132:133], v[132:133], v[130:131], 1.0
	v_mul_f64 v[130:131], v[145:146], v[132:133]
	v_xor_b32_e32 v133, 0x80000000, v133
.LBB62_112:
	s_andn2_saveexec_b32 s1, s1
	s_cbranch_execz .LBB62_114
; %bb.113:
	v_div_scale_f64 v[145:146], null, v[130:131], v[130:131], v[132:133]
	v_div_scale_f64 v[151:152], vcc_lo, v[132:133], v[130:131], v[132:133]
	v_rcp_f64_e32 v[147:148], v[145:146]
	v_fma_f64 v[149:150], -v[145:146], v[147:148], 1.0
	v_fma_f64 v[147:148], v[147:148], v[149:150], v[147:148]
	v_fma_f64 v[149:150], -v[145:146], v[147:148], 1.0
	v_fma_f64 v[147:148], v[147:148], v[149:150], v[147:148]
	v_mul_f64 v[149:150], v[151:152], v[147:148]
	v_fma_f64 v[145:146], -v[145:146], v[149:150], v[151:152]
	v_div_fmas_f64 v[145:146], v[145:146], v[147:148], v[149:150]
	v_div_fixup_f64 v[145:146], v[145:146], v[130:131], v[132:133]
	v_fma_f64 v[130:131], v[132:133], v[145:146], v[130:131]
	v_div_scale_f64 v[132:133], null, v[130:131], v[130:131], 1.0
	v_rcp_f64_e32 v[147:148], v[132:133]
	v_fma_f64 v[149:150], -v[132:133], v[147:148], 1.0
	v_fma_f64 v[147:148], v[147:148], v[149:150], v[147:148]
	v_fma_f64 v[149:150], -v[132:133], v[147:148], 1.0
	v_fma_f64 v[147:148], v[147:148], v[149:150], v[147:148]
	v_div_scale_f64 v[149:150], vcc_lo, 1.0, v[130:131], 1.0
	v_mul_f64 v[151:152], v[149:150], v[147:148]
	v_fma_f64 v[132:133], -v[132:133], v[151:152], v[149:150]
	v_div_fmas_f64 v[132:133], v[132:133], v[147:148], v[151:152]
	v_div_fixup_f64 v[130:131], v[132:133], v[130:131], 1.0
	v_mul_f64 v[132:133], v[145:146], -v[130:131]
.LBB62_114:
	s_or_b32 exec_lo, exec_lo, s1
.LBB62_115:
	s_or_b32 exec_lo, exec_lo, s0
	s_mov_b32 s0, exec_lo
	v_cmpx_ne_u32_e64 v144, v138
	s_xor_b32 s0, exec_lo, s0
	s_cbranch_execz .LBB62_121
; %bb.116:
	s_mov_b32 s1, exec_lo
	v_cmpx_eq_u32_e32 5, v144
	s_cbranch_execz .LBB62_120
; %bb.117:
	v_cmp_ne_u32_e32 vcc_lo, 5, v138
	s_xor_b32 s2, s16, -1
	s_and_b32 s3, s2, vcc_lo
	s_and_saveexec_b32 s2, s3
	s_cbranch_execz .LBB62_119
; %bb.118:
	v_ashrrev_i32_e32 v139, 31, v138
	v_lshlrev_b64 v[144:145], 2, v[138:139]
	v_add_co_u32 v144, vcc_lo, v136, v144
	v_add_co_ci_u32_e64 v145, null, v137, v145, vcc_lo
	s_clause 0x1
	global_load_dword v0, v[144:145], off
	global_load_dword v139, v[136:137], off offset:20
	s_waitcnt vmcnt(1)
	global_store_dword v[136:137], v0, off offset:20
	s_waitcnt vmcnt(0)
	global_store_dword v[144:145], v139, off
.LBB62_119:
	s_or_b32 exec_lo, exec_lo, s2
	v_mov_b32_e32 v144, v138
	v_mov_b32_e32 v0, v138
.LBB62_120:
	s_or_b32 exec_lo, exec_lo, s1
.LBB62_121:
	s_andn2_saveexec_b32 s0, s0
	s_cbranch_execz .LBB62_123
; %bb.122:
	v_mov_b32_e32 v144, 5
	ds_write2_b64 v1, v[102:103], v[104:105] offset0:12 offset1:13
	ds_write2_b64 v1, v[98:99], v[100:101] offset0:14 offset1:15
	ds_write2_b64 v1, v[94:95], v[96:97] offset0:16 offset1:17
	ds_write2_b64 v1, v[90:91], v[92:93] offset0:18 offset1:19
	ds_write2_b64 v1, v[86:87], v[88:89] offset0:20 offset1:21
	ds_write2_b64 v1, v[82:83], v[84:85] offset0:22 offset1:23
	ds_write2_b64 v1, v[78:79], v[80:81] offset0:24 offset1:25
	ds_write2_b64 v1, v[74:75], v[76:77] offset0:26 offset1:27
	ds_write2_b64 v1, v[70:71], v[72:73] offset0:28 offset1:29
	ds_write2_b64 v1, v[66:67], v[68:69] offset0:30 offset1:31
	ds_write2_b64 v1, v[62:63], v[64:65] offset0:32 offset1:33
	ds_write2_b64 v1, v[58:59], v[60:61] offset0:34 offset1:35
	ds_write2_b64 v1, v[54:55], v[56:57] offset0:36 offset1:37
	ds_write2_b64 v1, v[50:51], v[52:53] offset0:38 offset1:39
	ds_write2_b64 v1, v[46:47], v[48:49] offset0:40 offset1:41
	ds_write2_b64 v1, v[42:43], v[44:45] offset0:42 offset1:43
	ds_write2_b64 v1, v[38:39], v[40:41] offset0:44 offset1:45
	ds_write2_b64 v1, v[34:35], v[36:37] offset0:46 offset1:47
	ds_write2_b64 v1, v[30:31], v[32:33] offset0:48 offset1:49
	ds_write2_b64 v1, v[26:27], v[28:29] offset0:50 offset1:51
	ds_write2_b64 v1, v[22:23], v[24:25] offset0:52 offset1:53
	ds_write2_b64 v1, v[18:19], v[20:21] offset0:54 offset1:55
	ds_write2_b64 v1, v[14:15], v[16:17] offset0:56 offset1:57
	ds_write2_b64 v1, v[10:11], v[12:13] offset0:58 offset1:59
	ds_write2_b64 v1, v[6:7], v[8:9] offset0:60 offset1:61
	ds_write2_b64 v1, v[2:3], v[4:5] offset0:62 offset1:63
.LBB62_123:
	s_or_b32 exec_lo, exec_lo, s0
	s_mov_b32 s0, exec_lo
	s_waitcnt lgkmcnt(0)
	s_waitcnt_vscnt null, 0x0
	s_barrier
	buffer_gl0_inv
	v_cmpx_lt_i32_e32 5, v144
	s_cbranch_execz .LBB62_125
; %bb.124:
	v_mul_f64 v[138:139], v[132:133], v[108:109]
	v_mul_f64 v[108:109], v[130:131], v[108:109]
	v_fma_f64 v[138:139], v[130:131], v[106:107], -v[138:139]
	v_fma_f64 v[108:109], v[132:133], v[106:107], v[108:109]
	ds_read2_b64 v[130:133], v1 offset0:12 offset1:13
	s_waitcnt lgkmcnt(0)
	v_mul_f64 v[106:107], v[132:133], v[108:109]
	v_fma_f64 v[106:107], v[130:131], v[138:139], -v[106:107]
	v_mul_f64 v[130:131], v[130:131], v[108:109]
	v_add_f64 v[102:103], v[102:103], -v[106:107]
	v_fma_f64 v[130:131], v[132:133], v[138:139], v[130:131]
	v_add_f64 v[104:105], v[104:105], -v[130:131]
	ds_read2_b64 v[130:133], v1 offset0:14 offset1:15
	s_waitcnt lgkmcnt(0)
	v_mul_f64 v[106:107], v[132:133], v[108:109]
	v_fma_f64 v[106:107], v[130:131], v[138:139], -v[106:107]
	v_mul_f64 v[130:131], v[130:131], v[108:109]
	v_add_f64 v[98:99], v[98:99], -v[106:107]
	v_fma_f64 v[130:131], v[132:133], v[138:139], v[130:131]
	v_add_f64 v[100:101], v[100:101], -v[130:131]
	;; [unrolled: 8-line block ×25, first 2 shown]
	ds_read2_b64 v[130:133], v1 offset0:62 offset1:63
	s_waitcnt lgkmcnt(0)
	v_mul_f64 v[106:107], v[132:133], v[108:109]
	v_fma_f64 v[106:107], v[130:131], v[138:139], -v[106:107]
	v_mul_f64 v[130:131], v[130:131], v[108:109]
	v_add_f64 v[2:3], v[2:3], -v[106:107]
	v_fma_f64 v[130:131], v[132:133], v[138:139], v[130:131]
	v_mov_b32_e32 v106, v138
	v_mov_b32_e32 v107, v139
	v_add_f64 v[4:5], v[4:5], -v[130:131]
.LBB62_125:
	s_or_b32 exec_lo, exec_lo, s0
	v_lshl_add_u32 v130, v144, 4, v1
	s_barrier
	buffer_gl0_inv
	v_mov_b32_e32 v138, 6
	ds_write2_b64 v130, v[102:103], v[104:105] offset1:1
	s_waitcnt lgkmcnt(0)
	s_barrier
	buffer_gl0_inv
	ds_read2_b64 v[130:133], v1 offset0:12 offset1:13
	s_cmp_lt_i32 s18, 8
	s_cbranch_scc1 .LBB62_128
; %bb.126:
	v_add3_u32 v139, v140, 0, 0x70
	v_mov_b32_e32 v138, 6
	s_mov_b32 s1, 7
	s_inst_prefetch 0x1
	.p2align	6
.LBB62_127:                             ; =>This Inner Loop Header: Depth=1
	s_waitcnt lgkmcnt(0)
	v_cmp_gt_f64_e32 vcc_lo, 0, v[132:133]
	v_cmp_gt_f64_e64 s0, 0, v[130:131]
	ds_read2_b64 v[145:148], v139 offset1:1
	v_xor_b32_e32 v150, 0x80000000, v131
	v_xor_b32_e32 v152, 0x80000000, v133
	v_mov_b32_e32 v149, v130
	v_mov_b32_e32 v151, v132
	v_add_nc_u32_e32 v139, 16, v139
	s_waitcnt lgkmcnt(0)
	v_xor_b32_e32 v154, 0x80000000, v148
	v_cndmask_b32_e64 v150, v131, v150, s0
	v_cndmask_b32_e32 v152, v133, v152, vcc_lo
	v_cmp_gt_f64_e32 vcc_lo, 0, v[147:148]
	v_cmp_gt_f64_e64 s0, 0, v[145:146]
	v_mov_b32_e32 v153, v147
	v_add_f64 v[149:150], v[149:150], v[151:152]
	v_xor_b32_e32 v152, 0x80000000, v146
	v_mov_b32_e32 v151, v145
	v_cndmask_b32_e32 v154, v148, v154, vcc_lo
	v_cndmask_b32_e64 v152, v146, v152, s0
	v_add_f64 v[151:152], v[151:152], v[153:154]
	v_cmp_lt_f64_e32 vcc_lo, v[149:150], v[151:152]
	v_cndmask_b32_e32 v131, v131, v146, vcc_lo
	v_cndmask_b32_e32 v130, v130, v145, vcc_lo
	;; [unrolled: 1-line block ×4, first 2 shown]
	v_cndmask_b32_e64 v138, v138, s1, vcc_lo
	s_add_i32 s1, s1, 1
	s_cmp_lg_u32 s18, s1
	s_cbranch_scc1 .LBB62_127
.LBB62_128:
	s_inst_prefetch 0x2
	s_waitcnt lgkmcnt(0)
	v_cmp_eq_f64_e32 vcc_lo, 0, v[130:131]
	v_cmp_eq_f64_e64 s0, 0, v[132:133]
	s_and_b32 s0, vcc_lo, s0
	s_and_saveexec_b32 s1, s0
	s_xor_b32 s0, exec_lo, s1
; %bb.129:
	v_cmp_ne_u32_e32 vcc_lo, 0, v143
	v_cndmask_b32_e32 v143, 7, v143, vcc_lo
; %bb.130:
	s_andn2_saveexec_b32 s0, s0
	s_cbranch_execz .LBB62_136
; %bb.131:
	v_cmp_ngt_f64_e64 s1, |v[130:131]|, |v[132:133]|
	s_and_saveexec_b32 s2, s1
	s_xor_b32 s1, exec_lo, s2
	s_cbranch_execz .LBB62_133
; %bb.132:
	v_div_scale_f64 v[145:146], null, v[132:133], v[132:133], v[130:131]
	v_div_scale_f64 v[151:152], vcc_lo, v[130:131], v[132:133], v[130:131]
	v_rcp_f64_e32 v[147:148], v[145:146]
	v_fma_f64 v[149:150], -v[145:146], v[147:148], 1.0
	v_fma_f64 v[147:148], v[147:148], v[149:150], v[147:148]
	v_fma_f64 v[149:150], -v[145:146], v[147:148], 1.0
	v_fma_f64 v[147:148], v[147:148], v[149:150], v[147:148]
	v_mul_f64 v[149:150], v[151:152], v[147:148]
	v_fma_f64 v[145:146], -v[145:146], v[149:150], v[151:152]
	v_div_fmas_f64 v[145:146], v[145:146], v[147:148], v[149:150]
	v_div_fixup_f64 v[145:146], v[145:146], v[132:133], v[130:131]
	v_fma_f64 v[130:131], v[130:131], v[145:146], v[132:133]
	v_div_scale_f64 v[132:133], null, v[130:131], v[130:131], 1.0
	v_rcp_f64_e32 v[147:148], v[132:133]
	v_fma_f64 v[149:150], -v[132:133], v[147:148], 1.0
	v_fma_f64 v[147:148], v[147:148], v[149:150], v[147:148]
	v_fma_f64 v[149:150], -v[132:133], v[147:148], 1.0
	v_fma_f64 v[147:148], v[147:148], v[149:150], v[147:148]
	v_div_scale_f64 v[149:150], vcc_lo, 1.0, v[130:131], 1.0
	v_mul_f64 v[151:152], v[149:150], v[147:148]
	v_fma_f64 v[132:133], -v[132:133], v[151:152], v[149:150]
	v_div_fmas_f64 v[132:133], v[132:133], v[147:148], v[151:152]
	v_div_fixup_f64 v[132:133], v[132:133], v[130:131], 1.0
	v_mul_f64 v[130:131], v[145:146], v[132:133]
	v_xor_b32_e32 v133, 0x80000000, v133
.LBB62_133:
	s_andn2_saveexec_b32 s1, s1
	s_cbranch_execz .LBB62_135
; %bb.134:
	v_div_scale_f64 v[145:146], null, v[130:131], v[130:131], v[132:133]
	v_div_scale_f64 v[151:152], vcc_lo, v[132:133], v[130:131], v[132:133]
	v_rcp_f64_e32 v[147:148], v[145:146]
	v_fma_f64 v[149:150], -v[145:146], v[147:148], 1.0
	v_fma_f64 v[147:148], v[147:148], v[149:150], v[147:148]
	v_fma_f64 v[149:150], -v[145:146], v[147:148], 1.0
	v_fma_f64 v[147:148], v[147:148], v[149:150], v[147:148]
	v_mul_f64 v[149:150], v[151:152], v[147:148]
	v_fma_f64 v[145:146], -v[145:146], v[149:150], v[151:152]
	v_div_fmas_f64 v[145:146], v[145:146], v[147:148], v[149:150]
	v_div_fixup_f64 v[145:146], v[145:146], v[130:131], v[132:133]
	v_fma_f64 v[130:131], v[132:133], v[145:146], v[130:131]
	v_div_scale_f64 v[132:133], null, v[130:131], v[130:131], 1.0
	v_rcp_f64_e32 v[147:148], v[132:133]
	v_fma_f64 v[149:150], -v[132:133], v[147:148], 1.0
	v_fma_f64 v[147:148], v[147:148], v[149:150], v[147:148]
	v_fma_f64 v[149:150], -v[132:133], v[147:148], 1.0
	v_fma_f64 v[147:148], v[147:148], v[149:150], v[147:148]
	v_div_scale_f64 v[149:150], vcc_lo, 1.0, v[130:131], 1.0
	v_mul_f64 v[151:152], v[149:150], v[147:148]
	v_fma_f64 v[132:133], -v[132:133], v[151:152], v[149:150]
	v_div_fmas_f64 v[132:133], v[132:133], v[147:148], v[151:152]
	v_div_fixup_f64 v[130:131], v[132:133], v[130:131], 1.0
	v_mul_f64 v[132:133], v[145:146], -v[130:131]
.LBB62_135:
	s_or_b32 exec_lo, exec_lo, s1
.LBB62_136:
	s_or_b32 exec_lo, exec_lo, s0
	s_mov_b32 s0, exec_lo
	v_cmpx_ne_u32_e64 v144, v138
	s_xor_b32 s0, exec_lo, s0
	s_cbranch_execz .LBB62_142
; %bb.137:
	s_mov_b32 s1, exec_lo
	v_cmpx_eq_u32_e32 6, v144
	s_cbranch_execz .LBB62_141
; %bb.138:
	v_cmp_ne_u32_e32 vcc_lo, 6, v138
	s_xor_b32 s2, s16, -1
	s_and_b32 s3, s2, vcc_lo
	s_and_saveexec_b32 s2, s3
	s_cbranch_execz .LBB62_140
; %bb.139:
	v_ashrrev_i32_e32 v139, 31, v138
	v_lshlrev_b64 v[144:145], 2, v[138:139]
	v_add_co_u32 v144, vcc_lo, v136, v144
	v_add_co_ci_u32_e64 v145, null, v137, v145, vcc_lo
	s_clause 0x1
	global_load_dword v0, v[144:145], off
	global_load_dword v139, v[136:137], off offset:24
	s_waitcnt vmcnt(1)
	global_store_dword v[136:137], v0, off offset:24
	s_waitcnt vmcnt(0)
	global_store_dword v[144:145], v139, off
.LBB62_140:
	s_or_b32 exec_lo, exec_lo, s2
	v_mov_b32_e32 v144, v138
	v_mov_b32_e32 v0, v138
.LBB62_141:
	s_or_b32 exec_lo, exec_lo, s1
.LBB62_142:
	s_andn2_saveexec_b32 s0, s0
	s_cbranch_execz .LBB62_144
; %bb.143:
	v_mov_b32_e32 v144, 6
	ds_write2_b64 v1, v[98:99], v[100:101] offset0:14 offset1:15
	ds_write2_b64 v1, v[94:95], v[96:97] offset0:16 offset1:17
	ds_write2_b64 v1, v[90:91], v[92:93] offset0:18 offset1:19
	ds_write2_b64 v1, v[86:87], v[88:89] offset0:20 offset1:21
	ds_write2_b64 v1, v[82:83], v[84:85] offset0:22 offset1:23
	ds_write2_b64 v1, v[78:79], v[80:81] offset0:24 offset1:25
	ds_write2_b64 v1, v[74:75], v[76:77] offset0:26 offset1:27
	ds_write2_b64 v1, v[70:71], v[72:73] offset0:28 offset1:29
	ds_write2_b64 v1, v[66:67], v[68:69] offset0:30 offset1:31
	ds_write2_b64 v1, v[62:63], v[64:65] offset0:32 offset1:33
	ds_write2_b64 v1, v[58:59], v[60:61] offset0:34 offset1:35
	ds_write2_b64 v1, v[54:55], v[56:57] offset0:36 offset1:37
	ds_write2_b64 v1, v[50:51], v[52:53] offset0:38 offset1:39
	ds_write2_b64 v1, v[46:47], v[48:49] offset0:40 offset1:41
	ds_write2_b64 v1, v[42:43], v[44:45] offset0:42 offset1:43
	ds_write2_b64 v1, v[38:39], v[40:41] offset0:44 offset1:45
	ds_write2_b64 v1, v[34:35], v[36:37] offset0:46 offset1:47
	ds_write2_b64 v1, v[30:31], v[32:33] offset0:48 offset1:49
	ds_write2_b64 v1, v[26:27], v[28:29] offset0:50 offset1:51
	ds_write2_b64 v1, v[22:23], v[24:25] offset0:52 offset1:53
	ds_write2_b64 v1, v[18:19], v[20:21] offset0:54 offset1:55
	ds_write2_b64 v1, v[14:15], v[16:17] offset0:56 offset1:57
	ds_write2_b64 v1, v[10:11], v[12:13] offset0:58 offset1:59
	ds_write2_b64 v1, v[6:7], v[8:9] offset0:60 offset1:61
	ds_write2_b64 v1, v[2:3], v[4:5] offset0:62 offset1:63
.LBB62_144:
	s_or_b32 exec_lo, exec_lo, s0
	s_mov_b32 s0, exec_lo
	s_waitcnt lgkmcnt(0)
	s_waitcnt_vscnt null, 0x0
	s_barrier
	buffer_gl0_inv
	v_cmpx_lt_i32_e32 6, v144
	s_cbranch_execz .LBB62_146
; %bb.145:
	v_mul_f64 v[138:139], v[132:133], v[104:105]
	v_mul_f64 v[104:105], v[130:131], v[104:105]
	v_fma_f64 v[138:139], v[130:131], v[102:103], -v[138:139]
	v_fma_f64 v[104:105], v[132:133], v[102:103], v[104:105]
	ds_read2_b64 v[130:133], v1 offset0:14 offset1:15
	s_waitcnt lgkmcnt(0)
	v_mul_f64 v[102:103], v[132:133], v[104:105]
	v_fma_f64 v[102:103], v[130:131], v[138:139], -v[102:103]
	v_mul_f64 v[130:131], v[130:131], v[104:105]
	v_add_f64 v[98:99], v[98:99], -v[102:103]
	v_fma_f64 v[130:131], v[132:133], v[138:139], v[130:131]
	v_add_f64 v[100:101], v[100:101], -v[130:131]
	ds_read2_b64 v[130:133], v1 offset0:16 offset1:17
	s_waitcnt lgkmcnt(0)
	v_mul_f64 v[102:103], v[132:133], v[104:105]
	v_fma_f64 v[102:103], v[130:131], v[138:139], -v[102:103]
	v_mul_f64 v[130:131], v[130:131], v[104:105]
	v_add_f64 v[94:95], v[94:95], -v[102:103]
	v_fma_f64 v[130:131], v[132:133], v[138:139], v[130:131]
	v_add_f64 v[96:97], v[96:97], -v[130:131]
	;; [unrolled: 8-line block ×24, first 2 shown]
	ds_read2_b64 v[130:133], v1 offset0:62 offset1:63
	s_waitcnt lgkmcnt(0)
	v_mul_f64 v[102:103], v[132:133], v[104:105]
	v_fma_f64 v[102:103], v[130:131], v[138:139], -v[102:103]
	v_mul_f64 v[130:131], v[130:131], v[104:105]
	v_add_f64 v[2:3], v[2:3], -v[102:103]
	v_fma_f64 v[130:131], v[132:133], v[138:139], v[130:131]
	v_mov_b32_e32 v102, v138
	v_mov_b32_e32 v103, v139
	v_add_f64 v[4:5], v[4:5], -v[130:131]
.LBB62_146:
	s_or_b32 exec_lo, exec_lo, s0
	v_lshl_add_u32 v130, v144, 4, v1
	s_barrier
	buffer_gl0_inv
	v_mov_b32_e32 v138, 7
	ds_write2_b64 v130, v[98:99], v[100:101] offset1:1
	s_waitcnt lgkmcnt(0)
	s_barrier
	buffer_gl0_inv
	ds_read2_b64 v[130:133], v1 offset0:14 offset1:15
	s_cmp_lt_i32 s18, 9
	s_cbranch_scc1 .LBB62_149
; %bb.147:
	v_add3_u32 v139, v140, 0, 0x80
	v_mov_b32_e32 v138, 7
	s_mov_b32 s1, 8
	s_inst_prefetch 0x1
	.p2align	6
.LBB62_148:                             ; =>This Inner Loop Header: Depth=1
	s_waitcnt lgkmcnt(0)
	v_cmp_gt_f64_e32 vcc_lo, 0, v[132:133]
	v_cmp_gt_f64_e64 s0, 0, v[130:131]
	ds_read2_b64 v[145:148], v139 offset1:1
	v_xor_b32_e32 v150, 0x80000000, v131
	v_xor_b32_e32 v152, 0x80000000, v133
	v_mov_b32_e32 v149, v130
	v_mov_b32_e32 v151, v132
	v_add_nc_u32_e32 v139, 16, v139
	s_waitcnt lgkmcnt(0)
	v_xor_b32_e32 v154, 0x80000000, v148
	v_cndmask_b32_e64 v150, v131, v150, s0
	v_cndmask_b32_e32 v152, v133, v152, vcc_lo
	v_cmp_gt_f64_e32 vcc_lo, 0, v[147:148]
	v_cmp_gt_f64_e64 s0, 0, v[145:146]
	v_mov_b32_e32 v153, v147
	v_add_f64 v[149:150], v[149:150], v[151:152]
	v_xor_b32_e32 v152, 0x80000000, v146
	v_mov_b32_e32 v151, v145
	v_cndmask_b32_e32 v154, v148, v154, vcc_lo
	v_cndmask_b32_e64 v152, v146, v152, s0
	v_add_f64 v[151:152], v[151:152], v[153:154]
	v_cmp_lt_f64_e32 vcc_lo, v[149:150], v[151:152]
	v_cndmask_b32_e32 v131, v131, v146, vcc_lo
	v_cndmask_b32_e32 v130, v130, v145, vcc_lo
	;; [unrolled: 1-line block ×4, first 2 shown]
	v_cndmask_b32_e64 v138, v138, s1, vcc_lo
	s_add_i32 s1, s1, 1
	s_cmp_lg_u32 s18, s1
	s_cbranch_scc1 .LBB62_148
.LBB62_149:
	s_inst_prefetch 0x2
	s_waitcnt lgkmcnt(0)
	v_cmp_eq_f64_e32 vcc_lo, 0, v[130:131]
	v_cmp_eq_f64_e64 s0, 0, v[132:133]
	s_and_b32 s0, vcc_lo, s0
	s_and_saveexec_b32 s1, s0
	s_xor_b32 s0, exec_lo, s1
; %bb.150:
	v_cmp_ne_u32_e32 vcc_lo, 0, v143
	v_cndmask_b32_e32 v143, 8, v143, vcc_lo
; %bb.151:
	s_andn2_saveexec_b32 s0, s0
	s_cbranch_execz .LBB62_157
; %bb.152:
	v_cmp_ngt_f64_e64 s1, |v[130:131]|, |v[132:133]|
	s_and_saveexec_b32 s2, s1
	s_xor_b32 s1, exec_lo, s2
	s_cbranch_execz .LBB62_154
; %bb.153:
	v_div_scale_f64 v[145:146], null, v[132:133], v[132:133], v[130:131]
	v_div_scale_f64 v[151:152], vcc_lo, v[130:131], v[132:133], v[130:131]
	v_rcp_f64_e32 v[147:148], v[145:146]
	v_fma_f64 v[149:150], -v[145:146], v[147:148], 1.0
	v_fma_f64 v[147:148], v[147:148], v[149:150], v[147:148]
	v_fma_f64 v[149:150], -v[145:146], v[147:148], 1.0
	v_fma_f64 v[147:148], v[147:148], v[149:150], v[147:148]
	v_mul_f64 v[149:150], v[151:152], v[147:148]
	v_fma_f64 v[145:146], -v[145:146], v[149:150], v[151:152]
	v_div_fmas_f64 v[145:146], v[145:146], v[147:148], v[149:150]
	v_div_fixup_f64 v[145:146], v[145:146], v[132:133], v[130:131]
	v_fma_f64 v[130:131], v[130:131], v[145:146], v[132:133]
	v_div_scale_f64 v[132:133], null, v[130:131], v[130:131], 1.0
	v_rcp_f64_e32 v[147:148], v[132:133]
	v_fma_f64 v[149:150], -v[132:133], v[147:148], 1.0
	v_fma_f64 v[147:148], v[147:148], v[149:150], v[147:148]
	v_fma_f64 v[149:150], -v[132:133], v[147:148], 1.0
	v_fma_f64 v[147:148], v[147:148], v[149:150], v[147:148]
	v_div_scale_f64 v[149:150], vcc_lo, 1.0, v[130:131], 1.0
	v_mul_f64 v[151:152], v[149:150], v[147:148]
	v_fma_f64 v[132:133], -v[132:133], v[151:152], v[149:150]
	v_div_fmas_f64 v[132:133], v[132:133], v[147:148], v[151:152]
	v_div_fixup_f64 v[132:133], v[132:133], v[130:131], 1.0
	v_mul_f64 v[130:131], v[145:146], v[132:133]
	v_xor_b32_e32 v133, 0x80000000, v133
.LBB62_154:
	s_andn2_saveexec_b32 s1, s1
	s_cbranch_execz .LBB62_156
; %bb.155:
	v_div_scale_f64 v[145:146], null, v[130:131], v[130:131], v[132:133]
	v_div_scale_f64 v[151:152], vcc_lo, v[132:133], v[130:131], v[132:133]
	v_rcp_f64_e32 v[147:148], v[145:146]
	v_fma_f64 v[149:150], -v[145:146], v[147:148], 1.0
	v_fma_f64 v[147:148], v[147:148], v[149:150], v[147:148]
	v_fma_f64 v[149:150], -v[145:146], v[147:148], 1.0
	v_fma_f64 v[147:148], v[147:148], v[149:150], v[147:148]
	v_mul_f64 v[149:150], v[151:152], v[147:148]
	v_fma_f64 v[145:146], -v[145:146], v[149:150], v[151:152]
	v_div_fmas_f64 v[145:146], v[145:146], v[147:148], v[149:150]
	v_div_fixup_f64 v[145:146], v[145:146], v[130:131], v[132:133]
	v_fma_f64 v[130:131], v[132:133], v[145:146], v[130:131]
	v_div_scale_f64 v[132:133], null, v[130:131], v[130:131], 1.0
	v_rcp_f64_e32 v[147:148], v[132:133]
	v_fma_f64 v[149:150], -v[132:133], v[147:148], 1.0
	v_fma_f64 v[147:148], v[147:148], v[149:150], v[147:148]
	v_fma_f64 v[149:150], -v[132:133], v[147:148], 1.0
	v_fma_f64 v[147:148], v[147:148], v[149:150], v[147:148]
	v_div_scale_f64 v[149:150], vcc_lo, 1.0, v[130:131], 1.0
	v_mul_f64 v[151:152], v[149:150], v[147:148]
	v_fma_f64 v[132:133], -v[132:133], v[151:152], v[149:150]
	v_div_fmas_f64 v[132:133], v[132:133], v[147:148], v[151:152]
	v_div_fixup_f64 v[130:131], v[132:133], v[130:131], 1.0
	v_mul_f64 v[132:133], v[145:146], -v[130:131]
.LBB62_156:
	s_or_b32 exec_lo, exec_lo, s1
.LBB62_157:
	s_or_b32 exec_lo, exec_lo, s0
	s_mov_b32 s0, exec_lo
	v_cmpx_ne_u32_e64 v144, v138
	s_xor_b32 s0, exec_lo, s0
	s_cbranch_execz .LBB62_163
; %bb.158:
	s_mov_b32 s1, exec_lo
	v_cmpx_eq_u32_e32 7, v144
	s_cbranch_execz .LBB62_162
; %bb.159:
	v_cmp_ne_u32_e32 vcc_lo, 7, v138
	s_xor_b32 s2, s16, -1
	s_and_b32 s3, s2, vcc_lo
	s_and_saveexec_b32 s2, s3
	s_cbranch_execz .LBB62_161
; %bb.160:
	v_ashrrev_i32_e32 v139, 31, v138
	v_lshlrev_b64 v[144:145], 2, v[138:139]
	v_add_co_u32 v144, vcc_lo, v136, v144
	v_add_co_ci_u32_e64 v145, null, v137, v145, vcc_lo
	s_clause 0x1
	global_load_dword v0, v[144:145], off
	global_load_dword v139, v[136:137], off offset:28
	s_waitcnt vmcnt(1)
	global_store_dword v[136:137], v0, off offset:28
	s_waitcnt vmcnt(0)
	global_store_dword v[144:145], v139, off
.LBB62_161:
	s_or_b32 exec_lo, exec_lo, s2
	v_mov_b32_e32 v144, v138
	v_mov_b32_e32 v0, v138
.LBB62_162:
	s_or_b32 exec_lo, exec_lo, s1
.LBB62_163:
	s_andn2_saveexec_b32 s0, s0
	s_cbranch_execz .LBB62_165
; %bb.164:
	v_mov_b32_e32 v144, 7
	ds_write2_b64 v1, v[94:95], v[96:97] offset0:16 offset1:17
	ds_write2_b64 v1, v[90:91], v[92:93] offset0:18 offset1:19
	;; [unrolled: 1-line block ×24, first 2 shown]
.LBB62_165:
	s_or_b32 exec_lo, exec_lo, s0
	s_mov_b32 s0, exec_lo
	s_waitcnt lgkmcnt(0)
	s_waitcnt_vscnt null, 0x0
	s_barrier
	buffer_gl0_inv
	v_cmpx_lt_i32_e32 7, v144
	s_cbranch_execz .LBB62_167
; %bb.166:
	v_mul_f64 v[138:139], v[132:133], v[100:101]
	v_mul_f64 v[100:101], v[130:131], v[100:101]
	v_fma_f64 v[138:139], v[130:131], v[98:99], -v[138:139]
	v_fma_f64 v[100:101], v[132:133], v[98:99], v[100:101]
	ds_read2_b64 v[130:133], v1 offset0:16 offset1:17
	s_waitcnt lgkmcnt(0)
	v_mul_f64 v[98:99], v[132:133], v[100:101]
	v_fma_f64 v[98:99], v[130:131], v[138:139], -v[98:99]
	v_mul_f64 v[130:131], v[130:131], v[100:101]
	v_add_f64 v[94:95], v[94:95], -v[98:99]
	v_fma_f64 v[130:131], v[132:133], v[138:139], v[130:131]
	v_add_f64 v[96:97], v[96:97], -v[130:131]
	ds_read2_b64 v[130:133], v1 offset0:18 offset1:19
	s_waitcnt lgkmcnt(0)
	v_mul_f64 v[98:99], v[132:133], v[100:101]
	v_fma_f64 v[98:99], v[130:131], v[138:139], -v[98:99]
	v_mul_f64 v[130:131], v[130:131], v[100:101]
	v_add_f64 v[90:91], v[90:91], -v[98:99]
	v_fma_f64 v[130:131], v[132:133], v[138:139], v[130:131]
	v_add_f64 v[92:93], v[92:93], -v[130:131]
	;; [unrolled: 8-line block ×23, first 2 shown]
	ds_read2_b64 v[130:133], v1 offset0:62 offset1:63
	s_waitcnt lgkmcnt(0)
	v_mul_f64 v[98:99], v[132:133], v[100:101]
	v_fma_f64 v[98:99], v[130:131], v[138:139], -v[98:99]
	v_mul_f64 v[130:131], v[130:131], v[100:101]
	v_add_f64 v[2:3], v[2:3], -v[98:99]
	v_fma_f64 v[130:131], v[132:133], v[138:139], v[130:131]
	v_mov_b32_e32 v98, v138
	v_mov_b32_e32 v99, v139
	v_add_f64 v[4:5], v[4:5], -v[130:131]
.LBB62_167:
	s_or_b32 exec_lo, exec_lo, s0
	v_lshl_add_u32 v130, v144, 4, v1
	s_barrier
	buffer_gl0_inv
	v_mov_b32_e32 v138, 8
	ds_write2_b64 v130, v[94:95], v[96:97] offset1:1
	s_waitcnt lgkmcnt(0)
	s_barrier
	buffer_gl0_inv
	ds_read2_b64 v[130:133], v1 offset0:16 offset1:17
	s_cmp_lt_i32 s18, 10
	s_cbranch_scc1 .LBB62_170
; %bb.168:
	v_add3_u32 v139, v140, 0, 0x90
	v_mov_b32_e32 v138, 8
	s_mov_b32 s1, 9
	s_inst_prefetch 0x1
	.p2align	6
.LBB62_169:                             ; =>This Inner Loop Header: Depth=1
	s_waitcnt lgkmcnt(0)
	v_cmp_gt_f64_e32 vcc_lo, 0, v[132:133]
	v_cmp_gt_f64_e64 s0, 0, v[130:131]
	ds_read2_b64 v[145:148], v139 offset1:1
	v_xor_b32_e32 v150, 0x80000000, v131
	v_xor_b32_e32 v152, 0x80000000, v133
	v_mov_b32_e32 v149, v130
	v_mov_b32_e32 v151, v132
	v_add_nc_u32_e32 v139, 16, v139
	s_waitcnt lgkmcnt(0)
	v_xor_b32_e32 v154, 0x80000000, v148
	v_cndmask_b32_e64 v150, v131, v150, s0
	v_cndmask_b32_e32 v152, v133, v152, vcc_lo
	v_cmp_gt_f64_e32 vcc_lo, 0, v[147:148]
	v_cmp_gt_f64_e64 s0, 0, v[145:146]
	v_mov_b32_e32 v153, v147
	v_add_f64 v[149:150], v[149:150], v[151:152]
	v_xor_b32_e32 v152, 0x80000000, v146
	v_mov_b32_e32 v151, v145
	v_cndmask_b32_e32 v154, v148, v154, vcc_lo
	v_cndmask_b32_e64 v152, v146, v152, s0
	v_add_f64 v[151:152], v[151:152], v[153:154]
	v_cmp_lt_f64_e32 vcc_lo, v[149:150], v[151:152]
	v_cndmask_b32_e32 v131, v131, v146, vcc_lo
	v_cndmask_b32_e32 v130, v130, v145, vcc_lo
	;; [unrolled: 1-line block ×4, first 2 shown]
	v_cndmask_b32_e64 v138, v138, s1, vcc_lo
	s_add_i32 s1, s1, 1
	s_cmp_lg_u32 s18, s1
	s_cbranch_scc1 .LBB62_169
.LBB62_170:
	s_inst_prefetch 0x2
	s_waitcnt lgkmcnt(0)
	v_cmp_eq_f64_e32 vcc_lo, 0, v[130:131]
	v_cmp_eq_f64_e64 s0, 0, v[132:133]
	s_and_b32 s0, vcc_lo, s0
	s_and_saveexec_b32 s1, s0
	s_xor_b32 s0, exec_lo, s1
; %bb.171:
	v_cmp_ne_u32_e32 vcc_lo, 0, v143
	v_cndmask_b32_e32 v143, 9, v143, vcc_lo
; %bb.172:
	s_andn2_saveexec_b32 s0, s0
	s_cbranch_execz .LBB62_178
; %bb.173:
	v_cmp_ngt_f64_e64 s1, |v[130:131]|, |v[132:133]|
	s_and_saveexec_b32 s2, s1
	s_xor_b32 s1, exec_lo, s2
	s_cbranch_execz .LBB62_175
; %bb.174:
	v_div_scale_f64 v[145:146], null, v[132:133], v[132:133], v[130:131]
	v_div_scale_f64 v[151:152], vcc_lo, v[130:131], v[132:133], v[130:131]
	v_rcp_f64_e32 v[147:148], v[145:146]
	v_fma_f64 v[149:150], -v[145:146], v[147:148], 1.0
	v_fma_f64 v[147:148], v[147:148], v[149:150], v[147:148]
	v_fma_f64 v[149:150], -v[145:146], v[147:148], 1.0
	v_fma_f64 v[147:148], v[147:148], v[149:150], v[147:148]
	v_mul_f64 v[149:150], v[151:152], v[147:148]
	v_fma_f64 v[145:146], -v[145:146], v[149:150], v[151:152]
	v_div_fmas_f64 v[145:146], v[145:146], v[147:148], v[149:150]
	v_div_fixup_f64 v[145:146], v[145:146], v[132:133], v[130:131]
	v_fma_f64 v[130:131], v[130:131], v[145:146], v[132:133]
	v_div_scale_f64 v[132:133], null, v[130:131], v[130:131], 1.0
	v_rcp_f64_e32 v[147:148], v[132:133]
	v_fma_f64 v[149:150], -v[132:133], v[147:148], 1.0
	v_fma_f64 v[147:148], v[147:148], v[149:150], v[147:148]
	v_fma_f64 v[149:150], -v[132:133], v[147:148], 1.0
	v_fma_f64 v[147:148], v[147:148], v[149:150], v[147:148]
	v_div_scale_f64 v[149:150], vcc_lo, 1.0, v[130:131], 1.0
	v_mul_f64 v[151:152], v[149:150], v[147:148]
	v_fma_f64 v[132:133], -v[132:133], v[151:152], v[149:150]
	v_div_fmas_f64 v[132:133], v[132:133], v[147:148], v[151:152]
	v_div_fixup_f64 v[132:133], v[132:133], v[130:131], 1.0
	v_mul_f64 v[130:131], v[145:146], v[132:133]
	v_xor_b32_e32 v133, 0x80000000, v133
.LBB62_175:
	s_andn2_saveexec_b32 s1, s1
	s_cbranch_execz .LBB62_177
; %bb.176:
	v_div_scale_f64 v[145:146], null, v[130:131], v[130:131], v[132:133]
	v_div_scale_f64 v[151:152], vcc_lo, v[132:133], v[130:131], v[132:133]
	v_rcp_f64_e32 v[147:148], v[145:146]
	v_fma_f64 v[149:150], -v[145:146], v[147:148], 1.0
	v_fma_f64 v[147:148], v[147:148], v[149:150], v[147:148]
	v_fma_f64 v[149:150], -v[145:146], v[147:148], 1.0
	v_fma_f64 v[147:148], v[147:148], v[149:150], v[147:148]
	v_mul_f64 v[149:150], v[151:152], v[147:148]
	v_fma_f64 v[145:146], -v[145:146], v[149:150], v[151:152]
	v_div_fmas_f64 v[145:146], v[145:146], v[147:148], v[149:150]
	v_div_fixup_f64 v[145:146], v[145:146], v[130:131], v[132:133]
	v_fma_f64 v[130:131], v[132:133], v[145:146], v[130:131]
	v_div_scale_f64 v[132:133], null, v[130:131], v[130:131], 1.0
	v_rcp_f64_e32 v[147:148], v[132:133]
	v_fma_f64 v[149:150], -v[132:133], v[147:148], 1.0
	v_fma_f64 v[147:148], v[147:148], v[149:150], v[147:148]
	v_fma_f64 v[149:150], -v[132:133], v[147:148], 1.0
	v_fma_f64 v[147:148], v[147:148], v[149:150], v[147:148]
	v_div_scale_f64 v[149:150], vcc_lo, 1.0, v[130:131], 1.0
	v_mul_f64 v[151:152], v[149:150], v[147:148]
	v_fma_f64 v[132:133], -v[132:133], v[151:152], v[149:150]
	v_div_fmas_f64 v[132:133], v[132:133], v[147:148], v[151:152]
	v_div_fixup_f64 v[130:131], v[132:133], v[130:131], 1.0
	v_mul_f64 v[132:133], v[145:146], -v[130:131]
.LBB62_177:
	s_or_b32 exec_lo, exec_lo, s1
.LBB62_178:
	s_or_b32 exec_lo, exec_lo, s0
	s_mov_b32 s0, exec_lo
	v_cmpx_ne_u32_e64 v144, v138
	s_xor_b32 s0, exec_lo, s0
	s_cbranch_execz .LBB62_184
; %bb.179:
	s_mov_b32 s1, exec_lo
	v_cmpx_eq_u32_e32 8, v144
	s_cbranch_execz .LBB62_183
; %bb.180:
	v_cmp_ne_u32_e32 vcc_lo, 8, v138
	s_xor_b32 s2, s16, -1
	s_and_b32 s3, s2, vcc_lo
	s_and_saveexec_b32 s2, s3
	s_cbranch_execz .LBB62_182
; %bb.181:
	v_ashrrev_i32_e32 v139, 31, v138
	v_lshlrev_b64 v[144:145], 2, v[138:139]
	v_add_co_u32 v144, vcc_lo, v136, v144
	v_add_co_ci_u32_e64 v145, null, v137, v145, vcc_lo
	s_clause 0x1
	global_load_dword v0, v[144:145], off
	global_load_dword v139, v[136:137], off offset:32
	s_waitcnt vmcnt(1)
	global_store_dword v[136:137], v0, off offset:32
	s_waitcnt vmcnt(0)
	global_store_dword v[144:145], v139, off
.LBB62_182:
	s_or_b32 exec_lo, exec_lo, s2
	v_mov_b32_e32 v144, v138
	v_mov_b32_e32 v0, v138
.LBB62_183:
	s_or_b32 exec_lo, exec_lo, s1
.LBB62_184:
	s_andn2_saveexec_b32 s0, s0
	s_cbranch_execz .LBB62_186
; %bb.185:
	v_mov_b32_e32 v144, 8
	ds_write2_b64 v1, v[90:91], v[92:93] offset0:18 offset1:19
	ds_write2_b64 v1, v[86:87], v[88:89] offset0:20 offset1:21
	;; [unrolled: 1-line block ×23, first 2 shown]
.LBB62_186:
	s_or_b32 exec_lo, exec_lo, s0
	s_mov_b32 s0, exec_lo
	s_waitcnt lgkmcnt(0)
	s_waitcnt_vscnt null, 0x0
	s_barrier
	buffer_gl0_inv
	v_cmpx_lt_i32_e32 8, v144
	s_cbranch_execz .LBB62_188
; %bb.187:
	v_mul_f64 v[138:139], v[132:133], v[96:97]
	v_mul_f64 v[96:97], v[130:131], v[96:97]
	v_fma_f64 v[138:139], v[130:131], v[94:95], -v[138:139]
	v_fma_f64 v[96:97], v[132:133], v[94:95], v[96:97]
	ds_read2_b64 v[130:133], v1 offset0:18 offset1:19
	s_waitcnt lgkmcnt(0)
	v_mul_f64 v[94:95], v[132:133], v[96:97]
	v_fma_f64 v[94:95], v[130:131], v[138:139], -v[94:95]
	v_mul_f64 v[130:131], v[130:131], v[96:97]
	v_add_f64 v[90:91], v[90:91], -v[94:95]
	v_fma_f64 v[130:131], v[132:133], v[138:139], v[130:131]
	v_add_f64 v[92:93], v[92:93], -v[130:131]
	ds_read2_b64 v[130:133], v1 offset0:20 offset1:21
	s_waitcnt lgkmcnt(0)
	v_mul_f64 v[94:95], v[132:133], v[96:97]
	v_fma_f64 v[94:95], v[130:131], v[138:139], -v[94:95]
	v_mul_f64 v[130:131], v[130:131], v[96:97]
	v_add_f64 v[86:87], v[86:87], -v[94:95]
	v_fma_f64 v[130:131], v[132:133], v[138:139], v[130:131]
	v_add_f64 v[88:89], v[88:89], -v[130:131]
	;; [unrolled: 8-line block ×22, first 2 shown]
	ds_read2_b64 v[130:133], v1 offset0:62 offset1:63
	s_waitcnt lgkmcnt(0)
	v_mul_f64 v[94:95], v[132:133], v[96:97]
	v_fma_f64 v[94:95], v[130:131], v[138:139], -v[94:95]
	v_mul_f64 v[130:131], v[130:131], v[96:97]
	v_add_f64 v[2:3], v[2:3], -v[94:95]
	v_fma_f64 v[130:131], v[132:133], v[138:139], v[130:131]
	v_mov_b32_e32 v94, v138
	v_mov_b32_e32 v95, v139
	v_add_f64 v[4:5], v[4:5], -v[130:131]
.LBB62_188:
	s_or_b32 exec_lo, exec_lo, s0
	v_lshl_add_u32 v130, v144, 4, v1
	s_barrier
	buffer_gl0_inv
	v_mov_b32_e32 v138, 9
	ds_write2_b64 v130, v[90:91], v[92:93] offset1:1
	s_waitcnt lgkmcnt(0)
	s_barrier
	buffer_gl0_inv
	ds_read2_b64 v[130:133], v1 offset0:18 offset1:19
	s_cmp_lt_i32 s18, 11
	s_cbranch_scc1 .LBB62_191
; %bb.189:
	v_add3_u32 v139, v140, 0, 0xa0
	v_mov_b32_e32 v138, 9
	s_mov_b32 s1, 10
	s_inst_prefetch 0x1
	.p2align	6
.LBB62_190:                             ; =>This Inner Loop Header: Depth=1
	s_waitcnt lgkmcnt(0)
	v_cmp_gt_f64_e32 vcc_lo, 0, v[132:133]
	v_cmp_gt_f64_e64 s0, 0, v[130:131]
	ds_read2_b64 v[145:148], v139 offset1:1
	v_xor_b32_e32 v150, 0x80000000, v131
	v_xor_b32_e32 v152, 0x80000000, v133
	v_mov_b32_e32 v149, v130
	v_mov_b32_e32 v151, v132
	v_add_nc_u32_e32 v139, 16, v139
	s_waitcnt lgkmcnt(0)
	v_xor_b32_e32 v154, 0x80000000, v148
	v_cndmask_b32_e64 v150, v131, v150, s0
	v_cndmask_b32_e32 v152, v133, v152, vcc_lo
	v_cmp_gt_f64_e32 vcc_lo, 0, v[147:148]
	v_cmp_gt_f64_e64 s0, 0, v[145:146]
	v_mov_b32_e32 v153, v147
	v_add_f64 v[149:150], v[149:150], v[151:152]
	v_xor_b32_e32 v152, 0x80000000, v146
	v_mov_b32_e32 v151, v145
	v_cndmask_b32_e32 v154, v148, v154, vcc_lo
	v_cndmask_b32_e64 v152, v146, v152, s0
	v_add_f64 v[151:152], v[151:152], v[153:154]
	v_cmp_lt_f64_e32 vcc_lo, v[149:150], v[151:152]
	v_cndmask_b32_e32 v131, v131, v146, vcc_lo
	v_cndmask_b32_e32 v130, v130, v145, vcc_lo
	;; [unrolled: 1-line block ×4, first 2 shown]
	v_cndmask_b32_e64 v138, v138, s1, vcc_lo
	s_add_i32 s1, s1, 1
	s_cmp_lg_u32 s18, s1
	s_cbranch_scc1 .LBB62_190
.LBB62_191:
	s_inst_prefetch 0x2
	s_waitcnt lgkmcnt(0)
	v_cmp_eq_f64_e32 vcc_lo, 0, v[130:131]
	v_cmp_eq_f64_e64 s0, 0, v[132:133]
	s_and_b32 s0, vcc_lo, s0
	s_and_saveexec_b32 s1, s0
	s_xor_b32 s0, exec_lo, s1
; %bb.192:
	v_cmp_ne_u32_e32 vcc_lo, 0, v143
	v_cndmask_b32_e32 v143, 10, v143, vcc_lo
; %bb.193:
	s_andn2_saveexec_b32 s0, s0
	s_cbranch_execz .LBB62_199
; %bb.194:
	v_cmp_ngt_f64_e64 s1, |v[130:131]|, |v[132:133]|
	s_and_saveexec_b32 s2, s1
	s_xor_b32 s1, exec_lo, s2
	s_cbranch_execz .LBB62_196
; %bb.195:
	v_div_scale_f64 v[145:146], null, v[132:133], v[132:133], v[130:131]
	v_div_scale_f64 v[151:152], vcc_lo, v[130:131], v[132:133], v[130:131]
	v_rcp_f64_e32 v[147:148], v[145:146]
	v_fma_f64 v[149:150], -v[145:146], v[147:148], 1.0
	v_fma_f64 v[147:148], v[147:148], v[149:150], v[147:148]
	v_fma_f64 v[149:150], -v[145:146], v[147:148], 1.0
	v_fma_f64 v[147:148], v[147:148], v[149:150], v[147:148]
	v_mul_f64 v[149:150], v[151:152], v[147:148]
	v_fma_f64 v[145:146], -v[145:146], v[149:150], v[151:152]
	v_div_fmas_f64 v[145:146], v[145:146], v[147:148], v[149:150]
	v_div_fixup_f64 v[145:146], v[145:146], v[132:133], v[130:131]
	v_fma_f64 v[130:131], v[130:131], v[145:146], v[132:133]
	v_div_scale_f64 v[132:133], null, v[130:131], v[130:131], 1.0
	v_rcp_f64_e32 v[147:148], v[132:133]
	v_fma_f64 v[149:150], -v[132:133], v[147:148], 1.0
	v_fma_f64 v[147:148], v[147:148], v[149:150], v[147:148]
	v_fma_f64 v[149:150], -v[132:133], v[147:148], 1.0
	v_fma_f64 v[147:148], v[147:148], v[149:150], v[147:148]
	v_div_scale_f64 v[149:150], vcc_lo, 1.0, v[130:131], 1.0
	v_mul_f64 v[151:152], v[149:150], v[147:148]
	v_fma_f64 v[132:133], -v[132:133], v[151:152], v[149:150]
	v_div_fmas_f64 v[132:133], v[132:133], v[147:148], v[151:152]
	v_div_fixup_f64 v[132:133], v[132:133], v[130:131], 1.0
	v_mul_f64 v[130:131], v[145:146], v[132:133]
	v_xor_b32_e32 v133, 0x80000000, v133
.LBB62_196:
	s_andn2_saveexec_b32 s1, s1
	s_cbranch_execz .LBB62_198
; %bb.197:
	v_div_scale_f64 v[145:146], null, v[130:131], v[130:131], v[132:133]
	v_div_scale_f64 v[151:152], vcc_lo, v[132:133], v[130:131], v[132:133]
	v_rcp_f64_e32 v[147:148], v[145:146]
	v_fma_f64 v[149:150], -v[145:146], v[147:148], 1.0
	v_fma_f64 v[147:148], v[147:148], v[149:150], v[147:148]
	v_fma_f64 v[149:150], -v[145:146], v[147:148], 1.0
	v_fma_f64 v[147:148], v[147:148], v[149:150], v[147:148]
	v_mul_f64 v[149:150], v[151:152], v[147:148]
	v_fma_f64 v[145:146], -v[145:146], v[149:150], v[151:152]
	v_div_fmas_f64 v[145:146], v[145:146], v[147:148], v[149:150]
	v_div_fixup_f64 v[145:146], v[145:146], v[130:131], v[132:133]
	v_fma_f64 v[130:131], v[132:133], v[145:146], v[130:131]
	v_div_scale_f64 v[132:133], null, v[130:131], v[130:131], 1.0
	v_rcp_f64_e32 v[147:148], v[132:133]
	v_fma_f64 v[149:150], -v[132:133], v[147:148], 1.0
	v_fma_f64 v[147:148], v[147:148], v[149:150], v[147:148]
	v_fma_f64 v[149:150], -v[132:133], v[147:148], 1.0
	v_fma_f64 v[147:148], v[147:148], v[149:150], v[147:148]
	v_div_scale_f64 v[149:150], vcc_lo, 1.0, v[130:131], 1.0
	v_mul_f64 v[151:152], v[149:150], v[147:148]
	v_fma_f64 v[132:133], -v[132:133], v[151:152], v[149:150]
	v_div_fmas_f64 v[132:133], v[132:133], v[147:148], v[151:152]
	v_div_fixup_f64 v[130:131], v[132:133], v[130:131], 1.0
	v_mul_f64 v[132:133], v[145:146], -v[130:131]
.LBB62_198:
	s_or_b32 exec_lo, exec_lo, s1
.LBB62_199:
	s_or_b32 exec_lo, exec_lo, s0
	s_mov_b32 s0, exec_lo
	v_cmpx_ne_u32_e64 v144, v138
	s_xor_b32 s0, exec_lo, s0
	s_cbranch_execz .LBB62_205
; %bb.200:
	s_mov_b32 s1, exec_lo
	v_cmpx_eq_u32_e32 9, v144
	s_cbranch_execz .LBB62_204
; %bb.201:
	v_cmp_ne_u32_e32 vcc_lo, 9, v138
	s_xor_b32 s2, s16, -1
	s_and_b32 s3, s2, vcc_lo
	s_and_saveexec_b32 s2, s3
	s_cbranch_execz .LBB62_203
; %bb.202:
	v_ashrrev_i32_e32 v139, 31, v138
	v_lshlrev_b64 v[144:145], 2, v[138:139]
	v_add_co_u32 v144, vcc_lo, v136, v144
	v_add_co_ci_u32_e64 v145, null, v137, v145, vcc_lo
	s_clause 0x1
	global_load_dword v0, v[144:145], off
	global_load_dword v139, v[136:137], off offset:36
	s_waitcnt vmcnt(1)
	global_store_dword v[136:137], v0, off offset:36
	s_waitcnt vmcnt(0)
	global_store_dword v[144:145], v139, off
.LBB62_203:
	s_or_b32 exec_lo, exec_lo, s2
	v_mov_b32_e32 v144, v138
	v_mov_b32_e32 v0, v138
.LBB62_204:
	s_or_b32 exec_lo, exec_lo, s1
.LBB62_205:
	s_andn2_saveexec_b32 s0, s0
	s_cbranch_execz .LBB62_207
; %bb.206:
	v_mov_b32_e32 v144, 9
	ds_write2_b64 v1, v[86:87], v[88:89] offset0:20 offset1:21
	ds_write2_b64 v1, v[82:83], v[84:85] offset0:22 offset1:23
	;; [unrolled: 1-line block ×22, first 2 shown]
.LBB62_207:
	s_or_b32 exec_lo, exec_lo, s0
	s_mov_b32 s0, exec_lo
	s_waitcnt lgkmcnt(0)
	s_waitcnt_vscnt null, 0x0
	s_barrier
	buffer_gl0_inv
	v_cmpx_lt_i32_e32 9, v144
	s_cbranch_execz .LBB62_209
; %bb.208:
	v_mul_f64 v[138:139], v[132:133], v[92:93]
	v_mul_f64 v[92:93], v[130:131], v[92:93]
	v_fma_f64 v[138:139], v[130:131], v[90:91], -v[138:139]
	v_fma_f64 v[92:93], v[132:133], v[90:91], v[92:93]
	ds_read2_b64 v[130:133], v1 offset0:20 offset1:21
	s_waitcnt lgkmcnt(0)
	v_mul_f64 v[90:91], v[132:133], v[92:93]
	v_fma_f64 v[90:91], v[130:131], v[138:139], -v[90:91]
	v_mul_f64 v[130:131], v[130:131], v[92:93]
	v_add_f64 v[86:87], v[86:87], -v[90:91]
	v_fma_f64 v[130:131], v[132:133], v[138:139], v[130:131]
	v_add_f64 v[88:89], v[88:89], -v[130:131]
	ds_read2_b64 v[130:133], v1 offset0:22 offset1:23
	s_waitcnt lgkmcnt(0)
	v_mul_f64 v[90:91], v[132:133], v[92:93]
	v_fma_f64 v[90:91], v[130:131], v[138:139], -v[90:91]
	v_mul_f64 v[130:131], v[130:131], v[92:93]
	v_add_f64 v[82:83], v[82:83], -v[90:91]
	v_fma_f64 v[130:131], v[132:133], v[138:139], v[130:131]
	v_add_f64 v[84:85], v[84:85], -v[130:131]
	;; [unrolled: 8-line block ×21, first 2 shown]
	ds_read2_b64 v[130:133], v1 offset0:62 offset1:63
	s_waitcnt lgkmcnt(0)
	v_mul_f64 v[90:91], v[132:133], v[92:93]
	v_fma_f64 v[90:91], v[130:131], v[138:139], -v[90:91]
	v_mul_f64 v[130:131], v[130:131], v[92:93]
	v_add_f64 v[2:3], v[2:3], -v[90:91]
	v_fma_f64 v[130:131], v[132:133], v[138:139], v[130:131]
	v_mov_b32_e32 v90, v138
	v_mov_b32_e32 v91, v139
	v_add_f64 v[4:5], v[4:5], -v[130:131]
.LBB62_209:
	s_or_b32 exec_lo, exec_lo, s0
	v_lshl_add_u32 v130, v144, 4, v1
	s_barrier
	buffer_gl0_inv
	v_mov_b32_e32 v138, 10
	ds_write2_b64 v130, v[86:87], v[88:89] offset1:1
	s_waitcnt lgkmcnt(0)
	s_barrier
	buffer_gl0_inv
	ds_read2_b64 v[130:133], v1 offset0:20 offset1:21
	s_cmp_lt_i32 s18, 12
	s_cbranch_scc1 .LBB62_212
; %bb.210:
	v_add3_u32 v139, v140, 0, 0xb0
	v_mov_b32_e32 v138, 10
	s_mov_b32 s1, 11
	s_inst_prefetch 0x1
	.p2align	6
.LBB62_211:                             ; =>This Inner Loop Header: Depth=1
	s_waitcnt lgkmcnt(0)
	v_cmp_gt_f64_e32 vcc_lo, 0, v[132:133]
	v_cmp_gt_f64_e64 s0, 0, v[130:131]
	ds_read2_b64 v[145:148], v139 offset1:1
	v_xor_b32_e32 v150, 0x80000000, v131
	v_xor_b32_e32 v152, 0x80000000, v133
	v_mov_b32_e32 v149, v130
	v_mov_b32_e32 v151, v132
	v_add_nc_u32_e32 v139, 16, v139
	s_waitcnt lgkmcnt(0)
	v_xor_b32_e32 v154, 0x80000000, v148
	v_cndmask_b32_e64 v150, v131, v150, s0
	v_cndmask_b32_e32 v152, v133, v152, vcc_lo
	v_cmp_gt_f64_e32 vcc_lo, 0, v[147:148]
	v_cmp_gt_f64_e64 s0, 0, v[145:146]
	v_mov_b32_e32 v153, v147
	v_add_f64 v[149:150], v[149:150], v[151:152]
	v_xor_b32_e32 v152, 0x80000000, v146
	v_mov_b32_e32 v151, v145
	v_cndmask_b32_e32 v154, v148, v154, vcc_lo
	v_cndmask_b32_e64 v152, v146, v152, s0
	v_add_f64 v[151:152], v[151:152], v[153:154]
	v_cmp_lt_f64_e32 vcc_lo, v[149:150], v[151:152]
	v_cndmask_b32_e32 v131, v131, v146, vcc_lo
	v_cndmask_b32_e32 v130, v130, v145, vcc_lo
	;; [unrolled: 1-line block ×4, first 2 shown]
	v_cndmask_b32_e64 v138, v138, s1, vcc_lo
	s_add_i32 s1, s1, 1
	s_cmp_lg_u32 s18, s1
	s_cbranch_scc1 .LBB62_211
.LBB62_212:
	s_inst_prefetch 0x2
	s_waitcnt lgkmcnt(0)
	v_cmp_eq_f64_e32 vcc_lo, 0, v[130:131]
	v_cmp_eq_f64_e64 s0, 0, v[132:133]
	s_and_b32 s0, vcc_lo, s0
	s_and_saveexec_b32 s1, s0
	s_xor_b32 s0, exec_lo, s1
; %bb.213:
	v_cmp_ne_u32_e32 vcc_lo, 0, v143
	v_cndmask_b32_e32 v143, 11, v143, vcc_lo
; %bb.214:
	s_andn2_saveexec_b32 s0, s0
	s_cbranch_execz .LBB62_220
; %bb.215:
	v_cmp_ngt_f64_e64 s1, |v[130:131]|, |v[132:133]|
	s_and_saveexec_b32 s2, s1
	s_xor_b32 s1, exec_lo, s2
	s_cbranch_execz .LBB62_217
; %bb.216:
	v_div_scale_f64 v[145:146], null, v[132:133], v[132:133], v[130:131]
	v_div_scale_f64 v[151:152], vcc_lo, v[130:131], v[132:133], v[130:131]
	v_rcp_f64_e32 v[147:148], v[145:146]
	v_fma_f64 v[149:150], -v[145:146], v[147:148], 1.0
	v_fma_f64 v[147:148], v[147:148], v[149:150], v[147:148]
	v_fma_f64 v[149:150], -v[145:146], v[147:148], 1.0
	v_fma_f64 v[147:148], v[147:148], v[149:150], v[147:148]
	v_mul_f64 v[149:150], v[151:152], v[147:148]
	v_fma_f64 v[145:146], -v[145:146], v[149:150], v[151:152]
	v_div_fmas_f64 v[145:146], v[145:146], v[147:148], v[149:150]
	v_div_fixup_f64 v[145:146], v[145:146], v[132:133], v[130:131]
	v_fma_f64 v[130:131], v[130:131], v[145:146], v[132:133]
	v_div_scale_f64 v[132:133], null, v[130:131], v[130:131], 1.0
	v_rcp_f64_e32 v[147:148], v[132:133]
	v_fma_f64 v[149:150], -v[132:133], v[147:148], 1.0
	v_fma_f64 v[147:148], v[147:148], v[149:150], v[147:148]
	v_fma_f64 v[149:150], -v[132:133], v[147:148], 1.0
	v_fma_f64 v[147:148], v[147:148], v[149:150], v[147:148]
	v_div_scale_f64 v[149:150], vcc_lo, 1.0, v[130:131], 1.0
	v_mul_f64 v[151:152], v[149:150], v[147:148]
	v_fma_f64 v[132:133], -v[132:133], v[151:152], v[149:150]
	v_div_fmas_f64 v[132:133], v[132:133], v[147:148], v[151:152]
	v_div_fixup_f64 v[132:133], v[132:133], v[130:131], 1.0
	v_mul_f64 v[130:131], v[145:146], v[132:133]
	v_xor_b32_e32 v133, 0x80000000, v133
.LBB62_217:
	s_andn2_saveexec_b32 s1, s1
	s_cbranch_execz .LBB62_219
; %bb.218:
	v_div_scale_f64 v[145:146], null, v[130:131], v[130:131], v[132:133]
	v_div_scale_f64 v[151:152], vcc_lo, v[132:133], v[130:131], v[132:133]
	v_rcp_f64_e32 v[147:148], v[145:146]
	v_fma_f64 v[149:150], -v[145:146], v[147:148], 1.0
	v_fma_f64 v[147:148], v[147:148], v[149:150], v[147:148]
	v_fma_f64 v[149:150], -v[145:146], v[147:148], 1.0
	v_fma_f64 v[147:148], v[147:148], v[149:150], v[147:148]
	v_mul_f64 v[149:150], v[151:152], v[147:148]
	v_fma_f64 v[145:146], -v[145:146], v[149:150], v[151:152]
	v_div_fmas_f64 v[145:146], v[145:146], v[147:148], v[149:150]
	v_div_fixup_f64 v[145:146], v[145:146], v[130:131], v[132:133]
	v_fma_f64 v[130:131], v[132:133], v[145:146], v[130:131]
	v_div_scale_f64 v[132:133], null, v[130:131], v[130:131], 1.0
	v_rcp_f64_e32 v[147:148], v[132:133]
	v_fma_f64 v[149:150], -v[132:133], v[147:148], 1.0
	v_fma_f64 v[147:148], v[147:148], v[149:150], v[147:148]
	v_fma_f64 v[149:150], -v[132:133], v[147:148], 1.0
	v_fma_f64 v[147:148], v[147:148], v[149:150], v[147:148]
	v_div_scale_f64 v[149:150], vcc_lo, 1.0, v[130:131], 1.0
	v_mul_f64 v[151:152], v[149:150], v[147:148]
	v_fma_f64 v[132:133], -v[132:133], v[151:152], v[149:150]
	v_div_fmas_f64 v[132:133], v[132:133], v[147:148], v[151:152]
	v_div_fixup_f64 v[130:131], v[132:133], v[130:131], 1.0
	v_mul_f64 v[132:133], v[145:146], -v[130:131]
.LBB62_219:
	s_or_b32 exec_lo, exec_lo, s1
.LBB62_220:
	s_or_b32 exec_lo, exec_lo, s0
	s_mov_b32 s0, exec_lo
	v_cmpx_ne_u32_e64 v144, v138
	s_xor_b32 s0, exec_lo, s0
	s_cbranch_execz .LBB62_226
; %bb.221:
	s_mov_b32 s1, exec_lo
	v_cmpx_eq_u32_e32 10, v144
	s_cbranch_execz .LBB62_225
; %bb.222:
	v_cmp_ne_u32_e32 vcc_lo, 10, v138
	s_xor_b32 s2, s16, -1
	s_and_b32 s3, s2, vcc_lo
	s_and_saveexec_b32 s2, s3
	s_cbranch_execz .LBB62_224
; %bb.223:
	v_ashrrev_i32_e32 v139, 31, v138
	v_lshlrev_b64 v[144:145], 2, v[138:139]
	v_add_co_u32 v144, vcc_lo, v136, v144
	v_add_co_ci_u32_e64 v145, null, v137, v145, vcc_lo
	s_clause 0x1
	global_load_dword v0, v[144:145], off
	global_load_dword v139, v[136:137], off offset:40
	s_waitcnt vmcnt(1)
	global_store_dword v[136:137], v0, off offset:40
	s_waitcnt vmcnt(0)
	global_store_dword v[144:145], v139, off
.LBB62_224:
	s_or_b32 exec_lo, exec_lo, s2
	v_mov_b32_e32 v144, v138
	v_mov_b32_e32 v0, v138
.LBB62_225:
	s_or_b32 exec_lo, exec_lo, s1
.LBB62_226:
	s_andn2_saveexec_b32 s0, s0
	s_cbranch_execz .LBB62_228
; %bb.227:
	v_mov_b32_e32 v144, 10
	ds_write2_b64 v1, v[82:83], v[84:85] offset0:22 offset1:23
	ds_write2_b64 v1, v[78:79], v[80:81] offset0:24 offset1:25
	ds_write2_b64 v1, v[74:75], v[76:77] offset0:26 offset1:27
	ds_write2_b64 v1, v[70:71], v[72:73] offset0:28 offset1:29
	ds_write2_b64 v1, v[66:67], v[68:69] offset0:30 offset1:31
	ds_write2_b64 v1, v[62:63], v[64:65] offset0:32 offset1:33
	ds_write2_b64 v1, v[58:59], v[60:61] offset0:34 offset1:35
	ds_write2_b64 v1, v[54:55], v[56:57] offset0:36 offset1:37
	ds_write2_b64 v1, v[50:51], v[52:53] offset0:38 offset1:39
	ds_write2_b64 v1, v[46:47], v[48:49] offset0:40 offset1:41
	ds_write2_b64 v1, v[42:43], v[44:45] offset0:42 offset1:43
	ds_write2_b64 v1, v[38:39], v[40:41] offset0:44 offset1:45
	ds_write2_b64 v1, v[34:35], v[36:37] offset0:46 offset1:47
	ds_write2_b64 v1, v[30:31], v[32:33] offset0:48 offset1:49
	ds_write2_b64 v1, v[26:27], v[28:29] offset0:50 offset1:51
	ds_write2_b64 v1, v[22:23], v[24:25] offset0:52 offset1:53
	ds_write2_b64 v1, v[18:19], v[20:21] offset0:54 offset1:55
	ds_write2_b64 v1, v[14:15], v[16:17] offset0:56 offset1:57
	ds_write2_b64 v1, v[10:11], v[12:13] offset0:58 offset1:59
	ds_write2_b64 v1, v[6:7], v[8:9] offset0:60 offset1:61
	ds_write2_b64 v1, v[2:3], v[4:5] offset0:62 offset1:63
.LBB62_228:
	s_or_b32 exec_lo, exec_lo, s0
	s_mov_b32 s0, exec_lo
	s_waitcnt lgkmcnt(0)
	s_waitcnt_vscnt null, 0x0
	s_barrier
	buffer_gl0_inv
	v_cmpx_lt_i32_e32 10, v144
	s_cbranch_execz .LBB62_230
; %bb.229:
	v_mul_f64 v[138:139], v[132:133], v[88:89]
	v_mul_f64 v[88:89], v[130:131], v[88:89]
	v_fma_f64 v[138:139], v[130:131], v[86:87], -v[138:139]
	v_fma_f64 v[88:89], v[132:133], v[86:87], v[88:89]
	ds_read2_b64 v[130:133], v1 offset0:22 offset1:23
	s_waitcnt lgkmcnt(0)
	v_mul_f64 v[86:87], v[132:133], v[88:89]
	v_fma_f64 v[86:87], v[130:131], v[138:139], -v[86:87]
	v_mul_f64 v[130:131], v[130:131], v[88:89]
	v_add_f64 v[82:83], v[82:83], -v[86:87]
	v_fma_f64 v[130:131], v[132:133], v[138:139], v[130:131]
	v_add_f64 v[84:85], v[84:85], -v[130:131]
	ds_read2_b64 v[130:133], v1 offset0:24 offset1:25
	s_waitcnt lgkmcnt(0)
	v_mul_f64 v[86:87], v[132:133], v[88:89]
	v_fma_f64 v[86:87], v[130:131], v[138:139], -v[86:87]
	v_mul_f64 v[130:131], v[130:131], v[88:89]
	v_add_f64 v[78:79], v[78:79], -v[86:87]
	v_fma_f64 v[130:131], v[132:133], v[138:139], v[130:131]
	v_add_f64 v[80:81], v[80:81], -v[130:131]
	ds_read2_b64 v[130:133], v1 offset0:26 offset1:27
	s_waitcnt lgkmcnt(0)
	v_mul_f64 v[86:87], v[132:133], v[88:89]
	v_fma_f64 v[86:87], v[130:131], v[138:139], -v[86:87]
	v_mul_f64 v[130:131], v[130:131], v[88:89]
	v_add_f64 v[74:75], v[74:75], -v[86:87]
	v_fma_f64 v[130:131], v[132:133], v[138:139], v[130:131]
	v_add_f64 v[76:77], v[76:77], -v[130:131]
	ds_read2_b64 v[130:133], v1 offset0:28 offset1:29
	s_waitcnt lgkmcnt(0)
	v_mul_f64 v[86:87], v[132:133], v[88:89]
	v_fma_f64 v[86:87], v[130:131], v[138:139], -v[86:87]
	v_mul_f64 v[130:131], v[130:131], v[88:89]
	v_add_f64 v[70:71], v[70:71], -v[86:87]
	v_fma_f64 v[130:131], v[132:133], v[138:139], v[130:131]
	v_add_f64 v[72:73], v[72:73], -v[130:131]
	ds_read2_b64 v[130:133], v1 offset0:30 offset1:31
	s_waitcnt lgkmcnt(0)
	v_mul_f64 v[86:87], v[132:133], v[88:89]
	v_fma_f64 v[86:87], v[130:131], v[138:139], -v[86:87]
	v_mul_f64 v[130:131], v[130:131], v[88:89]
	v_add_f64 v[66:67], v[66:67], -v[86:87]
	v_fma_f64 v[130:131], v[132:133], v[138:139], v[130:131]
	v_add_f64 v[68:69], v[68:69], -v[130:131]
	ds_read2_b64 v[130:133], v1 offset0:32 offset1:33
	s_waitcnt lgkmcnt(0)
	v_mul_f64 v[86:87], v[132:133], v[88:89]
	v_fma_f64 v[86:87], v[130:131], v[138:139], -v[86:87]
	v_mul_f64 v[130:131], v[130:131], v[88:89]
	v_add_f64 v[62:63], v[62:63], -v[86:87]
	v_fma_f64 v[130:131], v[132:133], v[138:139], v[130:131]
	v_add_f64 v[64:65], v[64:65], -v[130:131]
	ds_read2_b64 v[130:133], v1 offset0:34 offset1:35
	s_waitcnt lgkmcnt(0)
	v_mul_f64 v[86:87], v[132:133], v[88:89]
	v_fma_f64 v[86:87], v[130:131], v[138:139], -v[86:87]
	v_mul_f64 v[130:131], v[130:131], v[88:89]
	v_add_f64 v[58:59], v[58:59], -v[86:87]
	v_fma_f64 v[130:131], v[132:133], v[138:139], v[130:131]
	v_add_f64 v[60:61], v[60:61], -v[130:131]
	ds_read2_b64 v[130:133], v1 offset0:36 offset1:37
	s_waitcnt lgkmcnt(0)
	v_mul_f64 v[86:87], v[132:133], v[88:89]
	v_fma_f64 v[86:87], v[130:131], v[138:139], -v[86:87]
	v_mul_f64 v[130:131], v[130:131], v[88:89]
	v_add_f64 v[54:55], v[54:55], -v[86:87]
	v_fma_f64 v[130:131], v[132:133], v[138:139], v[130:131]
	v_add_f64 v[56:57], v[56:57], -v[130:131]
	ds_read2_b64 v[130:133], v1 offset0:38 offset1:39
	s_waitcnt lgkmcnt(0)
	v_mul_f64 v[86:87], v[132:133], v[88:89]
	v_fma_f64 v[86:87], v[130:131], v[138:139], -v[86:87]
	v_mul_f64 v[130:131], v[130:131], v[88:89]
	v_add_f64 v[50:51], v[50:51], -v[86:87]
	v_fma_f64 v[130:131], v[132:133], v[138:139], v[130:131]
	v_add_f64 v[52:53], v[52:53], -v[130:131]
	ds_read2_b64 v[130:133], v1 offset0:40 offset1:41
	s_waitcnt lgkmcnt(0)
	v_mul_f64 v[86:87], v[132:133], v[88:89]
	v_fma_f64 v[86:87], v[130:131], v[138:139], -v[86:87]
	v_mul_f64 v[130:131], v[130:131], v[88:89]
	v_add_f64 v[46:47], v[46:47], -v[86:87]
	v_fma_f64 v[130:131], v[132:133], v[138:139], v[130:131]
	v_add_f64 v[48:49], v[48:49], -v[130:131]
	ds_read2_b64 v[130:133], v1 offset0:42 offset1:43
	s_waitcnt lgkmcnt(0)
	v_mul_f64 v[86:87], v[132:133], v[88:89]
	v_fma_f64 v[86:87], v[130:131], v[138:139], -v[86:87]
	v_mul_f64 v[130:131], v[130:131], v[88:89]
	v_add_f64 v[42:43], v[42:43], -v[86:87]
	v_fma_f64 v[130:131], v[132:133], v[138:139], v[130:131]
	v_add_f64 v[44:45], v[44:45], -v[130:131]
	ds_read2_b64 v[130:133], v1 offset0:44 offset1:45
	s_waitcnt lgkmcnt(0)
	v_mul_f64 v[86:87], v[132:133], v[88:89]
	v_fma_f64 v[86:87], v[130:131], v[138:139], -v[86:87]
	v_mul_f64 v[130:131], v[130:131], v[88:89]
	v_add_f64 v[38:39], v[38:39], -v[86:87]
	v_fma_f64 v[130:131], v[132:133], v[138:139], v[130:131]
	v_add_f64 v[40:41], v[40:41], -v[130:131]
	ds_read2_b64 v[130:133], v1 offset0:46 offset1:47
	s_waitcnt lgkmcnt(0)
	v_mul_f64 v[86:87], v[132:133], v[88:89]
	v_fma_f64 v[86:87], v[130:131], v[138:139], -v[86:87]
	v_mul_f64 v[130:131], v[130:131], v[88:89]
	v_add_f64 v[34:35], v[34:35], -v[86:87]
	v_fma_f64 v[130:131], v[132:133], v[138:139], v[130:131]
	v_add_f64 v[36:37], v[36:37], -v[130:131]
	ds_read2_b64 v[130:133], v1 offset0:48 offset1:49
	s_waitcnt lgkmcnt(0)
	v_mul_f64 v[86:87], v[132:133], v[88:89]
	v_fma_f64 v[86:87], v[130:131], v[138:139], -v[86:87]
	v_mul_f64 v[130:131], v[130:131], v[88:89]
	v_add_f64 v[30:31], v[30:31], -v[86:87]
	v_fma_f64 v[130:131], v[132:133], v[138:139], v[130:131]
	v_add_f64 v[32:33], v[32:33], -v[130:131]
	ds_read2_b64 v[130:133], v1 offset0:50 offset1:51
	s_waitcnt lgkmcnt(0)
	v_mul_f64 v[86:87], v[132:133], v[88:89]
	v_fma_f64 v[86:87], v[130:131], v[138:139], -v[86:87]
	v_mul_f64 v[130:131], v[130:131], v[88:89]
	v_add_f64 v[26:27], v[26:27], -v[86:87]
	v_fma_f64 v[130:131], v[132:133], v[138:139], v[130:131]
	v_add_f64 v[28:29], v[28:29], -v[130:131]
	ds_read2_b64 v[130:133], v1 offset0:52 offset1:53
	s_waitcnt lgkmcnt(0)
	v_mul_f64 v[86:87], v[132:133], v[88:89]
	v_fma_f64 v[86:87], v[130:131], v[138:139], -v[86:87]
	v_mul_f64 v[130:131], v[130:131], v[88:89]
	v_add_f64 v[22:23], v[22:23], -v[86:87]
	v_fma_f64 v[130:131], v[132:133], v[138:139], v[130:131]
	v_add_f64 v[24:25], v[24:25], -v[130:131]
	ds_read2_b64 v[130:133], v1 offset0:54 offset1:55
	s_waitcnt lgkmcnt(0)
	v_mul_f64 v[86:87], v[132:133], v[88:89]
	v_fma_f64 v[86:87], v[130:131], v[138:139], -v[86:87]
	v_mul_f64 v[130:131], v[130:131], v[88:89]
	v_add_f64 v[18:19], v[18:19], -v[86:87]
	v_fma_f64 v[130:131], v[132:133], v[138:139], v[130:131]
	v_add_f64 v[20:21], v[20:21], -v[130:131]
	ds_read2_b64 v[130:133], v1 offset0:56 offset1:57
	s_waitcnt lgkmcnt(0)
	v_mul_f64 v[86:87], v[132:133], v[88:89]
	v_fma_f64 v[86:87], v[130:131], v[138:139], -v[86:87]
	v_mul_f64 v[130:131], v[130:131], v[88:89]
	v_add_f64 v[14:15], v[14:15], -v[86:87]
	v_fma_f64 v[130:131], v[132:133], v[138:139], v[130:131]
	v_add_f64 v[16:17], v[16:17], -v[130:131]
	ds_read2_b64 v[130:133], v1 offset0:58 offset1:59
	s_waitcnt lgkmcnt(0)
	v_mul_f64 v[86:87], v[132:133], v[88:89]
	v_fma_f64 v[86:87], v[130:131], v[138:139], -v[86:87]
	v_mul_f64 v[130:131], v[130:131], v[88:89]
	v_add_f64 v[10:11], v[10:11], -v[86:87]
	v_fma_f64 v[130:131], v[132:133], v[138:139], v[130:131]
	v_add_f64 v[12:13], v[12:13], -v[130:131]
	ds_read2_b64 v[130:133], v1 offset0:60 offset1:61
	s_waitcnt lgkmcnt(0)
	v_mul_f64 v[86:87], v[132:133], v[88:89]
	v_fma_f64 v[86:87], v[130:131], v[138:139], -v[86:87]
	v_mul_f64 v[130:131], v[130:131], v[88:89]
	v_add_f64 v[6:7], v[6:7], -v[86:87]
	v_fma_f64 v[130:131], v[132:133], v[138:139], v[130:131]
	v_add_f64 v[8:9], v[8:9], -v[130:131]
	ds_read2_b64 v[130:133], v1 offset0:62 offset1:63
	s_waitcnt lgkmcnt(0)
	v_mul_f64 v[86:87], v[132:133], v[88:89]
	v_fma_f64 v[86:87], v[130:131], v[138:139], -v[86:87]
	v_mul_f64 v[130:131], v[130:131], v[88:89]
	v_add_f64 v[2:3], v[2:3], -v[86:87]
	v_fma_f64 v[130:131], v[132:133], v[138:139], v[130:131]
	v_mov_b32_e32 v86, v138
	v_mov_b32_e32 v87, v139
	v_add_f64 v[4:5], v[4:5], -v[130:131]
.LBB62_230:
	s_or_b32 exec_lo, exec_lo, s0
	v_lshl_add_u32 v130, v144, 4, v1
	s_barrier
	buffer_gl0_inv
	v_mov_b32_e32 v138, 11
	ds_write2_b64 v130, v[82:83], v[84:85] offset1:1
	s_waitcnt lgkmcnt(0)
	s_barrier
	buffer_gl0_inv
	ds_read2_b64 v[130:133], v1 offset0:22 offset1:23
	s_cmp_lt_i32 s18, 13
	s_cbranch_scc1 .LBB62_233
; %bb.231:
	v_add3_u32 v139, v140, 0, 0xc0
	v_mov_b32_e32 v138, 11
	s_mov_b32 s1, 12
	s_inst_prefetch 0x1
	.p2align	6
.LBB62_232:                             ; =>This Inner Loop Header: Depth=1
	s_waitcnt lgkmcnt(0)
	v_cmp_gt_f64_e32 vcc_lo, 0, v[132:133]
	v_cmp_gt_f64_e64 s0, 0, v[130:131]
	ds_read2_b64 v[145:148], v139 offset1:1
	v_xor_b32_e32 v150, 0x80000000, v131
	v_xor_b32_e32 v152, 0x80000000, v133
	v_mov_b32_e32 v149, v130
	v_mov_b32_e32 v151, v132
	v_add_nc_u32_e32 v139, 16, v139
	s_waitcnt lgkmcnt(0)
	v_xor_b32_e32 v154, 0x80000000, v148
	v_cndmask_b32_e64 v150, v131, v150, s0
	v_cndmask_b32_e32 v152, v133, v152, vcc_lo
	v_cmp_gt_f64_e32 vcc_lo, 0, v[147:148]
	v_cmp_gt_f64_e64 s0, 0, v[145:146]
	v_mov_b32_e32 v153, v147
	v_add_f64 v[149:150], v[149:150], v[151:152]
	v_xor_b32_e32 v152, 0x80000000, v146
	v_mov_b32_e32 v151, v145
	v_cndmask_b32_e32 v154, v148, v154, vcc_lo
	v_cndmask_b32_e64 v152, v146, v152, s0
	v_add_f64 v[151:152], v[151:152], v[153:154]
	v_cmp_lt_f64_e32 vcc_lo, v[149:150], v[151:152]
	v_cndmask_b32_e32 v131, v131, v146, vcc_lo
	v_cndmask_b32_e32 v130, v130, v145, vcc_lo
	v_cndmask_b32_e32 v133, v133, v148, vcc_lo
	v_cndmask_b32_e32 v132, v132, v147, vcc_lo
	v_cndmask_b32_e64 v138, v138, s1, vcc_lo
	s_add_i32 s1, s1, 1
	s_cmp_lg_u32 s18, s1
	s_cbranch_scc1 .LBB62_232
.LBB62_233:
	s_inst_prefetch 0x2
	s_waitcnt lgkmcnt(0)
	v_cmp_eq_f64_e32 vcc_lo, 0, v[130:131]
	v_cmp_eq_f64_e64 s0, 0, v[132:133]
	s_and_b32 s0, vcc_lo, s0
	s_and_saveexec_b32 s1, s0
	s_xor_b32 s0, exec_lo, s1
; %bb.234:
	v_cmp_ne_u32_e32 vcc_lo, 0, v143
	v_cndmask_b32_e32 v143, 12, v143, vcc_lo
; %bb.235:
	s_andn2_saveexec_b32 s0, s0
	s_cbranch_execz .LBB62_241
; %bb.236:
	v_cmp_ngt_f64_e64 s1, |v[130:131]|, |v[132:133]|
	s_and_saveexec_b32 s2, s1
	s_xor_b32 s1, exec_lo, s2
	s_cbranch_execz .LBB62_238
; %bb.237:
	v_div_scale_f64 v[145:146], null, v[132:133], v[132:133], v[130:131]
	v_div_scale_f64 v[151:152], vcc_lo, v[130:131], v[132:133], v[130:131]
	v_rcp_f64_e32 v[147:148], v[145:146]
	v_fma_f64 v[149:150], -v[145:146], v[147:148], 1.0
	v_fma_f64 v[147:148], v[147:148], v[149:150], v[147:148]
	v_fma_f64 v[149:150], -v[145:146], v[147:148], 1.0
	v_fma_f64 v[147:148], v[147:148], v[149:150], v[147:148]
	v_mul_f64 v[149:150], v[151:152], v[147:148]
	v_fma_f64 v[145:146], -v[145:146], v[149:150], v[151:152]
	v_div_fmas_f64 v[145:146], v[145:146], v[147:148], v[149:150]
	v_div_fixup_f64 v[145:146], v[145:146], v[132:133], v[130:131]
	v_fma_f64 v[130:131], v[130:131], v[145:146], v[132:133]
	v_div_scale_f64 v[132:133], null, v[130:131], v[130:131], 1.0
	v_rcp_f64_e32 v[147:148], v[132:133]
	v_fma_f64 v[149:150], -v[132:133], v[147:148], 1.0
	v_fma_f64 v[147:148], v[147:148], v[149:150], v[147:148]
	v_fma_f64 v[149:150], -v[132:133], v[147:148], 1.0
	v_fma_f64 v[147:148], v[147:148], v[149:150], v[147:148]
	v_div_scale_f64 v[149:150], vcc_lo, 1.0, v[130:131], 1.0
	v_mul_f64 v[151:152], v[149:150], v[147:148]
	v_fma_f64 v[132:133], -v[132:133], v[151:152], v[149:150]
	v_div_fmas_f64 v[132:133], v[132:133], v[147:148], v[151:152]
	v_div_fixup_f64 v[132:133], v[132:133], v[130:131], 1.0
	v_mul_f64 v[130:131], v[145:146], v[132:133]
	v_xor_b32_e32 v133, 0x80000000, v133
.LBB62_238:
	s_andn2_saveexec_b32 s1, s1
	s_cbranch_execz .LBB62_240
; %bb.239:
	v_div_scale_f64 v[145:146], null, v[130:131], v[130:131], v[132:133]
	v_div_scale_f64 v[151:152], vcc_lo, v[132:133], v[130:131], v[132:133]
	v_rcp_f64_e32 v[147:148], v[145:146]
	v_fma_f64 v[149:150], -v[145:146], v[147:148], 1.0
	v_fma_f64 v[147:148], v[147:148], v[149:150], v[147:148]
	v_fma_f64 v[149:150], -v[145:146], v[147:148], 1.0
	v_fma_f64 v[147:148], v[147:148], v[149:150], v[147:148]
	v_mul_f64 v[149:150], v[151:152], v[147:148]
	v_fma_f64 v[145:146], -v[145:146], v[149:150], v[151:152]
	v_div_fmas_f64 v[145:146], v[145:146], v[147:148], v[149:150]
	v_div_fixup_f64 v[145:146], v[145:146], v[130:131], v[132:133]
	v_fma_f64 v[130:131], v[132:133], v[145:146], v[130:131]
	v_div_scale_f64 v[132:133], null, v[130:131], v[130:131], 1.0
	v_rcp_f64_e32 v[147:148], v[132:133]
	v_fma_f64 v[149:150], -v[132:133], v[147:148], 1.0
	v_fma_f64 v[147:148], v[147:148], v[149:150], v[147:148]
	v_fma_f64 v[149:150], -v[132:133], v[147:148], 1.0
	v_fma_f64 v[147:148], v[147:148], v[149:150], v[147:148]
	v_div_scale_f64 v[149:150], vcc_lo, 1.0, v[130:131], 1.0
	v_mul_f64 v[151:152], v[149:150], v[147:148]
	v_fma_f64 v[132:133], -v[132:133], v[151:152], v[149:150]
	v_div_fmas_f64 v[132:133], v[132:133], v[147:148], v[151:152]
	v_div_fixup_f64 v[130:131], v[132:133], v[130:131], 1.0
	v_mul_f64 v[132:133], v[145:146], -v[130:131]
.LBB62_240:
	s_or_b32 exec_lo, exec_lo, s1
.LBB62_241:
	s_or_b32 exec_lo, exec_lo, s0
	s_mov_b32 s0, exec_lo
	v_cmpx_ne_u32_e64 v144, v138
	s_xor_b32 s0, exec_lo, s0
	s_cbranch_execz .LBB62_247
; %bb.242:
	s_mov_b32 s1, exec_lo
	v_cmpx_eq_u32_e32 11, v144
	s_cbranch_execz .LBB62_246
; %bb.243:
	v_cmp_ne_u32_e32 vcc_lo, 11, v138
	s_xor_b32 s2, s16, -1
	s_and_b32 s3, s2, vcc_lo
	s_and_saveexec_b32 s2, s3
	s_cbranch_execz .LBB62_245
; %bb.244:
	v_ashrrev_i32_e32 v139, 31, v138
	v_lshlrev_b64 v[144:145], 2, v[138:139]
	v_add_co_u32 v144, vcc_lo, v136, v144
	v_add_co_ci_u32_e64 v145, null, v137, v145, vcc_lo
	s_clause 0x1
	global_load_dword v0, v[144:145], off
	global_load_dword v139, v[136:137], off offset:44
	s_waitcnt vmcnt(1)
	global_store_dword v[136:137], v0, off offset:44
	s_waitcnt vmcnt(0)
	global_store_dword v[144:145], v139, off
.LBB62_245:
	s_or_b32 exec_lo, exec_lo, s2
	v_mov_b32_e32 v144, v138
	v_mov_b32_e32 v0, v138
.LBB62_246:
	s_or_b32 exec_lo, exec_lo, s1
.LBB62_247:
	s_andn2_saveexec_b32 s0, s0
	s_cbranch_execz .LBB62_249
; %bb.248:
	v_mov_b32_e32 v144, 11
	ds_write2_b64 v1, v[78:79], v[80:81] offset0:24 offset1:25
	ds_write2_b64 v1, v[74:75], v[76:77] offset0:26 offset1:27
	;; [unrolled: 1-line block ×20, first 2 shown]
.LBB62_249:
	s_or_b32 exec_lo, exec_lo, s0
	s_mov_b32 s0, exec_lo
	s_waitcnt lgkmcnt(0)
	s_waitcnt_vscnt null, 0x0
	s_barrier
	buffer_gl0_inv
	v_cmpx_lt_i32_e32 11, v144
	s_cbranch_execz .LBB62_251
; %bb.250:
	v_mul_f64 v[138:139], v[132:133], v[84:85]
	v_mul_f64 v[84:85], v[130:131], v[84:85]
	v_fma_f64 v[138:139], v[130:131], v[82:83], -v[138:139]
	v_fma_f64 v[84:85], v[132:133], v[82:83], v[84:85]
	ds_read2_b64 v[130:133], v1 offset0:24 offset1:25
	s_waitcnt lgkmcnt(0)
	v_mul_f64 v[82:83], v[132:133], v[84:85]
	v_fma_f64 v[82:83], v[130:131], v[138:139], -v[82:83]
	v_mul_f64 v[130:131], v[130:131], v[84:85]
	v_add_f64 v[78:79], v[78:79], -v[82:83]
	v_fma_f64 v[130:131], v[132:133], v[138:139], v[130:131]
	v_add_f64 v[80:81], v[80:81], -v[130:131]
	ds_read2_b64 v[130:133], v1 offset0:26 offset1:27
	s_waitcnt lgkmcnt(0)
	v_mul_f64 v[82:83], v[132:133], v[84:85]
	v_fma_f64 v[82:83], v[130:131], v[138:139], -v[82:83]
	v_mul_f64 v[130:131], v[130:131], v[84:85]
	v_add_f64 v[74:75], v[74:75], -v[82:83]
	v_fma_f64 v[130:131], v[132:133], v[138:139], v[130:131]
	v_add_f64 v[76:77], v[76:77], -v[130:131]
	;; [unrolled: 8-line block ×19, first 2 shown]
	ds_read2_b64 v[130:133], v1 offset0:62 offset1:63
	s_waitcnt lgkmcnt(0)
	v_mul_f64 v[82:83], v[132:133], v[84:85]
	v_fma_f64 v[82:83], v[130:131], v[138:139], -v[82:83]
	v_mul_f64 v[130:131], v[130:131], v[84:85]
	v_add_f64 v[2:3], v[2:3], -v[82:83]
	v_fma_f64 v[130:131], v[132:133], v[138:139], v[130:131]
	v_mov_b32_e32 v82, v138
	v_mov_b32_e32 v83, v139
	v_add_f64 v[4:5], v[4:5], -v[130:131]
.LBB62_251:
	s_or_b32 exec_lo, exec_lo, s0
	v_lshl_add_u32 v130, v144, 4, v1
	s_barrier
	buffer_gl0_inv
	v_mov_b32_e32 v138, 12
	ds_write2_b64 v130, v[78:79], v[80:81] offset1:1
	s_waitcnt lgkmcnt(0)
	s_barrier
	buffer_gl0_inv
	ds_read2_b64 v[130:133], v1 offset0:24 offset1:25
	s_cmp_lt_i32 s18, 14
	s_cbranch_scc1 .LBB62_254
; %bb.252:
	v_add3_u32 v139, v140, 0, 0xd0
	v_mov_b32_e32 v138, 12
	s_mov_b32 s1, 13
	s_inst_prefetch 0x1
	.p2align	6
.LBB62_253:                             ; =>This Inner Loop Header: Depth=1
	s_waitcnt lgkmcnt(0)
	v_cmp_gt_f64_e32 vcc_lo, 0, v[132:133]
	v_cmp_gt_f64_e64 s0, 0, v[130:131]
	ds_read2_b64 v[145:148], v139 offset1:1
	v_xor_b32_e32 v150, 0x80000000, v131
	v_xor_b32_e32 v152, 0x80000000, v133
	v_mov_b32_e32 v149, v130
	v_mov_b32_e32 v151, v132
	v_add_nc_u32_e32 v139, 16, v139
	s_waitcnt lgkmcnt(0)
	v_xor_b32_e32 v154, 0x80000000, v148
	v_cndmask_b32_e64 v150, v131, v150, s0
	v_cndmask_b32_e32 v152, v133, v152, vcc_lo
	v_cmp_gt_f64_e32 vcc_lo, 0, v[147:148]
	v_cmp_gt_f64_e64 s0, 0, v[145:146]
	v_mov_b32_e32 v153, v147
	v_add_f64 v[149:150], v[149:150], v[151:152]
	v_xor_b32_e32 v152, 0x80000000, v146
	v_mov_b32_e32 v151, v145
	v_cndmask_b32_e32 v154, v148, v154, vcc_lo
	v_cndmask_b32_e64 v152, v146, v152, s0
	v_add_f64 v[151:152], v[151:152], v[153:154]
	v_cmp_lt_f64_e32 vcc_lo, v[149:150], v[151:152]
	v_cndmask_b32_e32 v131, v131, v146, vcc_lo
	v_cndmask_b32_e32 v130, v130, v145, vcc_lo
	;; [unrolled: 1-line block ×4, first 2 shown]
	v_cndmask_b32_e64 v138, v138, s1, vcc_lo
	s_add_i32 s1, s1, 1
	s_cmp_lg_u32 s18, s1
	s_cbranch_scc1 .LBB62_253
.LBB62_254:
	s_inst_prefetch 0x2
	s_waitcnt lgkmcnt(0)
	v_cmp_eq_f64_e32 vcc_lo, 0, v[130:131]
	v_cmp_eq_f64_e64 s0, 0, v[132:133]
	s_and_b32 s0, vcc_lo, s0
	s_and_saveexec_b32 s1, s0
	s_xor_b32 s0, exec_lo, s1
; %bb.255:
	v_cmp_ne_u32_e32 vcc_lo, 0, v143
	v_cndmask_b32_e32 v143, 13, v143, vcc_lo
; %bb.256:
	s_andn2_saveexec_b32 s0, s0
	s_cbranch_execz .LBB62_262
; %bb.257:
	v_cmp_ngt_f64_e64 s1, |v[130:131]|, |v[132:133]|
	s_and_saveexec_b32 s2, s1
	s_xor_b32 s1, exec_lo, s2
	s_cbranch_execz .LBB62_259
; %bb.258:
	v_div_scale_f64 v[145:146], null, v[132:133], v[132:133], v[130:131]
	v_div_scale_f64 v[151:152], vcc_lo, v[130:131], v[132:133], v[130:131]
	v_rcp_f64_e32 v[147:148], v[145:146]
	v_fma_f64 v[149:150], -v[145:146], v[147:148], 1.0
	v_fma_f64 v[147:148], v[147:148], v[149:150], v[147:148]
	v_fma_f64 v[149:150], -v[145:146], v[147:148], 1.0
	v_fma_f64 v[147:148], v[147:148], v[149:150], v[147:148]
	v_mul_f64 v[149:150], v[151:152], v[147:148]
	v_fma_f64 v[145:146], -v[145:146], v[149:150], v[151:152]
	v_div_fmas_f64 v[145:146], v[145:146], v[147:148], v[149:150]
	v_div_fixup_f64 v[145:146], v[145:146], v[132:133], v[130:131]
	v_fma_f64 v[130:131], v[130:131], v[145:146], v[132:133]
	v_div_scale_f64 v[132:133], null, v[130:131], v[130:131], 1.0
	v_rcp_f64_e32 v[147:148], v[132:133]
	v_fma_f64 v[149:150], -v[132:133], v[147:148], 1.0
	v_fma_f64 v[147:148], v[147:148], v[149:150], v[147:148]
	v_fma_f64 v[149:150], -v[132:133], v[147:148], 1.0
	v_fma_f64 v[147:148], v[147:148], v[149:150], v[147:148]
	v_div_scale_f64 v[149:150], vcc_lo, 1.0, v[130:131], 1.0
	v_mul_f64 v[151:152], v[149:150], v[147:148]
	v_fma_f64 v[132:133], -v[132:133], v[151:152], v[149:150]
	v_div_fmas_f64 v[132:133], v[132:133], v[147:148], v[151:152]
	v_div_fixup_f64 v[132:133], v[132:133], v[130:131], 1.0
	v_mul_f64 v[130:131], v[145:146], v[132:133]
	v_xor_b32_e32 v133, 0x80000000, v133
.LBB62_259:
	s_andn2_saveexec_b32 s1, s1
	s_cbranch_execz .LBB62_261
; %bb.260:
	v_div_scale_f64 v[145:146], null, v[130:131], v[130:131], v[132:133]
	v_div_scale_f64 v[151:152], vcc_lo, v[132:133], v[130:131], v[132:133]
	v_rcp_f64_e32 v[147:148], v[145:146]
	v_fma_f64 v[149:150], -v[145:146], v[147:148], 1.0
	v_fma_f64 v[147:148], v[147:148], v[149:150], v[147:148]
	v_fma_f64 v[149:150], -v[145:146], v[147:148], 1.0
	v_fma_f64 v[147:148], v[147:148], v[149:150], v[147:148]
	v_mul_f64 v[149:150], v[151:152], v[147:148]
	v_fma_f64 v[145:146], -v[145:146], v[149:150], v[151:152]
	v_div_fmas_f64 v[145:146], v[145:146], v[147:148], v[149:150]
	v_div_fixup_f64 v[145:146], v[145:146], v[130:131], v[132:133]
	v_fma_f64 v[130:131], v[132:133], v[145:146], v[130:131]
	v_div_scale_f64 v[132:133], null, v[130:131], v[130:131], 1.0
	v_rcp_f64_e32 v[147:148], v[132:133]
	v_fma_f64 v[149:150], -v[132:133], v[147:148], 1.0
	v_fma_f64 v[147:148], v[147:148], v[149:150], v[147:148]
	v_fma_f64 v[149:150], -v[132:133], v[147:148], 1.0
	v_fma_f64 v[147:148], v[147:148], v[149:150], v[147:148]
	v_div_scale_f64 v[149:150], vcc_lo, 1.0, v[130:131], 1.0
	v_mul_f64 v[151:152], v[149:150], v[147:148]
	v_fma_f64 v[132:133], -v[132:133], v[151:152], v[149:150]
	v_div_fmas_f64 v[132:133], v[132:133], v[147:148], v[151:152]
	v_div_fixup_f64 v[130:131], v[132:133], v[130:131], 1.0
	v_mul_f64 v[132:133], v[145:146], -v[130:131]
.LBB62_261:
	s_or_b32 exec_lo, exec_lo, s1
.LBB62_262:
	s_or_b32 exec_lo, exec_lo, s0
	s_mov_b32 s0, exec_lo
	v_cmpx_ne_u32_e64 v144, v138
	s_xor_b32 s0, exec_lo, s0
	s_cbranch_execz .LBB62_268
; %bb.263:
	s_mov_b32 s1, exec_lo
	v_cmpx_eq_u32_e32 12, v144
	s_cbranch_execz .LBB62_267
; %bb.264:
	v_cmp_ne_u32_e32 vcc_lo, 12, v138
	s_xor_b32 s2, s16, -1
	s_and_b32 s3, s2, vcc_lo
	s_and_saveexec_b32 s2, s3
	s_cbranch_execz .LBB62_266
; %bb.265:
	v_ashrrev_i32_e32 v139, 31, v138
	v_lshlrev_b64 v[144:145], 2, v[138:139]
	v_add_co_u32 v144, vcc_lo, v136, v144
	v_add_co_ci_u32_e64 v145, null, v137, v145, vcc_lo
	s_clause 0x1
	global_load_dword v0, v[144:145], off
	global_load_dword v139, v[136:137], off offset:48
	s_waitcnt vmcnt(1)
	global_store_dword v[136:137], v0, off offset:48
	s_waitcnt vmcnt(0)
	global_store_dword v[144:145], v139, off
.LBB62_266:
	s_or_b32 exec_lo, exec_lo, s2
	v_mov_b32_e32 v144, v138
	v_mov_b32_e32 v0, v138
.LBB62_267:
	s_or_b32 exec_lo, exec_lo, s1
.LBB62_268:
	s_andn2_saveexec_b32 s0, s0
	s_cbranch_execz .LBB62_270
; %bb.269:
	v_mov_b32_e32 v144, 12
	ds_write2_b64 v1, v[74:75], v[76:77] offset0:26 offset1:27
	ds_write2_b64 v1, v[70:71], v[72:73] offset0:28 offset1:29
	;; [unrolled: 1-line block ×19, first 2 shown]
.LBB62_270:
	s_or_b32 exec_lo, exec_lo, s0
	s_mov_b32 s0, exec_lo
	s_waitcnt lgkmcnt(0)
	s_waitcnt_vscnt null, 0x0
	s_barrier
	buffer_gl0_inv
	v_cmpx_lt_i32_e32 12, v144
	s_cbranch_execz .LBB62_272
; %bb.271:
	v_mul_f64 v[138:139], v[132:133], v[80:81]
	v_mul_f64 v[80:81], v[130:131], v[80:81]
	v_fma_f64 v[138:139], v[130:131], v[78:79], -v[138:139]
	v_fma_f64 v[80:81], v[132:133], v[78:79], v[80:81]
	ds_read2_b64 v[130:133], v1 offset0:26 offset1:27
	s_waitcnt lgkmcnt(0)
	v_mul_f64 v[78:79], v[132:133], v[80:81]
	v_fma_f64 v[78:79], v[130:131], v[138:139], -v[78:79]
	v_mul_f64 v[130:131], v[130:131], v[80:81]
	v_add_f64 v[74:75], v[74:75], -v[78:79]
	v_fma_f64 v[130:131], v[132:133], v[138:139], v[130:131]
	v_add_f64 v[76:77], v[76:77], -v[130:131]
	ds_read2_b64 v[130:133], v1 offset0:28 offset1:29
	s_waitcnt lgkmcnt(0)
	v_mul_f64 v[78:79], v[132:133], v[80:81]
	v_fma_f64 v[78:79], v[130:131], v[138:139], -v[78:79]
	v_mul_f64 v[130:131], v[130:131], v[80:81]
	v_add_f64 v[70:71], v[70:71], -v[78:79]
	v_fma_f64 v[130:131], v[132:133], v[138:139], v[130:131]
	v_add_f64 v[72:73], v[72:73], -v[130:131]
	;; [unrolled: 8-line block ×18, first 2 shown]
	ds_read2_b64 v[130:133], v1 offset0:62 offset1:63
	s_waitcnt lgkmcnt(0)
	v_mul_f64 v[78:79], v[132:133], v[80:81]
	v_fma_f64 v[78:79], v[130:131], v[138:139], -v[78:79]
	v_mul_f64 v[130:131], v[130:131], v[80:81]
	v_add_f64 v[2:3], v[2:3], -v[78:79]
	v_fma_f64 v[130:131], v[132:133], v[138:139], v[130:131]
	v_mov_b32_e32 v78, v138
	v_mov_b32_e32 v79, v139
	v_add_f64 v[4:5], v[4:5], -v[130:131]
.LBB62_272:
	s_or_b32 exec_lo, exec_lo, s0
	v_lshl_add_u32 v130, v144, 4, v1
	s_barrier
	buffer_gl0_inv
	v_mov_b32_e32 v138, 13
	ds_write2_b64 v130, v[74:75], v[76:77] offset1:1
	s_waitcnt lgkmcnt(0)
	s_barrier
	buffer_gl0_inv
	ds_read2_b64 v[130:133], v1 offset0:26 offset1:27
	s_cmp_lt_i32 s18, 15
	s_cbranch_scc1 .LBB62_275
; %bb.273:
	v_add3_u32 v139, v140, 0, 0xe0
	v_mov_b32_e32 v138, 13
	s_mov_b32 s1, 14
	s_inst_prefetch 0x1
	.p2align	6
.LBB62_274:                             ; =>This Inner Loop Header: Depth=1
	s_waitcnt lgkmcnt(0)
	v_cmp_gt_f64_e32 vcc_lo, 0, v[132:133]
	v_cmp_gt_f64_e64 s0, 0, v[130:131]
	ds_read2_b64 v[145:148], v139 offset1:1
	v_xor_b32_e32 v150, 0x80000000, v131
	v_xor_b32_e32 v152, 0x80000000, v133
	v_mov_b32_e32 v149, v130
	v_mov_b32_e32 v151, v132
	v_add_nc_u32_e32 v139, 16, v139
	s_waitcnt lgkmcnt(0)
	v_xor_b32_e32 v154, 0x80000000, v148
	v_cndmask_b32_e64 v150, v131, v150, s0
	v_cndmask_b32_e32 v152, v133, v152, vcc_lo
	v_cmp_gt_f64_e32 vcc_lo, 0, v[147:148]
	v_cmp_gt_f64_e64 s0, 0, v[145:146]
	v_mov_b32_e32 v153, v147
	v_add_f64 v[149:150], v[149:150], v[151:152]
	v_xor_b32_e32 v152, 0x80000000, v146
	v_mov_b32_e32 v151, v145
	v_cndmask_b32_e32 v154, v148, v154, vcc_lo
	v_cndmask_b32_e64 v152, v146, v152, s0
	v_add_f64 v[151:152], v[151:152], v[153:154]
	v_cmp_lt_f64_e32 vcc_lo, v[149:150], v[151:152]
	v_cndmask_b32_e32 v131, v131, v146, vcc_lo
	v_cndmask_b32_e32 v130, v130, v145, vcc_lo
	;; [unrolled: 1-line block ×4, first 2 shown]
	v_cndmask_b32_e64 v138, v138, s1, vcc_lo
	s_add_i32 s1, s1, 1
	s_cmp_lg_u32 s18, s1
	s_cbranch_scc1 .LBB62_274
.LBB62_275:
	s_inst_prefetch 0x2
	s_waitcnt lgkmcnt(0)
	v_cmp_eq_f64_e32 vcc_lo, 0, v[130:131]
	v_cmp_eq_f64_e64 s0, 0, v[132:133]
	s_and_b32 s0, vcc_lo, s0
	s_and_saveexec_b32 s1, s0
	s_xor_b32 s0, exec_lo, s1
; %bb.276:
	v_cmp_ne_u32_e32 vcc_lo, 0, v143
	v_cndmask_b32_e32 v143, 14, v143, vcc_lo
; %bb.277:
	s_andn2_saveexec_b32 s0, s0
	s_cbranch_execz .LBB62_283
; %bb.278:
	v_cmp_ngt_f64_e64 s1, |v[130:131]|, |v[132:133]|
	s_and_saveexec_b32 s2, s1
	s_xor_b32 s1, exec_lo, s2
	s_cbranch_execz .LBB62_280
; %bb.279:
	v_div_scale_f64 v[145:146], null, v[132:133], v[132:133], v[130:131]
	v_div_scale_f64 v[151:152], vcc_lo, v[130:131], v[132:133], v[130:131]
	v_rcp_f64_e32 v[147:148], v[145:146]
	v_fma_f64 v[149:150], -v[145:146], v[147:148], 1.0
	v_fma_f64 v[147:148], v[147:148], v[149:150], v[147:148]
	v_fma_f64 v[149:150], -v[145:146], v[147:148], 1.0
	v_fma_f64 v[147:148], v[147:148], v[149:150], v[147:148]
	v_mul_f64 v[149:150], v[151:152], v[147:148]
	v_fma_f64 v[145:146], -v[145:146], v[149:150], v[151:152]
	v_div_fmas_f64 v[145:146], v[145:146], v[147:148], v[149:150]
	v_div_fixup_f64 v[145:146], v[145:146], v[132:133], v[130:131]
	v_fma_f64 v[130:131], v[130:131], v[145:146], v[132:133]
	v_div_scale_f64 v[132:133], null, v[130:131], v[130:131], 1.0
	v_rcp_f64_e32 v[147:148], v[132:133]
	v_fma_f64 v[149:150], -v[132:133], v[147:148], 1.0
	v_fma_f64 v[147:148], v[147:148], v[149:150], v[147:148]
	v_fma_f64 v[149:150], -v[132:133], v[147:148], 1.0
	v_fma_f64 v[147:148], v[147:148], v[149:150], v[147:148]
	v_div_scale_f64 v[149:150], vcc_lo, 1.0, v[130:131], 1.0
	v_mul_f64 v[151:152], v[149:150], v[147:148]
	v_fma_f64 v[132:133], -v[132:133], v[151:152], v[149:150]
	v_div_fmas_f64 v[132:133], v[132:133], v[147:148], v[151:152]
	v_div_fixup_f64 v[132:133], v[132:133], v[130:131], 1.0
	v_mul_f64 v[130:131], v[145:146], v[132:133]
	v_xor_b32_e32 v133, 0x80000000, v133
.LBB62_280:
	s_andn2_saveexec_b32 s1, s1
	s_cbranch_execz .LBB62_282
; %bb.281:
	v_div_scale_f64 v[145:146], null, v[130:131], v[130:131], v[132:133]
	v_div_scale_f64 v[151:152], vcc_lo, v[132:133], v[130:131], v[132:133]
	v_rcp_f64_e32 v[147:148], v[145:146]
	v_fma_f64 v[149:150], -v[145:146], v[147:148], 1.0
	v_fma_f64 v[147:148], v[147:148], v[149:150], v[147:148]
	v_fma_f64 v[149:150], -v[145:146], v[147:148], 1.0
	v_fma_f64 v[147:148], v[147:148], v[149:150], v[147:148]
	v_mul_f64 v[149:150], v[151:152], v[147:148]
	v_fma_f64 v[145:146], -v[145:146], v[149:150], v[151:152]
	v_div_fmas_f64 v[145:146], v[145:146], v[147:148], v[149:150]
	v_div_fixup_f64 v[145:146], v[145:146], v[130:131], v[132:133]
	v_fma_f64 v[130:131], v[132:133], v[145:146], v[130:131]
	v_div_scale_f64 v[132:133], null, v[130:131], v[130:131], 1.0
	v_rcp_f64_e32 v[147:148], v[132:133]
	v_fma_f64 v[149:150], -v[132:133], v[147:148], 1.0
	v_fma_f64 v[147:148], v[147:148], v[149:150], v[147:148]
	v_fma_f64 v[149:150], -v[132:133], v[147:148], 1.0
	v_fma_f64 v[147:148], v[147:148], v[149:150], v[147:148]
	v_div_scale_f64 v[149:150], vcc_lo, 1.0, v[130:131], 1.0
	v_mul_f64 v[151:152], v[149:150], v[147:148]
	v_fma_f64 v[132:133], -v[132:133], v[151:152], v[149:150]
	v_div_fmas_f64 v[132:133], v[132:133], v[147:148], v[151:152]
	v_div_fixup_f64 v[130:131], v[132:133], v[130:131], 1.0
	v_mul_f64 v[132:133], v[145:146], -v[130:131]
.LBB62_282:
	s_or_b32 exec_lo, exec_lo, s1
.LBB62_283:
	s_or_b32 exec_lo, exec_lo, s0
	s_mov_b32 s0, exec_lo
	v_cmpx_ne_u32_e64 v144, v138
	s_xor_b32 s0, exec_lo, s0
	s_cbranch_execz .LBB62_289
; %bb.284:
	s_mov_b32 s1, exec_lo
	v_cmpx_eq_u32_e32 13, v144
	s_cbranch_execz .LBB62_288
; %bb.285:
	v_cmp_ne_u32_e32 vcc_lo, 13, v138
	s_xor_b32 s2, s16, -1
	s_and_b32 s3, s2, vcc_lo
	s_and_saveexec_b32 s2, s3
	s_cbranch_execz .LBB62_287
; %bb.286:
	v_ashrrev_i32_e32 v139, 31, v138
	v_lshlrev_b64 v[144:145], 2, v[138:139]
	v_add_co_u32 v144, vcc_lo, v136, v144
	v_add_co_ci_u32_e64 v145, null, v137, v145, vcc_lo
	s_clause 0x1
	global_load_dword v0, v[144:145], off
	global_load_dword v139, v[136:137], off offset:52
	s_waitcnt vmcnt(1)
	global_store_dword v[136:137], v0, off offset:52
	s_waitcnt vmcnt(0)
	global_store_dword v[144:145], v139, off
.LBB62_287:
	s_or_b32 exec_lo, exec_lo, s2
	v_mov_b32_e32 v144, v138
	v_mov_b32_e32 v0, v138
.LBB62_288:
	s_or_b32 exec_lo, exec_lo, s1
.LBB62_289:
	s_andn2_saveexec_b32 s0, s0
	s_cbranch_execz .LBB62_291
; %bb.290:
	v_mov_b32_e32 v144, 13
	ds_write2_b64 v1, v[70:71], v[72:73] offset0:28 offset1:29
	ds_write2_b64 v1, v[66:67], v[68:69] offset0:30 offset1:31
	ds_write2_b64 v1, v[62:63], v[64:65] offset0:32 offset1:33
	ds_write2_b64 v1, v[58:59], v[60:61] offset0:34 offset1:35
	ds_write2_b64 v1, v[54:55], v[56:57] offset0:36 offset1:37
	ds_write2_b64 v1, v[50:51], v[52:53] offset0:38 offset1:39
	ds_write2_b64 v1, v[46:47], v[48:49] offset0:40 offset1:41
	ds_write2_b64 v1, v[42:43], v[44:45] offset0:42 offset1:43
	ds_write2_b64 v1, v[38:39], v[40:41] offset0:44 offset1:45
	ds_write2_b64 v1, v[34:35], v[36:37] offset0:46 offset1:47
	ds_write2_b64 v1, v[30:31], v[32:33] offset0:48 offset1:49
	ds_write2_b64 v1, v[26:27], v[28:29] offset0:50 offset1:51
	ds_write2_b64 v1, v[22:23], v[24:25] offset0:52 offset1:53
	ds_write2_b64 v1, v[18:19], v[20:21] offset0:54 offset1:55
	ds_write2_b64 v1, v[14:15], v[16:17] offset0:56 offset1:57
	ds_write2_b64 v1, v[10:11], v[12:13] offset0:58 offset1:59
	ds_write2_b64 v1, v[6:7], v[8:9] offset0:60 offset1:61
	ds_write2_b64 v1, v[2:3], v[4:5] offset0:62 offset1:63
.LBB62_291:
	s_or_b32 exec_lo, exec_lo, s0
	s_mov_b32 s0, exec_lo
	s_waitcnt lgkmcnt(0)
	s_waitcnt_vscnt null, 0x0
	s_barrier
	buffer_gl0_inv
	v_cmpx_lt_i32_e32 13, v144
	s_cbranch_execz .LBB62_293
; %bb.292:
	v_mul_f64 v[138:139], v[132:133], v[76:77]
	v_mul_f64 v[76:77], v[130:131], v[76:77]
	v_fma_f64 v[138:139], v[130:131], v[74:75], -v[138:139]
	v_fma_f64 v[76:77], v[132:133], v[74:75], v[76:77]
	ds_read2_b64 v[130:133], v1 offset0:28 offset1:29
	s_waitcnt lgkmcnt(0)
	v_mul_f64 v[74:75], v[132:133], v[76:77]
	v_fma_f64 v[74:75], v[130:131], v[138:139], -v[74:75]
	v_mul_f64 v[130:131], v[130:131], v[76:77]
	v_add_f64 v[70:71], v[70:71], -v[74:75]
	v_fma_f64 v[130:131], v[132:133], v[138:139], v[130:131]
	v_add_f64 v[72:73], v[72:73], -v[130:131]
	ds_read2_b64 v[130:133], v1 offset0:30 offset1:31
	s_waitcnt lgkmcnt(0)
	v_mul_f64 v[74:75], v[132:133], v[76:77]
	v_fma_f64 v[74:75], v[130:131], v[138:139], -v[74:75]
	v_mul_f64 v[130:131], v[130:131], v[76:77]
	v_add_f64 v[66:67], v[66:67], -v[74:75]
	v_fma_f64 v[130:131], v[132:133], v[138:139], v[130:131]
	v_add_f64 v[68:69], v[68:69], -v[130:131]
	;; [unrolled: 8-line block ×17, first 2 shown]
	ds_read2_b64 v[130:133], v1 offset0:62 offset1:63
	s_waitcnt lgkmcnt(0)
	v_mul_f64 v[74:75], v[132:133], v[76:77]
	v_fma_f64 v[74:75], v[130:131], v[138:139], -v[74:75]
	v_mul_f64 v[130:131], v[130:131], v[76:77]
	v_add_f64 v[2:3], v[2:3], -v[74:75]
	v_fma_f64 v[130:131], v[132:133], v[138:139], v[130:131]
	v_mov_b32_e32 v74, v138
	v_mov_b32_e32 v75, v139
	v_add_f64 v[4:5], v[4:5], -v[130:131]
.LBB62_293:
	s_or_b32 exec_lo, exec_lo, s0
	v_lshl_add_u32 v130, v144, 4, v1
	s_barrier
	buffer_gl0_inv
	v_mov_b32_e32 v138, 14
	ds_write2_b64 v130, v[70:71], v[72:73] offset1:1
	s_waitcnt lgkmcnt(0)
	s_barrier
	buffer_gl0_inv
	ds_read2_b64 v[130:133], v1 offset0:28 offset1:29
	s_cmp_lt_i32 s18, 16
	s_cbranch_scc1 .LBB62_296
; %bb.294:
	v_add3_u32 v139, v140, 0, 0xf0
	v_mov_b32_e32 v138, 14
	s_mov_b32 s1, 15
	s_inst_prefetch 0x1
	.p2align	6
.LBB62_295:                             ; =>This Inner Loop Header: Depth=1
	s_waitcnt lgkmcnt(0)
	v_cmp_gt_f64_e32 vcc_lo, 0, v[132:133]
	v_cmp_gt_f64_e64 s0, 0, v[130:131]
	ds_read2_b64 v[145:148], v139 offset1:1
	v_xor_b32_e32 v150, 0x80000000, v131
	v_xor_b32_e32 v152, 0x80000000, v133
	v_mov_b32_e32 v149, v130
	v_mov_b32_e32 v151, v132
	v_add_nc_u32_e32 v139, 16, v139
	s_waitcnt lgkmcnt(0)
	v_xor_b32_e32 v154, 0x80000000, v148
	v_cndmask_b32_e64 v150, v131, v150, s0
	v_cndmask_b32_e32 v152, v133, v152, vcc_lo
	v_cmp_gt_f64_e32 vcc_lo, 0, v[147:148]
	v_cmp_gt_f64_e64 s0, 0, v[145:146]
	v_mov_b32_e32 v153, v147
	v_add_f64 v[149:150], v[149:150], v[151:152]
	v_xor_b32_e32 v152, 0x80000000, v146
	v_mov_b32_e32 v151, v145
	v_cndmask_b32_e32 v154, v148, v154, vcc_lo
	v_cndmask_b32_e64 v152, v146, v152, s0
	v_add_f64 v[151:152], v[151:152], v[153:154]
	v_cmp_lt_f64_e32 vcc_lo, v[149:150], v[151:152]
	v_cndmask_b32_e32 v131, v131, v146, vcc_lo
	v_cndmask_b32_e32 v130, v130, v145, vcc_lo
	;; [unrolled: 1-line block ×4, first 2 shown]
	v_cndmask_b32_e64 v138, v138, s1, vcc_lo
	s_add_i32 s1, s1, 1
	s_cmp_lg_u32 s18, s1
	s_cbranch_scc1 .LBB62_295
.LBB62_296:
	s_inst_prefetch 0x2
	s_waitcnt lgkmcnt(0)
	v_cmp_eq_f64_e32 vcc_lo, 0, v[130:131]
	v_cmp_eq_f64_e64 s0, 0, v[132:133]
	s_and_b32 s0, vcc_lo, s0
	s_and_saveexec_b32 s1, s0
	s_xor_b32 s0, exec_lo, s1
; %bb.297:
	v_cmp_ne_u32_e32 vcc_lo, 0, v143
	v_cndmask_b32_e32 v143, 15, v143, vcc_lo
; %bb.298:
	s_andn2_saveexec_b32 s0, s0
	s_cbranch_execz .LBB62_304
; %bb.299:
	v_cmp_ngt_f64_e64 s1, |v[130:131]|, |v[132:133]|
	s_and_saveexec_b32 s2, s1
	s_xor_b32 s1, exec_lo, s2
	s_cbranch_execz .LBB62_301
; %bb.300:
	v_div_scale_f64 v[145:146], null, v[132:133], v[132:133], v[130:131]
	v_div_scale_f64 v[151:152], vcc_lo, v[130:131], v[132:133], v[130:131]
	v_rcp_f64_e32 v[147:148], v[145:146]
	v_fma_f64 v[149:150], -v[145:146], v[147:148], 1.0
	v_fma_f64 v[147:148], v[147:148], v[149:150], v[147:148]
	v_fma_f64 v[149:150], -v[145:146], v[147:148], 1.0
	v_fma_f64 v[147:148], v[147:148], v[149:150], v[147:148]
	v_mul_f64 v[149:150], v[151:152], v[147:148]
	v_fma_f64 v[145:146], -v[145:146], v[149:150], v[151:152]
	v_div_fmas_f64 v[145:146], v[145:146], v[147:148], v[149:150]
	v_div_fixup_f64 v[145:146], v[145:146], v[132:133], v[130:131]
	v_fma_f64 v[130:131], v[130:131], v[145:146], v[132:133]
	v_div_scale_f64 v[132:133], null, v[130:131], v[130:131], 1.0
	v_rcp_f64_e32 v[147:148], v[132:133]
	v_fma_f64 v[149:150], -v[132:133], v[147:148], 1.0
	v_fma_f64 v[147:148], v[147:148], v[149:150], v[147:148]
	v_fma_f64 v[149:150], -v[132:133], v[147:148], 1.0
	v_fma_f64 v[147:148], v[147:148], v[149:150], v[147:148]
	v_div_scale_f64 v[149:150], vcc_lo, 1.0, v[130:131], 1.0
	v_mul_f64 v[151:152], v[149:150], v[147:148]
	v_fma_f64 v[132:133], -v[132:133], v[151:152], v[149:150]
	v_div_fmas_f64 v[132:133], v[132:133], v[147:148], v[151:152]
	v_div_fixup_f64 v[132:133], v[132:133], v[130:131], 1.0
	v_mul_f64 v[130:131], v[145:146], v[132:133]
	v_xor_b32_e32 v133, 0x80000000, v133
.LBB62_301:
	s_andn2_saveexec_b32 s1, s1
	s_cbranch_execz .LBB62_303
; %bb.302:
	v_div_scale_f64 v[145:146], null, v[130:131], v[130:131], v[132:133]
	v_div_scale_f64 v[151:152], vcc_lo, v[132:133], v[130:131], v[132:133]
	v_rcp_f64_e32 v[147:148], v[145:146]
	v_fma_f64 v[149:150], -v[145:146], v[147:148], 1.0
	v_fma_f64 v[147:148], v[147:148], v[149:150], v[147:148]
	v_fma_f64 v[149:150], -v[145:146], v[147:148], 1.0
	v_fma_f64 v[147:148], v[147:148], v[149:150], v[147:148]
	v_mul_f64 v[149:150], v[151:152], v[147:148]
	v_fma_f64 v[145:146], -v[145:146], v[149:150], v[151:152]
	v_div_fmas_f64 v[145:146], v[145:146], v[147:148], v[149:150]
	v_div_fixup_f64 v[145:146], v[145:146], v[130:131], v[132:133]
	v_fma_f64 v[130:131], v[132:133], v[145:146], v[130:131]
	v_div_scale_f64 v[132:133], null, v[130:131], v[130:131], 1.0
	v_rcp_f64_e32 v[147:148], v[132:133]
	v_fma_f64 v[149:150], -v[132:133], v[147:148], 1.0
	v_fma_f64 v[147:148], v[147:148], v[149:150], v[147:148]
	v_fma_f64 v[149:150], -v[132:133], v[147:148], 1.0
	v_fma_f64 v[147:148], v[147:148], v[149:150], v[147:148]
	v_div_scale_f64 v[149:150], vcc_lo, 1.0, v[130:131], 1.0
	v_mul_f64 v[151:152], v[149:150], v[147:148]
	v_fma_f64 v[132:133], -v[132:133], v[151:152], v[149:150]
	v_div_fmas_f64 v[132:133], v[132:133], v[147:148], v[151:152]
	v_div_fixup_f64 v[130:131], v[132:133], v[130:131], 1.0
	v_mul_f64 v[132:133], v[145:146], -v[130:131]
.LBB62_303:
	s_or_b32 exec_lo, exec_lo, s1
.LBB62_304:
	s_or_b32 exec_lo, exec_lo, s0
	s_mov_b32 s0, exec_lo
	v_cmpx_ne_u32_e64 v144, v138
	s_xor_b32 s0, exec_lo, s0
	s_cbranch_execz .LBB62_310
; %bb.305:
	s_mov_b32 s1, exec_lo
	v_cmpx_eq_u32_e32 14, v144
	s_cbranch_execz .LBB62_309
; %bb.306:
	v_cmp_ne_u32_e32 vcc_lo, 14, v138
	s_xor_b32 s2, s16, -1
	s_and_b32 s3, s2, vcc_lo
	s_and_saveexec_b32 s2, s3
	s_cbranch_execz .LBB62_308
; %bb.307:
	v_ashrrev_i32_e32 v139, 31, v138
	v_lshlrev_b64 v[144:145], 2, v[138:139]
	v_add_co_u32 v144, vcc_lo, v136, v144
	v_add_co_ci_u32_e64 v145, null, v137, v145, vcc_lo
	s_clause 0x1
	global_load_dword v0, v[144:145], off
	global_load_dword v139, v[136:137], off offset:56
	s_waitcnt vmcnt(1)
	global_store_dword v[136:137], v0, off offset:56
	s_waitcnt vmcnt(0)
	global_store_dword v[144:145], v139, off
.LBB62_308:
	s_or_b32 exec_lo, exec_lo, s2
	v_mov_b32_e32 v144, v138
	v_mov_b32_e32 v0, v138
.LBB62_309:
	s_or_b32 exec_lo, exec_lo, s1
.LBB62_310:
	s_andn2_saveexec_b32 s0, s0
	s_cbranch_execz .LBB62_312
; %bb.311:
	v_mov_b32_e32 v144, 14
	ds_write2_b64 v1, v[66:67], v[68:69] offset0:30 offset1:31
	ds_write2_b64 v1, v[62:63], v[64:65] offset0:32 offset1:33
	;; [unrolled: 1-line block ×17, first 2 shown]
.LBB62_312:
	s_or_b32 exec_lo, exec_lo, s0
	s_mov_b32 s0, exec_lo
	s_waitcnt lgkmcnt(0)
	s_waitcnt_vscnt null, 0x0
	s_barrier
	buffer_gl0_inv
	v_cmpx_lt_i32_e32 14, v144
	s_cbranch_execz .LBB62_314
; %bb.313:
	v_mul_f64 v[138:139], v[132:133], v[72:73]
	v_mul_f64 v[72:73], v[130:131], v[72:73]
	v_fma_f64 v[138:139], v[130:131], v[70:71], -v[138:139]
	v_fma_f64 v[72:73], v[132:133], v[70:71], v[72:73]
	ds_read2_b64 v[130:133], v1 offset0:30 offset1:31
	s_waitcnt lgkmcnt(0)
	v_mul_f64 v[70:71], v[132:133], v[72:73]
	v_fma_f64 v[70:71], v[130:131], v[138:139], -v[70:71]
	v_mul_f64 v[130:131], v[130:131], v[72:73]
	v_add_f64 v[66:67], v[66:67], -v[70:71]
	v_fma_f64 v[130:131], v[132:133], v[138:139], v[130:131]
	v_add_f64 v[68:69], v[68:69], -v[130:131]
	ds_read2_b64 v[130:133], v1 offset0:32 offset1:33
	s_waitcnt lgkmcnt(0)
	v_mul_f64 v[70:71], v[132:133], v[72:73]
	v_fma_f64 v[70:71], v[130:131], v[138:139], -v[70:71]
	v_mul_f64 v[130:131], v[130:131], v[72:73]
	v_add_f64 v[62:63], v[62:63], -v[70:71]
	v_fma_f64 v[130:131], v[132:133], v[138:139], v[130:131]
	v_add_f64 v[64:65], v[64:65], -v[130:131]
	;; [unrolled: 8-line block ×16, first 2 shown]
	ds_read2_b64 v[130:133], v1 offset0:62 offset1:63
	s_waitcnt lgkmcnt(0)
	v_mul_f64 v[70:71], v[132:133], v[72:73]
	v_fma_f64 v[70:71], v[130:131], v[138:139], -v[70:71]
	v_mul_f64 v[130:131], v[130:131], v[72:73]
	v_add_f64 v[2:3], v[2:3], -v[70:71]
	v_fma_f64 v[130:131], v[132:133], v[138:139], v[130:131]
	v_mov_b32_e32 v70, v138
	v_mov_b32_e32 v71, v139
	v_add_f64 v[4:5], v[4:5], -v[130:131]
.LBB62_314:
	s_or_b32 exec_lo, exec_lo, s0
	v_lshl_add_u32 v130, v144, 4, v1
	s_barrier
	buffer_gl0_inv
	v_mov_b32_e32 v138, 15
	ds_write2_b64 v130, v[66:67], v[68:69] offset1:1
	s_waitcnt lgkmcnt(0)
	s_barrier
	buffer_gl0_inv
	ds_read2_b64 v[130:133], v1 offset0:30 offset1:31
	s_cmp_lt_i32 s18, 17
	s_cbranch_scc1 .LBB62_317
; %bb.315:
	v_add3_u32 v139, v140, 0, 0x100
	v_mov_b32_e32 v138, 15
	s_mov_b32 s1, 16
	s_inst_prefetch 0x1
	.p2align	6
.LBB62_316:                             ; =>This Inner Loop Header: Depth=1
	s_waitcnt lgkmcnt(0)
	v_cmp_gt_f64_e32 vcc_lo, 0, v[132:133]
	v_cmp_gt_f64_e64 s0, 0, v[130:131]
	ds_read2_b64 v[145:148], v139 offset1:1
	v_xor_b32_e32 v150, 0x80000000, v131
	v_xor_b32_e32 v152, 0x80000000, v133
	v_mov_b32_e32 v149, v130
	v_mov_b32_e32 v151, v132
	v_add_nc_u32_e32 v139, 16, v139
	s_waitcnt lgkmcnt(0)
	v_xor_b32_e32 v154, 0x80000000, v148
	v_cndmask_b32_e64 v150, v131, v150, s0
	v_cndmask_b32_e32 v152, v133, v152, vcc_lo
	v_cmp_gt_f64_e32 vcc_lo, 0, v[147:148]
	v_cmp_gt_f64_e64 s0, 0, v[145:146]
	v_mov_b32_e32 v153, v147
	v_add_f64 v[149:150], v[149:150], v[151:152]
	v_xor_b32_e32 v152, 0x80000000, v146
	v_mov_b32_e32 v151, v145
	v_cndmask_b32_e32 v154, v148, v154, vcc_lo
	v_cndmask_b32_e64 v152, v146, v152, s0
	v_add_f64 v[151:152], v[151:152], v[153:154]
	v_cmp_lt_f64_e32 vcc_lo, v[149:150], v[151:152]
	v_cndmask_b32_e32 v131, v131, v146, vcc_lo
	v_cndmask_b32_e32 v130, v130, v145, vcc_lo
	;; [unrolled: 1-line block ×4, first 2 shown]
	v_cndmask_b32_e64 v138, v138, s1, vcc_lo
	s_add_i32 s1, s1, 1
	s_cmp_lg_u32 s18, s1
	s_cbranch_scc1 .LBB62_316
.LBB62_317:
	s_inst_prefetch 0x2
	s_waitcnt lgkmcnt(0)
	v_cmp_eq_f64_e32 vcc_lo, 0, v[130:131]
	v_cmp_eq_f64_e64 s0, 0, v[132:133]
	s_and_b32 s0, vcc_lo, s0
	s_and_saveexec_b32 s1, s0
	s_xor_b32 s0, exec_lo, s1
; %bb.318:
	v_cmp_ne_u32_e32 vcc_lo, 0, v143
	v_cndmask_b32_e32 v143, 16, v143, vcc_lo
; %bb.319:
	s_andn2_saveexec_b32 s0, s0
	s_cbranch_execz .LBB62_325
; %bb.320:
	v_cmp_ngt_f64_e64 s1, |v[130:131]|, |v[132:133]|
	s_and_saveexec_b32 s2, s1
	s_xor_b32 s1, exec_lo, s2
	s_cbranch_execz .LBB62_322
; %bb.321:
	v_div_scale_f64 v[145:146], null, v[132:133], v[132:133], v[130:131]
	v_div_scale_f64 v[151:152], vcc_lo, v[130:131], v[132:133], v[130:131]
	v_rcp_f64_e32 v[147:148], v[145:146]
	v_fma_f64 v[149:150], -v[145:146], v[147:148], 1.0
	v_fma_f64 v[147:148], v[147:148], v[149:150], v[147:148]
	v_fma_f64 v[149:150], -v[145:146], v[147:148], 1.0
	v_fma_f64 v[147:148], v[147:148], v[149:150], v[147:148]
	v_mul_f64 v[149:150], v[151:152], v[147:148]
	v_fma_f64 v[145:146], -v[145:146], v[149:150], v[151:152]
	v_div_fmas_f64 v[145:146], v[145:146], v[147:148], v[149:150]
	v_div_fixup_f64 v[145:146], v[145:146], v[132:133], v[130:131]
	v_fma_f64 v[130:131], v[130:131], v[145:146], v[132:133]
	v_div_scale_f64 v[132:133], null, v[130:131], v[130:131], 1.0
	v_rcp_f64_e32 v[147:148], v[132:133]
	v_fma_f64 v[149:150], -v[132:133], v[147:148], 1.0
	v_fma_f64 v[147:148], v[147:148], v[149:150], v[147:148]
	v_fma_f64 v[149:150], -v[132:133], v[147:148], 1.0
	v_fma_f64 v[147:148], v[147:148], v[149:150], v[147:148]
	v_div_scale_f64 v[149:150], vcc_lo, 1.0, v[130:131], 1.0
	v_mul_f64 v[151:152], v[149:150], v[147:148]
	v_fma_f64 v[132:133], -v[132:133], v[151:152], v[149:150]
	v_div_fmas_f64 v[132:133], v[132:133], v[147:148], v[151:152]
	v_div_fixup_f64 v[132:133], v[132:133], v[130:131], 1.0
	v_mul_f64 v[130:131], v[145:146], v[132:133]
	v_xor_b32_e32 v133, 0x80000000, v133
.LBB62_322:
	s_andn2_saveexec_b32 s1, s1
	s_cbranch_execz .LBB62_324
; %bb.323:
	v_div_scale_f64 v[145:146], null, v[130:131], v[130:131], v[132:133]
	v_div_scale_f64 v[151:152], vcc_lo, v[132:133], v[130:131], v[132:133]
	v_rcp_f64_e32 v[147:148], v[145:146]
	v_fma_f64 v[149:150], -v[145:146], v[147:148], 1.0
	v_fma_f64 v[147:148], v[147:148], v[149:150], v[147:148]
	v_fma_f64 v[149:150], -v[145:146], v[147:148], 1.0
	v_fma_f64 v[147:148], v[147:148], v[149:150], v[147:148]
	v_mul_f64 v[149:150], v[151:152], v[147:148]
	v_fma_f64 v[145:146], -v[145:146], v[149:150], v[151:152]
	v_div_fmas_f64 v[145:146], v[145:146], v[147:148], v[149:150]
	v_div_fixup_f64 v[145:146], v[145:146], v[130:131], v[132:133]
	v_fma_f64 v[130:131], v[132:133], v[145:146], v[130:131]
	v_div_scale_f64 v[132:133], null, v[130:131], v[130:131], 1.0
	v_rcp_f64_e32 v[147:148], v[132:133]
	v_fma_f64 v[149:150], -v[132:133], v[147:148], 1.0
	v_fma_f64 v[147:148], v[147:148], v[149:150], v[147:148]
	v_fma_f64 v[149:150], -v[132:133], v[147:148], 1.0
	v_fma_f64 v[147:148], v[147:148], v[149:150], v[147:148]
	v_div_scale_f64 v[149:150], vcc_lo, 1.0, v[130:131], 1.0
	v_mul_f64 v[151:152], v[149:150], v[147:148]
	v_fma_f64 v[132:133], -v[132:133], v[151:152], v[149:150]
	v_div_fmas_f64 v[132:133], v[132:133], v[147:148], v[151:152]
	v_div_fixup_f64 v[130:131], v[132:133], v[130:131], 1.0
	v_mul_f64 v[132:133], v[145:146], -v[130:131]
.LBB62_324:
	s_or_b32 exec_lo, exec_lo, s1
.LBB62_325:
	s_or_b32 exec_lo, exec_lo, s0
	s_mov_b32 s0, exec_lo
	v_cmpx_ne_u32_e64 v144, v138
	s_xor_b32 s0, exec_lo, s0
	s_cbranch_execz .LBB62_331
; %bb.326:
	s_mov_b32 s1, exec_lo
	v_cmpx_eq_u32_e32 15, v144
	s_cbranch_execz .LBB62_330
; %bb.327:
	v_cmp_ne_u32_e32 vcc_lo, 15, v138
	s_xor_b32 s2, s16, -1
	s_and_b32 s3, s2, vcc_lo
	s_and_saveexec_b32 s2, s3
	s_cbranch_execz .LBB62_329
; %bb.328:
	v_ashrrev_i32_e32 v139, 31, v138
	v_lshlrev_b64 v[144:145], 2, v[138:139]
	v_add_co_u32 v144, vcc_lo, v136, v144
	v_add_co_ci_u32_e64 v145, null, v137, v145, vcc_lo
	s_clause 0x1
	global_load_dword v0, v[144:145], off
	global_load_dword v139, v[136:137], off offset:60
	s_waitcnt vmcnt(1)
	global_store_dword v[136:137], v0, off offset:60
	s_waitcnt vmcnt(0)
	global_store_dword v[144:145], v139, off
.LBB62_329:
	s_or_b32 exec_lo, exec_lo, s2
	v_mov_b32_e32 v144, v138
	v_mov_b32_e32 v0, v138
.LBB62_330:
	s_or_b32 exec_lo, exec_lo, s1
.LBB62_331:
	s_andn2_saveexec_b32 s0, s0
	s_cbranch_execz .LBB62_333
; %bb.332:
	v_mov_b32_e32 v144, 15
	ds_write2_b64 v1, v[62:63], v[64:65] offset0:32 offset1:33
	ds_write2_b64 v1, v[58:59], v[60:61] offset0:34 offset1:35
	;; [unrolled: 1-line block ×16, first 2 shown]
.LBB62_333:
	s_or_b32 exec_lo, exec_lo, s0
	s_mov_b32 s0, exec_lo
	s_waitcnt lgkmcnt(0)
	s_waitcnt_vscnt null, 0x0
	s_barrier
	buffer_gl0_inv
	v_cmpx_lt_i32_e32 15, v144
	s_cbranch_execz .LBB62_335
; %bb.334:
	v_mul_f64 v[138:139], v[130:131], v[68:69]
	v_mul_f64 v[68:69], v[132:133], v[68:69]
	v_fma_f64 v[138:139], v[132:133], v[66:67], v[138:139]
	v_fma_f64 v[66:67], v[130:131], v[66:67], -v[68:69]
	ds_read2_b64 v[130:133], v1 offset0:32 offset1:33
	s_waitcnt lgkmcnt(0)
	v_mul_f64 v[68:69], v[132:133], v[138:139]
	v_fma_f64 v[68:69], v[130:131], v[66:67], -v[68:69]
	v_mul_f64 v[130:131], v[130:131], v[138:139]
	v_add_f64 v[62:63], v[62:63], -v[68:69]
	v_fma_f64 v[130:131], v[132:133], v[66:67], v[130:131]
	v_add_f64 v[64:65], v[64:65], -v[130:131]
	ds_read2_b64 v[130:133], v1 offset0:34 offset1:35
	s_waitcnt lgkmcnt(0)
	v_mul_f64 v[68:69], v[132:133], v[138:139]
	v_fma_f64 v[68:69], v[130:131], v[66:67], -v[68:69]
	v_mul_f64 v[130:131], v[130:131], v[138:139]
	v_add_f64 v[58:59], v[58:59], -v[68:69]
	v_fma_f64 v[130:131], v[132:133], v[66:67], v[130:131]
	v_add_f64 v[60:61], v[60:61], -v[130:131]
	;; [unrolled: 8-line block ×15, first 2 shown]
	ds_read2_b64 v[130:133], v1 offset0:62 offset1:63
	s_waitcnt lgkmcnt(0)
	v_mul_f64 v[68:69], v[132:133], v[138:139]
	v_fma_f64 v[68:69], v[130:131], v[66:67], -v[68:69]
	v_mul_f64 v[130:131], v[130:131], v[138:139]
	v_add_f64 v[2:3], v[2:3], -v[68:69]
	v_fma_f64 v[130:131], v[132:133], v[66:67], v[130:131]
	v_mov_b32_e32 v68, v138
	v_mov_b32_e32 v69, v139
	v_add_f64 v[4:5], v[4:5], -v[130:131]
.LBB62_335:
	s_or_b32 exec_lo, exec_lo, s0
	v_lshl_add_u32 v130, v144, 4, v1
	s_barrier
	buffer_gl0_inv
	v_mov_b32_e32 v138, 16
	ds_write2_b64 v130, v[62:63], v[64:65] offset1:1
	s_waitcnt lgkmcnt(0)
	s_barrier
	buffer_gl0_inv
	ds_read2_b64 v[130:133], v1 offset0:32 offset1:33
	s_cmp_lt_i32 s18, 18
	s_cbranch_scc1 .LBB62_338
; %bb.336:
	v_add3_u32 v139, v140, 0, 0x110
	v_mov_b32_e32 v138, 16
	s_mov_b32 s1, 17
	s_inst_prefetch 0x1
	.p2align	6
.LBB62_337:                             ; =>This Inner Loop Header: Depth=1
	s_waitcnt lgkmcnt(0)
	v_cmp_gt_f64_e32 vcc_lo, 0, v[132:133]
	v_cmp_gt_f64_e64 s0, 0, v[130:131]
	ds_read2_b64 v[145:148], v139 offset1:1
	v_xor_b32_e32 v150, 0x80000000, v131
	v_xor_b32_e32 v152, 0x80000000, v133
	v_mov_b32_e32 v149, v130
	v_mov_b32_e32 v151, v132
	v_add_nc_u32_e32 v139, 16, v139
	s_waitcnt lgkmcnt(0)
	v_xor_b32_e32 v154, 0x80000000, v148
	v_cndmask_b32_e64 v150, v131, v150, s0
	v_cndmask_b32_e32 v152, v133, v152, vcc_lo
	v_cmp_gt_f64_e32 vcc_lo, 0, v[147:148]
	v_cmp_gt_f64_e64 s0, 0, v[145:146]
	v_mov_b32_e32 v153, v147
	v_add_f64 v[149:150], v[149:150], v[151:152]
	v_xor_b32_e32 v152, 0x80000000, v146
	v_mov_b32_e32 v151, v145
	v_cndmask_b32_e32 v154, v148, v154, vcc_lo
	v_cndmask_b32_e64 v152, v146, v152, s0
	v_add_f64 v[151:152], v[151:152], v[153:154]
	v_cmp_lt_f64_e32 vcc_lo, v[149:150], v[151:152]
	v_cndmask_b32_e32 v131, v131, v146, vcc_lo
	v_cndmask_b32_e32 v130, v130, v145, vcc_lo
	;; [unrolled: 1-line block ×4, first 2 shown]
	v_cndmask_b32_e64 v138, v138, s1, vcc_lo
	s_add_i32 s1, s1, 1
	s_cmp_lg_u32 s18, s1
	s_cbranch_scc1 .LBB62_337
.LBB62_338:
	s_inst_prefetch 0x2
	s_waitcnt lgkmcnt(0)
	v_cmp_eq_f64_e32 vcc_lo, 0, v[130:131]
	v_cmp_eq_f64_e64 s0, 0, v[132:133]
	s_and_b32 s0, vcc_lo, s0
	s_and_saveexec_b32 s1, s0
	s_xor_b32 s0, exec_lo, s1
; %bb.339:
	v_cmp_ne_u32_e32 vcc_lo, 0, v143
	v_cndmask_b32_e32 v143, 17, v143, vcc_lo
; %bb.340:
	s_andn2_saveexec_b32 s0, s0
	s_cbranch_execz .LBB62_346
; %bb.341:
	v_cmp_ngt_f64_e64 s1, |v[130:131]|, |v[132:133]|
	s_and_saveexec_b32 s2, s1
	s_xor_b32 s1, exec_lo, s2
	s_cbranch_execz .LBB62_343
; %bb.342:
	v_div_scale_f64 v[145:146], null, v[132:133], v[132:133], v[130:131]
	v_div_scale_f64 v[151:152], vcc_lo, v[130:131], v[132:133], v[130:131]
	v_rcp_f64_e32 v[147:148], v[145:146]
	v_fma_f64 v[149:150], -v[145:146], v[147:148], 1.0
	v_fma_f64 v[147:148], v[147:148], v[149:150], v[147:148]
	v_fma_f64 v[149:150], -v[145:146], v[147:148], 1.0
	v_fma_f64 v[147:148], v[147:148], v[149:150], v[147:148]
	v_mul_f64 v[149:150], v[151:152], v[147:148]
	v_fma_f64 v[145:146], -v[145:146], v[149:150], v[151:152]
	v_div_fmas_f64 v[145:146], v[145:146], v[147:148], v[149:150]
	v_div_fixup_f64 v[145:146], v[145:146], v[132:133], v[130:131]
	v_fma_f64 v[130:131], v[130:131], v[145:146], v[132:133]
	v_div_scale_f64 v[132:133], null, v[130:131], v[130:131], 1.0
	v_rcp_f64_e32 v[147:148], v[132:133]
	v_fma_f64 v[149:150], -v[132:133], v[147:148], 1.0
	v_fma_f64 v[147:148], v[147:148], v[149:150], v[147:148]
	v_fma_f64 v[149:150], -v[132:133], v[147:148], 1.0
	v_fma_f64 v[147:148], v[147:148], v[149:150], v[147:148]
	v_div_scale_f64 v[149:150], vcc_lo, 1.0, v[130:131], 1.0
	v_mul_f64 v[151:152], v[149:150], v[147:148]
	v_fma_f64 v[132:133], -v[132:133], v[151:152], v[149:150]
	v_div_fmas_f64 v[132:133], v[132:133], v[147:148], v[151:152]
	v_div_fixup_f64 v[132:133], v[132:133], v[130:131], 1.0
	v_mul_f64 v[130:131], v[145:146], v[132:133]
	v_xor_b32_e32 v133, 0x80000000, v133
.LBB62_343:
	s_andn2_saveexec_b32 s1, s1
	s_cbranch_execz .LBB62_345
; %bb.344:
	v_div_scale_f64 v[145:146], null, v[130:131], v[130:131], v[132:133]
	v_div_scale_f64 v[151:152], vcc_lo, v[132:133], v[130:131], v[132:133]
	v_rcp_f64_e32 v[147:148], v[145:146]
	v_fma_f64 v[149:150], -v[145:146], v[147:148], 1.0
	v_fma_f64 v[147:148], v[147:148], v[149:150], v[147:148]
	v_fma_f64 v[149:150], -v[145:146], v[147:148], 1.0
	v_fma_f64 v[147:148], v[147:148], v[149:150], v[147:148]
	v_mul_f64 v[149:150], v[151:152], v[147:148]
	v_fma_f64 v[145:146], -v[145:146], v[149:150], v[151:152]
	v_div_fmas_f64 v[145:146], v[145:146], v[147:148], v[149:150]
	v_div_fixup_f64 v[145:146], v[145:146], v[130:131], v[132:133]
	v_fma_f64 v[130:131], v[132:133], v[145:146], v[130:131]
	v_div_scale_f64 v[132:133], null, v[130:131], v[130:131], 1.0
	v_rcp_f64_e32 v[147:148], v[132:133]
	v_fma_f64 v[149:150], -v[132:133], v[147:148], 1.0
	v_fma_f64 v[147:148], v[147:148], v[149:150], v[147:148]
	v_fma_f64 v[149:150], -v[132:133], v[147:148], 1.0
	v_fma_f64 v[147:148], v[147:148], v[149:150], v[147:148]
	v_div_scale_f64 v[149:150], vcc_lo, 1.0, v[130:131], 1.0
	v_mul_f64 v[151:152], v[149:150], v[147:148]
	v_fma_f64 v[132:133], -v[132:133], v[151:152], v[149:150]
	v_div_fmas_f64 v[132:133], v[132:133], v[147:148], v[151:152]
	v_div_fixup_f64 v[130:131], v[132:133], v[130:131], 1.0
	v_mul_f64 v[132:133], v[145:146], -v[130:131]
.LBB62_345:
	s_or_b32 exec_lo, exec_lo, s1
.LBB62_346:
	s_or_b32 exec_lo, exec_lo, s0
	s_mov_b32 s0, exec_lo
	v_cmpx_ne_u32_e64 v144, v138
	s_xor_b32 s0, exec_lo, s0
	s_cbranch_execz .LBB62_352
; %bb.347:
	s_mov_b32 s1, exec_lo
	v_cmpx_eq_u32_e32 16, v144
	s_cbranch_execz .LBB62_351
; %bb.348:
	v_cmp_ne_u32_e32 vcc_lo, 16, v138
	s_xor_b32 s2, s16, -1
	s_and_b32 s3, s2, vcc_lo
	s_and_saveexec_b32 s2, s3
	s_cbranch_execz .LBB62_350
; %bb.349:
	v_ashrrev_i32_e32 v139, 31, v138
	v_lshlrev_b64 v[144:145], 2, v[138:139]
	v_add_co_u32 v144, vcc_lo, v136, v144
	v_add_co_ci_u32_e64 v145, null, v137, v145, vcc_lo
	s_clause 0x1
	global_load_dword v0, v[144:145], off
	global_load_dword v139, v[136:137], off offset:64
	s_waitcnt vmcnt(1)
	global_store_dword v[136:137], v0, off offset:64
	s_waitcnt vmcnt(0)
	global_store_dword v[144:145], v139, off
.LBB62_350:
	s_or_b32 exec_lo, exec_lo, s2
	v_mov_b32_e32 v144, v138
	v_mov_b32_e32 v0, v138
.LBB62_351:
	s_or_b32 exec_lo, exec_lo, s1
.LBB62_352:
	s_andn2_saveexec_b32 s0, s0
	s_cbranch_execz .LBB62_354
; %bb.353:
	v_mov_b32_e32 v144, 16
	ds_write2_b64 v1, v[58:59], v[60:61] offset0:34 offset1:35
	ds_write2_b64 v1, v[54:55], v[56:57] offset0:36 offset1:37
	;; [unrolled: 1-line block ×15, first 2 shown]
.LBB62_354:
	s_or_b32 exec_lo, exec_lo, s0
	s_mov_b32 s0, exec_lo
	s_waitcnt lgkmcnt(0)
	s_waitcnt_vscnt null, 0x0
	s_barrier
	buffer_gl0_inv
	v_cmpx_lt_i32_e32 16, v144
	s_cbranch_execz .LBB62_356
; %bb.355:
	v_mul_f64 v[138:139], v[130:131], v[64:65]
	v_mul_f64 v[64:65], v[132:133], v[64:65]
	v_fma_f64 v[138:139], v[132:133], v[62:63], v[138:139]
	v_fma_f64 v[62:63], v[130:131], v[62:63], -v[64:65]
	ds_read2_b64 v[130:133], v1 offset0:34 offset1:35
	s_waitcnt lgkmcnt(0)
	v_mul_f64 v[64:65], v[132:133], v[138:139]
	v_fma_f64 v[64:65], v[130:131], v[62:63], -v[64:65]
	v_mul_f64 v[130:131], v[130:131], v[138:139]
	v_add_f64 v[58:59], v[58:59], -v[64:65]
	v_fma_f64 v[130:131], v[132:133], v[62:63], v[130:131]
	v_add_f64 v[60:61], v[60:61], -v[130:131]
	ds_read2_b64 v[130:133], v1 offset0:36 offset1:37
	s_waitcnt lgkmcnt(0)
	v_mul_f64 v[64:65], v[132:133], v[138:139]
	v_fma_f64 v[64:65], v[130:131], v[62:63], -v[64:65]
	v_mul_f64 v[130:131], v[130:131], v[138:139]
	v_add_f64 v[54:55], v[54:55], -v[64:65]
	v_fma_f64 v[130:131], v[132:133], v[62:63], v[130:131]
	v_add_f64 v[56:57], v[56:57], -v[130:131]
	;; [unrolled: 8-line block ×14, first 2 shown]
	ds_read2_b64 v[130:133], v1 offset0:62 offset1:63
	s_waitcnt lgkmcnt(0)
	v_mul_f64 v[64:65], v[132:133], v[138:139]
	v_fma_f64 v[64:65], v[130:131], v[62:63], -v[64:65]
	v_mul_f64 v[130:131], v[130:131], v[138:139]
	v_add_f64 v[2:3], v[2:3], -v[64:65]
	v_fma_f64 v[130:131], v[132:133], v[62:63], v[130:131]
	v_mov_b32_e32 v64, v138
	v_mov_b32_e32 v65, v139
	v_add_f64 v[4:5], v[4:5], -v[130:131]
.LBB62_356:
	s_or_b32 exec_lo, exec_lo, s0
	v_lshl_add_u32 v130, v144, 4, v1
	s_barrier
	buffer_gl0_inv
	v_mov_b32_e32 v138, 17
	ds_write2_b64 v130, v[58:59], v[60:61] offset1:1
	s_waitcnt lgkmcnt(0)
	s_barrier
	buffer_gl0_inv
	ds_read2_b64 v[130:133], v1 offset0:34 offset1:35
	s_cmp_lt_i32 s18, 19
	s_cbranch_scc1 .LBB62_359
; %bb.357:
	v_add3_u32 v139, v140, 0, 0x120
	v_mov_b32_e32 v138, 17
	s_mov_b32 s1, 18
	s_inst_prefetch 0x1
	.p2align	6
.LBB62_358:                             ; =>This Inner Loop Header: Depth=1
	s_waitcnt lgkmcnt(0)
	v_cmp_gt_f64_e32 vcc_lo, 0, v[132:133]
	v_cmp_gt_f64_e64 s0, 0, v[130:131]
	ds_read2_b64 v[145:148], v139 offset1:1
	v_xor_b32_e32 v150, 0x80000000, v131
	v_xor_b32_e32 v152, 0x80000000, v133
	v_mov_b32_e32 v149, v130
	v_mov_b32_e32 v151, v132
	v_add_nc_u32_e32 v139, 16, v139
	s_waitcnt lgkmcnt(0)
	v_xor_b32_e32 v154, 0x80000000, v148
	v_cndmask_b32_e64 v150, v131, v150, s0
	v_cndmask_b32_e32 v152, v133, v152, vcc_lo
	v_cmp_gt_f64_e32 vcc_lo, 0, v[147:148]
	v_cmp_gt_f64_e64 s0, 0, v[145:146]
	v_mov_b32_e32 v153, v147
	v_add_f64 v[149:150], v[149:150], v[151:152]
	v_xor_b32_e32 v152, 0x80000000, v146
	v_mov_b32_e32 v151, v145
	v_cndmask_b32_e32 v154, v148, v154, vcc_lo
	v_cndmask_b32_e64 v152, v146, v152, s0
	v_add_f64 v[151:152], v[151:152], v[153:154]
	v_cmp_lt_f64_e32 vcc_lo, v[149:150], v[151:152]
	v_cndmask_b32_e32 v131, v131, v146, vcc_lo
	v_cndmask_b32_e32 v130, v130, v145, vcc_lo
	v_cndmask_b32_e32 v133, v133, v148, vcc_lo
	v_cndmask_b32_e32 v132, v132, v147, vcc_lo
	v_cndmask_b32_e64 v138, v138, s1, vcc_lo
	s_add_i32 s1, s1, 1
	s_cmp_lg_u32 s18, s1
	s_cbranch_scc1 .LBB62_358
.LBB62_359:
	s_inst_prefetch 0x2
	s_waitcnt lgkmcnt(0)
	v_cmp_eq_f64_e32 vcc_lo, 0, v[130:131]
	v_cmp_eq_f64_e64 s0, 0, v[132:133]
	s_and_b32 s0, vcc_lo, s0
	s_and_saveexec_b32 s1, s0
	s_xor_b32 s0, exec_lo, s1
; %bb.360:
	v_cmp_ne_u32_e32 vcc_lo, 0, v143
	v_cndmask_b32_e32 v143, 18, v143, vcc_lo
; %bb.361:
	s_andn2_saveexec_b32 s0, s0
	s_cbranch_execz .LBB62_367
; %bb.362:
	v_cmp_ngt_f64_e64 s1, |v[130:131]|, |v[132:133]|
	s_and_saveexec_b32 s2, s1
	s_xor_b32 s1, exec_lo, s2
	s_cbranch_execz .LBB62_364
; %bb.363:
	v_div_scale_f64 v[145:146], null, v[132:133], v[132:133], v[130:131]
	v_div_scale_f64 v[151:152], vcc_lo, v[130:131], v[132:133], v[130:131]
	v_rcp_f64_e32 v[147:148], v[145:146]
	v_fma_f64 v[149:150], -v[145:146], v[147:148], 1.0
	v_fma_f64 v[147:148], v[147:148], v[149:150], v[147:148]
	v_fma_f64 v[149:150], -v[145:146], v[147:148], 1.0
	v_fma_f64 v[147:148], v[147:148], v[149:150], v[147:148]
	v_mul_f64 v[149:150], v[151:152], v[147:148]
	v_fma_f64 v[145:146], -v[145:146], v[149:150], v[151:152]
	v_div_fmas_f64 v[145:146], v[145:146], v[147:148], v[149:150]
	v_div_fixup_f64 v[145:146], v[145:146], v[132:133], v[130:131]
	v_fma_f64 v[130:131], v[130:131], v[145:146], v[132:133]
	v_div_scale_f64 v[132:133], null, v[130:131], v[130:131], 1.0
	v_rcp_f64_e32 v[147:148], v[132:133]
	v_fma_f64 v[149:150], -v[132:133], v[147:148], 1.0
	v_fma_f64 v[147:148], v[147:148], v[149:150], v[147:148]
	v_fma_f64 v[149:150], -v[132:133], v[147:148], 1.0
	v_fma_f64 v[147:148], v[147:148], v[149:150], v[147:148]
	v_div_scale_f64 v[149:150], vcc_lo, 1.0, v[130:131], 1.0
	v_mul_f64 v[151:152], v[149:150], v[147:148]
	v_fma_f64 v[132:133], -v[132:133], v[151:152], v[149:150]
	v_div_fmas_f64 v[132:133], v[132:133], v[147:148], v[151:152]
	v_div_fixup_f64 v[132:133], v[132:133], v[130:131], 1.0
	v_mul_f64 v[130:131], v[145:146], v[132:133]
	v_xor_b32_e32 v133, 0x80000000, v133
.LBB62_364:
	s_andn2_saveexec_b32 s1, s1
	s_cbranch_execz .LBB62_366
; %bb.365:
	v_div_scale_f64 v[145:146], null, v[130:131], v[130:131], v[132:133]
	v_div_scale_f64 v[151:152], vcc_lo, v[132:133], v[130:131], v[132:133]
	v_rcp_f64_e32 v[147:148], v[145:146]
	v_fma_f64 v[149:150], -v[145:146], v[147:148], 1.0
	v_fma_f64 v[147:148], v[147:148], v[149:150], v[147:148]
	v_fma_f64 v[149:150], -v[145:146], v[147:148], 1.0
	v_fma_f64 v[147:148], v[147:148], v[149:150], v[147:148]
	v_mul_f64 v[149:150], v[151:152], v[147:148]
	v_fma_f64 v[145:146], -v[145:146], v[149:150], v[151:152]
	v_div_fmas_f64 v[145:146], v[145:146], v[147:148], v[149:150]
	v_div_fixup_f64 v[145:146], v[145:146], v[130:131], v[132:133]
	v_fma_f64 v[130:131], v[132:133], v[145:146], v[130:131]
	v_div_scale_f64 v[132:133], null, v[130:131], v[130:131], 1.0
	v_rcp_f64_e32 v[147:148], v[132:133]
	v_fma_f64 v[149:150], -v[132:133], v[147:148], 1.0
	v_fma_f64 v[147:148], v[147:148], v[149:150], v[147:148]
	v_fma_f64 v[149:150], -v[132:133], v[147:148], 1.0
	v_fma_f64 v[147:148], v[147:148], v[149:150], v[147:148]
	v_div_scale_f64 v[149:150], vcc_lo, 1.0, v[130:131], 1.0
	v_mul_f64 v[151:152], v[149:150], v[147:148]
	v_fma_f64 v[132:133], -v[132:133], v[151:152], v[149:150]
	v_div_fmas_f64 v[132:133], v[132:133], v[147:148], v[151:152]
	v_div_fixup_f64 v[130:131], v[132:133], v[130:131], 1.0
	v_mul_f64 v[132:133], v[145:146], -v[130:131]
.LBB62_366:
	s_or_b32 exec_lo, exec_lo, s1
.LBB62_367:
	s_or_b32 exec_lo, exec_lo, s0
	s_mov_b32 s0, exec_lo
	v_cmpx_ne_u32_e64 v144, v138
	s_xor_b32 s0, exec_lo, s0
	s_cbranch_execz .LBB62_373
; %bb.368:
	s_mov_b32 s1, exec_lo
	v_cmpx_eq_u32_e32 17, v144
	s_cbranch_execz .LBB62_372
; %bb.369:
	v_cmp_ne_u32_e32 vcc_lo, 17, v138
	s_xor_b32 s2, s16, -1
	s_and_b32 s3, s2, vcc_lo
	s_and_saveexec_b32 s2, s3
	s_cbranch_execz .LBB62_371
; %bb.370:
	v_ashrrev_i32_e32 v139, 31, v138
	v_lshlrev_b64 v[144:145], 2, v[138:139]
	v_add_co_u32 v144, vcc_lo, v136, v144
	v_add_co_ci_u32_e64 v145, null, v137, v145, vcc_lo
	s_clause 0x1
	global_load_dword v0, v[144:145], off
	global_load_dword v139, v[136:137], off offset:68
	s_waitcnt vmcnt(1)
	global_store_dword v[136:137], v0, off offset:68
	s_waitcnt vmcnt(0)
	global_store_dword v[144:145], v139, off
.LBB62_371:
	s_or_b32 exec_lo, exec_lo, s2
	v_mov_b32_e32 v144, v138
	v_mov_b32_e32 v0, v138
.LBB62_372:
	s_or_b32 exec_lo, exec_lo, s1
.LBB62_373:
	s_andn2_saveexec_b32 s0, s0
	s_cbranch_execz .LBB62_375
; %bb.374:
	v_mov_b32_e32 v144, 17
	ds_write2_b64 v1, v[54:55], v[56:57] offset0:36 offset1:37
	ds_write2_b64 v1, v[50:51], v[52:53] offset0:38 offset1:39
	;; [unrolled: 1-line block ×14, first 2 shown]
.LBB62_375:
	s_or_b32 exec_lo, exec_lo, s0
	s_mov_b32 s0, exec_lo
	s_waitcnt lgkmcnt(0)
	s_waitcnt_vscnt null, 0x0
	s_barrier
	buffer_gl0_inv
	v_cmpx_lt_i32_e32 17, v144
	s_cbranch_execz .LBB62_377
; %bb.376:
	v_mul_f64 v[138:139], v[130:131], v[60:61]
	v_mul_f64 v[60:61], v[132:133], v[60:61]
	v_fma_f64 v[138:139], v[132:133], v[58:59], v[138:139]
	v_fma_f64 v[58:59], v[130:131], v[58:59], -v[60:61]
	ds_read2_b64 v[130:133], v1 offset0:36 offset1:37
	s_waitcnt lgkmcnt(0)
	v_mul_f64 v[60:61], v[132:133], v[138:139]
	v_fma_f64 v[60:61], v[130:131], v[58:59], -v[60:61]
	v_mul_f64 v[130:131], v[130:131], v[138:139]
	v_add_f64 v[54:55], v[54:55], -v[60:61]
	v_fma_f64 v[130:131], v[132:133], v[58:59], v[130:131]
	v_add_f64 v[56:57], v[56:57], -v[130:131]
	ds_read2_b64 v[130:133], v1 offset0:38 offset1:39
	s_waitcnt lgkmcnt(0)
	v_mul_f64 v[60:61], v[132:133], v[138:139]
	v_fma_f64 v[60:61], v[130:131], v[58:59], -v[60:61]
	v_mul_f64 v[130:131], v[130:131], v[138:139]
	v_add_f64 v[50:51], v[50:51], -v[60:61]
	v_fma_f64 v[130:131], v[132:133], v[58:59], v[130:131]
	v_add_f64 v[52:53], v[52:53], -v[130:131]
	;; [unrolled: 8-line block ×13, first 2 shown]
	ds_read2_b64 v[130:133], v1 offset0:62 offset1:63
	s_waitcnt lgkmcnt(0)
	v_mul_f64 v[60:61], v[132:133], v[138:139]
	v_fma_f64 v[60:61], v[130:131], v[58:59], -v[60:61]
	v_mul_f64 v[130:131], v[130:131], v[138:139]
	v_add_f64 v[2:3], v[2:3], -v[60:61]
	v_fma_f64 v[130:131], v[132:133], v[58:59], v[130:131]
	v_mov_b32_e32 v60, v138
	v_mov_b32_e32 v61, v139
	v_add_f64 v[4:5], v[4:5], -v[130:131]
.LBB62_377:
	s_or_b32 exec_lo, exec_lo, s0
	v_lshl_add_u32 v130, v144, 4, v1
	s_barrier
	buffer_gl0_inv
	v_mov_b32_e32 v138, 18
	ds_write2_b64 v130, v[54:55], v[56:57] offset1:1
	s_waitcnt lgkmcnt(0)
	s_barrier
	buffer_gl0_inv
	ds_read2_b64 v[130:133], v1 offset0:36 offset1:37
	s_cmp_lt_i32 s18, 20
	s_cbranch_scc1 .LBB62_380
; %bb.378:
	v_add3_u32 v139, v140, 0, 0x130
	v_mov_b32_e32 v138, 18
	s_mov_b32 s1, 19
	s_inst_prefetch 0x1
	.p2align	6
.LBB62_379:                             ; =>This Inner Loop Header: Depth=1
	s_waitcnt lgkmcnt(0)
	v_cmp_gt_f64_e32 vcc_lo, 0, v[132:133]
	v_cmp_gt_f64_e64 s0, 0, v[130:131]
	ds_read2_b64 v[145:148], v139 offset1:1
	v_xor_b32_e32 v150, 0x80000000, v131
	v_xor_b32_e32 v152, 0x80000000, v133
	v_mov_b32_e32 v149, v130
	v_mov_b32_e32 v151, v132
	v_add_nc_u32_e32 v139, 16, v139
	s_waitcnt lgkmcnt(0)
	v_xor_b32_e32 v154, 0x80000000, v148
	v_cndmask_b32_e64 v150, v131, v150, s0
	v_cndmask_b32_e32 v152, v133, v152, vcc_lo
	v_cmp_gt_f64_e32 vcc_lo, 0, v[147:148]
	v_cmp_gt_f64_e64 s0, 0, v[145:146]
	v_mov_b32_e32 v153, v147
	v_add_f64 v[149:150], v[149:150], v[151:152]
	v_xor_b32_e32 v152, 0x80000000, v146
	v_mov_b32_e32 v151, v145
	v_cndmask_b32_e32 v154, v148, v154, vcc_lo
	v_cndmask_b32_e64 v152, v146, v152, s0
	v_add_f64 v[151:152], v[151:152], v[153:154]
	v_cmp_lt_f64_e32 vcc_lo, v[149:150], v[151:152]
	v_cndmask_b32_e32 v131, v131, v146, vcc_lo
	v_cndmask_b32_e32 v130, v130, v145, vcc_lo
	;; [unrolled: 1-line block ×4, first 2 shown]
	v_cndmask_b32_e64 v138, v138, s1, vcc_lo
	s_add_i32 s1, s1, 1
	s_cmp_lg_u32 s18, s1
	s_cbranch_scc1 .LBB62_379
.LBB62_380:
	s_inst_prefetch 0x2
	s_waitcnt lgkmcnt(0)
	v_cmp_eq_f64_e32 vcc_lo, 0, v[130:131]
	v_cmp_eq_f64_e64 s0, 0, v[132:133]
	s_and_b32 s0, vcc_lo, s0
	s_and_saveexec_b32 s1, s0
	s_xor_b32 s0, exec_lo, s1
; %bb.381:
	v_cmp_ne_u32_e32 vcc_lo, 0, v143
	v_cndmask_b32_e32 v143, 19, v143, vcc_lo
; %bb.382:
	s_andn2_saveexec_b32 s0, s0
	s_cbranch_execz .LBB62_388
; %bb.383:
	v_cmp_ngt_f64_e64 s1, |v[130:131]|, |v[132:133]|
	s_and_saveexec_b32 s2, s1
	s_xor_b32 s1, exec_lo, s2
	s_cbranch_execz .LBB62_385
; %bb.384:
	v_div_scale_f64 v[145:146], null, v[132:133], v[132:133], v[130:131]
	v_div_scale_f64 v[151:152], vcc_lo, v[130:131], v[132:133], v[130:131]
	v_rcp_f64_e32 v[147:148], v[145:146]
	v_fma_f64 v[149:150], -v[145:146], v[147:148], 1.0
	v_fma_f64 v[147:148], v[147:148], v[149:150], v[147:148]
	v_fma_f64 v[149:150], -v[145:146], v[147:148], 1.0
	v_fma_f64 v[147:148], v[147:148], v[149:150], v[147:148]
	v_mul_f64 v[149:150], v[151:152], v[147:148]
	v_fma_f64 v[145:146], -v[145:146], v[149:150], v[151:152]
	v_div_fmas_f64 v[145:146], v[145:146], v[147:148], v[149:150]
	v_div_fixup_f64 v[145:146], v[145:146], v[132:133], v[130:131]
	v_fma_f64 v[130:131], v[130:131], v[145:146], v[132:133]
	v_div_scale_f64 v[132:133], null, v[130:131], v[130:131], 1.0
	v_rcp_f64_e32 v[147:148], v[132:133]
	v_fma_f64 v[149:150], -v[132:133], v[147:148], 1.0
	v_fma_f64 v[147:148], v[147:148], v[149:150], v[147:148]
	v_fma_f64 v[149:150], -v[132:133], v[147:148], 1.0
	v_fma_f64 v[147:148], v[147:148], v[149:150], v[147:148]
	v_div_scale_f64 v[149:150], vcc_lo, 1.0, v[130:131], 1.0
	v_mul_f64 v[151:152], v[149:150], v[147:148]
	v_fma_f64 v[132:133], -v[132:133], v[151:152], v[149:150]
	v_div_fmas_f64 v[132:133], v[132:133], v[147:148], v[151:152]
	v_div_fixup_f64 v[132:133], v[132:133], v[130:131], 1.0
	v_mul_f64 v[130:131], v[145:146], v[132:133]
	v_xor_b32_e32 v133, 0x80000000, v133
.LBB62_385:
	s_andn2_saveexec_b32 s1, s1
	s_cbranch_execz .LBB62_387
; %bb.386:
	v_div_scale_f64 v[145:146], null, v[130:131], v[130:131], v[132:133]
	v_div_scale_f64 v[151:152], vcc_lo, v[132:133], v[130:131], v[132:133]
	v_rcp_f64_e32 v[147:148], v[145:146]
	v_fma_f64 v[149:150], -v[145:146], v[147:148], 1.0
	v_fma_f64 v[147:148], v[147:148], v[149:150], v[147:148]
	v_fma_f64 v[149:150], -v[145:146], v[147:148], 1.0
	v_fma_f64 v[147:148], v[147:148], v[149:150], v[147:148]
	v_mul_f64 v[149:150], v[151:152], v[147:148]
	v_fma_f64 v[145:146], -v[145:146], v[149:150], v[151:152]
	v_div_fmas_f64 v[145:146], v[145:146], v[147:148], v[149:150]
	v_div_fixup_f64 v[145:146], v[145:146], v[130:131], v[132:133]
	v_fma_f64 v[130:131], v[132:133], v[145:146], v[130:131]
	v_div_scale_f64 v[132:133], null, v[130:131], v[130:131], 1.0
	v_rcp_f64_e32 v[147:148], v[132:133]
	v_fma_f64 v[149:150], -v[132:133], v[147:148], 1.0
	v_fma_f64 v[147:148], v[147:148], v[149:150], v[147:148]
	v_fma_f64 v[149:150], -v[132:133], v[147:148], 1.0
	v_fma_f64 v[147:148], v[147:148], v[149:150], v[147:148]
	v_div_scale_f64 v[149:150], vcc_lo, 1.0, v[130:131], 1.0
	v_mul_f64 v[151:152], v[149:150], v[147:148]
	v_fma_f64 v[132:133], -v[132:133], v[151:152], v[149:150]
	v_div_fmas_f64 v[132:133], v[132:133], v[147:148], v[151:152]
	v_div_fixup_f64 v[130:131], v[132:133], v[130:131], 1.0
	v_mul_f64 v[132:133], v[145:146], -v[130:131]
.LBB62_387:
	s_or_b32 exec_lo, exec_lo, s1
.LBB62_388:
	s_or_b32 exec_lo, exec_lo, s0
	s_mov_b32 s0, exec_lo
	v_cmpx_ne_u32_e64 v144, v138
	s_xor_b32 s0, exec_lo, s0
	s_cbranch_execz .LBB62_394
; %bb.389:
	s_mov_b32 s1, exec_lo
	v_cmpx_eq_u32_e32 18, v144
	s_cbranch_execz .LBB62_393
; %bb.390:
	v_cmp_ne_u32_e32 vcc_lo, 18, v138
	s_xor_b32 s2, s16, -1
	s_and_b32 s3, s2, vcc_lo
	s_and_saveexec_b32 s2, s3
	s_cbranch_execz .LBB62_392
; %bb.391:
	v_ashrrev_i32_e32 v139, 31, v138
	v_lshlrev_b64 v[144:145], 2, v[138:139]
	v_add_co_u32 v144, vcc_lo, v136, v144
	v_add_co_ci_u32_e64 v145, null, v137, v145, vcc_lo
	s_clause 0x1
	global_load_dword v0, v[144:145], off
	global_load_dword v139, v[136:137], off offset:72
	s_waitcnt vmcnt(1)
	global_store_dword v[136:137], v0, off offset:72
	s_waitcnt vmcnt(0)
	global_store_dword v[144:145], v139, off
.LBB62_392:
	s_or_b32 exec_lo, exec_lo, s2
	v_mov_b32_e32 v144, v138
	v_mov_b32_e32 v0, v138
.LBB62_393:
	s_or_b32 exec_lo, exec_lo, s1
.LBB62_394:
	s_andn2_saveexec_b32 s0, s0
	s_cbranch_execz .LBB62_396
; %bb.395:
	v_mov_b32_e32 v144, 18
	ds_write2_b64 v1, v[50:51], v[52:53] offset0:38 offset1:39
	ds_write2_b64 v1, v[46:47], v[48:49] offset0:40 offset1:41
	;; [unrolled: 1-line block ×13, first 2 shown]
.LBB62_396:
	s_or_b32 exec_lo, exec_lo, s0
	s_mov_b32 s0, exec_lo
	s_waitcnt lgkmcnt(0)
	s_waitcnt_vscnt null, 0x0
	s_barrier
	buffer_gl0_inv
	v_cmpx_lt_i32_e32 18, v144
	s_cbranch_execz .LBB62_398
; %bb.397:
	v_mul_f64 v[138:139], v[130:131], v[56:57]
	v_mul_f64 v[56:57], v[132:133], v[56:57]
	v_fma_f64 v[138:139], v[132:133], v[54:55], v[138:139]
	v_fma_f64 v[54:55], v[130:131], v[54:55], -v[56:57]
	ds_read2_b64 v[130:133], v1 offset0:38 offset1:39
	s_waitcnt lgkmcnt(0)
	v_mul_f64 v[56:57], v[132:133], v[138:139]
	v_fma_f64 v[56:57], v[130:131], v[54:55], -v[56:57]
	v_mul_f64 v[130:131], v[130:131], v[138:139]
	v_add_f64 v[50:51], v[50:51], -v[56:57]
	v_fma_f64 v[130:131], v[132:133], v[54:55], v[130:131]
	v_add_f64 v[52:53], v[52:53], -v[130:131]
	ds_read2_b64 v[130:133], v1 offset0:40 offset1:41
	s_waitcnt lgkmcnt(0)
	v_mul_f64 v[56:57], v[132:133], v[138:139]
	v_fma_f64 v[56:57], v[130:131], v[54:55], -v[56:57]
	v_mul_f64 v[130:131], v[130:131], v[138:139]
	v_add_f64 v[46:47], v[46:47], -v[56:57]
	v_fma_f64 v[130:131], v[132:133], v[54:55], v[130:131]
	v_add_f64 v[48:49], v[48:49], -v[130:131]
	ds_read2_b64 v[130:133], v1 offset0:42 offset1:43
	s_waitcnt lgkmcnt(0)
	v_mul_f64 v[56:57], v[132:133], v[138:139]
	v_fma_f64 v[56:57], v[130:131], v[54:55], -v[56:57]
	v_mul_f64 v[130:131], v[130:131], v[138:139]
	v_add_f64 v[42:43], v[42:43], -v[56:57]
	v_fma_f64 v[130:131], v[132:133], v[54:55], v[130:131]
	v_add_f64 v[44:45], v[44:45], -v[130:131]
	ds_read2_b64 v[130:133], v1 offset0:44 offset1:45
	s_waitcnt lgkmcnt(0)
	v_mul_f64 v[56:57], v[132:133], v[138:139]
	v_fma_f64 v[56:57], v[130:131], v[54:55], -v[56:57]
	v_mul_f64 v[130:131], v[130:131], v[138:139]
	v_add_f64 v[38:39], v[38:39], -v[56:57]
	v_fma_f64 v[130:131], v[132:133], v[54:55], v[130:131]
	v_add_f64 v[40:41], v[40:41], -v[130:131]
	ds_read2_b64 v[130:133], v1 offset0:46 offset1:47
	s_waitcnt lgkmcnt(0)
	v_mul_f64 v[56:57], v[132:133], v[138:139]
	v_fma_f64 v[56:57], v[130:131], v[54:55], -v[56:57]
	v_mul_f64 v[130:131], v[130:131], v[138:139]
	v_add_f64 v[34:35], v[34:35], -v[56:57]
	v_fma_f64 v[130:131], v[132:133], v[54:55], v[130:131]
	v_add_f64 v[36:37], v[36:37], -v[130:131]
	ds_read2_b64 v[130:133], v1 offset0:48 offset1:49
	s_waitcnt lgkmcnt(0)
	v_mul_f64 v[56:57], v[132:133], v[138:139]
	v_fma_f64 v[56:57], v[130:131], v[54:55], -v[56:57]
	v_mul_f64 v[130:131], v[130:131], v[138:139]
	v_add_f64 v[30:31], v[30:31], -v[56:57]
	v_fma_f64 v[130:131], v[132:133], v[54:55], v[130:131]
	v_add_f64 v[32:33], v[32:33], -v[130:131]
	ds_read2_b64 v[130:133], v1 offset0:50 offset1:51
	s_waitcnt lgkmcnt(0)
	v_mul_f64 v[56:57], v[132:133], v[138:139]
	v_fma_f64 v[56:57], v[130:131], v[54:55], -v[56:57]
	v_mul_f64 v[130:131], v[130:131], v[138:139]
	v_add_f64 v[26:27], v[26:27], -v[56:57]
	v_fma_f64 v[130:131], v[132:133], v[54:55], v[130:131]
	v_add_f64 v[28:29], v[28:29], -v[130:131]
	ds_read2_b64 v[130:133], v1 offset0:52 offset1:53
	s_waitcnt lgkmcnt(0)
	v_mul_f64 v[56:57], v[132:133], v[138:139]
	v_fma_f64 v[56:57], v[130:131], v[54:55], -v[56:57]
	v_mul_f64 v[130:131], v[130:131], v[138:139]
	v_add_f64 v[22:23], v[22:23], -v[56:57]
	v_fma_f64 v[130:131], v[132:133], v[54:55], v[130:131]
	v_add_f64 v[24:25], v[24:25], -v[130:131]
	ds_read2_b64 v[130:133], v1 offset0:54 offset1:55
	s_waitcnt lgkmcnt(0)
	v_mul_f64 v[56:57], v[132:133], v[138:139]
	v_fma_f64 v[56:57], v[130:131], v[54:55], -v[56:57]
	v_mul_f64 v[130:131], v[130:131], v[138:139]
	v_add_f64 v[18:19], v[18:19], -v[56:57]
	v_fma_f64 v[130:131], v[132:133], v[54:55], v[130:131]
	v_add_f64 v[20:21], v[20:21], -v[130:131]
	ds_read2_b64 v[130:133], v1 offset0:56 offset1:57
	s_waitcnt lgkmcnt(0)
	v_mul_f64 v[56:57], v[132:133], v[138:139]
	v_fma_f64 v[56:57], v[130:131], v[54:55], -v[56:57]
	v_mul_f64 v[130:131], v[130:131], v[138:139]
	v_add_f64 v[14:15], v[14:15], -v[56:57]
	v_fma_f64 v[130:131], v[132:133], v[54:55], v[130:131]
	v_add_f64 v[16:17], v[16:17], -v[130:131]
	ds_read2_b64 v[130:133], v1 offset0:58 offset1:59
	s_waitcnt lgkmcnt(0)
	v_mul_f64 v[56:57], v[132:133], v[138:139]
	v_fma_f64 v[56:57], v[130:131], v[54:55], -v[56:57]
	v_mul_f64 v[130:131], v[130:131], v[138:139]
	v_add_f64 v[10:11], v[10:11], -v[56:57]
	v_fma_f64 v[130:131], v[132:133], v[54:55], v[130:131]
	v_add_f64 v[12:13], v[12:13], -v[130:131]
	ds_read2_b64 v[130:133], v1 offset0:60 offset1:61
	s_waitcnt lgkmcnt(0)
	v_mul_f64 v[56:57], v[132:133], v[138:139]
	v_fma_f64 v[56:57], v[130:131], v[54:55], -v[56:57]
	v_mul_f64 v[130:131], v[130:131], v[138:139]
	v_add_f64 v[6:7], v[6:7], -v[56:57]
	v_fma_f64 v[130:131], v[132:133], v[54:55], v[130:131]
	v_add_f64 v[8:9], v[8:9], -v[130:131]
	ds_read2_b64 v[130:133], v1 offset0:62 offset1:63
	s_waitcnt lgkmcnt(0)
	v_mul_f64 v[56:57], v[132:133], v[138:139]
	v_fma_f64 v[56:57], v[130:131], v[54:55], -v[56:57]
	v_mul_f64 v[130:131], v[130:131], v[138:139]
	v_add_f64 v[2:3], v[2:3], -v[56:57]
	v_fma_f64 v[130:131], v[132:133], v[54:55], v[130:131]
	v_mov_b32_e32 v56, v138
	v_mov_b32_e32 v57, v139
	v_add_f64 v[4:5], v[4:5], -v[130:131]
.LBB62_398:
	s_or_b32 exec_lo, exec_lo, s0
	v_lshl_add_u32 v130, v144, 4, v1
	s_barrier
	buffer_gl0_inv
	v_mov_b32_e32 v138, 19
	ds_write2_b64 v130, v[50:51], v[52:53] offset1:1
	s_waitcnt lgkmcnt(0)
	s_barrier
	buffer_gl0_inv
	ds_read2_b64 v[130:133], v1 offset0:38 offset1:39
	s_cmp_lt_i32 s18, 21
	s_cbranch_scc1 .LBB62_401
; %bb.399:
	v_add3_u32 v139, v140, 0, 0x140
	v_mov_b32_e32 v138, 19
	s_mov_b32 s1, 20
	s_inst_prefetch 0x1
	.p2align	6
.LBB62_400:                             ; =>This Inner Loop Header: Depth=1
	s_waitcnt lgkmcnt(0)
	v_cmp_gt_f64_e32 vcc_lo, 0, v[132:133]
	v_cmp_gt_f64_e64 s0, 0, v[130:131]
	ds_read2_b64 v[145:148], v139 offset1:1
	v_xor_b32_e32 v150, 0x80000000, v131
	v_xor_b32_e32 v152, 0x80000000, v133
	v_mov_b32_e32 v149, v130
	v_mov_b32_e32 v151, v132
	v_add_nc_u32_e32 v139, 16, v139
	s_waitcnt lgkmcnt(0)
	v_xor_b32_e32 v154, 0x80000000, v148
	v_cndmask_b32_e64 v150, v131, v150, s0
	v_cndmask_b32_e32 v152, v133, v152, vcc_lo
	v_cmp_gt_f64_e32 vcc_lo, 0, v[147:148]
	v_cmp_gt_f64_e64 s0, 0, v[145:146]
	v_mov_b32_e32 v153, v147
	v_add_f64 v[149:150], v[149:150], v[151:152]
	v_xor_b32_e32 v152, 0x80000000, v146
	v_mov_b32_e32 v151, v145
	v_cndmask_b32_e32 v154, v148, v154, vcc_lo
	v_cndmask_b32_e64 v152, v146, v152, s0
	v_add_f64 v[151:152], v[151:152], v[153:154]
	v_cmp_lt_f64_e32 vcc_lo, v[149:150], v[151:152]
	v_cndmask_b32_e32 v131, v131, v146, vcc_lo
	v_cndmask_b32_e32 v130, v130, v145, vcc_lo
	;; [unrolled: 1-line block ×4, first 2 shown]
	v_cndmask_b32_e64 v138, v138, s1, vcc_lo
	s_add_i32 s1, s1, 1
	s_cmp_lg_u32 s18, s1
	s_cbranch_scc1 .LBB62_400
.LBB62_401:
	s_inst_prefetch 0x2
	s_waitcnt lgkmcnt(0)
	v_cmp_eq_f64_e32 vcc_lo, 0, v[130:131]
	v_cmp_eq_f64_e64 s0, 0, v[132:133]
	s_and_b32 s0, vcc_lo, s0
	s_and_saveexec_b32 s1, s0
	s_xor_b32 s0, exec_lo, s1
; %bb.402:
	v_cmp_ne_u32_e32 vcc_lo, 0, v143
	v_cndmask_b32_e32 v143, 20, v143, vcc_lo
; %bb.403:
	s_andn2_saveexec_b32 s0, s0
	s_cbranch_execz .LBB62_409
; %bb.404:
	v_cmp_ngt_f64_e64 s1, |v[130:131]|, |v[132:133]|
	s_and_saveexec_b32 s2, s1
	s_xor_b32 s1, exec_lo, s2
	s_cbranch_execz .LBB62_406
; %bb.405:
	v_div_scale_f64 v[145:146], null, v[132:133], v[132:133], v[130:131]
	v_div_scale_f64 v[151:152], vcc_lo, v[130:131], v[132:133], v[130:131]
	v_rcp_f64_e32 v[147:148], v[145:146]
	v_fma_f64 v[149:150], -v[145:146], v[147:148], 1.0
	v_fma_f64 v[147:148], v[147:148], v[149:150], v[147:148]
	v_fma_f64 v[149:150], -v[145:146], v[147:148], 1.0
	v_fma_f64 v[147:148], v[147:148], v[149:150], v[147:148]
	v_mul_f64 v[149:150], v[151:152], v[147:148]
	v_fma_f64 v[145:146], -v[145:146], v[149:150], v[151:152]
	v_div_fmas_f64 v[145:146], v[145:146], v[147:148], v[149:150]
	v_div_fixup_f64 v[145:146], v[145:146], v[132:133], v[130:131]
	v_fma_f64 v[130:131], v[130:131], v[145:146], v[132:133]
	v_div_scale_f64 v[132:133], null, v[130:131], v[130:131], 1.0
	v_rcp_f64_e32 v[147:148], v[132:133]
	v_fma_f64 v[149:150], -v[132:133], v[147:148], 1.0
	v_fma_f64 v[147:148], v[147:148], v[149:150], v[147:148]
	v_fma_f64 v[149:150], -v[132:133], v[147:148], 1.0
	v_fma_f64 v[147:148], v[147:148], v[149:150], v[147:148]
	v_div_scale_f64 v[149:150], vcc_lo, 1.0, v[130:131], 1.0
	v_mul_f64 v[151:152], v[149:150], v[147:148]
	v_fma_f64 v[132:133], -v[132:133], v[151:152], v[149:150]
	v_div_fmas_f64 v[132:133], v[132:133], v[147:148], v[151:152]
	v_div_fixup_f64 v[132:133], v[132:133], v[130:131], 1.0
	v_mul_f64 v[130:131], v[145:146], v[132:133]
	v_xor_b32_e32 v133, 0x80000000, v133
.LBB62_406:
	s_andn2_saveexec_b32 s1, s1
	s_cbranch_execz .LBB62_408
; %bb.407:
	v_div_scale_f64 v[145:146], null, v[130:131], v[130:131], v[132:133]
	v_div_scale_f64 v[151:152], vcc_lo, v[132:133], v[130:131], v[132:133]
	v_rcp_f64_e32 v[147:148], v[145:146]
	v_fma_f64 v[149:150], -v[145:146], v[147:148], 1.0
	v_fma_f64 v[147:148], v[147:148], v[149:150], v[147:148]
	v_fma_f64 v[149:150], -v[145:146], v[147:148], 1.0
	v_fma_f64 v[147:148], v[147:148], v[149:150], v[147:148]
	v_mul_f64 v[149:150], v[151:152], v[147:148]
	v_fma_f64 v[145:146], -v[145:146], v[149:150], v[151:152]
	v_div_fmas_f64 v[145:146], v[145:146], v[147:148], v[149:150]
	v_div_fixup_f64 v[145:146], v[145:146], v[130:131], v[132:133]
	v_fma_f64 v[130:131], v[132:133], v[145:146], v[130:131]
	v_div_scale_f64 v[132:133], null, v[130:131], v[130:131], 1.0
	v_rcp_f64_e32 v[147:148], v[132:133]
	v_fma_f64 v[149:150], -v[132:133], v[147:148], 1.0
	v_fma_f64 v[147:148], v[147:148], v[149:150], v[147:148]
	v_fma_f64 v[149:150], -v[132:133], v[147:148], 1.0
	v_fma_f64 v[147:148], v[147:148], v[149:150], v[147:148]
	v_div_scale_f64 v[149:150], vcc_lo, 1.0, v[130:131], 1.0
	v_mul_f64 v[151:152], v[149:150], v[147:148]
	v_fma_f64 v[132:133], -v[132:133], v[151:152], v[149:150]
	v_div_fmas_f64 v[132:133], v[132:133], v[147:148], v[151:152]
	v_div_fixup_f64 v[130:131], v[132:133], v[130:131], 1.0
	v_mul_f64 v[132:133], v[145:146], -v[130:131]
.LBB62_408:
	s_or_b32 exec_lo, exec_lo, s1
.LBB62_409:
	s_or_b32 exec_lo, exec_lo, s0
	s_mov_b32 s0, exec_lo
	v_cmpx_ne_u32_e64 v144, v138
	s_xor_b32 s0, exec_lo, s0
	s_cbranch_execz .LBB62_415
; %bb.410:
	s_mov_b32 s1, exec_lo
	v_cmpx_eq_u32_e32 19, v144
	s_cbranch_execz .LBB62_414
; %bb.411:
	v_cmp_ne_u32_e32 vcc_lo, 19, v138
	s_xor_b32 s2, s16, -1
	s_and_b32 s3, s2, vcc_lo
	s_and_saveexec_b32 s2, s3
	s_cbranch_execz .LBB62_413
; %bb.412:
	v_ashrrev_i32_e32 v139, 31, v138
	v_lshlrev_b64 v[144:145], 2, v[138:139]
	v_add_co_u32 v144, vcc_lo, v136, v144
	v_add_co_ci_u32_e64 v145, null, v137, v145, vcc_lo
	s_clause 0x1
	global_load_dword v0, v[144:145], off
	global_load_dword v139, v[136:137], off offset:76
	s_waitcnt vmcnt(1)
	global_store_dword v[136:137], v0, off offset:76
	s_waitcnt vmcnt(0)
	global_store_dword v[144:145], v139, off
.LBB62_413:
	s_or_b32 exec_lo, exec_lo, s2
	v_mov_b32_e32 v144, v138
	v_mov_b32_e32 v0, v138
.LBB62_414:
	s_or_b32 exec_lo, exec_lo, s1
.LBB62_415:
	s_andn2_saveexec_b32 s0, s0
	s_cbranch_execz .LBB62_417
; %bb.416:
	v_mov_b32_e32 v144, 19
	ds_write2_b64 v1, v[46:47], v[48:49] offset0:40 offset1:41
	ds_write2_b64 v1, v[42:43], v[44:45] offset0:42 offset1:43
	;; [unrolled: 1-line block ×12, first 2 shown]
.LBB62_417:
	s_or_b32 exec_lo, exec_lo, s0
	s_mov_b32 s0, exec_lo
	s_waitcnt lgkmcnt(0)
	s_waitcnt_vscnt null, 0x0
	s_barrier
	buffer_gl0_inv
	v_cmpx_lt_i32_e32 19, v144
	s_cbranch_execz .LBB62_419
; %bb.418:
	v_mul_f64 v[138:139], v[130:131], v[52:53]
	v_mul_f64 v[52:53], v[132:133], v[52:53]
	v_fma_f64 v[138:139], v[132:133], v[50:51], v[138:139]
	v_fma_f64 v[50:51], v[130:131], v[50:51], -v[52:53]
	ds_read2_b64 v[130:133], v1 offset0:40 offset1:41
	s_waitcnt lgkmcnt(0)
	v_mul_f64 v[52:53], v[132:133], v[138:139]
	v_fma_f64 v[52:53], v[130:131], v[50:51], -v[52:53]
	v_mul_f64 v[130:131], v[130:131], v[138:139]
	v_add_f64 v[46:47], v[46:47], -v[52:53]
	v_fma_f64 v[130:131], v[132:133], v[50:51], v[130:131]
	v_add_f64 v[48:49], v[48:49], -v[130:131]
	ds_read2_b64 v[130:133], v1 offset0:42 offset1:43
	s_waitcnt lgkmcnt(0)
	v_mul_f64 v[52:53], v[132:133], v[138:139]
	v_fma_f64 v[52:53], v[130:131], v[50:51], -v[52:53]
	v_mul_f64 v[130:131], v[130:131], v[138:139]
	v_add_f64 v[42:43], v[42:43], -v[52:53]
	v_fma_f64 v[130:131], v[132:133], v[50:51], v[130:131]
	v_add_f64 v[44:45], v[44:45], -v[130:131]
	;; [unrolled: 8-line block ×11, first 2 shown]
	ds_read2_b64 v[130:133], v1 offset0:62 offset1:63
	s_waitcnt lgkmcnt(0)
	v_mul_f64 v[52:53], v[132:133], v[138:139]
	v_fma_f64 v[52:53], v[130:131], v[50:51], -v[52:53]
	v_mul_f64 v[130:131], v[130:131], v[138:139]
	v_add_f64 v[2:3], v[2:3], -v[52:53]
	v_fma_f64 v[130:131], v[132:133], v[50:51], v[130:131]
	v_mov_b32_e32 v52, v138
	v_mov_b32_e32 v53, v139
	v_add_f64 v[4:5], v[4:5], -v[130:131]
.LBB62_419:
	s_or_b32 exec_lo, exec_lo, s0
	v_lshl_add_u32 v130, v144, 4, v1
	s_barrier
	buffer_gl0_inv
	v_mov_b32_e32 v138, 20
	ds_write2_b64 v130, v[46:47], v[48:49] offset1:1
	s_waitcnt lgkmcnt(0)
	s_barrier
	buffer_gl0_inv
	ds_read2_b64 v[130:133], v1 offset0:40 offset1:41
	s_cmp_lt_i32 s18, 22
	s_cbranch_scc1 .LBB62_422
; %bb.420:
	v_add3_u32 v139, v140, 0, 0x150
	v_mov_b32_e32 v138, 20
	s_mov_b32 s1, 21
	s_inst_prefetch 0x1
	.p2align	6
.LBB62_421:                             ; =>This Inner Loop Header: Depth=1
	s_waitcnt lgkmcnt(0)
	v_cmp_gt_f64_e32 vcc_lo, 0, v[132:133]
	v_cmp_gt_f64_e64 s0, 0, v[130:131]
	ds_read2_b64 v[145:148], v139 offset1:1
	v_xor_b32_e32 v150, 0x80000000, v131
	v_xor_b32_e32 v152, 0x80000000, v133
	v_mov_b32_e32 v149, v130
	v_mov_b32_e32 v151, v132
	v_add_nc_u32_e32 v139, 16, v139
	s_waitcnt lgkmcnt(0)
	v_xor_b32_e32 v154, 0x80000000, v148
	v_cndmask_b32_e64 v150, v131, v150, s0
	v_cndmask_b32_e32 v152, v133, v152, vcc_lo
	v_cmp_gt_f64_e32 vcc_lo, 0, v[147:148]
	v_cmp_gt_f64_e64 s0, 0, v[145:146]
	v_mov_b32_e32 v153, v147
	v_add_f64 v[149:150], v[149:150], v[151:152]
	v_xor_b32_e32 v152, 0x80000000, v146
	v_mov_b32_e32 v151, v145
	v_cndmask_b32_e32 v154, v148, v154, vcc_lo
	v_cndmask_b32_e64 v152, v146, v152, s0
	v_add_f64 v[151:152], v[151:152], v[153:154]
	v_cmp_lt_f64_e32 vcc_lo, v[149:150], v[151:152]
	v_cndmask_b32_e32 v131, v131, v146, vcc_lo
	v_cndmask_b32_e32 v130, v130, v145, vcc_lo
	v_cndmask_b32_e32 v133, v133, v148, vcc_lo
	v_cndmask_b32_e32 v132, v132, v147, vcc_lo
	v_cndmask_b32_e64 v138, v138, s1, vcc_lo
	s_add_i32 s1, s1, 1
	s_cmp_lg_u32 s18, s1
	s_cbranch_scc1 .LBB62_421
.LBB62_422:
	s_inst_prefetch 0x2
	s_waitcnt lgkmcnt(0)
	v_cmp_eq_f64_e32 vcc_lo, 0, v[130:131]
	v_cmp_eq_f64_e64 s0, 0, v[132:133]
	s_and_b32 s0, vcc_lo, s0
	s_and_saveexec_b32 s1, s0
	s_xor_b32 s0, exec_lo, s1
; %bb.423:
	v_cmp_ne_u32_e32 vcc_lo, 0, v143
	v_cndmask_b32_e32 v143, 21, v143, vcc_lo
; %bb.424:
	s_andn2_saveexec_b32 s0, s0
	s_cbranch_execz .LBB62_430
; %bb.425:
	v_cmp_ngt_f64_e64 s1, |v[130:131]|, |v[132:133]|
	s_and_saveexec_b32 s2, s1
	s_xor_b32 s1, exec_lo, s2
	s_cbranch_execz .LBB62_427
; %bb.426:
	v_div_scale_f64 v[145:146], null, v[132:133], v[132:133], v[130:131]
	v_div_scale_f64 v[151:152], vcc_lo, v[130:131], v[132:133], v[130:131]
	v_rcp_f64_e32 v[147:148], v[145:146]
	v_fma_f64 v[149:150], -v[145:146], v[147:148], 1.0
	v_fma_f64 v[147:148], v[147:148], v[149:150], v[147:148]
	v_fma_f64 v[149:150], -v[145:146], v[147:148], 1.0
	v_fma_f64 v[147:148], v[147:148], v[149:150], v[147:148]
	v_mul_f64 v[149:150], v[151:152], v[147:148]
	v_fma_f64 v[145:146], -v[145:146], v[149:150], v[151:152]
	v_div_fmas_f64 v[145:146], v[145:146], v[147:148], v[149:150]
	v_div_fixup_f64 v[145:146], v[145:146], v[132:133], v[130:131]
	v_fma_f64 v[130:131], v[130:131], v[145:146], v[132:133]
	v_div_scale_f64 v[132:133], null, v[130:131], v[130:131], 1.0
	v_rcp_f64_e32 v[147:148], v[132:133]
	v_fma_f64 v[149:150], -v[132:133], v[147:148], 1.0
	v_fma_f64 v[147:148], v[147:148], v[149:150], v[147:148]
	v_fma_f64 v[149:150], -v[132:133], v[147:148], 1.0
	v_fma_f64 v[147:148], v[147:148], v[149:150], v[147:148]
	v_div_scale_f64 v[149:150], vcc_lo, 1.0, v[130:131], 1.0
	v_mul_f64 v[151:152], v[149:150], v[147:148]
	v_fma_f64 v[132:133], -v[132:133], v[151:152], v[149:150]
	v_div_fmas_f64 v[132:133], v[132:133], v[147:148], v[151:152]
	v_div_fixup_f64 v[132:133], v[132:133], v[130:131], 1.0
	v_mul_f64 v[130:131], v[145:146], v[132:133]
	v_xor_b32_e32 v133, 0x80000000, v133
.LBB62_427:
	s_andn2_saveexec_b32 s1, s1
	s_cbranch_execz .LBB62_429
; %bb.428:
	v_div_scale_f64 v[145:146], null, v[130:131], v[130:131], v[132:133]
	v_div_scale_f64 v[151:152], vcc_lo, v[132:133], v[130:131], v[132:133]
	v_rcp_f64_e32 v[147:148], v[145:146]
	v_fma_f64 v[149:150], -v[145:146], v[147:148], 1.0
	v_fma_f64 v[147:148], v[147:148], v[149:150], v[147:148]
	v_fma_f64 v[149:150], -v[145:146], v[147:148], 1.0
	v_fma_f64 v[147:148], v[147:148], v[149:150], v[147:148]
	v_mul_f64 v[149:150], v[151:152], v[147:148]
	v_fma_f64 v[145:146], -v[145:146], v[149:150], v[151:152]
	v_div_fmas_f64 v[145:146], v[145:146], v[147:148], v[149:150]
	v_div_fixup_f64 v[145:146], v[145:146], v[130:131], v[132:133]
	v_fma_f64 v[130:131], v[132:133], v[145:146], v[130:131]
	v_div_scale_f64 v[132:133], null, v[130:131], v[130:131], 1.0
	v_rcp_f64_e32 v[147:148], v[132:133]
	v_fma_f64 v[149:150], -v[132:133], v[147:148], 1.0
	v_fma_f64 v[147:148], v[147:148], v[149:150], v[147:148]
	v_fma_f64 v[149:150], -v[132:133], v[147:148], 1.0
	v_fma_f64 v[147:148], v[147:148], v[149:150], v[147:148]
	v_div_scale_f64 v[149:150], vcc_lo, 1.0, v[130:131], 1.0
	v_mul_f64 v[151:152], v[149:150], v[147:148]
	v_fma_f64 v[132:133], -v[132:133], v[151:152], v[149:150]
	v_div_fmas_f64 v[132:133], v[132:133], v[147:148], v[151:152]
	v_div_fixup_f64 v[130:131], v[132:133], v[130:131], 1.0
	v_mul_f64 v[132:133], v[145:146], -v[130:131]
.LBB62_429:
	s_or_b32 exec_lo, exec_lo, s1
.LBB62_430:
	s_or_b32 exec_lo, exec_lo, s0
	s_mov_b32 s0, exec_lo
	v_cmpx_ne_u32_e64 v144, v138
	s_xor_b32 s0, exec_lo, s0
	s_cbranch_execz .LBB62_436
; %bb.431:
	s_mov_b32 s1, exec_lo
	v_cmpx_eq_u32_e32 20, v144
	s_cbranch_execz .LBB62_435
; %bb.432:
	v_cmp_ne_u32_e32 vcc_lo, 20, v138
	s_xor_b32 s2, s16, -1
	s_and_b32 s3, s2, vcc_lo
	s_and_saveexec_b32 s2, s3
	s_cbranch_execz .LBB62_434
; %bb.433:
	v_ashrrev_i32_e32 v139, 31, v138
	v_lshlrev_b64 v[144:145], 2, v[138:139]
	v_add_co_u32 v144, vcc_lo, v136, v144
	v_add_co_ci_u32_e64 v145, null, v137, v145, vcc_lo
	s_clause 0x1
	global_load_dword v0, v[144:145], off
	global_load_dword v139, v[136:137], off offset:80
	s_waitcnt vmcnt(1)
	global_store_dword v[136:137], v0, off offset:80
	s_waitcnt vmcnt(0)
	global_store_dword v[144:145], v139, off
.LBB62_434:
	s_or_b32 exec_lo, exec_lo, s2
	v_mov_b32_e32 v144, v138
	v_mov_b32_e32 v0, v138
.LBB62_435:
	s_or_b32 exec_lo, exec_lo, s1
.LBB62_436:
	s_andn2_saveexec_b32 s0, s0
	s_cbranch_execz .LBB62_438
; %bb.437:
	v_mov_b32_e32 v144, 20
	ds_write2_b64 v1, v[42:43], v[44:45] offset0:42 offset1:43
	ds_write2_b64 v1, v[38:39], v[40:41] offset0:44 offset1:45
	;; [unrolled: 1-line block ×11, first 2 shown]
.LBB62_438:
	s_or_b32 exec_lo, exec_lo, s0
	s_mov_b32 s0, exec_lo
	s_waitcnt lgkmcnt(0)
	s_waitcnt_vscnt null, 0x0
	s_barrier
	buffer_gl0_inv
	v_cmpx_lt_i32_e32 20, v144
	s_cbranch_execz .LBB62_440
; %bb.439:
	v_mul_f64 v[138:139], v[130:131], v[48:49]
	v_mul_f64 v[48:49], v[132:133], v[48:49]
	v_fma_f64 v[138:139], v[132:133], v[46:47], v[138:139]
	v_fma_f64 v[46:47], v[130:131], v[46:47], -v[48:49]
	ds_read2_b64 v[130:133], v1 offset0:42 offset1:43
	s_waitcnt lgkmcnt(0)
	v_mul_f64 v[48:49], v[132:133], v[138:139]
	v_fma_f64 v[48:49], v[130:131], v[46:47], -v[48:49]
	v_mul_f64 v[130:131], v[130:131], v[138:139]
	v_add_f64 v[42:43], v[42:43], -v[48:49]
	v_fma_f64 v[130:131], v[132:133], v[46:47], v[130:131]
	v_add_f64 v[44:45], v[44:45], -v[130:131]
	ds_read2_b64 v[130:133], v1 offset0:44 offset1:45
	s_waitcnt lgkmcnt(0)
	v_mul_f64 v[48:49], v[132:133], v[138:139]
	v_fma_f64 v[48:49], v[130:131], v[46:47], -v[48:49]
	v_mul_f64 v[130:131], v[130:131], v[138:139]
	v_add_f64 v[38:39], v[38:39], -v[48:49]
	v_fma_f64 v[130:131], v[132:133], v[46:47], v[130:131]
	v_add_f64 v[40:41], v[40:41], -v[130:131]
	;; [unrolled: 8-line block ×10, first 2 shown]
	ds_read2_b64 v[130:133], v1 offset0:62 offset1:63
	s_waitcnt lgkmcnt(0)
	v_mul_f64 v[48:49], v[132:133], v[138:139]
	v_fma_f64 v[48:49], v[130:131], v[46:47], -v[48:49]
	v_mul_f64 v[130:131], v[130:131], v[138:139]
	v_add_f64 v[2:3], v[2:3], -v[48:49]
	v_fma_f64 v[130:131], v[132:133], v[46:47], v[130:131]
	v_mov_b32_e32 v48, v138
	v_mov_b32_e32 v49, v139
	v_add_f64 v[4:5], v[4:5], -v[130:131]
.LBB62_440:
	s_or_b32 exec_lo, exec_lo, s0
	v_lshl_add_u32 v130, v144, 4, v1
	s_barrier
	buffer_gl0_inv
	v_mov_b32_e32 v138, 21
	ds_write2_b64 v130, v[42:43], v[44:45] offset1:1
	s_waitcnt lgkmcnt(0)
	s_barrier
	buffer_gl0_inv
	ds_read2_b64 v[130:133], v1 offset0:42 offset1:43
	s_cmp_lt_i32 s18, 23
	s_cbranch_scc1 .LBB62_443
; %bb.441:
	v_add3_u32 v139, v140, 0, 0x160
	v_mov_b32_e32 v138, 21
	s_mov_b32 s1, 22
	s_inst_prefetch 0x1
	.p2align	6
.LBB62_442:                             ; =>This Inner Loop Header: Depth=1
	s_waitcnt lgkmcnt(0)
	v_cmp_gt_f64_e32 vcc_lo, 0, v[132:133]
	v_cmp_gt_f64_e64 s0, 0, v[130:131]
	ds_read2_b64 v[145:148], v139 offset1:1
	v_xor_b32_e32 v150, 0x80000000, v131
	v_xor_b32_e32 v152, 0x80000000, v133
	v_mov_b32_e32 v149, v130
	v_mov_b32_e32 v151, v132
	v_add_nc_u32_e32 v139, 16, v139
	s_waitcnt lgkmcnt(0)
	v_xor_b32_e32 v154, 0x80000000, v148
	v_cndmask_b32_e64 v150, v131, v150, s0
	v_cndmask_b32_e32 v152, v133, v152, vcc_lo
	v_cmp_gt_f64_e32 vcc_lo, 0, v[147:148]
	v_cmp_gt_f64_e64 s0, 0, v[145:146]
	v_mov_b32_e32 v153, v147
	v_add_f64 v[149:150], v[149:150], v[151:152]
	v_xor_b32_e32 v152, 0x80000000, v146
	v_mov_b32_e32 v151, v145
	v_cndmask_b32_e32 v154, v148, v154, vcc_lo
	v_cndmask_b32_e64 v152, v146, v152, s0
	v_add_f64 v[151:152], v[151:152], v[153:154]
	v_cmp_lt_f64_e32 vcc_lo, v[149:150], v[151:152]
	v_cndmask_b32_e32 v131, v131, v146, vcc_lo
	v_cndmask_b32_e32 v130, v130, v145, vcc_lo
	;; [unrolled: 1-line block ×4, first 2 shown]
	v_cndmask_b32_e64 v138, v138, s1, vcc_lo
	s_add_i32 s1, s1, 1
	s_cmp_lg_u32 s18, s1
	s_cbranch_scc1 .LBB62_442
.LBB62_443:
	s_inst_prefetch 0x2
	s_waitcnt lgkmcnt(0)
	v_cmp_eq_f64_e32 vcc_lo, 0, v[130:131]
	v_cmp_eq_f64_e64 s0, 0, v[132:133]
	s_and_b32 s0, vcc_lo, s0
	s_and_saveexec_b32 s1, s0
	s_xor_b32 s0, exec_lo, s1
; %bb.444:
	v_cmp_ne_u32_e32 vcc_lo, 0, v143
	v_cndmask_b32_e32 v143, 22, v143, vcc_lo
; %bb.445:
	s_andn2_saveexec_b32 s0, s0
	s_cbranch_execz .LBB62_451
; %bb.446:
	v_cmp_ngt_f64_e64 s1, |v[130:131]|, |v[132:133]|
	s_and_saveexec_b32 s2, s1
	s_xor_b32 s1, exec_lo, s2
	s_cbranch_execz .LBB62_448
; %bb.447:
	v_div_scale_f64 v[145:146], null, v[132:133], v[132:133], v[130:131]
	v_div_scale_f64 v[151:152], vcc_lo, v[130:131], v[132:133], v[130:131]
	v_rcp_f64_e32 v[147:148], v[145:146]
	v_fma_f64 v[149:150], -v[145:146], v[147:148], 1.0
	v_fma_f64 v[147:148], v[147:148], v[149:150], v[147:148]
	v_fma_f64 v[149:150], -v[145:146], v[147:148], 1.0
	v_fma_f64 v[147:148], v[147:148], v[149:150], v[147:148]
	v_mul_f64 v[149:150], v[151:152], v[147:148]
	v_fma_f64 v[145:146], -v[145:146], v[149:150], v[151:152]
	v_div_fmas_f64 v[145:146], v[145:146], v[147:148], v[149:150]
	v_div_fixup_f64 v[145:146], v[145:146], v[132:133], v[130:131]
	v_fma_f64 v[130:131], v[130:131], v[145:146], v[132:133]
	v_div_scale_f64 v[132:133], null, v[130:131], v[130:131], 1.0
	v_rcp_f64_e32 v[147:148], v[132:133]
	v_fma_f64 v[149:150], -v[132:133], v[147:148], 1.0
	v_fma_f64 v[147:148], v[147:148], v[149:150], v[147:148]
	v_fma_f64 v[149:150], -v[132:133], v[147:148], 1.0
	v_fma_f64 v[147:148], v[147:148], v[149:150], v[147:148]
	v_div_scale_f64 v[149:150], vcc_lo, 1.0, v[130:131], 1.0
	v_mul_f64 v[151:152], v[149:150], v[147:148]
	v_fma_f64 v[132:133], -v[132:133], v[151:152], v[149:150]
	v_div_fmas_f64 v[132:133], v[132:133], v[147:148], v[151:152]
	v_div_fixup_f64 v[132:133], v[132:133], v[130:131], 1.0
	v_mul_f64 v[130:131], v[145:146], v[132:133]
	v_xor_b32_e32 v133, 0x80000000, v133
.LBB62_448:
	s_andn2_saveexec_b32 s1, s1
	s_cbranch_execz .LBB62_450
; %bb.449:
	v_div_scale_f64 v[145:146], null, v[130:131], v[130:131], v[132:133]
	v_div_scale_f64 v[151:152], vcc_lo, v[132:133], v[130:131], v[132:133]
	v_rcp_f64_e32 v[147:148], v[145:146]
	v_fma_f64 v[149:150], -v[145:146], v[147:148], 1.0
	v_fma_f64 v[147:148], v[147:148], v[149:150], v[147:148]
	v_fma_f64 v[149:150], -v[145:146], v[147:148], 1.0
	v_fma_f64 v[147:148], v[147:148], v[149:150], v[147:148]
	v_mul_f64 v[149:150], v[151:152], v[147:148]
	v_fma_f64 v[145:146], -v[145:146], v[149:150], v[151:152]
	v_div_fmas_f64 v[145:146], v[145:146], v[147:148], v[149:150]
	v_div_fixup_f64 v[145:146], v[145:146], v[130:131], v[132:133]
	v_fma_f64 v[130:131], v[132:133], v[145:146], v[130:131]
	v_div_scale_f64 v[132:133], null, v[130:131], v[130:131], 1.0
	v_rcp_f64_e32 v[147:148], v[132:133]
	v_fma_f64 v[149:150], -v[132:133], v[147:148], 1.0
	v_fma_f64 v[147:148], v[147:148], v[149:150], v[147:148]
	v_fma_f64 v[149:150], -v[132:133], v[147:148], 1.0
	v_fma_f64 v[147:148], v[147:148], v[149:150], v[147:148]
	v_div_scale_f64 v[149:150], vcc_lo, 1.0, v[130:131], 1.0
	v_mul_f64 v[151:152], v[149:150], v[147:148]
	v_fma_f64 v[132:133], -v[132:133], v[151:152], v[149:150]
	v_div_fmas_f64 v[132:133], v[132:133], v[147:148], v[151:152]
	v_div_fixup_f64 v[130:131], v[132:133], v[130:131], 1.0
	v_mul_f64 v[132:133], v[145:146], -v[130:131]
.LBB62_450:
	s_or_b32 exec_lo, exec_lo, s1
.LBB62_451:
	s_or_b32 exec_lo, exec_lo, s0
	s_mov_b32 s0, exec_lo
	v_cmpx_ne_u32_e64 v144, v138
	s_xor_b32 s0, exec_lo, s0
	s_cbranch_execz .LBB62_457
; %bb.452:
	s_mov_b32 s1, exec_lo
	v_cmpx_eq_u32_e32 21, v144
	s_cbranch_execz .LBB62_456
; %bb.453:
	v_cmp_ne_u32_e32 vcc_lo, 21, v138
	s_xor_b32 s2, s16, -1
	s_and_b32 s3, s2, vcc_lo
	s_and_saveexec_b32 s2, s3
	s_cbranch_execz .LBB62_455
; %bb.454:
	v_ashrrev_i32_e32 v139, 31, v138
	v_lshlrev_b64 v[144:145], 2, v[138:139]
	v_add_co_u32 v144, vcc_lo, v136, v144
	v_add_co_ci_u32_e64 v145, null, v137, v145, vcc_lo
	s_clause 0x1
	global_load_dword v0, v[144:145], off
	global_load_dword v139, v[136:137], off offset:84
	s_waitcnt vmcnt(1)
	global_store_dword v[136:137], v0, off offset:84
	s_waitcnt vmcnt(0)
	global_store_dword v[144:145], v139, off
.LBB62_455:
	s_or_b32 exec_lo, exec_lo, s2
	v_mov_b32_e32 v144, v138
	v_mov_b32_e32 v0, v138
.LBB62_456:
	s_or_b32 exec_lo, exec_lo, s1
.LBB62_457:
	s_andn2_saveexec_b32 s0, s0
	s_cbranch_execz .LBB62_459
; %bb.458:
	v_mov_b32_e32 v144, 21
	ds_write2_b64 v1, v[38:39], v[40:41] offset0:44 offset1:45
	ds_write2_b64 v1, v[34:35], v[36:37] offset0:46 offset1:47
	ds_write2_b64 v1, v[30:31], v[32:33] offset0:48 offset1:49
	ds_write2_b64 v1, v[26:27], v[28:29] offset0:50 offset1:51
	ds_write2_b64 v1, v[22:23], v[24:25] offset0:52 offset1:53
	ds_write2_b64 v1, v[18:19], v[20:21] offset0:54 offset1:55
	ds_write2_b64 v1, v[14:15], v[16:17] offset0:56 offset1:57
	ds_write2_b64 v1, v[10:11], v[12:13] offset0:58 offset1:59
	ds_write2_b64 v1, v[6:7], v[8:9] offset0:60 offset1:61
	ds_write2_b64 v1, v[2:3], v[4:5] offset0:62 offset1:63
.LBB62_459:
	s_or_b32 exec_lo, exec_lo, s0
	s_mov_b32 s0, exec_lo
	s_waitcnt lgkmcnt(0)
	s_waitcnt_vscnt null, 0x0
	s_barrier
	buffer_gl0_inv
	v_cmpx_lt_i32_e32 21, v144
	s_cbranch_execz .LBB62_461
; %bb.460:
	v_mul_f64 v[138:139], v[130:131], v[44:45]
	v_mul_f64 v[44:45], v[132:133], v[44:45]
	v_fma_f64 v[138:139], v[132:133], v[42:43], v[138:139]
	v_fma_f64 v[42:43], v[130:131], v[42:43], -v[44:45]
	ds_read2_b64 v[130:133], v1 offset0:44 offset1:45
	s_waitcnt lgkmcnt(0)
	v_mul_f64 v[44:45], v[132:133], v[138:139]
	v_fma_f64 v[44:45], v[130:131], v[42:43], -v[44:45]
	v_mul_f64 v[130:131], v[130:131], v[138:139]
	v_add_f64 v[38:39], v[38:39], -v[44:45]
	v_fma_f64 v[130:131], v[132:133], v[42:43], v[130:131]
	v_add_f64 v[40:41], v[40:41], -v[130:131]
	ds_read2_b64 v[130:133], v1 offset0:46 offset1:47
	s_waitcnt lgkmcnt(0)
	v_mul_f64 v[44:45], v[132:133], v[138:139]
	v_fma_f64 v[44:45], v[130:131], v[42:43], -v[44:45]
	v_mul_f64 v[130:131], v[130:131], v[138:139]
	v_add_f64 v[34:35], v[34:35], -v[44:45]
	v_fma_f64 v[130:131], v[132:133], v[42:43], v[130:131]
	v_add_f64 v[36:37], v[36:37], -v[130:131]
	;; [unrolled: 8-line block ×9, first 2 shown]
	ds_read2_b64 v[130:133], v1 offset0:62 offset1:63
	s_waitcnt lgkmcnt(0)
	v_mul_f64 v[44:45], v[132:133], v[138:139]
	v_fma_f64 v[44:45], v[130:131], v[42:43], -v[44:45]
	v_mul_f64 v[130:131], v[130:131], v[138:139]
	v_add_f64 v[2:3], v[2:3], -v[44:45]
	v_fma_f64 v[130:131], v[132:133], v[42:43], v[130:131]
	v_mov_b32_e32 v44, v138
	v_mov_b32_e32 v45, v139
	v_add_f64 v[4:5], v[4:5], -v[130:131]
.LBB62_461:
	s_or_b32 exec_lo, exec_lo, s0
	v_lshl_add_u32 v130, v144, 4, v1
	s_barrier
	buffer_gl0_inv
	v_mov_b32_e32 v138, 22
	ds_write2_b64 v130, v[38:39], v[40:41] offset1:1
	s_waitcnt lgkmcnt(0)
	s_barrier
	buffer_gl0_inv
	ds_read2_b64 v[130:133], v1 offset0:44 offset1:45
	s_cmp_lt_i32 s18, 24
	s_cbranch_scc1 .LBB62_464
; %bb.462:
	v_add3_u32 v139, v140, 0, 0x170
	v_mov_b32_e32 v138, 22
	s_mov_b32 s1, 23
	s_inst_prefetch 0x1
	.p2align	6
.LBB62_463:                             ; =>This Inner Loop Header: Depth=1
	s_waitcnt lgkmcnt(0)
	v_cmp_gt_f64_e32 vcc_lo, 0, v[132:133]
	v_cmp_gt_f64_e64 s0, 0, v[130:131]
	ds_read2_b64 v[145:148], v139 offset1:1
	v_xor_b32_e32 v150, 0x80000000, v131
	v_xor_b32_e32 v152, 0x80000000, v133
	v_mov_b32_e32 v149, v130
	v_mov_b32_e32 v151, v132
	v_add_nc_u32_e32 v139, 16, v139
	s_waitcnt lgkmcnt(0)
	v_xor_b32_e32 v154, 0x80000000, v148
	v_cndmask_b32_e64 v150, v131, v150, s0
	v_cndmask_b32_e32 v152, v133, v152, vcc_lo
	v_cmp_gt_f64_e32 vcc_lo, 0, v[147:148]
	v_cmp_gt_f64_e64 s0, 0, v[145:146]
	v_mov_b32_e32 v153, v147
	v_add_f64 v[149:150], v[149:150], v[151:152]
	v_xor_b32_e32 v152, 0x80000000, v146
	v_mov_b32_e32 v151, v145
	v_cndmask_b32_e32 v154, v148, v154, vcc_lo
	v_cndmask_b32_e64 v152, v146, v152, s0
	v_add_f64 v[151:152], v[151:152], v[153:154]
	v_cmp_lt_f64_e32 vcc_lo, v[149:150], v[151:152]
	v_cndmask_b32_e32 v131, v131, v146, vcc_lo
	v_cndmask_b32_e32 v130, v130, v145, vcc_lo
	;; [unrolled: 1-line block ×4, first 2 shown]
	v_cndmask_b32_e64 v138, v138, s1, vcc_lo
	s_add_i32 s1, s1, 1
	s_cmp_lg_u32 s18, s1
	s_cbranch_scc1 .LBB62_463
.LBB62_464:
	s_inst_prefetch 0x2
	s_waitcnt lgkmcnt(0)
	v_cmp_eq_f64_e32 vcc_lo, 0, v[130:131]
	v_cmp_eq_f64_e64 s0, 0, v[132:133]
	s_and_b32 s0, vcc_lo, s0
	s_and_saveexec_b32 s1, s0
	s_xor_b32 s0, exec_lo, s1
; %bb.465:
	v_cmp_ne_u32_e32 vcc_lo, 0, v143
	v_cndmask_b32_e32 v143, 23, v143, vcc_lo
; %bb.466:
	s_andn2_saveexec_b32 s0, s0
	s_cbranch_execz .LBB62_472
; %bb.467:
	v_cmp_ngt_f64_e64 s1, |v[130:131]|, |v[132:133]|
	s_and_saveexec_b32 s2, s1
	s_xor_b32 s1, exec_lo, s2
	s_cbranch_execz .LBB62_469
; %bb.468:
	v_div_scale_f64 v[145:146], null, v[132:133], v[132:133], v[130:131]
	v_div_scale_f64 v[151:152], vcc_lo, v[130:131], v[132:133], v[130:131]
	v_rcp_f64_e32 v[147:148], v[145:146]
	v_fma_f64 v[149:150], -v[145:146], v[147:148], 1.0
	v_fma_f64 v[147:148], v[147:148], v[149:150], v[147:148]
	v_fma_f64 v[149:150], -v[145:146], v[147:148], 1.0
	v_fma_f64 v[147:148], v[147:148], v[149:150], v[147:148]
	v_mul_f64 v[149:150], v[151:152], v[147:148]
	v_fma_f64 v[145:146], -v[145:146], v[149:150], v[151:152]
	v_div_fmas_f64 v[145:146], v[145:146], v[147:148], v[149:150]
	v_div_fixup_f64 v[145:146], v[145:146], v[132:133], v[130:131]
	v_fma_f64 v[130:131], v[130:131], v[145:146], v[132:133]
	v_div_scale_f64 v[132:133], null, v[130:131], v[130:131], 1.0
	v_rcp_f64_e32 v[147:148], v[132:133]
	v_fma_f64 v[149:150], -v[132:133], v[147:148], 1.0
	v_fma_f64 v[147:148], v[147:148], v[149:150], v[147:148]
	v_fma_f64 v[149:150], -v[132:133], v[147:148], 1.0
	v_fma_f64 v[147:148], v[147:148], v[149:150], v[147:148]
	v_div_scale_f64 v[149:150], vcc_lo, 1.0, v[130:131], 1.0
	v_mul_f64 v[151:152], v[149:150], v[147:148]
	v_fma_f64 v[132:133], -v[132:133], v[151:152], v[149:150]
	v_div_fmas_f64 v[132:133], v[132:133], v[147:148], v[151:152]
	v_div_fixup_f64 v[132:133], v[132:133], v[130:131], 1.0
	v_mul_f64 v[130:131], v[145:146], v[132:133]
	v_xor_b32_e32 v133, 0x80000000, v133
.LBB62_469:
	s_andn2_saveexec_b32 s1, s1
	s_cbranch_execz .LBB62_471
; %bb.470:
	v_div_scale_f64 v[145:146], null, v[130:131], v[130:131], v[132:133]
	v_div_scale_f64 v[151:152], vcc_lo, v[132:133], v[130:131], v[132:133]
	v_rcp_f64_e32 v[147:148], v[145:146]
	v_fma_f64 v[149:150], -v[145:146], v[147:148], 1.0
	v_fma_f64 v[147:148], v[147:148], v[149:150], v[147:148]
	v_fma_f64 v[149:150], -v[145:146], v[147:148], 1.0
	v_fma_f64 v[147:148], v[147:148], v[149:150], v[147:148]
	v_mul_f64 v[149:150], v[151:152], v[147:148]
	v_fma_f64 v[145:146], -v[145:146], v[149:150], v[151:152]
	v_div_fmas_f64 v[145:146], v[145:146], v[147:148], v[149:150]
	v_div_fixup_f64 v[145:146], v[145:146], v[130:131], v[132:133]
	v_fma_f64 v[130:131], v[132:133], v[145:146], v[130:131]
	v_div_scale_f64 v[132:133], null, v[130:131], v[130:131], 1.0
	v_rcp_f64_e32 v[147:148], v[132:133]
	v_fma_f64 v[149:150], -v[132:133], v[147:148], 1.0
	v_fma_f64 v[147:148], v[147:148], v[149:150], v[147:148]
	v_fma_f64 v[149:150], -v[132:133], v[147:148], 1.0
	v_fma_f64 v[147:148], v[147:148], v[149:150], v[147:148]
	v_div_scale_f64 v[149:150], vcc_lo, 1.0, v[130:131], 1.0
	v_mul_f64 v[151:152], v[149:150], v[147:148]
	v_fma_f64 v[132:133], -v[132:133], v[151:152], v[149:150]
	v_div_fmas_f64 v[132:133], v[132:133], v[147:148], v[151:152]
	v_div_fixup_f64 v[130:131], v[132:133], v[130:131], 1.0
	v_mul_f64 v[132:133], v[145:146], -v[130:131]
.LBB62_471:
	s_or_b32 exec_lo, exec_lo, s1
.LBB62_472:
	s_or_b32 exec_lo, exec_lo, s0
	s_mov_b32 s0, exec_lo
	v_cmpx_ne_u32_e64 v144, v138
	s_xor_b32 s0, exec_lo, s0
	s_cbranch_execz .LBB62_478
; %bb.473:
	s_mov_b32 s1, exec_lo
	v_cmpx_eq_u32_e32 22, v144
	s_cbranch_execz .LBB62_477
; %bb.474:
	v_cmp_ne_u32_e32 vcc_lo, 22, v138
	s_xor_b32 s2, s16, -1
	s_and_b32 s3, s2, vcc_lo
	s_and_saveexec_b32 s2, s3
	s_cbranch_execz .LBB62_476
; %bb.475:
	v_ashrrev_i32_e32 v139, 31, v138
	v_lshlrev_b64 v[144:145], 2, v[138:139]
	v_add_co_u32 v144, vcc_lo, v136, v144
	v_add_co_ci_u32_e64 v145, null, v137, v145, vcc_lo
	s_clause 0x1
	global_load_dword v0, v[144:145], off
	global_load_dword v139, v[136:137], off offset:88
	s_waitcnt vmcnt(1)
	global_store_dword v[136:137], v0, off offset:88
	s_waitcnt vmcnt(0)
	global_store_dword v[144:145], v139, off
.LBB62_476:
	s_or_b32 exec_lo, exec_lo, s2
	v_mov_b32_e32 v144, v138
	v_mov_b32_e32 v0, v138
.LBB62_477:
	s_or_b32 exec_lo, exec_lo, s1
.LBB62_478:
	s_andn2_saveexec_b32 s0, s0
	s_cbranch_execz .LBB62_480
; %bb.479:
	v_mov_b32_e32 v144, 22
	ds_write2_b64 v1, v[34:35], v[36:37] offset0:46 offset1:47
	ds_write2_b64 v1, v[30:31], v[32:33] offset0:48 offset1:49
	;; [unrolled: 1-line block ×9, first 2 shown]
.LBB62_480:
	s_or_b32 exec_lo, exec_lo, s0
	s_mov_b32 s0, exec_lo
	s_waitcnt lgkmcnt(0)
	s_waitcnt_vscnt null, 0x0
	s_barrier
	buffer_gl0_inv
	v_cmpx_lt_i32_e32 22, v144
	s_cbranch_execz .LBB62_482
; %bb.481:
	v_mul_f64 v[138:139], v[130:131], v[40:41]
	v_mul_f64 v[40:41], v[132:133], v[40:41]
	v_fma_f64 v[138:139], v[132:133], v[38:39], v[138:139]
	v_fma_f64 v[38:39], v[130:131], v[38:39], -v[40:41]
	ds_read2_b64 v[130:133], v1 offset0:46 offset1:47
	s_waitcnt lgkmcnt(0)
	v_mul_f64 v[40:41], v[132:133], v[138:139]
	v_fma_f64 v[40:41], v[130:131], v[38:39], -v[40:41]
	v_mul_f64 v[130:131], v[130:131], v[138:139]
	v_add_f64 v[34:35], v[34:35], -v[40:41]
	v_fma_f64 v[130:131], v[132:133], v[38:39], v[130:131]
	v_add_f64 v[36:37], v[36:37], -v[130:131]
	ds_read2_b64 v[130:133], v1 offset0:48 offset1:49
	s_waitcnt lgkmcnt(0)
	v_mul_f64 v[40:41], v[132:133], v[138:139]
	v_fma_f64 v[40:41], v[130:131], v[38:39], -v[40:41]
	v_mul_f64 v[130:131], v[130:131], v[138:139]
	v_add_f64 v[30:31], v[30:31], -v[40:41]
	v_fma_f64 v[130:131], v[132:133], v[38:39], v[130:131]
	v_add_f64 v[32:33], v[32:33], -v[130:131]
	;; [unrolled: 8-line block ×8, first 2 shown]
	ds_read2_b64 v[130:133], v1 offset0:62 offset1:63
	s_waitcnt lgkmcnt(0)
	v_mul_f64 v[40:41], v[132:133], v[138:139]
	v_fma_f64 v[40:41], v[130:131], v[38:39], -v[40:41]
	v_mul_f64 v[130:131], v[130:131], v[138:139]
	v_add_f64 v[2:3], v[2:3], -v[40:41]
	v_fma_f64 v[130:131], v[132:133], v[38:39], v[130:131]
	v_mov_b32_e32 v40, v138
	v_mov_b32_e32 v41, v139
	v_add_f64 v[4:5], v[4:5], -v[130:131]
.LBB62_482:
	s_or_b32 exec_lo, exec_lo, s0
	v_lshl_add_u32 v130, v144, 4, v1
	s_barrier
	buffer_gl0_inv
	v_mov_b32_e32 v138, 23
	ds_write2_b64 v130, v[34:35], v[36:37] offset1:1
	s_waitcnt lgkmcnt(0)
	s_barrier
	buffer_gl0_inv
	ds_read2_b64 v[130:133], v1 offset0:46 offset1:47
	s_cmp_lt_i32 s18, 25
	s_cbranch_scc1 .LBB62_485
; %bb.483:
	v_add3_u32 v139, v140, 0, 0x180
	v_mov_b32_e32 v138, 23
	s_mov_b32 s1, 24
	s_inst_prefetch 0x1
	.p2align	6
.LBB62_484:                             ; =>This Inner Loop Header: Depth=1
	s_waitcnt lgkmcnt(0)
	v_cmp_gt_f64_e32 vcc_lo, 0, v[132:133]
	v_cmp_gt_f64_e64 s0, 0, v[130:131]
	ds_read2_b64 v[145:148], v139 offset1:1
	v_xor_b32_e32 v150, 0x80000000, v131
	v_xor_b32_e32 v152, 0x80000000, v133
	v_mov_b32_e32 v149, v130
	v_mov_b32_e32 v151, v132
	v_add_nc_u32_e32 v139, 16, v139
	s_waitcnt lgkmcnt(0)
	v_xor_b32_e32 v154, 0x80000000, v148
	v_cndmask_b32_e64 v150, v131, v150, s0
	v_cndmask_b32_e32 v152, v133, v152, vcc_lo
	v_cmp_gt_f64_e32 vcc_lo, 0, v[147:148]
	v_cmp_gt_f64_e64 s0, 0, v[145:146]
	v_mov_b32_e32 v153, v147
	v_add_f64 v[149:150], v[149:150], v[151:152]
	v_xor_b32_e32 v152, 0x80000000, v146
	v_mov_b32_e32 v151, v145
	v_cndmask_b32_e32 v154, v148, v154, vcc_lo
	v_cndmask_b32_e64 v152, v146, v152, s0
	v_add_f64 v[151:152], v[151:152], v[153:154]
	v_cmp_lt_f64_e32 vcc_lo, v[149:150], v[151:152]
	v_cndmask_b32_e32 v131, v131, v146, vcc_lo
	v_cndmask_b32_e32 v130, v130, v145, vcc_lo
	v_cndmask_b32_e32 v133, v133, v148, vcc_lo
	v_cndmask_b32_e32 v132, v132, v147, vcc_lo
	v_cndmask_b32_e64 v138, v138, s1, vcc_lo
	s_add_i32 s1, s1, 1
	s_cmp_lg_u32 s18, s1
	s_cbranch_scc1 .LBB62_484
.LBB62_485:
	s_inst_prefetch 0x2
	s_waitcnt lgkmcnt(0)
	v_cmp_eq_f64_e32 vcc_lo, 0, v[130:131]
	v_cmp_eq_f64_e64 s0, 0, v[132:133]
	s_and_b32 s0, vcc_lo, s0
	s_and_saveexec_b32 s1, s0
	s_xor_b32 s0, exec_lo, s1
; %bb.486:
	v_cmp_ne_u32_e32 vcc_lo, 0, v143
	v_cndmask_b32_e32 v143, 24, v143, vcc_lo
; %bb.487:
	s_andn2_saveexec_b32 s0, s0
	s_cbranch_execz .LBB62_493
; %bb.488:
	v_cmp_ngt_f64_e64 s1, |v[130:131]|, |v[132:133]|
	s_and_saveexec_b32 s2, s1
	s_xor_b32 s1, exec_lo, s2
	s_cbranch_execz .LBB62_490
; %bb.489:
	v_div_scale_f64 v[145:146], null, v[132:133], v[132:133], v[130:131]
	v_div_scale_f64 v[151:152], vcc_lo, v[130:131], v[132:133], v[130:131]
	v_rcp_f64_e32 v[147:148], v[145:146]
	v_fma_f64 v[149:150], -v[145:146], v[147:148], 1.0
	v_fma_f64 v[147:148], v[147:148], v[149:150], v[147:148]
	v_fma_f64 v[149:150], -v[145:146], v[147:148], 1.0
	v_fma_f64 v[147:148], v[147:148], v[149:150], v[147:148]
	v_mul_f64 v[149:150], v[151:152], v[147:148]
	v_fma_f64 v[145:146], -v[145:146], v[149:150], v[151:152]
	v_div_fmas_f64 v[145:146], v[145:146], v[147:148], v[149:150]
	v_div_fixup_f64 v[145:146], v[145:146], v[132:133], v[130:131]
	v_fma_f64 v[130:131], v[130:131], v[145:146], v[132:133]
	v_div_scale_f64 v[132:133], null, v[130:131], v[130:131], 1.0
	v_rcp_f64_e32 v[147:148], v[132:133]
	v_fma_f64 v[149:150], -v[132:133], v[147:148], 1.0
	v_fma_f64 v[147:148], v[147:148], v[149:150], v[147:148]
	v_fma_f64 v[149:150], -v[132:133], v[147:148], 1.0
	v_fma_f64 v[147:148], v[147:148], v[149:150], v[147:148]
	v_div_scale_f64 v[149:150], vcc_lo, 1.0, v[130:131], 1.0
	v_mul_f64 v[151:152], v[149:150], v[147:148]
	v_fma_f64 v[132:133], -v[132:133], v[151:152], v[149:150]
	v_div_fmas_f64 v[132:133], v[132:133], v[147:148], v[151:152]
	v_div_fixup_f64 v[132:133], v[132:133], v[130:131], 1.0
	v_mul_f64 v[130:131], v[145:146], v[132:133]
	v_xor_b32_e32 v133, 0x80000000, v133
.LBB62_490:
	s_andn2_saveexec_b32 s1, s1
	s_cbranch_execz .LBB62_492
; %bb.491:
	v_div_scale_f64 v[145:146], null, v[130:131], v[130:131], v[132:133]
	v_div_scale_f64 v[151:152], vcc_lo, v[132:133], v[130:131], v[132:133]
	v_rcp_f64_e32 v[147:148], v[145:146]
	v_fma_f64 v[149:150], -v[145:146], v[147:148], 1.0
	v_fma_f64 v[147:148], v[147:148], v[149:150], v[147:148]
	v_fma_f64 v[149:150], -v[145:146], v[147:148], 1.0
	v_fma_f64 v[147:148], v[147:148], v[149:150], v[147:148]
	v_mul_f64 v[149:150], v[151:152], v[147:148]
	v_fma_f64 v[145:146], -v[145:146], v[149:150], v[151:152]
	v_div_fmas_f64 v[145:146], v[145:146], v[147:148], v[149:150]
	v_div_fixup_f64 v[145:146], v[145:146], v[130:131], v[132:133]
	v_fma_f64 v[130:131], v[132:133], v[145:146], v[130:131]
	v_div_scale_f64 v[132:133], null, v[130:131], v[130:131], 1.0
	v_rcp_f64_e32 v[147:148], v[132:133]
	v_fma_f64 v[149:150], -v[132:133], v[147:148], 1.0
	v_fma_f64 v[147:148], v[147:148], v[149:150], v[147:148]
	v_fma_f64 v[149:150], -v[132:133], v[147:148], 1.0
	v_fma_f64 v[147:148], v[147:148], v[149:150], v[147:148]
	v_div_scale_f64 v[149:150], vcc_lo, 1.0, v[130:131], 1.0
	v_mul_f64 v[151:152], v[149:150], v[147:148]
	v_fma_f64 v[132:133], -v[132:133], v[151:152], v[149:150]
	v_div_fmas_f64 v[132:133], v[132:133], v[147:148], v[151:152]
	v_div_fixup_f64 v[130:131], v[132:133], v[130:131], 1.0
	v_mul_f64 v[132:133], v[145:146], -v[130:131]
.LBB62_492:
	s_or_b32 exec_lo, exec_lo, s1
.LBB62_493:
	s_or_b32 exec_lo, exec_lo, s0
	s_mov_b32 s0, exec_lo
	v_cmpx_ne_u32_e64 v144, v138
	s_xor_b32 s0, exec_lo, s0
	s_cbranch_execz .LBB62_499
; %bb.494:
	s_mov_b32 s1, exec_lo
	v_cmpx_eq_u32_e32 23, v144
	s_cbranch_execz .LBB62_498
; %bb.495:
	v_cmp_ne_u32_e32 vcc_lo, 23, v138
	s_xor_b32 s2, s16, -1
	s_and_b32 s3, s2, vcc_lo
	s_and_saveexec_b32 s2, s3
	s_cbranch_execz .LBB62_497
; %bb.496:
	v_ashrrev_i32_e32 v139, 31, v138
	v_lshlrev_b64 v[144:145], 2, v[138:139]
	v_add_co_u32 v144, vcc_lo, v136, v144
	v_add_co_ci_u32_e64 v145, null, v137, v145, vcc_lo
	s_clause 0x1
	global_load_dword v0, v[144:145], off
	global_load_dword v139, v[136:137], off offset:92
	s_waitcnt vmcnt(1)
	global_store_dword v[136:137], v0, off offset:92
	s_waitcnt vmcnt(0)
	global_store_dword v[144:145], v139, off
.LBB62_497:
	s_or_b32 exec_lo, exec_lo, s2
	v_mov_b32_e32 v144, v138
	v_mov_b32_e32 v0, v138
.LBB62_498:
	s_or_b32 exec_lo, exec_lo, s1
.LBB62_499:
	s_andn2_saveexec_b32 s0, s0
	s_cbranch_execz .LBB62_501
; %bb.500:
	v_mov_b32_e32 v144, 23
	ds_write2_b64 v1, v[30:31], v[32:33] offset0:48 offset1:49
	ds_write2_b64 v1, v[26:27], v[28:29] offset0:50 offset1:51
	;; [unrolled: 1-line block ×8, first 2 shown]
.LBB62_501:
	s_or_b32 exec_lo, exec_lo, s0
	s_mov_b32 s0, exec_lo
	s_waitcnt lgkmcnt(0)
	s_waitcnt_vscnt null, 0x0
	s_barrier
	buffer_gl0_inv
	v_cmpx_lt_i32_e32 23, v144
	s_cbranch_execz .LBB62_503
; %bb.502:
	v_mul_f64 v[138:139], v[130:131], v[36:37]
	v_mul_f64 v[36:37], v[132:133], v[36:37]
	v_fma_f64 v[138:139], v[132:133], v[34:35], v[138:139]
	v_fma_f64 v[34:35], v[130:131], v[34:35], -v[36:37]
	ds_read2_b64 v[130:133], v1 offset0:48 offset1:49
	s_waitcnt lgkmcnt(0)
	v_mul_f64 v[36:37], v[132:133], v[138:139]
	v_fma_f64 v[36:37], v[130:131], v[34:35], -v[36:37]
	v_mul_f64 v[130:131], v[130:131], v[138:139]
	v_add_f64 v[30:31], v[30:31], -v[36:37]
	v_fma_f64 v[130:131], v[132:133], v[34:35], v[130:131]
	v_add_f64 v[32:33], v[32:33], -v[130:131]
	ds_read2_b64 v[130:133], v1 offset0:50 offset1:51
	s_waitcnt lgkmcnt(0)
	v_mul_f64 v[36:37], v[132:133], v[138:139]
	v_fma_f64 v[36:37], v[130:131], v[34:35], -v[36:37]
	v_mul_f64 v[130:131], v[130:131], v[138:139]
	v_add_f64 v[26:27], v[26:27], -v[36:37]
	v_fma_f64 v[130:131], v[132:133], v[34:35], v[130:131]
	v_add_f64 v[28:29], v[28:29], -v[130:131]
	;; [unrolled: 8-line block ×7, first 2 shown]
	ds_read2_b64 v[130:133], v1 offset0:62 offset1:63
	s_waitcnt lgkmcnt(0)
	v_mul_f64 v[36:37], v[132:133], v[138:139]
	v_fma_f64 v[36:37], v[130:131], v[34:35], -v[36:37]
	v_mul_f64 v[130:131], v[130:131], v[138:139]
	v_add_f64 v[2:3], v[2:3], -v[36:37]
	v_fma_f64 v[130:131], v[132:133], v[34:35], v[130:131]
	v_mov_b32_e32 v36, v138
	v_mov_b32_e32 v37, v139
	v_add_f64 v[4:5], v[4:5], -v[130:131]
.LBB62_503:
	s_or_b32 exec_lo, exec_lo, s0
	v_lshl_add_u32 v130, v144, 4, v1
	s_barrier
	buffer_gl0_inv
	v_mov_b32_e32 v138, 24
	ds_write2_b64 v130, v[30:31], v[32:33] offset1:1
	s_waitcnt lgkmcnt(0)
	s_barrier
	buffer_gl0_inv
	ds_read2_b64 v[130:133], v1 offset0:48 offset1:49
	s_cmp_lt_i32 s18, 26
	s_cbranch_scc1 .LBB62_506
; %bb.504:
	v_add3_u32 v139, v140, 0, 0x190
	v_mov_b32_e32 v138, 24
	s_mov_b32 s1, 25
	s_inst_prefetch 0x1
	.p2align	6
.LBB62_505:                             ; =>This Inner Loop Header: Depth=1
	s_waitcnt lgkmcnt(0)
	v_cmp_gt_f64_e32 vcc_lo, 0, v[132:133]
	v_cmp_gt_f64_e64 s0, 0, v[130:131]
	ds_read2_b64 v[145:148], v139 offset1:1
	v_xor_b32_e32 v150, 0x80000000, v131
	v_xor_b32_e32 v152, 0x80000000, v133
	v_mov_b32_e32 v149, v130
	v_mov_b32_e32 v151, v132
	v_add_nc_u32_e32 v139, 16, v139
	s_waitcnt lgkmcnt(0)
	v_xor_b32_e32 v154, 0x80000000, v148
	v_cndmask_b32_e64 v150, v131, v150, s0
	v_cndmask_b32_e32 v152, v133, v152, vcc_lo
	v_cmp_gt_f64_e32 vcc_lo, 0, v[147:148]
	v_cmp_gt_f64_e64 s0, 0, v[145:146]
	v_mov_b32_e32 v153, v147
	v_add_f64 v[149:150], v[149:150], v[151:152]
	v_xor_b32_e32 v152, 0x80000000, v146
	v_mov_b32_e32 v151, v145
	v_cndmask_b32_e32 v154, v148, v154, vcc_lo
	v_cndmask_b32_e64 v152, v146, v152, s0
	v_add_f64 v[151:152], v[151:152], v[153:154]
	v_cmp_lt_f64_e32 vcc_lo, v[149:150], v[151:152]
	v_cndmask_b32_e32 v131, v131, v146, vcc_lo
	v_cndmask_b32_e32 v130, v130, v145, vcc_lo
	;; [unrolled: 1-line block ×4, first 2 shown]
	v_cndmask_b32_e64 v138, v138, s1, vcc_lo
	s_add_i32 s1, s1, 1
	s_cmp_lg_u32 s18, s1
	s_cbranch_scc1 .LBB62_505
.LBB62_506:
	s_inst_prefetch 0x2
	s_waitcnt lgkmcnt(0)
	v_cmp_eq_f64_e32 vcc_lo, 0, v[130:131]
	v_cmp_eq_f64_e64 s0, 0, v[132:133]
	s_and_b32 s0, vcc_lo, s0
	s_and_saveexec_b32 s1, s0
	s_xor_b32 s0, exec_lo, s1
; %bb.507:
	v_cmp_ne_u32_e32 vcc_lo, 0, v143
	v_cndmask_b32_e32 v143, 25, v143, vcc_lo
; %bb.508:
	s_andn2_saveexec_b32 s0, s0
	s_cbranch_execz .LBB62_514
; %bb.509:
	v_cmp_ngt_f64_e64 s1, |v[130:131]|, |v[132:133]|
	s_and_saveexec_b32 s2, s1
	s_xor_b32 s1, exec_lo, s2
	s_cbranch_execz .LBB62_511
; %bb.510:
	v_div_scale_f64 v[145:146], null, v[132:133], v[132:133], v[130:131]
	v_div_scale_f64 v[151:152], vcc_lo, v[130:131], v[132:133], v[130:131]
	v_rcp_f64_e32 v[147:148], v[145:146]
	v_fma_f64 v[149:150], -v[145:146], v[147:148], 1.0
	v_fma_f64 v[147:148], v[147:148], v[149:150], v[147:148]
	v_fma_f64 v[149:150], -v[145:146], v[147:148], 1.0
	v_fma_f64 v[147:148], v[147:148], v[149:150], v[147:148]
	v_mul_f64 v[149:150], v[151:152], v[147:148]
	v_fma_f64 v[145:146], -v[145:146], v[149:150], v[151:152]
	v_div_fmas_f64 v[145:146], v[145:146], v[147:148], v[149:150]
	v_div_fixup_f64 v[145:146], v[145:146], v[132:133], v[130:131]
	v_fma_f64 v[130:131], v[130:131], v[145:146], v[132:133]
	v_div_scale_f64 v[132:133], null, v[130:131], v[130:131], 1.0
	v_rcp_f64_e32 v[147:148], v[132:133]
	v_fma_f64 v[149:150], -v[132:133], v[147:148], 1.0
	v_fma_f64 v[147:148], v[147:148], v[149:150], v[147:148]
	v_fma_f64 v[149:150], -v[132:133], v[147:148], 1.0
	v_fma_f64 v[147:148], v[147:148], v[149:150], v[147:148]
	v_div_scale_f64 v[149:150], vcc_lo, 1.0, v[130:131], 1.0
	v_mul_f64 v[151:152], v[149:150], v[147:148]
	v_fma_f64 v[132:133], -v[132:133], v[151:152], v[149:150]
	v_div_fmas_f64 v[132:133], v[132:133], v[147:148], v[151:152]
	v_div_fixup_f64 v[132:133], v[132:133], v[130:131], 1.0
	v_mul_f64 v[130:131], v[145:146], v[132:133]
	v_xor_b32_e32 v133, 0x80000000, v133
.LBB62_511:
	s_andn2_saveexec_b32 s1, s1
	s_cbranch_execz .LBB62_513
; %bb.512:
	v_div_scale_f64 v[145:146], null, v[130:131], v[130:131], v[132:133]
	v_div_scale_f64 v[151:152], vcc_lo, v[132:133], v[130:131], v[132:133]
	v_rcp_f64_e32 v[147:148], v[145:146]
	v_fma_f64 v[149:150], -v[145:146], v[147:148], 1.0
	v_fma_f64 v[147:148], v[147:148], v[149:150], v[147:148]
	v_fma_f64 v[149:150], -v[145:146], v[147:148], 1.0
	v_fma_f64 v[147:148], v[147:148], v[149:150], v[147:148]
	v_mul_f64 v[149:150], v[151:152], v[147:148]
	v_fma_f64 v[145:146], -v[145:146], v[149:150], v[151:152]
	v_div_fmas_f64 v[145:146], v[145:146], v[147:148], v[149:150]
	v_div_fixup_f64 v[145:146], v[145:146], v[130:131], v[132:133]
	v_fma_f64 v[130:131], v[132:133], v[145:146], v[130:131]
	v_div_scale_f64 v[132:133], null, v[130:131], v[130:131], 1.0
	v_rcp_f64_e32 v[147:148], v[132:133]
	v_fma_f64 v[149:150], -v[132:133], v[147:148], 1.0
	v_fma_f64 v[147:148], v[147:148], v[149:150], v[147:148]
	v_fma_f64 v[149:150], -v[132:133], v[147:148], 1.0
	v_fma_f64 v[147:148], v[147:148], v[149:150], v[147:148]
	v_div_scale_f64 v[149:150], vcc_lo, 1.0, v[130:131], 1.0
	v_mul_f64 v[151:152], v[149:150], v[147:148]
	v_fma_f64 v[132:133], -v[132:133], v[151:152], v[149:150]
	v_div_fmas_f64 v[132:133], v[132:133], v[147:148], v[151:152]
	v_div_fixup_f64 v[130:131], v[132:133], v[130:131], 1.0
	v_mul_f64 v[132:133], v[145:146], -v[130:131]
.LBB62_513:
	s_or_b32 exec_lo, exec_lo, s1
.LBB62_514:
	s_or_b32 exec_lo, exec_lo, s0
	s_mov_b32 s0, exec_lo
	v_cmpx_ne_u32_e64 v144, v138
	s_xor_b32 s0, exec_lo, s0
	s_cbranch_execz .LBB62_520
; %bb.515:
	s_mov_b32 s1, exec_lo
	v_cmpx_eq_u32_e32 24, v144
	s_cbranch_execz .LBB62_519
; %bb.516:
	v_cmp_ne_u32_e32 vcc_lo, 24, v138
	s_xor_b32 s2, s16, -1
	s_and_b32 s3, s2, vcc_lo
	s_and_saveexec_b32 s2, s3
	s_cbranch_execz .LBB62_518
; %bb.517:
	v_ashrrev_i32_e32 v139, 31, v138
	v_lshlrev_b64 v[144:145], 2, v[138:139]
	v_add_co_u32 v144, vcc_lo, v136, v144
	v_add_co_ci_u32_e64 v145, null, v137, v145, vcc_lo
	s_clause 0x1
	global_load_dword v0, v[144:145], off
	global_load_dword v139, v[136:137], off offset:96
	s_waitcnt vmcnt(1)
	global_store_dword v[136:137], v0, off offset:96
	s_waitcnt vmcnt(0)
	global_store_dword v[144:145], v139, off
.LBB62_518:
	s_or_b32 exec_lo, exec_lo, s2
	v_mov_b32_e32 v144, v138
	v_mov_b32_e32 v0, v138
.LBB62_519:
	s_or_b32 exec_lo, exec_lo, s1
.LBB62_520:
	s_andn2_saveexec_b32 s0, s0
	s_cbranch_execz .LBB62_522
; %bb.521:
	v_mov_b32_e32 v144, 24
	ds_write2_b64 v1, v[26:27], v[28:29] offset0:50 offset1:51
	ds_write2_b64 v1, v[22:23], v[24:25] offset0:52 offset1:53
	;; [unrolled: 1-line block ×7, first 2 shown]
.LBB62_522:
	s_or_b32 exec_lo, exec_lo, s0
	s_mov_b32 s0, exec_lo
	s_waitcnt lgkmcnt(0)
	s_waitcnt_vscnt null, 0x0
	s_barrier
	buffer_gl0_inv
	v_cmpx_lt_i32_e32 24, v144
	s_cbranch_execz .LBB62_524
; %bb.523:
	v_mul_f64 v[138:139], v[130:131], v[32:33]
	v_mul_f64 v[32:33], v[132:133], v[32:33]
	v_fma_f64 v[138:139], v[132:133], v[30:31], v[138:139]
	v_fma_f64 v[30:31], v[130:131], v[30:31], -v[32:33]
	ds_read2_b64 v[130:133], v1 offset0:50 offset1:51
	s_waitcnt lgkmcnt(0)
	v_mul_f64 v[32:33], v[132:133], v[138:139]
	v_fma_f64 v[32:33], v[130:131], v[30:31], -v[32:33]
	v_mul_f64 v[130:131], v[130:131], v[138:139]
	v_add_f64 v[26:27], v[26:27], -v[32:33]
	v_fma_f64 v[130:131], v[132:133], v[30:31], v[130:131]
	v_add_f64 v[28:29], v[28:29], -v[130:131]
	ds_read2_b64 v[130:133], v1 offset0:52 offset1:53
	s_waitcnt lgkmcnt(0)
	v_mul_f64 v[32:33], v[132:133], v[138:139]
	v_fma_f64 v[32:33], v[130:131], v[30:31], -v[32:33]
	v_mul_f64 v[130:131], v[130:131], v[138:139]
	v_add_f64 v[22:23], v[22:23], -v[32:33]
	v_fma_f64 v[130:131], v[132:133], v[30:31], v[130:131]
	v_add_f64 v[24:25], v[24:25], -v[130:131]
	;; [unrolled: 8-line block ×6, first 2 shown]
	ds_read2_b64 v[130:133], v1 offset0:62 offset1:63
	s_waitcnt lgkmcnt(0)
	v_mul_f64 v[32:33], v[132:133], v[138:139]
	v_fma_f64 v[32:33], v[130:131], v[30:31], -v[32:33]
	v_mul_f64 v[130:131], v[130:131], v[138:139]
	v_add_f64 v[2:3], v[2:3], -v[32:33]
	v_fma_f64 v[130:131], v[132:133], v[30:31], v[130:131]
	v_mov_b32_e32 v32, v138
	v_mov_b32_e32 v33, v139
	v_add_f64 v[4:5], v[4:5], -v[130:131]
.LBB62_524:
	s_or_b32 exec_lo, exec_lo, s0
	v_lshl_add_u32 v130, v144, 4, v1
	s_barrier
	buffer_gl0_inv
	v_mov_b32_e32 v138, 25
	ds_write2_b64 v130, v[26:27], v[28:29] offset1:1
	s_waitcnt lgkmcnt(0)
	s_barrier
	buffer_gl0_inv
	ds_read2_b64 v[130:133], v1 offset0:50 offset1:51
	s_cmp_lt_i32 s18, 27
	s_cbranch_scc1 .LBB62_527
; %bb.525:
	v_add3_u32 v139, v140, 0, 0x1a0
	v_mov_b32_e32 v138, 25
	s_mov_b32 s1, 26
	s_inst_prefetch 0x1
	.p2align	6
.LBB62_526:                             ; =>This Inner Loop Header: Depth=1
	s_waitcnt lgkmcnt(0)
	v_cmp_gt_f64_e32 vcc_lo, 0, v[132:133]
	v_cmp_gt_f64_e64 s0, 0, v[130:131]
	ds_read2_b64 v[145:148], v139 offset1:1
	v_xor_b32_e32 v150, 0x80000000, v131
	v_xor_b32_e32 v152, 0x80000000, v133
	v_mov_b32_e32 v149, v130
	v_mov_b32_e32 v151, v132
	v_add_nc_u32_e32 v139, 16, v139
	s_waitcnt lgkmcnt(0)
	v_xor_b32_e32 v154, 0x80000000, v148
	v_cndmask_b32_e64 v150, v131, v150, s0
	v_cndmask_b32_e32 v152, v133, v152, vcc_lo
	v_cmp_gt_f64_e32 vcc_lo, 0, v[147:148]
	v_cmp_gt_f64_e64 s0, 0, v[145:146]
	v_mov_b32_e32 v153, v147
	v_add_f64 v[149:150], v[149:150], v[151:152]
	v_xor_b32_e32 v152, 0x80000000, v146
	v_mov_b32_e32 v151, v145
	v_cndmask_b32_e32 v154, v148, v154, vcc_lo
	v_cndmask_b32_e64 v152, v146, v152, s0
	v_add_f64 v[151:152], v[151:152], v[153:154]
	v_cmp_lt_f64_e32 vcc_lo, v[149:150], v[151:152]
	v_cndmask_b32_e32 v131, v131, v146, vcc_lo
	v_cndmask_b32_e32 v130, v130, v145, vcc_lo
	;; [unrolled: 1-line block ×4, first 2 shown]
	v_cndmask_b32_e64 v138, v138, s1, vcc_lo
	s_add_i32 s1, s1, 1
	s_cmp_lg_u32 s18, s1
	s_cbranch_scc1 .LBB62_526
.LBB62_527:
	s_inst_prefetch 0x2
	s_waitcnt lgkmcnt(0)
	v_cmp_eq_f64_e32 vcc_lo, 0, v[130:131]
	v_cmp_eq_f64_e64 s0, 0, v[132:133]
	s_and_b32 s0, vcc_lo, s0
	s_and_saveexec_b32 s1, s0
	s_xor_b32 s0, exec_lo, s1
; %bb.528:
	v_cmp_ne_u32_e32 vcc_lo, 0, v143
	v_cndmask_b32_e32 v143, 26, v143, vcc_lo
; %bb.529:
	s_andn2_saveexec_b32 s0, s0
	s_cbranch_execz .LBB62_535
; %bb.530:
	v_cmp_ngt_f64_e64 s1, |v[130:131]|, |v[132:133]|
	s_and_saveexec_b32 s2, s1
	s_xor_b32 s1, exec_lo, s2
	s_cbranch_execz .LBB62_532
; %bb.531:
	v_div_scale_f64 v[145:146], null, v[132:133], v[132:133], v[130:131]
	v_div_scale_f64 v[151:152], vcc_lo, v[130:131], v[132:133], v[130:131]
	v_rcp_f64_e32 v[147:148], v[145:146]
	v_fma_f64 v[149:150], -v[145:146], v[147:148], 1.0
	v_fma_f64 v[147:148], v[147:148], v[149:150], v[147:148]
	v_fma_f64 v[149:150], -v[145:146], v[147:148], 1.0
	v_fma_f64 v[147:148], v[147:148], v[149:150], v[147:148]
	v_mul_f64 v[149:150], v[151:152], v[147:148]
	v_fma_f64 v[145:146], -v[145:146], v[149:150], v[151:152]
	v_div_fmas_f64 v[145:146], v[145:146], v[147:148], v[149:150]
	v_div_fixup_f64 v[145:146], v[145:146], v[132:133], v[130:131]
	v_fma_f64 v[130:131], v[130:131], v[145:146], v[132:133]
	v_div_scale_f64 v[132:133], null, v[130:131], v[130:131], 1.0
	v_rcp_f64_e32 v[147:148], v[132:133]
	v_fma_f64 v[149:150], -v[132:133], v[147:148], 1.0
	v_fma_f64 v[147:148], v[147:148], v[149:150], v[147:148]
	v_fma_f64 v[149:150], -v[132:133], v[147:148], 1.0
	v_fma_f64 v[147:148], v[147:148], v[149:150], v[147:148]
	v_div_scale_f64 v[149:150], vcc_lo, 1.0, v[130:131], 1.0
	v_mul_f64 v[151:152], v[149:150], v[147:148]
	v_fma_f64 v[132:133], -v[132:133], v[151:152], v[149:150]
	v_div_fmas_f64 v[132:133], v[132:133], v[147:148], v[151:152]
	v_div_fixup_f64 v[132:133], v[132:133], v[130:131], 1.0
	v_mul_f64 v[130:131], v[145:146], v[132:133]
	v_xor_b32_e32 v133, 0x80000000, v133
.LBB62_532:
	s_andn2_saveexec_b32 s1, s1
	s_cbranch_execz .LBB62_534
; %bb.533:
	v_div_scale_f64 v[145:146], null, v[130:131], v[130:131], v[132:133]
	v_div_scale_f64 v[151:152], vcc_lo, v[132:133], v[130:131], v[132:133]
	v_rcp_f64_e32 v[147:148], v[145:146]
	v_fma_f64 v[149:150], -v[145:146], v[147:148], 1.0
	v_fma_f64 v[147:148], v[147:148], v[149:150], v[147:148]
	v_fma_f64 v[149:150], -v[145:146], v[147:148], 1.0
	v_fma_f64 v[147:148], v[147:148], v[149:150], v[147:148]
	v_mul_f64 v[149:150], v[151:152], v[147:148]
	v_fma_f64 v[145:146], -v[145:146], v[149:150], v[151:152]
	v_div_fmas_f64 v[145:146], v[145:146], v[147:148], v[149:150]
	v_div_fixup_f64 v[145:146], v[145:146], v[130:131], v[132:133]
	v_fma_f64 v[130:131], v[132:133], v[145:146], v[130:131]
	v_div_scale_f64 v[132:133], null, v[130:131], v[130:131], 1.0
	v_rcp_f64_e32 v[147:148], v[132:133]
	v_fma_f64 v[149:150], -v[132:133], v[147:148], 1.0
	v_fma_f64 v[147:148], v[147:148], v[149:150], v[147:148]
	v_fma_f64 v[149:150], -v[132:133], v[147:148], 1.0
	v_fma_f64 v[147:148], v[147:148], v[149:150], v[147:148]
	v_div_scale_f64 v[149:150], vcc_lo, 1.0, v[130:131], 1.0
	v_mul_f64 v[151:152], v[149:150], v[147:148]
	v_fma_f64 v[132:133], -v[132:133], v[151:152], v[149:150]
	v_div_fmas_f64 v[132:133], v[132:133], v[147:148], v[151:152]
	v_div_fixup_f64 v[130:131], v[132:133], v[130:131], 1.0
	v_mul_f64 v[132:133], v[145:146], -v[130:131]
.LBB62_534:
	s_or_b32 exec_lo, exec_lo, s1
.LBB62_535:
	s_or_b32 exec_lo, exec_lo, s0
	s_mov_b32 s0, exec_lo
	v_cmpx_ne_u32_e64 v144, v138
	s_xor_b32 s0, exec_lo, s0
	s_cbranch_execz .LBB62_541
; %bb.536:
	s_mov_b32 s1, exec_lo
	v_cmpx_eq_u32_e32 25, v144
	s_cbranch_execz .LBB62_540
; %bb.537:
	v_cmp_ne_u32_e32 vcc_lo, 25, v138
	s_xor_b32 s2, s16, -1
	s_and_b32 s3, s2, vcc_lo
	s_and_saveexec_b32 s2, s3
	s_cbranch_execz .LBB62_539
; %bb.538:
	v_ashrrev_i32_e32 v139, 31, v138
	v_lshlrev_b64 v[144:145], 2, v[138:139]
	v_add_co_u32 v144, vcc_lo, v136, v144
	v_add_co_ci_u32_e64 v145, null, v137, v145, vcc_lo
	s_clause 0x1
	global_load_dword v0, v[144:145], off
	global_load_dword v139, v[136:137], off offset:100
	s_waitcnt vmcnt(1)
	global_store_dword v[136:137], v0, off offset:100
	s_waitcnt vmcnt(0)
	global_store_dword v[144:145], v139, off
.LBB62_539:
	s_or_b32 exec_lo, exec_lo, s2
	v_mov_b32_e32 v144, v138
	v_mov_b32_e32 v0, v138
.LBB62_540:
	s_or_b32 exec_lo, exec_lo, s1
.LBB62_541:
	s_andn2_saveexec_b32 s0, s0
	s_cbranch_execz .LBB62_543
; %bb.542:
	v_mov_b32_e32 v144, 25
	ds_write2_b64 v1, v[22:23], v[24:25] offset0:52 offset1:53
	ds_write2_b64 v1, v[18:19], v[20:21] offset0:54 offset1:55
	;; [unrolled: 1-line block ×6, first 2 shown]
.LBB62_543:
	s_or_b32 exec_lo, exec_lo, s0
	s_mov_b32 s0, exec_lo
	s_waitcnt lgkmcnt(0)
	s_waitcnt_vscnt null, 0x0
	s_barrier
	buffer_gl0_inv
	v_cmpx_lt_i32_e32 25, v144
	s_cbranch_execz .LBB62_545
; %bb.544:
	v_mul_f64 v[138:139], v[130:131], v[28:29]
	v_mul_f64 v[28:29], v[132:133], v[28:29]
	v_fma_f64 v[138:139], v[132:133], v[26:27], v[138:139]
	v_fma_f64 v[26:27], v[130:131], v[26:27], -v[28:29]
	ds_read2_b64 v[130:133], v1 offset0:52 offset1:53
	s_waitcnt lgkmcnt(0)
	v_mul_f64 v[28:29], v[132:133], v[138:139]
	v_fma_f64 v[28:29], v[130:131], v[26:27], -v[28:29]
	v_mul_f64 v[130:131], v[130:131], v[138:139]
	v_add_f64 v[22:23], v[22:23], -v[28:29]
	v_fma_f64 v[130:131], v[132:133], v[26:27], v[130:131]
	v_add_f64 v[24:25], v[24:25], -v[130:131]
	ds_read2_b64 v[130:133], v1 offset0:54 offset1:55
	s_waitcnt lgkmcnt(0)
	v_mul_f64 v[28:29], v[132:133], v[138:139]
	v_fma_f64 v[28:29], v[130:131], v[26:27], -v[28:29]
	v_mul_f64 v[130:131], v[130:131], v[138:139]
	v_add_f64 v[18:19], v[18:19], -v[28:29]
	v_fma_f64 v[130:131], v[132:133], v[26:27], v[130:131]
	v_add_f64 v[20:21], v[20:21], -v[130:131]
	;; [unrolled: 8-line block ×5, first 2 shown]
	ds_read2_b64 v[130:133], v1 offset0:62 offset1:63
	s_waitcnt lgkmcnt(0)
	v_mul_f64 v[28:29], v[132:133], v[138:139]
	v_fma_f64 v[28:29], v[130:131], v[26:27], -v[28:29]
	v_mul_f64 v[130:131], v[130:131], v[138:139]
	v_add_f64 v[2:3], v[2:3], -v[28:29]
	v_fma_f64 v[130:131], v[132:133], v[26:27], v[130:131]
	v_mov_b32_e32 v28, v138
	v_mov_b32_e32 v29, v139
	v_add_f64 v[4:5], v[4:5], -v[130:131]
.LBB62_545:
	s_or_b32 exec_lo, exec_lo, s0
	v_lshl_add_u32 v130, v144, 4, v1
	s_barrier
	buffer_gl0_inv
	v_mov_b32_e32 v138, 26
	ds_write2_b64 v130, v[22:23], v[24:25] offset1:1
	s_waitcnt lgkmcnt(0)
	s_barrier
	buffer_gl0_inv
	ds_read2_b64 v[130:133], v1 offset0:52 offset1:53
	s_cmp_lt_i32 s18, 28
	s_cbranch_scc1 .LBB62_548
; %bb.546:
	v_add3_u32 v139, v140, 0, 0x1b0
	v_mov_b32_e32 v138, 26
	s_mov_b32 s1, 27
	s_inst_prefetch 0x1
	.p2align	6
.LBB62_547:                             ; =>This Inner Loop Header: Depth=1
	s_waitcnt lgkmcnt(0)
	v_cmp_gt_f64_e32 vcc_lo, 0, v[132:133]
	v_cmp_gt_f64_e64 s0, 0, v[130:131]
	ds_read2_b64 v[145:148], v139 offset1:1
	v_xor_b32_e32 v150, 0x80000000, v131
	v_xor_b32_e32 v152, 0x80000000, v133
	v_mov_b32_e32 v149, v130
	v_mov_b32_e32 v151, v132
	v_add_nc_u32_e32 v139, 16, v139
	s_waitcnt lgkmcnt(0)
	v_xor_b32_e32 v154, 0x80000000, v148
	v_cndmask_b32_e64 v150, v131, v150, s0
	v_cndmask_b32_e32 v152, v133, v152, vcc_lo
	v_cmp_gt_f64_e32 vcc_lo, 0, v[147:148]
	v_cmp_gt_f64_e64 s0, 0, v[145:146]
	v_mov_b32_e32 v153, v147
	v_add_f64 v[149:150], v[149:150], v[151:152]
	v_xor_b32_e32 v152, 0x80000000, v146
	v_mov_b32_e32 v151, v145
	v_cndmask_b32_e32 v154, v148, v154, vcc_lo
	v_cndmask_b32_e64 v152, v146, v152, s0
	v_add_f64 v[151:152], v[151:152], v[153:154]
	v_cmp_lt_f64_e32 vcc_lo, v[149:150], v[151:152]
	v_cndmask_b32_e32 v131, v131, v146, vcc_lo
	v_cndmask_b32_e32 v130, v130, v145, vcc_lo
	;; [unrolled: 1-line block ×4, first 2 shown]
	v_cndmask_b32_e64 v138, v138, s1, vcc_lo
	s_add_i32 s1, s1, 1
	s_cmp_lg_u32 s18, s1
	s_cbranch_scc1 .LBB62_547
.LBB62_548:
	s_inst_prefetch 0x2
	s_waitcnt lgkmcnt(0)
	v_cmp_eq_f64_e32 vcc_lo, 0, v[130:131]
	v_cmp_eq_f64_e64 s0, 0, v[132:133]
	s_and_b32 s0, vcc_lo, s0
	s_and_saveexec_b32 s1, s0
	s_xor_b32 s0, exec_lo, s1
; %bb.549:
	v_cmp_ne_u32_e32 vcc_lo, 0, v143
	v_cndmask_b32_e32 v143, 27, v143, vcc_lo
; %bb.550:
	s_andn2_saveexec_b32 s0, s0
	s_cbranch_execz .LBB62_556
; %bb.551:
	v_cmp_ngt_f64_e64 s1, |v[130:131]|, |v[132:133]|
	s_and_saveexec_b32 s2, s1
	s_xor_b32 s1, exec_lo, s2
	s_cbranch_execz .LBB62_553
; %bb.552:
	v_div_scale_f64 v[145:146], null, v[132:133], v[132:133], v[130:131]
	v_div_scale_f64 v[151:152], vcc_lo, v[130:131], v[132:133], v[130:131]
	v_rcp_f64_e32 v[147:148], v[145:146]
	v_fma_f64 v[149:150], -v[145:146], v[147:148], 1.0
	v_fma_f64 v[147:148], v[147:148], v[149:150], v[147:148]
	v_fma_f64 v[149:150], -v[145:146], v[147:148], 1.0
	v_fma_f64 v[147:148], v[147:148], v[149:150], v[147:148]
	v_mul_f64 v[149:150], v[151:152], v[147:148]
	v_fma_f64 v[145:146], -v[145:146], v[149:150], v[151:152]
	v_div_fmas_f64 v[145:146], v[145:146], v[147:148], v[149:150]
	v_div_fixup_f64 v[145:146], v[145:146], v[132:133], v[130:131]
	v_fma_f64 v[130:131], v[130:131], v[145:146], v[132:133]
	v_div_scale_f64 v[132:133], null, v[130:131], v[130:131], 1.0
	v_rcp_f64_e32 v[147:148], v[132:133]
	v_fma_f64 v[149:150], -v[132:133], v[147:148], 1.0
	v_fma_f64 v[147:148], v[147:148], v[149:150], v[147:148]
	v_fma_f64 v[149:150], -v[132:133], v[147:148], 1.0
	v_fma_f64 v[147:148], v[147:148], v[149:150], v[147:148]
	v_div_scale_f64 v[149:150], vcc_lo, 1.0, v[130:131], 1.0
	v_mul_f64 v[151:152], v[149:150], v[147:148]
	v_fma_f64 v[132:133], -v[132:133], v[151:152], v[149:150]
	v_div_fmas_f64 v[132:133], v[132:133], v[147:148], v[151:152]
	v_div_fixup_f64 v[132:133], v[132:133], v[130:131], 1.0
	v_mul_f64 v[130:131], v[145:146], v[132:133]
	v_xor_b32_e32 v133, 0x80000000, v133
.LBB62_553:
	s_andn2_saveexec_b32 s1, s1
	s_cbranch_execz .LBB62_555
; %bb.554:
	v_div_scale_f64 v[145:146], null, v[130:131], v[130:131], v[132:133]
	v_div_scale_f64 v[151:152], vcc_lo, v[132:133], v[130:131], v[132:133]
	v_rcp_f64_e32 v[147:148], v[145:146]
	v_fma_f64 v[149:150], -v[145:146], v[147:148], 1.0
	v_fma_f64 v[147:148], v[147:148], v[149:150], v[147:148]
	v_fma_f64 v[149:150], -v[145:146], v[147:148], 1.0
	v_fma_f64 v[147:148], v[147:148], v[149:150], v[147:148]
	v_mul_f64 v[149:150], v[151:152], v[147:148]
	v_fma_f64 v[145:146], -v[145:146], v[149:150], v[151:152]
	v_div_fmas_f64 v[145:146], v[145:146], v[147:148], v[149:150]
	v_div_fixup_f64 v[145:146], v[145:146], v[130:131], v[132:133]
	v_fma_f64 v[130:131], v[132:133], v[145:146], v[130:131]
	v_div_scale_f64 v[132:133], null, v[130:131], v[130:131], 1.0
	v_rcp_f64_e32 v[147:148], v[132:133]
	v_fma_f64 v[149:150], -v[132:133], v[147:148], 1.0
	v_fma_f64 v[147:148], v[147:148], v[149:150], v[147:148]
	v_fma_f64 v[149:150], -v[132:133], v[147:148], 1.0
	v_fma_f64 v[147:148], v[147:148], v[149:150], v[147:148]
	v_div_scale_f64 v[149:150], vcc_lo, 1.0, v[130:131], 1.0
	v_mul_f64 v[151:152], v[149:150], v[147:148]
	v_fma_f64 v[132:133], -v[132:133], v[151:152], v[149:150]
	v_div_fmas_f64 v[132:133], v[132:133], v[147:148], v[151:152]
	v_div_fixup_f64 v[130:131], v[132:133], v[130:131], 1.0
	v_mul_f64 v[132:133], v[145:146], -v[130:131]
.LBB62_555:
	s_or_b32 exec_lo, exec_lo, s1
.LBB62_556:
	s_or_b32 exec_lo, exec_lo, s0
	s_mov_b32 s0, exec_lo
	v_cmpx_ne_u32_e64 v144, v138
	s_xor_b32 s0, exec_lo, s0
	s_cbranch_execz .LBB62_562
; %bb.557:
	s_mov_b32 s1, exec_lo
	v_cmpx_eq_u32_e32 26, v144
	s_cbranch_execz .LBB62_561
; %bb.558:
	v_cmp_ne_u32_e32 vcc_lo, 26, v138
	s_xor_b32 s2, s16, -1
	s_and_b32 s3, s2, vcc_lo
	s_and_saveexec_b32 s2, s3
	s_cbranch_execz .LBB62_560
; %bb.559:
	v_ashrrev_i32_e32 v139, 31, v138
	v_lshlrev_b64 v[144:145], 2, v[138:139]
	v_add_co_u32 v144, vcc_lo, v136, v144
	v_add_co_ci_u32_e64 v145, null, v137, v145, vcc_lo
	s_clause 0x1
	global_load_dword v0, v[144:145], off
	global_load_dword v139, v[136:137], off offset:104
	s_waitcnt vmcnt(1)
	global_store_dword v[136:137], v0, off offset:104
	s_waitcnt vmcnt(0)
	global_store_dword v[144:145], v139, off
.LBB62_560:
	s_or_b32 exec_lo, exec_lo, s2
	v_mov_b32_e32 v144, v138
	v_mov_b32_e32 v0, v138
.LBB62_561:
	s_or_b32 exec_lo, exec_lo, s1
.LBB62_562:
	s_andn2_saveexec_b32 s0, s0
	s_cbranch_execz .LBB62_564
; %bb.563:
	v_mov_b32_e32 v144, 26
	ds_write2_b64 v1, v[18:19], v[20:21] offset0:54 offset1:55
	ds_write2_b64 v1, v[14:15], v[16:17] offset0:56 offset1:57
	;; [unrolled: 1-line block ×5, first 2 shown]
.LBB62_564:
	s_or_b32 exec_lo, exec_lo, s0
	s_mov_b32 s0, exec_lo
	s_waitcnt lgkmcnt(0)
	s_waitcnt_vscnt null, 0x0
	s_barrier
	buffer_gl0_inv
	v_cmpx_lt_i32_e32 26, v144
	s_cbranch_execz .LBB62_566
; %bb.565:
	v_mul_f64 v[138:139], v[130:131], v[24:25]
	v_mul_f64 v[24:25], v[132:133], v[24:25]
	v_fma_f64 v[138:139], v[132:133], v[22:23], v[138:139]
	v_fma_f64 v[22:23], v[130:131], v[22:23], -v[24:25]
	ds_read2_b64 v[130:133], v1 offset0:54 offset1:55
	s_waitcnt lgkmcnt(0)
	v_mul_f64 v[24:25], v[132:133], v[138:139]
	v_fma_f64 v[24:25], v[130:131], v[22:23], -v[24:25]
	v_mul_f64 v[130:131], v[130:131], v[138:139]
	v_add_f64 v[18:19], v[18:19], -v[24:25]
	v_fma_f64 v[130:131], v[132:133], v[22:23], v[130:131]
	v_add_f64 v[20:21], v[20:21], -v[130:131]
	ds_read2_b64 v[130:133], v1 offset0:56 offset1:57
	s_waitcnt lgkmcnt(0)
	v_mul_f64 v[24:25], v[132:133], v[138:139]
	v_fma_f64 v[24:25], v[130:131], v[22:23], -v[24:25]
	v_mul_f64 v[130:131], v[130:131], v[138:139]
	v_add_f64 v[14:15], v[14:15], -v[24:25]
	v_fma_f64 v[130:131], v[132:133], v[22:23], v[130:131]
	v_add_f64 v[16:17], v[16:17], -v[130:131]
	;; [unrolled: 8-line block ×4, first 2 shown]
	ds_read2_b64 v[130:133], v1 offset0:62 offset1:63
	s_waitcnt lgkmcnt(0)
	v_mul_f64 v[24:25], v[132:133], v[138:139]
	v_fma_f64 v[24:25], v[130:131], v[22:23], -v[24:25]
	v_mul_f64 v[130:131], v[130:131], v[138:139]
	v_add_f64 v[2:3], v[2:3], -v[24:25]
	v_fma_f64 v[130:131], v[132:133], v[22:23], v[130:131]
	v_mov_b32_e32 v24, v138
	v_mov_b32_e32 v25, v139
	v_add_f64 v[4:5], v[4:5], -v[130:131]
.LBB62_566:
	s_or_b32 exec_lo, exec_lo, s0
	v_lshl_add_u32 v130, v144, 4, v1
	s_barrier
	buffer_gl0_inv
	v_mov_b32_e32 v138, 27
	ds_write2_b64 v130, v[18:19], v[20:21] offset1:1
	s_waitcnt lgkmcnt(0)
	s_barrier
	buffer_gl0_inv
	ds_read2_b64 v[130:133], v1 offset0:54 offset1:55
	s_cmp_lt_i32 s18, 29
	s_cbranch_scc1 .LBB62_569
; %bb.567:
	v_add3_u32 v139, v140, 0, 0x1c0
	v_mov_b32_e32 v138, 27
	s_mov_b32 s1, 28
	s_inst_prefetch 0x1
	.p2align	6
.LBB62_568:                             ; =>This Inner Loop Header: Depth=1
	s_waitcnt lgkmcnt(0)
	v_cmp_gt_f64_e32 vcc_lo, 0, v[132:133]
	v_cmp_gt_f64_e64 s0, 0, v[130:131]
	ds_read2_b64 v[145:148], v139 offset1:1
	v_xor_b32_e32 v150, 0x80000000, v131
	v_xor_b32_e32 v152, 0x80000000, v133
	v_mov_b32_e32 v149, v130
	v_mov_b32_e32 v151, v132
	v_add_nc_u32_e32 v139, 16, v139
	s_waitcnt lgkmcnt(0)
	v_xor_b32_e32 v154, 0x80000000, v148
	v_cndmask_b32_e64 v150, v131, v150, s0
	v_cndmask_b32_e32 v152, v133, v152, vcc_lo
	v_cmp_gt_f64_e32 vcc_lo, 0, v[147:148]
	v_cmp_gt_f64_e64 s0, 0, v[145:146]
	v_mov_b32_e32 v153, v147
	v_add_f64 v[149:150], v[149:150], v[151:152]
	v_xor_b32_e32 v152, 0x80000000, v146
	v_mov_b32_e32 v151, v145
	v_cndmask_b32_e32 v154, v148, v154, vcc_lo
	v_cndmask_b32_e64 v152, v146, v152, s0
	v_add_f64 v[151:152], v[151:152], v[153:154]
	v_cmp_lt_f64_e32 vcc_lo, v[149:150], v[151:152]
	v_cndmask_b32_e32 v131, v131, v146, vcc_lo
	v_cndmask_b32_e32 v130, v130, v145, vcc_lo
	;; [unrolled: 1-line block ×4, first 2 shown]
	v_cndmask_b32_e64 v138, v138, s1, vcc_lo
	s_add_i32 s1, s1, 1
	s_cmp_lg_u32 s18, s1
	s_cbranch_scc1 .LBB62_568
.LBB62_569:
	s_inst_prefetch 0x2
	s_waitcnt lgkmcnt(0)
	v_cmp_eq_f64_e32 vcc_lo, 0, v[130:131]
	v_cmp_eq_f64_e64 s0, 0, v[132:133]
	s_and_b32 s0, vcc_lo, s0
	s_and_saveexec_b32 s1, s0
	s_xor_b32 s0, exec_lo, s1
; %bb.570:
	v_cmp_ne_u32_e32 vcc_lo, 0, v143
	v_cndmask_b32_e32 v143, 28, v143, vcc_lo
; %bb.571:
	s_andn2_saveexec_b32 s0, s0
	s_cbranch_execz .LBB62_577
; %bb.572:
	v_cmp_ngt_f64_e64 s1, |v[130:131]|, |v[132:133]|
	s_and_saveexec_b32 s2, s1
	s_xor_b32 s1, exec_lo, s2
	s_cbranch_execz .LBB62_574
; %bb.573:
	v_div_scale_f64 v[145:146], null, v[132:133], v[132:133], v[130:131]
	v_div_scale_f64 v[151:152], vcc_lo, v[130:131], v[132:133], v[130:131]
	v_rcp_f64_e32 v[147:148], v[145:146]
	v_fma_f64 v[149:150], -v[145:146], v[147:148], 1.0
	v_fma_f64 v[147:148], v[147:148], v[149:150], v[147:148]
	v_fma_f64 v[149:150], -v[145:146], v[147:148], 1.0
	v_fma_f64 v[147:148], v[147:148], v[149:150], v[147:148]
	v_mul_f64 v[149:150], v[151:152], v[147:148]
	v_fma_f64 v[145:146], -v[145:146], v[149:150], v[151:152]
	v_div_fmas_f64 v[145:146], v[145:146], v[147:148], v[149:150]
	v_div_fixup_f64 v[145:146], v[145:146], v[132:133], v[130:131]
	v_fma_f64 v[130:131], v[130:131], v[145:146], v[132:133]
	v_div_scale_f64 v[132:133], null, v[130:131], v[130:131], 1.0
	v_rcp_f64_e32 v[147:148], v[132:133]
	v_fma_f64 v[149:150], -v[132:133], v[147:148], 1.0
	v_fma_f64 v[147:148], v[147:148], v[149:150], v[147:148]
	v_fma_f64 v[149:150], -v[132:133], v[147:148], 1.0
	v_fma_f64 v[147:148], v[147:148], v[149:150], v[147:148]
	v_div_scale_f64 v[149:150], vcc_lo, 1.0, v[130:131], 1.0
	v_mul_f64 v[151:152], v[149:150], v[147:148]
	v_fma_f64 v[132:133], -v[132:133], v[151:152], v[149:150]
	v_div_fmas_f64 v[132:133], v[132:133], v[147:148], v[151:152]
	v_div_fixup_f64 v[132:133], v[132:133], v[130:131], 1.0
	v_mul_f64 v[130:131], v[145:146], v[132:133]
	v_xor_b32_e32 v133, 0x80000000, v133
.LBB62_574:
	s_andn2_saveexec_b32 s1, s1
	s_cbranch_execz .LBB62_576
; %bb.575:
	v_div_scale_f64 v[145:146], null, v[130:131], v[130:131], v[132:133]
	v_div_scale_f64 v[151:152], vcc_lo, v[132:133], v[130:131], v[132:133]
	v_rcp_f64_e32 v[147:148], v[145:146]
	v_fma_f64 v[149:150], -v[145:146], v[147:148], 1.0
	v_fma_f64 v[147:148], v[147:148], v[149:150], v[147:148]
	v_fma_f64 v[149:150], -v[145:146], v[147:148], 1.0
	v_fma_f64 v[147:148], v[147:148], v[149:150], v[147:148]
	v_mul_f64 v[149:150], v[151:152], v[147:148]
	v_fma_f64 v[145:146], -v[145:146], v[149:150], v[151:152]
	v_div_fmas_f64 v[145:146], v[145:146], v[147:148], v[149:150]
	v_div_fixup_f64 v[145:146], v[145:146], v[130:131], v[132:133]
	v_fma_f64 v[130:131], v[132:133], v[145:146], v[130:131]
	v_div_scale_f64 v[132:133], null, v[130:131], v[130:131], 1.0
	v_rcp_f64_e32 v[147:148], v[132:133]
	v_fma_f64 v[149:150], -v[132:133], v[147:148], 1.0
	v_fma_f64 v[147:148], v[147:148], v[149:150], v[147:148]
	v_fma_f64 v[149:150], -v[132:133], v[147:148], 1.0
	v_fma_f64 v[147:148], v[147:148], v[149:150], v[147:148]
	v_div_scale_f64 v[149:150], vcc_lo, 1.0, v[130:131], 1.0
	v_mul_f64 v[151:152], v[149:150], v[147:148]
	v_fma_f64 v[132:133], -v[132:133], v[151:152], v[149:150]
	v_div_fmas_f64 v[132:133], v[132:133], v[147:148], v[151:152]
	v_div_fixup_f64 v[130:131], v[132:133], v[130:131], 1.0
	v_mul_f64 v[132:133], v[145:146], -v[130:131]
.LBB62_576:
	s_or_b32 exec_lo, exec_lo, s1
.LBB62_577:
	s_or_b32 exec_lo, exec_lo, s0
	s_mov_b32 s0, exec_lo
	v_cmpx_ne_u32_e64 v144, v138
	s_xor_b32 s0, exec_lo, s0
	s_cbranch_execz .LBB62_583
; %bb.578:
	s_mov_b32 s1, exec_lo
	v_cmpx_eq_u32_e32 27, v144
	s_cbranch_execz .LBB62_582
; %bb.579:
	v_cmp_ne_u32_e32 vcc_lo, 27, v138
	s_xor_b32 s2, s16, -1
	s_and_b32 s3, s2, vcc_lo
	s_and_saveexec_b32 s2, s3
	s_cbranch_execz .LBB62_581
; %bb.580:
	v_ashrrev_i32_e32 v139, 31, v138
	v_lshlrev_b64 v[144:145], 2, v[138:139]
	v_add_co_u32 v144, vcc_lo, v136, v144
	v_add_co_ci_u32_e64 v145, null, v137, v145, vcc_lo
	s_clause 0x1
	global_load_dword v0, v[144:145], off
	global_load_dword v139, v[136:137], off offset:108
	s_waitcnt vmcnt(1)
	global_store_dword v[136:137], v0, off offset:108
	s_waitcnt vmcnt(0)
	global_store_dword v[144:145], v139, off
.LBB62_581:
	s_or_b32 exec_lo, exec_lo, s2
	v_mov_b32_e32 v144, v138
	v_mov_b32_e32 v0, v138
.LBB62_582:
	s_or_b32 exec_lo, exec_lo, s1
.LBB62_583:
	s_andn2_saveexec_b32 s0, s0
	s_cbranch_execz .LBB62_585
; %bb.584:
	v_mov_b32_e32 v144, 27
	ds_write2_b64 v1, v[14:15], v[16:17] offset0:56 offset1:57
	ds_write2_b64 v1, v[10:11], v[12:13] offset0:58 offset1:59
	;; [unrolled: 1-line block ×4, first 2 shown]
.LBB62_585:
	s_or_b32 exec_lo, exec_lo, s0
	s_mov_b32 s0, exec_lo
	s_waitcnt lgkmcnt(0)
	s_waitcnt_vscnt null, 0x0
	s_barrier
	buffer_gl0_inv
	v_cmpx_lt_i32_e32 27, v144
	s_cbranch_execz .LBB62_587
; %bb.586:
	v_mul_f64 v[138:139], v[130:131], v[20:21]
	v_mul_f64 v[20:21], v[132:133], v[20:21]
	v_fma_f64 v[138:139], v[132:133], v[18:19], v[138:139]
	v_fma_f64 v[18:19], v[130:131], v[18:19], -v[20:21]
	ds_read2_b64 v[130:133], v1 offset0:56 offset1:57
	s_waitcnt lgkmcnt(0)
	v_mul_f64 v[20:21], v[132:133], v[138:139]
	v_fma_f64 v[20:21], v[130:131], v[18:19], -v[20:21]
	v_mul_f64 v[130:131], v[130:131], v[138:139]
	v_add_f64 v[14:15], v[14:15], -v[20:21]
	v_fma_f64 v[130:131], v[132:133], v[18:19], v[130:131]
	v_add_f64 v[16:17], v[16:17], -v[130:131]
	ds_read2_b64 v[130:133], v1 offset0:58 offset1:59
	s_waitcnt lgkmcnt(0)
	v_mul_f64 v[20:21], v[132:133], v[138:139]
	v_fma_f64 v[20:21], v[130:131], v[18:19], -v[20:21]
	v_mul_f64 v[130:131], v[130:131], v[138:139]
	v_add_f64 v[10:11], v[10:11], -v[20:21]
	v_fma_f64 v[130:131], v[132:133], v[18:19], v[130:131]
	v_add_f64 v[12:13], v[12:13], -v[130:131]
	;; [unrolled: 8-line block ×3, first 2 shown]
	ds_read2_b64 v[130:133], v1 offset0:62 offset1:63
	s_waitcnt lgkmcnt(0)
	v_mul_f64 v[20:21], v[132:133], v[138:139]
	v_fma_f64 v[20:21], v[130:131], v[18:19], -v[20:21]
	v_mul_f64 v[130:131], v[130:131], v[138:139]
	v_add_f64 v[2:3], v[2:3], -v[20:21]
	v_fma_f64 v[130:131], v[132:133], v[18:19], v[130:131]
	v_mov_b32_e32 v20, v138
	v_mov_b32_e32 v21, v139
	v_add_f64 v[4:5], v[4:5], -v[130:131]
.LBB62_587:
	s_or_b32 exec_lo, exec_lo, s0
	v_lshl_add_u32 v130, v144, 4, v1
	s_barrier
	buffer_gl0_inv
	v_mov_b32_e32 v138, 28
	ds_write2_b64 v130, v[14:15], v[16:17] offset1:1
	s_waitcnt lgkmcnt(0)
	s_barrier
	buffer_gl0_inv
	ds_read2_b64 v[130:133], v1 offset0:56 offset1:57
	s_cmp_lt_i32 s18, 30
	s_cbranch_scc1 .LBB62_590
; %bb.588:
	v_add3_u32 v139, v140, 0, 0x1d0
	v_mov_b32_e32 v138, 28
	s_mov_b32 s1, 29
	s_inst_prefetch 0x1
	.p2align	6
.LBB62_589:                             ; =>This Inner Loop Header: Depth=1
	s_waitcnt lgkmcnt(0)
	v_cmp_gt_f64_e32 vcc_lo, 0, v[132:133]
	v_cmp_gt_f64_e64 s0, 0, v[130:131]
	ds_read2_b64 v[145:148], v139 offset1:1
	v_xor_b32_e32 v150, 0x80000000, v131
	v_xor_b32_e32 v152, 0x80000000, v133
	v_mov_b32_e32 v149, v130
	v_mov_b32_e32 v151, v132
	v_add_nc_u32_e32 v139, 16, v139
	s_waitcnt lgkmcnt(0)
	v_xor_b32_e32 v154, 0x80000000, v148
	v_cndmask_b32_e64 v150, v131, v150, s0
	v_cndmask_b32_e32 v152, v133, v152, vcc_lo
	v_cmp_gt_f64_e32 vcc_lo, 0, v[147:148]
	v_cmp_gt_f64_e64 s0, 0, v[145:146]
	v_mov_b32_e32 v153, v147
	v_add_f64 v[149:150], v[149:150], v[151:152]
	v_xor_b32_e32 v152, 0x80000000, v146
	v_mov_b32_e32 v151, v145
	v_cndmask_b32_e32 v154, v148, v154, vcc_lo
	v_cndmask_b32_e64 v152, v146, v152, s0
	v_add_f64 v[151:152], v[151:152], v[153:154]
	v_cmp_lt_f64_e32 vcc_lo, v[149:150], v[151:152]
	v_cndmask_b32_e32 v131, v131, v146, vcc_lo
	v_cndmask_b32_e32 v130, v130, v145, vcc_lo
	;; [unrolled: 1-line block ×4, first 2 shown]
	v_cndmask_b32_e64 v138, v138, s1, vcc_lo
	s_add_i32 s1, s1, 1
	s_cmp_lg_u32 s18, s1
	s_cbranch_scc1 .LBB62_589
.LBB62_590:
	s_inst_prefetch 0x2
	s_waitcnt lgkmcnt(0)
	v_cmp_eq_f64_e32 vcc_lo, 0, v[130:131]
	v_cmp_eq_f64_e64 s0, 0, v[132:133]
	s_and_b32 s0, vcc_lo, s0
	s_and_saveexec_b32 s1, s0
	s_xor_b32 s0, exec_lo, s1
; %bb.591:
	v_cmp_ne_u32_e32 vcc_lo, 0, v143
	v_cndmask_b32_e32 v143, 29, v143, vcc_lo
; %bb.592:
	s_andn2_saveexec_b32 s0, s0
	s_cbranch_execz .LBB62_598
; %bb.593:
	v_cmp_ngt_f64_e64 s1, |v[130:131]|, |v[132:133]|
	s_and_saveexec_b32 s2, s1
	s_xor_b32 s1, exec_lo, s2
	s_cbranch_execz .LBB62_595
; %bb.594:
	v_div_scale_f64 v[145:146], null, v[132:133], v[132:133], v[130:131]
	v_div_scale_f64 v[151:152], vcc_lo, v[130:131], v[132:133], v[130:131]
	v_rcp_f64_e32 v[147:148], v[145:146]
	v_fma_f64 v[149:150], -v[145:146], v[147:148], 1.0
	v_fma_f64 v[147:148], v[147:148], v[149:150], v[147:148]
	v_fma_f64 v[149:150], -v[145:146], v[147:148], 1.0
	v_fma_f64 v[147:148], v[147:148], v[149:150], v[147:148]
	v_mul_f64 v[149:150], v[151:152], v[147:148]
	v_fma_f64 v[145:146], -v[145:146], v[149:150], v[151:152]
	v_div_fmas_f64 v[145:146], v[145:146], v[147:148], v[149:150]
	v_div_fixup_f64 v[145:146], v[145:146], v[132:133], v[130:131]
	v_fma_f64 v[130:131], v[130:131], v[145:146], v[132:133]
	v_div_scale_f64 v[132:133], null, v[130:131], v[130:131], 1.0
	v_rcp_f64_e32 v[147:148], v[132:133]
	v_fma_f64 v[149:150], -v[132:133], v[147:148], 1.0
	v_fma_f64 v[147:148], v[147:148], v[149:150], v[147:148]
	v_fma_f64 v[149:150], -v[132:133], v[147:148], 1.0
	v_fma_f64 v[147:148], v[147:148], v[149:150], v[147:148]
	v_div_scale_f64 v[149:150], vcc_lo, 1.0, v[130:131], 1.0
	v_mul_f64 v[151:152], v[149:150], v[147:148]
	v_fma_f64 v[132:133], -v[132:133], v[151:152], v[149:150]
	v_div_fmas_f64 v[132:133], v[132:133], v[147:148], v[151:152]
	v_div_fixup_f64 v[132:133], v[132:133], v[130:131], 1.0
	v_mul_f64 v[130:131], v[145:146], v[132:133]
	v_xor_b32_e32 v133, 0x80000000, v133
.LBB62_595:
	s_andn2_saveexec_b32 s1, s1
	s_cbranch_execz .LBB62_597
; %bb.596:
	v_div_scale_f64 v[145:146], null, v[130:131], v[130:131], v[132:133]
	v_div_scale_f64 v[151:152], vcc_lo, v[132:133], v[130:131], v[132:133]
	v_rcp_f64_e32 v[147:148], v[145:146]
	v_fma_f64 v[149:150], -v[145:146], v[147:148], 1.0
	v_fma_f64 v[147:148], v[147:148], v[149:150], v[147:148]
	v_fma_f64 v[149:150], -v[145:146], v[147:148], 1.0
	v_fma_f64 v[147:148], v[147:148], v[149:150], v[147:148]
	v_mul_f64 v[149:150], v[151:152], v[147:148]
	v_fma_f64 v[145:146], -v[145:146], v[149:150], v[151:152]
	v_div_fmas_f64 v[145:146], v[145:146], v[147:148], v[149:150]
	v_div_fixup_f64 v[145:146], v[145:146], v[130:131], v[132:133]
	v_fma_f64 v[130:131], v[132:133], v[145:146], v[130:131]
	v_div_scale_f64 v[132:133], null, v[130:131], v[130:131], 1.0
	v_rcp_f64_e32 v[147:148], v[132:133]
	v_fma_f64 v[149:150], -v[132:133], v[147:148], 1.0
	v_fma_f64 v[147:148], v[147:148], v[149:150], v[147:148]
	v_fma_f64 v[149:150], -v[132:133], v[147:148], 1.0
	v_fma_f64 v[147:148], v[147:148], v[149:150], v[147:148]
	v_div_scale_f64 v[149:150], vcc_lo, 1.0, v[130:131], 1.0
	v_mul_f64 v[151:152], v[149:150], v[147:148]
	v_fma_f64 v[132:133], -v[132:133], v[151:152], v[149:150]
	v_div_fmas_f64 v[132:133], v[132:133], v[147:148], v[151:152]
	v_div_fixup_f64 v[130:131], v[132:133], v[130:131], 1.0
	v_mul_f64 v[132:133], v[145:146], -v[130:131]
.LBB62_597:
	s_or_b32 exec_lo, exec_lo, s1
.LBB62_598:
	s_or_b32 exec_lo, exec_lo, s0
	s_mov_b32 s0, exec_lo
	v_cmpx_ne_u32_e64 v144, v138
	s_xor_b32 s0, exec_lo, s0
	s_cbranch_execz .LBB62_604
; %bb.599:
	s_mov_b32 s1, exec_lo
	v_cmpx_eq_u32_e32 28, v144
	s_cbranch_execz .LBB62_603
; %bb.600:
	v_cmp_ne_u32_e32 vcc_lo, 28, v138
	s_xor_b32 s2, s16, -1
	s_and_b32 s3, s2, vcc_lo
	s_and_saveexec_b32 s2, s3
	s_cbranch_execz .LBB62_602
; %bb.601:
	v_ashrrev_i32_e32 v139, 31, v138
	v_lshlrev_b64 v[144:145], 2, v[138:139]
	v_add_co_u32 v144, vcc_lo, v136, v144
	v_add_co_ci_u32_e64 v145, null, v137, v145, vcc_lo
	s_clause 0x1
	global_load_dword v0, v[144:145], off
	global_load_dword v139, v[136:137], off offset:112
	s_waitcnt vmcnt(1)
	global_store_dword v[136:137], v0, off offset:112
	s_waitcnt vmcnt(0)
	global_store_dword v[144:145], v139, off
.LBB62_602:
	s_or_b32 exec_lo, exec_lo, s2
	v_mov_b32_e32 v144, v138
	v_mov_b32_e32 v0, v138
.LBB62_603:
	s_or_b32 exec_lo, exec_lo, s1
.LBB62_604:
	s_andn2_saveexec_b32 s0, s0
	s_cbranch_execz .LBB62_606
; %bb.605:
	v_mov_b32_e32 v144, 28
	ds_write2_b64 v1, v[10:11], v[12:13] offset0:58 offset1:59
	ds_write2_b64 v1, v[6:7], v[8:9] offset0:60 offset1:61
	;; [unrolled: 1-line block ×3, first 2 shown]
.LBB62_606:
	s_or_b32 exec_lo, exec_lo, s0
	s_mov_b32 s0, exec_lo
	s_waitcnt lgkmcnt(0)
	s_waitcnt_vscnt null, 0x0
	s_barrier
	buffer_gl0_inv
	v_cmpx_lt_i32_e32 28, v144
	s_cbranch_execz .LBB62_608
; %bb.607:
	v_mul_f64 v[138:139], v[130:131], v[16:17]
	v_mul_f64 v[16:17], v[132:133], v[16:17]
	v_fma_f64 v[138:139], v[132:133], v[14:15], v[138:139]
	v_fma_f64 v[14:15], v[130:131], v[14:15], -v[16:17]
	ds_read2_b64 v[130:133], v1 offset0:58 offset1:59
	s_waitcnt lgkmcnt(0)
	v_mul_f64 v[16:17], v[132:133], v[138:139]
	v_fma_f64 v[16:17], v[130:131], v[14:15], -v[16:17]
	v_mul_f64 v[130:131], v[130:131], v[138:139]
	v_add_f64 v[10:11], v[10:11], -v[16:17]
	v_fma_f64 v[130:131], v[132:133], v[14:15], v[130:131]
	v_add_f64 v[12:13], v[12:13], -v[130:131]
	ds_read2_b64 v[130:133], v1 offset0:60 offset1:61
	s_waitcnt lgkmcnt(0)
	v_mul_f64 v[16:17], v[132:133], v[138:139]
	v_fma_f64 v[16:17], v[130:131], v[14:15], -v[16:17]
	v_mul_f64 v[130:131], v[130:131], v[138:139]
	v_add_f64 v[6:7], v[6:7], -v[16:17]
	v_fma_f64 v[130:131], v[132:133], v[14:15], v[130:131]
	v_add_f64 v[8:9], v[8:9], -v[130:131]
	ds_read2_b64 v[130:133], v1 offset0:62 offset1:63
	s_waitcnt lgkmcnt(0)
	v_mul_f64 v[16:17], v[132:133], v[138:139]
	v_fma_f64 v[16:17], v[130:131], v[14:15], -v[16:17]
	v_mul_f64 v[130:131], v[130:131], v[138:139]
	v_add_f64 v[2:3], v[2:3], -v[16:17]
	v_fma_f64 v[130:131], v[132:133], v[14:15], v[130:131]
	v_mov_b32_e32 v16, v138
	v_mov_b32_e32 v17, v139
	v_add_f64 v[4:5], v[4:5], -v[130:131]
.LBB62_608:
	s_or_b32 exec_lo, exec_lo, s0
	v_lshl_add_u32 v130, v144, 4, v1
	s_barrier
	buffer_gl0_inv
	v_mov_b32_e32 v138, 29
	ds_write2_b64 v130, v[10:11], v[12:13] offset1:1
	s_waitcnt lgkmcnt(0)
	s_barrier
	buffer_gl0_inv
	ds_read2_b64 v[130:133], v1 offset0:58 offset1:59
	s_cmp_lt_i32 s18, 31
	s_cbranch_scc1 .LBB62_611
; %bb.609:
	v_add3_u32 v139, v140, 0, 0x1e0
	v_mov_b32_e32 v138, 29
	s_mov_b32 s1, 30
	s_inst_prefetch 0x1
	.p2align	6
.LBB62_610:                             ; =>This Inner Loop Header: Depth=1
	s_waitcnt lgkmcnt(0)
	v_cmp_gt_f64_e32 vcc_lo, 0, v[132:133]
	v_cmp_gt_f64_e64 s0, 0, v[130:131]
	ds_read2_b64 v[145:148], v139 offset1:1
	v_xor_b32_e32 v150, 0x80000000, v131
	v_xor_b32_e32 v152, 0x80000000, v133
	v_mov_b32_e32 v149, v130
	v_mov_b32_e32 v151, v132
	v_add_nc_u32_e32 v139, 16, v139
	s_waitcnt lgkmcnt(0)
	v_xor_b32_e32 v154, 0x80000000, v148
	v_cndmask_b32_e64 v150, v131, v150, s0
	v_cndmask_b32_e32 v152, v133, v152, vcc_lo
	v_cmp_gt_f64_e32 vcc_lo, 0, v[147:148]
	v_cmp_gt_f64_e64 s0, 0, v[145:146]
	v_mov_b32_e32 v153, v147
	v_add_f64 v[149:150], v[149:150], v[151:152]
	v_xor_b32_e32 v152, 0x80000000, v146
	v_mov_b32_e32 v151, v145
	v_cndmask_b32_e32 v154, v148, v154, vcc_lo
	v_cndmask_b32_e64 v152, v146, v152, s0
	v_add_f64 v[151:152], v[151:152], v[153:154]
	v_cmp_lt_f64_e32 vcc_lo, v[149:150], v[151:152]
	v_cndmask_b32_e32 v131, v131, v146, vcc_lo
	v_cndmask_b32_e32 v130, v130, v145, vcc_lo
	;; [unrolled: 1-line block ×4, first 2 shown]
	v_cndmask_b32_e64 v138, v138, s1, vcc_lo
	s_add_i32 s1, s1, 1
	s_cmp_lg_u32 s18, s1
	s_cbranch_scc1 .LBB62_610
.LBB62_611:
	s_inst_prefetch 0x2
	s_waitcnt lgkmcnt(0)
	v_cmp_eq_f64_e32 vcc_lo, 0, v[130:131]
	v_cmp_eq_f64_e64 s0, 0, v[132:133]
	s_and_b32 s0, vcc_lo, s0
	s_and_saveexec_b32 s1, s0
	s_xor_b32 s0, exec_lo, s1
; %bb.612:
	v_cmp_ne_u32_e32 vcc_lo, 0, v143
	v_cndmask_b32_e32 v143, 30, v143, vcc_lo
; %bb.613:
	s_andn2_saveexec_b32 s0, s0
	s_cbranch_execz .LBB62_619
; %bb.614:
	v_cmp_ngt_f64_e64 s1, |v[130:131]|, |v[132:133]|
	s_and_saveexec_b32 s2, s1
	s_xor_b32 s1, exec_lo, s2
	s_cbranch_execz .LBB62_616
; %bb.615:
	v_div_scale_f64 v[145:146], null, v[132:133], v[132:133], v[130:131]
	v_div_scale_f64 v[151:152], vcc_lo, v[130:131], v[132:133], v[130:131]
	v_rcp_f64_e32 v[147:148], v[145:146]
	v_fma_f64 v[149:150], -v[145:146], v[147:148], 1.0
	v_fma_f64 v[147:148], v[147:148], v[149:150], v[147:148]
	v_fma_f64 v[149:150], -v[145:146], v[147:148], 1.0
	v_fma_f64 v[147:148], v[147:148], v[149:150], v[147:148]
	v_mul_f64 v[149:150], v[151:152], v[147:148]
	v_fma_f64 v[145:146], -v[145:146], v[149:150], v[151:152]
	v_div_fmas_f64 v[145:146], v[145:146], v[147:148], v[149:150]
	v_div_fixup_f64 v[145:146], v[145:146], v[132:133], v[130:131]
	v_fma_f64 v[130:131], v[130:131], v[145:146], v[132:133]
	v_div_scale_f64 v[132:133], null, v[130:131], v[130:131], 1.0
	v_rcp_f64_e32 v[147:148], v[132:133]
	v_fma_f64 v[149:150], -v[132:133], v[147:148], 1.0
	v_fma_f64 v[147:148], v[147:148], v[149:150], v[147:148]
	v_fma_f64 v[149:150], -v[132:133], v[147:148], 1.0
	v_fma_f64 v[147:148], v[147:148], v[149:150], v[147:148]
	v_div_scale_f64 v[149:150], vcc_lo, 1.0, v[130:131], 1.0
	v_mul_f64 v[151:152], v[149:150], v[147:148]
	v_fma_f64 v[132:133], -v[132:133], v[151:152], v[149:150]
	v_div_fmas_f64 v[132:133], v[132:133], v[147:148], v[151:152]
	v_div_fixup_f64 v[132:133], v[132:133], v[130:131], 1.0
	v_mul_f64 v[130:131], v[145:146], v[132:133]
	v_xor_b32_e32 v133, 0x80000000, v133
.LBB62_616:
	s_andn2_saveexec_b32 s1, s1
	s_cbranch_execz .LBB62_618
; %bb.617:
	v_div_scale_f64 v[145:146], null, v[130:131], v[130:131], v[132:133]
	v_div_scale_f64 v[151:152], vcc_lo, v[132:133], v[130:131], v[132:133]
	v_rcp_f64_e32 v[147:148], v[145:146]
	v_fma_f64 v[149:150], -v[145:146], v[147:148], 1.0
	v_fma_f64 v[147:148], v[147:148], v[149:150], v[147:148]
	v_fma_f64 v[149:150], -v[145:146], v[147:148], 1.0
	v_fma_f64 v[147:148], v[147:148], v[149:150], v[147:148]
	v_mul_f64 v[149:150], v[151:152], v[147:148]
	v_fma_f64 v[145:146], -v[145:146], v[149:150], v[151:152]
	v_div_fmas_f64 v[145:146], v[145:146], v[147:148], v[149:150]
	v_div_fixup_f64 v[145:146], v[145:146], v[130:131], v[132:133]
	v_fma_f64 v[130:131], v[132:133], v[145:146], v[130:131]
	v_div_scale_f64 v[132:133], null, v[130:131], v[130:131], 1.0
	v_rcp_f64_e32 v[147:148], v[132:133]
	v_fma_f64 v[149:150], -v[132:133], v[147:148], 1.0
	v_fma_f64 v[147:148], v[147:148], v[149:150], v[147:148]
	v_fma_f64 v[149:150], -v[132:133], v[147:148], 1.0
	v_fma_f64 v[147:148], v[147:148], v[149:150], v[147:148]
	v_div_scale_f64 v[149:150], vcc_lo, 1.0, v[130:131], 1.0
	v_mul_f64 v[151:152], v[149:150], v[147:148]
	v_fma_f64 v[132:133], -v[132:133], v[151:152], v[149:150]
	v_div_fmas_f64 v[132:133], v[132:133], v[147:148], v[151:152]
	v_div_fixup_f64 v[130:131], v[132:133], v[130:131], 1.0
	v_mul_f64 v[132:133], v[145:146], -v[130:131]
.LBB62_618:
	s_or_b32 exec_lo, exec_lo, s1
.LBB62_619:
	s_or_b32 exec_lo, exec_lo, s0
	s_mov_b32 s0, exec_lo
	v_cmpx_ne_u32_e64 v144, v138
	s_xor_b32 s0, exec_lo, s0
	s_cbranch_execz .LBB62_625
; %bb.620:
	s_mov_b32 s1, exec_lo
	v_cmpx_eq_u32_e32 29, v144
	s_cbranch_execz .LBB62_624
; %bb.621:
	v_cmp_ne_u32_e32 vcc_lo, 29, v138
	s_xor_b32 s2, s16, -1
	s_and_b32 s3, s2, vcc_lo
	s_and_saveexec_b32 s2, s3
	s_cbranch_execz .LBB62_623
; %bb.622:
	v_ashrrev_i32_e32 v139, 31, v138
	v_lshlrev_b64 v[144:145], 2, v[138:139]
	v_add_co_u32 v144, vcc_lo, v136, v144
	v_add_co_ci_u32_e64 v145, null, v137, v145, vcc_lo
	s_clause 0x1
	global_load_dword v0, v[144:145], off
	global_load_dword v139, v[136:137], off offset:116
	s_waitcnt vmcnt(1)
	global_store_dword v[136:137], v0, off offset:116
	s_waitcnt vmcnt(0)
	global_store_dword v[144:145], v139, off
.LBB62_623:
	s_or_b32 exec_lo, exec_lo, s2
	v_mov_b32_e32 v144, v138
	v_mov_b32_e32 v0, v138
.LBB62_624:
	s_or_b32 exec_lo, exec_lo, s1
.LBB62_625:
	s_andn2_saveexec_b32 s0, s0
	s_cbranch_execz .LBB62_627
; %bb.626:
	v_mov_b32_e32 v144, 29
	ds_write2_b64 v1, v[6:7], v[8:9] offset0:60 offset1:61
	ds_write2_b64 v1, v[2:3], v[4:5] offset0:62 offset1:63
.LBB62_627:
	s_or_b32 exec_lo, exec_lo, s0
	s_mov_b32 s0, exec_lo
	s_waitcnt lgkmcnt(0)
	s_waitcnt_vscnt null, 0x0
	s_barrier
	buffer_gl0_inv
	v_cmpx_lt_i32_e32 29, v144
	s_cbranch_execz .LBB62_629
; %bb.628:
	v_mul_f64 v[138:139], v[130:131], v[12:13]
	v_mul_f64 v[12:13], v[132:133], v[12:13]
	ds_read2_b64 v[145:148], v1 offset0:60 offset1:61
	ds_read2_b64 v[149:152], v1 offset0:62 offset1:63
	v_fma_f64 v[132:133], v[132:133], v[10:11], v[138:139]
	v_fma_f64 v[10:11], v[130:131], v[10:11], -v[12:13]
	s_waitcnt lgkmcnt(1)
	v_mul_f64 v[12:13], v[147:148], v[132:133]
	v_mul_f64 v[130:131], v[145:146], v[132:133]
	s_waitcnt lgkmcnt(0)
	v_mul_f64 v[138:139], v[151:152], v[132:133]
	v_mul_f64 v[153:154], v[149:150], v[132:133]
	v_fma_f64 v[12:13], v[145:146], v[10:11], -v[12:13]
	v_fma_f64 v[130:131], v[147:148], v[10:11], v[130:131]
	v_fma_f64 v[138:139], v[149:150], v[10:11], -v[138:139]
	v_fma_f64 v[145:146], v[151:152], v[10:11], v[153:154]
	v_add_f64 v[6:7], v[6:7], -v[12:13]
	v_add_f64 v[8:9], v[8:9], -v[130:131]
	v_add_f64 v[2:3], v[2:3], -v[138:139]
	v_add_f64 v[4:5], v[4:5], -v[145:146]
	v_mov_b32_e32 v12, v132
	v_mov_b32_e32 v13, v133
.LBB62_629:
	s_or_b32 exec_lo, exec_lo, s0
	v_lshl_add_u32 v130, v144, 4, v1
	s_barrier
	buffer_gl0_inv
	v_mov_b32_e32 v138, 30
	ds_write2_b64 v130, v[6:7], v[8:9] offset1:1
	s_waitcnt lgkmcnt(0)
	s_barrier
	buffer_gl0_inv
	ds_read2_b64 v[130:133], v1 offset0:60 offset1:61
	s_cmp_lt_i32 s18, 32
	s_cbranch_scc1 .LBB62_632
; %bb.630:
	v_add3_u32 v139, v140, 0, 0x1f0
	v_mov_b32_e32 v138, 30
	s_mov_b32 s1, 31
	s_inst_prefetch 0x1
	.p2align	6
.LBB62_631:                             ; =>This Inner Loop Header: Depth=1
	s_waitcnt lgkmcnt(0)
	v_cmp_gt_f64_e32 vcc_lo, 0, v[132:133]
	v_cmp_gt_f64_e64 s0, 0, v[130:131]
	ds_read2_b64 v[145:148], v139 offset1:1
	v_xor_b32_e32 v150, 0x80000000, v131
	v_xor_b32_e32 v152, 0x80000000, v133
	v_mov_b32_e32 v149, v130
	v_mov_b32_e32 v151, v132
	v_add_nc_u32_e32 v139, 16, v139
	s_waitcnt lgkmcnt(0)
	v_xor_b32_e32 v154, 0x80000000, v148
	v_cndmask_b32_e64 v150, v131, v150, s0
	v_cndmask_b32_e32 v152, v133, v152, vcc_lo
	v_cmp_gt_f64_e32 vcc_lo, 0, v[147:148]
	v_cmp_gt_f64_e64 s0, 0, v[145:146]
	v_mov_b32_e32 v153, v147
	v_add_f64 v[149:150], v[149:150], v[151:152]
	v_xor_b32_e32 v152, 0x80000000, v146
	v_mov_b32_e32 v151, v145
	v_cndmask_b32_e32 v154, v148, v154, vcc_lo
	v_cndmask_b32_e64 v152, v146, v152, s0
	v_add_f64 v[151:152], v[151:152], v[153:154]
	v_cmp_lt_f64_e32 vcc_lo, v[149:150], v[151:152]
	v_cndmask_b32_e32 v131, v131, v146, vcc_lo
	v_cndmask_b32_e32 v130, v130, v145, vcc_lo
	;; [unrolled: 1-line block ×4, first 2 shown]
	v_cndmask_b32_e64 v138, v138, s1, vcc_lo
	s_add_i32 s1, s1, 1
	s_cmp_lg_u32 s18, s1
	s_cbranch_scc1 .LBB62_631
.LBB62_632:
	s_inst_prefetch 0x2
	s_waitcnt lgkmcnt(0)
	v_cmp_eq_f64_e32 vcc_lo, 0, v[130:131]
	v_cmp_eq_f64_e64 s0, 0, v[132:133]
	s_and_b32 s0, vcc_lo, s0
	s_and_saveexec_b32 s1, s0
	s_xor_b32 s0, exec_lo, s1
; %bb.633:
	v_cmp_ne_u32_e32 vcc_lo, 0, v143
	v_cndmask_b32_e32 v143, 31, v143, vcc_lo
; %bb.634:
	s_andn2_saveexec_b32 s0, s0
	s_cbranch_execz .LBB62_640
; %bb.635:
	v_cmp_ngt_f64_e64 s1, |v[130:131]|, |v[132:133]|
	s_and_saveexec_b32 s2, s1
	s_xor_b32 s1, exec_lo, s2
	s_cbranch_execz .LBB62_637
; %bb.636:
	v_div_scale_f64 v[145:146], null, v[132:133], v[132:133], v[130:131]
	v_div_scale_f64 v[151:152], vcc_lo, v[130:131], v[132:133], v[130:131]
	v_rcp_f64_e32 v[147:148], v[145:146]
	v_fma_f64 v[149:150], -v[145:146], v[147:148], 1.0
	v_fma_f64 v[147:148], v[147:148], v[149:150], v[147:148]
	v_fma_f64 v[149:150], -v[145:146], v[147:148], 1.0
	v_fma_f64 v[147:148], v[147:148], v[149:150], v[147:148]
	v_mul_f64 v[149:150], v[151:152], v[147:148]
	v_fma_f64 v[145:146], -v[145:146], v[149:150], v[151:152]
	v_div_fmas_f64 v[145:146], v[145:146], v[147:148], v[149:150]
	v_div_fixup_f64 v[145:146], v[145:146], v[132:133], v[130:131]
	v_fma_f64 v[130:131], v[130:131], v[145:146], v[132:133]
	v_div_scale_f64 v[132:133], null, v[130:131], v[130:131], 1.0
	v_rcp_f64_e32 v[147:148], v[132:133]
	v_fma_f64 v[149:150], -v[132:133], v[147:148], 1.0
	v_fma_f64 v[147:148], v[147:148], v[149:150], v[147:148]
	v_fma_f64 v[149:150], -v[132:133], v[147:148], 1.0
	v_fma_f64 v[147:148], v[147:148], v[149:150], v[147:148]
	v_div_scale_f64 v[149:150], vcc_lo, 1.0, v[130:131], 1.0
	v_mul_f64 v[151:152], v[149:150], v[147:148]
	v_fma_f64 v[132:133], -v[132:133], v[151:152], v[149:150]
	v_div_fmas_f64 v[132:133], v[132:133], v[147:148], v[151:152]
	v_div_fixup_f64 v[132:133], v[132:133], v[130:131], 1.0
	v_mul_f64 v[130:131], v[145:146], v[132:133]
	v_xor_b32_e32 v133, 0x80000000, v133
.LBB62_637:
	s_andn2_saveexec_b32 s1, s1
	s_cbranch_execz .LBB62_639
; %bb.638:
	v_div_scale_f64 v[145:146], null, v[130:131], v[130:131], v[132:133]
	v_div_scale_f64 v[151:152], vcc_lo, v[132:133], v[130:131], v[132:133]
	v_rcp_f64_e32 v[147:148], v[145:146]
	v_fma_f64 v[149:150], -v[145:146], v[147:148], 1.0
	v_fma_f64 v[147:148], v[147:148], v[149:150], v[147:148]
	v_fma_f64 v[149:150], -v[145:146], v[147:148], 1.0
	v_fma_f64 v[147:148], v[147:148], v[149:150], v[147:148]
	v_mul_f64 v[149:150], v[151:152], v[147:148]
	v_fma_f64 v[145:146], -v[145:146], v[149:150], v[151:152]
	v_div_fmas_f64 v[145:146], v[145:146], v[147:148], v[149:150]
	v_div_fixup_f64 v[145:146], v[145:146], v[130:131], v[132:133]
	v_fma_f64 v[130:131], v[132:133], v[145:146], v[130:131]
	v_div_scale_f64 v[132:133], null, v[130:131], v[130:131], 1.0
	v_rcp_f64_e32 v[147:148], v[132:133]
	v_fma_f64 v[149:150], -v[132:133], v[147:148], 1.0
	v_fma_f64 v[147:148], v[147:148], v[149:150], v[147:148]
	v_fma_f64 v[149:150], -v[132:133], v[147:148], 1.0
	v_fma_f64 v[147:148], v[147:148], v[149:150], v[147:148]
	v_div_scale_f64 v[149:150], vcc_lo, 1.0, v[130:131], 1.0
	v_mul_f64 v[151:152], v[149:150], v[147:148]
	v_fma_f64 v[132:133], -v[132:133], v[151:152], v[149:150]
	v_div_fmas_f64 v[132:133], v[132:133], v[147:148], v[151:152]
	v_div_fixup_f64 v[130:131], v[132:133], v[130:131], 1.0
	v_mul_f64 v[132:133], v[145:146], -v[130:131]
.LBB62_639:
	s_or_b32 exec_lo, exec_lo, s1
.LBB62_640:
	s_or_b32 exec_lo, exec_lo, s0
	s_mov_b32 s0, exec_lo
	v_cmpx_ne_u32_e64 v144, v138
	s_xor_b32 s0, exec_lo, s0
	s_cbranch_execz .LBB62_646
; %bb.641:
	s_mov_b32 s1, exec_lo
	v_cmpx_eq_u32_e32 30, v144
	s_cbranch_execz .LBB62_645
; %bb.642:
	v_cmp_ne_u32_e32 vcc_lo, 30, v138
	s_xor_b32 s2, s16, -1
	s_and_b32 s3, s2, vcc_lo
	s_and_saveexec_b32 s2, s3
	s_cbranch_execz .LBB62_644
; %bb.643:
	v_ashrrev_i32_e32 v139, 31, v138
	v_lshlrev_b64 v[144:145], 2, v[138:139]
	v_add_co_u32 v144, vcc_lo, v136, v144
	v_add_co_ci_u32_e64 v145, null, v137, v145, vcc_lo
	s_clause 0x1
	global_load_dword v0, v[144:145], off
	global_load_dword v139, v[136:137], off offset:120
	s_waitcnt vmcnt(1)
	global_store_dword v[136:137], v0, off offset:120
	s_waitcnt vmcnt(0)
	global_store_dword v[144:145], v139, off
.LBB62_644:
	s_or_b32 exec_lo, exec_lo, s2
	v_mov_b32_e32 v144, v138
	v_mov_b32_e32 v0, v138
.LBB62_645:
	s_or_b32 exec_lo, exec_lo, s1
.LBB62_646:
	s_andn2_saveexec_b32 s0, s0
; %bb.647:
	v_mov_b32_e32 v144, 30
	ds_write2_b64 v1, v[2:3], v[4:5] offset0:62 offset1:63
; %bb.648:
	s_or_b32 exec_lo, exec_lo, s0
	s_mov_b32 s0, exec_lo
	s_waitcnt lgkmcnt(0)
	s_waitcnt_vscnt null, 0x0
	s_barrier
	buffer_gl0_inv
	v_cmpx_lt_i32_e32 30, v144
	s_cbranch_execz .LBB62_650
; %bb.649:
	v_mul_f64 v[138:139], v[130:131], v[8:9]
	v_mul_f64 v[8:9], v[132:133], v[8:9]
	ds_read2_b64 v[145:148], v1 offset0:62 offset1:63
	v_fma_f64 v[132:133], v[132:133], v[6:7], v[138:139]
	v_fma_f64 v[6:7], v[130:131], v[6:7], -v[8:9]
	s_waitcnt lgkmcnt(0)
	v_mul_f64 v[8:9], v[147:148], v[132:133]
	v_mul_f64 v[130:131], v[145:146], v[132:133]
	v_fma_f64 v[8:9], v[145:146], v[6:7], -v[8:9]
	v_fma_f64 v[130:131], v[147:148], v[6:7], v[130:131]
	v_add_f64 v[2:3], v[2:3], -v[8:9]
	v_add_f64 v[4:5], v[4:5], -v[130:131]
	v_mov_b32_e32 v8, v132
	v_mov_b32_e32 v9, v133
.LBB62_650:
	s_or_b32 exec_lo, exec_lo, s0
	v_lshl_add_u32 v130, v144, 4, v1
	s_barrier
	buffer_gl0_inv
	v_mov_b32_e32 v138, 31
	ds_write2_b64 v130, v[2:3], v[4:5] offset1:1
	s_waitcnt lgkmcnt(0)
	s_barrier
	buffer_gl0_inv
	ds_read2_b64 v[130:133], v1 offset0:62 offset1:63
	s_cmp_lt_i32 s18, 33
	s_cbranch_scc1 .LBB62_653
; %bb.651:
	v_add3_u32 v1, v140, 0, 0x200
	v_mov_b32_e32 v138, 31
	s_mov_b32 s1, 32
	s_inst_prefetch 0x1
	.p2align	6
.LBB62_652:                             ; =>This Inner Loop Header: Depth=1
	s_waitcnt lgkmcnt(0)
	v_cmp_gt_f64_e32 vcc_lo, 0, v[132:133]
	v_cmp_gt_f64_e64 s0, 0, v[130:131]
	ds_read2_b64 v[145:148], v1 offset1:1
	v_xor_b32_e32 v140, 0x80000000, v131
	v_xor_b32_e32 v150, 0x80000000, v133
	v_mov_b32_e32 v139, v130
	v_mov_b32_e32 v149, v132
	v_add_nc_u32_e32 v1, 16, v1
	s_waitcnt lgkmcnt(0)
	v_xor_b32_e32 v152, 0x80000000, v148
	v_cndmask_b32_e64 v140, v131, v140, s0
	v_cndmask_b32_e32 v150, v133, v150, vcc_lo
	v_cmp_gt_f64_e32 vcc_lo, 0, v[147:148]
	v_cmp_gt_f64_e64 s0, 0, v[145:146]
	v_mov_b32_e32 v151, v147
	v_add_f64 v[139:140], v[139:140], v[149:150]
	v_xor_b32_e32 v150, 0x80000000, v146
	v_mov_b32_e32 v149, v145
	v_cndmask_b32_e32 v152, v148, v152, vcc_lo
	v_cndmask_b32_e64 v150, v146, v150, s0
	v_add_f64 v[149:150], v[149:150], v[151:152]
	v_cmp_lt_f64_e32 vcc_lo, v[139:140], v[149:150]
	v_cndmask_b32_e32 v131, v131, v146, vcc_lo
	v_cndmask_b32_e32 v130, v130, v145, vcc_lo
	;; [unrolled: 1-line block ×4, first 2 shown]
	v_cndmask_b32_e64 v138, v138, s1, vcc_lo
	s_add_i32 s1, s1, 1
	s_cmp_lg_u32 s18, s1
	s_cbranch_scc1 .LBB62_652
.LBB62_653:
	s_inst_prefetch 0x2
	s_waitcnt lgkmcnt(0)
	v_cmp_eq_f64_e32 vcc_lo, 0, v[130:131]
	v_cmp_eq_f64_e64 s0, 0, v[132:133]
	s_and_b32 s0, vcc_lo, s0
	s_and_saveexec_b32 s1, s0
	s_xor_b32 s0, exec_lo, s1
; %bb.654:
	v_cmp_ne_u32_e32 vcc_lo, 0, v143
	v_cndmask_b32_e32 v143, 32, v143, vcc_lo
; %bb.655:
	s_andn2_saveexec_b32 s0, s0
	s_cbranch_execz .LBB62_661
; %bb.656:
	v_cmp_ngt_f64_e64 s1, |v[130:131]|, |v[132:133]|
	s_and_saveexec_b32 s2, s1
	s_xor_b32 s1, exec_lo, s2
	s_cbranch_execz .LBB62_658
; %bb.657:
	v_div_scale_f64 v[139:140], null, v[132:133], v[132:133], v[130:131]
	v_div_scale_f64 v[149:150], vcc_lo, v[130:131], v[132:133], v[130:131]
	v_rcp_f64_e32 v[145:146], v[139:140]
	v_fma_f64 v[147:148], -v[139:140], v[145:146], 1.0
	v_fma_f64 v[145:146], v[145:146], v[147:148], v[145:146]
	v_fma_f64 v[147:148], -v[139:140], v[145:146], 1.0
	v_fma_f64 v[145:146], v[145:146], v[147:148], v[145:146]
	v_mul_f64 v[147:148], v[149:150], v[145:146]
	v_fma_f64 v[139:140], -v[139:140], v[147:148], v[149:150]
	v_div_fmas_f64 v[139:140], v[139:140], v[145:146], v[147:148]
	v_div_fixup_f64 v[139:140], v[139:140], v[132:133], v[130:131]
	v_fma_f64 v[130:131], v[130:131], v[139:140], v[132:133]
	v_div_scale_f64 v[132:133], null, v[130:131], v[130:131], 1.0
	v_rcp_f64_e32 v[145:146], v[132:133]
	v_fma_f64 v[147:148], -v[132:133], v[145:146], 1.0
	v_fma_f64 v[145:146], v[145:146], v[147:148], v[145:146]
	v_fma_f64 v[147:148], -v[132:133], v[145:146], 1.0
	v_fma_f64 v[145:146], v[145:146], v[147:148], v[145:146]
	v_div_scale_f64 v[147:148], vcc_lo, 1.0, v[130:131], 1.0
	v_mul_f64 v[149:150], v[147:148], v[145:146]
	v_fma_f64 v[132:133], -v[132:133], v[149:150], v[147:148]
	v_div_fmas_f64 v[132:133], v[132:133], v[145:146], v[149:150]
	v_div_fixup_f64 v[132:133], v[132:133], v[130:131], 1.0
	v_mul_f64 v[130:131], v[139:140], v[132:133]
	v_xor_b32_e32 v133, 0x80000000, v133
.LBB62_658:
	s_andn2_saveexec_b32 s1, s1
	s_cbranch_execz .LBB62_660
; %bb.659:
	v_div_scale_f64 v[139:140], null, v[130:131], v[130:131], v[132:133]
	v_div_scale_f64 v[149:150], vcc_lo, v[132:133], v[130:131], v[132:133]
	v_rcp_f64_e32 v[145:146], v[139:140]
	v_fma_f64 v[147:148], -v[139:140], v[145:146], 1.0
	v_fma_f64 v[145:146], v[145:146], v[147:148], v[145:146]
	v_fma_f64 v[147:148], -v[139:140], v[145:146], 1.0
	v_fma_f64 v[145:146], v[145:146], v[147:148], v[145:146]
	v_mul_f64 v[147:148], v[149:150], v[145:146]
	v_fma_f64 v[139:140], -v[139:140], v[147:148], v[149:150]
	v_div_fmas_f64 v[139:140], v[139:140], v[145:146], v[147:148]
	v_div_fixup_f64 v[139:140], v[139:140], v[130:131], v[132:133]
	v_fma_f64 v[130:131], v[132:133], v[139:140], v[130:131]
	v_div_scale_f64 v[132:133], null, v[130:131], v[130:131], 1.0
	v_rcp_f64_e32 v[145:146], v[132:133]
	v_fma_f64 v[147:148], -v[132:133], v[145:146], 1.0
	v_fma_f64 v[145:146], v[145:146], v[147:148], v[145:146]
	v_fma_f64 v[147:148], -v[132:133], v[145:146], 1.0
	v_fma_f64 v[145:146], v[145:146], v[147:148], v[145:146]
	v_div_scale_f64 v[147:148], vcc_lo, 1.0, v[130:131], 1.0
	v_mul_f64 v[149:150], v[147:148], v[145:146]
	v_fma_f64 v[132:133], -v[132:133], v[149:150], v[147:148]
	v_div_fmas_f64 v[132:133], v[132:133], v[145:146], v[149:150]
	v_div_fixup_f64 v[130:131], v[132:133], v[130:131], 1.0
	v_mul_f64 v[132:133], v[139:140], -v[130:131]
.LBB62_660:
	s_or_b32 exec_lo, exec_lo, s1
.LBB62_661:
	s_or_b32 exec_lo, exec_lo, s0
	v_mov_b32_e32 v139, 31
	s_mov_b32 s0, exec_lo
	v_cmpx_ne_u32_e64 v144, v138
	s_cbranch_execz .LBB62_667
; %bb.662:
	s_mov_b32 s1, exec_lo
	v_cmpx_eq_u32_e32 31, v144
	s_cbranch_execz .LBB62_666
; %bb.663:
	v_cmp_ne_u32_e32 vcc_lo, 31, v138
	s_xor_b32 s2, s16, -1
	s_and_b32 s3, s2, vcc_lo
	s_and_saveexec_b32 s2, s3
	s_cbranch_execz .LBB62_665
; %bb.664:
	v_ashrrev_i32_e32 v139, 31, v138
	v_lshlrev_b64 v[0:1], 2, v[138:139]
	v_add_co_u32 v0, vcc_lo, v136, v0
	v_add_co_ci_u32_e64 v1, null, v137, v1, vcc_lo
	s_clause 0x1
	global_load_dword v139, v[0:1], off
	global_load_dword v140, v[136:137], off offset:124
	s_waitcnt vmcnt(1)
	global_store_dword v[136:137], v139, off offset:124
	s_waitcnt vmcnt(0)
	global_store_dword v[0:1], v140, off
.LBB62_665:
	s_or_b32 exec_lo, exec_lo, s2
	v_mov_b32_e32 v144, v138
	v_mov_b32_e32 v0, v138
.LBB62_666:
	s_or_b32 exec_lo, exec_lo, s1
	v_mov_b32_e32 v139, v144
.LBB62_667:
	s_or_b32 exec_lo, exec_lo, s0
	s_mov_b32 s0, exec_lo
	s_waitcnt_vscnt null, 0x0
	s_barrier
	buffer_gl0_inv
	v_cmpx_lt_i32_e32 31, v139
	s_cbranch_execz .LBB62_669
; %bb.668:
	v_mul_f64 v[136:137], v[132:133], v[4:5]
	v_mul_f64 v[4:5], v[130:131], v[4:5]
	v_fma_f64 v[130:131], v[130:131], v[2:3], -v[136:137]
	v_fma_f64 v[4:5], v[132:133], v[2:3], v[4:5]
	v_mov_b32_e32 v2, v130
	v_mov_b32_e32 v3, v131
.LBB62_669:
	s_or_b32 exec_lo, exec_lo, s0
	v_ashrrev_i32_e32 v140, 31, v139
	s_mov_b32 s0, exec_lo
	s_barrier
	buffer_gl0_inv
	v_cmpx_gt_i32_e32 32, v139
	s_cbranch_execz .LBB62_671
; %bb.670:
	v_mul_lo_u32 v1, s15, v134
	v_mul_lo_u32 v132, s14, v135
	v_mad_u64_u32 v[130:131], null, s14, v134, 0
	s_lshl_b64 s[2:3], s[12:13], 2
	v_add3_u32 v0, v0, s17, 1
	v_add3_u32 v131, v131, v132, v1
	v_lshlrev_b64 v[130:131], 2, v[130:131]
	v_add_co_u32 v1, vcc_lo, s10, v130
	v_add_co_ci_u32_e64 v132, null, s11, v131, vcc_lo
	v_lshlrev_b64 v[130:131], 2, v[139:140]
	v_add_co_u32 v1, vcc_lo, v1, s2
	v_add_co_ci_u32_e64 v132, null, s3, v132, vcc_lo
	v_add_co_u32 v130, vcc_lo, v1, v130
	v_add_co_ci_u32_e64 v131, null, v132, v131, vcc_lo
	global_store_dword v[130:131], v0, off
.LBB62_671:
	s_or_b32 exec_lo, exec_lo, s0
	s_mov_b32 s1, exec_lo
	v_cmpx_eq_u32_e32 0, v139
	s_cbranch_execz .LBB62_674
; %bb.672:
	v_lshlrev_b64 v[0:1], 2, v[134:135]
	v_cmp_ne_u32_e64 s0, 0, v143
	v_add_co_u32 v0, vcc_lo, s4, v0
	v_add_co_ci_u32_e64 v1, null, s5, v1, vcc_lo
	global_load_dword v130, v[0:1], off
	s_waitcnt vmcnt(0)
	v_cmp_eq_u32_e32 vcc_lo, 0, v130
	s_and_b32 s0, vcc_lo, s0
	s_and_b32 exec_lo, exec_lo, s0
	s_cbranch_execz .LBB62_674
; %bb.673:
	v_add_nc_u32_e32 v130, s17, v143
	global_store_dword v[0:1], v130, off
.LBB62_674:
	s_or_b32 exec_lo, exec_lo, s1
	v_add3_u32 v0, s6, s6, v139
	v_lshlrev_b64 v[130:131], 4, v[139:140]
	v_add_nc_u32_e32 v132, s6, v0
	v_ashrrev_i32_e32 v1, 31, v0
	v_add_co_u32 v130, vcc_lo, v141, v130
	v_add_co_ci_u32_e64 v131, null, v142, v131, vcc_lo
	v_add_nc_u32_e32 v136, s6, v132
	v_add_co_u32 v134, vcc_lo, v130, s8
	v_ashrrev_i32_e32 v133, 31, v132
	v_add_co_ci_u32_e64 v135, null, s9, v131, vcc_lo
	v_ashrrev_i32_e32 v137, 31, v136
	v_lshlrev_b64 v[0:1], 4, v[0:1]
	global_store_dwordx4 v[130:131], v[122:125], off
	global_store_dwordx4 v[134:135], v[126:129], off
	v_lshlrev_b64 v[122:123], 4, v[132:133]
	v_add_nc_u32_e32 v126, s6, v136
	v_lshlrev_b64 v[124:125], 4, v[136:137]
	v_add_co_u32 v0, vcc_lo, v141, v0
	v_add_co_ci_u32_e64 v1, null, v142, v1, vcc_lo
	v_add_co_u32 v122, vcc_lo, v141, v122
	v_add_co_ci_u32_e64 v123, null, v142, v123, vcc_lo
	v_add_co_u32 v124, vcc_lo, v141, v124
	v_add_nc_u32_e32 v128, s6, v126
	v_add_co_ci_u32_e64 v125, null, v142, v125, vcc_lo
	v_ashrrev_i32_e32 v127, 31, v126
	global_store_dwordx4 v[0:1], v[118:121], off
	global_store_dwordx4 v[122:123], v[114:117], off
	global_store_dwordx4 v[124:125], v[110:113], off
	v_add_nc_u32_e32 v112, s6, v128
	v_ashrrev_i32_e32 v129, 31, v128
	v_lshlrev_b64 v[0:1], 4, v[126:127]
	v_add_nc_u32_e32 v114, s6, v112
	v_lshlrev_b64 v[110:111], 4, v[128:129]
	v_ashrrev_i32_e32 v113, 31, v112
	v_add_co_u32 v0, vcc_lo, v141, v0
	v_add_nc_u32_e32 v116, s6, v114
	v_add_co_ci_u32_e64 v1, null, v142, v1, vcc_lo
	v_add_co_u32 v110, vcc_lo, v141, v110
	v_ashrrev_i32_e32 v115, 31, v114
	v_add_co_ci_u32_e64 v111, null, v142, v111, vcc_lo
	v_ashrrev_i32_e32 v117, 31, v116
	v_lshlrev_b64 v[112:113], 4, v[112:113]
	global_store_dwordx4 v[0:1], v[106:109], off
	global_store_dwordx4 v[110:111], v[102:105], off
	v_lshlrev_b64 v[0:1], 4, v[114:115]
	v_add_nc_u32_e32 v106, s6, v116
	v_lshlrev_b64 v[104:105], 4, v[116:117]
	v_add_co_u32 v102, vcc_lo, v141, v112
	v_add_co_ci_u32_e64 v103, null, v142, v113, vcc_lo
	v_add_co_u32 v0, vcc_lo, v141, v0
	v_add_co_ci_u32_e64 v1, null, v142, v1, vcc_lo
	v_add_co_u32 v104, vcc_lo, v141, v104
	v_add_nc_u32_e32 v108, s6, v106
	v_add_co_ci_u32_e64 v105, null, v142, v105, vcc_lo
	v_ashrrev_i32_e32 v107, 31, v106
	global_store_dwordx4 v[102:103], v[98:101], off
	global_store_dwordx4 v[0:1], v[94:97], off
	global_store_dwordx4 v[104:105], v[90:93], off
	v_add_nc_u32_e32 v90, s6, v108
	v_ashrrev_i32_e32 v109, 31, v108
	v_lshlrev_b64 v[98:99], 4, v[106:107]
	v_add_nc_u32_e32 v94, s6, v90
	v_lshlrev_b64 v[0:1], 4, v[108:109]
	v_ashrrev_i32_e32 v91, 31, v90
	v_add_co_u32 v92, vcc_lo, v141, v98
	v_add_nc_u32_e32 v96, s6, v94
	v_add_co_ci_u32_e64 v93, null, v142, v99, vcc_lo
	;; [unrolled: 30-line block ×4, first 2 shown]
	v_add_co_u32 v0, vcc_lo, v141, v0
	v_ashrrev_i32_e32 v55, 31, v54
	v_add_co_ci_u32_e64 v1, null, v142, v1, vcc_lo
	v_ashrrev_i32_e32 v57, 31, v56
	v_lshlrev_b64 v[50:51], 4, v[50:51]
	global_store_dwordx4 v[52:53], v[46:49], off
	global_store_dwordx4 v[0:1], v[42:45], off
	v_lshlrev_b64 v[0:1], 4, v[54:55]
	v_add_nc_u32_e32 v46, s6, v56
	v_lshlrev_b64 v[44:45], 4, v[56:57]
	v_add_co_u32 v42, vcc_lo, v141, v50
	v_add_co_ci_u32_e64 v43, null, v142, v51, vcc_lo
	v_add_co_u32 v0, vcc_lo, v141, v0
	v_add_nc_u32_e32 v48, s6, v46
	v_add_co_ci_u32_e64 v1, null, v142, v1, vcc_lo
	v_add_co_u32 v44, vcc_lo, v141, v44
	v_ashrrev_i32_e32 v47, 31, v46
	v_add_co_ci_u32_e64 v45, null, v142, v45, vcc_lo
	v_ashrrev_i32_e32 v49, 31, v48
	global_store_dwordx4 v[42:43], v[38:41], off
	v_lshlrev_b64 v[38:39], 4, v[46:47]
	global_store_dwordx4 v[0:1], v[34:37], off
	global_store_dwordx4 v[44:45], v[30:33], off
	v_add_nc_u32_e32 v30, s6, v48
	v_lshlrev_b64 v[0:1], 4, v[48:49]
	v_add_co_u32 v32, vcc_lo, v141, v38
	v_add_nc_u32_e32 v34, s6, v30
	v_add_co_ci_u32_e64 v33, null, v142, v39, vcc_lo
	v_add_co_u32 v0, vcc_lo, v141, v0
	v_add_co_ci_u32_e64 v1, null, v142, v1, vcc_lo
	v_add_nc_u32_e32 v36, s6, v34
	v_ashrrev_i32_e32 v31, 31, v30
	global_store_dwordx4 v[32:33], v[26:29], off
	global_store_dwordx4 v[0:1], v[22:25], off
	v_ashrrev_i32_e32 v35, 31, v34
	v_add_nc_u32_e32 v22, s6, v36
	v_lshlrev_b64 v[26:27], 4, v[30:31]
	v_ashrrev_i32_e32 v37, 31, v36
	v_lshlrev_b64 v[0:1], 4, v[34:35]
	v_add_nc_u32_e32 v28, s6, v22
	v_ashrrev_i32_e32 v23, 31, v22
	v_add_co_u32 v24, vcc_lo, v141, v26
	v_add_co_ci_u32_e64 v25, null, v142, v27, vcc_lo
	v_ashrrev_i32_e32 v29, 31, v28
	v_lshlrev_b64 v[26:27], 4, v[36:37]
	v_lshlrev_b64 v[22:23], 4, v[22:23]
	v_add_co_u32 v0, vcc_lo, v141, v0
	v_lshlrev_b64 v[28:29], 4, v[28:29]
	v_add_co_ci_u32_e64 v1, null, v142, v1, vcc_lo
	v_add_co_u32 v26, vcc_lo, v141, v26
	v_add_co_ci_u32_e64 v27, null, v142, v27, vcc_lo
	v_add_co_u32 v22, vcc_lo, v141, v22
	;; [unrolled: 2-line block ×3, first 2 shown]
	v_add_co_ci_u32_e64 v29, null, v142, v29, vcc_lo
	global_store_dwordx4 v[24:25], v[18:21], off
	global_store_dwordx4 v[0:1], v[14:17], off
	;; [unrolled: 1-line block ×5, first 2 shown]
.LBB62_675:
	s_endpgm
	.section	.rodata,"a",@progbits
	.p2align	6, 0x0
	.amdhsa_kernel _ZN9rocsolver6v33100L18getf2_small_kernelILi32E19rocblas_complex_numIdEiiPS3_EEvT1_T3_lS5_lPS5_llPT2_S5_S5_S7_l
		.amdhsa_group_segment_fixed_size 0
		.amdhsa_private_segment_fixed_size 0
		.amdhsa_kernarg_size 352
		.amdhsa_user_sgpr_count 6
		.amdhsa_user_sgpr_private_segment_buffer 1
		.amdhsa_user_sgpr_dispatch_ptr 0
		.amdhsa_user_sgpr_queue_ptr 0
		.amdhsa_user_sgpr_kernarg_segment_ptr 1
		.amdhsa_user_sgpr_dispatch_id 0
		.amdhsa_user_sgpr_flat_scratch_init 0
		.amdhsa_user_sgpr_private_segment_size 0
		.amdhsa_wavefront_size32 1
		.amdhsa_uses_dynamic_stack 0
		.amdhsa_system_sgpr_private_segment_wavefront_offset 0
		.amdhsa_system_sgpr_workgroup_id_x 1
		.amdhsa_system_sgpr_workgroup_id_y 1
		.amdhsa_system_sgpr_workgroup_id_z 0
		.amdhsa_system_sgpr_workgroup_info 0
		.amdhsa_system_vgpr_workitem_id 1
		.amdhsa_next_free_vgpr 157
		.amdhsa_next_free_sgpr 19
		.amdhsa_reserve_vcc 1
		.amdhsa_reserve_flat_scratch 0
		.amdhsa_float_round_mode_32 0
		.amdhsa_float_round_mode_16_64 0
		.amdhsa_float_denorm_mode_32 3
		.amdhsa_float_denorm_mode_16_64 3
		.amdhsa_dx10_clamp 1
		.amdhsa_ieee_mode 1
		.amdhsa_fp16_overflow 0
		.amdhsa_workgroup_processor_mode 1
		.amdhsa_memory_ordered 1
		.amdhsa_forward_progress 1
		.amdhsa_shared_vgpr_count 0
		.amdhsa_exception_fp_ieee_invalid_op 0
		.amdhsa_exception_fp_denorm_src 0
		.amdhsa_exception_fp_ieee_div_zero 0
		.amdhsa_exception_fp_ieee_overflow 0
		.amdhsa_exception_fp_ieee_underflow 0
		.amdhsa_exception_fp_ieee_inexact 0
		.amdhsa_exception_int_div_zero 0
	.end_amdhsa_kernel
	.section	.text._ZN9rocsolver6v33100L18getf2_small_kernelILi32E19rocblas_complex_numIdEiiPS3_EEvT1_T3_lS5_lPS5_llPT2_S5_S5_S7_l,"axG",@progbits,_ZN9rocsolver6v33100L18getf2_small_kernelILi32E19rocblas_complex_numIdEiiPS3_EEvT1_T3_lS5_lPS5_llPT2_S5_S5_S7_l,comdat
.Lfunc_end62:
	.size	_ZN9rocsolver6v33100L18getf2_small_kernelILi32E19rocblas_complex_numIdEiiPS3_EEvT1_T3_lS5_lPS5_llPT2_S5_S5_S7_l, .Lfunc_end62-_ZN9rocsolver6v33100L18getf2_small_kernelILi32E19rocblas_complex_numIdEiiPS3_EEvT1_T3_lS5_lPS5_llPT2_S5_S5_S7_l
                                        ; -- End function
	.set _ZN9rocsolver6v33100L18getf2_small_kernelILi32E19rocblas_complex_numIdEiiPS3_EEvT1_T3_lS5_lPS5_llPT2_S5_S5_S7_l.num_vgpr, 157
	.set _ZN9rocsolver6v33100L18getf2_small_kernelILi32E19rocblas_complex_numIdEiiPS3_EEvT1_T3_lS5_lPS5_llPT2_S5_S5_S7_l.num_agpr, 0
	.set _ZN9rocsolver6v33100L18getf2_small_kernelILi32E19rocblas_complex_numIdEiiPS3_EEvT1_T3_lS5_lPS5_llPT2_S5_S5_S7_l.numbered_sgpr, 19
	.set _ZN9rocsolver6v33100L18getf2_small_kernelILi32E19rocblas_complex_numIdEiiPS3_EEvT1_T3_lS5_lPS5_llPT2_S5_S5_S7_l.num_named_barrier, 0
	.set _ZN9rocsolver6v33100L18getf2_small_kernelILi32E19rocblas_complex_numIdEiiPS3_EEvT1_T3_lS5_lPS5_llPT2_S5_S5_S7_l.private_seg_size, 0
	.set _ZN9rocsolver6v33100L18getf2_small_kernelILi32E19rocblas_complex_numIdEiiPS3_EEvT1_T3_lS5_lPS5_llPT2_S5_S5_S7_l.uses_vcc, 1
	.set _ZN9rocsolver6v33100L18getf2_small_kernelILi32E19rocblas_complex_numIdEiiPS3_EEvT1_T3_lS5_lPS5_llPT2_S5_S5_S7_l.uses_flat_scratch, 0
	.set _ZN9rocsolver6v33100L18getf2_small_kernelILi32E19rocblas_complex_numIdEiiPS3_EEvT1_T3_lS5_lPS5_llPT2_S5_S5_S7_l.has_dyn_sized_stack, 0
	.set _ZN9rocsolver6v33100L18getf2_small_kernelILi32E19rocblas_complex_numIdEiiPS3_EEvT1_T3_lS5_lPS5_llPT2_S5_S5_S7_l.has_recursion, 0
	.set _ZN9rocsolver6v33100L18getf2_small_kernelILi32E19rocblas_complex_numIdEiiPS3_EEvT1_T3_lS5_lPS5_llPT2_S5_S5_S7_l.has_indirect_call, 0
	.section	.AMDGPU.csdata,"",@progbits
; Kernel info:
; codeLenInByte = 68208
; TotalNumSgprs: 21
; NumVgprs: 157
; ScratchSize: 0
; MemoryBound: 0
; FloatMode: 240
; IeeeMode: 1
; LDSByteSize: 0 bytes/workgroup (compile time only)
; SGPRBlocks: 0
; VGPRBlocks: 19
; NumSGPRsForWavesPerEU: 21
; NumVGPRsForWavesPerEU: 157
; Occupancy: 6
; WaveLimiterHint : 0
; COMPUTE_PGM_RSRC2:SCRATCH_EN: 0
; COMPUTE_PGM_RSRC2:USER_SGPR: 6
; COMPUTE_PGM_RSRC2:TRAP_HANDLER: 0
; COMPUTE_PGM_RSRC2:TGID_X_EN: 1
; COMPUTE_PGM_RSRC2:TGID_Y_EN: 1
; COMPUTE_PGM_RSRC2:TGID_Z_EN: 0
; COMPUTE_PGM_RSRC2:TIDIG_COMP_CNT: 1
	.section	.text._ZN9rocsolver6v33100L23getf2_npvt_small_kernelILi32E19rocblas_complex_numIdEiiPS3_EEvT1_T3_lS5_lPT2_S5_S5_,"axG",@progbits,_ZN9rocsolver6v33100L23getf2_npvt_small_kernelILi32E19rocblas_complex_numIdEiiPS3_EEvT1_T3_lS5_lPT2_S5_S5_,comdat
	.globl	_ZN9rocsolver6v33100L23getf2_npvt_small_kernelILi32E19rocblas_complex_numIdEiiPS3_EEvT1_T3_lS5_lPT2_S5_S5_ ; -- Begin function _ZN9rocsolver6v33100L23getf2_npvt_small_kernelILi32E19rocblas_complex_numIdEiiPS3_EEvT1_T3_lS5_lPT2_S5_S5_
	.p2align	8
	.type	_ZN9rocsolver6v33100L23getf2_npvt_small_kernelILi32E19rocblas_complex_numIdEiiPS3_EEvT1_T3_lS5_lPT2_S5_S5_,@function
_ZN9rocsolver6v33100L23getf2_npvt_small_kernelILi32E19rocblas_complex_numIdEiiPS3_EEvT1_T3_lS5_lPT2_S5_S5_: ; @_ZN9rocsolver6v33100L23getf2_npvt_small_kernelILi32E19rocblas_complex_numIdEiiPS3_EEvT1_T3_lS5_lPT2_S5_S5_
; %bb.0:
	s_mov_b64 s[18:19], s[2:3]
	s_mov_b64 s[16:17], s[0:1]
	s_clause 0x1
	s_load_dword s0, s[4:5], 0x44
	s_load_dwordx2 s[12:13], s[4:5], 0x30
	s_add_u32 s16, s16, s8
	s_addc_u32 s17, s17, 0
	s_waitcnt lgkmcnt(0)
	s_lshr_b32 s14, s0, 16
	s_mov_b32 s0, exec_lo
	v_mad_u64_u32 v[134:135], null, s7, s14, v[1:2]
	v_cmpx_gt_i32_e64 s12, v134
	s_cbranch_execz .LBB63_293
; %bb.1:
	s_clause 0x2
	s_load_dwordx4 s[8:11], s[4:5], 0x20
	s_load_dword s6, s[4:5], 0x18
	s_load_dwordx4 s[0:3], s[4:5], 0x8
	v_ashrrev_i32_e32 v135, 31, v134
	s_waitcnt lgkmcnt(0)
	v_mul_lo_u32 v5, s9, v134
	v_mul_lo_u32 v7, s8, v135
	v_mad_u64_u32 v[2:3], null, s8, v134, 0
	v_add3_u32 v4, s6, s6, v0
	s_lshl_b64 s[2:3], s[2:3], 4
	s_ashr_i32 s7, s6, 31
	v_add_nc_u32_e32 v6, s6, v4
	v_add3_u32 v3, v3, v7, v5
	v_ashrrev_i32_e32 v5, 31, v4
	v_add_nc_u32_e32 v8, s6, v6
	v_lshlrev_b64 v[2:3], 4, v[2:3]
	v_ashrrev_i32_e32 v7, 31, v6
	v_lshlrev_b64 v[4:5], 4, v[4:5]
	v_add_nc_u32_e32 v10, s6, v8
	v_ashrrev_i32_e32 v9, 31, v8
	v_add_co_u32 v2, vcc_lo, s0, v2
	v_add_co_ci_u32_e64 v3, null, s1, v3, vcc_lo
	v_add_nc_u32_e32 v12, s6, v10
	v_add_co_u32 v2, vcc_lo, v2, s2
	v_lshlrev_b64 v[6:7], 4, v[6:7]
	v_ashrrev_i32_e32 v11, 31, v10
	v_add_co_ci_u32_e64 v3, null, s3, v3, vcc_lo
	v_add_nc_u32_e32 v14, s6, v12
	v_lshlrev_b64 v[8:9], 4, v[8:9]
	v_ashrrev_i32_e32 v13, 31, v12
	v_add_co_u32 v254, vcc_lo, v2, v4
	v_lshlrev_b64 v[10:11], 4, v[10:11]
	v_add_co_ci_u32_e64 v255, null, v3, v5, vcc_lo
	v_add_co_u32 v136, vcc_lo, v2, v6
	v_add_nc_u32_e32 v6, s6, v14
	v_lshlrev_b64 v[4:5], 4, v[12:13]
	v_ashrrev_i32_e32 v15, 31, v14
	v_add_co_ci_u32_e64 v137, null, v3, v7, vcc_lo
	v_add_co_u32 v143, vcc_lo, v2, v8
	v_add_co_ci_u32_e64 v144, null, v3, v9, vcc_lo
	v_add_co_u32 v12, vcc_lo, v2, v10
	v_ashrrev_i32_e32 v7, 31, v6
	v_add_nc_u32_e32 v10, s6, v6
	v_lshlrev_b64 v[8:9], 4, v[14:15]
	v_add_co_ci_u32_e64 v13, null, v3, v11, vcc_lo
	v_add_co_u32 v14, vcc_lo, v2, v4
	v_add_co_ci_u32_e64 v15, null, v3, v5, vcc_lo
	v_lshlrev_b64 v[4:5], 4, v[6:7]
	v_ashrrev_i32_e32 v11, 31, v10
	v_add_nc_u32_e32 v6, s6, v10
	v_add_co_u32 v16, vcc_lo, v2, v8
	v_add_co_ci_u32_e64 v17, null, v3, v9, vcc_lo
	v_lshlrev_b64 v[8:9], 4, v[10:11]
	v_ashrrev_i32_e32 v7, 31, v6
	v_add_nc_u32_e32 v10, s6, v6
	;; [unrolled: 5-line block ×20, first 2 shown]
	v_add_co_u32 v147, vcc_lo, v2, v4
	v_add_co_ci_u32_e64 v148, null, v3, v5, vcc_lo
	v_lshlrev_b64 v[4:5], 4, v[6:7]
	v_add_nc_u32_e32 v6, s6, v10
	v_ashrrev_i32_e32 v11, 31, v10
	v_add_co_u32 v149, vcc_lo, v2, v8
	v_add_co_ci_u32_e64 v150, null, v3, v9, vcc_lo
	v_ashrrev_i32_e32 v7, 31, v6
	v_lshlrev_b64 v[8:9], 4, v[10:11]
	v_add_co_u32 v10, vcc_lo, v2, v4
	v_add_co_ci_u32_e64 v11, null, v3, v5, vcc_lo
	v_lshlrev_b64 v[4:5], 4, v[6:7]
	v_add_nc_u32_e32 v6, s6, v6
	v_add_co_u32 v151, vcc_lo, v2, v8
	v_lshlrev_b32_e32 v8, 4, v0
	v_add_co_ci_u32_e64 v152, null, v3, v9, vcc_lo
	v_add_co_u32 v153, vcc_lo, v2, v4
	v_ashrrev_i32_e32 v7, 31, v6
	v_add_co_ci_u32_e64 v154, null, v3, v5, vcc_lo
	v_add_co_u32 v138, vcc_lo, v2, v8
	v_add_co_ci_u32_e64 v139, null, 0, v3, vcc_lo
	s_lshl_b64 s[0:1], s[6:7], 4
	v_lshlrev_b64 v[4:5], 4, v[6:7]
	v_add_co_u32 v6, vcc_lo, v138, s0
	v_add_co_ci_u32_e64 v7, null, s1, v139, vcc_lo
	global_load_dwordx4 v[126:129], v[138:139], off
	buffer_store_dword v6, off, s[16:19], 0 offset:216 ; 4-byte Folded Spill
	buffer_store_dword v7, off, s[16:19], 0 offset:220 ; 4-byte Folded Spill
	v_add_co_u32 v2, vcc_lo, v2, v4
	v_add_co_ci_u32_e64 v3, null, v3, v5, vcc_lo
	s_lshl_b32 s0, s14, 9
	v_cmp_ne_u32_e64 s1, 0, v0
	s_clause 0x3
	global_load_dwordx4 v[122:125], v[6:7], off
	global_load_dwordx4 v[118:121], v[254:255], off
	;; [unrolled: 1-line block ×4, first 2 shown]
	buffer_store_dword v12, off, s[16:19], 0 ; 4-byte Folded Spill
	buffer_store_dword v13, off, s[16:19], 0 offset:4 ; 4-byte Folded Spill
	global_load_dwordx4 v[106:109], v[12:13], off
	buffer_store_dword v14, off, s[16:19], 0 offset:8 ; 4-byte Folded Spill
	buffer_store_dword v15, off, s[16:19], 0 offset:12 ; 4-byte Folded Spill
	global_load_dwordx4 v[102:105], v[14:15], off
	buffer_store_dword v16, off, s[16:19], 0 offset:16 ; 4-byte Folded Spill
	;; [unrolled: 3-line block ×18, first 2 shown]
	buffer_store_dword v133, off, s[16:19], 0 offset:148 ; 4-byte Folded Spill
	v_lshlrev_b32_e32 v130, 4, v1
	global_load_dwordx4 v[34:37], v[132:133], off
	buffer_store_dword v140, off, s[16:19], 0 offset:152 ; 4-byte Folded Spill
	buffer_store_dword v141, off, s[16:19], 0 offset:156 ; 4-byte Folded Spill
	global_load_dwordx4 v[30:33], v[140:141], off
	buffer_store_dword v145, off, s[16:19], 0 offset:160 ; 4-byte Folded Spill
	buffer_store_dword v146, off, s[16:19], 0 offset:164 ; 4-byte Folded Spill
	v_lshl_add_u32 v140, v1, 9, 0
	v_add3_u32 v1, 0, s0, v130
	v_cmp_eq_u32_e64 s0, 0, v0
	global_load_dwordx4 v[26:29], v[145:146], off
	buffer_store_dword v147, off, s[16:19], 0 offset:168 ; 4-byte Folded Spill
	buffer_store_dword v148, off, s[16:19], 0 offset:172 ; 4-byte Folded Spill
	global_load_dwordx4 v[22:25], v[147:148], off
	buffer_store_dword v149, off, s[16:19], 0 offset:184 ; 4-byte Folded Spill
	buffer_store_dword v150, off, s[16:19], 0 offset:188 ; 4-byte Folded Spill
	;; [unrolled: 3-line block ×6, first 2 shown]
	global_load_dwordx4 v[2:5], v[2:3], off
	s_and_saveexec_b32 s3, s0
	s_cbranch_execz .LBB63_8
; %bb.2:
	s_waitcnt vmcnt(31)
	ds_write2_b64 v1, v[126:127], v[128:129] offset1:1
	s_waitcnt vmcnt(30)
	ds_write2_b64 v140, v[122:123], v[124:125] offset0:2 offset1:3
	s_waitcnt vmcnt(29)
	ds_write2_b64 v140, v[118:119], v[120:121] offset0:4 offset1:5
	;; [unrolled: 2-line block ×31, first 2 shown]
	ds_read2_b64 v[130:133], v1 offset1:1
	s_waitcnt lgkmcnt(0)
	v_cmp_neq_f64_e32 vcc_lo, 0, v[130:131]
	v_cmp_neq_f64_e64 s2, 0, v[132:133]
	s_or_b32 s2, vcc_lo, s2
	s_and_b32 exec_lo, exec_lo, s2
	s_cbranch_execz .LBB63_8
; %bb.3:
	v_cmp_ngt_f64_e64 s2, |v[130:131]|, |v[132:133]|
                                        ; implicit-def: $vgpr146_vgpr147
	s_and_saveexec_b32 s4, s2
	s_xor_b32 s2, exec_lo, s4
                                        ; implicit-def: $vgpr148_vgpr149
	s_cbranch_execz .LBB63_5
; %bb.4:
	v_div_scale_f64 v[146:147], null, v[132:133], v[132:133], v[130:131]
	v_div_scale_f64 v[152:153], vcc_lo, v[130:131], v[132:133], v[130:131]
	v_rcp_f64_e32 v[148:149], v[146:147]
	v_fma_f64 v[150:151], -v[146:147], v[148:149], 1.0
	v_fma_f64 v[148:149], v[148:149], v[150:151], v[148:149]
	v_fma_f64 v[150:151], -v[146:147], v[148:149], 1.0
	v_fma_f64 v[148:149], v[148:149], v[150:151], v[148:149]
	v_mul_f64 v[150:151], v[152:153], v[148:149]
	v_fma_f64 v[146:147], -v[146:147], v[150:151], v[152:153]
	v_div_fmas_f64 v[146:147], v[146:147], v[148:149], v[150:151]
	v_div_fixup_f64 v[146:147], v[146:147], v[132:133], v[130:131]
	v_fma_f64 v[130:131], v[130:131], v[146:147], v[132:133]
	v_div_scale_f64 v[132:133], null, v[130:131], v[130:131], 1.0
	v_rcp_f64_e32 v[148:149], v[132:133]
	v_fma_f64 v[150:151], -v[132:133], v[148:149], 1.0
	v_fma_f64 v[148:149], v[148:149], v[150:151], v[148:149]
	v_fma_f64 v[150:151], -v[132:133], v[148:149], 1.0
	v_fma_f64 v[148:149], v[148:149], v[150:151], v[148:149]
	v_div_scale_f64 v[150:151], vcc_lo, 1.0, v[130:131], 1.0
	v_mul_f64 v[152:153], v[150:151], v[148:149]
	v_fma_f64 v[132:133], -v[132:133], v[152:153], v[150:151]
	v_div_fmas_f64 v[132:133], v[132:133], v[148:149], v[152:153]
	v_div_fixup_f64 v[148:149], v[132:133], v[130:131], 1.0
                                        ; implicit-def: $vgpr130_vgpr131
	v_mul_f64 v[146:147], v[146:147], v[148:149]
	v_xor_b32_e32 v149, 0x80000000, v149
.LBB63_5:
	s_andn2_saveexec_b32 s2, s2
	s_cbranch_execz .LBB63_7
; %bb.6:
	v_div_scale_f64 v[146:147], null, v[130:131], v[130:131], v[132:133]
	v_div_scale_f64 v[152:153], vcc_lo, v[132:133], v[130:131], v[132:133]
	v_rcp_f64_e32 v[148:149], v[146:147]
	v_fma_f64 v[150:151], -v[146:147], v[148:149], 1.0
	v_fma_f64 v[148:149], v[148:149], v[150:151], v[148:149]
	v_fma_f64 v[150:151], -v[146:147], v[148:149], 1.0
	v_fma_f64 v[148:149], v[148:149], v[150:151], v[148:149]
	v_mul_f64 v[150:151], v[152:153], v[148:149]
	v_fma_f64 v[146:147], -v[146:147], v[150:151], v[152:153]
	v_div_fmas_f64 v[146:147], v[146:147], v[148:149], v[150:151]
	v_div_fixup_f64 v[148:149], v[146:147], v[130:131], v[132:133]
	v_fma_f64 v[130:131], v[132:133], v[148:149], v[130:131]
	v_div_scale_f64 v[132:133], null, v[130:131], v[130:131], 1.0
	v_rcp_f64_e32 v[146:147], v[132:133]
	v_fma_f64 v[150:151], -v[132:133], v[146:147], 1.0
	v_fma_f64 v[146:147], v[146:147], v[150:151], v[146:147]
	v_fma_f64 v[150:151], -v[132:133], v[146:147], 1.0
	v_fma_f64 v[146:147], v[146:147], v[150:151], v[146:147]
	v_div_scale_f64 v[150:151], vcc_lo, 1.0, v[130:131], 1.0
	v_mul_f64 v[152:153], v[150:151], v[146:147]
	v_fma_f64 v[132:133], -v[132:133], v[152:153], v[150:151]
	v_div_fmas_f64 v[132:133], v[132:133], v[146:147], v[152:153]
	v_div_fixup_f64 v[146:147], v[132:133], v[130:131], 1.0
	v_mul_f64 v[148:149], v[148:149], -v[146:147]
.LBB63_7:
	s_or_b32 exec_lo, exec_lo, s2
	ds_write2_b64 v1, v[146:147], v[148:149] offset1:1
.LBB63_8:
	s_or_b32 exec_lo, exec_lo, s3
	s_waitcnt vmcnt(0) lgkmcnt(0)
	s_waitcnt_vscnt null, 0x0
	s_barrier
	buffer_gl0_inv
	ds_read2_b64 v[130:133], v1 offset1:1
	s_waitcnt lgkmcnt(0)
	buffer_store_dword v130, off, s[16:19], 0 offset:224 ; 4-byte Folded Spill
	buffer_store_dword v131, off, s[16:19], 0 offset:228 ; 4-byte Folded Spill
	;; [unrolled: 1-line block ×4, first 2 shown]
	s_and_saveexec_b32 s2, s1
	s_cbranch_execz .LBB63_10
; %bb.9:
	s_clause 0x3
	buffer_load_dword v145, off, s[16:19], 0 offset:224
	buffer_load_dword v146, off, s[16:19], 0 offset:228
	;; [unrolled: 1-line block ×4, first 2 shown]
	s_waitcnt vmcnt(0)
	v_mul_f64 v[130:131], v[147:148], v[128:129]
	v_mul_f64 v[128:129], v[145:146], v[128:129]
	v_fma_f64 v[130:131], v[145:146], v[126:127], -v[130:131]
	v_fma_f64 v[128:129], v[147:148], v[126:127], v[128:129]
	ds_read2_b64 v[146:149], v140 offset0:2 offset1:3
	s_waitcnt lgkmcnt(0)
	v_mul_f64 v[126:127], v[148:149], v[128:129]
	v_mul_f64 v[132:133], v[146:147], v[128:129]
	v_fma_f64 v[126:127], v[146:147], v[130:131], -v[126:127]
	v_fma_f64 v[132:133], v[148:149], v[130:131], v[132:133]
	ds_read2_b64 v[146:149], v140 offset0:4 offset1:5
	v_add_f64 v[122:123], v[122:123], -v[126:127]
	v_add_f64 v[124:125], v[124:125], -v[132:133]
	s_waitcnt lgkmcnt(0)
	v_mul_f64 v[126:127], v[148:149], v[128:129]
	v_mul_f64 v[132:133], v[146:147], v[128:129]
	v_fma_f64 v[126:127], v[146:147], v[130:131], -v[126:127]
	v_fma_f64 v[132:133], v[148:149], v[130:131], v[132:133]
	ds_read2_b64 v[146:149], v140 offset0:6 offset1:7
	v_add_f64 v[118:119], v[118:119], -v[126:127]
	v_add_f64 v[120:121], v[120:121], -v[132:133]
	;; [unrolled: 8-line block ×30, first 2 shown]
	s_waitcnt lgkmcnt(0)
	v_mul_f64 v[126:127], v[148:149], v[128:129]
	v_mul_f64 v[132:133], v[146:147], v[128:129]
	v_fma_f64 v[126:127], v[146:147], v[130:131], -v[126:127]
	v_fma_f64 v[132:133], v[148:149], v[130:131], v[132:133]
	v_add_f64 v[2:3], v[2:3], -v[126:127]
	v_add_f64 v[4:5], v[4:5], -v[132:133]
	v_mov_b32_e32 v126, v130
	v_mov_b32_e32 v127, v131
.LBB63_10:
	s_or_b32 exec_lo, exec_lo, s2
	s_mov_b32 s2, exec_lo
	s_waitcnt_vscnt null, 0x0
	s_barrier
	buffer_gl0_inv
	v_cmpx_eq_u32_e32 1, v0
	s_cbranch_execz .LBB63_17
; %bb.11:
	ds_write2_b64 v1, v[122:123], v[124:125] offset1:1
	ds_write2_b64 v140, v[118:119], v[120:121] offset0:4 offset1:5
	ds_write2_b64 v140, v[114:115], v[116:117] offset0:6 offset1:7
	ds_write2_b64 v140, v[110:111], v[112:113] offset0:8 offset1:9
	ds_write2_b64 v140, v[106:107], v[108:109] offset0:10 offset1:11
	ds_write2_b64 v140, v[102:103], v[104:105] offset0:12 offset1:13
	ds_write2_b64 v140, v[98:99], v[100:101] offset0:14 offset1:15
	ds_write2_b64 v140, v[94:95], v[96:97] offset0:16 offset1:17
	ds_write2_b64 v140, v[90:91], v[92:93] offset0:18 offset1:19
	ds_write2_b64 v140, v[86:87], v[88:89] offset0:20 offset1:21
	ds_write2_b64 v140, v[82:83], v[84:85] offset0:22 offset1:23
	ds_write2_b64 v140, v[78:79], v[80:81] offset0:24 offset1:25
	ds_write2_b64 v140, v[74:75], v[76:77] offset0:26 offset1:27
	ds_write2_b64 v140, v[70:71], v[72:73] offset0:28 offset1:29
	ds_write2_b64 v140, v[66:67], v[68:69] offset0:30 offset1:31
	ds_write2_b64 v140, v[62:63], v[64:65] offset0:32 offset1:33
	ds_write2_b64 v140, v[58:59], v[60:61] offset0:34 offset1:35
	ds_write2_b64 v140, v[54:55], v[56:57] offset0:36 offset1:37
	ds_write2_b64 v140, v[50:51], v[52:53] offset0:38 offset1:39
	ds_write2_b64 v140, v[46:47], v[48:49] offset0:40 offset1:41
	ds_write2_b64 v140, v[42:43], v[44:45] offset0:42 offset1:43
	ds_write2_b64 v140, v[38:39], v[40:41] offset0:44 offset1:45
	ds_write2_b64 v140, v[34:35], v[36:37] offset0:46 offset1:47
	ds_write2_b64 v140, v[30:31], v[32:33] offset0:48 offset1:49
	ds_write2_b64 v140, v[26:27], v[28:29] offset0:50 offset1:51
	ds_write2_b64 v140, v[22:23], v[24:25] offset0:52 offset1:53
	ds_write2_b64 v140, v[18:19], v[20:21] offset0:54 offset1:55
	ds_write2_b64 v140, v[14:15], v[16:17] offset0:56 offset1:57
	ds_write2_b64 v140, v[10:11], v[12:13] offset0:58 offset1:59
	ds_write2_b64 v140, v[6:7], v[8:9] offset0:60 offset1:61
	ds_write2_b64 v140, v[2:3], v[4:5] offset0:62 offset1:63
	ds_read2_b64 v[130:133], v1 offset1:1
	s_waitcnt lgkmcnt(0)
	v_cmp_neq_f64_e32 vcc_lo, 0, v[130:131]
	v_cmp_neq_f64_e64 s1, 0, v[132:133]
	s_or_b32 s1, vcc_lo, s1
	s_and_b32 exec_lo, exec_lo, s1
	s_cbranch_execz .LBB63_17
; %bb.12:
	v_cmp_ngt_f64_e64 s1, |v[130:131]|, |v[132:133]|
                                        ; implicit-def: $vgpr146_vgpr147
	s_and_saveexec_b32 s3, s1
	s_xor_b32 s1, exec_lo, s3
                                        ; implicit-def: $vgpr148_vgpr149
	s_cbranch_execz .LBB63_14
; %bb.13:
	v_div_scale_f64 v[146:147], null, v[132:133], v[132:133], v[130:131]
	v_div_scale_f64 v[152:153], vcc_lo, v[130:131], v[132:133], v[130:131]
	v_rcp_f64_e32 v[148:149], v[146:147]
	v_fma_f64 v[150:151], -v[146:147], v[148:149], 1.0
	v_fma_f64 v[148:149], v[148:149], v[150:151], v[148:149]
	v_fma_f64 v[150:151], -v[146:147], v[148:149], 1.0
	v_fma_f64 v[148:149], v[148:149], v[150:151], v[148:149]
	v_mul_f64 v[150:151], v[152:153], v[148:149]
	v_fma_f64 v[146:147], -v[146:147], v[150:151], v[152:153]
	v_div_fmas_f64 v[146:147], v[146:147], v[148:149], v[150:151]
	v_div_fixup_f64 v[146:147], v[146:147], v[132:133], v[130:131]
	v_fma_f64 v[130:131], v[130:131], v[146:147], v[132:133]
	v_div_scale_f64 v[132:133], null, v[130:131], v[130:131], 1.0
	v_rcp_f64_e32 v[148:149], v[132:133]
	v_fma_f64 v[150:151], -v[132:133], v[148:149], 1.0
	v_fma_f64 v[148:149], v[148:149], v[150:151], v[148:149]
	v_fma_f64 v[150:151], -v[132:133], v[148:149], 1.0
	v_fma_f64 v[148:149], v[148:149], v[150:151], v[148:149]
	v_div_scale_f64 v[150:151], vcc_lo, 1.0, v[130:131], 1.0
	v_mul_f64 v[152:153], v[150:151], v[148:149]
	v_fma_f64 v[132:133], -v[132:133], v[152:153], v[150:151]
	v_div_fmas_f64 v[132:133], v[132:133], v[148:149], v[152:153]
	v_div_fixup_f64 v[148:149], v[132:133], v[130:131], 1.0
                                        ; implicit-def: $vgpr130_vgpr131
	v_mul_f64 v[146:147], v[146:147], v[148:149]
	v_xor_b32_e32 v149, 0x80000000, v149
.LBB63_14:
	s_andn2_saveexec_b32 s1, s1
	s_cbranch_execz .LBB63_16
; %bb.15:
	v_div_scale_f64 v[146:147], null, v[130:131], v[130:131], v[132:133]
	v_div_scale_f64 v[152:153], vcc_lo, v[132:133], v[130:131], v[132:133]
	v_rcp_f64_e32 v[148:149], v[146:147]
	v_fma_f64 v[150:151], -v[146:147], v[148:149], 1.0
	v_fma_f64 v[148:149], v[148:149], v[150:151], v[148:149]
	v_fma_f64 v[150:151], -v[146:147], v[148:149], 1.0
	v_fma_f64 v[148:149], v[148:149], v[150:151], v[148:149]
	v_mul_f64 v[150:151], v[152:153], v[148:149]
	v_fma_f64 v[146:147], -v[146:147], v[150:151], v[152:153]
	v_div_fmas_f64 v[146:147], v[146:147], v[148:149], v[150:151]
	v_div_fixup_f64 v[148:149], v[146:147], v[130:131], v[132:133]
	v_fma_f64 v[130:131], v[132:133], v[148:149], v[130:131]
	v_div_scale_f64 v[132:133], null, v[130:131], v[130:131], 1.0
	v_rcp_f64_e32 v[146:147], v[132:133]
	v_fma_f64 v[150:151], -v[132:133], v[146:147], 1.0
	v_fma_f64 v[146:147], v[146:147], v[150:151], v[146:147]
	v_fma_f64 v[150:151], -v[132:133], v[146:147], 1.0
	v_fma_f64 v[146:147], v[146:147], v[150:151], v[146:147]
	v_div_scale_f64 v[150:151], vcc_lo, 1.0, v[130:131], 1.0
	v_mul_f64 v[152:153], v[150:151], v[146:147]
	v_fma_f64 v[132:133], -v[132:133], v[152:153], v[150:151]
	v_div_fmas_f64 v[132:133], v[132:133], v[146:147], v[152:153]
	v_div_fixup_f64 v[146:147], v[132:133], v[130:131], 1.0
	v_mul_f64 v[148:149], v[148:149], -v[146:147]
.LBB63_16:
	s_or_b32 exec_lo, exec_lo, s1
	ds_write2_b64 v1, v[146:147], v[148:149] offset1:1
.LBB63_17:
	s_or_b32 exec_lo, exec_lo, s2
	s_waitcnt lgkmcnt(0)
	s_barrier
	buffer_gl0_inv
	ds_read2_b64 v[130:133], v1 offset1:1
	s_mov_b32 s1, exec_lo
	s_waitcnt lgkmcnt(0)
	buffer_store_dword v130, off, s[16:19], 0 offset:240 ; 4-byte Folded Spill
	buffer_store_dword v131, off, s[16:19], 0 offset:244 ; 4-byte Folded Spill
	;; [unrolled: 1-line block ×4, first 2 shown]
	v_cmpx_lt_u32_e32 1, v0
	s_cbranch_execz .LBB63_19
; %bb.18:
	s_clause 0x3
	buffer_load_dword v145, off, s[16:19], 0 offset:240
	buffer_load_dword v146, off, s[16:19], 0 offset:244
	;; [unrolled: 1-line block ×4, first 2 shown]
	s_waitcnt vmcnt(0)
	v_mul_f64 v[130:131], v[147:148], v[124:125]
	v_mul_f64 v[124:125], v[145:146], v[124:125]
	v_fma_f64 v[130:131], v[145:146], v[122:123], -v[130:131]
	v_fma_f64 v[124:125], v[147:148], v[122:123], v[124:125]
	ds_read2_b64 v[146:149], v140 offset0:4 offset1:5
	s_waitcnt lgkmcnt(0)
	v_mul_f64 v[122:123], v[148:149], v[124:125]
	v_mul_f64 v[132:133], v[146:147], v[124:125]
	v_fma_f64 v[122:123], v[146:147], v[130:131], -v[122:123]
	v_fma_f64 v[132:133], v[148:149], v[130:131], v[132:133]
	ds_read2_b64 v[146:149], v140 offset0:6 offset1:7
	v_add_f64 v[118:119], v[118:119], -v[122:123]
	v_add_f64 v[120:121], v[120:121], -v[132:133]
	s_waitcnt lgkmcnt(0)
	v_mul_f64 v[122:123], v[148:149], v[124:125]
	v_mul_f64 v[132:133], v[146:147], v[124:125]
	v_fma_f64 v[122:123], v[146:147], v[130:131], -v[122:123]
	v_fma_f64 v[132:133], v[148:149], v[130:131], v[132:133]
	ds_read2_b64 v[146:149], v140 offset0:8 offset1:9
	v_add_f64 v[114:115], v[114:115], -v[122:123]
	v_add_f64 v[116:117], v[116:117], -v[132:133]
	s_waitcnt lgkmcnt(0)
	v_mul_f64 v[122:123], v[148:149], v[124:125]
	v_mul_f64 v[132:133], v[146:147], v[124:125]
	v_fma_f64 v[122:123], v[146:147], v[130:131], -v[122:123]
	v_fma_f64 v[132:133], v[148:149], v[130:131], v[132:133]
	ds_read2_b64 v[146:149], v140 offset0:10 offset1:11
	v_add_f64 v[110:111], v[110:111], -v[122:123]
	v_add_f64 v[112:113], v[112:113], -v[132:133]
	s_waitcnt lgkmcnt(0)
	v_mul_f64 v[122:123], v[148:149], v[124:125]
	v_mul_f64 v[132:133], v[146:147], v[124:125]
	v_fma_f64 v[122:123], v[146:147], v[130:131], -v[122:123]
	v_fma_f64 v[132:133], v[148:149], v[130:131], v[132:133]
	ds_read2_b64 v[146:149], v140 offset0:12 offset1:13
	v_add_f64 v[106:107], v[106:107], -v[122:123]
	v_add_f64 v[108:109], v[108:109], -v[132:133]
	s_waitcnt lgkmcnt(0)
	v_mul_f64 v[122:123], v[148:149], v[124:125]
	v_mul_f64 v[132:133], v[146:147], v[124:125]
	v_fma_f64 v[122:123], v[146:147], v[130:131], -v[122:123]
	v_fma_f64 v[132:133], v[148:149], v[130:131], v[132:133]
	ds_read2_b64 v[146:149], v140 offset0:14 offset1:15
	v_add_f64 v[102:103], v[102:103], -v[122:123]
	v_add_f64 v[104:105], v[104:105], -v[132:133]
	s_waitcnt lgkmcnt(0)
	v_mul_f64 v[122:123], v[148:149], v[124:125]
	v_mul_f64 v[132:133], v[146:147], v[124:125]
	v_fma_f64 v[122:123], v[146:147], v[130:131], -v[122:123]
	v_fma_f64 v[132:133], v[148:149], v[130:131], v[132:133]
	ds_read2_b64 v[146:149], v140 offset0:16 offset1:17
	v_add_f64 v[98:99], v[98:99], -v[122:123]
	v_add_f64 v[100:101], v[100:101], -v[132:133]
	s_waitcnt lgkmcnt(0)
	v_mul_f64 v[122:123], v[148:149], v[124:125]
	v_mul_f64 v[132:133], v[146:147], v[124:125]
	v_fma_f64 v[122:123], v[146:147], v[130:131], -v[122:123]
	v_fma_f64 v[132:133], v[148:149], v[130:131], v[132:133]
	ds_read2_b64 v[146:149], v140 offset0:18 offset1:19
	v_add_f64 v[94:95], v[94:95], -v[122:123]
	v_add_f64 v[96:97], v[96:97], -v[132:133]
	s_waitcnt lgkmcnt(0)
	v_mul_f64 v[122:123], v[148:149], v[124:125]
	v_mul_f64 v[132:133], v[146:147], v[124:125]
	v_fma_f64 v[122:123], v[146:147], v[130:131], -v[122:123]
	v_fma_f64 v[132:133], v[148:149], v[130:131], v[132:133]
	ds_read2_b64 v[146:149], v140 offset0:20 offset1:21
	v_add_f64 v[90:91], v[90:91], -v[122:123]
	v_add_f64 v[92:93], v[92:93], -v[132:133]
	s_waitcnt lgkmcnt(0)
	v_mul_f64 v[122:123], v[148:149], v[124:125]
	v_mul_f64 v[132:133], v[146:147], v[124:125]
	v_fma_f64 v[122:123], v[146:147], v[130:131], -v[122:123]
	v_fma_f64 v[132:133], v[148:149], v[130:131], v[132:133]
	ds_read2_b64 v[146:149], v140 offset0:22 offset1:23
	v_add_f64 v[86:87], v[86:87], -v[122:123]
	v_add_f64 v[88:89], v[88:89], -v[132:133]
	s_waitcnt lgkmcnt(0)
	v_mul_f64 v[122:123], v[148:149], v[124:125]
	v_mul_f64 v[132:133], v[146:147], v[124:125]
	v_fma_f64 v[122:123], v[146:147], v[130:131], -v[122:123]
	v_fma_f64 v[132:133], v[148:149], v[130:131], v[132:133]
	ds_read2_b64 v[146:149], v140 offset0:24 offset1:25
	v_add_f64 v[82:83], v[82:83], -v[122:123]
	v_add_f64 v[84:85], v[84:85], -v[132:133]
	s_waitcnt lgkmcnt(0)
	v_mul_f64 v[122:123], v[148:149], v[124:125]
	v_mul_f64 v[132:133], v[146:147], v[124:125]
	v_fma_f64 v[122:123], v[146:147], v[130:131], -v[122:123]
	v_fma_f64 v[132:133], v[148:149], v[130:131], v[132:133]
	ds_read2_b64 v[146:149], v140 offset0:26 offset1:27
	v_add_f64 v[78:79], v[78:79], -v[122:123]
	v_add_f64 v[80:81], v[80:81], -v[132:133]
	s_waitcnt lgkmcnt(0)
	v_mul_f64 v[122:123], v[148:149], v[124:125]
	v_mul_f64 v[132:133], v[146:147], v[124:125]
	v_fma_f64 v[122:123], v[146:147], v[130:131], -v[122:123]
	v_fma_f64 v[132:133], v[148:149], v[130:131], v[132:133]
	ds_read2_b64 v[146:149], v140 offset0:28 offset1:29
	v_add_f64 v[74:75], v[74:75], -v[122:123]
	v_add_f64 v[76:77], v[76:77], -v[132:133]
	s_waitcnt lgkmcnt(0)
	v_mul_f64 v[122:123], v[148:149], v[124:125]
	v_mul_f64 v[132:133], v[146:147], v[124:125]
	v_fma_f64 v[122:123], v[146:147], v[130:131], -v[122:123]
	v_fma_f64 v[132:133], v[148:149], v[130:131], v[132:133]
	ds_read2_b64 v[146:149], v140 offset0:30 offset1:31
	v_add_f64 v[70:71], v[70:71], -v[122:123]
	v_add_f64 v[72:73], v[72:73], -v[132:133]
	s_waitcnt lgkmcnt(0)
	v_mul_f64 v[122:123], v[148:149], v[124:125]
	v_mul_f64 v[132:133], v[146:147], v[124:125]
	v_fma_f64 v[122:123], v[146:147], v[130:131], -v[122:123]
	v_fma_f64 v[132:133], v[148:149], v[130:131], v[132:133]
	ds_read2_b64 v[146:149], v140 offset0:32 offset1:33
	v_add_f64 v[66:67], v[66:67], -v[122:123]
	v_add_f64 v[68:69], v[68:69], -v[132:133]
	s_waitcnt lgkmcnt(0)
	v_mul_f64 v[122:123], v[148:149], v[124:125]
	v_mul_f64 v[132:133], v[146:147], v[124:125]
	v_fma_f64 v[122:123], v[146:147], v[130:131], -v[122:123]
	v_fma_f64 v[132:133], v[148:149], v[130:131], v[132:133]
	ds_read2_b64 v[146:149], v140 offset0:34 offset1:35
	v_add_f64 v[62:63], v[62:63], -v[122:123]
	v_add_f64 v[64:65], v[64:65], -v[132:133]
	s_waitcnt lgkmcnt(0)
	v_mul_f64 v[122:123], v[148:149], v[124:125]
	v_mul_f64 v[132:133], v[146:147], v[124:125]
	v_fma_f64 v[122:123], v[146:147], v[130:131], -v[122:123]
	v_fma_f64 v[132:133], v[148:149], v[130:131], v[132:133]
	ds_read2_b64 v[146:149], v140 offset0:36 offset1:37
	v_add_f64 v[58:59], v[58:59], -v[122:123]
	v_add_f64 v[60:61], v[60:61], -v[132:133]
	s_waitcnt lgkmcnt(0)
	v_mul_f64 v[122:123], v[148:149], v[124:125]
	v_mul_f64 v[132:133], v[146:147], v[124:125]
	v_fma_f64 v[122:123], v[146:147], v[130:131], -v[122:123]
	v_fma_f64 v[132:133], v[148:149], v[130:131], v[132:133]
	ds_read2_b64 v[146:149], v140 offset0:38 offset1:39
	v_add_f64 v[54:55], v[54:55], -v[122:123]
	v_add_f64 v[56:57], v[56:57], -v[132:133]
	s_waitcnt lgkmcnt(0)
	v_mul_f64 v[122:123], v[148:149], v[124:125]
	v_mul_f64 v[132:133], v[146:147], v[124:125]
	v_fma_f64 v[122:123], v[146:147], v[130:131], -v[122:123]
	v_fma_f64 v[132:133], v[148:149], v[130:131], v[132:133]
	ds_read2_b64 v[146:149], v140 offset0:40 offset1:41
	v_add_f64 v[50:51], v[50:51], -v[122:123]
	v_add_f64 v[52:53], v[52:53], -v[132:133]
	s_waitcnt lgkmcnt(0)
	v_mul_f64 v[122:123], v[148:149], v[124:125]
	v_mul_f64 v[132:133], v[146:147], v[124:125]
	v_fma_f64 v[122:123], v[146:147], v[130:131], -v[122:123]
	v_fma_f64 v[132:133], v[148:149], v[130:131], v[132:133]
	ds_read2_b64 v[146:149], v140 offset0:42 offset1:43
	v_add_f64 v[46:47], v[46:47], -v[122:123]
	v_add_f64 v[48:49], v[48:49], -v[132:133]
	s_waitcnt lgkmcnt(0)
	v_mul_f64 v[122:123], v[148:149], v[124:125]
	v_mul_f64 v[132:133], v[146:147], v[124:125]
	v_fma_f64 v[122:123], v[146:147], v[130:131], -v[122:123]
	v_fma_f64 v[132:133], v[148:149], v[130:131], v[132:133]
	ds_read2_b64 v[146:149], v140 offset0:44 offset1:45
	v_add_f64 v[42:43], v[42:43], -v[122:123]
	v_add_f64 v[44:45], v[44:45], -v[132:133]
	s_waitcnt lgkmcnt(0)
	v_mul_f64 v[122:123], v[148:149], v[124:125]
	v_mul_f64 v[132:133], v[146:147], v[124:125]
	v_fma_f64 v[122:123], v[146:147], v[130:131], -v[122:123]
	v_fma_f64 v[132:133], v[148:149], v[130:131], v[132:133]
	ds_read2_b64 v[146:149], v140 offset0:46 offset1:47
	v_add_f64 v[38:39], v[38:39], -v[122:123]
	v_add_f64 v[40:41], v[40:41], -v[132:133]
	s_waitcnt lgkmcnt(0)
	v_mul_f64 v[122:123], v[148:149], v[124:125]
	v_mul_f64 v[132:133], v[146:147], v[124:125]
	v_fma_f64 v[122:123], v[146:147], v[130:131], -v[122:123]
	v_fma_f64 v[132:133], v[148:149], v[130:131], v[132:133]
	ds_read2_b64 v[146:149], v140 offset0:48 offset1:49
	v_add_f64 v[34:35], v[34:35], -v[122:123]
	v_add_f64 v[36:37], v[36:37], -v[132:133]
	s_waitcnt lgkmcnt(0)
	v_mul_f64 v[122:123], v[148:149], v[124:125]
	v_mul_f64 v[132:133], v[146:147], v[124:125]
	v_fma_f64 v[122:123], v[146:147], v[130:131], -v[122:123]
	v_fma_f64 v[132:133], v[148:149], v[130:131], v[132:133]
	ds_read2_b64 v[146:149], v140 offset0:50 offset1:51
	v_add_f64 v[30:31], v[30:31], -v[122:123]
	v_add_f64 v[32:33], v[32:33], -v[132:133]
	s_waitcnt lgkmcnt(0)
	v_mul_f64 v[122:123], v[148:149], v[124:125]
	v_mul_f64 v[132:133], v[146:147], v[124:125]
	v_fma_f64 v[122:123], v[146:147], v[130:131], -v[122:123]
	v_fma_f64 v[132:133], v[148:149], v[130:131], v[132:133]
	ds_read2_b64 v[146:149], v140 offset0:52 offset1:53
	v_add_f64 v[26:27], v[26:27], -v[122:123]
	v_add_f64 v[28:29], v[28:29], -v[132:133]
	s_waitcnt lgkmcnt(0)
	v_mul_f64 v[122:123], v[148:149], v[124:125]
	v_mul_f64 v[132:133], v[146:147], v[124:125]
	v_fma_f64 v[122:123], v[146:147], v[130:131], -v[122:123]
	v_fma_f64 v[132:133], v[148:149], v[130:131], v[132:133]
	ds_read2_b64 v[146:149], v140 offset0:54 offset1:55
	v_add_f64 v[22:23], v[22:23], -v[122:123]
	v_add_f64 v[24:25], v[24:25], -v[132:133]
	s_waitcnt lgkmcnt(0)
	v_mul_f64 v[122:123], v[148:149], v[124:125]
	v_mul_f64 v[132:133], v[146:147], v[124:125]
	v_fma_f64 v[122:123], v[146:147], v[130:131], -v[122:123]
	v_fma_f64 v[132:133], v[148:149], v[130:131], v[132:133]
	ds_read2_b64 v[146:149], v140 offset0:56 offset1:57
	v_add_f64 v[18:19], v[18:19], -v[122:123]
	v_add_f64 v[20:21], v[20:21], -v[132:133]
	s_waitcnt lgkmcnt(0)
	v_mul_f64 v[122:123], v[148:149], v[124:125]
	v_mul_f64 v[132:133], v[146:147], v[124:125]
	v_fma_f64 v[122:123], v[146:147], v[130:131], -v[122:123]
	v_fma_f64 v[132:133], v[148:149], v[130:131], v[132:133]
	ds_read2_b64 v[146:149], v140 offset0:58 offset1:59
	v_add_f64 v[14:15], v[14:15], -v[122:123]
	v_add_f64 v[16:17], v[16:17], -v[132:133]
	s_waitcnt lgkmcnt(0)
	v_mul_f64 v[122:123], v[148:149], v[124:125]
	v_mul_f64 v[132:133], v[146:147], v[124:125]
	v_fma_f64 v[122:123], v[146:147], v[130:131], -v[122:123]
	v_fma_f64 v[132:133], v[148:149], v[130:131], v[132:133]
	ds_read2_b64 v[146:149], v140 offset0:60 offset1:61
	v_add_f64 v[10:11], v[10:11], -v[122:123]
	v_add_f64 v[12:13], v[12:13], -v[132:133]
	s_waitcnt lgkmcnt(0)
	v_mul_f64 v[122:123], v[148:149], v[124:125]
	v_mul_f64 v[132:133], v[146:147], v[124:125]
	v_fma_f64 v[122:123], v[146:147], v[130:131], -v[122:123]
	v_fma_f64 v[132:133], v[148:149], v[130:131], v[132:133]
	ds_read2_b64 v[146:149], v140 offset0:62 offset1:63
	v_add_f64 v[6:7], v[6:7], -v[122:123]
	v_add_f64 v[8:9], v[8:9], -v[132:133]
	s_waitcnt lgkmcnt(0)
	v_mul_f64 v[122:123], v[148:149], v[124:125]
	v_mul_f64 v[132:133], v[146:147], v[124:125]
	v_fma_f64 v[122:123], v[146:147], v[130:131], -v[122:123]
	v_fma_f64 v[132:133], v[148:149], v[130:131], v[132:133]
	v_add_f64 v[2:3], v[2:3], -v[122:123]
	v_add_f64 v[4:5], v[4:5], -v[132:133]
	v_mov_b32_e32 v122, v130
	v_mov_b32_e32 v123, v131
.LBB63_19:
	s_or_b32 exec_lo, exec_lo, s1
	s_mov_b32 s2, exec_lo
	s_waitcnt_vscnt null, 0x0
	s_barrier
	buffer_gl0_inv
	v_cmpx_eq_u32_e32 2, v0
	s_cbranch_execz .LBB63_26
; %bb.20:
	ds_write2_b64 v1, v[118:119], v[120:121] offset1:1
	ds_write2_b64 v140, v[114:115], v[116:117] offset0:6 offset1:7
	ds_write2_b64 v140, v[110:111], v[112:113] offset0:8 offset1:9
	;; [unrolled: 1-line block ×29, first 2 shown]
	ds_read2_b64 v[130:133], v1 offset1:1
	s_waitcnt lgkmcnt(0)
	v_cmp_neq_f64_e32 vcc_lo, 0, v[130:131]
	v_cmp_neq_f64_e64 s1, 0, v[132:133]
	s_or_b32 s1, vcc_lo, s1
	s_and_b32 exec_lo, exec_lo, s1
	s_cbranch_execz .LBB63_26
; %bb.21:
	v_cmp_ngt_f64_e64 s1, |v[130:131]|, |v[132:133]|
                                        ; implicit-def: $vgpr146_vgpr147
	s_and_saveexec_b32 s3, s1
	s_xor_b32 s1, exec_lo, s3
                                        ; implicit-def: $vgpr148_vgpr149
	s_cbranch_execz .LBB63_23
; %bb.22:
	v_div_scale_f64 v[146:147], null, v[132:133], v[132:133], v[130:131]
	v_div_scale_f64 v[152:153], vcc_lo, v[130:131], v[132:133], v[130:131]
	v_rcp_f64_e32 v[148:149], v[146:147]
	v_fma_f64 v[150:151], -v[146:147], v[148:149], 1.0
	v_fma_f64 v[148:149], v[148:149], v[150:151], v[148:149]
	v_fma_f64 v[150:151], -v[146:147], v[148:149], 1.0
	v_fma_f64 v[148:149], v[148:149], v[150:151], v[148:149]
	v_mul_f64 v[150:151], v[152:153], v[148:149]
	v_fma_f64 v[146:147], -v[146:147], v[150:151], v[152:153]
	v_div_fmas_f64 v[146:147], v[146:147], v[148:149], v[150:151]
	v_div_fixup_f64 v[146:147], v[146:147], v[132:133], v[130:131]
	v_fma_f64 v[130:131], v[130:131], v[146:147], v[132:133]
	v_div_scale_f64 v[132:133], null, v[130:131], v[130:131], 1.0
	v_rcp_f64_e32 v[148:149], v[132:133]
	v_fma_f64 v[150:151], -v[132:133], v[148:149], 1.0
	v_fma_f64 v[148:149], v[148:149], v[150:151], v[148:149]
	v_fma_f64 v[150:151], -v[132:133], v[148:149], 1.0
	v_fma_f64 v[148:149], v[148:149], v[150:151], v[148:149]
	v_div_scale_f64 v[150:151], vcc_lo, 1.0, v[130:131], 1.0
	v_mul_f64 v[152:153], v[150:151], v[148:149]
	v_fma_f64 v[132:133], -v[132:133], v[152:153], v[150:151]
	v_div_fmas_f64 v[132:133], v[132:133], v[148:149], v[152:153]
	v_div_fixup_f64 v[148:149], v[132:133], v[130:131], 1.0
                                        ; implicit-def: $vgpr130_vgpr131
	v_mul_f64 v[146:147], v[146:147], v[148:149]
	v_xor_b32_e32 v149, 0x80000000, v149
.LBB63_23:
	s_andn2_saveexec_b32 s1, s1
	s_cbranch_execz .LBB63_25
; %bb.24:
	v_div_scale_f64 v[146:147], null, v[130:131], v[130:131], v[132:133]
	v_div_scale_f64 v[152:153], vcc_lo, v[132:133], v[130:131], v[132:133]
	v_rcp_f64_e32 v[148:149], v[146:147]
	v_fma_f64 v[150:151], -v[146:147], v[148:149], 1.0
	v_fma_f64 v[148:149], v[148:149], v[150:151], v[148:149]
	v_fma_f64 v[150:151], -v[146:147], v[148:149], 1.0
	v_fma_f64 v[148:149], v[148:149], v[150:151], v[148:149]
	v_mul_f64 v[150:151], v[152:153], v[148:149]
	v_fma_f64 v[146:147], -v[146:147], v[150:151], v[152:153]
	v_div_fmas_f64 v[146:147], v[146:147], v[148:149], v[150:151]
	v_div_fixup_f64 v[148:149], v[146:147], v[130:131], v[132:133]
	v_fma_f64 v[130:131], v[132:133], v[148:149], v[130:131]
	v_div_scale_f64 v[132:133], null, v[130:131], v[130:131], 1.0
	v_rcp_f64_e32 v[146:147], v[132:133]
	v_fma_f64 v[150:151], -v[132:133], v[146:147], 1.0
	v_fma_f64 v[146:147], v[146:147], v[150:151], v[146:147]
	v_fma_f64 v[150:151], -v[132:133], v[146:147], 1.0
	v_fma_f64 v[146:147], v[146:147], v[150:151], v[146:147]
	v_div_scale_f64 v[150:151], vcc_lo, 1.0, v[130:131], 1.0
	v_mul_f64 v[152:153], v[150:151], v[146:147]
	v_fma_f64 v[132:133], -v[132:133], v[152:153], v[150:151]
	v_div_fmas_f64 v[132:133], v[132:133], v[146:147], v[152:153]
	v_div_fixup_f64 v[146:147], v[132:133], v[130:131], 1.0
	v_mul_f64 v[148:149], v[148:149], -v[146:147]
.LBB63_25:
	s_or_b32 exec_lo, exec_lo, s1
	ds_write2_b64 v1, v[146:147], v[148:149] offset1:1
.LBB63_26:
	s_or_b32 exec_lo, exec_lo, s2
	s_waitcnt lgkmcnt(0)
	s_barrier
	buffer_gl0_inv
	ds_read2_b64 v[130:133], v1 offset1:1
	s_mov_b32 s1, exec_lo
	s_waitcnt lgkmcnt(0)
	buffer_store_dword v130, off, s[16:19], 0 offset:256 ; 4-byte Folded Spill
	buffer_store_dword v131, off, s[16:19], 0 offset:260 ; 4-byte Folded Spill
	;; [unrolled: 1-line block ×4, first 2 shown]
	v_cmpx_lt_u32_e32 2, v0
	s_cbranch_execz .LBB63_28
; %bb.27:
	s_clause 0x3
	buffer_load_dword v145, off, s[16:19], 0 offset:256
	buffer_load_dword v146, off, s[16:19], 0 offset:260
	;; [unrolled: 1-line block ×4, first 2 shown]
	s_waitcnt vmcnt(0)
	v_mul_f64 v[130:131], v[147:148], v[120:121]
	v_mul_f64 v[120:121], v[145:146], v[120:121]
	v_fma_f64 v[130:131], v[145:146], v[118:119], -v[130:131]
	v_fma_f64 v[120:121], v[147:148], v[118:119], v[120:121]
	ds_read2_b64 v[146:149], v140 offset0:6 offset1:7
	s_waitcnt lgkmcnt(0)
	v_mul_f64 v[118:119], v[148:149], v[120:121]
	v_mul_f64 v[132:133], v[146:147], v[120:121]
	v_fma_f64 v[118:119], v[146:147], v[130:131], -v[118:119]
	v_fma_f64 v[132:133], v[148:149], v[130:131], v[132:133]
	ds_read2_b64 v[146:149], v140 offset0:8 offset1:9
	v_add_f64 v[114:115], v[114:115], -v[118:119]
	v_add_f64 v[116:117], v[116:117], -v[132:133]
	s_waitcnt lgkmcnt(0)
	v_mul_f64 v[118:119], v[148:149], v[120:121]
	v_mul_f64 v[132:133], v[146:147], v[120:121]
	v_fma_f64 v[118:119], v[146:147], v[130:131], -v[118:119]
	v_fma_f64 v[132:133], v[148:149], v[130:131], v[132:133]
	ds_read2_b64 v[146:149], v140 offset0:10 offset1:11
	v_add_f64 v[110:111], v[110:111], -v[118:119]
	v_add_f64 v[112:113], v[112:113], -v[132:133]
	;; [unrolled: 8-line block ×28, first 2 shown]
	s_waitcnt lgkmcnt(0)
	v_mul_f64 v[118:119], v[148:149], v[120:121]
	v_mul_f64 v[132:133], v[146:147], v[120:121]
	v_fma_f64 v[118:119], v[146:147], v[130:131], -v[118:119]
	v_fma_f64 v[132:133], v[148:149], v[130:131], v[132:133]
	v_add_f64 v[2:3], v[2:3], -v[118:119]
	v_add_f64 v[4:5], v[4:5], -v[132:133]
	v_mov_b32_e32 v118, v130
	v_mov_b32_e32 v119, v131
.LBB63_28:
	s_or_b32 exec_lo, exec_lo, s1
	s_mov_b32 s2, exec_lo
	s_waitcnt_vscnt null, 0x0
	s_barrier
	buffer_gl0_inv
	v_cmpx_eq_u32_e32 3, v0
	s_cbranch_execz .LBB63_35
; %bb.29:
	ds_write2_b64 v1, v[114:115], v[116:117] offset1:1
	ds_write2_b64 v140, v[110:111], v[112:113] offset0:8 offset1:9
	ds_write2_b64 v140, v[106:107], v[108:109] offset0:10 offset1:11
	;; [unrolled: 1-line block ×28, first 2 shown]
	ds_read2_b64 v[130:133], v1 offset1:1
	s_waitcnt lgkmcnt(0)
	v_cmp_neq_f64_e32 vcc_lo, 0, v[130:131]
	v_cmp_neq_f64_e64 s1, 0, v[132:133]
	s_or_b32 s1, vcc_lo, s1
	s_and_b32 exec_lo, exec_lo, s1
	s_cbranch_execz .LBB63_35
; %bb.30:
	v_cmp_ngt_f64_e64 s1, |v[130:131]|, |v[132:133]|
                                        ; implicit-def: $vgpr146_vgpr147
	s_and_saveexec_b32 s3, s1
	s_xor_b32 s1, exec_lo, s3
                                        ; implicit-def: $vgpr148_vgpr149
	s_cbranch_execz .LBB63_32
; %bb.31:
	v_div_scale_f64 v[146:147], null, v[132:133], v[132:133], v[130:131]
	v_div_scale_f64 v[152:153], vcc_lo, v[130:131], v[132:133], v[130:131]
	v_rcp_f64_e32 v[148:149], v[146:147]
	v_fma_f64 v[150:151], -v[146:147], v[148:149], 1.0
	v_fma_f64 v[148:149], v[148:149], v[150:151], v[148:149]
	v_fma_f64 v[150:151], -v[146:147], v[148:149], 1.0
	v_fma_f64 v[148:149], v[148:149], v[150:151], v[148:149]
	v_mul_f64 v[150:151], v[152:153], v[148:149]
	v_fma_f64 v[146:147], -v[146:147], v[150:151], v[152:153]
	v_div_fmas_f64 v[146:147], v[146:147], v[148:149], v[150:151]
	v_div_fixup_f64 v[146:147], v[146:147], v[132:133], v[130:131]
	v_fma_f64 v[130:131], v[130:131], v[146:147], v[132:133]
	v_div_scale_f64 v[132:133], null, v[130:131], v[130:131], 1.0
	v_rcp_f64_e32 v[148:149], v[132:133]
	v_fma_f64 v[150:151], -v[132:133], v[148:149], 1.0
	v_fma_f64 v[148:149], v[148:149], v[150:151], v[148:149]
	v_fma_f64 v[150:151], -v[132:133], v[148:149], 1.0
	v_fma_f64 v[148:149], v[148:149], v[150:151], v[148:149]
	v_div_scale_f64 v[150:151], vcc_lo, 1.0, v[130:131], 1.0
	v_mul_f64 v[152:153], v[150:151], v[148:149]
	v_fma_f64 v[132:133], -v[132:133], v[152:153], v[150:151]
	v_div_fmas_f64 v[132:133], v[132:133], v[148:149], v[152:153]
	v_div_fixup_f64 v[148:149], v[132:133], v[130:131], 1.0
                                        ; implicit-def: $vgpr130_vgpr131
	v_mul_f64 v[146:147], v[146:147], v[148:149]
	v_xor_b32_e32 v149, 0x80000000, v149
.LBB63_32:
	s_andn2_saveexec_b32 s1, s1
	s_cbranch_execz .LBB63_34
; %bb.33:
	v_div_scale_f64 v[146:147], null, v[130:131], v[130:131], v[132:133]
	v_div_scale_f64 v[152:153], vcc_lo, v[132:133], v[130:131], v[132:133]
	v_rcp_f64_e32 v[148:149], v[146:147]
	v_fma_f64 v[150:151], -v[146:147], v[148:149], 1.0
	v_fma_f64 v[148:149], v[148:149], v[150:151], v[148:149]
	v_fma_f64 v[150:151], -v[146:147], v[148:149], 1.0
	v_fma_f64 v[148:149], v[148:149], v[150:151], v[148:149]
	v_mul_f64 v[150:151], v[152:153], v[148:149]
	v_fma_f64 v[146:147], -v[146:147], v[150:151], v[152:153]
	v_div_fmas_f64 v[146:147], v[146:147], v[148:149], v[150:151]
	v_div_fixup_f64 v[148:149], v[146:147], v[130:131], v[132:133]
	v_fma_f64 v[130:131], v[132:133], v[148:149], v[130:131]
	v_div_scale_f64 v[132:133], null, v[130:131], v[130:131], 1.0
	v_rcp_f64_e32 v[146:147], v[132:133]
	v_fma_f64 v[150:151], -v[132:133], v[146:147], 1.0
	v_fma_f64 v[146:147], v[146:147], v[150:151], v[146:147]
	v_fma_f64 v[150:151], -v[132:133], v[146:147], 1.0
	v_fma_f64 v[146:147], v[146:147], v[150:151], v[146:147]
	v_div_scale_f64 v[150:151], vcc_lo, 1.0, v[130:131], 1.0
	v_mul_f64 v[152:153], v[150:151], v[146:147]
	v_fma_f64 v[132:133], -v[132:133], v[152:153], v[150:151]
	v_div_fmas_f64 v[132:133], v[132:133], v[146:147], v[152:153]
	v_div_fixup_f64 v[146:147], v[132:133], v[130:131], 1.0
	v_mul_f64 v[148:149], v[148:149], -v[146:147]
.LBB63_34:
	s_or_b32 exec_lo, exec_lo, s1
	ds_write2_b64 v1, v[146:147], v[148:149] offset1:1
.LBB63_35:
	s_or_b32 exec_lo, exec_lo, s2
	s_waitcnt lgkmcnt(0)
	s_barrier
	buffer_gl0_inv
	ds_read2_b64 v[130:133], v1 offset1:1
	s_mov_b32 s1, exec_lo
	s_waitcnt lgkmcnt(0)
	buffer_store_dword v130, off, s[16:19], 0 offset:272 ; 4-byte Folded Spill
	buffer_store_dword v131, off, s[16:19], 0 offset:276 ; 4-byte Folded Spill
	;; [unrolled: 1-line block ×4, first 2 shown]
	v_cmpx_lt_u32_e32 3, v0
	s_cbranch_execz .LBB63_37
; %bb.36:
	s_clause 0x3
	buffer_load_dword v145, off, s[16:19], 0 offset:272
	buffer_load_dword v146, off, s[16:19], 0 offset:276
	;; [unrolled: 1-line block ×4, first 2 shown]
	s_waitcnt vmcnt(0)
	v_mul_f64 v[130:131], v[147:148], v[116:117]
	v_mul_f64 v[116:117], v[145:146], v[116:117]
	v_fma_f64 v[130:131], v[145:146], v[114:115], -v[130:131]
	v_fma_f64 v[116:117], v[147:148], v[114:115], v[116:117]
	ds_read2_b64 v[146:149], v140 offset0:8 offset1:9
	s_waitcnt lgkmcnt(0)
	v_mul_f64 v[114:115], v[148:149], v[116:117]
	v_mul_f64 v[132:133], v[146:147], v[116:117]
	v_fma_f64 v[114:115], v[146:147], v[130:131], -v[114:115]
	v_fma_f64 v[132:133], v[148:149], v[130:131], v[132:133]
	ds_read2_b64 v[146:149], v140 offset0:10 offset1:11
	v_add_f64 v[110:111], v[110:111], -v[114:115]
	v_add_f64 v[112:113], v[112:113], -v[132:133]
	s_waitcnt lgkmcnt(0)
	v_mul_f64 v[114:115], v[148:149], v[116:117]
	v_mul_f64 v[132:133], v[146:147], v[116:117]
	v_fma_f64 v[114:115], v[146:147], v[130:131], -v[114:115]
	v_fma_f64 v[132:133], v[148:149], v[130:131], v[132:133]
	ds_read2_b64 v[146:149], v140 offset0:12 offset1:13
	v_add_f64 v[106:107], v[106:107], -v[114:115]
	v_add_f64 v[108:109], v[108:109], -v[132:133]
	;; [unrolled: 8-line block ×27, first 2 shown]
	s_waitcnt lgkmcnt(0)
	v_mul_f64 v[114:115], v[148:149], v[116:117]
	v_mul_f64 v[132:133], v[146:147], v[116:117]
	v_fma_f64 v[114:115], v[146:147], v[130:131], -v[114:115]
	v_fma_f64 v[132:133], v[148:149], v[130:131], v[132:133]
	v_add_f64 v[2:3], v[2:3], -v[114:115]
	v_add_f64 v[4:5], v[4:5], -v[132:133]
	v_mov_b32_e32 v114, v130
	v_mov_b32_e32 v115, v131
.LBB63_37:
	s_or_b32 exec_lo, exec_lo, s1
	s_mov_b32 s2, exec_lo
	s_waitcnt_vscnt null, 0x0
	s_barrier
	buffer_gl0_inv
	v_cmpx_eq_u32_e32 4, v0
	s_cbranch_execz .LBB63_44
; %bb.38:
	ds_write2_b64 v1, v[110:111], v[112:113] offset1:1
	ds_write2_b64 v140, v[106:107], v[108:109] offset0:10 offset1:11
	ds_write2_b64 v140, v[102:103], v[104:105] offset0:12 offset1:13
	;; [unrolled: 1-line block ×27, first 2 shown]
	ds_read2_b64 v[130:133], v1 offset1:1
	s_waitcnt lgkmcnt(0)
	v_cmp_neq_f64_e32 vcc_lo, 0, v[130:131]
	v_cmp_neq_f64_e64 s1, 0, v[132:133]
	s_or_b32 s1, vcc_lo, s1
	s_and_b32 exec_lo, exec_lo, s1
	s_cbranch_execz .LBB63_44
; %bb.39:
	v_cmp_ngt_f64_e64 s1, |v[130:131]|, |v[132:133]|
                                        ; implicit-def: $vgpr146_vgpr147
	s_and_saveexec_b32 s3, s1
	s_xor_b32 s1, exec_lo, s3
                                        ; implicit-def: $vgpr148_vgpr149
	s_cbranch_execz .LBB63_41
; %bb.40:
	v_div_scale_f64 v[146:147], null, v[132:133], v[132:133], v[130:131]
	v_div_scale_f64 v[152:153], vcc_lo, v[130:131], v[132:133], v[130:131]
	v_rcp_f64_e32 v[148:149], v[146:147]
	v_fma_f64 v[150:151], -v[146:147], v[148:149], 1.0
	v_fma_f64 v[148:149], v[148:149], v[150:151], v[148:149]
	v_fma_f64 v[150:151], -v[146:147], v[148:149], 1.0
	v_fma_f64 v[148:149], v[148:149], v[150:151], v[148:149]
	v_mul_f64 v[150:151], v[152:153], v[148:149]
	v_fma_f64 v[146:147], -v[146:147], v[150:151], v[152:153]
	v_div_fmas_f64 v[146:147], v[146:147], v[148:149], v[150:151]
	v_div_fixup_f64 v[146:147], v[146:147], v[132:133], v[130:131]
	v_fma_f64 v[130:131], v[130:131], v[146:147], v[132:133]
	v_div_scale_f64 v[132:133], null, v[130:131], v[130:131], 1.0
	v_rcp_f64_e32 v[148:149], v[132:133]
	v_fma_f64 v[150:151], -v[132:133], v[148:149], 1.0
	v_fma_f64 v[148:149], v[148:149], v[150:151], v[148:149]
	v_fma_f64 v[150:151], -v[132:133], v[148:149], 1.0
	v_fma_f64 v[148:149], v[148:149], v[150:151], v[148:149]
	v_div_scale_f64 v[150:151], vcc_lo, 1.0, v[130:131], 1.0
	v_mul_f64 v[152:153], v[150:151], v[148:149]
	v_fma_f64 v[132:133], -v[132:133], v[152:153], v[150:151]
	v_div_fmas_f64 v[132:133], v[132:133], v[148:149], v[152:153]
	v_div_fixup_f64 v[148:149], v[132:133], v[130:131], 1.0
                                        ; implicit-def: $vgpr130_vgpr131
	v_mul_f64 v[146:147], v[146:147], v[148:149]
	v_xor_b32_e32 v149, 0x80000000, v149
.LBB63_41:
	s_andn2_saveexec_b32 s1, s1
	s_cbranch_execz .LBB63_43
; %bb.42:
	v_div_scale_f64 v[146:147], null, v[130:131], v[130:131], v[132:133]
	v_div_scale_f64 v[152:153], vcc_lo, v[132:133], v[130:131], v[132:133]
	v_rcp_f64_e32 v[148:149], v[146:147]
	v_fma_f64 v[150:151], -v[146:147], v[148:149], 1.0
	v_fma_f64 v[148:149], v[148:149], v[150:151], v[148:149]
	v_fma_f64 v[150:151], -v[146:147], v[148:149], 1.0
	v_fma_f64 v[148:149], v[148:149], v[150:151], v[148:149]
	v_mul_f64 v[150:151], v[152:153], v[148:149]
	v_fma_f64 v[146:147], -v[146:147], v[150:151], v[152:153]
	v_div_fmas_f64 v[146:147], v[146:147], v[148:149], v[150:151]
	v_div_fixup_f64 v[148:149], v[146:147], v[130:131], v[132:133]
	v_fma_f64 v[130:131], v[132:133], v[148:149], v[130:131]
	v_div_scale_f64 v[132:133], null, v[130:131], v[130:131], 1.0
	v_rcp_f64_e32 v[146:147], v[132:133]
	v_fma_f64 v[150:151], -v[132:133], v[146:147], 1.0
	v_fma_f64 v[146:147], v[146:147], v[150:151], v[146:147]
	v_fma_f64 v[150:151], -v[132:133], v[146:147], 1.0
	v_fma_f64 v[146:147], v[146:147], v[150:151], v[146:147]
	v_div_scale_f64 v[150:151], vcc_lo, 1.0, v[130:131], 1.0
	v_mul_f64 v[152:153], v[150:151], v[146:147]
	v_fma_f64 v[132:133], -v[132:133], v[152:153], v[150:151]
	v_div_fmas_f64 v[132:133], v[132:133], v[146:147], v[152:153]
	v_div_fixup_f64 v[146:147], v[132:133], v[130:131], 1.0
	v_mul_f64 v[148:149], v[148:149], -v[146:147]
.LBB63_43:
	s_or_b32 exec_lo, exec_lo, s1
	ds_write2_b64 v1, v[146:147], v[148:149] offset1:1
.LBB63_44:
	s_or_b32 exec_lo, exec_lo, s2
	s_waitcnt lgkmcnt(0)
	s_barrier
	buffer_gl0_inv
	ds_read2_b64 v[130:133], v1 offset1:1
	s_mov_b32 s1, exec_lo
	s_waitcnt lgkmcnt(0)
	buffer_store_dword v130, off, s[16:19], 0 offset:288 ; 4-byte Folded Spill
	buffer_store_dword v131, off, s[16:19], 0 offset:292 ; 4-byte Folded Spill
	;; [unrolled: 1-line block ×4, first 2 shown]
	v_cmpx_lt_u32_e32 4, v0
	s_cbranch_execz .LBB63_46
; %bb.45:
	s_clause 0x3
	buffer_load_dword v145, off, s[16:19], 0 offset:288
	buffer_load_dword v146, off, s[16:19], 0 offset:292
	buffer_load_dword v147, off, s[16:19], 0 offset:296
	buffer_load_dword v148, off, s[16:19], 0 offset:300
	ds_read2_b64 v[150:153], v140 offset0:10 offset1:11
	s_waitcnt vmcnt(0)
	v_mul_f64 v[130:131], v[147:148], v[112:113]
	v_mul_f64 v[112:113], v[145:146], v[112:113]
	v_fma_f64 v[130:131], v[145:146], v[110:111], -v[130:131]
	v_fma_f64 v[112:113], v[147:148], v[110:111], v[112:113]
	s_waitcnt lgkmcnt(0)
	v_mul_f64 v[110:111], v[152:153], v[112:113]
	v_mul_f64 v[132:133], v[150:151], v[112:113]
	v_fma_f64 v[110:111], v[150:151], v[130:131], -v[110:111]
	v_fma_f64 v[132:133], v[152:153], v[130:131], v[132:133]
	ds_read2_b64 v[150:153], v140 offset0:12 offset1:13
	v_add_f64 v[106:107], v[106:107], -v[110:111]
	v_add_f64 v[108:109], v[108:109], -v[132:133]
	s_waitcnt lgkmcnt(0)
	v_mul_f64 v[110:111], v[152:153], v[112:113]
	v_mul_f64 v[132:133], v[150:151], v[112:113]
	v_fma_f64 v[110:111], v[150:151], v[130:131], -v[110:111]
	v_fma_f64 v[132:133], v[152:153], v[130:131], v[132:133]
	ds_read2_b64 v[150:153], v140 offset0:14 offset1:15
	v_add_f64 v[102:103], v[102:103], -v[110:111]
	v_add_f64 v[104:105], v[104:105], -v[132:133]
	s_waitcnt lgkmcnt(0)
	v_mul_f64 v[110:111], v[152:153], v[112:113]
	v_mul_f64 v[132:133], v[150:151], v[112:113]
	v_fma_f64 v[110:111], v[150:151], v[130:131], -v[110:111]
	v_fma_f64 v[132:133], v[152:153], v[130:131], v[132:133]
	ds_read2_b64 v[150:153], v140 offset0:16 offset1:17
	v_add_f64 v[98:99], v[98:99], -v[110:111]
	v_add_f64 v[100:101], v[100:101], -v[132:133]
	s_waitcnt lgkmcnt(0)
	v_mul_f64 v[110:111], v[152:153], v[112:113]
	v_mul_f64 v[132:133], v[150:151], v[112:113]
	v_fma_f64 v[110:111], v[150:151], v[130:131], -v[110:111]
	v_fma_f64 v[132:133], v[152:153], v[130:131], v[132:133]
	ds_read2_b64 v[150:153], v140 offset0:18 offset1:19
	v_add_f64 v[94:95], v[94:95], -v[110:111]
	v_add_f64 v[96:97], v[96:97], -v[132:133]
	s_waitcnt lgkmcnt(0)
	v_mul_f64 v[110:111], v[152:153], v[112:113]
	v_mul_f64 v[132:133], v[150:151], v[112:113]
	v_fma_f64 v[110:111], v[150:151], v[130:131], -v[110:111]
	v_fma_f64 v[132:133], v[152:153], v[130:131], v[132:133]
	ds_read2_b64 v[150:153], v140 offset0:20 offset1:21
	v_add_f64 v[90:91], v[90:91], -v[110:111]
	v_add_f64 v[92:93], v[92:93], -v[132:133]
	s_waitcnt lgkmcnt(0)
	v_mul_f64 v[110:111], v[152:153], v[112:113]
	v_mul_f64 v[132:133], v[150:151], v[112:113]
	v_fma_f64 v[110:111], v[150:151], v[130:131], -v[110:111]
	v_fma_f64 v[132:133], v[152:153], v[130:131], v[132:133]
	ds_read2_b64 v[150:153], v140 offset0:22 offset1:23
	v_add_f64 v[86:87], v[86:87], -v[110:111]
	v_add_f64 v[88:89], v[88:89], -v[132:133]
	s_waitcnt lgkmcnt(0)
	v_mul_f64 v[110:111], v[152:153], v[112:113]
	v_mul_f64 v[132:133], v[150:151], v[112:113]
	v_fma_f64 v[110:111], v[150:151], v[130:131], -v[110:111]
	v_fma_f64 v[132:133], v[152:153], v[130:131], v[132:133]
	ds_read2_b64 v[150:153], v140 offset0:24 offset1:25
	v_add_f64 v[82:83], v[82:83], -v[110:111]
	v_add_f64 v[84:85], v[84:85], -v[132:133]
	s_waitcnt lgkmcnt(0)
	v_mul_f64 v[110:111], v[152:153], v[112:113]
	v_mul_f64 v[132:133], v[150:151], v[112:113]
	v_fma_f64 v[110:111], v[150:151], v[130:131], -v[110:111]
	v_fma_f64 v[132:133], v[152:153], v[130:131], v[132:133]
	ds_read2_b64 v[150:153], v140 offset0:26 offset1:27
	v_add_f64 v[78:79], v[78:79], -v[110:111]
	v_add_f64 v[80:81], v[80:81], -v[132:133]
	s_waitcnt lgkmcnt(0)
	v_mul_f64 v[110:111], v[152:153], v[112:113]
	v_mul_f64 v[132:133], v[150:151], v[112:113]
	v_fma_f64 v[110:111], v[150:151], v[130:131], -v[110:111]
	v_fma_f64 v[132:133], v[152:153], v[130:131], v[132:133]
	ds_read2_b64 v[150:153], v140 offset0:28 offset1:29
	v_add_f64 v[74:75], v[74:75], -v[110:111]
	v_add_f64 v[76:77], v[76:77], -v[132:133]
	s_waitcnt lgkmcnt(0)
	v_mul_f64 v[110:111], v[152:153], v[112:113]
	v_mul_f64 v[132:133], v[150:151], v[112:113]
	v_fma_f64 v[110:111], v[150:151], v[130:131], -v[110:111]
	v_fma_f64 v[132:133], v[152:153], v[130:131], v[132:133]
	ds_read2_b64 v[150:153], v140 offset0:30 offset1:31
	v_add_f64 v[70:71], v[70:71], -v[110:111]
	v_add_f64 v[72:73], v[72:73], -v[132:133]
	s_waitcnt lgkmcnt(0)
	v_mul_f64 v[110:111], v[152:153], v[112:113]
	v_mul_f64 v[132:133], v[150:151], v[112:113]
	v_fma_f64 v[110:111], v[150:151], v[130:131], -v[110:111]
	v_fma_f64 v[132:133], v[152:153], v[130:131], v[132:133]
	ds_read2_b64 v[150:153], v140 offset0:32 offset1:33
	v_add_f64 v[66:67], v[66:67], -v[110:111]
	v_add_f64 v[68:69], v[68:69], -v[132:133]
	s_waitcnt lgkmcnt(0)
	v_mul_f64 v[110:111], v[152:153], v[112:113]
	v_mul_f64 v[132:133], v[150:151], v[112:113]
	v_fma_f64 v[110:111], v[150:151], v[130:131], -v[110:111]
	v_fma_f64 v[132:133], v[152:153], v[130:131], v[132:133]
	ds_read2_b64 v[150:153], v140 offset0:34 offset1:35
	v_add_f64 v[62:63], v[62:63], -v[110:111]
	v_add_f64 v[64:65], v[64:65], -v[132:133]
	s_waitcnt lgkmcnt(0)
	v_mul_f64 v[110:111], v[152:153], v[112:113]
	v_mul_f64 v[132:133], v[150:151], v[112:113]
	v_fma_f64 v[110:111], v[150:151], v[130:131], -v[110:111]
	v_fma_f64 v[132:133], v[152:153], v[130:131], v[132:133]
	ds_read2_b64 v[150:153], v140 offset0:36 offset1:37
	v_add_f64 v[58:59], v[58:59], -v[110:111]
	v_add_f64 v[60:61], v[60:61], -v[132:133]
	s_waitcnt lgkmcnt(0)
	v_mul_f64 v[110:111], v[152:153], v[112:113]
	v_mul_f64 v[132:133], v[150:151], v[112:113]
	v_fma_f64 v[110:111], v[150:151], v[130:131], -v[110:111]
	v_fma_f64 v[132:133], v[152:153], v[130:131], v[132:133]
	ds_read2_b64 v[150:153], v140 offset0:38 offset1:39
	v_add_f64 v[54:55], v[54:55], -v[110:111]
	v_add_f64 v[56:57], v[56:57], -v[132:133]
	s_waitcnt lgkmcnt(0)
	v_mul_f64 v[110:111], v[152:153], v[112:113]
	v_mul_f64 v[132:133], v[150:151], v[112:113]
	v_fma_f64 v[110:111], v[150:151], v[130:131], -v[110:111]
	v_fma_f64 v[132:133], v[152:153], v[130:131], v[132:133]
	ds_read2_b64 v[150:153], v140 offset0:40 offset1:41
	v_add_f64 v[50:51], v[50:51], -v[110:111]
	v_add_f64 v[52:53], v[52:53], -v[132:133]
	s_waitcnt lgkmcnt(0)
	v_mul_f64 v[110:111], v[152:153], v[112:113]
	v_mul_f64 v[132:133], v[150:151], v[112:113]
	v_fma_f64 v[110:111], v[150:151], v[130:131], -v[110:111]
	v_fma_f64 v[132:133], v[152:153], v[130:131], v[132:133]
	ds_read2_b64 v[150:153], v140 offset0:42 offset1:43
	v_add_f64 v[46:47], v[46:47], -v[110:111]
	v_add_f64 v[48:49], v[48:49], -v[132:133]
	s_waitcnt lgkmcnt(0)
	v_mul_f64 v[110:111], v[152:153], v[112:113]
	v_mul_f64 v[132:133], v[150:151], v[112:113]
	v_fma_f64 v[110:111], v[150:151], v[130:131], -v[110:111]
	v_fma_f64 v[132:133], v[152:153], v[130:131], v[132:133]
	ds_read2_b64 v[150:153], v140 offset0:44 offset1:45
	v_add_f64 v[42:43], v[42:43], -v[110:111]
	v_add_f64 v[44:45], v[44:45], -v[132:133]
	s_waitcnt lgkmcnt(0)
	v_mul_f64 v[110:111], v[152:153], v[112:113]
	v_mul_f64 v[132:133], v[150:151], v[112:113]
	v_fma_f64 v[110:111], v[150:151], v[130:131], -v[110:111]
	v_fma_f64 v[132:133], v[152:153], v[130:131], v[132:133]
	ds_read2_b64 v[150:153], v140 offset0:46 offset1:47
	v_add_f64 v[38:39], v[38:39], -v[110:111]
	v_add_f64 v[40:41], v[40:41], -v[132:133]
	s_waitcnt lgkmcnt(0)
	v_mul_f64 v[110:111], v[152:153], v[112:113]
	v_mul_f64 v[132:133], v[150:151], v[112:113]
	v_fma_f64 v[110:111], v[150:151], v[130:131], -v[110:111]
	v_fma_f64 v[132:133], v[152:153], v[130:131], v[132:133]
	ds_read2_b64 v[150:153], v140 offset0:48 offset1:49
	v_add_f64 v[34:35], v[34:35], -v[110:111]
	v_add_f64 v[36:37], v[36:37], -v[132:133]
	s_waitcnt lgkmcnt(0)
	v_mul_f64 v[110:111], v[152:153], v[112:113]
	v_mul_f64 v[132:133], v[150:151], v[112:113]
	v_fma_f64 v[110:111], v[150:151], v[130:131], -v[110:111]
	v_fma_f64 v[132:133], v[152:153], v[130:131], v[132:133]
	ds_read2_b64 v[150:153], v140 offset0:50 offset1:51
	v_add_f64 v[30:31], v[30:31], -v[110:111]
	v_add_f64 v[32:33], v[32:33], -v[132:133]
	s_waitcnt lgkmcnt(0)
	v_mul_f64 v[110:111], v[152:153], v[112:113]
	v_mul_f64 v[132:133], v[150:151], v[112:113]
	v_fma_f64 v[110:111], v[150:151], v[130:131], -v[110:111]
	v_fma_f64 v[132:133], v[152:153], v[130:131], v[132:133]
	ds_read2_b64 v[150:153], v140 offset0:52 offset1:53
	v_add_f64 v[26:27], v[26:27], -v[110:111]
	v_add_f64 v[28:29], v[28:29], -v[132:133]
	s_waitcnt lgkmcnt(0)
	v_mul_f64 v[110:111], v[152:153], v[112:113]
	v_mul_f64 v[132:133], v[150:151], v[112:113]
	v_fma_f64 v[110:111], v[150:151], v[130:131], -v[110:111]
	v_fma_f64 v[132:133], v[152:153], v[130:131], v[132:133]
	ds_read2_b64 v[150:153], v140 offset0:54 offset1:55
	v_add_f64 v[22:23], v[22:23], -v[110:111]
	v_add_f64 v[24:25], v[24:25], -v[132:133]
	s_waitcnt lgkmcnt(0)
	v_mul_f64 v[110:111], v[152:153], v[112:113]
	v_mul_f64 v[132:133], v[150:151], v[112:113]
	v_fma_f64 v[110:111], v[150:151], v[130:131], -v[110:111]
	v_fma_f64 v[132:133], v[152:153], v[130:131], v[132:133]
	ds_read2_b64 v[150:153], v140 offset0:56 offset1:57
	v_add_f64 v[18:19], v[18:19], -v[110:111]
	v_add_f64 v[20:21], v[20:21], -v[132:133]
	s_waitcnt lgkmcnt(0)
	v_mul_f64 v[110:111], v[152:153], v[112:113]
	v_mul_f64 v[132:133], v[150:151], v[112:113]
	v_fma_f64 v[110:111], v[150:151], v[130:131], -v[110:111]
	v_fma_f64 v[132:133], v[152:153], v[130:131], v[132:133]
	ds_read2_b64 v[150:153], v140 offset0:58 offset1:59
	v_add_f64 v[14:15], v[14:15], -v[110:111]
	v_add_f64 v[16:17], v[16:17], -v[132:133]
	s_waitcnt lgkmcnt(0)
	v_mul_f64 v[110:111], v[152:153], v[112:113]
	v_mul_f64 v[132:133], v[150:151], v[112:113]
	v_fma_f64 v[110:111], v[150:151], v[130:131], -v[110:111]
	v_fma_f64 v[132:133], v[152:153], v[130:131], v[132:133]
	ds_read2_b64 v[150:153], v140 offset0:60 offset1:61
	v_add_f64 v[10:11], v[10:11], -v[110:111]
	v_add_f64 v[12:13], v[12:13], -v[132:133]
	s_waitcnt lgkmcnt(0)
	v_mul_f64 v[110:111], v[152:153], v[112:113]
	v_mul_f64 v[132:133], v[150:151], v[112:113]
	v_fma_f64 v[110:111], v[150:151], v[130:131], -v[110:111]
	v_fma_f64 v[132:133], v[152:153], v[130:131], v[132:133]
	ds_read2_b64 v[150:153], v140 offset0:62 offset1:63
	v_add_f64 v[6:7], v[6:7], -v[110:111]
	v_add_f64 v[8:9], v[8:9], -v[132:133]
	s_waitcnt lgkmcnt(0)
	v_mul_f64 v[110:111], v[152:153], v[112:113]
	v_mul_f64 v[132:133], v[150:151], v[112:113]
	v_fma_f64 v[110:111], v[150:151], v[130:131], -v[110:111]
	v_fma_f64 v[132:133], v[152:153], v[130:131], v[132:133]
	v_add_f64 v[2:3], v[2:3], -v[110:111]
	v_add_f64 v[4:5], v[4:5], -v[132:133]
	v_mov_b32_e32 v110, v130
	v_mov_b32_e32 v111, v131
.LBB63_46:
	s_or_b32 exec_lo, exec_lo, s1
	s_mov_b32 s2, exec_lo
	s_waitcnt_vscnt null, 0x0
	s_barrier
	buffer_gl0_inv
	v_cmpx_eq_u32_e32 5, v0
	s_cbranch_execz .LBB63_53
; %bb.47:
	ds_write2_b64 v1, v[106:107], v[108:109] offset1:1
	ds_write2_b64 v140, v[102:103], v[104:105] offset0:12 offset1:13
	ds_write2_b64 v140, v[98:99], v[100:101] offset0:14 offset1:15
	;; [unrolled: 1-line block ×26, first 2 shown]
	ds_read2_b64 v[130:133], v1 offset1:1
	s_waitcnt lgkmcnt(0)
	v_cmp_neq_f64_e32 vcc_lo, 0, v[130:131]
	v_cmp_neq_f64_e64 s1, 0, v[132:133]
	s_or_b32 s1, vcc_lo, s1
	s_and_b32 exec_lo, exec_lo, s1
	s_cbranch_execz .LBB63_53
; %bb.48:
	v_cmp_ngt_f64_e64 s1, |v[130:131]|, |v[132:133]|
                                        ; implicit-def: $vgpr150_vgpr151
	s_and_saveexec_b32 s3, s1
	s_xor_b32 s1, exec_lo, s3
                                        ; implicit-def: $vgpr152_vgpr153
	s_cbranch_execz .LBB63_50
; %bb.49:
	v_div_scale_f64 v[150:151], null, v[132:133], v[132:133], v[130:131]
	v_div_scale_f64 v[156:157], vcc_lo, v[130:131], v[132:133], v[130:131]
	v_rcp_f64_e32 v[152:153], v[150:151]
	v_fma_f64 v[154:155], -v[150:151], v[152:153], 1.0
	v_fma_f64 v[152:153], v[152:153], v[154:155], v[152:153]
	v_fma_f64 v[154:155], -v[150:151], v[152:153], 1.0
	v_fma_f64 v[152:153], v[152:153], v[154:155], v[152:153]
	v_mul_f64 v[154:155], v[156:157], v[152:153]
	v_fma_f64 v[150:151], -v[150:151], v[154:155], v[156:157]
	v_div_fmas_f64 v[150:151], v[150:151], v[152:153], v[154:155]
	v_div_fixup_f64 v[150:151], v[150:151], v[132:133], v[130:131]
	v_fma_f64 v[130:131], v[130:131], v[150:151], v[132:133]
	v_div_scale_f64 v[132:133], null, v[130:131], v[130:131], 1.0
	v_rcp_f64_e32 v[152:153], v[132:133]
	v_fma_f64 v[154:155], -v[132:133], v[152:153], 1.0
	v_fma_f64 v[152:153], v[152:153], v[154:155], v[152:153]
	v_fma_f64 v[154:155], -v[132:133], v[152:153], 1.0
	v_fma_f64 v[152:153], v[152:153], v[154:155], v[152:153]
	v_div_scale_f64 v[154:155], vcc_lo, 1.0, v[130:131], 1.0
	v_mul_f64 v[156:157], v[154:155], v[152:153]
	v_fma_f64 v[132:133], -v[132:133], v[156:157], v[154:155]
	v_div_fmas_f64 v[132:133], v[132:133], v[152:153], v[156:157]
	v_div_fixup_f64 v[152:153], v[132:133], v[130:131], 1.0
                                        ; implicit-def: $vgpr130_vgpr131
	v_mul_f64 v[150:151], v[150:151], v[152:153]
	v_xor_b32_e32 v153, 0x80000000, v153
.LBB63_50:
	s_andn2_saveexec_b32 s1, s1
	s_cbranch_execz .LBB63_52
; %bb.51:
	v_div_scale_f64 v[150:151], null, v[130:131], v[130:131], v[132:133]
	v_div_scale_f64 v[156:157], vcc_lo, v[132:133], v[130:131], v[132:133]
	v_rcp_f64_e32 v[152:153], v[150:151]
	v_fma_f64 v[154:155], -v[150:151], v[152:153], 1.0
	v_fma_f64 v[152:153], v[152:153], v[154:155], v[152:153]
	v_fma_f64 v[154:155], -v[150:151], v[152:153], 1.0
	v_fma_f64 v[152:153], v[152:153], v[154:155], v[152:153]
	v_mul_f64 v[154:155], v[156:157], v[152:153]
	v_fma_f64 v[150:151], -v[150:151], v[154:155], v[156:157]
	v_div_fmas_f64 v[150:151], v[150:151], v[152:153], v[154:155]
	v_div_fixup_f64 v[152:153], v[150:151], v[130:131], v[132:133]
	v_fma_f64 v[130:131], v[132:133], v[152:153], v[130:131]
	v_div_scale_f64 v[132:133], null, v[130:131], v[130:131], 1.0
	v_rcp_f64_e32 v[150:151], v[132:133]
	v_fma_f64 v[154:155], -v[132:133], v[150:151], 1.0
	v_fma_f64 v[150:151], v[150:151], v[154:155], v[150:151]
	v_fma_f64 v[154:155], -v[132:133], v[150:151], 1.0
	v_fma_f64 v[150:151], v[150:151], v[154:155], v[150:151]
	v_div_scale_f64 v[154:155], vcc_lo, 1.0, v[130:131], 1.0
	v_mul_f64 v[156:157], v[154:155], v[150:151]
	v_fma_f64 v[132:133], -v[132:133], v[156:157], v[154:155]
	v_div_fmas_f64 v[132:133], v[132:133], v[150:151], v[156:157]
	v_div_fixup_f64 v[150:151], v[132:133], v[130:131], 1.0
	v_mul_f64 v[152:153], v[152:153], -v[150:151]
.LBB63_52:
	s_or_b32 exec_lo, exec_lo, s1
	ds_write2_b64 v1, v[150:151], v[152:153] offset1:1
.LBB63_53:
	s_or_b32 exec_lo, exec_lo, s2
	s_waitcnt lgkmcnt(0)
	s_barrier
	buffer_gl0_inv
	ds_read2_b64 v[150:153], v1 offset1:1
	s_mov_b32 s1, exec_lo
	v_cmpx_lt_u32_e32 5, v0
	s_cbranch_execz .LBB63_55
; %bb.54:
	s_waitcnt lgkmcnt(0)
	v_mul_f64 v[130:131], v[152:153], v[108:109]
	v_mul_f64 v[108:109], v[150:151], v[108:109]
	ds_read2_b64 v[154:157], v140 offset0:12 offset1:13
	v_fma_f64 v[130:131], v[150:151], v[106:107], -v[130:131]
	v_fma_f64 v[108:109], v[152:153], v[106:107], v[108:109]
	s_waitcnt lgkmcnt(0)
	v_mul_f64 v[106:107], v[156:157], v[108:109]
	v_mul_f64 v[132:133], v[154:155], v[108:109]
	v_fma_f64 v[106:107], v[154:155], v[130:131], -v[106:107]
	v_fma_f64 v[132:133], v[156:157], v[130:131], v[132:133]
	ds_read2_b64 v[154:157], v140 offset0:14 offset1:15
	v_add_f64 v[102:103], v[102:103], -v[106:107]
	v_add_f64 v[104:105], v[104:105], -v[132:133]
	s_waitcnt lgkmcnt(0)
	v_mul_f64 v[106:107], v[156:157], v[108:109]
	v_mul_f64 v[132:133], v[154:155], v[108:109]
	v_fma_f64 v[106:107], v[154:155], v[130:131], -v[106:107]
	v_fma_f64 v[132:133], v[156:157], v[130:131], v[132:133]
	ds_read2_b64 v[154:157], v140 offset0:16 offset1:17
	v_add_f64 v[98:99], v[98:99], -v[106:107]
	v_add_f64 v[100:101], v[100:101], -v[132:133]
	;; [unrolled: 8-line block ×25, first 2 shown]
	s_waitcnt lgkmcnt(0)
	v_mul_f64 v[106:107], v[156:157], v[108:109]
	v_mul_f64 v[132:133], v[154:155], v[108:109]
	v_fma_f64 v[106:107], v[154:155], v[130:131], -v[106:107]
	v_fma_f64 v[132:133], v[156:157], v[130:131], v[132:133]
	v_add_f64 v[2:3], v[2:3], -v[106:107]
	v_add_f64 v[4:5], v[4:5], -v[132:133]
	v_mov_b32_e32 v106, v130
	v_mov_b32_e32 v107, v131
.LBB63_55:
	s_or_b32 exec_lo, exec_lo, s1
	s_mov_b32 s2, exec_lo
	s_waitcnt lgkmcnt(0)
	s_barrier
	buffer_gl0_inv
	v_cmpx_eq_u32_e32 6, v0
	s_cbranch_execz .LBB63_62
; %bb.56:
	ds_write2_b64 v1, v[102:103], v[104:105] offset1:1
	ds_write2_b64 v140, v[98:99], v[100:101] offset0:14 offset1:15
	ds_write2_b64 v140, v[94:95], v[96:97] offset0:16 offset1:17
	ds_write2_b64 v140, v[90:91], v[92:93] offset0:18 offset1:19
	ds_write2_b64 v140, v[86:87], v[88:89] offset0:20 offset1:21
	ds_write2_b64 v140, v[82:83], v[84:85] offset0:22 offset1:23
	ds_write2_b64 v140, v[78:79], v[80:81] offset0:24 offset1:25
	ds_write2_b64 v140, v[74:75], v[76:77] offset0:26 offset1:27
	ds_write2_b64 v140, v[70:71], v[72:73] offset0:28 offset1:29
	ds_write2_b64 v140, v[66:67], v[68:69] offset0:30 offset1:31
	ds_write2_b64 v140, v[62:63], v[64:65] offset0:32 offset1:33
	ds_write2_b64 v140, v[58:59], v[60:61] offset0:34 offset1:35
	ds_write2_b64 v140, v[54:55], v[56:57] offset0:36 offset1:37
	ds_write2_b64 v140, v[50:51], v[52:53] offset0:38 offset1:39
	ds_write2_b64 v140, v[46:47], v[48:49] offset0:40 offset1:41
	ds_write2_b64 v140, v[42:43], v[44:45] offset0:42 offset1:43
	ds_write2_b64 v140, v[38:39], v[40:41] offset0:44 offset1:45
	ds_write2_b64 v140, v[34:35], v[36:37] offset0:46 offset1:47
	ds_write2_b64 v140, v[30:31], v[32:33] offset0:48 offset1:49
	ds_write2_b64 v140, v[26:27], v[28:29] offset0:50 offset1:51
	ds_write2_b64 v140, v[22:23], v[24:25] offset0:52 offset1:53
	ds_write2_b64 v140, v[18:19], v[20:21] offset0:54 offset1:55
	ds_write2_b64 v140, v[14:15], v[16:17] offset0:56 offset1:57
	ds_write2_b64 v140, v[10:11], v[12:13] offset0:58 offset1:59
	ds_write2_b64 v140, v[6:7], v[8:9] offset0:60 offset1:61
	ds_write2_b64 v140, v[2:3], v[4:5] offset0:62 offset1:63
	ds_read2_b64 v[130:133], v1 offset1:1
	s_waitcnt lgkmcnt(0)
	v_cmp_neq_f64_e32 vcc_lo, 0, v[130:131]
	v_cmp_neq_f64_e64 s1, 0, v[132:133]
	s_or_b32 s1, vcc_lo, s1
	s_and_b32 exec_lo, exec_lo, s1
	s_cbranch_execz .LBB63_62
; %bb.57:
	v_cmp_ngt_f64_e64 s1, |v[130:131]|, |v[132:133]|
                                        ; implicit-def: $vgpr154_vgpr155
	s_and_saveexec_b32 s3, s1
	s_xor_b32 s1, exec_lo, s3
                                        ; implicit-def: $vgpr156_vgpr157
	s_cbranch_execz .LBB63_59
; %bb.58:
	v_div_scale_f64 v[154:155], null, v[132:133], v[132:133], v[130:131]
	v_div_scale_f64 v[160:161], vcc_lo, v[130:131], v[132:133], v[130:131]
	v_rcp_f64_e32 v[156:157], v[154:155]
	v_fma_f64 v[158:159], -v[154:155], v[156:157], 1.0
	v_fma_f64 v[156:157], v[156:157], v[158:159], v[156:157]
	v_fma_f64 v[158:159], -v[154:155], v[156:157], 1.0
	v_fma_f64 v[156:157], v[156:157], v[158:159], v[156:157]
	v_mul_f64 v[158:159], v[160:161], v[156:157]
	v_fma_f64 v[154:155], -v[154:155], v[158:159], v[160:161]
	v_div_fmas_f64 v[154:155], v[154:155], v[156:157], v[158:159]
	v_div_fixup_f64 v[154:155], v[154:155], v[132:133], v[130:131]
	v_fma_f64 v[130:131], v[130:131], v[154:155], v[132:133]
	v_div_scale_f64 v[132:133], null, v[130:131], v[130:131], 1.0
	v_rcp_f64_e32 v[156:157], v[132:133]
	v_fma_f64 v[158:159], -v[132:133], v[156:157], 1.0
	v_fma_f64 v[156:157], v[156:157], v[158:159], v[156:157]
	v_fma_f64 v[158:159], -v[132:133], v[156:157], 1.0
	v_fma_f64 v[156:157], v[156:157], v[158:159], v[156:157]
	v_div_scale_f64 v[158:159], vcc_lo, 1.0, v[130:131], 1.0
	v_mul_f64 v[160:161], v[158:159], v[156:157]
	v_fma_f64 v[132:133], -v[132:133], v[160:161], v[158:159]
	v_div_fmas_f64 v[132:133], v[132:133], v[156:157], v[160:161]
	v_div_fixup_f64 v[156:157], v[132:133], v[130:131], 1.0
                                        ; implicit-def: $vgpr130_vgpr131
	v_mul_f64 v[154:155], v[154:155], v[156:157]
	v_xor_b32_e32 v157, 0x80000000, v157
.LBB63_59:
	s_andn2_saveexec_b32 s1, s1
	s_cbranch_execz .LBB63_61
; %bb.60:
	v_div_scale_f64 v[154:155], null, v[130:131], v[130:131], v[132:133]
	v_div_scale_f64 v[160:161], vcc_lo, v[132:133], v[130:131], v[132:133]
	v_rcp_f64_e32 v[156:157], v[154:155]
	v_fma_f64 v[158:159], -v[154:155], v[156:157], 1.0
	v_fma_f64 v[156:157], v[156:157], v[158:159], v[156:157]
	v_fma_f64 v[158:159], -v[154:155], v[156:157], 1.0
	v_fma_f64 v[156:157], v[156:157], v[158:159], v[156:157]
	v_mul_f64 v[158:159], v[160:161], v[156:157]
	v_fma_f64 v[154:155], -v[154:155], v[158:159], v[160:161]
	v_div_fmas_f64 v[154:155], v[154:155], v[156:157], v[158:159]
	v_div_fixup_f64 v[156:157], v[154:155], v[130:131], v[132:133]
	v_fma_f64 v[130:131], v[132:133], v[156:157], v[130:131]
	v_div_scale_f64 v[132:133], null, v[130:131], v[130:131], 1.0
	v_rcp_f64_e32 v[154:155], v[132:133]
	v_fma_f64 v[158:159], -v[132:133], v[154:155], 1.0
	v_fma_f64 v[154:155], v[154:155], v[158:159], v[154:155]
	v_fma_f64 v[158:159], -v[132:133], v[154:155], 1.0
	v_fma_f64 v[154:155], v[154:155], v[158:159], v[154:155]
	v_div_scale_f64 v[158:159], vcc_lo, 1.0, v[130:131], 1.0
	v_mul_f64 v[160:161], v[158:159], v[154:155]
	v_fma_f64 v[132:133], -v[132:133], v[160:161], v[158:159]
	v_div_fmas_f64 v[132:133], v[132:133], v[154:155], v[160:161]
	v_div_fixup_f64 v[154:155], v[132:133], v[130:131], 1.0
	v_mul_f64 v[156:157], v[156:157], -v[154:155]
.LBB63_61:
	s_or_b32 exec_lo, exec_lo, s1
	ds_write2_b64 v1, v[154:155], v[156:157] offset1:1
.LBB63_62:
	s_or_b32 exec_lo, exec_lo, s2
	s_waitcnt lgkmcnt(0)
	s_barrier
	buffer_gl0_inv
	ds_read2_b64 v[154:157], v1 offset1:1
	s_mov_b32 s1, exec_lo
	v_cmpx_lt_u32_e32 6, v0
	s_cbranch_execz .LBB63_64
; %bb.63:
	s_waitcnt lgkmcnt(0)
	v_mul_f64 v[130:131], v[156:157], v[104:105]
	v_mul_f64 v[104:105], v[154:155], v[104:105]
	ds_read2_b64 v[158:161], v140 offset0:14 offset1:15
	v_fma_f64 v[130:131], v[154:155], v[102:103], -v[130:131]
	v_fma_f64 v[104:105], v[156:157], v[102:103], v[104:105]
	s_waitcnt lgkmcnt(0)
	v_mul_f64 v[102:103], v[160:161], v[104:105]
	v_mul_f64 v[132:133], v[158:159], v[104:105]
	v_fma_f64 v[102:103], v[158:159], v[130:131], -v[102:103]
	v_fma_f64 v[132:133], v[160:161], v[130:131], v[132:133]
	ds_read2_b64 v[158:161], v140 offset0:16 offset1:17
	v_add_f64 v[98:99], v[98:99], -v[102:103]
	v_add_f64 v[100:101], v[100:101], -v[132:133]
	s_waitcnt lgkmcnt(0)
	v_mul_f64 v[102:103], v[160:161], v[104:105]
	v_mul_f64 v[132:133], v[158:159], v[104:105]
	v_fma_f64 v[102:103], v[158:159], v[130:131], -v[102:103]
	v_fma_f64 v[132:133], v[160:161], v[130:131], v[132:133]
	ds_read2_b64 v[158:161], v140 offset0:18 offset1:19
	v_add_f64 v[94:95], v[94:95], -v[102:103]
	v_add_f64 v[96:97], v[96:97], -v[132:133]
	;; [unrolled: 8-line block ×24, first 2 shown]
	s_waitcnt lgkmcnt(0)
	v_mul_f64 v[102:103], v[160:161], v[104:105]
	v_mul_f64 v[132:133], v[158:159], v[104:105]
	v_fma_f64 v[102:103], v[158:159], v[130:131], -v[102:103]
	v_fma_f64 v[132:133], v[160:161], v[130:131], v[132:133]
	v_add_f64 v[2:3], v[2:3], -v[102:103]
	v_add_f64 v[4:5], v[4:5], -v[132:133]
	v_mov_b32_e32 v102, v130
	v_mov_b32_e32 v103, v131
.LBB63_64:
	s_or_b32 exec_lo, exec_lo, s1
	s_mov_b32 s2, exec_lo
	s_waitcnt lgkmcnt(0)
	s_barrier
	buffer_gl0_inv
	v_cmpx_eq_u32_e32 7, v0
	s_cbranch_execz .LBB63_71
; %bb.65:
	ds_write2_b64 v1, v[98:99], v[100:101] offset1:1
	ds_write2_b64 v140, v[94:95], v[96:97] offset0:16 offset1:17
	ds_write2_b64 v140, v[90:91], v[92:93] offset0:18 offset1:19
	;; [unrolled: 1-line block ×24, first 2 shown]
	ds_read2_b64 v[130:133], v1 offset1:1
	s_waitcnt lgkmcnt(0)
	v_cmp_neq_f64_e32 vcc_lo, 0, v[130:131]
	v_cmp_neq_f64_e64 s1, 0, v[132:133]
	s_or_b32 s1, vcc_lo, s1
	s_and_b32 exec_lo, exec_lo, s1
	s_cbranch_execz .LBB63_71
; %bb.66:
	v_cmp_ngt_f64_e64 s1, |v[130:131]|, |v[132:133]|
                                        ; implicit-def: $vgpr158_vgpr159
	s_and_saveexec_b32 s3, s1
	s_xor_b32 s1, exec_lo, s3
                                        ; implicit-def: $vgpr160_vgpr161
	s_cbranch_execz .LBB63_68
; %bb.67:
	v_div_scale_f64 v[158:159], null, v[132:133], v[132:133], v[130:131]
	v_div_scale_f64 v[164:165], vcc_lo, v[130:131], v[132:133], v[130:131]
	v_rcp_f64_e32 v[160:161], v[158:159]
	v_fma_f64 v[162:163], -v[158:159], v[160:161], 1.0
	v_fma_f64 v[160:161], v[160:161], v[162:163], v[160:161]
	v_fma_f64 v[162:163], -v[158:159], v[160:161], 1.0
	v_fma_f64 v[160:161], v[160:161], v[162:163], v[160:161]
	v_mul_f64 v[162:163], v[164:165], v[160:161]
	v_fma_f64 v[158:159], -v[158:159], v[162:163], v[164:165]
	v_div_fmas_f64 v[158:159], v[158:159], v[160:161], v[162:163]
	v_div_fixup_f64 v[158:159], v[158:159], v[132:133], v[130:131]
	v_fma_f64 v[130:131], v[130:131], v[158:159], v[132:133]
	v_div_scale_f64 v[132:133], null, v[130:131], v[130:131], 1.0
	v_rcp_f64_e32 v[160:161], v[132:133]
	v_fma_f64 v[162:163], -v[132:133], v[160:161], 1.0
	v_fma_f64 v[160:161], v[160:161], v[162:163], v[160:161]
	v_fma_f64 v[162:163], -v[132:133], v[160:161], 1.0
	v_fma_f64 v[160:161], v[160:161], v[162:163], v[160:161]
	v_div_scale_f64 v[162:163], vcc_lo, 1.0, v[130:131], 1.0
	v_mul_f64 v[164:165], v[162:163], v[160:161]
	v_fma_f64 v[132:133], -v[132:133], v[164:165], v[162:163]
	v_div_fmas_f64 v[132:133], v[132:133], v[160:161], v[164:165]
	v_div_fixup_f64 v[160:161], v[132:133], v[130:131], 1.0
                                        ; implicit-def: $vgpr130_vgpr131
	v_mul_f64 v[158:159], v[158:159], v[160:161]
	v_xor_b32_e32 v161, 0x80000000, v161
.LBB63_68:
	s_andn2_saveexec_b32 s1, s1
	s_cbranch_execz .LBB63_70
; %bb.69:
	v_div_scale_f64 v[158:159], null, v[130:131], v[130:131], v[132:133]
	v_div_scale_f64 v[164:165], vcc_lo, v[132:133], v[130:131], v[132:133]
	v_rcp_f64_e32 v[160:161], v[158:159]
	v_fma_f64 v[162:163], -v[158:159], v[160:161], 1.0
	v_fma_f64 v[160:161], v[160:161], v[162:163], v[160:161]
	v_fma_f64 v[162:163], -v[158:159], v[160:161], 1.0
	v_fma_f64 v[160:161], v[160:161], v[162:163], v[160:161]
	v_mul_f64 v[162:163], v[164:165], v[160:161]
	v_fma_f64 v[158:159], -v[158:159], v[162:163], v[164:165]
	v_div_fmas_f64 v[158:159], v[158:159], v[160:161], v[162:163]
	v_div_fixup_f64 v[160:161], v[158:159], v[130:131], v[132:133]
	v_fma_f64 v[130:131], v[132:133], v[160:161], v[130:131]
	v_div_scale_f64 v[132:133], null, v[130:131], v[130:131], 1.0
	v_rcp_f64_e32 v[158:159], v[132:133]
	v_fma_f64 v[162:163], -v[132:133], v[158:159], 1.0
	v_fma_f64 v[158:159], v[158:159], v[162:163], v[158:159]
	v_fma_f64 v[162:163], -v[132:133], v[158:159], 1.0
	v_fma_f64 v[158:159], v[158:159], v[162:163], v[158:159]
	v_div_scale_f64 v[162:163], vcc_lo, 1.0, v[130:131], 1.0
	v_mul_f64 v[164:165], v[162:163], v[158:159]
	v_fma_f64 v[132:133], -v[132:133], v[164:165], v[162:163]
	v_div_fmas_f64 v[132:133], v[132:133], v[158:159], v[164:165]
	v_div_fixup_f64 v[158:159], v[132:133], v[130:131], 1.0
	v_mul_f64 v[160:161], v[160:161], -v[158:159]
.LBB63_70:
	s_or_b32 exec_lo, exec_lo, s1
	ds_write2_b64 v1, v[158:159], v[160:161] offset1:1
.LBB63_71:
	s_or_b32 exec_lo, exec_lo, s2
	s_waitcnt lgkmcnt(0)
	s_barrier
	buffer_gl0_inv
	ds_read2_b64 v[158:161], v1 offset1:1
	s_mov_b32 s1, exec_lo
	v_cmpx_lt_u32_e32 7, v0
	s_cbranch_execz .LBB63_73
; %bb.72:
	s_waitcnt lgkmcnt(0)
	v_mul_f64 v[130:131], v[160:161], v[100:101]
	v_mul_f64 v[100:101], v[158:159], v[100:101]
	ds_read2_b64 v[162:165], v140 offset0:16 offset1:17
	v_fma_f64 v[130:131], v[158:159], v[98:99], -v[130:131]
	v_fma_f64 v[100:101], v[160:161], v[98:99], v[100:101]
	s_waitcnt lgkmcnt(0)
	v_mul_f64 v[98:99], v[164:165], v[100:101]
	v_mul_f64 v[132:133], v[162:163], v[100:101]
	v_fma_f64 v[98:99], v[162:163], v[130:131], -v[98:99]
	v_fma_f64 v[132:133], v[164:165], v[130:131], v[132:133]
	ds_read2_b64 v[162:165], v140 offset0:18 offset1:19
	v_add_f64 v[94:95], v[94:95], -v[98:99]
	v_add_f64 v[96:97], v[96:97], -v[132:133]
	s_waitcnt lgkmcnt(0)
	v_mul_f64 v[98:99], v[164:165], v[100:101]
	v_mul_f64 v[132:133], v[162:163], v[100:101]
	v_fma_f64 v[98:99], v[162:163], v[130:131], -v[98:99]
	v_fma_f64 v[132:133], v[164:165], v[130:131], v[132:133]
	ds_read2_b64 v[162:165], v140 offset0:20 offset1:21
	v_add_f64 v[90:91], v[90:91], -v[98:99]
	v_add_f64 v[92:93], v[92:93], -v[132:133]
	;; [unrolled: 8-line block ×23, first 2 shown]
	s_waitcnt lgkmcnt(0)
	v_mul_f64 v[98:99], v[164:165], v[100:101]
	v_mul_f64 v[132:133], v[162:163], v[100:101]
	v_fma_f64 v[98:99], v[162:163], v[130:131], -v[98:99]
	v_fma_f64 v[132:133], v[164:165], v[130:131], v[132:133]
	v_add_f64 v[2:3], v[2:3], -v[98:99]
	v_add_f64 v[4:5], v[4:5], -v[132:133]
	v_mov_b32_e32 v98, v130
	v_mov_b32_e32 v99, v131
.LBB63_73:
	s_or_b32 exec_lo, exec_lo, s1
	s_mov_b32 s2, exec_lo
	s_waitcnt lgkmcnt(0)
	s_barrier
	buffer_gl0_inv
	v_cmpx_eq_u32_e32 8, v0
	s_cbranch_execz .LBB63_80
; %bb.74:
	ds_write2_b64 v1, v[94:95], v[96:97] offset1:1
	ds_write2_b64 v140, v[90:91], v[92:93] offset0:18 offset1:19
	ds_write2_b64 v140, v[86:87], v[88:89] offset0:20 offset1:21
	;; [unrolled: 1-line block ×23, first 2 shown]
	ds_read2_b64 v[130:133], v1 offset1:1
	s_waitcnt lgkmcnt(0)
	v_cmp_neq_f64_e32 vcc_lo, 0, v[130:131]
	v_cmp_neq_f64_e64 s1, 0, v[132:133]
	s_or_b32 s1, vcc_lo, s1
	s_and_b32 exec_lo, exec_lo, s1
	s_cbranch_execz .LBB63_80
; %bb.75:
	v_cmp_ngt_f64_e64 s1, |v[130:131]|, |v[132:133]|
                                        ; implicit-def: $vgpr162_vgpr163
	s_and_saveexec_b32 s3, s1
	s_xor_b32 s1, exec_lo, s3
                                        ; implicit-def: $vgpr164_vgpr165
	s_cbranch_execz .LBB63_77
; %bb.76:
	v_div_scale_f64 v[162:163], null, v[132:133], v[132:133], v[130:131]
	v_div_scale_f64 v[168:169], vcc_lo, v[130:131], v[132:133], v[130:131]
	v_rcp_f64_e32 v[164:165], v[162:163]
	v_fma_f64 v[166:167], -v[162:163], v[164:165], 1.0
	v_fma_f64 v[164:165], v[164:165], v[166:167], v[164:165]
	v_fma_f64 v[166:167], -v[162:163], v[164:165], 1.0
	v_fma_f64 v[164:165], v[164:165], v[166:167], v[164:165]
	v_mul_f64 v[166:167], v[168:169], v[164:165]
	v_fma_f64 v[162:163], -v[162:163], v[166:167], v[168:169]
	v_div_fmas_f64 v[162:163], v[162:163], v[164:165], v[166:167]
	v_div_fixup_f64 v[162:163], v[162:163], v[132:133], v[130:131]
	v_fma_f64 v[130:131], v[130:131], v[162:163], v[132:133]
	v_div_scale_f64 v[132:133], null, v[130:131], v[130:131], 1.0
	v_rcp_f64_e32 v[164:165], v[132:133]
	v_fma_f64 v[166:167], -v[132:133], v[164:165], 1.0
	v_fma_f64 v[164:165], v[164:165], v[166:167], v[164:165]
	v_fma_f64 v[166:167], -v[132:133], v[164:165], 1.0
	v_fma_f64 v[164:165], v[164:165], v[166:167], v[164:165]
	v_div_scale_f64 v[166:167], vcc_lo, 1.0, v[130:131], 1.0
	v_mul_f64 v[168:169], v[166:167], v[164:165]
	v_fma_f64 v[132:133], -v[132:133], v[168:169], v[166:167]
	v_div_fmas_f64 v[132:133], v[132:133], v[164:165], v[168:169]
	v_div_fixup_f64 v[164:165], v[132:133], v[130:131], 1.0
                                        ; implicit-def: $vgpr130_vgpr131
	v_mul_f64 v[162:163], v[162:163], v[164:165]
	v_xor_b32_e32 v165, 0x80000000, v165
.LBB63_77:
	s_andn2_saveexec_b32 s1, s1
	s_cbranch_execz .LBB63_79
; %bb.78:
	v_div_scale_f64 v[162:163], null, v[130:131], v[130:131], v[132:133]
	v_div_scale_f64 v[168:169], vcc_lo, v[132:133], v[130:131], v[132:133]
	v_rcp_f64_e32 v[164:165], v[162:163]
	v_fma_f64 v[166:167], -v[162:163], v[164:165], 1.0
	v_fma_f64 v[164:165], v[164:165], v[166:167], v[164:165]
	v_fma_f64 v[166:167], -v[162:163], v[164:165], 1.0
	v_fma_f64 v[164:165], v[164:165], v[166:167], v[164:165]
	v_mul_f64 v[166:167], v[168:169], v[164:165]
	v_fma_f64 v[162:163], -v[162:163], v[166:167], v[168:169]
	v_div_fmas_f64 v[162:163], v[162:163], v[164:165], v[166:167]
	v_div_fixup_f64 v[164:165], v[162:163], v[130:131], v[132:133]
	v_fma_f64 v[130:131], v[132:133], v[164:165], v[130:131]
	v_div_scale_f64 v[132:133], null, v[130:131], v[130:131], 1.0
	v_rcp_f64_e32 v[162:163], v[132:133]
	v_fma_f64 v[166:167], -v[132:133], v[162:163], 1.0
	v_fma_f64 v[162:163], v[162:163], v[166:167], v[162:163]
	v_fma_f64 v[166:167], -v[132:133], v[162:163], 1.0
	v_fma_f64 v[162:163], v[162:163], v[166:167], v[162:163]
	v_div_scale_f64 v[166:167], vcc_lo, 1.0, v[130:131], 1.0
	v_mul_f64 v[168:169], v[166:167], v[162:163]
	v_fma_f64 v[132:133], -v[132:133], v[168:169], v[166:167]
	v_div_fmas_f64 v[132:133], v[132:133], v[162:163], v[168:169]
	v_div_fixup_f64 v[162:163], v[132:133], v[130:131], 1.0
	v_mul_f64 v[164:165], v[164:165], -v[162:163]
.LBB63_79:
	s_or_b32 exec_lo, exec_lo, s1
	ds_write2_b64 v1, v[162:163], v[164:165] offset1:1
.LBB63_80:
	s_or_b32 exec_lo, exec_lo, s2
	s_waitcnt lgkmcnt(0)
	s_barrier
	buffer_gl0_inv
	ds_read2_b64 v[162:165], v1 offset1:1
	s_mov_b32 s1, exec_lo
	v_cmpx_lt_u32_e32 8, v0
	s_cbranch_execz .LBB63_82
; %bb.81:
	s_waitcnt lgkmcnt(0)
	v_mul_f64 v[130:131], v[164:165], v[96:97]
	v_mul_f64 v[96:97], v[162:163], v[96:97]
	ds_read2_b64 v[166:169], v140 offset0:18 offset1:19
	v_fma_f64 v[130:131], v[162:163], v[94:95], -v[130:131]
	v_fma_f64 v[96:97], v[164:165], v[94:95], v[96:97]
	s_waitcnt lgkmcnt(0)
	v_mul_f64 v[94:95], v[168:169], v[96:97]
	v_mul_f64 v[132:133], v[166:167], v[96:97]
	v_fma_f64 v[94:95], v[166:167], v[130:131], -v[94:95]
	v_fma_f64 v[132:133], v[168:169], v[130:131], v[132:133]
	ds_read2_b64 v[166:169], v140 offset0:20 offset1:21
	v_add_f64 v[90:91], v[90:91], -v[94:95]
	v_add_f64 v[92:93], v[92:93], -v[132:133]
	s_waitcnt lgkmcnt(0)
	v_mul_f64 v[94:95], v[168:169], v[96:97]
	v_mul_f64 v[132:133], v[166:167], v[96:97]
	v_fma_f64 v[94:95], v[166:167], v[130:131], -v[94:95]
	v_fma_f64 v[132:133], v[168:169], v[130:131], v[132:133]
	ds_read2_b64 v[166:169], v140 offset0:22 offset1:23
	v_add_f64 v[86:87], v[86:87], -v[94:95]
	v_add_f64 v[88:89], v[88:89], -v[132:133]
	;; [unrolled: 8-line block ×22, first 2 shown]
	s_waitcnt lgkmcnt(0)
	v_mul_f64 v[94:95], v[168:169], v[96:97]
	v_mul_f64 v[132:133], v[166:167], v[96:97]
	v_fma_f64 v[94:95], v[166:167], v[130:131], -v[94:95]
	v_fma_f64 v[132:133], v[168:169], v[130:131], v[132:133]
	v_add_f64 v[2:3], v[2:3], -v[94:95]
	v_add_f64 v[4:5], v[4:5], -v[132:133]
	v_mov_b32_e32 v94, v130
	v_mov_b32_e32 v95, v131
.LBB63_82:
	s_or_b32 exec_lo, exec_lo, s1
	s_mov_b32 s2, exec_lo
	s_waitcnt lgkmcnt(0)
	s_barrier
	buffer_gl0_inv
	v_cmpx_eq_u32_e32 9, v0
	s_cbranch_execz .LBB63_89
; %bb.83:
	ds_write2_b64 v1, v[90:91], v[92:93] offset1:1
	ds_write2_b64 v140, v[86:87], v[88:89] offset0:20 offset1:21
	ds_write2_b64 v140, v[82:83], v[84:85] offset0:22 offset1:23
	;; [unrolled: 1-line block ×22, first 2 shown]
	ds_read2_b64 v[130:133], v1 offset1:1
	s_waitcnt lgkmcnt(0)
	v_cmp_neq_f64_e32 vcc_lo, 0, v[130:131]
	v_cmp_neq_f64_e64 s1, 0, v[132:133]
	s_or_b32 s1, vcc_lo, s1
	s_and_b32 exec_lo, exec_lo, s1
	s_cbranch_execz .LBB63_89
; %bb.84:
	v_cmp_ngt_f64_e64 s1, |v[130:131]|, |v[132:133]|
                                        ; implicit-def: $vgpr166_vgpr167
	s_and_saveexec_b32 s3, s1
	s_xor_b32 s1, exec_lo, s3
                                        ; implicit-def: $vgpr168_vgpr169
	s_cbranch_execz .LBB63_86
; %bb.85:
	v_div_scale_f64 v[166:167], null, v[132:133], v[132:133], v[130:131]
	v_div_scale_f64 v[172:173], vcc_lo, v[130:131], v[132:133], v[130:131]
	v_rcp_f64_e32 v[168:169], v[166:167]
	v_fma_f64 v[170:171], -v[166:167], v[168:169], 1.0
	v_fma_f64 v[168:169], v[168:169], v[170:171], v[168:169]
	v_fma_f64 v[170:171], -v[166:167], v[168:169], 1.0
	v_fma_f64 v[168:169], v[168:169], v[170:171], v[168:169]
	v_mul_f64 v[170:171], v[172:173], v[168:169]
	v_fma_f64 v[166:167], -v[166:167], v[170:171], v[172:173]
	v_div_fmas_f64 v[166:167], v[166:167], v[168:169], v[170:171]
	v_div_fixup_f64 v[166:167], v[166:167], v[132:133], v[130:131]
	v_fma_f64 v[130:131], v[130:131], v[166:167], v[132:133]
	v_div_scale_f64 v[132:133], null, v[130:131], v[130:131], 1.0
	v_rcp_f64_e32 v[168:169], v[132:133]
	v_fma_f64 v[170:171], -v[132:133], v[168:169], 1.0
	v_fma_f64 v[168:169], v[168:169], v[170:171], v[168:169]
	v_fma_f64 v[170:171], -v[132:133], v[168:169], 1.0
	v_fma_f64 v[168:169], v[168:169], v[170:171], v[168:169]
	v_div_scale_f64 v[170:171], vcc_lo, 1.0, v[130:131], 1.0
	v_mul_f64 v[172:173], v[170:171], v[168:169]
	v_fma_f64 v[132:133], -v[132:133], v[172:173], v[170:171]
	v_div_fmas_f64 v[132:133], v[132:133], v[168:169], v[172:173]
	v_div_fixup_f64 v[168:169], v[132:133], v[130:131], 1.0
                                        ; implicit-def: $vgpr130_vgpr131
	v_mul_f64 v[166:167], v[166:167], v[168:169]
	v_xor_b32_e32 v169, 0x80000000, v169
.LBB63_86:
	s_andn2_saveexec_b32 s1, s1
	s_cbranch_execz .LBB63_88
; %bb.87:
	v_div_scale_f64 v[166:167], null, v[130:131], v[130:131], v[132:133]
	v_div_scale_f64 v[172:173], vcc_lo, v[132:133], v[130:131], v[132:133]
	v_rcp_f64_e32 v[168:169], v[166:167]
	v_fma_f64 v[170:171], -v[166:167], v[168:169], 1.0
	v_fma_f64 v[168:169], v[168:169], v[170:171], v[168:169]
	v_fma_f64 v[170:171], -v[166:167], v[168:169], 1.0
	v_fma_f64 v[168:169], v[168:169], v[170:171], v[168:169]
	v_mul_f64 v[170:171], v[172:173], v[168:169]
	v_fma_f64 v[166:167], -v[166:167], v[170:171], v[172:173]
	v_div_fmas_f64 v[166:167], v[166:167], v[168:169], v[170:171]
	v_div_fixup_f64 v[168:169], v[166:167], v[130:131], v[132:133]
	v_fma_f64 v[130:131], v[132:133], v[168:169], v[130:131]
	v_div_scale_f64 v[132:133], null, v[130:131], v[130:131], 1.0
	v_rcp_f64_e32 v[166:167], v[132:133]
	v_fma_f64 v[170:171], -v[132:133], v[166:167], 1.0
	v_fma_f64 v[166:167], v[166:167], v[170:171], v[166:167]
	v_fma_f64 v[170:171], -v[132:133], v[166:167], 1.0
	v_fma_f64 v[166:167], v[166:167], v[170:171], v[166:167]
	v_div_scale_f64 v[170:171], vcc_lo, 1.0, v[130:131], 1.0
	v_mul_f64 v[172:173], v[170:171], v[166:167]
	v_fma_f64 v[132:133], -v[132:133], v[172:173], v[170:171]
	v_div_fmas_f64 v[132:133], v[132:133], v[166:167], v[172:173]
	v_div_fixup_f64 v[166:167], v[132:133], v[130:131], 1.0
	v_mul_f64 v[168:169], v[168:169], -v[166:167]
.LBB63_88:
	s_or_b32 exec_lo, exec_lo, s1
	ds_write2_b64 v1, v[166:167], v[168:169] offset1:1
.LBB63_89:
	s_or_b32 exec_lo, exec_lo, s2
	s_waitcnt lgkmcnt(0)
	s_barrier
	buffer_gl0_inv
	ds_read2_b64 v[166:169], v1 offset1:1
	s_mov_b32 s1, exec_lo
	v_cmpx_lt_u32_e32 9, v0
	s_cbranch_execz .LBB63_91
; %bb.90:
	s_waitcnt lgkmcnt(0)
	v_mul_f64 v[130:131], v[168:169], v[92:93]
	v_mul_f64 v[92:93], v[166:167], v[92:93]
	ds_read2_b64 v[170:173], v140 offset0:20 offset1:21
	v_fma_f64 v[130:131], v[166:167], v[90:91], -v[130:131]
	v_fma_f64 v[92:93], v[168:169], v[90:91], v[92:93]
	s_waitcnt lgkmcnt(0)
	v_mul_f64 v[90:91], v[172:173], v[92:93]
	v_mul_f64 v[132:133], v[170:171], v[92:93]
	v_fma_f64 v[90:91], v[170:171], v[130:131], -v[90:91]
	v_fma_f64 v[132:133], v[172:173], v[130:131], v[132:133]
	ds_read2_b64 v[170:173], v140 offset0:22 offset1:23
	v_add_f64 v[86:87], v[86:87], -v[90:91]
	v_add_f64 v[88:89], v[88:89], -v[132:133]
	s_waitcnt lgkmcnt(0)
	v_mul_f64 v[90:91], v[172:173], v[92:93]
	v_mul_f64 v[132:133], v[170:171], v[92:93]
	v_fma_f64 v[90:91], v[170:171], v[130:131], -v[90:91]
	v_fma_f64 v[132:133], v[172:173], v[130:131], v[132:133]
	ds_read2_b64 v[170:173], v140 offset0:24 offset1:25
	v_add_f64 v[82:83], v[82:83], -v[90:91]
	v_add_f64 v[84:85], v[84:85], -v[132:133]
	;; [unrolled: 8-line block ×21, first 2 shown]
	s_waitcnt lgkmcnt(0)
	v_mul_f64 v[90:91], v[172:173], v[92:93]
	v_mul_f64 v[132:133], v[170:171], v[92:93]
	v_fma_f64 v[90:91], v[170:171], v[130:131], -v[90:91]
	v_fma_f64 v[132:133], v[172:173], v[130:131], v[132:133]
	v_add_f64 v[2:3], v[2:3], -v[90:91]
	v_add_f64 v[4:5], v[4:5], -v[132:133]
	v_mov_b32_e32 v90, v130
	v_mov_b32_e32 v91, v131
.LBB63_91:
	s_or_b32 exec_lo, exec_lo, s1
	s_mov_b32 s2, exec_lo
	s_waitcnt lgkmcnt(0)
	s_barrier
	buffer_gl0_inv
	v_cmpx_eq_u32_e32 10, v0
	s_cbranch_execz .LBB63_98
; %bb.92:
	ds_write2_b64 v1, v[86:87], v[88:89] offset1:1
	ds_write2_b64 v140, v[82:83], v[84:85] offset0:22 offset1:23
	ds_write2_b64 v140, v[78:79], v[80:81] offset0:24 offset1:25
	;; [unrolled: 1-line block ×21, first 2 shown]
	ds_read2_b64 v[130:133], v1 offset1:1
	s_waitcnt lgkmcnt(0)
	v_cmp_neq_f64_e32 vcc_lo, 0, v[130:131]
	v_cmp_neq_f64_e64 s1, 0, v[132:133]
	s_or_b32 s1, vcc_lo, s1
	s_and_b32 exec_lo, exec_lo, s1
	s_cbranch_execz .LBB63_98
; %bb.93:
	v_cmp_ngt_f64_e64 s1, |v[130:131]|, |v[132:133]|
                                        ; implicit-def: $vgpr170_vgpr171
	s_and_saveexec_b32 s3, s1
	s_xor_b32 s1, exec_lo, s3
                                        ; implicit-def: $vgpr172_vgpr173
	s_cbranch_execz .LBB63_95
; %bb.94:
	v_div_scale_f64 v[170:171], null, v[132:133], v[132:133], v[130:131]
	v_div_scale_f64 v[176:177], vcc_lo, v[130:131], v[132:133], v[130:131]
	v_rcp_f64_e32 v[172:173], v[170:171]
	v_fma_f64 v[174:175], -v[170:171], v[172:173], 1.0
	v_fma_f64 v[172:173], v[172:173], v[174:175], v[172:173]
	v_fma_f64 v[174:175], -v[170:171], v[172:173], 1.0
	v_fma_f64 v[172:173], v[172:173], v[174:175], v[172:173]
	v_mul_f64 v[174:175], v[176:177], v[172:173]
	v_fma_f64 v[170:171], -v[170:171], v[174:175], v[176:177]
	v_div_fmas_f64 v[170:171], v[170:171], v[172:173], v[174:175]
	v_div_fixup_f64 v[170:171], v[170:171], v[132:133], v[130:131]
	v_fma_f64 v[130:131], v[130:131], v[170:171], v[132:133]
	v_div_scale_f64 v[132:133], null, v[130:131], v[130:131], 1.0
	v_rcp_f64_e32 v[172:173], v[132:133]
	v_fma_f64 v[174:175], -v[132:133], v[172:173], 1.0
	v_fma_f64 v[172:173], v[172:173], v[174:175], v[172:173]
	v_fma_f64 v[174:175], -v[132:133], v[172:173], 1.0
	v_fma_f64 v[172:173], v[172:173], v[174:175], v[172:173]
	v_div_scale_f64 v[174:175], vcc_lo, 1.0, v[130:131], 1.0
	v_mul_f64 v[176:177], v[174:175], v[172:173]
	v_fma_f64 v[132:133], -v[132:133], v[176:177], v[174:175]
	v_div_fmas_f64 v[132:133], v[132:133], v[172:173], v[176:177]
	v_div_fixup_f64 v[172:173], v[132:133], v[130:131], 1.0
                                        ; implicit-def: $vgpr130_vgpr131
	v_mul_f64 v[170:171], v[170:171], v[172:173]
	v_xor_b32_e32 v173, 0x80000000, v173
.LBB63_95:
	s_andn2_saveexec_b32 s1, s1
	s_cbranch_execz .LBB63_97
; %bb.96:
	v_div_scale_f64 v[170:171], null, v[130:131], v[130:131], v[132:133]
	v_div_scale_f64 v[176:177], vcc_lo, v[132:133], v[130:131], v[132:133]
	v_rcp_f64_e32 v[172:173], v[170:171]
	v_fma_f64 v[174:175], -v[170:171], v[172:173], 1.0
	v_fma_f64 v[172:173], v[172:173], v[174:175], v[172:173]
	v_fma_f64 v[174:175], -v[170:171], v[172:173], 1.0
	v_fma_f64 v[172:173], v[172:173], v[174:175], v[172:173]
	v_mul_f64 v[174:175], v[176:177], v[172:173]
	v_fma_f64 v[170:171], -v[170:171], v[174:175], v[176:177]
	v_div_fmas_f64 v[170:171], v[170:171], v[172:173], v[174:175]
	v_div_fixup_f64 v[172:173], v[170:171], v[130:131], v[132:133]
	v_fma_f64 v[130:131], v[132:133], v[172:173], v[130:131]
	v_div_scale_f64 v[132:133], null, v[130:131], v[130:131], 1.0
	v_rcp_f64_e32 v[170:171], v[132:133]
	v_fma_f64 v[174:175], -v[132:133], v[170:171], 1.0
	v_fma_f64 v[170:171], v[170:171], v[174:175], v[170:171]
	v_fma_f64 v[174:175], -v[132:133], v[170:171], 1.0
	v_fma_f64 v[170:171], v[170:171], v[174:175], v[170:171]
	v_div_scale_f64 v[174:175], vcc_lo, 1.0, v[130:131], 1.0
	v_mul_f64 v[176:177], v[174:175], v[170:171]
	v_fma_f64 v[132:133], -v[132:133], v[176:177], v[174:175]
	v_div_fmas_f64 v[132:133], v[132:133], v[170:171], v[176:177]
	v_div_fixup_f64 v[170:171], v[132:133], v[130:131], 1.0
	v_mul_f64 v[172:173], v[172:173], -v[170:171]
.LBB63_97:
	s_or_b32 exec_lo, exec_lo, s1
	ds_write2_b64 v1, v[170:171], v[172:173] offset1:1
.LBB63_98:
	s_or_b32 exec_lo, exec_lo, s2
	s_waitcnt lgkmcnt(0)
	s_barrier
	buffer_gl0_inv
	ds_read2_b64 v[170:173], v1 offset1:1
	s_mov_b32 s1, exec_lo
	v_cmpx_lt_u32_e32 10, v0
	s_cbranch_execz .LBB63_100
; %bb.99:
	s_waitcnt lgkmcnt(0)
	v_mul_f64 v[130:131], v[172:173], v[88:89]
	v_mul_f64 v[88:89], v[170:171], v[88:89]
	ds_read2_b64 v[174:177], v140 offset0:22 offset1:23
	v_fma_f64 v[130:131], v[170:171], v[86:87], -v[130:131]
	v_fma_f64 v[88:89], v[172:173], v[86:87], v[88:89]
	s_waitcnt lgkmcnt(0)
	v_mul_f64 v[86:87], v[176:177], v[88:89]
	v_mul_f64 v[132:133], v[174:175], v[88:89]
	v_fma_f64 v[86:87], v[174:175], v[130:131], -v[86:87]
	v_fma_f64 v[132:133], v[176:177], v[130:131], v[132:133]
	ds_read2_b64 v[174:177], v140 offset0:24 offset1:25
	v_add_f64 v[82:83], v[82:83], -v[86:87]
	v_add_f64 v[84:85], v[84:85], -v[132:133]
	s_waitcnt lgkmcnt(0)
	v_mul_f64 v[86:87], v[176:177], v[88:89]
	v_mul_f64 v[132:133], v[174:175], v[88:89]
	v_fma_f64 v[86:87], v[174:175], v[130:131], -v[86:87]
	v_fma_f64 v[132:133], v[176:177], v[130:131], v[132:133]
	ds_read2_b64 v[174:177], v140 offset0:26 offset1:27
	v_add_f64 v[78:79], v[78:79], -v[86:87]
	v_add_f64 v[80:81], v[80:81], -v[132:133]
	;; [unrolled: 8-line block ×20, first 2 shown]
	s_waitcnt lgkmcnt(0)
	v_mul_f64 v[86:87], v[176:177], v[88:89]
	v_mul_f64 v[132:133], v[174:175], v[88:89]
	v_fma_f64 v[86:87], v[174:175], v[130:131], -v[86:87]
	v_fma_f64 v[132:133], v[176:177], v[130:131], v[132:133]
	v_add_f64 v[2:3], v[2:3], -v[86:87]
	v_add_f64 v[4:5], v[4:5], -v[132:133]
	v_mov_b32_e32 v86, v130
	v_mov_b32_e32 v87, v131
.LBB63_100:
	s_or_b32 exec_lo, exec_lo, s1
	s_mov_b32 s2, exec_lo
	s_waitcnt lgkmcnt(0)
	s_barrier
	buffer_gl0_inv
	v_cmpx_eq_u32_e32 11, v0
	s_cbranch_execz .LBB63_107
; %bb.101:
	ds_write2_b64 v1, v[82:83], v[84:85] offset1:1
	ds_write2_b64 v140, v[78:79], v[80:81] offset0:24 offset1:25
	ds_write2_b64 v140, v[74:75], v[76:77] offset0:26 offset1:27
	;; [unrolled: 1-line block ×20, first 2 shown]
	ds_read2_b64 v[130:133], v1 offset1:1
	s_waitcnt lgkmcnt(0)
	v_cmp_neq_f64_e32 vcc_lo, 0, v[130:131]
	v_cmp_neq_f64_e64 s1, 0, v[132:133]
	s_or_b32 s1, vcc_lo, s1
	s_and_b32 exec_lo, exec_lo, s1
	s_cbranch_execz .LBB63_107
; %bb.102:
	v_cmp_ngt_f64_e64 s1, |v[130:131]|, |v[132:133]|
                                        ; implicit-def: $vgpr174_vgpr175
	s_and_saveexec_b32 s3, s1
	s_xor_b32 s1, exec_lo, s3
                                        ; implicit-def: $vgpr176_vgpr177
	s_cbranch_execz .LBB63_104
; %bb.103:
	v_div_scale_f64 v[174:175], null, v[132:133], v[132:133], v[130:131]
	v_div_scale_f64 v[180:181], vcc_lo, v[130:131], v[132:133], v[130:131]
	v_rcp_f64_e32 v[176:177], v[174:175]
	v_fma_f64 v[178:179], -v[174:175], v[176:177], 1.0
	v_fma_f64 v[176:177], v[176:177], v[178:179], v[176:177]
	v_fma_f64 v[178:179], -v[174:175], v[176:177], 1.0
	v_fma_f64 v[176:177], v[176:177], v[178:179], v[176:177]
	v_mul_f64 v[178:179], v[180:181], v[176:177]
	v_fma_f64 v[174:175], -v[174:175], v[178:179], v[180:181]
	v_div_fmas_f64 v[174:175], v[174:175], v[176:177], v[178:179]
	v_div_fixup_f64 v[174:175], v[174:175], v[132:133], v[130:131]
	v_fma_f64 v[130:131], v[130:131], v[174:175], v[132:133]
	v_div_scale_f64 v[132:133], null, v[130:131], v[130:131], 1.0
	v_rcp_f64_e32 v[176:177], v[132:133]
	v_fma_f64 v[178:179], -v[132:133], v[176:177], 1.0
	v_fma_f64 v[176:177], v[176:177], v[178:179], v[176:177]
	v_fma_f64 v[178:179], -v[132:133], v[176:177], 1.0
	v_fma_f64 v[176:177], v[176:177], v[178:179], v[176:177]
	v_div_scale_f64 v[178:179], vcc_lo, 1.0, v[130:131], 1.0
	v_mul_f64 v[180:181], v[178:179], v[176:177]
	v_fma_f64 v[132:133], -v[132:133], v[180:181], v[178:179]
	v_div_fmas_f64 v[132:133], v[132:133], v[176:177], v[180:181]
	v_div_fixup_f64 v[176:177], v[132:133], v[130:131], 1.0
                                        ; implicit-def: $vgpr130_vgpr131
	v_mul_f64 v[174:175], v[174:175], v[176:177]
	v_xor_b32_e32 v177, 0x80000000, v177
.LBB63_104:
	s_andn2_saveexec_b32 s1, s1
	s_cbranch_execz .LBB63_106
; %bb.105:
	v_div_scale_f64 v[174:175], null, v[130:131], v[130:131], v[132:133]
	v_div_scale_f64 v[180:181], vcc_lo, v[132:133], v[130:131], v[132:133]
	v_rcp_f64_e32 v[176:177], v[174:175]
	v_fma_f64 v[178:179], -v[174:175], v[176:177], 1.0
	v_fma_f64 v[176:177], v[176:177], v[178:179], v[176:177]
	v_fma_f64 v[178:179], -v[174:175], v[176:177], 1.0
	v_fma_f64 v[176:177], v[176:177], v[178:179], v[176:177]
	v_mul_f64 v[178:179], v[180:181], v[176:177]
	v_fma_f64 v[174:175], -v[174:175], v[178:179], v[180:181]
	v_div_fmas_f64 v[174:175], v[174:175], v[176:177], v[178:179]
	v_div_fixup_f64 v[176:177], v[174:175], v[130:131], v[132:133]
	v_fma_f64 v[130:131], v[132:133], v[176:177], v[130:131]
	v_div_scale_f64 v[132:133], null, v[130:131], v[130:131], 1.0
	v_rcp_f64_e32 v[174:175], v[132:133]
	v_fma_f64 v[178:179], -v[132:133], v[174:175], 1.0
	v_fma_f64 v[174:175], v[174:175], v[178:179], v[174:175]
	v_fma_f64 v[178:179], -v[132:133], v[174:175], 1.0
	v_fma_f64 v[174:175], v[174:175], v[178:179], v[174:175]
	v_div_scale_f64 v[178:179], vcc_lo, 1.0, v[130:131], 1.0
	v_mul_f64 v[180:181], v[178:179], v[174:175]
	v_fma_f64 v[132:133], -v[132:133], v[180:181], v[178:179]
	v_div_fmas_f64 v[132:133], v[132:133], v[174:175], v[180:181]
	v_div_fixup_f64 v[174:175], v[132:133], v[130:131], 1.0
	v_mul_f64 v[176:177], v[176:177], -v[174:175]
.LBB63_106:
	s_or_b32 exec_lo, exec_lo, s1
	ds_write2_b64 v1, v[174:175], v[176:177] offset1:1
.LBB63_107:
	s_or_b32 exec_lo, exec_lo, s2
	s_waitcnt lgkmcnt(0)
	s_barrier
	buffer_gl0_inv
	ds_read2_b64 v[174:177], v1 offset1:1
	s_mov_b32 s1, exec_lo
	v_cmpx_lt_u32_e32 11, v0
	s_cbranch_execz .LBB63_109
; %bb.108:
	s_waitcnt lgkmcnt(0)
	v_mul_f64 v[130:131], v[176:177], v[84:85]
	v_mul_f64 v[84:85], v[174:175], v[84:85]
	ds_read2_b64 v[178:181], v140 offset0:24 offset1:25
	v_fma_f64 v[130:131], v[174:175], v[82:83], -v[130:131]
	v_fma_f64 v[84:85], v[176:177], v[82:83], v[84:85]
	s_waitcnt lgkmcnt(0)
	v_mul_f64 v[82:83], v[180:181], v[84:85]
	v_mul_f64 v[132:133], v[178:179], v[84:85]
	v_fma_f64 v[82:83], v[178:179], v[130:131], -v[82:83]
	v_fma_f64 v[132:133], v[180:181], v[130:131], v[132:133]
	ds_read2_b64 v[178:181], v140 offset0:26 offset1:27
	v_add_f64 v[78:79], v[78:79], -v[82:83]
	v_add_f64 v[80:81], v[80:81], -v[132:133]
	s_waitcnt lgkmcnt(0)
	v_mul_f64 v[82:83], v[180:181], v[84:85]
	v_mul_f64 v[132:133], v[178:179], v[84:85]
	v_fma_f64 v[82:83], v[178:179], v[130:131], -v[82:83]
	v_fma_f64 v[132:133], v[180:181], v[130:131], v[132:133]
	ds_read2_b64 v[178:181], v140 offset0:28 offset1:29
	v_add_f64 v[74:75], v[74:75], -v[82:83]
	v_add_f64 v[76:77], v[76:77], -v[132:133]
	;; [unrolled: 8-line block ×19, first 2 shown]
	s_waitcnt lgkmcnt(0)
	v_mul_f64 v[82:83], v[180:181], v[84:85]
	v_mul_f64 v[132:133], v[178:179], v[84:85]
	v_fma_f64 v[82:83], v[178:179], v[130:131], -v[82:83]
	v_fma_f64 v[132:133], v[180:181], v[130:131], v[132:133]
	v_add_f64 v[2:3], v[2:3], -v[82:83]
	v_add_f64 v[4:5], v[4:5], -v[132:133]
	v_mov_b32_e32 v82, v130
	v_mov_b32_e32 v83, v131
.LBB63_109:
	s_or_b32 exec_lo, exec_lo, s1
	s_mov_b32 s2, exec_lo
	s_waitcnt lgkmcnt(0)
	s_barrier
	buffer_gl0_inv
	v_cmpx_eq_u32_e32 12, v0
	s_cbranch_execz .LBB63_116
; %bb.110:
	ds_write2_b64 v1, v[78:79], v[80:81] offset1:1
	ds_write2_b64 v140, v[74:75], v[76:77] offset0:26 offset1:27
	ds_write2_b64 v140, v[70:71], v[72:73] offset0:28 offset1:29
	;; [unrolled: 1-line block ×19, first 2 shown]
	ds_read2_b64 v[130:133], v1 offset1:1
	s_waitcnt lgkmcnt(0)
	v_cmp_neq_f64_e32 vcc_lo, 0, v[130:131]
	v_cmp_neq_f64_e64 s1, 0, v[132:133]
	s_or_b32 s1, vcc_lo, s1
	s_and_b32 exec_lo, exec_lo, s1
	s_cbranch_execz .LBB63_116
; %bb.111:
	v_cmp_ngt_f64_e64 s1, |v[130:131]|, |v[132:133]|
                                        ; implicit-def: $vgpr178_vgpr179
	s_and_saveexec_b32 s3, s1
	s_xor_b32 s1, exec_lo, s3
                                        ; implicit-def: $vgpr180_vgpr181
	s_cbranch_execz .LBB63_113
; %bb.112:
	v_div_scale_f64 v[178:179], null, v[132:133], v[132:133], v[130:131]
	v_div_scale_f64 v[184:185], vcc_lo, v[130:131], v[132:133], v[130:131]
	v_rcp_f64_e32 v[180:181], v[178:179]
	v_fma_f64 v[182:183], -v[178:179], v[180:181], 1.0
	v_fma_f64 v[180:181], v[180:181], v[182:183], v[180:181]
	v_fma_f64 v[182:183], -v[178:179], v[180:181], 1.0
	v_fma_f64 v[180:181], v[180:181], v[182:183], v[180:181]
	v_mul_f64 v[182:183], v[184:185], v[180:181]
	v_fma_f64 v[178:179], -v[178:179], v[182:183], v[184:185]
	v_div_fmas_f64 v[178:179], v[178:179], v[180:181], v[182:183]
	v_div_fixup_f64 v[178:179], v[178:179], v[132:133], v[130:131]
	v_fma_f64 v[130:131], v[130:131], v[178:179], v[132:133]
	v_div_scale_f64 v[132:133], null, v[130:131], v[130:131], 1.0
	v_rcp_f64_e32 v[180:181], v[132:133]
	v_fma_f64 v[182:183], -v[132:133], v[180:181], 1.0
	v_fma_f64 v[180:181], v[180:181], v[182:183], v[180:181]
	v_fma_f64 v[182:183], -v[132:133], v[180:181], 1.0
	v_fma_f64 v[180:181], v[180:181], v[182:183], v[180:181]
	v_div_scale_f64 v[182:183], vcc_lo, 1.0, v[130:131], 1.0
	v_mul_f64 v[184:185], v[182:183], v[180:181]
	v_fma_f64 v[132:133], -v[132:133], v[184:185], v[182:183]
	v_div_fmas_f64 v[132:133], v[132:133], v[180:181], v[184:185]
	v_div_fixup_f64 v[180:181], v[132:133], v[130:131], 1.0
                                        ; implicit-def: $vgpr130_vgpr131
	v_mul_f64 v[178:179], v[178:179], v[180:181]
	v_xor_b32_e32 v181, 0x80000000, v181
.LBB63_113:
	s_andn2_saveexec_b32 s1, s1
	s_cbranch_execz .LBB63_115
; %bb.114:
	v_div_scale_f64 v[178:179], null, v[130:131], v[130:131], v[132:133]
	v_div_scale_f64 v[184:185], vcc_lo, v[132:133], v[130:131], v[132:133]
	v_rcp_f64_e32 v[180:181], v[178:179]
	v_fma_f64 v[182:183], -v[178:179], v[180:181], 1.0
	v_fma_f64 v[180:181], v[180:181], v[182:183], v[180:181]
	v_fma_f64 v[182:183], -v[178:179], v[180:181], 1.0
	v_fma_f64 v[180:181], v[180:181], v[182:183], v[180:181]
	v_mul_f64 v[182:183], v[184:185], v[180:181]
	v_fma_f64 v[178:179], -v[178:179], v[182:183], v[184:185]
	v_div_fmas_f64 v[178:179], v[178:179], v[180:181], v[182:183]
	v_div_fixup_f64 v[180:181], v[178:179], v[130:131], v[132:133]
	v_fma_f64 v[130:131], v[132:133], v[180:181], v[130:131]
	v_div_scale_f64 v[132:133], null, v[130:131], v[130:131], 1.0
	v_rcp_f64_e32 v[178:179], v[132:133]
	v_fma_f64 v[182:183], -v[132:133], v[178:179], 1.0
	v_fma_f64 v[178:179], v[178:179], v[182:183], v[178:179]
	v_fma_f64 v[182:183], -v[132:133], v[178:179], 1.0
	v_fma_f64 v[178:179], v[178:179], v[182:183], v[178:179]
	v_div_scale_f64 v[182:183], vcc_lo, 1.0, v[130:131], 1.0
	v_mul_f64 v[184:185], v[182:183], v[178:179]
	v_fma_f64 v[132:133], -v[132:133], v[184:185], v[182:183]
	v_div_fmas_f64 v[132:133], v[132:133], v[178:179], v[184:185]
	v_div_fixup_f64 v[178:179], v[132:133], v[130:131], 1.0
	v_mul_f64 v[180:181], v[180:181], -v[178:179]
.LBB63_115:
	s_or_b32 exec_lo, exec_lo, s1
	ds_write2_b64 v1, v[178:179], v[180:181] offset1:1
.LBB63_116:
	s_or_b32 exec_lo, exec_lo, s2
	s_waitcnt lgkmcnt(0)
	s_barrier
	buffer_gl0_inv
	ds_read2_b64 v[178:181], v1 offset1:1
	s_mov_b32 s1, exec_lo
	v_cmpx_lt_u32_e32 12, v0
	s_cbranch_execz .LBB63_118
; %bb.117:
	s_waitcnt lgkmcnt(0)
	v_mul_f64 v[130:131], v[180:181], v[80:81]
	v_mul_f64 v[80:81], v[178:179], v[80:81]
	ds_read2_b64 v[182:185], v140 offset0:26 offset1:27
	v_fma_f64 v[130:131], v[178:179], v[78:79], -v[130:131]
	v_fma_f64 v[80:81], v[180:181], v[78:79], v[80:81]
	s_waitcnt lgkmcnt(0)
	v_mul_f64 v[78:79], v[184:185], v[80:81]
	v_mul_f64 v[132:133], v[182:183], v[80:81]
	v_fma_f64 v[78:79], v[182:183], v[130:131], -v[78:79]
	v_fma_f64 v[132:133], v[184:185], v[130:131], v[132:133]
	ds_read2_b64 v[182:185], v140 offset0:28 offset1:29
	v_add_f64 v[74:75], v[74:75], -v[78:79]
	v_add_f64 v[76:77], v[76:77], -v[132:133]
	s_waitcnt lgkmcnt(0)
	v_mul_f64 v[78:79], v[184:185], v[80:81]
	v_mul_f64 v[132:133], v[182:183], v[80:81]
	v_fma_f64 v[78:79], v[182:183], v[130:131], -v[78:79]
	v_fma_f64 v[132:133], v[184:185], v[130:131], v[132:133]
	ds_read2_b64 v[182:185], v140 offset0:30 offset1:31
	v_add_f64 v[70:71], v[70:71], -v[78:79]
	v_add_f64 v[72:73], v[72:73], -v[132:133]
	;; [unrolled: 8-line block ×18, first 2 shown]
	s_waitcnt lgkmcnt(0)
	v_mul_f64 v[78:79], v[184:185], v[80:81]
	v_mul_f64 v[132:133], v[182:183], v[80:81]
	v_fma_f64 v[78:79], v[182:183], v[130:131], -v[78:79]
	v_fma_f64 v[132:133], v[184:185], v[130:131], v[132:133]
	v_add_f64 v[2:3], v[2:3], -v[78:79]
	v_add_f64 v[4:5], v[4:5], -v[132:133]
	v_mov_b32_e32 v78, v130
	v_mov_b32_e32 v79, v131
.LBB63_118:
	s_or_b32 exec_lo, exec_lo, s1
	s_mov_b32 s2, exec_lo
	s_waitcnt lgkmcnt(0)
	s_barrier
	buffer_gl0_inv
	v_cmpx_eq_u32_e32 13, v0
	s_cbranch_execz .LBB63_125
; %bb.119:
	ds_write2_b64 v1, v[74:75], v[76:77] offset1:1
	ds_write2_b64 v140, v[70:71], v[72:73] offset0:28 offset1:29
	ds_write2_b64 v140, v[66:67], v[68:69] offset0:30 offset1:31
	;; [unrolled: 1-line block ×18, first 2 shown]
	ds_read2_b64 v[130:133], v1 offset1:1
	s_waitcnt lgkmcnt(0)
	v_cmp_neq_f64_e32 vcc_lo, 0, v[130:131]
	v_cmp_neq_f64_e64 s1, 0, v[132:133]
	s_or_b32 s1, vcc_lo, s1
	s_and_b32 exec_lo, exec_lo, s1
	s_cbranch_execz .LBB63_125
; %bb.120:
	v_cmp_ngt_f64_e64 s1, |v[130:131]|, |v[132:133]|
                                        ; implicit-def: $vgpr182_vgpr183
	s_and_saveexec_b32 s3, s1
	s_xor_b32 s1, exec_lo, s3
                                        ; implicit-def: $vgpr184_vgpr185
	s_cbranch_execz .LBB63_122
; %bb.121:
	v_div_scale_f64 v[182:183], null, v[132:133], v[132:133], v[130:131]
	v_div_scale_f64 v[188:189], vcc_lo, v[130:131], v[132:133], v[130:131]
	v_rcp_f64_e32 v[184:185], v[182:183]
	v_fma_f64 v[186:187], -v[182:183], v[184:185], 1.0
	v_fma_f64 v[184:185], v[184:185], v[186:187], v[184:185]
	v_fma_f64 v[186:187], -v[182:183], v[184:185], 1.0
	v_fma_f64 v[184:185], v[184:185], v[186:187], v[184:185]
	v_mul_f64 v[186:187], v[188:189], v[184:185]
	v_fma_f64 v[182:183], -v[182:183], v[186:187], v[188:189]
	v_div_fmas_f64 v[182:183], v[182:183], v[184:185], v[186:187]
	v_div_fixup_f64 v[182:183], v[182:183], v[132:133], v[130:131]
	v_fma_f64 v[130:131], v[130:131], v[182:183], v[132:133]
	v_div_scale_f64 v[132:133], null, v[130:131], v[130:131], 1.0
	v_rcp_f64_e32 v[184:185], v[132:133]
	v_fma_f64 v[186:187], -v[132:133], v[184:185], 1.0
	v_fma_f64 v[184:185], v[184:185], v[186:187], v[184:185]
	v_fma_f64 v[186:187], -v[132:133], v[184:185], 1.0
	v_fma_f64 v[184:185], v[184:185], v[186:187], v[184:185]
	v_div_scale_f64 v[186:187], vcc_lo, 1.0, v[130:131], 1.0
	v_mul_f64 v[188:189], v[186:187], v[184:185]
	v_fma_f64 v[132:133], -v[132:133], v[188:189], v[186:187]
	v_div_fmas_f64 v[132:133], v[132:133], v[184:185], v[188:189]
	v_div_fixup_f64 v[184:185], v[132:133], v[130:131], 1.0
                                        ; implicit-def: $vgpr130_vgpr131
	v_mul_f64 v[182:183], v[182:183], v[184:185]
	v_xor_b32_e32 v185, 0x80000000, v185
.LBB63_122:
	s_andn2_saveexec_b32 s1, s1
	s_cbranch_execz .LBB63_124
; %bb.123:
	v_div_scale_f64 v[182:183], null, v[130:131], v[130:131], v[132:133]
	v_div_scale_f64 v[188:189], vcc_lo, v[132:133], v[130:131], v[132:133]
	v_rcp_f64_e32 v[184:185], v[182:183]
	v_fma_f64 v[186:187], -v[182:183], v[184:185], 1.0
	v_fma_f64 v[184:185], v[184:185], v[186:187], v[184:185]
	v_fma_f64 v[186:187], -v[182:183], v[184:185], 1.0
	v_fma_f64 v[184:185], v[184:185], v[186:187], v[184:185]
	v_mul_f64 v[186:187], v[188:189], v[184:185]
	v_fma_f64 v[182:183], -v[182:183], v[186:187], v[188:189]
	v_div_fmas_f64 v[182:183], v[182:183], v[184:185], v[186:187]
	v_div_fixup_f64 v[184:185], v[182:183], v[130:131], v[132:133]
	v_fma_f64 v[130:131], v[132:133], v[184:185], v[130:131]
	v_div_scale_f64 v[132:133], null, v[130:131], v[130:131], 1.0
	v_rcp_f64_e32 v[182:183], v[132:133]
	v_fma_f64 v[186:187], -v[132:133], v[182:183], 1.0
	v_fma_f64 v[182:183], v[182:183], v[186:187], v[182:183]
	v_fma_f64 v[186:187], -v[132:133], v[182:183], 1.0
	v_fma_f64 v[182:183], v[182:183], v[186:187], v[182:183]
	v_div_scale_f64 v[186:187], vcc_lo, 1.0, v[130:131], 1.0
	v_mul_f64 v[188:189], v[186:187], v[182:183]
	v_fma_f64 v[132:133], -v[132:133], v[188:189], v[186:187]
	v_div_fmas_f64 v[132:133], v[132:133], v[182:183], v[188:189]
	v_div_fixup_f64 v[182:183], v[132:133], v[130:131], 1.0
	v_mul_f64 v[184:185], v[184:185], -v[182:183]
.LBB63_124:
	s_or_b32 exec_lo, exec_lo, s1
	ds_write2_b64 v1, v[182:183], v[184:185] offset1:1
.LBB63_125:
	s_or_b32 exec_lo, exec_lo, s2
	s_waitcnt lgkmcnt(0)
	s_barrier
	buffer_gl0_inv
	ds_read2_b64 v[182:185], v1 offset1:1
	s_mov_b32 s1, exec_lo
	v_cmpx_lt_u32_e32 13, v0
	s_cbranch_execz .LBB63_127
; %bb.126:
	s_waitcnt lgkmcnt(0)
	v_mul_f64 v[130:131], v[184:185], v[76:77]
	v_mul_f64 v[76:77], v[182:183], v[76:77]
	ds_read2_b64 v[186:189], v140 offset0:28 offset1:29
	v_fma_f64 v[130:131], v[182:183], v[74:75], -v[130:131]
	v_fma_f64 v[76:77], v[184:185], v[74:75], v[76:77]
	s_waitcnt lgkmcnt(0)
	v_mul_f64 v[74:75], v[188:189], v[76:77]
	v_mul_f64 v[132:133], v[186:187], v[76:77]
	v_fma_f64 v[74:75], v[186:187], v[130:131], -v[74:75]
	v_fma_f64 v[132:133], v[188:189], v[130:131], v[132:133]
	ds_read2_b64 v[186:189], v140 offset0:30 offset1:31
	v_add_f64 v[70:71], v[70:71], -v[74:75]
	v_add_f64 v[72:73], v[72:73], -v[132:133]
	s_waitcnt lgkmcnt(0)
	v_mul_f64 v[74:75], v[188:189], v[76:77]
	v_mul_f64 v[132:133], v[186:187], v[76:77]
	v_fma_f64 v[74:75], v[186:187], v[130:131], -v[74:75]
	v_fma_f64 v[132:133], v[188:189], v[130:131], v[132:133]
	ds_read2_b64 v[186:189], v140 offset0:32 offset1:33
	v_add_f64 v[66:67], v[66:67], -v[74:75]
	v_add_f64 v[68:69], v[68:69], -v[132:133]
	;; [unrolled: 8-line block ×17, first 2 shown]
	s_waitcnt lgkmcnt(0)
	v_mul_f64 v[74:75], v[188:189], v[76:77]
	v_mul_f64 v[132:133], v[186:187], v[76:77]
	v_fma_f64 v[74:75], v[186:187], v[130:131], -v[74:75]
	v_fma_f64 v[132:133], v[188:189], v[130:131], v[132:133]
	v_add_f64 v[2:3], v[2:3], -v[74:75]
	v_add_f64 v[4:5], v[4:5], -v[132:133]
	v_mov_b32_e32 v74, v130
	v_mov_b32_e32 v75, v131
.LBB63_127:
	s_or_b32 exec_lo, exec_lo, s1
	s_mov_b32 s2, exec_lo
	s_waitcnt lgkmcnt(0)
	s_barrier
	buffer_gl0_inv
	v_cmpx_eq_u32_e32 14, v0
	s_cbranch_execz .LBB63_134
; %bb.128:
	ds_write2_b64 v1, v[70:71], v[72:73] offset1:1
	ds_write2_b64 v140, v[66:67], v[68:69] offset0:30 offset1:31
	ds_write2_b64 v140, v[62:63], v[64:65] offset0:32 offset1:33
	;; [unrolled: 1-line block ×17, first 2 shown]
	ds_read2_b64 v[130:133], v1 offset1:1
	s_waitcnt lgkmcnt(0)
	v_cmp_neq_f64_e32 vcc_lo, 0, v[130:131]
	v_cmp_neq_f64_e64 s1, 0, v[132:133]
	s_or_b32 s1, vcc_lo, s1
	s_and_b32 exec_lo, exec_lo, s1
	s_cbranch_execz .LBB63_134
; %bb.129:
	v_cmp_ngt_f64_e64 s1, |v[130:131]|, |v[132:133]|
                                        ; implicit-def: $vgpr186_vgpr187
	s_and_saveexec_b32 s3, s1
	s_xor_b32 s1, exec_lo, s3
                                        ; implicit-def: $vgpr188_vgpr189
	s_cbranch_execz .LBB63_131
; %bb.130:
	v_div_scale_f64 v[186:187], null, v[132:133], v[132:133], v[130:131]
	v_div_scale_f64 v[192:193], vcc_lo, v[130:131], v[132:133], v[130:131]
	v_rcp_f64_e32 v[188:189], v[186:187]
	v_fma_f64 v[190:191], -v[186:187], v[188:189], 1.0
	v_fma_f64 v[188:189], v[188:189], v[190:191], v[188:189]
	v_fma_f64 v[190:191], -v[186:187], v[188:189], 1.0
	v_fma_f64 v[188:189], v[188:189], v[190:191], v[188:189]
	v_mul_f64 v[190:191], v[192:193], v[188:189]
	v_fma_f64 v[186:187], -v[186:187], v[190:191], v[192:193]
	v_div_fmas_f64 v[186:187], v[186:187], v[188:189], v[190:191]
	v_div_fixup_f64 v[186:187], v[186:187], v[132:133], v[130:131]
	v_fma_f64 v[130:131], v[130:131], v[186:187], v[132:133]
	v_div_scale_f64 v[132:133], null, v[130:131], v[130:131], 1.0
	v_rcp_f64_e32 v[188:189], v[132:133]
	v_fma_f64 v[190:191], -v[132:133], v[188:189], 1.0
	v_fma_f64 v[188:189], v[188:189], v[190:191], v[188:189]
	v_fma_f64 v[190:191], -v[132:133], v[188:189], 1.0
	v_fma_f64 v[188:189], v[188:189], v[190:191], v[188:189]
	v_div_scale_f64 v[190:191], vcc_lo, 1.0, v[130:131], 1.0
	v_mul_f64 v[192:193], v[190:191], v[188:189]
	v_fma_f64 v[132:133], -v[132:133], v[192:193], v[190:191]
	v_div_fmas_f64 v[132:133], v[132:133], v[188:189], v[192:193]
	v_div_fixup_f64 v[188:189], v[132:133], v[130:131], 1.0
                                        ; implicit-def: $vgpr130_vgpr131
	v_mul_f64 v[186:187], v[186:187], v[188:189]
	v_xor_b32_e32 v189, 0x80000000, v189
.LBB63_131:
	s_andn2_saveexec_b32 s1, s1
	s_cbranch_execz .LBB63_133
; %bb.132:
	v_div_scale_f64 v[186:187], null, v[130:131], v[130:131], v[132:133]
	v_div_scale_f64 v[192:193], vcc_lo, v[132:133], v[130:131], v[132:133]
	v_rcp_f64_e32 v[188:189], v[186:187]
	v_fma_f64 v[190:191], -v[186:187], v[188:189], 1.0
	v_fma_f64 v[188:189], v[188:189], v[190:191], v[188:189]
	v_fma_f64 v[190:191], -v[186:187], v[188:189], 1.0
	v_fma_f64 v[188:189], v[188:189], v[190:191], v[188:189]
	v_mul_f64 v[190:191], v[192:193], v[188:189]
	v_fma_f64 v[186:187], -v[186:187], v[190:191], v[192:193]
	v_div_fmas_f64 v[186:187], v[186:187], v[188:189], v[190:191]
	v_div_fixup_f64 v[188:189], v[186:187], v[130:131], v[132:133]
	v_fma_f64 v[130:131], v[132:133], v[188:189], v[130:131]
	v_div_scale_f64 v[132:133], null, v[130:131], v[130:131], 1.0
	v_rcp_f64_e32 v[186:187], v[132:133]
	v_fma_f64 v[190:191], -v[132:133], v[186:187], 1.0
	v_fma_f64 v[186:187], v[186:187], v[190:191], v[186:187]
	v_fma_f64 v[190:191], -v[132:133], v[186:187], 1.0
	v_fma_f64 v[186:187], v[186:187], v[190:191], v[186:187]
	v_div_scale_f64 v[190:191], vcc_lo, 1.0, v[130:131], 1.0
	v_mul_f64 v[192:193], v[190:191], v[186:187]
	v_fma_f64 v[132:133], -v[132:133], v[192:193], v[190:191]
	v_div_fmas_f64 v[132:133], v[132:133], v[186:187], v[192:193]
	v_div_fixup_f64 v[186:187], v[132:133], v[130:131], 1.0
	v_mul_f64 v[188:189], v[188:189], -v[186:187]
.LBB63_133:
	s_or_b32 exec_lo, exec_lo, s1
	ds_write2_b64 v1, v[186:187], v[188:189] offset1:1
.LBB63_134:
	s_or_b32 exec_lo, exec_lo, s2
	s_waitcnt lgkmcnt(0)
	s_barrier
	buffer_gl0_inv
	ds_read2_b64 v[186:189], v1 offset1:1
	s_mov_b32 s1, exec_lo
	v_cmpx_lt_u32_e32 14, v0
	s_cbranch_execz .LBB63_136
; %bb.135:
	s_waitcnt lgkmcnt(0)
	v_mul_f64 v[130:131], v[188:189], v[72:73]
	v_mul_f64 v[72:73], v[186:187], v[72:73]
	ds_read2_b64 v[190:193], v140 offset0:30 offset1:31
	v_fma_f64 v[130:131], v[186:187], v[70:71], -v[130:131]
	v_fma_f64 v[72:73], v[188:189], v[70:71], v[72:73]
	s_waitcnt lgkmcnt(0)
	v_mul_f64 v[70:71], v[192:193], v[72:73]
	v_mul_f64 v[132:133], v[190:191], v[72:73]
	v_fma_f64 v[70:71], v[190:191], v[130:131], -v[70:71]
	v_fma_f64 v[132:133], v[192:193], v[130:131], v[132:133]
	ds_read2_b64 v[190:193], v140 offset0:32 offset1:33
	v_add_f64 v[66:67], v[66:67], -v[70:71]
	v_add_f64 v[68:69], v[68:69], -v[132:133]
	s_waitcnt lgkmcnt(0)
	v_mul_f64 v[70:71], v[192:193], v[72:73]
	v_mul_f64 v[132:133], v[190:191], v[72:73]
	v_fma_f64 v[70:71], v[190:191], v[130:131], -v[70:71]
	v_fma_f64 v[132:133], v[192:193], v[130:131], v[132:133]
	ds_read2_b64 v[190:193], v140 offset0:34 offset1:35
	v_add_f64 v[62:63], v[62:63], -v[70:71]
	v_add_f64 v[64:65], v[64:65], -v[132:133]
	;; [unrolled: 8-line block ×16, first 2 shown]
	s_waitcnt lgkmcnt(0)
	v_mul_f64 v[70:71], v[192:193], v[72:73]
	v_mul_f64 v[132:133], v[190:191], v[72:73]
	v_fma_f64 v[70:71], v[190:191], v[130:131], -v[70:71]
	v_fma_f64 v[132:133], v[192:193], v[130:131], v[132:133]
	v_add_f64 v[2:3], v[2:3], -v[70:71]
	v_add_f64 v[4:5], v[4:5], -v[132:133]
	v_mov_b32_e32 v70, v130
	v_mov_b32_e32 v71, v131
.LBB63_136:
	s_or_b32 exec_lo, exec_lo, s1
	s_mov_b32 s2, exec_lo
	s_waitcnt lgkmcnt(0)
	s_barrier
	buffer_gl0_inv
	v_cmpx_eq_u32_e32 15, v0
	s_cbranch_execz .LBB63_143
; %bb.137:
	ds_write2_b64 v1, v[66:67], v[68:69] offset1:1
	ds_write2_b64 v140, v[62:63], v[64:65] offset0:32 offset1:33
	ds_write2_b64 v140, v[58:59], v[60:61] offset0:34 offset1:35
	;; [unrolled: 1-line block ×16, first 2 shown]
	ds_read2_b64 v[130:133], v1 offset1:1
	s_waitcnt lgkmcnt(0)
	v_cmp_neq_f64_e32 vcc_lo, 0, v[130:131]
	v_cmp_neq_f64_e64 s1, 0, v[132:133]
	s_or_b32 s1, vcc_lo, s1
	s_and_b32 exec_lo, exec_lo, s1
	s_cbranch_execz .LBB63_143
; %bb.138:
	v_cmp_ngt_f64_e64 s1, |v[130:131]|, |v[132:133]|
                                        ; implicit-def: $vgpr190_vgpr191
	s_and_saveexec_b32 s3, s1
	s_xor_b32 s1, exec_lo, s3
                                        ; implicit-def: $vgpr192_vgpr193
	s_cbranch_execz .LBB63_140
; %bb.139:
	v_div_scale_f64 v[190:191], null, v[132:133], v[132:133], v[130:131]
	v_div_scale_f64 v[196:197], vcc_lo, v[130:131], v[132:133], v[130:131]
	v_rcp_f64_e32 v[192:193], v[190:191]
	v_fma_f64 v[194:195], -v[190:191], v[192:193], 1.0
	v_fma_f64 v[192:193], v[192:193], v[194:195], v[192:193]
	v_fma_f64 v[194:195], -v[190:191], v[192:193], 1.0
	v_fma_f64 v[192:193], v[192:193], v[194:195], v[192:193]
	v_mul_f64 v[194:195], v[196:197], v[192:193]
	v_fma_f64 v[190:191], -v[190:191], v[194:195], v[196:197]
	v_div_fmas_f64 v[190:191], v[190:191], v[192:193], v[194:195]
	v_div_fixup_f64 v[190:191], v[190:191], v[132:133], v[130:131]
	v_fma_f64 v[130:131], v[130:131], v[190:191], v[132:133]
	v_div_scale_f64 v[132:133], null, v[130:131], v[130:131], 1.0
	v_rcp_f64_e32 v[192:193], v[132:133]
	v_fma_f64 v[194:195], -v[132:133], v[192:193], 1.0
	v_fma_f64 v[192:193], v[192:193], v[194:195], v[192:193]
	v_fma_f64 v[194:195], -v[132:133], v[192:193], 1.0
	v_fma_f64 v[192:193], v[192:193], v[194:195], v[192:193]
	v_div_scale_f64 v[194:195], vcc_lo, 1.0, v[130:131], 1.0
	v_mul_f64 v[196:197], v[194:195], v[192:193]
	v_fma_f64 v[132:133], -v[132:133], v[196:197], v[194:195]
	v_div_fmas_f64 v[132:133], v[132:133], v[192:193], v[196:197]
	v_div_fixup_f64 v[192:193], v[132:133], v[130:131], 1.0
                                        ; implicit-def: $vgpr130_vgpr131
	v_mul_f64 v[190:191], v[190:191], v[192:193]
	v_xor_b32_e32 v193, 0x80000000, v193
.LBB63_140:
	s_andn2_saveexec_b32 s1, s1
	s_cbranch_execz .LBB63_142
; %bb.141:
	v_div_scale_f64 v[190:191], null, v[130:131], v[130:131], v[132:133]
	v_div_scale_f64 v[196:197], vcc_lo, v[132:133], v[130:131], v[132:133]
	v_rcp_f64_e32 v[192:193], v[190:191]
	v_fma_f64 v[194:195], -v[190:191], v[192:193], 1.0
	v_fma_f64 v[192:193], v[192:193], v[194:195], v[192:193]
	v_fma_f64 v[194:195], -v[190:191], v[192:193], 1.0
	v_fma_f64 v[192:193], v[192:193], v[194:195], v[192:193]
	v_mul_f64 v[194:195], v[196:197], v[192:193]
	v_fma_f64 v[190:191], -v[190:191], v[194:195], v[196:197]
	v_div_fmas_f64 v[190:191], v[190:191], v[192:193], v[194:195]
	v_div_fixup_f64 v[192:193], v[190:191], v[130:131], v[132:133]
	v_fma_f64 v[130:131], v[132:133], v[192:193], v[130:131]
	v_div_scale_f64 v[132:133], null, v[130:131], v[130:131], 1.0
	v_rcp_f64_e32 v[190:191], v[132:133]
	v_fma_f64 v[194:195], -v[132:133], v[190:191], 1.0
	v_fma_f64 v[190:191], v[190:191], v[194:195], v[190:191]
	v_fma_f64 v[194:195], -v[132:133], v[190:191], 1.0
	v_fma_f64 v[190:191], v[190:191], v[194:195], v[190:191]
	v_div_scale_f64 v[194:195], vcc_lo, 1.0, v[130:131], 1.0
	v_mul_f64 v[196:197], v[194:195], v[190:191]
	v_fma_f64 v[132:133], -v[132:133], v[196:197], v[194:195]
	v_div_fmas_f64 v[132:133], v[132:133], v[190:191], v[196:197]
	v_div_fixup_f64 v[190:191], v[132:133], v[130:131], 1.0
	v_mul_f64 v[192:193], v[192:193], -v[190:191]
.LBB63_142:
	s_or_b32 exec_lo, exec_lo, s1
	ds_write2_b64 v1, v[190:191], v[192:193] offset1:1
.LBB63_143:
	s_or_b32 exec_lo, exec_lo, s2
	s_waitcnt lgkmcnt(0)
	s_barrier
	buffer_gl0_inv
	ds_read2_b64 v[190:193], v1 offset1:1
	s_mov_b32 s1, exec_lo
	v_cmpx_lt_u32_e32 15, v0
	s_cbranch_execz .LBB63_145
; %bb.144:
	s_waitcnt lgkmcnt(0)
	v_mul_f64 v[130:131], v[190:191], v[68:69]
	v_mul_f64 v[68:69], v[192:193], v[68:69]
	ds_read2_b64 v[194:197], v140 offset0:32 offset1:33
	v_fma_f64 v[130:131], v[192:193], v[66:67], v[130:131]
	v_fma_f64 v[66:67], v[190:191], v[66:67], -v[68:69]
	s_waitcnt lgkmcnt(0)
	v_mul_f64 v[68:69], v[196:197], v[130:131]
	v_mul_f64 v[132:133], v[194:195], v[130:131]
	v_fma_f64 v[68:69], v[194:195], v[66:67], -v[68:69]
	v_fma_f64 v[132:133], v[196:197], v[66:67], v[132:133]
	ds_read2_b64 v[194:197], v140 offset0:34 offset1:35
	v_add_f64 v[62:63], v[62:63], -v[68:69]
	v_add_f64 v[64:65], v[64:65], -v[132:133]
	s_waitcnt lgkmcnt(0)
	v_mul_f64 v[68:69], v[196:197], v[130:131]
	v_mul_f64 v[132:133], v[194:195], v[130:131]
	v_fma_f64 v[68:69], v[194:195], v[66:67], -v[68:69]
	v_fma_f64 v[132:133], v[196:197], v[66:67], v[132:133]
	ds_read2_b64 v[194:197], v140 offset0:36 offset1:37
	v_add_f64 v[58:59], v[58:59], -v[68:69]
	v_add_f64 v[60:61], v[60:61], -v[132:133]
	;; [unrolled: 8-line block ×15, first 2 shown]
	s_waitcnt lgkmcnt(0)
	v_mul_f64 v[68:69], v[196:197], v[130:131]
	v_mul_f64 v[132:133], v[194:195], v[130:131]
	v_fma_f64 v[68:69], v[194:195], v[66:67], -v[68:69]
	v_fma_f64 v[132:133], v[196:197], v[66:67], v[132:133]
	v_add_f64 v[2:3], v[2:3], -v[68:69]
	v_add_f64 v[4:5], v[4:5], -v[132:133]
	v_mov_b32_e32 v68, v130
	v_mov_b32_e32 v69, v131
.LBB63_145:
	s_or_b32 exec_lo, exec_lo, s1
	s_mov_b32 s2, exec_lo
	s_waitcnt lgkmcnt(0)
	s_barrier
	buffer_gl0_inv
	v_cmpx_eq_u32_e32 16, v0
	s_cbranch_execz .LBB63_152
; %bb.146:
	ds_write2_b64 v1, v[62:63], v[64:65] offset1:1
	ds_write2_b64 v140, v[58:59], v[60:61] offset0:34 offset1:35
	ds_write2_b64 v140, v[54:55], v[56:57] offset0:36 offset1:37
	;; [unrolled: 1-line block ×15, first 2 shown]
	ds_read2_b64 v[130:133], v1 offset1:1
	s_waitcnt lgkmcnt(0)
	v_cmp_neq_f64_e32 vcc_lo, 0, v[130:131]
	v_cmp_neq_f64_e64 s1, 0, v[132:133]
	s_or_b32 s1, vcc_lo, s1
	s_and_b32 exec_lo, exec_lo, s1
	s_cbranch_execz .LBB63_152
; %bb.147:
	v_cmp_ngt_f64_e64 s1, |v[130:131]|, |v[132:133]|
                                        ; implicit-def: $vgpr194_vgpr195
	s_and_saveexec_b32 s3, s1
	s_xor_b32 s1, exec_lo, s3
                                        ; implicit-def: $vgpr196_vgpr197
	s_cbranch_execz .LBB63_149
; %bb.148:
	v_div_scale_f64 v[194:195], null, v[132:133], v[132:133], v[130:131]
	v_div_scale_f64 v[200:201], vcc_lo, v[130:131], v[132:133], v[130:131]
	v_rcp_f64_e32 v[196:197], v[194:195]
	v_fma_f64 v[198:199], -v[194:195], v[196:197], 1.0
	v_fma_f64 v[196:197], v[196:197], v[198:199], v[196:197]
	v_fma_f64 v[198:199], -v[194:195], v[196:197], 1.0
	v_fma_f64 v[196:197], v[196:197], v[198:199], v[196:197]
	v_mul_f64 v[198:199], v[200:201], v[196:197]
	v_fma_f64 v[194:195], -v[194:195], v[198:199], v[200:201]
	v_div_fmas_f64 v[194:195], v[194:195], v[196:197], v[198:199]
	v_div_fixup_f64 v[194:195], v[194:195], v[132:133], v[130:131]
	v_fma_f64 v[130:131], v[130:131], v[194:195], v[132:133]
	v_div_scale_f64 v[132:133], null, v[130:131], v[130:131], 1.0
	v_rcp_f64_e32 v[196:197], v[132:133]
	v_fma_f64 v[198:199], -v[132:133], v[196:197], 1.0
	v_fma_f64 v[196:197], v[196:197], v[198:199], v[196:197]
	v_fma_f64 v[198:199], -v[132:133], v[196:197], 1.0
	v_fma_f64 v[196:197], v[196:197], v[198:199], v[196:197]
	v_div_scale_f64 v[198:199], vcc_lo, 1.0, v[130:131], 1.0
	v_mul_f64 v[200:201], v[198:199], v[196:197]
	v_fma_f64 v[132:133], -v[132:133], v[200:201], v[198:199]
	v_div_fmas_f64 v[132:133], v[132:133], v[196:197], v[200:201]
	v_div_fixup_f64 v[196:197], v[132:133], v[130:131], 1.0
                                        ; implicit-def: $vgpr130_vgpr131
	v_mul_f64 v[194:195], v[194:195], v[196:197]
	v_xor_b32_e32 v197, 0x80000000, v197
.LBB63_149:
	s_andn2_saveexec_b32 s1, s1
	s_cbranch_execz .LBB63_151
; %bb.150:
	v_div_scale_f64 v[194:195], null, v[130:131], v[130:131], v[132:133]
	v_div_scale_f64 v[200:201], vcc_lo, v[132:133], v[130:131], v[132:133]
	v_rcp_f64_e32 v[196:197], v[194:195]
	v_fma_f64 v[198:199], -v[194:195], v[196:197], 1.0
	v_fma_f64 v[196:197], v[196:197], v[198:199], v[196:197]
	v_fma_f64 v[198:199], -v[194:195], v[196:197], 1.0
	v_fma_f64 v[196:197], v[196:197], v[198:199], v[196:197]
	v_mul_f64 v[198:199], v[200:201], v[196:197]
	v_fma_f64 v[194:195], -v[194:195], v[198:199], v[200:201]
	v_div_fmas_f64 v[194:195], v[194:195], v[196:197], v[198:199]
	v_div_fixup_f64 v[196:197], v[194:195], v[130:131], v[132:133]
	v_fma_f64 v[130:131], v[132:133], v[196:197], v[130:131]
	v_div_scale_f64 v[132:133], null, v[130:131], v[130:131], 1.0
	v_rcp_f64_e32 v[194:195], v[132:133]
	v_fma_f64 v[198:199], -v[132:133], v[194:195], 1.0
	v_fma_f64 v[194:195], v[194:195], v[198:199], v[194:195]
	v_fma_f64 v[198:199], -v[132:133], v[194:195], 1.0
	v_fma_f64 v[194:195], v[194:195], v[198:199], v[194:195]
	v_div_scale_f64 v[198:199], vcc_lo, 1.0, v[130:131], 1.0
	v_mul_f64 v[200:201], v[198:199], v[194:195]
	v_fma_f64 v[132:133], -v[132:133], v[200:201], v[198:199]
	v_div_fmas_f64 v[132:133], v[132:133], v[194:195], v[200:201]
	v_div_fixup_f64 v[194:195], v[132:133], v[130:131], 1.0
	v_mul_f64 v[196:197], v[196:197], -v[194:195]
.LBB63_151:
	s_or_b32 exec_lo, exec_lo, s1
	ds_write2_b64 v1, v[194:195], v[196:197] offset1:1
.LBB63_152:
	s_or_b32 exec_lo, exec_lo, s2
	s_waitcnt lgkmcnt(0)
	s_barrier
	buffer_gl0_inv
	ds_read2_b64 v[194:197], v1 offset1:1
	s_mov_b32 s1, exec_lo
	v_cmpx_lt_u32_e32 16, v0
	s_cbranch_execz .LBB63_154
; %bb.153:
	s_waitcnt lgkmcnt(0)
	v_mul_f64 v[130:131], v[194:195], v[64:65]
	v_mul_f64 v[64:65], v[196:197], v[64:65]
	ds_read2_b64 v[198:201], v140 offset0:34 offset1:35
	v_fma_f64 v[130:131], v[196:197], v[62:63], v[130:131]
	v_fma_f64 v[62:63], v[194:195], v[62:63], -v[64:65]
	s_waitcnt lgkmcnt(0)
	v_mul_f64 v[64:65], v[200:201], v[130:131]
	v_mul_f64 v[132:133], v[198:199], v[130:131]
	v_fma_f64 v[64:65], v[198:199], v[62:63], -v[64:65]
	v_fma_f64 v[132:133], v[200:201], v[62:63], v[132:133]
	ds_read2_b64 v[198:201], v140 offset0:36 offset1:37
	v_add_f64 v[58:59], v[58:59], -v[64:65]
	v_add_f64 v[60:61], v[60:61], -v[132:133]
	s_waitcnt lgkmcnt(0)
	v_mul_f64 v[64:65], v[200:201], v[130:131]
	v_mul_f64 v[132:133], v[198:199], v[130:131]
	v_fma_f64 v[64:65], v[198:199], v[62:63], -v[64:65]
	v_fma_f64 v[132:133], v[200:201], v[62:63], v[132:133]
	ds_read2_b64 v[198:201], v140 offset0:38 offset1:39
	v_add_f64 v[54:55], v[54:55], -v[64:65]
	v_add_f64 v[56:57], v[56:57], -v[132:133]
	;; [unrolled: 8-line block ×14, first 2 shown]
	s_waitcnt lgkmcnt(0)
	v_mul_f64 v[64:65], v[200:201], v[130:131]
	v_mul_f64 v[132:133], v[198:199], v[130:131]
	v_fma_f64 v[64:65], v[198:199], v[62:63], -v[64:65]
	v_fma_f64 v[132:133], v[200:201], v[62:63], v[132:133]
	v_add_f64 v[2:3], v[2:3], -v[64:65]
	v_add_f64 v[4:5], v[4:5], -v[132:133]
	v_mov_b32_e32 v64, v130
	v_mov_b32_e32 v65, v131
.LBB63_154:
	s_or_b32 exec_lo, exec_lo, s1
	s_mov_b32 s2, exec_lo
	s_waitcnt lgkmcnt(0)
	s_barrier
	buffer_gl0_inv
	v_cmpx_eq_u32_e32 17, v0
	s_cbranch_execz .LBB63_161
; %bb.155:
	ds_write2_b64 v1, v[58:59], v[60:61] offset1:1
	ds_write2_b64 v140, v[54:55], v[56:57] offset0:36 offset1:37
	ds_write2_b64 v140, v[50:51], v[52:53] offset0:38 offset1:39
	;; [unrolled: 1-line block ×14, first 2 shown]
	ds_read2_b64 v[130:133], v1 offset1:1
	s_waitcnt lgkmcnt(0)
	v_cmp_neq_f64_e32 vcc_lo, 0, v[130:131]
	v_cmp_neq_f64_e64 s1, 0, v[132:133]
	s_or_b32 s1, vcc_lo, s1
	s_and_b32 exec_lo, exec_lo, s1
	s_cbranch_execz .LBB63_161
; %bb.156:
	v_cmp_ngt_f64_e64 s1, |v[130:131]|, |v[132:133]|
                                        ; implicit-def: $vgpr198_vgpr199
	s_and_saveexec_b32 s3, s1
	s_xor_b32 s1, exec_lo, s3
                                        ; implicit-def: $vgpr200_vgpr201
	s_cbranch_execz .LBB63_158
; %bb.157:
	v_div_scale_f64 v[198:199], null, v[132:133], v[132:133], v[130:131]
	v_div_scale_f64 v[204:205], vcc_lo, v[130:131], v[132:133], v[130:131]
	v_rcp_f64_e32 v[200:201], v[198:199]
	v_fma_f64 v[202:203], -v[198:199], v[200:201], 1.0
	v_fma_f64 v[200:201], v[200:201], v[202:203], v[200:201]
	v_fma_f64 v[202:203], -v[198:199], v[200:201], 1.0
	v_fma_f64 v[200:201], v[200:201], v[202:203], v[200:201]
	v_mul_f64 v[202:203], v[204:205], v[200:201]
	v_fma_f64 v[198:199], -v[198:199], v[202:203], v[204:205]
	v_div_fmas_f64 v[198:199], v[198:199], v[200:201], v[202:203]
	v_div_fixup_f64 v[198:199], v[198:199], v[132:133], v[130:131]
	v_fma_f64 v[130:131], v[130:131], v[198:199], v[132:133]
	v_div_scale_f64 v[132:133], null, v[130:131], v[130:131], 1.0
	v_rcp_f64_e32 v[200:201], v[132:133]
	v_fma_f64 v[202:203], -v[132:133], v[200:201], 1.0
	v_fma_f64 v[200:201], v[200:201], v[202:203], v[200:201]
	v_fma_f64 v[202:203], -v[132:133], v[200:201], 1.0
	v_fma_f64 v[200:201], v[200:201], v[202:203], v[200:201]
	v_div_scale_f64 v[202:203], vcc_lo, 1.0, v[130:131], 1.0
	v_mul_f64 v[204:205], v[202:203], v[200:201]
	v_fma_f64 v[132:133], -v[132:133], v[204:205], v[202:203]
	v_div_fmas_f64 v[132:133], v[132:133], v[200:201], v[204:205]
	v_div_fixup_f64 v[200:201], v[132:133], v[130:131], 1.0
                                        ; implicit-def: $vgpr130_vgpr131
	v_mul_f64 v[198:199], v[198:199], v[200:201]
	v_xor_b32_e32 v201, 0x80000000, v201
.LBB63_158:
	s_andn2_saveexec_b32 s1, s1
	s_cbranch_execz .LBB63_160
; %bb.159:
	v_div_scale_f64 v[198:199], null, v[130:131], v[130:131], v[132:133]
	v_div_scale_f64 v[204:205], vcc_lo, v[132:133], v[130:131], v[132:133]
	v_rcp_f64_e32 v[200:201], v[198:199]
	v_fma_f64 v[202:203], -v[198:199], v[200:201], 1.0
	v_fma_f64 v[200:201], v[200:201], v[202:203], v[200:201]
	v_fma_f64 v[202:203], -v[198:199], v[200:201], 1.0
	v_fma_f64 v[200:201], v[200:201], v[202:203], v[200:201]
	v_mul_f64 v[202:203], v[204:205], v[200:201]
	v_fma_f64 v[198:199], -v[198:199], v[202:203], v[204:205]
	v_div_fmas_f64 v[198:199], v[198:199], v[200:201], v[202:203]
	v_div_fixup_f64 v[200:201], v[198:199], v[130:131], v[132:133]
	v_fma_f64 v[130:131], v[132:133], v[200:201], v[130:131]
	v_div_scale_f64 v[132:133], null, v[130:131], v[130:131], 1.0
	v_rcp_f64_e32 v[198:199], v[132:133]
	v_fma_f64 v[202:203], -v[132:133], v[198:199], 1.0
	v_fma_f64 v[198:199], v[198:199], v[202:203], v[198:199]
	v_fma_f64 v[202:203], -v[132:133], v[198:199], 1.0
	v_fma_f64 v[198:199], v[198:199], v[202:203], v[198:199]
	v_div_scale_f64 v[202:203], vcc_lo, 1.0, v[130:131], 1.0
	v_mul_f64 v[204:205], v[202:203], v[198:199]
	v_fma_f64 v[132:133], -v[132:133], v[204:205], v[202:203]
	v_div_fmas_f64 v[132:133], v[132:133], v[198:199], v[204:205]
	v_div_fixup_f64 v[198:199], v[132:133], v[130:131], 1.0
	v_mul_f64 v[200:201], v[200:201], -v[198:199]
.LBB63_160:
	s_or_b32 exec_lo, exec_lo, s1
	ds_write2_b64 v1, v[198:199], v[200:201] offset1:1
.LBB63_161:
	s_or_b32 exec_lo, exec_lo, s2
	s_waitcnt lgkmcnt(0)
	s_barrier
	buffer_gl0_inv
	ds_read2_b64 v[198:201], v1 offset1:1
	s_mov_b32 s1, exec_lo
	v_cmpx_lt_u32_e32 17, v0
	s_cbranch_execz .LBB63_163
; %bb.162:
	s_waitcnt lgkmcnt(0)
	v_mul_f64 v[130:131], v[198:199], v[60:61]
	v_mul_f64 v[60:61], v[200:201], v[60:61]
	ds_read2_b64 v[202:205], v140 offset0:36 offset1:37
	v_fma_f64 v[130:131], v[200:201], v[58:59], v[130:131]
	v_fma_f64 v[58:59], v[198:199], v[58:59], -v[60:61]
	s_waitcnt lgkmcnt(0)
	v_mul_f64 v[60:61], v[204:205], v[130:131]
	v_mul_f64 v[132:133], v[202:203], v[130:131]
	v_fma_f64 v[60:61], v[202:203], v[58:59], -v[60:61]
	v_fma_f64 v[132:133], v[204:205], v[58:59], v[132:133]
	ds_read2_b64 v[202:205], v140 offset0:38 offset1:39
	v_add_f64 v[54:55], v[54:55], -v[60:61]
	v_add_f64 v[56:57], v[56:57], -v[132:133]
	s_waitcnt lgkmcnt(0)
	v_mul_f64 v[60:61], v[204:205], v[130:131]
	v_mul_f64 v[132:133], v[202:203], v[130:131]
	v_fma_f64 v[60:61], v[202:203], v[58:59], -v[60:61]
	v_fma_f64 v[132:133], v[204:205], v[58:59], v[132:133]
	ds_read2_b64 v[202:205], v140 offset0:40 offset1:41
	v_add_f64 v[50:51], v[50:51], -v[60:61]
	v_add_f64 v[52:53], v[52:53], -v[132:133]
	;; [unrolled: 8-line block ×13, first 2 shown]
	s_waitcnt lgkmcnt(0)
	v_mul_f64 v[60:61], v[204:205], v[130:131]
	v_mul_f64 v[132:133], v[202:203], v[130:131]
	v_fma_f64 v[60:61], v[202:203], v[58:59], -v[60:61]
	v_fma_f64 v[132:133], v[204:205], v[58:59], v[132:133]
	v_add_f64 v[2:3], v[2:3], -v[60:61]
	v_add_f64 v[4:5], v[4:5], -v[132:133]
	v_mov_b32_e32 v60, v130
	v_mov_b32_e32 v61, v131
.LBB63_163:
	s_or_b32 exec_lo, exec_lo, s1
	s_mov_b32 s2, exec_lo
	s_waitcnt lgkmcnt(0)
	s_barrier
	buffer_gl0_inv
	v_cmpx_eq_u32_e32 18, v0
	s_cbranch_execz .LBB63_170
; %bb.164:
	ds_write2_b64 v1, v[54:55], v[56:57] offset1:1
	ds_write2_b64 v140, v[50:51], v[52:53] offset0:38 offset1:39
	ds_write2_b64 v140, v[46:47], v[48:49] offset0:40 offset1:41
	;; [unrolled: 1-line block ×13, first 2 shown]
	ds_read2_b64 v[130:133], v1 offset1:1
	s_waitcnt lgkmcnt(0)
	v_cmp_neq_f64_e32 vcc_lo, 0, v[130:131]
	v_cmp_neq_f64_e64 s1, 0, v[132:133]
	s_or_b32 s1, vcc_lo, s1
	s_and_b32 exec_lo, exec_lo, s1
	s_cbranch_execz .LBB63_170
; %bb.165:
	v_cmp_ngt_f64_e64 s1, |v[130:131]|, |v[132:133]|
                                        ; implicit-def: $vgpr202_vgpr203
	s_and_saveexec_b32 s3, s1
	s_xor_b32 s1, exec_lo, s3
                                        ; implicit-def: $vgpr204_vgpr205
	s_cbranch_execz .LBB63_167
; %bb.166:
	v_div_scale_f64 v[202:203], null, v[132:133], v[132:133], v[130:131]
	v_div_scale_f64 v[208:209], vcc_lo, v[130:131], v[132:133], v[130:131]
	v_rcp_f64_e32 v[204:205], v[202:203]
	v_fma_f64 v[206:207], -v[202:203], v[204:205], 1.0
	v_fma_f64 v[204:205], v[204:205], v[206:207], v[204:205]
	v_fma_f64 v[206:207], -v[202:203], v[204:205], 1.0
	v_fma_f64 v[204:205], v[204:205], v[206:207], v[204:205]
	v_mul_f64 v[206:207], v[208:209], v[204:205]
	v_fma_f64 v[202:203], -v[202:203], v[206:207], v[208:209]
	v_div_fmas_f64 v[202:203], v[202:203], v[204:205], v[206:207]
	v_div_fixup_f64 v[202:203], v[202:203], v[132:133], v[130:131]
	v_fma_f64 v[130:131], v[130:131], v[202:203], v[132:133]
	v_div_scale_f64 v[132:133], null, v[130:131], v[130:131], 1.0
	v_rcp_f64_e32 v[204:205], v[132:133]
	v_fma_f64 v[206:207], -v[132:133], v[204:205], 1.0
	v_fma_f64 v[204:205], v[204:205], v[206:207], v[204:205]
	v_fma_f64 v[206:207], -v[132:133], v[204:205], 1.0
	v_fma_f64 v[204:205], v[204:205], v[206:207], v[204:205]
	v_div_scale_f64 v[206:207], vcc_lo, 1.0, v[130:131], 1.0
	v_mul_f64 v[208:209], v[206:207], v[204:205]
	v_fma_f64 v[132:133], -v[132:133], v[208:209], v[206:207]
	v_div_fmas_f64 v[132:133], v[132:133], v[204:205], v[208:209]
	v_div_fixup_f64 v[204:205], v[132:133], v[130:131], 1.0
                                        ; implicit-def: $vgpr130_vgpr131
	v_mul_f64 v[202:203], v[202:203], v[204:205]
	v_xor_b32_e32 v205, 0x80000000, v205
.LBB63_167:
	s_andn2_saveexec_b32 s1, s1
	s_cbranch_execz .LBB63_169
; %bb.168:
	v_div_scale_f64 v[202:203], null, v[130:131], v[130:131], v[132:133]
	v_div_scale_f64 v[208:209], vcc_lo, v[132:133], v[130:131], v[132:133]
	v_rcp_f64_e32 v[204:205], v[202:203]
	v_fma_f64 v[206:207], -v[202:203], v[204:205], 1.0
	v_fma_f64 v[204:205], v[204:205], v[206:207], v[204:205]
	v_fma_f64 v[206:207], -v[202:203], v[204:205], 1.0
	v_fma_f64 v[204:205], v[204:205], v[206:207], v[204:205]
	v_mul_f64 v[206:207], v[208:209], v[204:205]
	v_fma_f64 v[202:203], -v[202:203], v[206:207], v[208:209]
	v_div_fmas_f64 v[202:203], v[202:203], v[204:205], v[206:207]
	v_div_fixup_f64 v[204:205], v[202:203], v[130:131], v[132:133]
	v_fma_f64 v[130:131], v[132:133], v[204:205], v[130:131]
	v_div_scale_f64 v[132:133], null, v[130:131], v[130:131], 1.0
	v_rcp_f64_e32 v[202:203], v[132:133]
	v_fma_f64 v[206:207], -v[132:133], v[202:203], 1.0
	v_fma_f64 v[202:203], v[202:203], v[206:207], v[202:203]
	v_fma_f64 v[206:207], -v[132:133], v[202:203], 1.0
	v_fma_f64 v[202:203], v[202:203], v[206:207], v[202:203]
	v_div_scale_f64 v[206:207], vcc_lo, 1.0, v[130:131], 1.0
	v_mul_f64 v[208:209], v[206:207], v[202:203]
	v_fma_f64 v[132:133], -v[132:133], v[208:209], v[206:207]
	v_div_fmas_f64 v[132:133], v[132:133], v[202:203], v[208:209]
	v_div_fixup_f64 v[202:203], v[132:133], v[130:131], 1.0
	v_mul_f64 v[204:205], v[204:205], -v[202:203]
.LBB63_169:
	s_or_b32 exec_lo, exec_lo, s1
	ds_write2_b64 v1, v[202:203], v[204:205] offset1:1
.LBB63_170:
	s_or_b32 exec_lo, exec_lo, s2
	s_waitcnt lgkmcnt(0)
	s_barrier
	buffer_gl0_inv
	ds_read2_b64 v[202:205], v1 offset1:1
	s_mov_b32 s1, exec_lo
	v_cmpx_lt_u32_e32 18, v0
	s_cbranch_execz .LBB63_172
; %bb.171:
	s_waitcnt lgkmcnt(0)
	v_mul_f64 v[130:131], v[202:203], v[56:57]
	v_mul_f64 v[56:57], v[204:205], v[56:57]
	v_fma_f64 v[206:207], v[204:205], v[54:55], v[130:131]
	ds_read2_b64 v[130:133], v140 offset0:38 offset1:39
	v_fma_f64 v[54:55], v[202:203], v[54:55], -v[56:57]
	s_waitcnt lgkmcnt(0)
	v_mul_f64 v[56:57], v[132:133], v[206:207]
	v_fma_f64 v[56:57], v[130:131], v[54:55], -v[56:57]
	v_mul_f64 v[130:131], v[130:131], v[206:207]
	v_add_f64 v[50:51], v[50:51], -v[56:57]
	v_fma_f64 v[130:131], v[132:133], v[54:55], v[130:131]
	v_add_f64 v[52:53], v[52:53], -v[130:131]
	ds_read2_b64 v[130:133], v140 offset0:40 offset1:41
	s_waitcnt lgkmcnt(0)
	v_mul_f64 v[56:57], v[132:133], v[206:207]
	v_fma_f64 v[56:57], v[130:131], v[54:55], -v[56:57]
	v_mul_f64 v[130:131], v[130:131], v[206:207]
	v_add_f64 v[46:47], v[46:47], -v[56:57]
	v_fma_f64 v[130:131], v[132:133], v[54:55], v[130:131]
	v_add_f64 v[48:49], v[48:49], -v[130:131]
	ds_read2_b64 v[130:133], v140 offset0:42 offset1:43
	;; [unrolled: 8-line block ×12, first 2 shown]
	s_waitcnt lgkmcnt(0)
	v_mul_f64 v[56:57], v[132:133], v[206:207]
	v_fma_f64 v[56:57], v[130:131], v[54:55], -v[56:57]
	v_mul_f64 v[130:131], v[130:131], v[206:207]
	v_add_f64 v[2:3], v[2:3], -v[56:57]
	v_fma_f64 v[130:131], v[132:133], v[54:55], v[130:131]
	v_mov_b32_e32 v56, v206
	v_mov_b32_e32 v57, v207
	v_add_f64 v[4:5], v[4:5], -v[130:131]
.LBB63_172:
	s_or_b32 exec_lo, exec_lo, s1
	s_mov_b32 s2, exec_lo
	s_waitcnt lgkmcnt(0)
	s_barrier
	buffer_gl0_inv
	v_cmpx_eq_u32_e32 19, v0
	s_cbranch_execz .LBB63_179
; %bb.173:
	ds_write2_b64 v1, v[50:51], v[52:53] offset1:1
	ds_write2_b64 v140, v[46:47], v[48:49] offset0:40 offset1:41
	ds_write2_b64 v140, v[42:43], v[44:45] offset0:42 offset1:43
	;; [unrolled: 1-line block ×12, first 2 shown]
	ds_read2_b64 v[130:133], v1 offset1:1
	s_waitcnt lgkmcnt(0)
	v_cmp_neq_f64_e32 vcc_lo, 0, v[130:131]
	v_cmp_neq_f64_e64 s1, 0, v[132:133]
	s_or_b32 s1, vcc_lo, s1
	s_and_b32 exec_lo, exec_lo, s1
	s_cbranch_execz .LBB63_179
; %bb.174:
	v_cmp_ngt_f64_e64 s1, |v[130:131]|, |v[132:133]|
                                        ; implicit-def: $vgpr206_vgpr207
	s_and_saveexec_b32 s3, s1
	s_xor_b32 s1, exec_lo, s3
                                        ; implicit-def: $vgpr208_vgpr209
	s_cbranch_execz .LBB63_176
; %bb.175:
	v_div_scale_f64 v[206:207], null, v[132:133], v[132:133], v[130:131]
	v_div_scale_f64 v[212:213], vcc_lo, v[130:131], v[132:133], v[130:131]
	v_rcp_f64_e32 v[208:209], v[206:207]
	v_fma_f64 v[210:211], -v[206:207], v[208:209], 1.0
	v_fma_f64 v[208:209], v[208:209], v[210:211], v[208:209]
	v_fma_f64 v[210:211], -v[206:207], v[208:209], 1.0
	v_fma_f64 v[208:209], v[208:209], v[210:211], v[208:209]
	v_mul_f64 v[210:211], v[212:213], v[208:209]
	v_fma_f64 v[206:207], -v[206:207], v[210:211], v[212:213]
	v_div_fmas_f64 v[206:207], v[206:207], v[208:209], v[210:211]
	v_div_fixup_f64 v[206:207], v[206:207], v[132:133], v[130:131]
	v_fma_f64 v[130:131], v[130:131], v[206:207], v[132:133]
	v_div_scale_f64 v[132:133], null, v[130:131], v[130:131], 1.0
	v_rcp_f64_e32 v[208:209], v[132:133]
	v_fma_f64 v[210:211], -v[132:133], v[208:209], 1.0
	v_fma_f64 v[208:209], v[208:209], v[210:211], v[208:209]
	v_fma_f64 v[210:211], -v[132:133], v[208:209], 1.0
	v_fma_f64 v[208:209], v[208:209], v[210:211], v[208:209]
	v_div_scale_f64 v[210:211], vcc_lo, 1.0, v[130:131], 1.0
	v_mul_f64 v[212:213], v[210:211], v[208:209]
	v_fma_f64 v[132:133], -v[132:133], v[212:213], v[210:211]
	v_div_fmas_f64 v[132:133], v[132:133], v[208:209], v[212:213]
	v_div_fixup_f64 v[208:209], v[132:133], v[130:131], 1.0
                                        ; implicit-def: $vgpr130_vgpr131
	v_mul_f64 v[206:207], v[206:207], v[208:209]
	v_xor_b32_e32 v209, 0x80000000, v209
.LBB63_176:
	s_andn2_saveexec_b32 s1, s1
	s_cbranch_execz .LBB63_178
; %bb.177:
	v_div_scale_f64 v[206:207], null, v[130:131], v[130:131], v[132:133]
	v_div_scale_f64 v[212:213], vcc_lo, v[132:133], v[130:131], v[132:133]
	v_rcp_f64_e32 v[208:209], v[206:207]
	v_fma_f64 v[210:211], -v[206:207], v[208:209], 1.0
	v_fma_f64 v[208:209], v[208:209], v[210:211], v[208:209]
	v_fma_f64 v[210:211], -v[206:207], v[208:209], 1.0
	v_fma_f64 v[208:209], v[208:209], v[210:211], v[208:209]
	v_mul_f64 v[210:211], v[212:213], v[208:209]
	v_fma_f64 v[206:207], -v[206:207], v[210:211], v[212:213]
	v_div_fmas_f64 v[206:207], v[206:207], v[208:209], v[210:211]
	v_div_fixup_f64 v[208:209], v[206:207], v[130:131], v[132:133]
	v_fma_f64 v[130:131], v[132:133], v[208:209], v[130:131]
	v_div_scale_f64 v[132:133], null, v[130:131], v[130:131], 1.0
	v_rcp_f64_e32 v[206:207], v[132:133]
	v_fma_f64 v[210:211], -v[132:133], v[206:207], 1.0
	v_fma_f64 v[206:207], v[206:207], v[210:211], v[206:207]
	v_fma_f64 v[210:211], -v[132:133], v[206:207], 1.0
	v_fma_f64 v[206:207], v[206:207], v[210:211], v[206:207]
	v_div_scale_f64 v[210:211], vcc_lo, 1.0, v[130:131], 1.0
	v_mul_f64 v[212:213], v[210:211], v[206:207]
	v_fma_f64 v[132:133], -v[132:133], v[212:213], v[210:211]
	v_div_fmas_f64 v[132:133], v[132:133], v[206:207], v[212:213]
	v_div_fixup_f64 v[206:207], v[132:133], v[130:131], 1.0
	v_mul_f64 v[208:209], v[208:209], -v[206:207]
.LBB63_178:
	s_or_b32 exec_lo, exec_lo, s1
	ds_write2_b64 v1, v[206:207], v[208:209] offset1:1
.LBB63_179:
	s_or_b32 exec_lo, exec_lo, s2
	s_waitcnt lgkmcnt(0)
	s_barrier
	buffer_gl0_inv
	ds_read2_b64 v[206:209], v1 offset1:1
	s_mov_b32 s1, exec_lo
	v_cmpx_lt_u32_e32 19, v0
	s_cbranch_execz .LBB63_181
; %bb.180:
	s_waitcnt lgkmcnt(0)
	v_mul_f64 v[130:131], v[206:207], v[52:53]
	v_mul_f64 v[52:53], v[208:209], v[52:53]
	v_fma_f64 v[210:211], v[208:209], v[50:51], v[130:131]
	ds_read2_b64 v[130:133], v140 offset0:40 offset1:41
	v_fma_f64 v[50:51], v[206:207], v[50:51], -v[52:53]
	s_waitcnt lgkmcnt(0)
	v_mul_f64 v[52:53], v[132:133], v[210:211]
	v_fma_f64 v[52:53], v[130:131], v[50:51], -v[52:53]
	v_mul_f64 v[130:131], v[130:131], v[210:211]
	v_add_f64 v[46:47], v[46:47], -v[52:53]
	v_fma_f64 v[130:131], v[132:133], v[50:51], v[130:131]
	v_add_f64 v[48:49], v[48:49], -v[130:131]
	ds_read2_b64 v[130:133], v140 offset0:42 offset1:43
	s_waitcnt lgkmcnt(0)
	v_mul_f64 v[52:53], v[132:133], v[210:211]
	v_fma_f64 v[52:53], v[130:131], v[50:51], -v[52:53]
	v_mul_f64 v[130:131], v[130:131], v[210:211]
	v_add_f64 v[42:43], v[42:43], -v[52:53]
	v_fma_f64 v[130:131], v[132:133], v[50:51], v[130:131]
	v_add_f64 v[44:45], v[44:45], -v[130:131]
	ds_read2_b64 v[130:133], v140 offset0:44 offset1:45
	;; [unrolled: 8-line block ×11, first 2 shown]
	s_waitcnt lgkmcnt(0)
	v_mul_f64 v[52:53], v[132:133], v[210:211]
	v_fma_f64 v[52:53], v[130:131], v[50:51], -v[52:53]
	v_mul_f64 v[130:131], v[130:131], v[210:211]
	v_add_f64 v[2:3], v[2:3], -v[52:53]
	v_fma_f64 v[130:131], v[132:133], v[50:51], v[130:131]
	v_mov_b32_e32 v52, v210
	v_mov_b32_e32 v53, v211
	v_add_f64 v[4:5], v[4:5], -v[130:131]
.LBB63_181:
	s_or_b32 exec_lo, exec_lo, s1
	s_mov_b32 s2, exec_lo
	s_waitcnt lgkmcnt(0)
	s_barrier
	buffer_gl0_inv
	v_cmpx_eq_u32_e32 20, v0
	s_cbranch_execz .LBB63_188
; %bb.182:
	ds_write2_b64 v1, v[46:47], v[48:49] offset1:1
	ds_write2_b64 v140, v[42:43], v[44:45] offset0:42 offset1:43
	ds_write2_b64 v140, v[38:39], v[40:41] offset0:44 offset1:45
	;; [unrolled: 1-line block ×11, first 2 shown]
	ds_read2_b64 v[130:133], v1 offset1:1
	s_waitcnt lgkmcnt(0)
	v_cmp_neq_f64_e32 vcc_lo, 0, v[130:131]
	v_cmp_neq_f64_e64 s1, 0, v[132:133]
	s_or_b32 s1, vcc_lo, s1
	s_and_b32 exec_lo, exec_lo, s1
	s_cbranch_execz .LBB63_188
; %bb.183:
	v_cmp_ngt_f64_e64 s1, |v[130:131]|, |v[132:133]|
                                        ; implicit-def: $vgpr210_vgpr211
	s_and_saveexec_b32 s3, s1
	s_xor_b32 s1, exec_lo, s3
                                        ; implicit-def: $vgpr212_vgpr213
	s_cbranch_execz .LBB63_185
; %bb.184:
	v_div_scale_f64 v[210:211], null, v[132:133], v[132:133], v[130:131]
	v_div_scale_f64 v[216:217], vcc_lo, v[130:131], v[132:133], v[130:131]
	v_rcp_f64_e32 v[212:213], v[210:211]
	v_fma_f64 v[214:215], -v[210:211], v[212:213], 1.0
	v_fma_f64 v[212:213], v[212:213], v[214:215], v[212:213]
	v_fma_f64 v[214:215], -v[210:211], v[212:213], 1.0
	v_fma_f64 v[212:213], v[212:213], v[214:215], v[212:213]
	v_mul_f64 v[214:215], v[216:217], v[212:213]
	v_fma_f64 v[210:211], -v[210:211], v[214:215], v[216:217]
	v_div_fmas_f64 v[210:211], v[210:211], v[212:213], v[214:215]
	v_div_fixup_f64 v[210:211], v[210:211], v[132:133], v[130:131]
	v_fma_f64 v[130:131], v[130:131], v[210:211], v[132:133]
	v_div_scale_f64 v[132:133], null, v[130:131], v[130:131], 1.0
	v_rcp_f64_e32 v[212:213], v[132:133]
	v_fma_f64 v[214:215], -v[132:133], v[212:213], 1.0
	v_fma_f64 v[212:213], v[212:213], v[214:215], v[212:213]
	v_fma_f64 v[214:215], -v[132:133], v[212:213], 1.0
	v_fma_f64 v[212:213], v[212:213], v[214:215], v[212:213]
	v_div_scale_f64 v[214:215], vcc_lo, 1.0, v[130:131], 1.0
	v_mul_f64 v[216:217], v[214:215], v[212:213]
	v_fma_f64 v[132:133], -v[132:133], v[216:217], v[214:215]
	v_div_fmas_f64 v[132:133], v[132:133], v[212:213], v[216:217]
	v_div_fixup_f64 v[212:213], v[132:133], v[130:131], 1.0
                                        ; implicit-def: $vgpr130_vgpr131
	v_mul_f64 v[210:211], v[210:211], v[212:213]
	v_xor_b32_e32 v213, 0x80000000, v213
.LBB63_185:
	s_andn2_saveexec_b32 s1, s1
	s_cbranch_execz .LBB63_187
; %bb.186:
	v_div_scale_f64 v[210:211], null, v[130:131], v[130:131], v[132:133]
	v_div_scale_f64 v[216:217], vcc_lo, v[132:133], v[130:131], v[132:133]
	v_rcp_f64_e32 v[212:213], v[210:211]
	v_fma_f64 v[214:215], -v[210:211], v[212:213], 1.0
	v_fma_f64 v[212:213], v[212:213], v[214:215], v[212:213]
	v_fma_f64 v[214:215], -v[210:211], v[212:213], 1.0
	v_fma_f64 v[212:213], v[212:213], v[214:215], v[212:213]
	v_mul_f64 v[214:215], v[216:217], v[212:213]
	v_fma_f64 v[210:211], -v[210:211], v[214:215], v[216:217]
	v_div_fmas_f64 v[210:211], v[210:211], v[212:213], v[214:215]
	v_div_fixup_f64 v[212:213], v[210:211], v[130:131], v[132:133]
	v_fma_f64 v[130:131], v[132:133], v[212:213], v[130:131]
	v_div_scale_f64 v[132:133], null, v[130:131], v[130:131], 1.0
	v_rcp_f64_e32 v[210:211], v[132:133]
	v_fma_f64 v[214:215], -v[132:133], v[210:211], 1.0
	v_fma_f64 v[210:211], v[210:211], v[214:215], v[210:211]
	v_fma_f64 v[214:215], -v[132:133], v[210:211], 1.0
	v_fma_f64 v[210:211], v[210:211], v[214:215], v[210:211]
	v_div_scale_f64 v[214:215], vcc_lo, 1.0, v[130:131], 1.0
	v_mul_f64 v[216:217], v[214:215], v[210:211]
	v_fma_f64 v[132:133], -v[132:133], v[216:217], v[214:215]
	v_div_fmas_f64 v[132:133], v[132:133], v[210:211], v[216:217]
	v_div_fixup_f64 v[210:211], v[132:133], v[130:131], 1.0
	v_mul_f64 v[212:213], v[212:213], -v[210:211]
.LBB63_187:
	s_or_b32 exec_lo, exec_lo, s1
	ds_write2_b64 v1, v[210:211], v[212:213] offset1:1
.LBB63_188:
	s_or_b32 exec_lo, exec_lo, s2
	s_waitcnt lgkmcnt(0)
	s_barrier
	buffer_gl0_inv
	ds_read2_b64 v[210:213], v1 offset1:1
	s_mov_b32 s1, exec_lo
	v_cmpx_lt_u32_e32 20, v0
	s_cbranch_execz .LBB63_190
; %bb.189:
	s_waitcnt lgkmcnt(0)
	v_mul_f64 v[130:131], v[210:211], v[48:49]
	v_mul_f64 v[48:49], v[212:213], v[48:49]
	v_fma_f64 v[214:215], v[212:213], v[46:47], v[130:131]
	ds_read2_b64 v[130:133], v140 offset0:42 offset1:43
	v_fma_f64 v[46:47], v[210:211], v[46:47], -v[48:49]
	s_waitcnt lgkmcnt(0)
	v_mul_f64 v[48:49], v[132:133], v[214:215]
	v_fma_f64 v[48:49], v[130:131], v[46:47], -v[48:49]
	v_mul_f64 v[130:131], v[130:131], v[214:215]
	v_add_f64 v[42:43], v[42:43], -v[48:49]
	v_fma_f64 v[130:131], v[132:133], v[46:47], v[130:131]
	v_add_f64 v[44:45], v[44:45], -v[130:131]
	ds_read2_b64 v[130:133], v140 offset0:44 offset1:45
	s_waitcnt lgkmcnt(0)
	v_mul_f64 v[48:49], v[132:133], v[214:215]
	v_fma_f64 v[48:49], v[130:131], v[46:47], -v[48:49]
	v_mul_f64 v[130:131], v[130:131], v[214:215]
	v_add_f64 v[38:39], v[38:39], -v[48:49]
	v_fma_f64 v[130:131], v[132:133], v[46:47], v[130:131]
	v_add_f64 v[40:41], v[40:41], -v[130:131]
	ds_read2_b64 v[130:133], v140 offset0:46 offset1:47
	;; [unrolled: 8-line block ×10, first 2 shown]
	s_waitcnt lgkmcnt(0)
	v_mul_f64 v[48:49], v[132:133], v[214:215]
	v_fma_f64 v[48:49], v[130:131], v[46:47], -v[48:49]
	v_mul_f64 v[130:131], v[130:131], v[214:215]
	v_add_f64 v[2:3], v[2:3], -v[48:49]
	v_fma_f64 v[130:131], v[132:133], v[46:47], v[130:131]
	v_mov_b32_e32 v48, v214
	v_mov_b32_e32 v49, v215
	v_add_f64 v[4:5], v[4:5], -v[130:131]
.LBB63_190:
	s_or_b32 exec_lo, exec_lo, s1
	s_mov_b32 s2, exec_lo
	s_waitcnt lgkmcnt(0)
	s_barrier
	buffer_gl0_inv
	v_cmpx_eq_u32_e32 21, v0
	s_cbranch_execz .LBB63_197
; %bb.191:
	ds_write2_b64 v1, v[42:43], v[44:45] offset1:1
	ds_write2_b64 v140, v[38:39], v[40:41] offset0:44 offset1:45
	ds_write2_b64 v140, v[34:35], v[36:37] offset0:46 offset1:47
	;; [unrolled: 1-line block ×10, first 2 shown]
	ds_read2_b64 v[130:133], v1 offset1:1
	s_waitcnt lgkmcnt(0)
	v_cmp_neq_f64_e32 vcc_lo, 0, v[130:131]
	v_cmp_neq_f64_e64 s1, 0, v[132:133]
	s_or_b32 s1, vcc_lo, s1
	s_and_b32 exec_lo, exec_lo, s1
	s_cbranch_execz .LBB63_197
; %bb.192:
	v_cmp_ngt_f64_e64 s1, |v[130:131]|, |v[132:133]|
                                        ; implicit-def: $vgpr214_vgpr215
	s_and_saveexec_b32 s3, s1
	s_xor_b32 s1, exec_lo, s3
                                        ; implicit-def: $vgpr216_vgpr217
	s_cbranch_execz .LBB63_194
; %bb.193:
	v_div_scale_f64 v[214:215], null, v[132:133], v[132:133], v[130:131]
	v_div_scale_f64 v[220:221], vcc_lo, v[130:131], v[132:133], v[130:131]
	v_rcp_f64_e32 v[216:217], v[214:215]
	v_fma_f64 v[218:219], -v[214:215], v[216:217], 1.0
	v_fma_f64 v[216:217], v[216:217], v[218:219], v[216:217]
	v_fma_f64 v[218:219], -v[214:215], v[216:217], 1.0
	v_fma_f64 v[216:217], v[216:217], v[218:219], v[216:217]
	v_mul_f64 v[218:219], v[220:221], v[216:217]
	v_fma_f64 v[214:215], -v[214:215], v[218:219], v[220:221]
	v_div_fmas_f64 v[214:215], v[214:215], v[216:217], v[218:219]
	v_div_fixup_f64 v[214:215], v[214:215], v[132:133], v[130:131]
	v_fma_f64 v[130:131], v[130:131], v[214:215], v[132:133]
	v_div_scale_f64 v[132:133], null, v[130:131], v[130:131], 1.0
	v_rcp_f64_e32 v[216:217], v[132:133]
	v_fma_f64 v[218:219], -v[132:133], v[216:217], 1.0
	v_fma_f64 v[216:217], v[216:217], v[218:219], v[216:217]
	v_fma_f64 v[218:219], -v[132:133], v[216:217], 1.0
	v_fma_f64 v[216:217], v[216:217], v[218:219], v[216:217]
	v_div_scale_f64 v[218:219], vcc_lo, 1.0, v[130:131], 1.0
	v_mul_f64 v[220:221], v[218:219], v[216:217]
	v_fma_f64 v[132:133], -v[132:133], v[220:221], v[218:219]
	v_div_fmas_f64 v[132:133], v[132:133], v[216:217], v[220:221]
	v_div_fixup_f64 v[216:217], v[132:133], v[130:131], 1.0
                                        ; implicit-def: $vgpr130_vgpr131
	v_mul_f64 v[214:215], v[214:215], v[216:217]
	v_xor_b32_e32 v217, 0x80000000, v217
.LBB63_194:
	s_andn2_saveexec_b32 s1, s1
	s_cbranch_execz .LBB63_196
; %bb.195:
	v_div_scale_f64 v[214:215], null, v[130:131], v[130:131], v[132:133]
	v_div_scale_f64 v[220:221], vcc_lo, v[132:133], v[130:131], v[132:133]
	v_rcp_f64_e32 v[216:217], v[214:215]
	v_fma_f64 v[218:219], -v[214:215], v[216:217], 1.0
	v_fma_f64 v[216:217], v[216:217], v[218:219], v[216:217]
	v_fma_f64 v[218:219], -v[214:215], v[216:217], 1.0
	v_fma_f64 v[216:217], v[216:217], v[218:219], v[216:217]
	v_mul_f64 v[218:219], v[220:221], v[216:217]
	v_fma_f64 v[214:215], -v[214:215], v[218:219], v[220:221]
	v_div_fmas_f64 v[214:215], v[214:215], v[216:217], v[218:219]
	v_div_fixup_f64 v[216:217], v[214:215], v[130:131], v[132:133]
	v_fma_f64 v[130:131], v[132:133], v[216:217], v[130:131]
	v_div_scale_f64 v[132:133], null, v[130:131], v[130:131], 1.0
	v_rcp_f64_e32 v[214:215], v[132:133]
	v_fma_f64 v[218:219], -v[132:133], v[214:215], 1.0
	v_fma_f64 v[214:215], v[214:215], v[218:219], v[214:215]
	v_fma_f64 v[218:219], -v[132:133], v[214:215], 1.0
	v_fma_f64 v[214:215], v[214:215], v[218:219], v[214:215]
	v_div_scale_f64 v[218:219], vcc_lo, 1.0, v[130:131], 1.0
	v_mul_f64 v[220:221], v[218:219], v[214:215]
	v_fma_f64 v[132:133], -v[132:133], v[220:221], v[218:219]
	v_div_fmas_f64 v[132:133], v[132:133], v[214:215], v[220:221]
	v_div_fixup_f64 v[214:215], v[132:133], v[130:131], 1.0
	v_mul_f64 v[216:217], v[216:217], -v[214:215]
.LBB63_196:
	s_or_b32 exec_lo, exec_lo, s1
	ds_write2_b64 v1, v[214:215], v[216:217] offset1:1
.LBB63_197:
	s_or_b32 exec_lo, exec_lo, s2
	s_waitcnt lgkmcnt(0)
	s_barrier
	buffer_gl0_inv
	ds_read2_b64 v[214:217], v1 offset1:1
	s_mov_b32 s1, exec_lo
	v_cmpx_lt_u32_e32 21, v0
	s_cbranch_execz .LBB63_199
; %bb.198:
	s_waitcnt lgkmcnt(0)
	v_mul_f64 v[130:131], v[214:215], v[44:45]
	v_mul_f64 v[44:45], v[216:217], v[44:45]
	v_fma_f64 v[218:219], v[216:217], v[42:43], v[130:131]
	ds_read2_b64 v[130:133], v140 offset0:44 offset1:45
	v_fma_f64 v[42:43], v[214:215], v[42:43], -v[44:45]
	s_waitcnt lgkmcnt(0)
	v_mul_f64 v[44:45], v[132:133], v[218:219]
	v_fma_f64 v[44:45], v[130:131], v[42:43], -v[44:45]
	v_mul_f64 v[130:131], v[130:131], v[218:219]
	v_add_f64 v[38:39], v[38:39], -v[44:45]
	v_fma_f64 v[130:131], v[132:133], v[42:43], v[130:131]
	v_add_f64 v[40:41], v[40:41], -v[130:131]
	ds_read2_b64 v[130:133], v140 offset0:46 offset1:47
	s_waitcnt lgkmcnt(0)
	v_mul_f64 v[44:45], v[132:133], v[218:219]
	v_fma_f64 v[44:45], v[130:131], v[42:43], -v[44:45]
	v_mul_f64 v[130:131], v[130:131], v[218:219]
	v_add_f64 v[34:35], v[34:35], -v[44:45]
	v_fma_f64 v[130:131], v[132:133], v[42:43], v[130:131]
	v_add_f64 v[36:37], v[36:37], -v[130:131]
	ds_read2_b64 v[130:133], v140 offset0:48 offset1:49
	;; [unrolled: 8-line block ×9, first 2 shown]
	s_waitcnt lgkmcnt(0)
	v_mul_f64 v[44:45], v[132:133], v[218:219]
	v_fma_f64 v[44:45], v[130:131], v[42:43], -v[44:45]
	v_mul_f64 v[130:131], v[130:131], v[218:219]
	v_add_f64 v[2:3], v[2:3], -v[44:45]
	v_fma_f64 v[130:131], v[132:133], v[42:43], v[130:131]
	v_mov_b32_e32 v44, v218
	v_mov_b32_e32 v45, v219
	v_add_f64 v[4:5], v[4:5], -v[130:131]
.LBB63_199:
	s_or_b32 exec_lo, exec_lo, s1
	s_mov_b32 s2, exec_lo
	s_waitcnt lgkmcnt(0)
	s_barrier
	buffer_gl0_inv
	v_cmpx_eq_u32_e32 22, v0
	s_cbranch_execz .LBB63_206
; %bb.200:
	ds_write2_b64 v1, v[38:39], v[40:41] offset1:1
	ds_write2_b64 v140, v[34:35], v[36:37] offset0:46 offset1:47
	ds_write2_b64 v140, v[30:31], v[32:33] offset0:48 offset1:49
	;; [unrolled: 1-line block ×9, first 2 shown]
	ds_read2_b64 v[130:133], v1 offset1:1
	s_waitcnt lgkmcnt(0)
	v_cmp_neq_f64_e32 vcc_lo, 0, v[130:131]
	v_cmp_neq_f64_e64 s1, 0, v[132:133]
	s_or_b32 s1, vcc_lo, s1
	s_and_b32 exec_lo, exec_lo, s1
	s_cbranch_execz .LBB63_206
; %bb.201:
	v_cmp_ngt_f64_e64 s1, |v[130:131]|, |v[132:133]|
                                        ; implicit-def: $vgpr218_vgpr219
	s_and_saveexec_b32 s3, s1
	s_xor_b32 s1, exec_lo, s3
                                        ; implicit-def: $vgpr220_vgpr221
	s_cbranch_execz .LBB63_203
; %bb.202:
	v_div_scale_f64 v[218:219], null, v[132:133], v[132:133], v[130:131]
	v_div_scale_f64 v[224:225], vcc_lo, v[130:131], v[132:133], v[130:131]
	v_rcp_f64_e32 v[220:221], v[218:219]
	v_fma_f64 v[222:223], -v[218:219], v[220:221], 1.0
	v_fma_f64 v[220:221], v[220:221], v[222:223], v[220:221]
	v_fma_f64 v[222:223], -v[218:219], v[220:221], 1.0
	v_fma_f64 v[220:221], v[220:221], v[222:223], v[220:221]
	v_mul_f64 v[222:223], v[224:225], v[220:221]
	v_fma_f64 v[218:219], -v[218:219], v[222:223], v[224:225]
	v_div_fmas_f64 v[218:219], v[218:219], v[220:221], v[222:223]
	v_div_fixup_f64 v[218:219], v[218:219], v[132:133], v[130:131]
	v_fma_f64 v[130:131], v[130:131], v[218:219], v[132:133]
	v_div_scale_f64 v[132:133], null, v[130:131], v[130:131], 1.0
	v_rcp_f64_e32 v[220:221], v[132:133]
	v_fma_f64 v[222:223], -v[132:133], v[220:221], 1.0
	v_fma_f64 v[220:221], v[220:221], v[222:223], v[220:221]
	v_fma_f64 v[222:223], -v[132:133], v[220:221], 1.0
	v_fma_f64 v[220:221], v[220:221], v[222:223], v[220:221]
	v_div_scale_f64 v[222:223], vcc_lo, 1.0, v[130:131], 1.0
	v_mul_f64 v[224:225], v[222:223], v[220:221]
	v_fma_f64 v[132:133], -v[132:133], v[224:225], v[222:223]
	v_div_fmas_f64 v[132:133], v[132:133], v[220:221], v[224:225]
	v_div_fixup_f64 v[220:221], v[132:133], v[130:131], 1.0
                                        ; implicit-def: $vgpr130_vgpr131
	v_mul_f64 v[218:219], v[218:219], v[220:221]
	v_xor_b32_e32 v221, 0x80000000, v221
.LBB63_203:
	s_andn2_saveexec_b32 s1, s1
	s_cbranch_execz .LBB63_205
; %bb.204:
	v_div_scale_f64 v[218:219], null, v[130:131], v[130:131], v[132:133]
	v_div_scale_f64 v[224:225], vcc_lo, v[132:133], v[130:131], v[132:133]
	v_rcp_f64_e32 v[220:221], v[218:219]
	v_fma_f64 v[222:223], -v[218:219], v[220:221], 1.0
	v_fma_f64 v[220:221], v[220:221], v[222:223], v[220:221]
	v_fma_f64 v[222:223], -v[218:219], v[220:221], 1.0
	v_fma_f64 v[220:221], v[220:221], v[222:223], v[220:221]
	v_mul_f64 v[222:223], v[224:225], v[220:221]
	v_fma_f64 v[218:219], -v[218:219], v[222:223], v[224:225]
	v_div_fmas_f64 v[218:219], v[218:219], v[220:221], v[222:223]
	v_div_fixup_f64 v[220:221], v[218:219], v[130:131], v[132:133]
	v_fma_f64 v[130:131], v[132:133], v[220:221], v[130:131]
	v_div_scale_f64 v[132:133], null, v[130:131], v[130:131], 1.0
	v_rcp_f64_e32 v[218:219], v[132:133]
	v_fma_f64 v[222:223], -v[132:133], v[218:219], 1.0
	v_fma_f64 v[218:219], v[218:219], v[222:223], v[218:219]
	v_fma_f64 v[222:223], -v[132:133], v[218:219], 1.0
	v_fma_f64 v[218:219], v[218:219], v[222:223], v[218:219]
	v_div_scale_f64 v[222:223], vcc_lo, 1.0, v[130:131], 1.0
	v_mul_f64 v[224:225], v[222:223], v[218:219]
	v_fma_f64 v[132:133], -v[132:133], v[224:225], v[222:223]
	v_div_fmas_f64 v[132:133], v[132:133], v[218:219], v[224:225]
	v_div_fixup_f64 v[218:219], v[132:133], v[130:131], 1.0
	v_mul_f64 v[220:221], v[220:221], -v[218:219]
.LBB63_205:
	s_or_b32 exec_lo, exec_lo, s1
	ds_write2_b64 v1, v[218:219], v[220:221] offset1:1
.LBB63_206:
	s_or_b32 exec_lo, exec_lo, s2
	s_waitcnt lgkmcnt(0)
	s_barrier
	buffer_gl0_inv
	ds_read2_b64 v[218:221], v1 offset1:1
	s_mov_b32 s1, exec_lo
	v_cmpx_lt_u32_e32 22, v0
	s_cbranch_execz .LBB63_208
; %bb.207:
	s_waitcnt lgkmcnt(0)
	v_mul_f64 v[130:131], v[218:219], v[40:41]
	v_mul_f64 v[40:41], v[220:221], v[40:41]
	v_fma_f64 v[222:223], v[220:221], v[38:39], v[130:131]
	ds_read2_b64 v[130:133], v140 offset0:46 offset1:47
	v_fma_f64 v[38:39], v[218:219], v[38:39], -v[40:41]
	s_waitcnt lgkmcnt(0)
	v_mul_f64 v[40:41], v[132:133], v[222:223]
	v_fma_f64 v[40:41], v[130:131], v[38:39], -v[40:41]
	v_mul_f64 v[130:131], v[130:131], v[222:223]
	v_add_f64 v[34:35], v[34:35], -v[40:41]
	v_fma_f64 v[130:131], v[132:133], v[38:39], v[130:131]
	v_add_f64 v[36:37], v[36:37], -v[130:131]
	ds_read2_b64 v[130:133], v140 offset0:48 offset1:49
	s_waitcnt lgkmcnt(0)
	v_mul_f64 v[40:41], v[132:133], v[222:223]
	v_fma_f64 v[40:41], v[130:131], v[38:39], -v[40:41]
	v_mul_f64 v[130:131], v[130:131], v[222:223]
	v_add_f64 v[30:31], v[30:31], -v[40:41]
	v_fma_f64 v[130:131], v[132:133], v[38:39], v[130:131]
	v_add_f64 v[32:33], v[32:33], -v[130:131]
	ds_read2_b64 v[130:133], v140 offset0:50 offset1:51
	;; [unrolled: 8-line block ×8, first 2 shown]
	s_waitcnt lgkmcnt(0)
	v_mul_f64 v[40:41], v[132:133], v[222:223]
	v_fma_f64 v[40:41], v[130:131], v[38:39], -v[40:41]
	v_mul_f64 v[130:131], v[130:131], v[222:223]
	v_add_f64 v[2:3], v[2:3], -v[40:41]
	v_fma_f64 v[130:131], v[132:133], v[38:39], v[130:131]
	v_mov_b32_e32 v40, v222
	v_mov_b32_e32 v41, v223
	v_add_f64 v[4:5], v[4:5], -v[130:131]
.LBB63_208:
	s_or_b32 exec_lo, exec_lo, s1
	s_mov_b32 s2, exec_lo
	s_waitcnt lgkmcnt(0)
	s_barrier
	buffer_gl0_inv
	v_cmpx_eq_u32_e32 23, v0
	s_cbranch_execz .LBB63_215
; %bb.209:
	ds_write2_b64 v1, v[34:35], v[36:37] offset1:1
	ds_write2_b64 v140, v[30:31], v[32:33] offset0:48 offset1:49
	ds_write2_b64 v140, v[26:27], v[28:29] offset0:50 offset1:51
	;; [unrolled: 1-line block ×8, first 2 shown]
	ds_read2_b64 v[130:133], v1 offset1:1
	s_waitcnt lgkmcnt(0)
	v_cmp_neq_f64_e32 vcc_lo, 0, v[130:131]
	v_cmp_neq_f64_e64 s1, 0, v[132:133]
	s_or_b32 s1, vcc_lo, s1
	s_and_b32 exec_lo, exec_lo, s1
	s_cbranch_execz .LBB63_215
; %bb.210:
	v_cmp_ngt_f64_e64 s1, |v[130:131]|, |v[132:133]|
                                        ; implicit-def: $vgpr222_vgpr223
	s_and_saveexec_b32 s3, s1
	s_xor_b32 s1, exec_lo, s3
                                        ; implicit-def: $vgpr224_vgpr225
	s_cbranch_execz .LBB63_212
; %bb.211:
	v_div_scale_f64 v[222:223], null, v[132:133], v[132:133], v[130:131]
	v_div_scale_f64 v[228:229], vcc_lo, v[130:131], v[132:133], v[130:131]
	v_rcp_f64_e32 v[224:225], v[222:223]
	v_fma_f64 v[226:227], -v[222:223], v[224:225], 1.0
	v_fma_f64 v[224:225], v[224:225], v[226:227], v[224:225]
	v_fma_f64 v[226:227], -v[222:223], v[224:225], 1.0
	v_fma_f64 v[224:225], v[224:225], v[226:227], v[224:225]
	v_mul_f64 v[226:227], v[228:229], v[224:225]
	v_fma_f64 v[222:223], -v[222:223], v[226:227], v[228:229]
	v_div_fmas_f64 v[222:223], v[222:223], v[224:225], v[226:227]
	v_div_fixup_f64 v[222:223], v[222:223], v[132:133], v[130:131]
	v_fma_f64 v[130:131], v[130:131], v[222:223], v[132:133]
	v_div_scale_f64 v[132:133], null, v[130:131], v[130:131], 1.0
	v_rcp_f64_e32 v[224:225], v[132:133]
	v_fma_f64 v[226:227], -v[132:133], v[224:225], 1.0
	v_fma_f64 v[224:225], v[224:225], v[226:227], v[224:225]
	v_fma_f64 v[226:227], -v[132:133], v[224:225], 1.0
	v_fma_f64 v[224:225], v[224:225], v[226:227], v[224:225]
	v_div_scale_f64 v[226:227], vcc_lo, 1.0, v[130:131], 1.0
	v_mul_f64 v[228:229], v[226:227], v[224:225]
	v_fma_f64 v[132:133], -v[132:133], v[228:229], v[226:227]
	v_div_fmas_f64 v[132:133], v[132:133], v[224:225], v[228:229]
	v_div_fixup_f64 v[224:225], v[132:133], v[130:131], 1.0
                                        ; implicit-def: $vgpr130_vgpr131
	v_mul_f64 v[222:223], v[222:223], v[224:225]
	v_xor_b32_e32 v225, 0x80000000, v225
.LBB63_212:
	s_andn2_saveexec_b32 s1, s1
	s_cbranch_execz .LBB63_214
; %bb.213:
	v_div_scale_f64 v[222:223], null, v[130:131], v[130:131], v[132:133]
	v_div_scale_f64 v[228:229], vcc_lo, v[132:133], v[130:131], v[132:133]
	v_rcp_f64_e32 v[224:225], v[222:223]
	v_fma_f64 v[226:227], -v[222:223], v[224:225], 1.0
	v_fma_f64 v[224:225], v[224:225], v[226:227], v[224:225]
	v_fma_f64 v[226:227], -v[222:223], v[224:225], 1.0
	v_fma_f64 v[224:225], v[224:225], v[226:227], v[224:225]
	v_mul_f64 v[226:227], v[228:229], v[224:225]
	v_fma_f64 v[222:223], -v[222:223], v[226:227], v[228:229]
	v_div_fmas_f64 v[222:223], v[222:223], v[224:225], v[226:227]
	v_div_fixup_f64 v[224:225], v[222:223], v[130:131], v[132:133]
	v_fma_f64 v[130:131], v[132:133], v[224:225], v[130:131]
	v_div_scale_f64 v[132:133], null, v[130:131], v[130:131], 1.0
	v_rcp_f64_e32 v[222:223], v[132:133]
	v_fma_f64 v[226:227], -v[132:133], v[222:223], 1.0
	v_fma_f64 v[222:223], v[222:223], v[226:227], v[222:223]
	v_fma_f64 v[226:227], -v[132:133], v[222:223], 1.0
	v_fma_f64 v[222:223], v[222:223], v[226:227], v[222:223]
	v_div_scale_f64 v[226:227], vcc_lo, 1.0, v[130:131], 1.0
	v_mul_f64 v[228:229], v[226:227], v[222:223]
	v_fma_f64 v[132:133], -v[132:133], v[228:229], v[226:227]
	v_div_fmas_f64 v[132:133], v[132:133], v[222:223], v[228:229]
	v_div_fixup_f64 v[222:223], v[132:133], v[130:131], 1.0
	v_mul_f64 v[224:225], v[224:225], -v[222:223]
.LBB63_214:
	s_or_b32 exec_lo, exec_lo, s1
	ds_write2_b64 v1, v[222:223], v[224:225] offset1:1
.LBB63_215:
	s_or_b32 exec_lo, exec_lo, s2
	s_waitcnt lgkmcnt(0)
	s_barrier
	buffer_gl0_inv
	ds_read2_b64 v[222:225], v1 offset1:1
	s_mov_b32 s1, exec_lo
	v_cmpx_lt_u32_e32 23, v0
	s_cbranch_execz .LBB63_217
; %bb.216:
	s_waitcnt lgkmcnt(0)
	v_mul_f64 v[130:131], v[222:223], v[36:37]
	v_mul_f64 v[36:37], v[224:225], v[36:37]
	v_fma_f64 v[226:227], v[224:225], v[34:35], v[130:131]
	ds_read2_b64 v[130:133], v140 offset0:48 offset1:49
	v_fma_f64 v[34:35], v[222:223], v[34:35], -v[36:37]
	s_waitcnt lgkmcnt(0)
	v_mul_f64 v[36:37], v[132:133], v[226:227]
	v_fma_f64 v[36:37], v[130:131], v[34:35], -v[36:37]
	v_mul_f64 v[130:131], v[130:131], v[226:227]
	v_add_f64 v[30:31], v[30:31], -v[36:37]
	v_fma_f64 v[130:131], v[132:133], v[34:35], v[130:131]
	v_add_f64 v[32:33], v[32:33], -v[130:131]
	ds_read2_b64 v[130:133], v140 offset0:50 offset1:51
	s_waitcnt lgkmcnt(0)
	v_mul_f64 v[36:37], v[132:133], v[226:227]
	v_fma_f64 v[36:37], v[130:131], v[34:35], -v[36:37]
	v_mul_f64 v[130:131], v[130:131], v[226:227]
	v_add_f64 v[26:27], v[26:27], -v[36:37]
	v_fma_f64 v[130:131], v[132:133], v[34:35], v[130:131]
	v_add_f64 v[28:29], v[28:29], -v[130:131]
	ds_read2_b64 v[130:133], v140 offset0:52 offset1:53
	;; [unrolled: 8-line block ×7, first 2 shown]
	s_waitcnt lgkmcnt(0)
	v_mul_f64 v[36:37], v[132:133], v[226:227]
	v_fma_f64 v[36:37], v[130:131], v[34:35], -v[36:37]
	v_mul_f64 v[130:131], v[130:131], v[226:227]
	v_add_f64 v[2:3], v[2:3], -v[36:37]
	v_fma_f64 v[130:131], v[132:133], v[34:35], v[130:131]
	v_mov_b32_e32 v36, v226
	v_mov_b32_e32 v37, v227
	v_add_f64 v[4:5], v[4:5], -v[130:131]
.LBB63_217:
	s_or_b32 exec_lo, exec_lo, s1
	s_mov_b32 s2, exec_lo
	s_waitcnt lgkmcnt(0)
	s_barrier
	buffer_gl0_inv
	v_cmpx_eq_u32_e32 24, v0
	s_cbranch_execz .LBB63_224
; %bb.218:
	ds_write2_b64 v1, v[30:31], v[32:33] offset1:1
	ds_write2_b64 v140, v[26:27], v[28:29] offset0:50 offset1:51
	ds_write2_b64 v140, v[22:23], v[24:25] offset0:52 offset1:53
	;; [unrolled: 1-line block ×7, first 2 shown]
	ds_read2_b64 v[130:133], v1 offset1:1
	s_waitcnt lgkmcnt(0)
	v_cmp_neq_f64_e32 vcc_lo, 0, v[130:131]
	v_cmp_neq_f64_e64 s1, 0, v[132:133]
	s_or_b32 s1, vcc_lo, s1
	s_and_b32 exec_lo, exec_lo, s1
	s_cbranch_execz .LBB63_224
; %bb.219:
	v_cmp_ngt_f64_e64 s1, |v[130:131]|, |v[132:133]|
                                        ; implicit-def: $vgpr226_vgpr227
	s_and_saveexec_b32 s3, s1
	s_xor_b32 s1, exec_lo, s3
                                        ; implicit-def: $vgpr228_vgpr229
	s_cbranch_execz .LBB63_221
; %bb.220:
	v_div_scale_f64 v[226:227], null, v[132:133], v[132:133], v[130:131]
	v_div_scale_f64 v[232:233], vcc_lo, v[130:131], v[132:133], v[130:131]
	v_rcp_f64_e32 v[228:229], v[226:227]
	v_fma_f64 v[230:231], -v[226:227], v[228:229], 1.0
	v_fma_f64 v[228:229], v[228:229], v[230:231], v[228:229]
	v_fma_f64 v[230:231], -v[226:227], v[228:229], 1.0
	v_fma_f64 v[228:229], v[228:229], v[230:231], v[228:229]
	v_mul_f64 v[230:231], v[232:233], v[228:229]
	v_fma_f64 v[226:227], -v[226:227], v[230:231], v[232:233]
	v_div_fmas_f64 v[226:227], v[226:227], v[228:229], v[230:231]
	v_div_fixup_f64 v[226:227], v[226:227], v[132:133], v[130:131]
	v_fma_f64 v[130:131], v[130:131], v[226:227], v[132:133]
	v_div_scale_f64 v[132:133], null, v[130:131], v[130:131], 1.0
	v_rcp_f64_e32 v[228:229], v[132:133]
	v_fma_f64 v[230:231], -v[132:133], v[228:229], 1.0
	v_fma_f64 v[228:229], v[228:229], v[230:231], v[228:229]
	v_fma_f64 v[230:231], -v[132:133], v[228:229], 1.0
	v_fma_f64 v[228:229], v[228:229], v[230:231], v[228:229]
	v_div_scale_f64 v[230:231], vcc_lo, 1.0, v[130:131], 1.0
	v_mul_f64 v[232:233], v[230:231], v[228:229]
	v_fma_f64 v[132:133], -v[132:133], v[232:233], v[230:231]
	v_div_fmas_f64 v[132:133], v[132:133], v[228:229], v[232:233]
	v_div_fixup_f64 v[228:229], v[132:133], v[130:131], 1.0
                                        ; implicit-def: $vgpr130_vgpr131
	v_mul_f64 v[226:227], v[226:227], v[228:229]
	v_xor_b32_e32 v229, 0x80000000, v229
.LBB63_221:
	s_andn2_saveexec_b32 s1, s1
	s_cbranch_execz .LBB63_223
; %bb.222:
	v_div_scale_f64 v[226:227], null, v[130:131], v[130:131], v[132:133]
	v_div_scale_f64 v[232:233], vcc_lo, v[132:133], v[130:131], v[132:133]
	v_rcp_f64_e32 v[228:229], v[226:227]
	v_fma_f64 v[230:231], -v[226:227], v[228:229], 1.0
	v_fma_f64 v[228:229], v[228:229], v[230:231], v[228:229]
	v_fma_f64 v[230:231], -v[226:227], v[228:229], 1.0
	v_fma_f64 v[228:229], v[228:229], v[230:231], v[228:229]
	v_mul_f64 v[230:231], v[232:233], v[228:229]
	v_fma_f64 v[226:227], -v[226:227], v[230:231], v[232:233]
	v_div_fmas_f64 v[226:227], v[226:227], v[228:229], v[230:231]
	v_div_fixup_f64 v[228:229], v[226:227], v[130:131], v[132:133]
	v_fma_f64 v[130:131], v[132:133], v[228:229], v[130:131]
	v_div_scale_f64 v[132:133], null, v[130:131], v[130:131], 1.0
	v_rcp_f64_e32 v[226:227], v[132:133]
	v_fma_f64 v[230:231], -v[132:133], v[226:227], 1.0
	v_fma_f64 v[226:227], v[226:227], v[230:231], v[226:227]
	v_fma_f64 v[230:231], -v[132:133], v[226:227], 1.0
	v_fma_f64 v[226:227], v[226:227], v[230:231], v[226:227]
	v_div_scale_f64 v[230:231], vcc_lo, 1.0, v[130:131], 1.0
	v_mul_f64 v[232:233], v[230:231], v[226:227]
	v_fma_f64 v[132:133], -v[132:133], v[232:233], v[230:231]
	v_div_fmas_f64 v[132:133], v[132:133], v[226:227], v[232:233]
	v_div_fixup_f64 v[226:227], v[132:133], v[130:131], 1.0
	v_mul_f64 v[228:229], v[228:229], -v[226:227]
.LBB63_223:
	s_or_b32 exec_lo, exec_lo, s1
	ds_write2_b64 v1, v[226:227], v[228:229] offset1:1
.LBB63_224:
	s_or_b32 exec_lo, exec_lo, s2
	s_waitcnt lgkmcnt(0)
	s_barrier
	buffer_gl0_inv
	ds_read2_b64 v[226:229], v1 offset1:1
	s_mov_b32 s1, exec_lo
	v_cmpx_lt_u32_e32 24, v0
	s_cbranch_execz .LBB63_226
; %bb.225:
	s_waitcnt lgkmcnt(0)
	v_mul_f64 v[130:131], v[226:227], v[32:33]
	v_mul_f64 v[32:33], v[228:229], v[32:33]
	v_fma_f64 v[230:231], v[228:229], v[30:31], v[130:131]
	ds_read2_b64 v[130:133], v140 offset0:50 offset1:51
	v_fma_f64 v[30:31], v[226:227], v[30:31], -v[32:33]
	s_waitcnt lgkmcnt(0)
	v_mul_f64 v[32:33], v[132:133], v[230:231]
	v_fma_f64 v[32:33], v[130:131], v[30:31], -v[32:33]
	v_mul_f64 v[130:131], v[130:131], v[230:231]
	v_add_f64 v[26:27], v[26:27], -v[32:33]
	v_fma_f64 v[130:131], v[132:133], v[30:31], v[130:131]
	v_add_f64 v[28:29], v[28:29], -v[130:131]
	ds_read2_b64 v[130:133], v140 offset0:52 offset1:53
	s_waitcnt lgkmcnt(0)
	v_mul_f64 v[32:33], v[132:133], v[230:231]
	v_fma_f64 v[32:33], v[130:131], v[30:31], -v[32:33]
	v_mul_f64 v[130:131], v[130:131], v[230:231]
	v_add_f64 v[22:23], v[22:23], -v[32:33]
	v_fma_f64 v[130:131], v[132:133], v[30:31], v[130:131]
	v_add_f64 v[24:25], v[24:25], -v[130:131]
	ds_read2_b64 v[130:133], v140 offset0:54 offset1:55
	;; [unrolled: 8-line block ×6, first 2 shown]
	s_waitcnt lgkmcnt(0)
	v_mul_f64 v[32:33], v[132:133], v[230:231]
	v_fma_f64 v[32:33], v[130:131], v[30:31], -v[32:33]
	v_mul_f64 v[130:131], v[130:131], v[230:231]
	v_add_f64 v[2:3], v[2:3], -v[32:33]
	v_fma_f64 v[130:131], v[132:133], v[30:31], v[130:131]
	v_mov_b32_e32 v32, v230
	v_mov_b32_e32 v33, v231
	v_add_f64 v[4:5], v[4:5], -v[130:131]
.LBB63_226:
	s_or_b32 exec_lo, exec_lo, s1
	s_mov_b32 s2, exec_lo
	s_waitcnt lgkmcnt(0)
	s_barrier
	buffer_gl0_inv
	v_cmpx_eq_u32_e32 25, v0
	s_cbranch_execz .LBB63_233
; %bb.227:
	ds_write2_b64 v1, v[26:27], v[28:29] offset1:1
	ds_write2_b64 v140, v[22:23], v[24:25] offset0:52 offset1:53
	ds_write2_b64 v140, v[18:19], v[20:21] offset0:54 offset1:55
	ds_write2_b64 v140, v[14:15], v[16:17] offset0:56 offset1:57
	ds_write2_b64 v140, v[10:11], v[12:13] offset0:58 offset1:59
	ds_write2_b64 v140, v[6:7], v[8:9] offset0:60 offset1:61
	ds_write2_b64 v140, v[2:3], v[4:5] offset0:62 offset1:63
	ds_read2_b64 v[130:133], v1 offset1:1
	s_waitcnt lgkmcnt(0)
	v_cmp_neq_f64_e32 vcc_lo, 0, v[130:131]
	v_cmp_neq_f64_e64 s1, 0, v[132:133]
	s_or_b32 s1, vcc_lo, s1
	s_and_b32 exec_lo, exec_lo, s1
	s_cbranch_execz .LBB63_233
; %bb.228:
	v_cmp_ngt_f64_e64 s1, |v[130:131]|, |v[132:133]|
                                        ; implicit-def: $vgpr230_vgpr231
	s_and_saveexec_b32 s3, s1
	s_xor_b32 s1, exec_lo, s3
                                        ; implicit-def: $vgpr232_vgpr233
	s_cbranch_execz .LBB63_230
; %bb.229:
	v_div_scale_f64 v[230:231], null, v[132:133], v[132:133], v[130:131]
	v_div_scale_f64 v[236:237], vcc_lo, v[130:131], v[132:133], v[130:131]
	v_rcp_f64_e32 v[232:233], v[230:231]
	v_fma_f64 v[234:235], -v[230:231], v[232:233], 1.0
	v_fma_f64 v[232:233], v[232:233], v[234:235], v[232:233]
	v_fma_f64 v[234:235], -v[230:231], v[232:233], 1.0
	v_fma_f64 v[232:233], v[232:233], v[234:235], v[232:233]
	v_mul_f64 v[234:235], v[236:237], v[232:233]
	v_fma_f64 v[230:231], -v[230:231], v[234:235], v[236:237]
	v_div_fmas_f64 v[230:231], v[230:231], v[232:233], v[234:235]
	v_div_fixup_f64 v[230:231], v[230:231], v[132:133], v[130:131]
	v_fma_f64 v[130:131], v[130:131], v[230:231], v[132:133]
	v_div_scale_f64 v[132:133], null, v[130:131], v[130:131], 1.0
	v_rcp_f64_e32 v[232:233], v[132:133]
	v_fma_f64 v[234:235], -v[132:133], v[232:233], 1.0
	v_fma_f64 v[232:233], v[232:233], v[234:235], v[232:233]
	v_fma_f64 v[234:235], -v[132:133], v[232:233], 1.0
	v_fma_f64 v[232:233], v[232:233], v[234:235], v[232:233]
	v_div_scale_f64 v[234:235], vcc_lo, 1.0, v[130:131], 1.0
	v_mul_f64 v[236:237], v[234:235], v[232:233]
	v_fma_f64 v[132:133], -v[132:133], v[236:237], v[234:235]
	v_div_fmas_f64 v[132:133], v[132:133], v[232:233], v[236:237]
	v_div_fixup_f64 v[232:233], v[132:133], v[130:131], 1.0
                                        ; implicit-def: $vgpr130_vgpr131
	v_mul_f64 v[230:231], v[230:231], v[232:233]
	v_xor_b32_e32 v233, 0x80000000, v233
.LBB63_230:
	s_andn2_saveexec_b32 s1, s1
	s_cbranch_execz .LBB63_232
; %bb.231:
	v_div_scale_f64 v[230:231], null, v[130:131], v[130:131], v[132:133]
	v_div_scale_f64 v[236:237], vcc_lo, v[132:133], v[130:131], v[132:133]
	v_rcp_f64_e32 v[232:233], v[230:231]
	v_fma_f64 v[234:235], -v[230:231], v[232:233], 1.0
	v_fma_f64 v[232:233], v[232:233], v[234:235], v[232:233]
	v_fma_f64 v[234:235], -v[230:231], v[232:233], 1.0
	v_fma_f64 v[232:233], v[232:233], v[234:235], v[232:233]
	v_mul_f64 v[234:235], v[236:237], v[232:233]
	v_fma_f64 v[230:231], -v[230:231], v[234:235], v[236:237]
	v_div_fmas_f64 v[230:231], v[230:231], v[232:233], v[234:235]
	v_div_fixup_f64 v[232:233], v[230:231], v[130:131], v[132:133]
	v_fma_f64 v[130:131], v[132:133], v[232:233], v[130:131]
	v_div_scale_f64 v[132:133], null, v[130:131], v[130:131], 1.0
	v_rcp_f64_e32 v[230:231], v[132:133]
	v_fma_f64 v[234:235], -v[132:133], v[230:231], 1.0
	v_fma_f64 v[230:231], v[230:231], v[234:235], v[230:231]
	v_fma_f64 v[234:235], -v[132:133], v[230:231], 1.0
	v_fma_f64 v[230:231], v[230:231], v[234:235], v[230:231]
	v_div_scale_f64 v[234:235], vcc_lo, 1.0, v[130:131], 1.0
	v_mul_f64 v[236:237], v[234:235], v[230:231]
	v_fma_f64 v[132:133], -v[132:133], v[236:237], v[234:235]
	v_div_fmas_f64 v[132:133], v[132:133], v[230:231], v[236:237]
	v_div_fixup_f64 v[230:231], v[132:133], v[130:131], 1.0
	v_mul_f64 v[232:233], v[232:233], -v[230:231]
.LBB63_232:
	s_or_b32 exec_lo, exec_lo, s1
	ds_write2_b64 v1, v[230:231], v[232:233] offset1:1
.LBB63_233:
	s_or_b32 exec_lo, exec_lo, s2
	s_waitcnt lgkmcnt(0)
	s_barrier
	buffer_gl0_inv
	ds_read2_b64 v[230:233], v1 offset1:1
	s_mov_b32 s1, exec_lo
	v_cmpx_lt_u32_e32 25, v0
	s_cbranch_execz .LBB63_235
; %bb.234:
	s_waitcnt lgkmcnt(0)
	v_mul_f64 v[130:131], v[230:231], v[28:29]
	v_mul_f64 v[28:29], v[232:233], v[28:29]
	v_fma_f64 v[234:235], v[232:233], v[26:27], v[130:131]
	ds_read2_b64 v[130:133], v140 offset0:52 offset1:53
	v_fma_f64 v[26:27], v[230:231], v[26:27], -v[28:29]
	s_waitcnt lgkmcnt(0)
	v_mul_f64 v[28:29], v[132:133], v[234:235]
	v_fma_f64 v[28:29], v[130:131], v[26:27], -v[28:29]
	v_mul_f64 v[130:131], v[130:131], v[234:235]
	v_add_f64 v[22:23], v[22:23], -v[28:29]
	v_fma_f64 v[130:131], v[132:133], v[26:27], v[130:131]
	v_add_f64 v[24:25], v[24:25], -v[130:131]
	ds_read2_b64 v[130:133], v140 offset0:54 offset1:55
	s_waitcnt lgkmcnt(0)
	v_mul_f64 v[28:29], v[132:133], v[234:235]
	v_fma_f64 v[28:29], v[130:131], v[26:27], -v[28:29]
	v_mul_f64 v[130:131], v[130:131], v[234:235]
	v_add_f64 v[18:19], v[18:19], -v[28:29]
	v_fma_f64 v[130:131], v[132:133], v[26:27], v[130:131]
	v_add_f64 v[20:21], v[20:21], -v[130:131]
	ds_read2_b64 v[130:133], v140 offset0:56 offset1:57
	;; [unrolled: 8-line block ×5, first 2 shown]
	s_waitcnt lgkmcnt(0)
	v_mul_f64 v[28:29], v[132:133], v[234:235]
	v_fma_f64 v[28:29], v[130:131], v[26:27], -v[28:29]
	v_mul_f64 v[130:131], v[130:131], v[234:235]
	v_add_f64 v[2:3], v[2:3], -v[28:29]
	v_fma_f64 v[130:131], v[132:133], v[26:27], v[130:131]
	v_mov_b32_e32 v28, v234
	v_mov_b32_e32 v29, v235
	v_add_f64 v[4:5], v[4:5], -v[130:131]
.LBB63_235:
	s_or_b32 exec_lo, exec_lo, s1
	s_mov_b32 s2, exec_lo
	s_waitcnt lgkmcnt(0)
	s_barrier
	buffer_gl0_inv
	v_cmpx_eq_u32_e32 26, v0
	s_cbranch_execz .LBB63_242
; %bb.236:
	ds_write2_b64 v1, v[22:23], v[24:25] offset1:1
	ds_write2_b64 v140, v[18:19], v[20:21] offset0:54 offset1:55
	ds_write2_b64 v140, v[14:15], v[16:17] offset0:56 offset1:57
	;; [unrolled: 1-line block ×5, first 2 shown]
	ds_read2_b64 v[130:133], v1 offset1:1
	s_waitcnt lgkmcnt(0)
	v_cmp_neq_f64_e32 vcc_lo, 0, v[130:131]
	v_cmp_neq_f64_e64 s1, 0, v[132:133]
	s_or_b32 s1, vcc_lo, s1
	s_and_b32 exec_lo, exec_lo, s1
	s_cbranch_execz .LBB63_242
; %bb.237:
	v_cmp_ngt_f64_e64 s1, |v[130:131]|, |v[132:133]|
                                        ; implicit-def: $vgpr234_vgpr235
	s_and_saveexec_b32 s3, s1
	s_xor_b32 s1, exec_lo, s3
                                        ; implicit-def: $vgpr236_vgpr237
	s_cbranch_execz .LBB63_239
; %bb.238:
	v_div_scale_f64 v[234:235], null, v[132:133], v[132:133], v[130:131]
	v_div_scale_f64 v[240:241], vcc_lo, v[130:131], v[132:133], v[130:131]
	v_rcp_f64_e32 v[236:237], v[234:235]
	v_fma_f64 v[238:239], -v[234:235], v[236:237], 1.0
	v_fma_f64 v[236:237], v[236:237], v[238:239], v[236:237]
	v_fma_f64 v[238:239], -v[234:235], v[236:237], 1.0
	v_fma_f64 v[236:237], v[236:237], v[238:239], v[236:237]
	v_mul_f64 v[238:239], v[240:241], v[236:237]
	v_fma_f64 v[234:235], -v[234:235], v[238:239], v[240:241]
	v_div_fmas_f64 v[234:235], v[234:235], v[236:237], v[238:239]
	v_div_fixup_f64 v[234:235], v[234:235], v[132:133], v[130:131]
	v_fma_f64 v[130:131], v[130:131], v[234:235], v[132:133]
	v_div_scale_f64 v[132:133], null, v[130:131], v[130:131], 1.0
	v_rcp_f64_e32 v[236:237], v[132:133]
	v_fma_f64 v[238:239], -v[132:133], v[236:237], 1.0
	v_fma_f64 v[236:237], v[236:237], v[238:239], v[236:237]
	v_fma_f64 v[238:239], -v[132:133], v[236:237], 1.0
	v_fma_f64 v[236:237], v[236:237], v[238:239], v[236:237]
	v_div_scale_f64 v[238:239], vcc_lo, 1.0, v[130:131], 1.0
	v_mul_f64 v[240:241], v[238:239], v[236:237]
	v_fma_f64 v[132:133], -v[132:133], v[240:241], v[238:239]
	v_div_fmas_f64 v[132:133], v[132:133], v[236:237], v[240:241]
	v_div_fixup_f64 v[236:237], v[132:133], v[130:131], 1.0
                                        ; implicit-def: $vgpr130_vgpr131
	v_mul_f64 v[234:235], v[234:235], v[236:237]
	v_xor_b32_e32 v237, 0x80000000, v237
.LBB63_239:
	s_andn2_saveexec_b32 s1, s1
	s_cbranch_execz .LBB63_241
; %bb.240:
	v_div_scale_f64 v[234:235], null, v[130:131], v[130:131], v[132:133]
	v_div_scale_f64 v[240:241], vcc_lo, v[132:133], v[130:131], v[132:133]
	v_rcp_f64_e32 v[236:237], v[234:235]
	v_fma_f64 v[238:239], -v[234:235], v[236:237], 1.0
	v_fma_f64 v[236:237], v[236:237], v[238:239], v[236:237]
	v_fma_f64 v[238:239], -v[234:235], v[236:237], 1.0
	v_fma_f64 v[236:237], v[236:237], v[238:239], v[236:237]
	v_mul_f64 v[238:239], v[240:241], v[236:237]
	v_fma_f64 v[234:235], -v[234:235], v[238:239], v[240:241]
	v_div_fmas_f64 v[234:235], v[234:235], v[236:237], v[238:239]
	v_div_fixup_f64 v[236:237], v[234:235], v[130:131], v[132:133]
	v_fma_f64 v[130:131], v[132:133], v[236:237], v[130:131]
	v_div_scale_f64 v[132:133], null, v[130:131], v[130:131], 1.0
	v_rcp_f64_e32 v[234:235], v[132:133]
	v_fma_f64 v[238:239], -v[132:133], v[234:235], 1.0
	v_fma_f64 v[234:235], v[234:235], v[238:239], v[234:235]
	v_fma_f64 v[238:239], -v[132:133], v[234:235], 1.0
	v_fma_f64 v[234:235], v[234:235], v[238:239], v[234:235]
	v_div_scale_f64 v[238:239], vcc_lo, 1.0, v[130:131], 1.0
	v_mul_f64 v[240:241], v[238:239], v[234:235]
	v_fma_f64 v[132:133], -v[132:133], v[240:241], v[238:239]
	v_div_fmas_f64 v[132:133], v[132:133], v[234:235], v[240:241]
	v_div_fixup_f64 v[234:235], v[132:133], v[130:131], 1.0
	v_mul_f64 v[236:237], v[236:237], -v[234:235]
.LBB63_241:
	s_or_b32 exec_lo, exec_lo, s1
	ds_write2_b64 v1, v[234:235], v[236:237] offset1:1
.LBB63_242:
	s_or_b32 exec_lo, exec_lo, s2
	s_waitcnt lgkmcnt(0)
	s_barrier
	buffer_gl0_inv
	ds_read2_b64 v[234:237], v1 offset1:1
	s_mov_b32 s1, exec_lo
	v_cmpx_lt_u32_e32 26, v0
	s_cbranch_execz .LBB63_244
; %bb.243:
	s_waitcnt lgkmcnt(0)
	v_mul_f64 v[130:131], v[234:235], v[24:25]
	v_mul_f64 v[24:25], v[236:237], v[24:25]
	v_fma_f64 v[238:239], v[236:237], v[22:23], v[130:131]
	ds_read2_b64 v[130:133], v140 offset0:54 offset1:55
	v_fma_f64 v[22:23], v[234:235], v[22:23], -v[24:25]
	s_waitcnt lgkmcnt(0)
	v_mul_f64 v[24:25], v[132:133], v[238:239]
	v_fma_f64 v[24:25], v[130:131], v[22:23], -v[24:25]
	v_mul_f64 v[130:131], v[130:131], v[238:239]
	v_add_f64 v[18:19], v[18:19], -v[24:25]
	v_fma_f64 v[130:131], v[132:133], v[22:23], v[130:131]
	v_add_f64 v[20:21], v[20:21], -v[130:131]
	ds_read2_b64 v[130:133], v140 offset0:56 offset1:57
	s_waitcnt lgkmcnt(0)
	v_mul_f64 v[24:25], v[132:133], v[238:239]
	v_fma_f64 v[24:25], v[130:131], v[22:23], -v[24:25]
	v_mul_f64 v[130:131], v[130:131], v[238:239]
	v_add_f64 v[14:15], v[14:15], -v[24:25]
	v_fma_f64 v[130:131], v[132:133], v[22:23], v[130:131]
	v_add_f64 v[16:17], v[16:17], -v[130:131]
	ds_read2_b64 v[130:133], v140 offset0:58 offset1:59
	s_waitcnt lgkmcnt(0)
	v_mul_f64 v[24:25], v[132:133], v[238:239]
	v_fma_f64 v[24:25], v[130:131], v[22:23], -v[24:25]
	v_mul_f64 v[130:131], v[130:131], v[238:239]
	v_add_f64 v[10:11], v[10:11], -v[24:25]
	v_fma_f64 v[130:131], v[132:133], v[22:23], v[130:131]
	v_add_f64 v[12:13], v[12:13], -v[130:131]
	ds_read2_b64 v[130:133], v140 offset0:60 offset1:61
	s_waitcnt lgkmcnt(0)
	v_mul_f64 v[24:25], v[132:133], v[238:239]
	v_fma_f64 v[24:25], v[130:131], v[22:23], -v[24:25]
	v_mul_f64 v[130:131], v[130:131], v[238:239]
	v_add_f64 v[6:7], v[6:7], -v[24:25]
	v_fma_f64 v[130:131], v[132:133], v[22:23], v[130:131]
	v_add_f64 v[8:9], v[8:9], -v[130:131]
	ds_read2_b64 v[130:133], v140 offset0:62 offset1:63
	s_waitcnt lgkmcnt(0)
	v_mul_f64 v[24:25], v[132:133], v[238:239]
	v_fma_f64 v[24:25], v[130:131], v[22:23], -v[24:25]
	v_mul_f64 v[130:131], v[130:131], v[238:239]
	v_add_f64 v[2:3], v[2:3], -v[24:25]
	v_fma_f64 v[130:131], v[132:133], v[22:23], v[130:131]
	v_mov_b32_e32 v24, v238
	v_mov_b32_e32 v25, v239
	v_add_f64 v[4:5], v[4:5], -v[130:131]
.LBB63_244:
	s_or_b32 exec_lo, exec_lo, s1
	s_mov_b32 s2, exec_lo
	s_waitcnt lgkmcnt(0)
	s_barrier
	buffer_gl0_inv
	v_cmpx_eq_u32_e32 27, v0
	s_cbranch_execz .LBB63_251
; %bb.245:
	ds_write2_b64 v1, v[18:19], v[20:21] offset1:1
	ds_write2_b64 v140, v[14:15], v[16:17] offset0:56 offset1:57
	ds_write2_b64 v140, v[10:11], v[12:13] offset0:58 offset1:59
	;; [unrolled: 1-line block ×4, first 2 shown]
	ds_read2_b64 v[130:133], v1 offset1:1
	s_waitcnt lgkmcnt(0)
	v_cmp_neq_f64_e32 vcc_lo, 0, v[130:131]
	v_cmp_neq_f64_e64 s1, 0, v[132:133]
	s_or_b32 s1, vcc_lo, s1
	s_and_b32 exec_lo, exec_lo, s1
	s_cbranch_execz .LBB63_251
; %bb.246:
	v_cmp_ngt_f64_e64 s1, |v[130:131]|, |v[132:133]|
                                        ; implicit-def: $vgpr238_vgpr239
	s_and_saveexec_b32 s3, s1
	s_xor_b32 s1, exec_lo, s3
                                        ; implicit-def: $vgpr240_vgpr241
	s_cbranch_execz .LBB63_248
; %bb.247:
	v_div_scale_f64 v[238:239], null, v[132:133], v[132:133], v[130:131]
	v_div_scale_f64 v[244:245], vcc_lo, v[130:131], v[132:133], v[130:131]
	v_rcp_f64_e32 v[240:241], v[238:239]
	v_fma_f64 v[242:243], -v[238:239], v[240:241], 1.0
	v_fma_f64 v[240:241], v[240:241], v[242:243], v[240:241]
	v_fma_f64 v[242:243], -v[238:239], v[240:241], 1.0
	v_fma_f64 v[240:241], v[240:241], v[242:243], v[240:241]
	v_mul_f64 v[242:243], v[244:245], v[240:241]
	v_fma_f64 v[238:239], -v[238:239], v[242:243], v[244:245]
	v_div_fmas_f64 v[238:239], v[238:239], v[240:241], v[242:243]
	v_div_fixup_f64 v[238:239], v[238:239], v[132:133], v[130:131]
	v_fma_f64 v[130:131], v[130:131], v[238:239], v[132:133]
	v_div_scale_f64 v[132:133], null, v[130:131], v[130:131], 1.0
	v_rcp_f64_e32 v[240:241], v[132:133]
	v_fma_f64 v[242:243], -v[132:133], v[240:241], 1.0
	v_fma_f64 v[240:241], v[240:241], v[242:243], v[240:241]
	v_fma_f64 v[242:243], -v[132:133], v[240:241], 1.0
	v_fma_f64 v[240:241], v[240:241], v[242:243], v[240:241]
	v_div_scale_f64 v[242:243], vcc_lo, 1.0, v[130:131], 1.0
	v_mul_f64 v[244:245], v[242:243], v[240:241]
	v_fma_f64 v[132:133], -v[132:133], v[244:245], v[242:243]
	v_div_fmas_f64 v[132:133], v[132:133], v[240:241], v[244:245]
	v_div_fixup_f64 v[240:241], v[132:133], v[130:131], 1.0
                                        ; implicit-def: $vgpr130_vgpr131
	v_mul_f64 v[238:239], v[238:239], v[240:241]
	v_xor_b32_e32 v241, 0x80000000, v241
.LBB63_248:
	s_andn2_saveexec_b32 s1, s1
	s_cbranch_execz .LBB63_250
; %bb.249:
	v_div_scale_f64 v[238:239], null, v[130:131], v[130:131], v[132:133]
	v_div_scale_f64 v[244:245], vcc_lo, v[132:133], v[130:131], v[132:133]
	v_rcp_f64_e32 v[240:241], v[238:239]
	v_fma_f64 v[242:243], -v[238:239], v[240:241], 1.0
	v_fma_f64 v[240:241], v[240:241], v[242:243], v[240:241]
	v_fma_f64 v[242:243], -v[238:239], v[240:241], 1.0
	v_fma_f64 v[240:241], v[240:241], v[242:243], v[240:241]
	v_mul_f64 v[242:243], v[244:245], v[240:241]
	v_fma_f64 v[238:239], -v[238:239], v[242:243], v[244:245]
	v_div_fmas_f64 v[238:239], v[238:239], v[240:241], v[242:243]
	v_div_fixup_f64 v[240:241], v[238:239], v[130:131], v[132:133]
	v_fma_f64 v[130:131], v[132:133], v[240:241], v[130:131]
	v_div_scale_f64 v[132:133], null, v[130:131], v[130:131], 1.0
	v_rcp_f64_e32 v[238:239], v[132:133]
	v_fma_f64 v[242:243], -v[132:133], v[238:239], 1.0
	v_fma_f64 v[238:239], v[238:239], v[242:243], v[238:239]
	v_fma_f64 v[242:243], -v[132:133], v[238:239], 1.0
	v_fma_f64 v[238:239], v[238:239], v[242:243], v[238:239]
	v_div_scale_f64 v[242:243], vcc_lo, 1.0, v[130:131], 1.0
	v_mul_f64 v[244:245], v[242:243], v[238:239]
	v_fma_f64 v[132:133], -v[132:133], v[244:245], v[242:243]
	v_div_fmas_f64 v[132:133], v[132:133], v[238:239], v[244:245]
	v_div_fixup_f64 v[238:239], v[132:133], v[130:131], 1.0
	v_mul_f64 v[240:241], v[240:241], -v[238:239]
.LBB63_250:
	s_or_b32 exec_lo, exec_lo, s1
	ds_write2_b64 v1, v[238:239], v[240:241] offset1:1
.LBB63_251:
	s_or_b32 exec_lo, exec_lo, s2
	s_waitcnt lgkmcnt(0)
	s_barrier
	buffer_gl0_inv
	ds_read2_b64 v[238:241], v1 offset1:1
	s_mov_b32 s1, exec_lo
	v_cmpx_lt_u32_e32 27, v0
	s_cbranch_execz .LBB63_253
; %bb.252:
	s_waitcnt lgkmcnt(0)
	v_mul_f64 v[130:131], v[238:239], v[20:21]
	v_mul_f64 v[20:21], v[240:241], v[20:21]
	v_fma_f64 v[242:243], v[240:241], v[18:19], v[130:131]
	ds_read2_b64 v[130:133], v140 offset0:56 offset1:57
	v_fma_f64 v[18:19], v[238:239], v[18:19], -v[20:21]
	s_waitcnt lgkmcnt(0)
	v_mul_f64 v[20:21], v[132:133], v[242:243]
	v_fma_f64 v[20:21], v[130:131], v[18:19], -v[20:21]
	v_mul_f64 v[130:131], v[130:131], v[242:243]
	v_add_f64 v[14:15], v[14:15], -v[20:21]
	v_fma_f64 v[130:131], v[132:133], v[18:19], v[130:131]
	v_add_f64 v[16:17], v[16:17], -v[130:131]
	ds_read2_b64 v[130:133], v140 offset0:58 offset1:59
	s_waitcnt lgkmcnt(0)
	v_mul_f64 v[20:21], v[132:133], v[242:243]
	v_fma_f64 v[20:21], v[130:131], v[18:19], -v[20:21]
	v_mul_f64 v[130:131], v[130:131], v[242:243]
	v_add_f64 v[10:11], v[10:11], -v[20:21]
	v_fma_f64 v[130:131], v[132:133], v[18:19], v[130:131]
	v_add_f64 v[12:13], v[12:13], -v[130:131]
	ds_read2_b64 v[130:133], v140 offset0:60 offset1:61
	;; [unrolled: 8-line block ×3, first 2 shown]
	s_waitcnt lgkmcnt(0)
	v_mul_f64 v[20:21], v[132:133], v[242:243]
	v_fma_f64 v[20:21], v[130:131], v[18:19], -v[20:21]
	v_mul_f64 v[130:131], v[130:131], v[242:243]
	v_add_f64 v[2:3], v[2:3], -v[20:21]
	v_fma_f64 v[130:131], v[132:133], v[18:19], v[130:131]
	v_mov_b32_e32 v20, v242
	v_mov_b32_e32 v21, v243
	v_add_f64 v[4:5], v[4:5], -v[130:131]
.LBB63_253:
	s_or_b32 exec_lo, exec_lo, s1
	s_mov_b32 s2, exec_lo
	s_waitcnt lgkmcnt(0)
	s_barrier
	buffer_gl0_inv
	v_cmpx_eq_u32_e32 28, v0
	s_cbranch_execz .LBB63_260
; %bb.254:
	ds_write2_b64 v1, v[14:15], v[16:17] offset1:1
	ds_write2_b64 v140, v[10:11], v[12:13] offset0:58 offset1:59
	ds_write2_b64 v140, v[6:7], v[8:9] offset0:60 offset1:61
	;; [unrolled: 1-line block ×3, first 2 shown]
	ds_read2_b64 v[130:133], v1 offset1:1
	s_waitcnt lgkmcnt(0)
	v_cmp_neq_f64_e32 vcc_lo, 0, v[130:131]
	v_cmp_neq_f64_e64 s1, 0, v[132:133]
	s_or_b32 s1, vcc_lo, s1
	s_and_b32 exec_lo, exec_lo, s1
	s_cbranch_execz .LBB63_260
; %bb.255:
	v_cmp_ngt_f64_e64 s1, |v[130:131]|, |v[132:133]|
                                        ; implicit-def: $vgpr242_vgpr243
	s_and_saveexec_b32 s3, s1
	s_xor_b32 s1, exec_lo, s3
                                        ; implicit-def: $vgpr244_vgpr245
	s_cbranch_execz .LBB63_257
; %bb.256:
	v_div_scale_f64 v[242:243], null, v[132:133], v[132:133], v[130:131]
	v_div_scale_f64 v[248:249], vcc_lo, v[130:131], v[132:133], v[130:131]
	v_rcp_f64_e32 v[244:245], v[242:243]
	v_fma_f64 v[246:247], -v[242:243], v[244:245], 1.0
	v_fma_f64 v[244:245], v[244:245], v[246:247], v[244:245]
	v_fma_f64 v[246:247], -v[242:243], v[244:245], 1.0
	v_fma_f64 v[244:245], v[244:245], v[246:247], v[244:245]
	v_mul_f64 v[246:247], v[248:249], v[244:245]
	v_fma_f64 v[242:243], -v[242:243], v[246:247], v[248:249]
	v_div_fmas_f64 v[242:243], v[242:243], v[244:245], v[246:247]
	v_div_fixup_f64 v[242:243], v[242:243], v[132:133], v[130:131]
	v_fma_f64 v[130:131], v[130:131], v[242:243], v[132:133]
	v_div_scale_f64 v[132:133], null, v[130:131], v[130:131], 1.0
	v_rcp_f64_e32 v[244:245], v[132:133]
	v_fma_f64 v[246:247], -v[132:133], v[244:245], 1.0
	v_fma_f64 v[244:245], v[244:245], v[246:247], v[244:245]
	v_fma_f64 v[246:247], -v[132:133], v[244:245], 1.0
	v_fma_f64 v[244:245], v[244:245], v[246:247], v[244:245]
	v_div_scale_f64 v[246:247], vcc_lo, 1.0, v[130:131], 1.0
	v_mul_f64 v[248:249], v[246:247], v[244:245]
	v_fma_f64 v[132:133], -v[132:133], v[248:249], v[246:247]
	v_div_fmas_f64 v[132:133], v[132:133], v[244:245], v[248:249]
	v_div_fixup_f64 v[244:245], v[132:133], v[130:131], 1.0
                                        ; implicit-def: $vgpr130_vgpr131
	v_mul_f64 v[242:243], v[242:243], v[244:245]
	v_xor_b32_e32 v245, 0x80000000, v245
.LBB63_257:
	s_andn2_saveexec_b32 s1, s1
	s_cbranch_execz .LBB63_259
; %bb.258:
	v_div_scale_f64 v[242:243], null, v[130:131], v[130:131], v[132:133]
	v_div_scale_f64 v[248:249], vcc_lo, v[132:133], v[130:131], v[132:133]
	v_rcp_f64_e32 v[244:245], v[242:243]
	v_fma_f64 v[246:247], -v[242:243], v[244:245], 1.0
	v_fma_f64 v[244:245], v[244:245], v[246:247], v[244:245]
	v_fma_f64 v[246:247], -v[242:243], v[244:245], 1.0
	v_fma_f64 v[244:245], v[244:245], v[246:247], v[244:245]
	v_mul_f64 v[246:247], v[248:249], v[244:245]
	v_fma_f64 v[242:243], -v[242:243], v[246:247], v[248:249]
	v_div_fmas_f64 v[242:243], v[242:243], v[244:245], v[246:247]
	v_div_fixup_f64 v[244:245], v[242:243], v[130:131], v[132:133]
	v_fma_f64 v[130:131], v[132:133], v[244:245], v[130:131]
	v_div_scale_f64 v[132:133], null, v[130:131], v[130:131], 1.0
	v_rcp_f64_e32 v[242:243], v[132:133]
	v_fma_f64 v[246:247], -v[132:133], v[242:243], 1.0
	v_fma_f64 v[242:243], v[242:243], v[246:247], v[242:243]
	v_fma_f64 v[246:247], -v[132:133], v[242:243], 1.0
	v_fma_f64 v[242:243], v[242:243], v[246:247], v[242:243]
	v_div_scale_f64 v[246:247], vcc_lo, 1.0, v[130:131], 1.0
	v_mul_f64 v[248:249], v[246:247], v[242:243]
	v_fma_f64 v[132:133], -v[132:133], v[248:249], v[246:247]
	v_div_fmas_f64 v[132:133], v[132:133], v[242:243], v[248:249]
	v_div_fixup_f64 v[242:243], v[132:133], v[130:131], 1.0
	v_mul_f64 v[244:245], v[244:245], -v[242:243]
.LBB63_259:
	s_or_b32 exec_lo, exec_lo, s1
	ds_write2_b64 v1, v[242:243], v[244:245] offset1:1
.LBB63_260:
	s_or_b32 exec_lo, exec_lo, s2
	s_waitcnt lgkmcnt(0)
	s_barrier
	buffer_gl0_inv
	ds_read2_b64 v[242:245], v1 offset1:1
	s_mov_b32 s1, exec_lo
	v_cmpx_lt_u32_e32 28, v0
	s_cbranch_execz .LBB63_262
; %bb.261:
	s_waitcnt lgkmcnt(0)
	v_mul_f64 v[130:131], v[242:243], v[16:17]
	v_mul_f64 v[16:17], v[244:245], v[16:17]
	v_fma_f64 v[246:247], v[244:245], v[14:15], v[130:131]
	ds_read2_b64 v[130:133], v140 offset0:58 offset1:59
	v_fma_f64 v[14:15], v[242:243], v[14:15], -v[16:17]
	s_waitcnt lgkmcnt(0)
	v_mul_f64 v[16:17], v[132:133], v[246:247]
	v_fma_f64 v[16:17], v[130:131], v[14:15], -v[16:17]
	v_mul_f64 v[130:131], v[130:131], v[246:247]
	v_add_f64 v[10:11], v[10:11], -v[16:17]
	v_fma_f64 v[130:131], v[132:133], v[14:15], v[130:131]
	v_add_f64 v[12:13], v[12:13], -v[130:131]
	ds_read2_b64 v[130:133], v140 offset0:60 offset1:61
	s_waitcnt lgkmcnt(0)
	v_mul_f64 v[16:17], v[132:133], v[246:247]
	v_fma_f64 v[16:17], v[130:131], v[14:15], -v[16:17]
	v_mul_f64 v[130:131], v[130:131], v[246:247]
	v_add_f64 v[6:7], v[6:7], -v[16:17]
	v_fma_f64 v[130:131], v[132:133], v[14:15], v[130:131]
	v_add_f64 v[8:9], v[8:9], -v[130:131]
	ds_read2_b64 v[130:133], v140 offset0:62 offset1:63
	s_waitcnt lgkmcnt(0)
	v_mul_f64 v[16:17], v[132:133], v[246:247]
	v_fma_f64 v[16:17], v[130:131], v[14:15], -v[16:17]
	v_mul_f64 v[130:131], v[130:131], v[246:247]
	v_add_f64 v[2:3], v[2:3], -v[16:17]
	v_fma_f64 v[130:131], v[132:133], v[14:15], v[130:131]
	v_mov_b32_e32 v16, v246
	v_mov_b32_e32 v17, v247
	v_add_f64 v[4:5], v[4:5], -v[130:131]
.LBB63_262:
	s_or_b32 exec_lo, exec_lo, s1
	s_mov_b32 s2, exec_lo
	s_waitcnt lgkmcnt(0)
	s_barrier
	buffer_gl0_inv
	v_cmpx_eq_u32_e32 29, v0
	s_cbranch_execz .LBB63_269
; %bb.263:
	ds_write2_b64 v1, v[10:11], v[12:13] offset1:1
	ds_write2_b64 v140, v[6:7], v[8:9] offset0:60 offset1:61
	ds_write2_b64 v140, v[2:3], v[4:5] offset0:62 offset1:63
	ds_read2_b64 v[130:133], v1 offset1:1
	s_waitcnt lgkmcnt(0)
	v_cmp_neq_f64_e32 vcc_lo, 0, v[130:131]
	v_cmp_neq_f64_e64 s1, 0, v[132:133]
	s_or_b32 s1, vcc_lo, s1
	s_and_b32 exec_lo, exec_lo, s1
	s_cbranch_execz .LBB63_269
; %bb.264:
	v_cmp_ngt_f64_e64 s1, |v[130:131]|, |v[132:133]|
                                        ; implicit-def: $vgpr246_vgpr247
	s_and_saveexec_b32 s3, s1
	s_xor_b32 s1, exec_lo, s3
                                        ; implicit-def: $vgpr248_vgpr249
	s_cbranch_execz .LBB63_266
; %bb.265:
	v_div_scale_f64 v[246:247], null, v[132:133], v[132:133], v[130:131]
	v_div_scale_f64 v[252:253], vcc_lo, v[130:131], v[132:133], v[130:131]
	v_rcp_f64_e32 v[248:249], v[246:247]
	v_fma_f64 v[250:251], -v[246:247], v[248:249], 1.0
	v_fma_f64 v[248:249], v[248:249], v[250:251], v[248:249]
	v_fma_f64 v[250:251], -v[246:247], v[248:249], 1.0
	v_fma_f64 v[248:249], v[248:249], v[250:251], v[248:249]
	v_mul_f64 v[250:251], v[252:253], v[248:249]
	v_fma_f64 v[246:247], -v[246:247], v[250:251], v[252:253]
	v_div_fmas_f64 v[246:247], v[246:247], v[248:249], v[250:251]
	v_div_fixup_f64 v[246:247], v[246:247], v[132:133], v[130:131]
	v_fma_f64 v[130:131], v[130:131], v[246:247], v[132:133]
	v_div_scale_f64 v[132:133], null, v[130:131], v[130:131], 1.0
	v_rcp_f64_e32 v[248:249], v[132:133]
	v_fma_f64 v[250:251], -v[132:133], v[248:249], 1.0
	v_fma_f64 v[248:249], v[248:249], v[250:251], v[248:249]
	v_fma_f64 v[250:251], -v[132:133], v[248:249], 1.0
	v_fma_f64 v[248:249], v[248:249], v[250:251], v[248:249]
	v_div_scale_f64 v[250:251], vcc_lo, 1.0, v[130:131], 1.0
	v_mul_f64 v[252:253], v[250:251], v[248:249]
	v_fma_f64 v[132:133], -v[132:133], v[252:253], v[250:251]
	v_div_fmas_f64 v[132:133], v[132:133], v[248:249], v[252:253]
	v_div_fixup_f64 v[248:249], v[132:133], v[130:131], 1.0
                                        ; implicit-def: $vgpr130_vgpr131
	v_mul_f64 v[246:247], v[246:247], v[248:249]
	v_xor_b32_e32 v249, 0x80000000, v249
.LBB63_266:
	s_andn2_saveexec_b32 s1, s1
	s_cbranch_execz .LBB63_268
; %bb.267:
	v_div_scale_f64 v[246:247], null, v[130:131], v[130:131], v[132:133]
	v_div_scale_f64 v[252:253], vcc_lo, v[132:133], v[130:131], v[132:133]
	v_rcp_f64_e32 v[248:249], v[246:247]
	v_fma_f64 v[250:251], -v[246:247], v[248:249], 1.0
	v_fma_f64 v[248:249], v[248:249], v[250:251], v[248:249]
	v_fma_f64 v[250:251], -v[246:247], v[248:249], 1.0
	v_fma_f64 v[248:249], v[248:249], v[250:251], v[248:249]
	v_mul_f64 v[250:251], v[252:253], v[248:249]
	v_fma_f64 v[246:247], -v[246:247], v[250:251], v[252:253]
	v_div_fmas_f64 v[246:247], v[246:247], v[248:249], v[250:251]
	v_div_fixup_f64 v[248:249], v[246:247], v[130:131], v[132:133]
	v_fma_f64 v[130:131], v[132:133], v[248:249], v[130:131]
	v_div_scale_f64 v[132:133], null, v[130:131], v[130:131], 1.0
	v_rcp_f64_e32 v[246:247], v[132:133]
	v_fma_f64 v[250:251], -v[132:133], v[246:247], 1.0
	v_fma_f64 v[246:247], v[246:247], v[250:251], v[246:247]
	v_fma_f64 v[250:251], -v[132:133], v[246:247], 1.0
	v_fma_f64 v[246:247], v[246:247], v[250:251], v[246:247]
	v_div_scale_f64 v[250:251], vcc_lo, 1.0, v[130:131], 1.0
	v_mul_f64 v[252:253], v[250:251], v[246:247]
	v_fma_f64 v[132:133], -v[132:133], v[252:253], v[250:251]
	v_div_fmas_f64 v[132:133], v[132:133], v[246:247], v[252:253]
	v_div_fixup_f64 v[246:247], v[132:133], v[130:131], 1.0
	v_mul_f64 v[248:249], v[248:249], -v[246:247]
.LBB63_268:
	s_or_b32 exec_lo, exec_lo, s1
	ds_write2_b64 v1, v[246:247], v[248:249] offset1:1
.LBB63_269:
	s_or_b32 exec_lo, exec_lo, s2
	s_waitcnt lgkmcnt(0)
	s_barrier
	buffer_gl0_inv
	ds_read2_b64 v[246:249], v1 offset1:1
	s_mov_b32 s1, exec_lo
	v_cmpx_lt_u32_e32 29, v0
	s_cbranch_execz .LBB63_271
; %bb.270:
	s_waitcnt lgkmcnt(0)
	v_mul_f64 v[130:131], v[246:247], v[12:13]
	v_mul_f64 v[12:13], v[248:249], v[12:13]
	v_fma_f64 v[250:251], v[248:249], v[10:11], v[130:131]
	ds_read2_b64 v[130:133], v140 offset0:60 offset1:61
	v_fma_f64 v[10:11], v[246:247], v[10:11], -v[12:13]
	s_waitcnt lgkmcnt(0)
	v_mul_f64 v[12:13], v[132:133], v[250:251]
	v_fma_f64 v[12:13], v[130:131], v[10:11], -v[12:13]
	v_mul_f64 v[130:131], v[130:131], v[250:251]
	v_add_f64 v[6:7], v[6:7], -v[12:13]
	v_fma_f64 v[130:131], v[132:133], v[10:11], v[130:131]
	v_add_f64 v[8:9], v[8:9], -v[130:131]
	ds_read2_b64 v[130:133], v140 offset0:62 offset1:63
	s_waitcnt lgkmcnt(0)
	v_mul_f64 v[12:13], v[132:133], v[250:251]
	v_fma_f64 v[12:13], v[130:131], v[10:11], -v[12:13]
	v_mul_f64 v[130:131], v[130:131], v[250:251]
	v_add_f64 v[2:3], v[2:3], -v[12:13]
	v_fma_f64 v[130:131], v[132:133], v[10:11], v[130:131]
	v_mov_b32_e32 v12, v250
	v_mov_b32_e32 v13, v251
	v_add_f64 v[4:5], v[4:5], -v[130:131]
.LBB63_271:
	s_or_b32 exec_lo, exec_lo, s1
	s_mov_b32 s2, exec_lo
	s_waitcnt lgkmcnt(0)
	s_barrier
	buffer_gl0_inv
	v_cmpx_eq_u32_e32 30, v0
	s_cbranch_execz .LBB63_278
; %bb.272:
	ds_write2_b64 v1, v[6:7], v[8:9] offset1:1
	ds_write2_b64 v140, v[2:3], v[4:5] offset0:62 offset1:63
	ds_read2_b64 v[130:133], v1 offset1:1
	s_waitcnt lgkmcnt(0)
	v_cmp_neq_f64_e32 vcc_lo, 0, v[130:131]
	v_cmp_neq_f64_e64 s1, 0, v[132:133]
	s_or_b32 s1, vcc_lo, s1
	s_and_b32 exec_lo, exec_lo, s1
	s_cbranch_execz .LBB63_278
; %bb.273:
	v_cmp_ngt_f64_e64 s1, |v[130:131]|, |v[132:133]|
                                        ; implicit-def: $vgpr250_vgpr251
	s_and_saveexec_b32 s3, s1
	s_xor_b32 s1, exec_lo, s3
                                        ; implicit-def: $vgpr252_vgpr253
	s_cbranch_execz .LBB63_275
; %bb.274:
	v_div_scale_f64 v[250:251], null, v[132:133], v[132:133], v[130:131]
	v_mov_b32_e32 v145, v254
	v_mov_b32_e32 v146, v255
	v_div_scale_f64 v[141:142], vcc_lo, v[130:131], v[132:133], v[130:131]
	v_rcp_f64_e32 v[252:253], v[250:251]
	v_fma_f64 v[254:255], -v[250:251], v[252:253], 1.0
	v_fma_f64 v[252:253], v[252:253], v[254:255], v[252:253]
	v_fma_f64 v[254:255], -v[250:251], v[252:253], 1.0
	v_fma_f64 v[252:253], v[252:253], v[254:255], v[252:253]
	v_mul_f64 v[254:255], v[141:142], v[252:253]
	v_fma_f64 v[141:142], -v[250:251], v[254:255], v[141:142]
	v_div_fmas_f64 v[141:142], v[141:142], v[252:253], v[254:255]
	v_div_fixup_f64 v[141:142], v[141:142], v[132:133], v[130:131]
	v_fma_f64 v[130:131], v[130:131], v[141:142], v[132:133]
	v_div_scale_f64 v[132:133], null, v[130:131], v[130:131], 1.0
	v_rcp_f64_e32 v[250:251], v[132:133]
	v_fma_f64 v[252:253], -v[132:133], v[250:251], 1.0
	v_fma_f64 v[250:251], v[250:251], v[252:253], v[250:251]
	v_fma_f64 v[252:253], -v[132:133], v[250:251], 1.0
	v_fma_f64 v[250:251], v[250:251], v[252:253], v[250:251]
	v_div_scale_f64 v[252:253], vcc_lo, 1.0, v[130:131], 1.0
	v_mul_f64 v[254:255], v[252:253], v[250:251]
	v_fma_f64 v[132:133], -v[132:133], v[254:255], v[252:253]
	v_div_fmas_f64 v[132:133], v[132:133], v[250:251], v[254:255]
	v_mov_b32_e32 v255, v146
	v_mov_b32_e32 v254, v145
	v_div_fixup_f64 v[252:253], v[132:133], v[130:131], 1.0
                                        ; implicit-def: $vgpr130_vgpr131
	v_mul_f64 v[250:251], v[141:142], v[252:253]
	v_xor_b32_e32 v253, 0x80000000, v253
.LBB63_275:
	s_andn2_saveexec_b32 s1, s1
	s_cbranch_execz .LBB63_277
; %bb.276:
	v_div_scale_f64 v[141:142], null, v[130:131], v[130:131], v[132:133]
	v_mov_b32_e32 v145, v254
	v_mov_b32_e32 v146, v255
	v_div_scale_f64 v[254:255], vcc_lo, v[132:133], v[130:131], v[132:133]
	v_rcp_f64_e32 v[250:251], v[141:142]
	v_fma_f64 v[252:253], -v[141:142], v[250:251], 1.0
	v_fma_f64 v[250:251], v[250:251], v[252:253], v[250:251]
	v_fma_f64 v[252:253], -v[141:142], v[250:251], 1.0
	v_fma_f64 v[250:251], v[250:251], v[252:253], v[250:251]
	v_mul_f64 v[252:253], v[254:255], v[250:251]
	v_fma_f64 v[141:142], -v[141:142], v[252:253], v[254:255]
	v_div_fmas_f64 v[141:142], v[141:142], v[250:251], v[252:253]
	v_div_fixup_f64 v[141:142], v[141:142], v[130:131], v[132:133]
	v_fma_f64 v[130:131], v[132:133], v[141:142], v[130:131]
	v_div_scale_f64 v[132:133], null, v[130:131], v[130:131], 1.0
	v_rcp_f64_e32 v[250:251], v[132:133]
	v_fma_f64 v[252:253], -v[132:133], v[250:251], 1.0
	v_fma_f64 v[250:251], v[250:251], v[252:253], v[250:251]
	v_fma_f64 v[252:253], -v[132:133], v[250:251], 1.0
	v_fma_f64 v[250:251], v[250:251], v[252:253], v[250:251]
	v_div_scale_f64 v[252:253], vcc_lo, 1.0, v[130:131], 1.0
	v_mul_f64 v[254:255], v[252:253], v[250:251]
	v_fma_f64 v[132:133], -v[132:133], v[254:255], v[252:253]
	v_div_fmas_f64 v[132:133], v[132:133], v[250:251], v[254:255]
	v_mov_b32_e32 v255, v146
	v_mov_b32_e32 v254, v145
	v_div_fixup_f64 v[250:251], v[132:133], v[130:131], 1.0
	v_mul_f64 v[252:253], v[141:142], -v[250:251]
.LBB63_277:
	s_or_b32 exec_lo, exec_lo, s1
	ds_write2_b64 v1, v[250:251], v[252:253] offset1:1
.LBB63_278:
	s_or_b32 exec_lo, exec_lo, s2
	s_waitcnt lgkmcnt(0)
	s_barrier
	buffer_gl0_inv
	ds_read2_b64 v[250:253], v1 offset1:1
	s_mov_b32 s1, exec_lo
	v_cmpx_lt_u32_e32 30, v0
	s_cbranch_execz .LBB63_280
; %bb.279:
	s_waitcnt lgkmcnt(0)
	v_mul_f64 v[130:131], v[250:251], v[8:9]
	v_mul_f64 v[8:9], v[252:253], v[8:9]
	v_fma_f64 v[141:142], v[252:253], v[6:7], v[130:131]
	ds_read2_b64 v[130:133], v140 offset0:62 offset1:63
	v_fma_f64 v[6:7], v[250:251], v[6:7], -v[8:9]
	s_waitcnt lgkmcnt(0)
	v_mul_f64 v[8:9], v[132:133], v[141:142]
	v_fma_f64 v[8:9], v[130:131], v[6:7], -v[8:9]
	v_mul_f64 v[130:131], v[130:131], v[141:142]
	v_add_f64 v[2:3], v[2:3], -v[8:9]
	v_fma_f64 v[130:131], v[132:133], v[6:7], v[130:131]
	v_mov_b32_e32 v8, v141
	v_mov_b32_e32 v9, v142
	v_add_f64 v[4:5], v[4:5], -v[130:131]
.LBB63_280:
	s_or_b32 exec_lo, exec_lo, s1
	s_mov_b32 s2, exec_lo
	s_waitcnt lgkmcnt(0)
	s_barrier
	buffer_gl0_inv
	v_cmpx_eq_u32_e32 31, v0
	s_cbranch_execz .LBB63_287
; %bb.281:
	v_cmp_neq_f64_e32 vcc_lo, 0, v[2:3]
	v_cmp_neq_f64_e64 s1, 0, v[4:5]
	ds_write2_b64 v1, v[2:3], v[4:5] offset1:1
	s_or_b32 s1, vcc_lo, s1
	s_and_b32 exec_lo, exec_lo, s1
	s_cbranch_execz .LBB63_287
; %bb.282:
	v_cmp_ngt_f64_e64 s1, |v[2:3]|, |v[4:5]|
                                        ; implicit-def: $vgpr130_vgpr131
	s_and_saveexec_b32 s3, s1
	s_xor_b32 s1, exec_lo, s3
                                        ; implicit-def: $vgpr132_vgpr133
	s_cbranch_execz .LBB63_284
; %bb.283:
	v_div_scale_f64 v[130:131], null, v[4:5], v[4:5], v[2:3]
	v_mov_b32_e32 v147, v137
	v_mov_b32_e32 v146, v136
	;; [unrolled: 1-line block ×4, first 2 shown]
	v_div_scale_f64 v[142:143], vcc_lo, v[2:3], v[4:5], v[2:3]
	v_mov_b32_e32 v148, v254
	v_mov_b32_e32 v149, v255
	v_rcp_f64_e32 v[132:133], v[130:131]
	v_fma_f64 v[140:141], -v[130:131], v[132:133], 1.0
	v_fma_f64 v[132:133], v[132:133], v[140:141], v[132:133]
	v_fma_f64 v[140:141], -v[130:131], v[132:133], 1.0
	v_fma_f64 v[132:133], v[132:133], v[140:141], v[132:133]
	v_mul_f64 v[140:141], v[142:143], v[132:133]
	v_fma_f64 v[130:131], -v[130:131], v[140:141], v[142:143]
	v_div_fmas_f64 v[130:131], v[130:131], v[132:133], v[140:141]
	v_div_fixup_f64 v[130:131], v[130:131], v[4:5], v[2:3]
	v_fma_f64 v[132:133], v[2:3], v[130:131], v[4:5]
	v_div_scale_f64 v[140:141], null, v[132:133], v[132:133], 1.0
	v_rcp_f64_e32 v[142:143], v[140:141]
	v_fma_f64 v[254:255], -v[140:141], v[142:143], 1.0
	v_fma_f64 v[142:143], v[142:143], v[254:255], v[142:143]
	v_fma_f64 v[254:255], -v[140:141], v[142:143], 1.0
	v_fma_f64 v[142:143], v[142:143], v[254:255], v[142:143]
	v_div_scale_f64 v[254:255], vcc_lo, 1.0, v[132:133], 1.0
	v_mul_f64 v[144:145], v[254:255], v[142:143]
	v_fma_f64 v[140:141], -v[140:141], v[144:145], v[254:255]
	v_mov_b32_e32 v255, v149
	v_mov_b32_e32 v254, v148
	v_div_fmas_f64 v[140:141], v[140:141], v[142:143], v[144:145]
	v_mov_b32_e32 v144, v137
	v_mov_b32_e32 v143, v136
	;; [unrolled: 1-line block ×4, first 2 shown]
	v_div_fixup_f64 v[132:133], v[140:141], v[132:133], 1.0
	v_mul_f64 v[130:131], v[130:131], v[132:133]
	v_xor_b32_e32 v133, 0x80000000, v133
.LBB63_284:
	s_andn2_saveexec_b32 s1, s1
	s_cbranch_execz .LBB63_286
; %bb.285:
	v_div_scale_f64 v[130:131], null, v[2:3], v[2:3], v[4:5]
	v_mov_b32_e32 v147, v137
	v_mov_b32_e32 v146, v136
	;; [unrolled: 1-line block ×4, first 2 shown]
	v_div_scale_f64 v[142:143], vcc_lo, v[4:5], v[2:3], v[4:5]
	v_mov_b32_e32 v148, v254
	v_mov_b32_e32 v149, v255
	v_rcp_f64_e32 v[132:133], v[130:131]
	v_fma_f64 v[140:141], -v[130:131], v[132:133], 1.0
	v_fma_f64 v[132:133], v[132:133], v[140:141], v[132:133]
	v_fma_f64 v[140:141], -v[130:131], v[132:133], 1.0
	v_fma_f64 v[132:133], v[132:133], v[140:141], v[132:133]
	v_mul_f64 v[140:141], v[142:143], v[132:133]
	v_fma_f64 v[130:131], -v[130:131], v[140:141], v[142:143]
	v_div_fmas_f64 v[130:131], v[130:131], v[132:133], v[140:141]
	v_div_fixup_f64 v[132:133], v[130:131], v[2:3], v[4:5]
	v_fma_f64 v[130:131], v[4:5], v[132:133], v[2:3]
	v_div_scale_f64 v[140:141], null, v[130:131], v[130:131], 1.0
	v_rcp_f64_e32 v[142:143], v[140:141]
	v_fma_f64 v[144:145], -v[140:141], v[142:143], 1.0
	v_fma_f64 v[142:143], v[142:143], v[144:145], v[142:143]
	v_fma_f64 v[144:145], -v[140:141], v[142:143], 1.0
	v_fma_f64 v[142:143], v[142:143], v[144:145], v[142:143]
	v_div_scale_f64 v[144:145], vcc_lo, 1.0, v[130:131], 1.0
	v_mul_f64 v[254:255], v[144:145], v[142:143]
	v_fma_f64 v[140:141], -v[140:141], v[254:255], v[144:145]
	v_div_fmas_f64 v[140:141], v[140:141], v[142:143], v[254:255]
	v_mov_b32_e32 v144, v137
	v_mov_b32_e32 v255, v149
	;; [unrolled: 1-line block ×6, first 2 shown]
	v_div_fixup_f64 v[130:131], v[140:141], v[130:131], 1.0
	v_mul_f64 v[132:133], v[132:133], -v[130:131]
.LBB63_286:
	s_or_b32 exec_lo, exec_lo, s1
	ds_write2_b64 v1, v[130:131], v[132:133] offset1:1
.LBB63_287:
	s_or_b32 exec_lo, exec_lo, s2
	s_waitcnt lgkmcnt(0)
	s_barrier
	buffer_gl0_inv
	ds_read2_b64 v[130:133], v1 offset1:1
	s_mov_b32 s1, exec_lo
	v_cmpx_lt_u32_e32 31, v0
	s_cbranch_execz .LBB63_289
; %bb.288:
	s_waitcnt lgkmcnt(0)
	v_mul_f64 v[0:1], v[132:133], v[4:5]
	v_mul_f64 v[4:5], v[130:131], v[4:5]
	v_fma_f64 v[0:1], v[130:131], v[2:3], -v[0:1]
	v_fma_f64 v[4:5], v[132:133], v[2:3], v[4:5]
	v_mov_b32_e32 v3, v1
	v_mov_b32_e32 v2, v0
.LBB63_289:
	s_or_b32 exec_lo, exec_lo, s1
	s_waitcnt lgkmcnt(0)
	s_barrier
	buffer_gl0_inv
	s_and_saveexec_b32 s6, s0
	s_cbranch_execz .LBB63_292
; %bb.290:
	s_clause 0x3
	buffer_load_dword v145, off, s[16:19], 0 offset:224
	buffer_load_dword v146, off, s[16:19], 0 offset:228
	;; [unrolled: 1-line block ×4, first 2 shown]
	s_waitcnt vmcnt(2)
	v_cmp_eq_f64_e64 s0, 0, v[145:146]
	s_waitcnt vmcnt(0)
	v_cmp_eq_f64_e64 s1, 0, v[147:148]
	s_clause 0x3
	buffer_load_dword v145, off, s[16:19], 0 offset:240
	buffer_load_dword v146, off, s[16:19], 0 offset:244
	;; [unrolled: 1-line block ×4, first 2 shown]
	s_and_b32 s1, s0, s1
	v_cndmask_b32_e64 v0, 0, 1, s1
	s_waitcnt vmcnt(2)
	v_cmp_neq_f64_e64 s2, 0, v[145:146]
	s_waitcnt vmcnt(0)
	v_cmp_neq_f64_e64 s3, 0, v[147:148]
	s_clause 0x3
	buffer_load_dword v145, off, s[16:19], 0 offset:256
	buffer_load_dword v146, off, s[16:19], 0 offset:260
	buffer_load_dword v147, off, s[16:19], 0 offset:264
	buffer_load_dword v148, off, s[16:19], 0 offset:268
	s_or_b32 s2, s2, s3
	s_or_b32 s1, s2, s1
	v_cndmask_b32_e64 v140, 2, v0, s1
	v_lshlrev_b64 v[0:1], 2, v[134:135]
	v_cmp_eq_u32_e64 s3, 0, v140
	s_waitcnt vmcnt(2)
	v_cmp_eq_f64_e64 s4, 0, v[145:146]
	s_waitcnt vmcnt(0)
	v_cmp_eq_f64_e64 s5, 0, v[147:148]
	s_clause 0x3
	buffer_load_dword v145, off, s[16:19], 0 offset:272
	buffer_load_dword v146, off, s[16:19], 0 offset:276
	;; [unrolled: 1-line block ×4, first 2 shown]
	s_and_b32 s5, s4, s5
	v_add_co_u32 v0, s4, s10, v0
	s_and_b32 s3, s5, s3
	v_add_co_ci_u32_e64 v1, null, s11, v1, s4
	v_cndmask_b32_e64 v135, v140, 3, s3
	v_cmp_eq_f64_e64 s4, 0, v[150:151]
	v_cmp_eq_f64_e64 s5, 0, v[152:153]
	v_cmp_eq_u32_e64 s3, 0, v135
	s_and_b32 s4, s4, s5
	v_cmp_eq_f64_e64 s5, 0, v[164:165]
	s_waitcnt vmcnt(2)
	v_cmp_eq_f64_e32 vcc_lo, 0, v[145:146]
	s_waitcnt vmcnt(0)
	v_cmp_eq_f64_e64 s0, 0, v[147:148]
	s_clause 0x3
	buffer_load_dword v145, off, s[16:19], 0 offset:288
	buffer_load_dword v146, off, s[16:19], 0 offset:292
	buffer_load_dword v147, off, s[16:19], 0 offset:296
	buffer_load_dword v148, off, s[16:19], 0 offset:300
	global_load_dword v134, v[0:1], off
	s_and_b32 s0, vcc_lo, s0
	s_and_b32 s0, s0, s3
	v_cmp_eq_f64_e64 s3, 0, v[156:157]
	v_cndmask_b32_e64 v135, v135, 4, s0
	v_cmp_eq_f64_e64 s0, 0, v[154:155]
	v_cmp_eq_u32_e32 vcc_lo, 0, v135
	s_and_b32 s0, s0, s3
	v_cmp_eq_f64_e64 s3, 0, v[168:169]
	s_waitcnt vmcnt(3)
	v_cmp_eq_f64_e64 s1, 0, v[145:146]
	s_waitcnt vmcnt(1)
	v_cmp_eq_f64_e64 s2, 0, v[147:148]
	s_and_b32 s1, s1, s2
	v_cmp_eq_f64_e64 s2, 0, v[160:161]
	s_and_b32 s1, s1, vcc_lo
	v_cndmask_b32_e64 v135, v135, 5, s1
	v_cmp_eq_f64_e64 s1, 0, v[158:159]
	v_cmp_eq_u32_e32 vcc_lo, 0, v135
	s_and_b32 s4, s4, vcc_lo
	v_cndmask_b32_e64 v135, v135, 6, s4
	v_cmp_eq_f64_e64 s4, 0, v[162:163]
	v_cmp_eq_u32_e32 vcc_lo, 0, v135
	s_and_b32 s0, s0, vcc_lo
	s_and_b32 s1, s1, s2
	v_cndmask_b32_e64 v135, v135, 7, s0
	v_cmp_eq_f64_e64 s0, 0, v[166:167]
	v_cmp_eq_f64_e64 s2, 0, v[172:173]
	v_cmp_eq_u32_e32 vcc_lo, 0, v135
	s_and_b32 s1, s1, vcc_lo
	s_and_b32 s4, s4, s5
	v_cndmask_b32_e64 v135, v135, 8, s1
	v_cmp_eq_f64_e64 s1, 0, v[170:171]
	;; [unrolled: 6-line block ×23, first 2 shown]
	v_cmp_eq_u32_e32 vcc_lo, 0, v135
	s_and_b32 s4, s4, vcc_lo
	s_and_b32 s0, s0, s3
	v_cndmask_b32_e64 v130, v135, 30, s4
	v_cmp_eq_u32_e32 vcc_lo, 0, v130
	s_and_b32 s0, s0, vcc_lo
	v_cndmask_b32_e64 v130, v130, 31, s0
	s_and_b32 s0, s1, s2
	v_cmp_eq_u32_e32 vcc_lo, 0, v130
	s_and_b32 s0, s0, vcc_lo
	s_waitcnt vmcnt(0)
	v_cmp_eq_u32_e32 vcc_lo, 0, v134
	v_cndmask_b32_e64 v130, v130, 32, s0
	v_cmp_ne_u32_e64 s0, 0, v130
	s_and_b32 s0, vcc_lo, s0
	s_and_b32 exec_lo, exec_lo, s0
	s_cbranch_execz .LBB63_292
; %bb.291:
	v_add_nc_u32_e32 v130, s13, v130
	global_store_dword v[0:1], v130, off
.LBB63_292:
	s_or_b32 exec_lo, exec_lo, s6
	global_store_dwordx4 v[138:139], v[126:129], off
	s_clause 0x1
	buffer_load_dword v0, off, s[16:19], 0 offset:216
	buffer_load_dword v1, off, s[16:19], 0 offset:220
	s_waitcnt vmcnt(0)
	global_store_dwordx4 v[0:1], v[122:125], off
	global_store_dwordx4 v[254:255], v[118:121], off
	;; [unrolled: 1-line block ×4, first 2 shown]
	s_clause 0x1
	buffer_load_dword v0, off, s[16:19], 0
	buffer_load_dword v1, off, s[16:19], 0 offset:4
	s_waitcnt vmcnt(0)
	global_store_dwordx4 v[0:1], v[106:109], off
	s_clause 0x1
	buffer_load_dword v0, off, s[16:19], 0 offset:8
	buffer_load_dword v1, off, s[16:19], 0 offset:12
	s_waitcnt vmcnt(0)
	global_store_dwordx4 v[0:1], v[102:105], off
	s_clause 0x1
	buffer_load_dword v0, off, s[16:19], 0 offset:16
	;; [unrolled: 5-line block ×26, first 2 shown]
	buffer_load_dword v1, off, s[16:19], 0 offset:212
	s_waitcnt vmcnt(0)
	global_store_dwordx4 v[0:1], v[2:5], off
.LBB63_293:
	s_endpgm
	.section	.rodata,"a",@progbits
	.p2align	6, 0x0
	.amdhsa_kernel _ZN9rocsolver6v33100L23getf2_npvt_small_kernelILi32E19rocblas_complex_numIdEiiPS3_EEvT1_T3_lS5_lPT2_S5_S5_
		.amdhsa_group_segment_fixed_size 0
		.amdhsa_private_segment_fixed_size 308
		.amdhsa_kernarg_size 312
		.amdhsa_user_sgpr_count 6
		.amdhsa_user_sgpr_private_segment_buffer 1
		.amdhsa_user_sgpr_dispatch_ptr 0
		.amdhsa_user_sgpr_queue_ptr 0
		.amdhsa_user_sgpr_kernarg_segment_ptr 1
		.amdhsa_user_sgpr_dispatch_id 0
		.amdhsa_user_sgpr_flat_scratch_init 0
		.amdhsa_user_sgpr_private_segment_size 0
		.amdhsa_wavefront_size32 1
		.amdhsa_uses_dynamic_stack 0
		.amdhsa_system_sgpr_private_segment_wavefront_offset 1
		.amdhsa_system_sgpr_workgroup_id_x 1
		.amdhsa_system_sgpr_workgroup_id_y 1
		.amdhsa_system_sgpr_workgroup_id_z 0
		.amdhsa_system_sgpr_workgroup_info 0
		.amdhsa_system_vgpr_workitem_id 1
		.amdhsa_next_free_vgpr 256
		.amdhsa_next_free_sgpr 20
		.amdhsa_reserve_vcc 1
		.amdhsa_reserve_flat_scratch 0
		.amdhsa_float_round_mode_32 0
		.amdhsa_float_round_mode_16_64 0
		.amdhsa_float_denorm_mode_32 3
		.amdhsa_float_denorm_mode_16_64 3
		.amdhsa_dx10_clamp 1
		.amdhsa_ieee_mode 1
		.amdhsa_fp16_overflow 0
		.amdhsa_workgroup_processor_mode 1
		.amdhsa_memory_ordered 1
		.amdhsa_forward_progress 1
		.amdhsa_shared_vgpr_count 0
		.amdhsa_exception_fp_ieee_invalid_op 0
		.amdhsa_exception_fp_denorm_src 0
		.amdhsa_exception_fp_ieee_div_zero 0
		.amdhsa_exception_fp_ieee_overflow 0
		.amdhsa_exception_fp_ieee_underflow 0
		.amdhsa_exception_fp_ieee_inexact 0
		.amdhsa_exception_int_div_zero 0
	.end_amdhsa_kernel
	.section	.text._ZN9rocsolver6v33100L23getf2_npvt_small_kernelILi32E19rocblas_complex_numIdEiiPS3_EEvT1_T3_lS5_lPT2_S5_S5_,"axG",@progbits,_ZN9rocsolver6v33100L23getf2_npvt_small_kernelILi32E19rocblas_complex_numIdEiiPS3_EEvT1_T3_lS5_lPT2_S5_S5_,comdat
.Lfunc_end63:
	.size	_ZN9rocsolver6v33100L23getf2_npvt_small_kernelILi32E19rocblas_complex_numIdEiiPS3_EEvT1_T3_lS5_lPT2_S5_S5_, .Lfunc_end63-_ZN9rocsolver6v33100L23getf2_npvt_small_kernelILi32E19rocblas_complex_numIdEiiPS3_EEvT1_T3_lS5_lPT2_S5_S5_
                                        ; -- End function
	.set _ZN9rocsolver6v33100L23getf2_npvt_small_kernelILi32E19rocblas_complex_numIdEiiPS3_EEvT1_T3_lS5_lPT2_S5_S5_.num_vgpr, 256
	.set _ZN9rocsolver6v33100L23getf2_npvt_small_kernelILi32E19rocblas_complex_numIdEiiPS3_EEvT1_T3_lS5_lPT2_S5_S5_.num_agpr, 0
	.set _ZN9rocsolver6v33100L23getf2_npvt_small_kernelILi32E19rocblas_complex_numIdEiiPS3_EEvT1_T3_lS5_lPT2_S5_S5_.numbered_sgpr, 20
	.set _ZN9rocsolver6v33100L23getf2_npvt_small_kernelILi32E19rocblas_complex_numIdEiiPS3_EEvT1_T3_lS5_lPT2_S5_S5_.num_named_barrier, 0
	.set _ZN9rocsolver6v33100L23getf2_npvt_small_kernelILi32E19rocblas_complex_numIdEiiPS3_EEvT1_T3_lS5_lPT2_S5_S5_.private_seg_size, 308
	.set _ZN9rocsolver6v33100L23getf2_npvt_small_kernelILi32E19rocblas_complex_numIdEiiPS3_EEvT1_T3_lS5_lPT2_S5_S5_.uses_vcc, 1
	.set _ZN9rocsolver6v33100L23getf2_npvt_small_kernelILi32E19rocblas_complex_numIdEiiPS3_EEvT1_T3_lS5_lPT2_S5_S5_.uses_flat_scratch, 0
	.set _ZN9rocsolver6v33100L23getf2_npvt_small_kernelILi32E19rocblas_complex_numIdEiiPS3_EEvT1_T3_lS5_lPT2_S5_S5_.has_dyn_sized_stack, 0
	.set _ZN9rocsolver6v33100L23getf2_npvt_small_kernelILi32E19rocblas_complex_numIdEiiPS3_EEvT1_T3_lS5_lPT2_S5_S5_.has_recursion, 0
	.set _ZN9rocsolver6v33100L23getf2_npvt_small_kernelILi32E19rocblas_complex_numIdEiiPS3_EEvT1_T3_lS5_lPT2_S5_S5_.has_indirect_call, 0
	.section	.AMDGPU.csdata,"",@progbits
; Kernel info:
; codeLenInByte = 57076
; TotalNumSgprs: 22
; NumVgprs: 256
; ScratchSize: 308
; MemoryBound: 1
; FloatMode: 240
; IeeeMode: 1
; LDSByteSize: 0 bytes/workgroup (compile time only)
; SGPRBlocks: 0
; VGPRBlocks: 31
; NumSGPRsForWavesPerEU: 22
; NumVGPRsForWavesPerEU: 256
; Occupancy: 4
; WaveLimiterHint : 0
; COMPUTE_PGM_RSRC2:SCRATCH_EN: 1
; COMPUTE_PGM_RSRC2:USER_SGPR: 6
; COMPUTE_PGM_RSRC2:TRAP_HANDLER: 0
; COMPUTE_PGM_RSRC2:TGID_X_EN: 1
; COMPUTE_PGM_RSRC2:TGID_Y_EN: 1
; COMPUTE_PGM_RSRC2:TGID_Z_EN: 0
; COMPUTE_PGM_RSRC2:TIDIG_COMP_CNT: 1
	.section	.text._ZN9rocsolver6v33100L18getf2_small_kernelILi33E19rocblas_complex_numIdEiiPS3_EEvT1_T3_lS5_lPS5_llPT2_S5_S5_S7_l,"axG",@progbits,_ZN9rocsolver6v33100L18getf2_small_kernelILi33E19rocblas_complex_numIdEiiPS3_EEvT1_T3_lS5_lPS5_llPT2_S5_S5_S7_l,comdat
	.globl	_ZN9rocsolver6v33100L18getf2_small_kernelILi33E19rocblas_complex_numIdEiiPS3_EEvT1_T3_lS5_lPS5_llPT2_S5_S5_S7_l ; -- Begin function _ZN9rocsolver6v33100L18getf2_small_kernelILi33E19rocblas_complex_numIdEiiPS3_EEvT1_T3_lS5_lPS5_llPT2_S5_S5_S7_l
	.p2align	8
	.type	_ZN9rocsolver6v33100L18getf2_small_kernelILi33E19rocblas_complex_numIdEiiPS3_EEvT1_T3_lS5_lPS5_llPT2_S5_S5_S7_l,@function
_ZN9rocsolver6v33100L18getf2_small_kernelILi33E19rocblas_complex_numIdEiiPS3_EEvT1_T3_lS5_lPS5_llPT2_S5_S5_S7_l: ; @_ZN9rocsolver6v33100L18getf2_small_kernelILi33E19rocblas_complex_numIdEiiPS3_EEvT1_T3_lS5_lPS5_llPT2_S5_S5_S7_l
; %bb.0:
	s_clause 0x1
	s_load_dword s0, s[4:5], 0x6c
	s_load_dwordx2 s[16:17], s[4:5], 0x48
	s_waitcnt lgkmcnt(0)
	s_lshr_b32 s0, s0, 16
	v_mad_u64_u32 v[138:139], null, s7, s0, v[1:2]
	s_mov_b32 s0, exec_lo
	v_cmpx_gt_i32_e64 s16, v138
	s_cbranch_execz .LBB64_696
; %bb.1:
	s_load_dwordx4 s[0:3], s[4:5], 0x50
	v_mov_b32_e32 v140, 0
	v_ashrrev_i32_e32 v139, 31, v138
	v_mov_b32_e32 v141, 0
	s_waitcnt lgkmcnt(0)
	s_cmp_eq_u64 s[0:1], 0
	s_cselect_b32 s16, -1, 0
	s_and_b32 vcc_lo, exec_lo, s16
	s_cbranch_vccnz .LBB64_3
; %bb.2:
	v_mul_lo_u32 v4, s3, v138
	v_mul_lo_u32 v5, s2, v139
	v_mad_u64_u32 v[2:3], null, s2, v138, 0
	v_add3_u32 v3, v3, v5, v4
	v_lshlrev_b64 v[2:3], 2, v[2:3]
	v_add_co_u32 v140, vcc_lo, s0, v2
	v_add_co_ci_u32_e64 v141, null, s1, v3, vcc_lo
.LBB64_3:
	s_clause 0x2
	s_load_dwordx8 s[8:15], s[4:5], 0x20
	s_load_dword s6, s[4:5], 0x18
	s_load_dwordx4 s[0:3], s[4:5], 0x8
	v_lshlrev_b32_e32 v144, 4, v0
	s_clause 0x1
	s_load_dword s18, s[4:5], 0x0
	s_load_dwordx2 s[4:5], s[4:5], 0x40
	s_waitcnt lgkmcnt(0)
	v_mul_lo_u32 v5, s9, v138
	v_mul_lo_u32 v7, s8, v139
	v_mad_u64_u32 v[2:3], null, s8, v138, 0
	v_add3_u32 v4, s6, s6, v0
	s_lshl_b64 s[2:3], s[2:3], 4
	s_ashr_i32 s7, s6, 31
	s_lshl_b64 s[8:9], s[6:7], 4
	v_add_nc_u32_e32 v6, s6, v4
	v_add3_u32 v3, v3, v7, v5
	v_ashrrev_i32_e32 v5, 31, v4
	v_add_nc_u32_e32 v8, s6, v6
	v_lshlrev_b64 v[2:3], 4, v[2:3]
	v_ashrrev_i32_e32 v7, 31, v6
	v_lshlrev_b64 v[4:5], 4, v[4:5]
	v_ashrrev_i32_e32 v9, 31, v8
	v_add_nc_u32_e32 v10, s6, v8
	v_add_co_u32 v12, vcc_lo, s0, v2
	v_add_co_ci_u32_e64 v13, null, s1, v3, vcc_lo
	v_lshlrev_b64 v[2:3], 4, v[8:9]
	v_add_nc_u32_e32 v8, s6, v10
	v_add_co_u32 v145, vcc_lo, v12, s2
	v_ashrrev_i32_e32 v11, 31, v10
	v_lshlrev_b64 v[6:7], 4, v[6:7]
	v_add_nc_u32_e32 v12, s6, v8
	v_add_co_ci_u32_e64 v146, null, s3, v13, vcc_lo
	v_ashrrev_i32_e32 v9, 31, v8
	v_lshlrev_b64 v[10:11], 4, v[10:11]
	v_add_nc_u32_e32 v14, s6, v12
	v_ashrrev_i32_e32 v13, 31, v12
	v_add_co_u32 v4, vcc_lo, v145, v4
	v_add_co_ci_u32_e64 v5, null, v146, v5, vcc_lo
	v_add_nc_u32_e32 v16, s6, v14
	v_ashrrev_i32_e32 v15, 31, v14
	v_add_co_u32 v6, vcc_lo, v145, v6
	v_lshlrev_b64 v[8:9], 4, v[8:9]
	v_add_nc_u32_e32 v18, s6, v16
	v_ashrrev_i32_e32 v17, 31, v16
	v_add_co_ci_u32_e64 v7, null, v146, v7, vcc_lo
	v_add_co_u32 v2, vcc_lo, v145, v2
	v_add_nc_u32_e32 v20, s6, v18
	v_lshlrev_b64 v[12:13], 4, v[12:13]
	v_ashrrev_i32_e32 v19, 31, v18
	v_add_co_ci_u32_e64 v3, null, v146, v3, vcc_lo
	v_add_nc_u32_e32 v22, s6, v20
	v_add_co_u32 v10, vcc_lo, v145, v10
	v_lshlrev_b64 v[14:15], 4, v[14:15]
	v_ashrrev_i32_e32 v21, 31, v20
	v_add_nc_u32_e32 v24, s6, v22
	v_add_co_ci_u32_e64 v11, null, v146, v11, vcc_lo
	v_add_co_u32 v8, vcc_lo, v145, v8
	v_add_nc_u32_e32 v26, s6, v24
	v_lshlrev_b64 v[16:17], 4, v[16:17]
	v_ashrrev_i32_e32 v23, 31, v22
	v_add_co_ci_u32_e64 v9, null, v146, v9, vcc_lo
	v_add_nc_u32_e32 v28, s6, v26
	v_add_co_u32 v12, vcc_lo, v145, v12
	v_lshlrev_b64 v[18:19], 4, v[18:19]
	v_ashrrev_i32_e32 v25, 31, v24
	v_add_nc_u32_e32 v30, s6, v28
	;; [unrolled: 11-line block ×4, first 2 shown]
	v_add_co_ci_u32_e64 v21, null, v146, v21, vcc_lo
	v_add_co_u32 v22, vcc_lo, v145, v22
	v_lshlrev_b64 v[28:29], 4, v[28:29]
	v_ashrrev_i32_e32 v35, 31, v34
	v_add_co_ci_u32_e64 v23, null, v146, v23, vcc_lo
	v_add_co_u32 v24, vcc_lo, v145, v24
	v_lshlrev_b64 v[30:31], 4, v[30:31]
	v_ashrrev_i32_e32 v37, 31, v36
	v_add_co_ci_u32_e64 v25, null, v146, v25, vcc_lo
	v_add_co_u32 v26, vcc_lo, v145, v26
	v_lshlrev_b64 v[32:33], 4, v[32:33]
	v_add_nc_u32_e32 v44, s6, v42
	v_ashrrev_i32_e32 v39, 31, v38
	v_add_co_ci_u32_e64 v27, null, v146, v27, vcc_lo
	v_add_co_u32 v28, vcc_lo, v145, v28
	v_lshlrev_b64 v[34:35], 4, v[34:35]
	v_ashrrev_i32_e32 v41, 31, v40
	v_add_co_ci_u32_e64 v29, null, v146, v29, vcc_lo
	v_add_co_u32 v30, vcc_lo, v145, v30
	v_lshlrev_b64 v[36:37], 4, v[36:37]
	v_ashrrev_i32_e32 v43, 31, v42
	v_add_nc_u32_e32 v46, s6, v44
	v_add_co_ci_u32_e64 v31, null, v146, v31, vcc_lo
	v_add_co_u32 v32, vcc_lo, v145, v32
	v_lshlrev_b64 v[38:39], 4, v[38:39]
	v_ashrrev_i32_e32 v45, 31, v44
	v_add_co_ci_u32_e64 v33, null, v146, v33, vcc_lo
	v_add_co_u32 v34, vcc_lo, v145, v34
	v_lshlrev_b64 v[40:41], 4, v[40:41]
	v_add_co_ci_u32_e64 v35, null, v146, v35, vcc_lo
	v_add_co_u32 v36, vcc_lo, v145, v36
	v_lshlrev_b64 v[42:43], 4, v[42:43]
	v_add_nc_u32_e32 v48, s6, v46
	v_add_co_ci_u32_e64 v37, null, v146, v37, vcc_lo
	v_add_co_u32 v38, vcc_lo, v145, v38
	v_lshlrev_b64 v[44:45], 4, v[44:45]
	v_ashrrev_i32_e32 v47, 31, v46
	v_add_co_ci_u32_e64 v39, null, v146, v39, vcc_lo
	v_add_co_u32 v40, vcc_lo, v145, v40
	v_ashrrev_i32_e32 v49, 31, v48
	v_add_nc_u32_e32 v50, s6, v48
	v_add_co_ci_u32_e64 v41, null, v146, v41, vcc_lo
	v_add_co_u32 v42, vcc_lo, v145, v42
	v_lshlrev_b64 v[46:47], 4, v[46:47]
	v_add_co_ci_u32_e64 v43, null, v146, v43, vcc_lo
	v_add_co_u32 v134, vcc_lo, v145, v44
	v_add_co_ci_u32_e64 v135, null, v146, v45, vcc_lo
	v_lshlrev_b64 v[44:45], 4, v[48:49]
	v_ashrrev_i32_e32 v51, 31, v50
	v_add_nc_u32_e32 v48, s6, v50
	v_add_co_u32 v136, vcc_lo, v145, v46
	v_add_co_ci_u32_e64 v137, null, v146, v47, vcc_lo
	v_lshlrev_b64 v[46:47], 4, v[50:51]
	v_ashrrev_i32_e32 v49, 31, v48
	v_add_nc_u32_e32 v50, s6, v48
	;; [unrolled: 5-line block ×4, first 2 shown]
	v_add_co_u32 v149, vcc_lo, v145, v44
	v_add_co_ci_u32_e64 v150, null, v146, v45, vcc_lo
	v_lshlrev_b64 v[44:45], 4, v[48:49]
	v_add_nc_u32_e32 v48, s6, v50
	v_ashrrev_i32_e32 v51, 31, v50
	v_add_co_u32 v151, vcc_lo, v145, v46
	v_add_co_ci_u32_e64 v152, null, v146, v47, vcc_lo
	v_ashrrev_i32_e32 v49, 31, v48
	v_lshlrev_b64 v[46:47], 4, v[50:51]
	v_add_co_u32 v153, vcc_lo, v145, v44
	v_add_co_ci_u32_e64 v154, null, v146, v45, vcc_lo
	v_lshlrev_b64 v[44:45], 4, v[48:49]
	v_add_nc_u32_e32 v48, s6, v48
	v_add_co_u32 v155, vcc_lo, v145, v46
	v_add_co_ci_u32_e64 v156, null, v146, v47, vcc_lo
	v_ashrrev_i32_e32 v49, 31, v48
	v_add_co_u32 v157, vcc_lo, v145, v44
	v_add_co_ci_u32_e64 v158, null, v146, v45, vcc_lo
	v_add_co_u32 v46, vcc_lo, v145, v144
	v_add_co_ci_u32_e64 v47, null, 0, v146, vcc_lo
	v_lshlrev_b64 v[44:45], 4, v[48:49]
	v_add_co_u32 v48, vcc_lo, v46, s8
	v_add_co_ci_u32_e64 v49, null, s9, v47, vcc_lo
	s_max_i32 s0, s18, 33
	v_add_co_u32 v159, vcc_lo, v145, v44
	v_add_co_ci_u32_e64 v160, null, v146, v45, vcc_lo
	s_clause 0x20
	global_load_dwordx4 v[130:133], v[46:47], off
	global_load_dwordx4 v[122:125], v[48:49], off
	;; [unrolled: 1-line block ×33, first 2 shown]
	v_mul_lo_u32 v142, s0, v1
	s_cmp_lt_i32 s18, 2
	v_lshl_add_u32 v1, v142, 4, 0
	v_add_nc_u32_e32 v134, v1, v144
	v_lshlrev_b32_e32 v144, 4, v142
	v_mov_b32_e32 v142, 0
	s_waitcnt vmcnt(32)
	ds_write2_b64 v134, v[130:131], v[132:133] offset1:1
	s_waitcnt vmcnt(0) lgkmcnt(0)
	s_barrier
	buffer_gl0_inv
	ds_read2_b64 v[134:137], v1 offset1:1
	s_cbranch_scc1 .LBB64_6
; %bb.4:
	v_add3_u32 v143, v144, 0, 16
	v_mov_b32_e32 v142, 0
	s_mov_b32 s1, 1
	s_inst_prefetch 0x1
	.p2align	6
.LBB64_5:                               ; =>This Inner Loop Header: Depth=1
	s_waitcnt lgkmcnt(0)
	v_cmp_gt_f64_e32 vcc_lo, 0, v[136:137]
	v_cmp_gt_f64_e64 s0, 0, v[134:135]
	ds_read2_b64 v[147:150], v143 offset1:1
	v_xor_b32_e32 v152, 0x80000000, v135
	v_xor_b32_e32 v154, 0x80000000, v137
	v_mov_b32_e32 v151, v134
	v_mov_b32_e32 v153, v136
	v_add_nc_u32_e32 v143, 16, v143
	s_waitcnt lgkmcnt(0)
	v_xor_b32_e32 v156, 0x80000000, v150
	v_cndmask_b32_e64 v152, v135, v152, s0
	v_cndmask_b32_e32 v154, v137, v154, vcc_lo
	v_cmp_gt_f64_e32 vcc_lo, 0, v[149:150]
	v_cmp_gt_f64_e64 s0, 0, v[147:148]
	v_mov_b32_e32 v155, v149
	v_add_f64 v[151:152], v[151:152], v[153:154]
	v_xor_b32_e32 v154, 0x80000000, v148
	v_mov_b32_e32 v153, v147
	v_cndmask_b32_e32 v156, v150, v156, vcc_lo
	v_cndmask_b32_e64 v154, v148, v154, s0
	v_add_f64 v[153:154], v[153:154], v[155:156]
	v_cmp_lt_f64_e32 vcc_lo, v[151:152], v[153:154]
	v_cndmask_b32_e32 v135, v135, v148, vcc_lo
	v_cndmask_b32_e32 v134, v134, v147, vcc_lo
	;; [unrolled: 1-line block ×4, first 2 shown]
	v_cndmask_b32_e64 v142, v142, s1, vcc_lo
	s_add_i32 s1, s1, 1
	s_cmp_eq_u32 s18, s1
	s_cbranch_scc0 .LBB64_5
.LBB64_6:
	s_inst_prefetch 0x2
	s_waitcnt lgkmcnt(0)
	v_cmp_neq_f64_e32 vcc_lo, 0, v[134:135]
	v_cmp_neq_f64_e64 s0, 0, v[136:137]
	v_mov_b32_e32 v147, 1
	v_mov_b32_e32 v149, 1
	s_or_b32 s1, vcc_lo, s0
	s_and_saveexec_b32 s0, s1
	s_cbranch_execz .LBB64_12
; %bb.7:
	v_cmp_ngt_f64_e64 s1, |v[134:135]|, |v[136:137]|
	s_and_saveexec_b32 s2, s1
	s_xor_b32 s1, exec_lo, s2
	s_cbranch_execz .LBB64_9
; %bb.8:
	v_div_scale_f64 v[147:148], null, v[136:137], v[136:137], v[134:135]
	v_div_scale_f64 v[153:154], vcc_lo, v[134:135], v[136:137], v[134:135]
	v_rcp_f64_e32 v[149:150], v[147:148]
	v_fma_f64 v[151:152], -v[147:148], v[149:150], 1.0
	v_fma_f64 v[149:150], v[149:150], v[151:152], v[149:150]
	v_fma_f64 v[151:152], -v[147:148], v[149:150], 1.0
	v_fma_f64 v[149:150], v[149:150], v[151:152], v[149:150]
	v_mul_f64 v[151:152], v[153:154], v[149:150]
	v_fma_f64 v[147:148], -v[147:148], v[151:152], v[153:154]
	v_div_fmas_f64 v[147:148], v[147:148], v[149:150], v[151:152]
	v_div_fixup_f64 v[147:148], v[147:148], v[136:137], v[134:135]
	v_fma_f64 v[134:135], v[134:135], v[147:148], v[136:137]
	v_div_scale_f64 v[136:137], null, v[134:135], v[134:135], 1.0
	v_rcp_f64_e32 v[149:150], v[136:137]
	v_fma_f64 v[151:152], -v[136:137], v[149:150], 1.0
	v_fma_f64 v[149:150], v[149:150], v[151:152], v[149:150]
	v_fma_f64 v[151:152], -v[136:137], v[149:150], 1.0
	v_fma_f64 v[149:150], v[149:150], v[151:152], v[149:150]
	v_div_scale_f64 v[151:152], vcc_lo, 1.0, v[134:135], 1.0
	v_mul_f64 v[153:154], v[151:152], v[149:150]
	v_fma_f64 v[136:137], -v[136:137], v[153:154], v[151:152]
	v_div_fmas_f64 v[136:137], v[136:137], v[149:150], v[153:154]
	v_div_fixup_f64 v[136:137], v[136:137], v[134:135], 1.0
	v_mul_f64 v[134:135], v[147:148], v[136:137]
	v_xor_b32_e32 v137, 0x80000000, v137
.LBB64_9:
	s_andn2_saveexec_b32 s1, s1
	s_cbranch_execz .LBB64_11
; %bb.10:
	v_div_scale_f64 v[147:148], null, v[134:135], v[134:135], v[136:137]
	v_div_scale_f64 v[153:154], vcc_lo, v[136:137], v[134:135], v[136:137]
	v_rcp_f64_e32 v[149:150], v[147:148]
	v_fma_f64 v[151:152], -v[147:148], v[149:150], 1.0
	v_fma_f64 v[149:150], v[149:150], v[151:152], v[149:150]
	v_fma_f64 v[151:152], -v[147:148], v[149:150], 1.0
	v_fma_f64 v[149:150], v[149:150], v[151:152], v[149:150]
	v_mul_f64 v[151:152], v[153:154], v[149:150]
	v_fma_f64 v[147:148], -v[147:148], v[151:152], v[153:154]
	v_div_fmas_f64 v[147:148], v[147:148], v[149:150], v[151:152]
	v_div_fixup_f64 v[147:148], v[147:148], v[134:135], v[136:137]
	v_fma_f64 v[134:135], v[136:137], v[147:148], v[134:135]
	v_div_scale_f64 v[136:137], null, v[134:135], v[134:135], 1.0
	v_rcp_f64_e32 v[149:150], v[136:137]
	v_fma_f64 v[151:152], -v[136:137], v[149:150], 1.0
	v_fma_f64 v[149:150], v[149:150], v[151:152], v[149:150]
	v_fma_f64 v[151:152], -v[136:137], v[149:150], 1.0
	v_fma_f64 v[149:150], v[149:150], v[151:152], v[149:150]
	v_div_scale_f64 v[151:152], vcc_lo, 1.0, v[134:135], 1.0
	v_mul_f64 v[153:154], v[151:152], v[149:150]
	v_fma_f64 v[136:137], -v[136:137], v[153:154], v[151:152]
	v_div_fmas_f64 v[136:137], v[136:137], v[149:150], v[153:154]
	v_div_fixup_f64 v[134:135], v[136:137], v[134:135], 1.0
	v_mul_f64 v[136:137], v[147:148], -v[134:135]
.LBB64_11:
	s_or_b32 exec_lo, exec_lo, s1
	v_mov_b32_e32 v149, 0
	v_mov_b32_e32 v147, 2
.LBB64_12:
	s_or_b32 exec_lo, exec_lo, s0
	s_mov_b32 s0, exec_lo
	v_cmpx_ne_u32_e64 v0, v142
	s_xor_b32 s0, exec_lo, s0
	s_cbranch_execz .LBB64_18
; %bb.13:
	s_mov_b32 s1, exec_lo
	v_cmpx_eq_u32_e32 0, v0
	s_cbranch_execz .LBB64_17
; %bb.14:
	v_cmp_ne_u32_e32 vcc_lo, 0, v142
	s_xor_b32 s2, s16, -1
	s_and_b32 s3, s2, vcc_lo
	s_and_saveexec_b32 s2, s3
	s_cbranch_execz .LBB64_16
; %bb.15:
	v_ashrrev_i32_e32 v143, 31, v142
	v_lshlrev_b64 v[150:151], 2, v[142:143]
	v_add_co_u32 v150, vcc_lo, v140, v150
	v_add_co_ci_u32_e64 v151, null, v141, v151, vcc_lo
	s_clause 0x1
	global_load_dword v0, v[150:151], off
	global_load_dword v143, v[140:141], off
	s_waitcnt vmcnt(1)
	global_store_dword v[140:141], v0, off
	s_waitcnt vmcnt(0)
	global_store_dword v[150:151], v143, off
.LBB64_16:
	s_or_b32 exec_lo, exec_lo, s2
	v_mov_b32_e32 v0, v142
.LBB64_17:
	s_or_b32 exec_lo, exec_lo, s1
.LBB64_18:
	s_or_saveexec_b32 s0, s0
	v_mov_b32_e32 v148, v0
	s_xor_b32 exec_lo, exec_lo, s0
	s_cbranch_execz .LBB64_20
; %bb.19:
	v_mov_b32_e32 v148, 0
	ds_write2_b64 v1, v[122:123], v[124:125] offset0:2 offset1:3
	ds_write2_b64 v1, v[126:127], v[128:129] offset0:4 offset1:5
	;; [unrolled: 1-line block ×32, first 2 shown]
.LBB64_20:
	s_or_b32 exec_lo, exec_lo, s0
	s_mov_b32 s0, exec_lo
	s_waitcnt lgkmcnt(0)
	s_waitcnt_vscnt null, 0x0
	s_barrier
	buffer_gl0_inv
	v_cmpx_lt_i32_e32 0, v148
	s_cbranch_execz .LBB64_22
; %bb.21:
	v_mul_f64 v[142:143], v[136:137], v[132:133]
	v_mul_f64 v[132:133], v[134:135], v[132:133]
	v_fma_f64 v[142:143], v[134:135], v[130:131], -v[142:143]
	v_fma_f64 v[132:133], v[136:137], v[130:131], v[132:133]
	ds_read2_b64 v[134:137], v1 offset0:2 offset1:3
	s_waitcnt lgkmcnt(0)
	v_mul_f64 v[130:131], v[136:137], v[132:133]
	v_fma_f64 v[130:131], v[134:135], v[142:143], -v[130:131]
	v_mul_f64 v[134:135], v[134:135], v[132:133]
	v_add_f64 v[122:123], v[122:123], -v[130:131]
	v_fma_f64 v[134:135], v[136:137], v[142:143], v[134:135]
	v_add_f64 v[124:125], v[124:125], -v[134:135]
	ds_read2_b64 v[134:137], v1 offset0:4 offset1:5
	s_waitcnt lgkmcnt(0)
	v_mul_f64 v[130:131], v[136:137], v[132:133]
	v_fma_f64 v[130:131], v[134:135], v[142:143], -v[130:131]
	v_mul_f64 v[134:135], v[134:135], v[132:133]
	v_add_f64 v[126:127], v[126:127], -v[130:131]
	v_fma_f64 v[134:135], v[136:137], v[142:143], v[134:135]
	v_add_f64 v[128:129], v[128:129], -v[134:135]
	;; [unrolled: 8-line block ×31, first 2 shown]
	ds_read2_b64 v[134:137], v1 offset0:64 offset1:65
	s_waitcnt lgkmcnt(0)
	v_mul_f64 v[130:131], v[136:137], v[132:133]
	v_fma_f64 v[130:131], v[134:135], v[142:143], -v[130:131]
	v_mul_f64 v[134:135], v[134:135], v[132:133]
	v_add_f64 v[2:3], v[2:3], -v[130:131]
	v_fma_f64 v[134:135], v[136:137], v[142:143], v[134:135]
	v_mov_b32_e32 v130, v142
	v_mov_b32_e32 v131, v143
	v_add_f64 v[4:5], v[4:5], -v[134:135]
.LBB64_22:
	s_or_b32 exec_lo, exec_lo, s0
	v_lshl_add_u32 v134, v148, 4, v1
	s_barrier
	buffer_gl0_inv
	v_mov_b32_e32 v142, 1
	ds_write2_b64 v134, v[122:123], v[124:125] offset1:1
	s_waitcnt lgkmcnt(0)
	s_barrier
	buffer_gl0_inv
	ds_read2_b64 v[134:137], v1 offset0:2 offset1:3
	s_cmp_lt_i32 s18, 3
	s_cbranch_scc1 .LBB64_25
; %bb.23:
	v_add3_u32 v143, v144, 0, 32
	v_mov_b32_e32 v142, 1
	s_mov_b32 s3, 2
	s_inst_prefetch 0x1
	.p2align	6
.LBB64_24:                              ; =>This Inner Loop Header: Depth=1
	ds_read2_b64 v[150:153], v143 offset1:1
	s_waitcnt lgkmcnt(1)
	v_cmp_gt_f64_e32 vcc_lo, 0, v[134:135]
	v_cmp_gt_f64_e64 s0, 0, v[136:137]
	v_xor_b32_e32 v155, 0x80000000, v135
	v_xor_b32_e32 v157, 0x80000000, v137
	v_mov_b32_e32 v154, v134
	v_mov_b32_e32 v156, v136
	v_add_nc_u32_e32 v143, 16, v143
	s_waitcnt lgkmcnt(0)
	v_cmp_gt_f64_e64 s1, 0, v[150:151]
	v_cmp_gt_f64_e64 s2, 0, v[152:153]
	v_xor_b32_e32 v159, 0x80000000, v151
	v_xor_b32_e32 v161, 0x80000000, v153
	v_mov_b32_e32 v158, v150
	v_mov_b32_e32 v160, v152
	v_cndmask_b32_e32 v155, v135, v155, vcc_lo
	v_cndmask_b32_e64 v157, v137, v157, s0
	v_add_f64 v[154:155], v[154:155], v[156:157]
	v_cndmask_b32_e64 v159, v151, v159, s1
	v_cndmask_b32_e64 v161, v153, v161, s2
	v_add_f64 v[156:157], v[158:159], v[160:161]
	v_cmp_lt_f64_e32 vcc_lo, v[154:155], v[156:157]
	v_cndmask_b32_e32 v135, v135, v151, vcc_lo
	v_cndmask_b32_e32 v134, v134, v150, vcc_lo
	;; [unrolled: 1-line block ×4, first 2 shown]
	v_cndmask_b32_e64 v142, v142, s3, vcc_lo
	s_add_i32 s3, s3, 1
	s_cmp_lg_u32 s18, s3
	s_cbranch_scc1 .LBB64_24
.LBB64_25:
	s_inst_prefetch 0x2
	s_waitcnt lgkmcnt(0)
	v_cmp_neq_f64_e32 vcc_lo, 0, v[134:135]
	v_cmp_neq_f64_e64 s0, 0, v[136:137]
	s_or_b32 s1, vcc_lo, s0
	s_and_saveexec_b32 s0, s1
	s_cbranch_execz .LBB64_31
; %bb.26:
	v_cmp_ngt_f64_e64 s1, |v[134:135]|, |v[136:137]|
	s_and_saveexec_b32 s2, s1
	s_xor_b32 s1, exec_lo, s2
	s_cbranch_execz .LBB64_28
; %bb.27:
	v_div_scale_f64 v[150:151], null, v[136:137], v[136:137], v[134:135]
	v_div_scale_f64 v[156:157], vcc_lo, v[134:135], v[136:137], v[134:135]
	v_rcp_f64_e32 v[152:153], v[150:151]
	v_fma_f64 v[154:155], -v[150:151], v[152:153], 1.0
	v_fma_f64 v[152:153], v[152:153], v[154:155], v[152:153]
	v_fma_f64 v[154:155], -v[150:151], v[152:153], 1.0
	v_fma_f64 v[152:153], v[152:153], v[154:155], v[152:153]
	v_mul_f64 v[154:155], v[156:157], v[152:153]
	v_fma_f64 v[150:151], -v[150:151], v[154:155], v[156:157]
	v_div_fmas_f64 v[150:151], v[150:151], v[152:153], v[154:155]
	v_div_fixup_f64 v[150:151], v[150:151], v[136:137], v[134:135]
	v_fma_f64 v[134:135], v[134:135], v[150:151], v[136:137]
	v_div_scale_f64 v[136:137], null, v[134:135], v[134:135], 1.0
	v_rcp_f64_e32 v[152:153], v[136:137]
	v_fma_f64 v[154:155], -v[136:137], v[152:153], 1.0
	v_fma_f64 v[152:153], v[152:153], v[154:155], v[152:153]
	v_fma_f64 v[154:155], -v[136:137], v[152:153], 1.0
	v_fma_f64 v[152:153], v[152:153], v[154:155], v[152:153]
	v_div_scale_f64 v[154:155], vcc_lo, 1.0, v[134:135], 1.0
	v_mul_f64 v[156:157], v[154:155], v[152:153]
	v_fma_f64 v[136:137], -v[136:137], v[156:157], v[154:155]
	v_div_fmas_f64 v[136:137], v[136:137], v[152:153], v[156:157]
	v_div_fixup_f64 v[136:137], v[136:137], v[134:135], 1.0
	v_mul_f64 v[134:135], v[150:151], v[136:137]
	v_xor_b32_e32 v137, 0x80000000, v137
.LBB64_28:
	s_andn2_saveexec_b32 s1, s1
	s_cbranch_execz .LBB64_30
; %bb.29:
	v_div_scale_f64 v[150:151], null, v[134:135], v[134:135], v[136:137]
	v_div_scale_f64 v[156:157], vcc_lo, v[136:137], v[134:135], v[136:137]
	v_rcp_f64_e32 v[152:153], v[150:151]
	v_fma_f64 v[154:155], -v[150:151], v[152:153], 1.0
	v_fma_f64 v[152:153], v[152:153], v[154:155], v[152:153]
	v_fma_f64 v[154:155], -v[150:151], v[152:153], 1.0
	v_fma_f64 v[152:153], v[152:153], v[154:155], v[152:153]
	v_mul_f64 v[154:155], v[156:157], v[152:153]
	v_fma_f64 v[150:151], -v[150:151], v[154:155], v[156:157]
	v_div_fmas_f64 v[150:151], v[150:151], v[152:153], v[154:155]
	v_div_fixup_f64 v[150:151], v[150:151], v[134:135], v[136:137]
	v_fma_f64 v[134:135], v[136:137], v[150:151], v[134:135]
	v_div_scale_f64 v[136:137], null, v[134:135], v[134:135], 1.0
	v_rcp_f64_e32 v[152:153], v[136:137]
	v_fma_f64 v[154:155], -v[136:137], v[152:153], 1.0
	v_fma_f64 v[152:153], v[152:153], v[154:155], v[152:153]
	v_fma_f64 v[154:155], -v[136:137], v[152:153], 1.0
	v_fma_f64 v[152:153], v[152:153], v[154:155], v[152:153]
	v_div_scale_f64 v[154:155], vcc_lo, 1.0, v[134:135], 1.0
	v_mul_f64 v[156:157], v[154:155], v[152:153]
	v_fma_f64 v[136:137], -v[136:137], v[156:157], v[154:155]
	v_div_fmas_f64 v[136:137], v[136:137], v[152:153], v[156:157]
	v_div_fixup_f64 v[134:135], v[136:137], v[134:135], 1.0
	v_mul_f64 v[136:137], v[150:151], -v[134:135]
.LBB64_30:
	s_or_b32 exec_lo, exec_lo, s1
	v_mov_b32_e32 v147, v149
.LBB64_31:
	s_or_b32 exec_lo, exec_lo, s0
	s_mov_b32 s0, exec_lo
	v_cmpx_ne_u32_e64 v148, v142
	s_xor_b32 s0, exec_lo, s0
	s_cbranch_execz .LBB64_37
; %bb.32:
	s_mov_b32 s1, exec_lo
	v_cmpx_eq_u32_e32 1, v148
	s_cbranch_execz .LBB64_36
; %bb.33:
	v_cmp_ne_u32_e32 vcc_lo, 1, v142
	s_xor_b32 s2, s16, -1
	s_and_b32 s3, s2, vcc_lo
	s_and_saveexec_b32 s2, s3
	s_cbranch_execz .LBB64_35
; %bb.34:
	v_ashrrev_i32_e32 v143, 31, v142
	v_lshlrev_b64 v[148:149], 2, v[142:143]
	v_add_co_u32 v148, vcc_lo, v140, v148
	v_add_co_ci_u32_e64 v149, null, v141, v149, vcc_lo
	s_clause 0x1
	global_load_dword v0, v[148:149], off
	global_load_dword v143, v[140:141], off offset:4
	s_waitcnt vmcnt(1)
	global_store_dword v[140:141], v0, off offset:4
	s_waitcnt vmcnt(0)
	global_store_dword v[148:149], v143, off
.LBB64_35:
	s_or_b32 exec_lo, exec_lo, s2
	v_mov_b32_e32 v148, v142
	v_mov_b32_e32 v0, v142
.LBB64_36:
	s_or_b32 exec_lo, exec_lo, s1
.LBB64_37:
	s_andn2_saveexec_b32 s0, s0
	s_cbranch_execz .LBB64_39
; %bb.38:
	v_mov_b32_e32 v148, 1
	ds_write2_b64 v1, v[126:127], v[128:129] offset0:4 offset1:5
	ds_write2_b64 v1, v[118:119], v[120:121] offset0:6 offset1:7
	;; [unrolled: 1-line block ×31, first 2 shown]
.LBB64_39:
	s_or_b32 exec_lo, exec_lo, s0
	s_mov_b32 s0, exec_lo
	s_waitcnt lgkmcnt(0)
	s_waitcnt_vscnt null, 0x0
	s_barrier
	buffer_gl0_inv
	v_cmpx_lt_i32_e32 1, v148
	s_cbranch_execz .LBB64_41
; %bb.40:
	v_mul_f64 v[142:143], v[136:137], v[124:125]
	v_mul_f64 v[124:125], v[134:135], v[124:125]
	v_fma_f64 v[142:143], v[134:135], v[122:123], -v[142:143]
	v_fma_f64 v[124:125], v[136:137], v[122:123], v[124:125]
	ds_read2_b64 v[134:137], v1 offset0:4 offset1:5
	s_waitcnt lgkmcnt(0)
	v_mul_f64 v[122:123], v[136:137], v[124:125]
	v_fma_f64 v[122:123], v[134:135], v[142:143], -v[122:123]
	v_mul_f64 v[134:135], v[134:135], v[124:125]
	v_add_f64 v[126:127], v[126:127], -v[122:123]
	v_fma_f64 v[134:135], v[136:137], v[142:143], v[134:135]
	v_add_f64 v[128:129], v[128:129], -v[134:135]
	ds_read2_b64 v[134:137], v1 offset0:6 offset1:7
	s_waitcnt lgkmcnt(0)
	v_mul_f64 v[122:123], v[136:137], v[124:125]
	v_fma_f64 v[122:123], v[134:135], v[142:143], -v[122:123]
	v_mul_f64 v[134:135], v[134:135], v[124:125]
	v_add_f64 v[118:119], v[118:119], -v[122:123]
	v_fma_f64 v[134:135], v[136:137], v[142:143], v[134:135]
	v_add_f64 v[120:121], v[120:121], -v[134:135]
	;; [unrolled: 8-line block ×30, first 2 shown]
	ds_read2_b64 v[134:137], v1 offset0:64 offset1:65
	s_waitcnt lgkmcnt(0)
	v_mul_f64 v[122:123], v[136:137], v[124:125]
	v_fma_f64 v[122:123], v[134:135], v[142:143], -v[122:123]
	v_mul_f64 v[134:135], v[134:135], v[124:125]
	v_add_f64 v[2:3], v[2:3], -v[122:123]
	v_fma_f64 v[134:135], v[136:137], v[142:143], v[134:135]
	v_mov_b32_e32 v122, v142
	v_mov_b32_e32 v123, v143
	v_add_f64 v[4:5], v[4:5], -v[134:135]
.LBB64_41:
	s_or_b32 exec_lo, exec_lo, s0
	v_lshl_add_u32 v134, v148, 4, v1
	s_barrier
	buffer_gl0_inv
	v_mov_b32_e32 v142, 2
	ds_write2_b64 v134, v[126:127], v[128:129] offset1:1
	s_waitcnt lgkmcnt(0)
	s_barrier
	buffer_gl0_inv
	ds_read2_b64 v[134:137], v1 offset0:4 offset1:5
	s_cmp_lt_i32 s18, 4
	s_cbranch_scc1 .LBB64_44
; %bb.42:
	v_add3_u32 v143, v144, 0, 48
	v_mov_b32_e32 v142, 2
	s_mov_b32 s1, 3
	s_inst_prefetch 0x1
	.p2align	6
.LBB64_43:                              ; =>This Inner Loop Header: Depth=1
	s_waitcnt lgkmcnt(0)
	v_cmp_gt_f64_e32 vcc_lo, 0, v[136:137]
	v_cmp_gt_f64_e64 s0, 0, v[134:135]
	ds_read2_b64 v[149:152], v143 offset1:1
	v_xor_b32_e32 v154, 0x80000000, v135
	v_xor_b32_e32 v156, 0x80000000, v137
	v_mov_b32_e32 v153, v134
	v_mov_b32_e32 v155, v136
	v_add_nc_u32_e32 v143, 16, v143
	s_waitcnt lgkmcnt(0)
	v_xor_b32_e32 v158, 0x80000000, v152
	v_cndmask_b32_e64 v154, v135, v154, s0
	v_cndmask_b32_e32 v156, v137, v156, vcc_lo
	v_cmp_gt_f64_e32 vcc_lo, 0, v[151:152]
	v_cmp_gt_f64_e64 s0, 0, v[149:150]
	v_mov_b32_e32 v157, v151
	v_add_f64 v[153:154], v[153:154], v[155:156]
	v_xor_b32_e32 v156, 0x80000000, v150
	v_mov_b32_e32 v155, v149
	v_cndmask_b32_e32 v158, v152, v158, vcc_lo
	v_cndmask_b32_e64 v156, v150, v156, s0
	v_add_f64 v[155:156], v[155:156], v[157:158]
	v_cmp_lt_f64_e32 vcc_lo, v[153:154], v[155:156]
	v_cndmask_b32_e32 v135, v135, v150, vcc_lo
	v_cndmask_b32_e32 v134, v134, v149, vcc_lo
	;; [unrolled: 1-line block ×4, first 2 shown]
	v_cndmask_b32_e64 v142, v142, s1, vcc_lo
	s_add_i32 s1, s1, 1
	s_cmp_lg_u32 s18, s1
	s_cbranch_scc1 .LBB64_43
.LBB64_44:
	s_inst_prefetch 0x2
	s_waitcnt lgkmcnt(0)
	v_cmp_eq_f64_e32 vcc_lo, 0, v[134:135]
	v_cmp_eq_f64_e64 s0, 0, v[136:137]
	s_and_b32 s0, vcc_lo, s0
	s_and_saveexec_b32 s1, s0
	s_xor_b32 s0, exec_lo, s1
; %bb.45:
	v_cmp_ne_u32_e32 vcc_lo, 0, v147
	v_cndmask_b32_e32 v147, 3, v147, vcc_lo
; %bb.46:
	s_andn2_saveexec_b32 s0, s0
	s_cbranch_execz .LBB64_52
; %bb.47:
	v_cmp_ngt_f64_e64 s1, |v[134:135]|, |v[136:137]|
	s_and_saveexec_b32 s2, s1
	s_xor_b32 s1, exec_lo, s2
	s_cbranch_execz .LBB64_49
; %bb.48:
	v_div_scale_f64 v[149:150], null, v[136:137], v[136:137], v[134:135]
	v_div_scale_f64 v[155:156], vcc_lo, v[134:135], v[136:137], v[134:135]
	v_rcp_f64_e32 v[151:152], v[149:150]
	v_fma_f64 v[153:154], -v[149:150], v[151:152], 1.0
	v_fma_f64 v[151:152], v[151:152], v[153:154], v[151:152]
	v_fma_f64 v[153:154], -v[149:150], v[151:152], 1.0
	v_fma_f64 v[151:152], v[151:152], v[153:154], v[151:152]
	v_mul_f64 v[153:154], v[155:156], v[151:152]
	v_fma_f64 v[149:150], -v[149:150], v[153:154], v[155:156]
	v_div_fmas_f64 v[149:150], v[149:150], v[151:152], v[153:154]
	v_div_fixup_f64 v[149:150], v[149:150], v[136:137], v[134:135]
	v_fma_f64 v[134:135], v[134:135], v[149:150], v[136:137]
	v_div_scale_f64 v[136:137], null, v[134:135], v[134:135], 1.0
	v_rcp_f64_e32 v[151:152], v[136:137]
	v_fma_f64 v[153:154], -v[136:137], v[151:152], 1.0
	v_fma_f64 v[151:152], v[151:152], v[153:154], v[151:152]
	v_fma_f64 v[153:154], -v[136:137], v[151:152], 1.0
	v_fma_f64 v[151:152], v[151:152], v[153:154], v[151:152]
	v_div_scale_f64 v[153:154], vcc_lo, 1.0, v[134:135], 1.0
	v_mul_f64 v[155:156], v[153:154], v[151:152]
	v_fma_f64 v[136:137], -v[136:137], v[155:156], v[153:154]
	v_div_fmas_f64 v[136:137], v[136:137], v[151:152], v[155:156]
	v_div_fixup_f64 v[136:137], v[136:137], v[134:135], 1.0
	v_mul_f64 v[134:135], v[149:150], v[136:137]
	v_xor_b32_e32 v137, 0x80000000, v137
.LBB64_49:
	s_andn2_saveexec_b32 s1, s1
	s_cbranch_execz .LBB64_51
; %bb.50:
	v_div_scale_f64 v[149:150], null, v[134:135], v[134:135], v[136:137]
	v_div_scale_f64 v[155:156], vcc_lo, v[136:137], v[134:135], v[136:137]
	v_rcp_f64_e32 v[151:152], v[149:150]
	v_fma_f64 v[153:154], -v[149:150], v[151:152], 1.0
	v_fma_f64 v[151:152], v[151:152], v[153:154], v[151:152]
	v_fma_f64 v[153:154], -v[149:150], v[151:152], 1.0
	v_fma_f64 v[151:152], v[151:152], v[153:154], v[151:152]
	v_mul_f64 v[153:154], v[155:156], v[151:152]
	v_fma_f64 v[149:150], -v[149:150], v[153:154], v[155:156]
	v_div_fmas_f64 v[149:150], v[149:150], v[151:152], v[153:154]
	v_div_fixup_f64 v[149:150], v[149:150], v[134:135], v[136:137]
	v_fma_f64 v[134:135], v[136:137], v[149:150], v[134:135]
	v_div_scale_f64 v[136:137], null, v[134:135], v[134:135], 1.0
	v_rcp_f64_e32 v[151:152], v[136:137]
	v_fma_f64 v[153:154], -v[136:137], v[151:152], 1.0
	v_fma_f64 v[151:152], v[151:152], v[153:154], v[151:152]
	v_fma_f64 v[153:154], -v[136:137], v[151:152], 1.0
	v_fma_f64 v[151:152], v[151:152], v[153:154], v[151:152]
	v_div_scale_f64 v[153:154], vcc_lo, 1.0, v[134:135], 1.0
	v_mul_f64 v[155:156], v[153:154], v[151:152]
	v_fma_f64 v[136:137], -v[136:137], v[155:156], v[153:154]
	v_div_fmas_f64 v[136:137], v[136:137], v[151:152], v[155:156]
	v_div_fixup_f64 v[134:135], v[136:137], v[134:135], 1.0
	v_mul_f64 v[136:137], v[149:150], -v[134:135]
.LBB64_51:
	s_or_b32 exec_lo, exec_lo, s1
.LBB64_52:
	s_or_b32 exec_lo, exec_lo, s0
	s_mov_b32 s0, exec_lo
	v_cmpx_ne_u32_e64 v148, v142
	s_xor_b32 s0, exec_lo, s0
	s_cbranch_execz .LBB64_58
; %bb.53:
	s_mov_b32 s1, exec_lo
	v_cmpx_eq_u32_e32 2, v148
	s_cbranch_execz .LBB64_57
; %bb.54:
	v_cmp_ne_u32_e32 vcc_lo, 2, v142
	s_xor_b32 s2, s16, -1
	s_and_b32 s3, s2, vcc_lo
	s_and_saveexec_b32 s2, s3
	s_cbranch_execz .LBB64_56
; %bb.55:
	v_ashrrev_i32_e32 v143, 31, v142
	v_lshlrev_b64 v[148:149], 2, v[142:143]
	v_add_co_u32 v148, vcc_lo, v140, v148
	v_add_co_ci_u32_e64 v149, null, v141, v149, vcc_lo
	s_clause 0x1
	global_load_dword v0, v[148:149], off
	global_load_dword v143, v[140:141], off offset:8
	s_waitcnt vmcnt(1)
	global_store_dword v[140:141], v0, off offset:8
	s_waitcnt vmcnt(0)
	global_store_dword v[148:149], v143, off
.LBB64_56:
	s_or_b32 exec_lo, exec_lo, s2
	v_mov_b32_e32 v148, v142
	v_mov_b32_e32 v0, v142
.LBB64_57:
	s_or_b32 exec_lo, exec_lo, s1
.LBB64_58:
	s_andn2_saveexec_b32 s0, s0
	s_cbranch_execz .LBB64_60
; %bb.59:
	v_mov_b32_e32 v148, 2
	ds_write2_b64 v1, v[118:119], v[120:121] offset0:6 offset1:7
	ds_write2_b64 v1, v[114:115], v[116:117] offset0:8 offset1:9
	;; [unrolled: 1-line block ×30, first 2 shown]
.LBB64_60:
	s_or_b32 exec_lo, exec_lo, s0
	s_mov_b32 s0, exec_lo
	s_waitcnt lgkmcnt(0)
	s_waitcnt_vscnt null, 0x0
	s_barrier
	buffer_gl0_inv
	v_cmpx_lt_i32_e32 2, v148
	s_cbranch_execz .LBB64_62
; %bb.61:
	v_mul_f64 v[142:143], v[136:137], v[128:129]
	v_mul_f64 v[128:129], v[134:135], v[128:129]
	v_fma_f64 v[142:143], v[134:135], v[126:127], -v[142:143]
	v_fma_f64 v[128:129], v[136:137], v[126:127], v[128:129]
	ds_read2_b64 v[134:137], v1 offset0:6 offset1:7
	s_waitcnt lgkmcnt(0)
	v_mul_f64 v[126:127], v[136:137], v[128:129]
	v_fma_f64 v[126:127], v[134:135], v[142:143], -v[126:127]
	v_mul_f64 v[134:135], v[134:135], v[128:129]
	v_add_f64 v[118:119], v[118:119], -v[126:127]
	v_fma_f64 v[134:135], v[136:137], v[142:143], v[134:135]
	v_add_f64 v[120:121], v[120:121], -v[134:135]
	ds_read2_b64 v[134:137], v1 offset0:8 offset1:9
	s_waitcnt lgkmcnt(0)
	v_mul_f64 v[126:127], v[136:137], v[128:129]
	v_fma_f64 v[126:127], v[134:135], v[142:143], -v[126:127]
	v_mul_f64 v[134:135], v[134:135], v[128:129]
	v_add_f64 v[114:115], v[114:115], -v[126:127]
	v_fma_f64 v[134:135], v[136:137], v[142:143], v[134:135]
	v_add_f64 v[116:117], v[116:117], -v[134:135]
	;; [unrolled: 8-line block ×29, first 2 shown]
	ds_read2_b64 v[134:137], v1 offset0:64 offset1:65
	s_waitcnt lgkmcnt(0)
	v_mul_f64 v[126:127], v[136:137], v[128:129]
	v_fma_f64 v[126:127], v[134:135], v[142:143], -v[126:127]
	v_mul_f64 v[134:135], v[134:135], v[128:129]
	v_add_f64 v[2:3], v[2:3], -v[126:127]
	v_fma_f64 v[134:135], v[136:137], v[142:143], v[134:135]
	v_mov_b32_e32 v126, v142
	v_mov_b32_e32 v127, v143
	v_add_f64 v[4:5], v[4:5], -v[134:135]
.LBB64_62:
	s_or_b32 exec_lo, exec_lo, s0
	v_lshl_add_u32 v134, v148, 4, v1
	s_barrier
	buffer_gl0_inv
	v_mov_b32_e32 v142, 3
	ds_write2_b64 v134, v[118:119], v[120:121] offset1:1
	s_waitcnt lgkmcnt(0)
	s_barrier
	buffer_gl0_inv
	ds_read2_b64 v[134:137], v1 offset0:6 offset1:7
	s_cmp_lt_i32 s18, 5
	s_mov_b32 s1, 4
	s_cbranch_scc1 .LBB64_65
; %bb.63:
	v_add3_u32 v143, v144, 0, 64
	v_mov_b32_e32 v142, 3
	s_inst_prefetch 0x1
	.p2align	6
.LBB64_64:                              ; =>This Inner Loop Header: Depth=1
	s_waitcnt lgkmcnt(0)
	v_cmp_gt_f64_e32 vcc_lo, 0, v[136:137]
	v_cmp_gt_f64_e64 s0, 0, v[134:135]
	ds_read2_b64 v[149:152], v143 offset1:1
	v_xor_b32_e32 v154, 0x80000000, v135
	v_xor_b32_e32 v156, 0x80000000, v137
	v_mov_b32_e32 v153, v134
	v_mov_b32_e32 v155, v136
	v_add_nc_u32_e32 v143, 16, v143
	s_waitcnt lgkmcnt(0)
	v_xor_b32_e32 v158, 0x80000000, v152
	v_cndmask_b32_e64 v154, v135, v154, s0
	v_cndmask_b32_e32 v156, v137, v156, vcc_lo
	v_cmp_gt_f64_e32 vcc_lo, 0, v[151:152]
	v_cmp_gt_f64_e64 s0, 0, v[149:150]
	v_mov_b32_e32 v157, v151
	v_add_f64 v[153:154], v[153:154], v[155:156]
	v_xor_b32_e32 v156, 0x80000000, v150
	v_mov_b32_e32 v155, v149
	v_cndmask_b32_e32 v158, v152, v158, vcc_lo
	v_cndmask_b32_e64 v156, v150, v156, s0
	v_add_f64 v[155:156], v[155:156], v[157:158]
	v_cmp_lt_f64_e32 vcc_lo, v[153:154], v[155:156]
	v_cndmask_b32_e32 v135, v135, v150, vcc_lo
	v_cndmask_b32_e32 v134, v134, v149, vcc_lo
	;; [unrolled: 1-line block ×4, first 2 shown]
	v_cndmask_b32_e64 v142, v142, s1, vcc_lo
	s_add_i32 s1, s1, 1
	s_cmp_lg_u32 s18, s1
	s_cbranch_scc1 .LBB64_64
.LBB64_65:
	s_inst_prefetch 0x2
	s_waitcnt lgkmcnt(0)
	v_cmp_eq_f64_e32 vcc_lo, 0, v[134:135]
	v_cmp_eq_f64_e64 s0, 0, v[136:137]
	s_and_b32 s0, vcc_lo, s0
	s_and_saveexec_b32 s1, s0
	s_xor_b32 s0, exec_lo, s1
; %bb.66:
	v_cmp_ne_u32_e32 vcc_lo, 0, v147
	v_cndmask_b32_e32 v147, 4, v147, vcc_lo
; %bb.67:
	s_andn2_saveexec_b32 s0, s0
	s_cbranch_execz .LBB64_73
; %bb.68:
	v_cmp_ngt_f64_e64 s1, |v[134:135]|, |v[136:137]|
	s_and_saveexec_b32 s2, s1
	s_xor_b32 s1, exec_lo, s2
	s_cbranch_execz .LBB64_70
; %bb.69:
	v_div_scale_f64 v[149:150], null, v[136:137], v[136:137], v[134:135]
	v_div_scale_f64 v[155:156], vcc_lo, v[134:135], v[136:137], v[134:135]
	v_rcp_f64_e32 v[151:152], v[149:150]
	v_fma_f64 v[153:154], -v[149:150], v[151:152], 1.0
	v_fma_f64 v[151:152], v[151:152], v[153:154], v[151:152]
	v_fma_f64 v[153:154], -v[149:150], v[151:152], 1.0
	v_fma_f64 v[151:152], v[151:152], v[153:154], v[151:152]
	v_mul_f64 v[153:154], v[155:156], v[151:152]
	v_fma_f64 v[149:150], -v[149:150], v[153:154], v[155:156]
	v_div_fmas_f64 v[149:150], v[149:150], v[151:152], v[153:154]
	v_div_fixup_f64 v[149:150], v[149:150], v[136:137], v[134:135]
	v_fma_f64 v[134:135], v[134:135], v[149:150], v[136:137]
	v_div_scale_f64 v[136:137], null, v[134:135], v[134:135], 1.0
	v_rcp_f64_e32 v[151:152], v[136:137]
	v_fma_f64 v[153:154], -v[136:137], v[151:152], 1.0
	v_fma_f64 v[151:152], v[151:152], v[153:154], v[151:152]
	v_fma_f64 v[153:154], -v[136:137], v[151:152], 1.0
	v_fma_f64 v[151:152], v[151:152], v[153:154], v[151:152]
	v_div_scale_f64 v[153:154], vcc_lo, 1.0, v[134:135], 1.0
	v_mul_f64 v[155:156], v[153:154], v[151:152]
	v_fma_f64 v[136:137], -v[136:137], v[155:156], v[153:154]
	v_div_fmas_f64 v[136:137], v[136:137], v[151:152], v[155:156]
	v_div_fixup_f64 v[136:137], v[136:137], v[134:135], 1.0
	v_mul_f64 v[134:135], v[149:150], v[136:137]
	v_xor_b32_e32 v137, 0x80000000, v137
.LBB64_70:
	s_andn2_saveexec_b32 s1, s1
	s_cbranch_execz .LBB64_72
; %bb.71:
	v_div_scale_f64 v[149:150], null, v[134:135], v[134:135], v[136:137]
	v_div_scale_f64 v[155:156], vcc_lo, v[136:137], v[134:135], v[136:137]
	v_rcp_f64_e32 v[151:152], v[149:150]
	v_fma_f64 v[153:154], -v[149:150], v[151:152], 1.0
	v_fma_f64 v[151:152], v[151:152], v[153:154], v[151:152]
	v_fma_f64 v[153:154], -v[149:150], v[151:152], 1.0
	v_fma_f64 v[151:152], v[151:152], v[153:154], v[151:152]
	v_mul_f64 v[153:154], v[155:156], v[151:152]
	v_fma_f64 v[149:150], -v[149:150], v[153:154], v[155:156]
	v_div_fmas_f64 v[149:150], v[149:150], v[151:152], v[153:154]
	v_div_fixup_f64 v[149:150], v[149:150], v[134:135], v[136:137]
	v_fma_f64 v[134:135], v[136:137], v[149:150], v[134:135]
	v_div_scale_f64 v[136:137], null, v[134:135], v[134:135], 1.0
	v_rcp_f64_e32 v[151:152], v[136:137]
	v_fma_f64 v[153:154], -v[136:137], v[151:152], 1.0
	v_fma_f64 v[151:152], v[151:152], v[153:154], v[151:152]
	v_fma_f64 v[153:154], -v[136:137], v[151:152], 1.0
	v_fma_f64 v[151:152], v[151:152], v[153:154], v[151:152]
	v_div_scale_f64 v[153:154], vcc_lo, 1.0, v[134:135], 1.0
	v_mul_f64 v[155:156], v[153:154], v[151:152]
	v_fma_f64 v[136:137], -v[136:137], v[155:156], v[153:154]
	v_div_fmas_f64 v[136:137], v[136:137], v[151:152], v[155:156]
	v_div_fixup_f64 v[134:135], v[136:137], v[134:135], 1.0
	v_mul_f64 v[136:137], v[149:150], -v[134:135]
.LBB64_72:
	s_or_b32 exec_lo, exec_lo, s1
.LBB64_73:
	s_or_b32 exec_lo, exec_lo, s0
	s_mov_b32 s0, exec_lo
	v_cmpx_ne_u32_e64 v148, v142
	s_xor_b32 s0, exec_lo, s0
	s_cbranch_execz .LBB64_79
; %bb.74:
	s_mov_b32 s1, exec_lo
	v_cmpx_eq_u32_e32 3, v148
	s_cbranch_execz .LBB64_78
; %bb.75:
	v_cmp_ne_u32_e32 vcc_lo, 3, v142
	s_xor_b32 s2, s16, -1
	s_and_b32 s3, s2, vcc_lo
	s_and_saveexec_b32 s2, s3
	s_cbranch_execz .LBB64_77
; %bb.76:
	v_ashrrev_i32_e32 v143, 31, v142
	v_lshlrev_b64 v[148:149], 2, v[142:143]
	v_add_co_u32 v148, vcc_lo, v140, v148
	v_add_co_ci_u32_e64 v149, null, v141, v149, vcc_lo
	s_clause 0x1
	global_load_dword v0, v[148:149], off
	global_load_dword v143, v[140:141], off offset:12
	s_waitcnt vmcnt(1)
	global_store_dword v[140:141], v0, off offset:12
	s_waitcnt vmcnt(0)
	global_store_dword v[148:149], v143, off
.LBB64_77:
	s_or_b32 exec_lo, exec_lo, s2
	v_mov_b32_e32 v148, v142
	v_mov_b32_e32 v0, v142
.LBB64_78:
	s_or_b32 exec_lo, exec_lo, s1
.LBB64_79:
	s_andn2_saveexec_b32 s0, s0
	s_cbranch_execz .LBB64_81
; %bb.80:
	v_mov_b32_e32 v148, 3
	ds_write2_b64 v1, v[114:115], v[116:117] offset0:8 offset1:9
	ds_write2_b64 v1, v[110:111], v[112:113] offset0:10 offset1:11
	;; [unrolled: 1-line block ×29, first 2 shown]
.LBB64_81:
	s_or_b32 exec_lo, exec_lo, s0
	s_mov_b32 s0, exec_lo
	s_waitcnt lgkmcnt(0)
	s_waitcnt_vscnt null, 0x0
	s_barrier
	buffer_gl0_inv
	v_cmpx_lt_i32_e32 3, v148
	s_cbranch_execz .LBB64_83
; %bb.82:
	v_mul_f64 v[142:143], v[136:137], v[120:121]
	v_mul_f64 v[120:121], v[134:135], v[120:121]
	v_fma_f64 v[142:143], v[134:135], v[118:119], -v[142:143]
	v_fma_f64 v[120:121], v[136:137], v[118:119], v[120:121]
	ds_read2_b64 v[134:137], v1 offset0:8 offset1:9
	s_waitcnt lgkmcnt(0)
	v_mul_f64 v[118:119], v[136:137], v[120:121]
	v_fma_f64 v[118:119], v[134:135], v[142:143], -v[118:119]
	v_mul_f64 v[134:135], v[134:135], v[120:121]
	v_add_f64 v[114:115], v[114:115], -v[118:119]
	v_fma_f64 v[134:135], v[136:137], v[142:143], v[134:135]
	v_add_f64 v[116:117], v[116:117], -v[134:135]
	ds_read2_b64 v[134:137], v1 offset0:10 offset1:11
	s_waitcnt lgkmcnt(0)
	v_mul_f64 v[118:119], v[136:137], v[120:121]
	v_fma_f64 v[118:119], v[134:135], v[142:143], -v[118:119]
	v_mul_f64 v[134:135], v[134:135], v[120:121]
	v_add_f64 v[110:111], v[110:111], -v[118:119]
	v_fma_f64 v[134:135], v[136:137], v[142:143], v[134:135]
	v_add_f64 v[112:113], v[112:113], -v[134:135]
	;; [unrolled: 8-line block ×28, first 2 shown]
	ds_read2_b64 v[134:137], v1 offset0:64 offset1:65
	s_waitcnt lgkmcnt(0)
	v_mul_f64 v[118:119], v[136:137], v[120:121]
	v_fma_f64 v[118:119], v[134:135], v[142:143], -v[118:119]
	v_mul_f64 v[134:135], v[134:135], v[120:121]
	v_add_f64 v[2:3], v[2:3], -v[118:119]
	v_fma_f64 v[134:135], v[136:137], v[142:143], v[134:135]
	v_mov_b32_e32 v118, v142
	v_mov_b32_e32 v119, v143
	v_add_f64 v[4:5], v[4:5], -v[134:135]
.LBB64_83:
	s_or_b32 exec_lo, exec_lo, s0
	v_lshl_add_u32 v134, v148, 4, v1
	s_barrier
	buffer_gl0_inv
	v_mov_b32_e32 v142, 4
	ds_write2_b64 v134, v[114:115], v[116:117] offset1:1
	s_waitcnt lgkmcnt(0)
	s_barrier
	buffer_gl0_inv
	ds_read2_b64 v[134:137], v1 offset0:8 offset1:9
	s_cmp_lt_i32 s18, 6
	s_cbranch_scc1 .LBB64_86
; %bb.84:
	v_mov_b32_e32 v142, 4
	v_add3_u32 v143, v144, 0, 0x50
	s_mov_b32 s1, 5
	s_inst_prefetch 0x1
	.p2align	6
.LBB64_85:                              ; =>This Inner Loop Header: Depth=1
	s_waitcnt lgkmcnt(0)
	v_cmp_gt_f64_e32 vcc_lo, 0, v[136:137]
	v_cmp_gt_f64_e64 s0, 0, v[134:135]
	ds_read2_b64 v[149:152], v143 offset1:1
	v_xor_b32_e32 v154, 0x80000000, v135
	v_xor_b32_e32 v156, 0x80000000, v137
	v_mov_b32_e32 v153, v134
	v_mov_b32_e32 v155, v136
	v_add_nc_u32_e32 v143, 16, v143
	s_waitcnt lgkmcnt(0)
	v_xor_b32_e32 v158, 0x80000000, v152
	v_cndmask_b32_e64 v154, v135, v154, s0
	v_cndmask_b32_e32 v156, v137, v156, vcc_lo
	v_cmp_gt_f64_e32 vcc_lo, 0, v[151:152]
	v_cmp_gt_f64_e64 s0, 0, v[149:150]
	v_mov_b32_e32 v157, v151
	v_add_f64 v[153:154], v[153:154], v[155:156]
	v_xor_b32_e32 v156, 0x80000000, v150
	v_mov_b32_e32 v155, v149
	v_cndmask_b32_e32 v158, v152, v158, vcc_lo
	v_cndmask_b32_e64 v156, v150, v156, s0
	v_add_f64 v[155:156], v[155:156], v[157:158]
	v_cmp_lt_f64_e32 vcc_lo, v[153:154], v[155:156]
	v_cndmask_b32_e32 v135, v135, v150, vcc_lo
	v_cndmask_b32_e32 v134, v134, v149, vcc_lo
	;; [unrolled: 1-line block ×4, first 2 shown]
	v_cndmask_b32_e64 v142, v142, s1, vcc_lo
	s_add_i32 s1, s1, 1
	s_cmp_lg_u32 s18, s1
	s_cbranch_scc1 .LBB64_85
.LBB64_86:
	s_inst_prefetch 0x2
	s_waitcnt lgkmcnt(0)
	v_cmp_eq_f64_e32 vcc_lo, 0, v[134:135]
	v_cmp_eq_f64_e64 s0, 0, v[136:137]
	s_and_b32 s0, vcc_lo, s0
	s_and_saveexec_b32 s1, s0
	s_xor_b32 s0, exec_lo, s1
; %bb.87:
	v_cmp_ne_u32_e32 vcc_lo, 0, v147
	v_cndmask_b32_e32 v147, 5, v147, vcc_lo
; %bb.88:
	s_andn2_saveexec_b32 s0, s0
	s_cbranch_execz .LBB64_94
; %bb.89:
	v_cmp_ngt_f64_e64 s1, |v[134:135]|, |v[136:137]|
	s_and_saveexec_b32 s2, s1
	s_xor_b32 s1, exec_lo, s2
	s_cbranch_execz .LBB64_91
; %bb.90:
	v_div_scale_f64 v[149:150], null, v[136:137], v[136:137], v[134:135]
	v_div_scale_f64 v[155:156], vcc_lo, v[134:135], v[136:137], v[134:135]
	v_rcp_f64_e32 v[151:152], v[149:150]
	v_fma_f64 v[153:154], -v[149:150], v[151:152], 1.0
	v_fma_f64 v[151:152], v[151:152], v[153:154], v[151:152]
	v_fma_f64 v[153:154], -v[149:150], v[151:152], 1.0
	v_fma_f64 v[151:152], v[151:152], v[153:154], v[151:152]
	v_mul_f64 v[153:154], v[155:156], v[151:152]
	v_fma_f64 v[149:150], -v[149:150], v[153:154], v[155:156]
	v_div_fmas_f64 v[149:150], v[149:150], v[151:152], v[153:154]
	v_div_fixup_f64 v[149:150], v[149:150], v[136:137], v[134:135]
	v_fma_f64 v[134:135], v[134:135], v[149:150], v[136:137]
	v_div_scale_f64 v[136:137], null, v[134:135], v[134:135], 1.0
	v_rcp_f64_e32 v[151:152], v[136:137]
	v_fma_f64 v[153:154], -v[136:137], v[151:152], 1.0
	v_fma_f64 v[151:152], v[151:152], v[153:154], v[151:152]
	v_fma_f64 v[153:154], -v[136:137], v[151:152], 1.0
	v_fma_f64 v[151:152], v[151:152], v[153:154], v[151:152]
	v_div_scale_f64 v[153:154], vcc_lo, 1.0, v[134:135], 1.0
	v_mul_f64 v[155:156], v[153:154], v[151:152]
	v_fma_f64 v[136:137], -v[136:137], v[155:156], v[153:154]
	v_div_fmas_f64 v[136:137], v[136:137], v[151:152], v[155:156]
	v_div_fixup_f64 v[136:137], v[136:137], v[134:135], 1.0
	v_mul_f64 v[134:135], v[149:150], v[136:137]
	v_xor_b32_e32 v137, 0x80000000, v137
.LBB64_91:
	s_andn2_saveexec_b32 s1, s1
	s_cbranch_execz .LBB64_93
; %bb.92:
	v_div_scale_f64 v[149:150], null, v[134:135], v[134:135], v[136:137]
	v_div_scale_f64 v[155:156], vcc_lo, v[136:137], v[134:135], v[136:137]
	v_rcp_f64_e32 v[151:152], v[149:150]
	v_fma_f64 v[153:154], -v[149:150], v[151:152], 1.0
	v_fma_f64 v[151:152], v[151:152], v[153:154], v[151:152]
	v_fma_f64 v[153:154], -v[149:150], v[151:152], 1.0
	v_fma_f64 v[151:152], v[151:152], v[153:154], v[151:152]
	v_mul_f64 v[153:154], v[155:156], v[151:152]
	v_fma_f64 v[149:150], -v[149:150], v[153:154], v[155:156]
	v_div_fmas_f64 v[149:150], v[149:150], v[151:152], v[153:154]
	v_div_fixup_f64 v[149:150], v[149:150], v[134:135], v[136:137]
	v_fma_f64 v[134:135], v[136:137], v[149:150], v[134:135]
	v_div_scale_f64 v[136:137], null, v[134:135], v[134:135], 1.0
	v_rcp_f64_e32 v[151:152], v[136:137]
	v_fma_f64 v[153:154], -v[136:137], v[151:152], 1.0
	v_fma_f64 v[151:152], v[151:152], v[153:154], v[151:152]
	v_fma_f64 v[153:154], -v[136:137], v[151:152], 1.0
	v_fma_f64 v[151:152], v[151:152], v[153:154], v[151:152]
	v_div_scale_f64 v[153:154], vcc_lo, 1.0, v[134:135], 1.0
	v_mul_f64 v[155:156], v[153:154], v[151:152]
	v_fma_f64 v[136:137], -v[136:137], v[155:156], v[153:154]
	v_div_fmas_f64 v[136:137], v[136:137], v[151:152], v[155:156]
	v_div_fixup_f64 v[134:135], v[136:137], v[134:135], 1.0
	v_mul_f64 v[136:137], v[149:150], -v[134:135]
.LBB64_93:
	s_or_b32 exec_lo, exec_lo, s1
.LBB64_94:
	s_or_b32 exec_lo, exec_lo, s0
	s_mov_b32 s0, exec_lo
	v_cmpx_ne_u32_e64 v148, v142
	s_xor_b32 s0, exec_lo, s0
	s_cbranch_execz .LBB64_100
; %bb.95:
	s_mov_b32 s1, exec_lo
	v_cmpx_eq_u32_e32 4, v148
	s_cbranch_execz .LBB64_99
; %bb.96:
	v_cmp_ne_u32_e32 vcc_lo, 4, v142
	s_xor_b32 s2, s16, -1
	s_and_b32 s3, s2, vcc_lo
	s_and_saveexec_b32 s2, s3
	s_cbranch_execz .LBB64_98
; %bb.97:
	v_ashrrev_i32_e32 v143, 31, v142
	v_lshlrev_b64 v[148:149], 2, v[142:143]
	v_add_co_u32 v148, vcc_lo, v140, v148
	v_add_co_ci_u32_e64 v149, null, v141, v149, vcc_lo
	s_clause 0x1
	global_load_dword v0, v[148:149], off
	global_load_dword v143, v[140:141], off offset:16
	s_waitcnt vmcnt(1)
	global_store_dword v[140:141], v0, off offset:16
	s_waitcnt vmcnt(0)
	global_store_dword v[148:149], v143, off
.LBB64_98:
	s_or_b32 exec_lo, exec_lo, s2
	v_mov_b32_e32 v148, v142
	v_mov_b32_e32 v0, v142
.LBB64_99:
	s_or_b32 exec_lo, exec_lo, s1
.LBB64_100:
	s_andn2_saveexec_b32 s0, s0
	s_cbranch_execz .LBB64_102
; %bb.101:
	v_mov_b32_e32 v148, 4
	ds_write2_b64 v1, v[110:111], v[112:113] offset0:10 offset1:11
	ds_write2_b64 v1, v[106:107], v[108:109] offset0:12 offset1:13
	ds_write2_b64 v1, v[102:103], v[104:105] offset0:14 offset1:15
	ds_write2_b64 v1, v[98:99], v[100:101] offset0:16 offset1:17
	ds_write2_b64 v1, v[94:95], v[96:97] offset0:18 offset1:19
	ds_write2_b64 v1, v[90:91], v[92:93] offset0:20 offset1:21
	ds_write2_b64 v1, v[86:87], v[88:89] offset0:22 offset1:23
	ds_write2_b64 v1, v[82:83], v[84:85] offset0:24 offset1:25
	ds_write2_b64 v1, v[78:79], v[80:81] offset0:26 offset1:27
	ds_write2_b64 v1, v[74:75], v[76:77] offset0:28 offset1:29
	ds_write2_b64 v1, v[70:71], v[72:73] offset0:30 offset1:31
	ds_write2_b64 v1, v[66:67], v[68:69] offset0:32 offset1:33
	ds_write2_b64 v1, v[62:63], v[64:65] offset0:34 offset1:35
	ds_write2_b64 v1, v[58:59], v[60:61] offset0:36 offset1:37
	ds_write2_b64 v1, v[54:55], v[56:57] offset0:38 offset1:39
	ds_write2_b64 v1, v[50:51], v[52:53] offset0:40 offset1:41
	ds_write2_b64 v1, v[46:47], v[48:49] offset0:42 offset1:43
	ds_write2_b64 v1, v[42:43], v[44:45] offset0:44 offset1:45
	ds_write2_b64 v1, v[38:39], v[40:41] offset0:46 offset1:47
	ds_write2_b64 v1, v[34:35], v[36:37] offset0:48 offset1:49
	ds_write2_b64 v1, v[30:31], v[32:33] offset0:50 offset1:51
	ds_write2_b64 v1, v[26:27], v[28:29] offset0:52 offset1:53
	ds_write2_b64 v1, v[22:23], v[24:25] offset0:54 offset1:55
	ds_write2_b64 v1, v[18:19], v[20:21] offset0:56 offset1:57
	ds_write2_b64 v1, v[14:15], v[16:17] offset0:58 offset1:59
	ds_write2_b64 v1, v[10:11], v[12:13] offset0:60 offset1:61
	ds_write2_b64 v1, v[6:7], v[8:9] offset0:62 offset1:63
	ds_write2_b64 v1, v[2:3], v[4:5] offset0:64 offset1:65
.LBB64_102:
	s_or_b32 exec_lo, exec_lo, s0
	s_mov_b32 s0, exec_lo
	s_waitcnt lgkmcnt(0)
	s_waitcnt_vscnt null, 0x0
	s_barrier
	buffer_gl0_inv
	v_cmpx_lt_i32_e32 4, v148
	s_cbranch_execz .LBB64_104
; %bb.103:
	v_mul_f64 v[142:143], v[136:137], v[116:117]
	v_mul_f64 v[116:117], v[134:135], v[116:117]
	v_fma_f64 v[142:143], v[134:135], v[114:115], -v[142:143]
	v_fma_f64 v[116:117], v[136:137], v[114:115], v[116:117]
	ds_read2_b64 v[134:137], v1 offset0:10 offset1:11
	s_waitcnt lgkmcnt(0)
	v_mul_f64 v[114:115], v[136:137], v[116:117]
	v_fma_f64 v[114:115], v[134:135], v[142:143], -v[114:115]
	v_mul_f64 v[134:135], v[134:135], v[116:117]
	v_add_f64 v[110:111], v[110:111], -v[114:115]
	v_fma_f64 v[134:135], v[136:137], v[142:143], v[134:135]
	v_add_f64 v[112:113], v[112:113], -v[134:135]
	ds_read2_b64 v[134:137], v1 offset0:12 offset1:13
	s_waitcnt lgkmcnt(0)
	v_mul_f64 v[114:115], v[136:137], v[116:117]
	v_fma_f64 v[114:115], v[134:135], v[142:143], -v[114:115]
	v_mul_f64 v[134:135], v[134:135], v[116:117]
	v_add_f64 v[106:107], v[106:107], -v[114:115]
	v_fma_f64 v[134:135], v[136:137], v[142:143], v[134:135]
	v_add_f64 v[108:109], v[108:109], -v[134:135]
	;; [unrolled: 8-line block ×27, first 2 shown]
	ds_read2_b64 v[134:137], v1 offset0:64 offset1:65
	s_waitcnt lgkmcnt(0)
	v_mul_f64 v[114:115], v[136:137], v[116:117]
	v_fma_f64 v[114:115], v[134:135], v[142:143], -v[114:115]
	v_mul_f64 v[134:135], v[134:135], v[116:117]
	v_add_f64 v[2:3], v[2:3], -v[114:115]
	v_fma_f64 v[134:135], v[136:137], v[142:143], v[134:135]
	v_mov_b32_e32 v114, v142
	v_mov_b32_e32 v115, v143
	v_add_f64 v[4:5], v[4:5], -v[134:135]
.LBB64_104:
	s_or_b32 exec_lo, exec_lo, s0
	v_lshl_add_u32 v134, v148, 4, v1
	s_barrier
	buffer_gl0_inv
	v_mov_b32_e32 v142, 5
	ds_write2_b64 v134, v[110:111], v[112:113] offset1:1
	s_waitcnt lgkmcnt(0)
	s_barrier
	buffer_gl0_inv
	ds_read2_b64 v[134:137], v1 offset0:10 offset1:11
	s_cmp_lt_i32 s18, 7
	s_cbranch_scc1 .LBB64_107
; %bb.105:
	v_add3_u32 v143, v144, 0, 0x60
	v_mov_b32_e32 v142, 5
	s_mov_b32 s1, 6
	s_inst_prefetch 0x1
	.p2align	6
.LBB64_106:                             ; =>This Inner Loop Header: Depth=1
	s_waitcnt lgkmcnt(0)
	v_cmp_gt_f64_e32 vcc_lo, 0, v[136:137]
	v_cmp_gt_f64_e64 s0, 0, v[134:135]
	ds_read2_b64 v[149:152], v143 offset1:1
	v_xor_b32_e32 v154, 0x80000000, v135
	v_xor_b32_e32 v156, 0x80000000, v137
	v_mov_b32_e32 v153, v134
	v_mov_b32_e32 v155, v136
	v_add_nc_u32_e32 v143, 16, v143
	s_waitcnt lgkmcnt(0)
	v_xor_b32_e32 v158, 0x80000000, v152
	v_cndmask_b32_e64 v154, v135, v154, s0
	v_cndmask_b32_e32 v156, v137, v156, vcc_lo
	v_cmp_gt_f64_e32 vcc_lo, 0, v[151:152]
	v_cmp_gt_f64_e64 s0, 0, v[149:150]
	v_mov_b32_e32 v157, v151
	v_add_f64 v[153:154], v[153:154], v[155:156]
	v_xor_b32_e32 v156, 0x80000000, v150
	v_mov_b32_e32 v155, v149
	v_cndmask_b32_e32 v158, v152, v158, vcc_lo
	v_cndmask_b32_e64 v156, v150, v156, s0
	v_add_f64 v[155:156], v[155:156], v[157:158]
	v_cmp_lt_f64_e32 vcc_lo, v[153:154], v[155:156]
	v_cndmask_b32_e32 v135, v135, v150, vcc_lo
	v_cndmask_b32_e32 v134, v134, v149, vcc_lo
	;; [unrolled: 1-line block ×4, first 2 shown]
	v_cndmask_b32_e64 v142, v142, s1, vcc_lo
	s_add_i32 s1, s1, 1
	s_cmp_lg_u32 s18, s1
	s_cbranch_scc1 .LBB64_106
.LBB64_107:
	s_inst_prefetch 0x2
	s_waitcnt lgkmcnt(0)
	v_cmp_eq_f64_e32 vcc_lo, 0, v[134:135]
	v_cmp_eq_f64_e64 s0, 0, v[136:137]
	s_and_b32 s0, vcc_lo, s0
	s_and_saveexec_b32 s1, s0
	s_xor_b32 s0, exec_lo, s1
; %bb.108:
	v_cmp_ne_u32_e32 vcc_lo, 0, v147
	v_cndmask_b32_e32 v147, 6, v147, vcc_lo
; %bb.109:
	s_andn2_saveexec_b32 s0, s0
	s_cbranch_execz .LBB64_115
; %bb.110:
	v_cmp_ngt_f64_e64 s1, |v[134:135]|, |v[136:137]|
	s_and_saveexec_b32 s2, s1
	s_xor_b32 s1, exec_lo, s2
	s_cbranch_execz .LBB64_112
; %bb.111:
	v_div_scale_f64 v[149:150], null, v[136:137], v[136:137], v[134:135]
	v_div_scale_f64 v[155:156], vcc_lo, v[134:135], v[136:137], v[134:135]
	v_rcp_f64_e32 v[151:152], v[149:150]
	v_fma_f64 v[153:154], -v[149:150], v[151:152], 1.0
	v_fma_f64 v[151:152], v[151:152], v[153:154], v[151:152]
	v_fma_f64 v[153:154], -v[149:150], v[151:152], 1.0
	v_fma_f64 v[151:152], v[151:152], v[153:154], v[151:152]
	v_mul_f64 v[153:154], v[155:156], v[151:152]
	v_fma_f64 v[149:150], -v[149:150], v[153:154], v[155:156]
	v_div_fmas_f64 v[149:150], v[149:150], v[151:152], v[153:154]
	v_div_fixup_f64 v[149:150], v[149:150], v[136:137], v[134:135]
	v_fma_f64 v[134:135], v[134:135], v[149:150], v[136:137]
	v_div_scale_f64 v[136:137], null, v[134:135], v[134:135], 1.0
	v_rcp_f64_e32 v[151:152], v[136:137]
	v_fma_f64 v[153:154], -v[136:137], v[151:152], 1.0
	v_fma_f64 v[151:152], v[151:152], v[153:154], v[151:152]
	v_fma_f64 v[153:154], -v[136:137], v[151:152], 1.0
	v_fma_f64 v[151:152], v[151:152], v[153:154], v[151:152]
	v_div_scale_f64 v[153:154], vcc_lo, 1.0, v[134:135], 1.0
	v_mul_f64 v[155:156], v[153:154], v[151:152]
	v_fma_f64 v[136:137], -v[136:137], v[155:156], v[153:154]
	v_div_fmas_f64 v[136:137], v[136:137], v[151:152], v[155:156]
	v_div_fixup_f64 v[136:137], v[136:137], v[134:135], 1.0
	v_mul_f64 v[134:135], v[149:150], v[136:137]
	v_xor_b32_e32 v137, 0x80000000, v137
.LBB64_112:
	s_andn2_saveexec_b32 s1, s1
	s_cbranch_execz .LBB64_114
; %bb.113:
	v_div_scale_f64 v[149:150], null, v[134:135], v[134:135], v[136:137]
	v_div_scale_f64 v[155:156], vcc_lo, v[136:137], v[134:135], v[136:137]
	v_rcp_f64_e32 v[151:152], v[149:150]
	v_fma_f64 v[153:154], -v[149:150], v[151:152], 1.0
	v_fma_f64 v[151:152], v[151:152], v[153:154], v[151:152]
	v_fma_f64 v[153:154], -v[149:150], v[151:152], 1.0
	v_fma_f64 v[151:152], v[151:152], v[153:154], v[151:152]
	v_mul_f64 v[153:154], v[155:156], v[151:152]
	v_fma_f64 v[149:150], -v[149:150], v[153:154], v[155:156]
	v_div_fmas_f64 v[149:150], v[149:150], v[151:152], v[153:154]
	v_div_fixup_f64 v[149:150], v[149:150], v[134:135], v[136:137]
	v_fma_f64 v[134:135], v[136:137], v[149:150], v[134:135]
	v_div_scale_f64 v[136:137], null, v[134:135], v[134:135], 1.0
	v_rcp_f64_e32 v[151:152], v[136:137]
	v_fma_f64 v[153:154], -v[136:137], v[151:152], 1.0
	v_fma_f64 v[151:152], v[151:152], v[153:154], v[151:152]
	v_fma_f64 v[153:154], -v[136:137], v[151:152], 1.0
	v_fma_f64 v[151:152], v[151:152], v[153:154], v[151:152]
	v_div_scale_f64 v[153:154], vcc_lo, 1.0, v[134:135], 1.0
	v_mul_f64 v[155:156], v[153:154], v[151:152]
	v_fma_f64 v[136:137], -v[136:137], v[155:156], v[153:154]
	v_div_fmas_f64 v[136:137], v[136:137], v[151:152], v[155:156]
	v_div_fixup_f64 v[134:135], v[136:137], v[134:135], 1.0
	v_mul_f64 v[136:137], v[149:150], -v[134:135]
.LBB64_114:
	s_or_b32 exec_lo, exec_lo, s1
.LBB64_115:
	s_or_b32 exec_lo, exec_lo, s0
	s_mov_b32 s0, exec_lo
	v_cmpx_ne_u32_e64 v148, v142
	s_xor_b32 s0, exec_lo, s0
	s_cbranch_execz .LBB64_121
; %bb.116:
	s_mov_b32 s1, exec_lo
	v_cmpx_eq_u32_e32 5, v148
	s_cbranch_execz .LBB64_120
; %bb.117:
	v_cmp_ne_u32_e32 vcc_lo, 5, v142
	s_xor_b32 s2, s16, -1
	s_and_b32 s3, s2, vcc_lo
	s_and_saveexec_b32 s2, s3
	s_cbranch_execz .LBB64_119
; %bb.118:
	v_ashrrev_i32_e32 v143, 31, v142
	v_lshlrev_b64 v[148:149], 2, v[142:143]
	v_add_co_u32 v148, vcc_lo, v140, v148
	v_add_co_ci_u32_e64 v149, null, v141, v149, vcc_lo
	s_clause 0x1
	global_load_dword v0, v[148:149], off
	global_load_dword v143, v[140:141], off offset:20
	s_waitcnt vmcnt(1)
	global_store_dword v[140:141], v0, off offset:20
	s_waitcnt vmcnt(0)
	global_store_dword v[148:149], v143, off
.LBB64_119:
	s_or_b32 exec_lo, exec_lo, s2
	v_mov_b32_e32 v148, v142
	v_mov_b32_e32 v0, v142
.LBB64_120:
	s_or_b32 exec_lo, exec_lo, s1
.LBB64_121:
	s_andn2_saveexec_b32 s0, s0
	s_cbranch_execz .LBB64_123
; %bb.122:
	v_mov_b32_e32 v148, 5
	ds_write2_b64 v1, v[106:107], v[108:109] offset0:12 offset1:13
	ds_write2_b64 v1, v[102:103], v[104:105] offset0:14 offset1:15
	;; [unrolled: 1-line block ×27, first 2 shown]
.LBB64_123:
	s_or_b32 exec_lo, exec_lo, s0
	s_mov_b32 s0, exec_lo
	s_waitcnt lgkmcnt(0)
	s_waitcnt_vscnt null, 0x0
	s_barrier
	buffer_gl0_inv
	v_cmpx_lt_i32_e32 5, v148
	s_cbranch_execz .LBB64_125
; %bb.124:
	v_mul_f64 v[142:143], v[136:137], v[112:113]
	v_mul_f64 v[112:113], v[134:135], v[112:113]
	v_fma_f64 v[142:143], v[134:135], v[110:111], -v[142:143]
	v_fma_f64 v[112:113], v[136:137], v[110:111], v[112:113]
	ds_read2_b64 v[134:137], v1 offset0:12 offset1:13
	s_waitcnt lgkmcnt(0)
	v_mul_f64 v[110:111], v[136:137], v[112:113]
	v_fma_f64 v[110:111], v[134:135], v[142:143], -v[110:111]
	v_mul_f64 v[134:135], v[134:135], v[112:113]
	v_add_f64 v[106:107], v[106:107], -v[110:111]
	v_fma_f64 v[134:135], v[136:137], v[142:143], v[134:135]
	v_add_f64 v[108:109], v[108:109], -v[134:135]
	ds_read2_b64 v[134:137], v1 offset0:14 offset1:15
	s_waitcnt lgkmcnt(0)
	v_mul_f64 v[110:111], v[136:137], v[112:113]
	v_fma_f64 v[110:111], v[134:135], v[142:143], -v[110:111]
	v_mul_f64 v[134:135], v[134:135], v[112:113]
	v_add_f64 v[102:103], v[102:103], -v[110:111]
	v_fma_f64 v[134:135], v[136:137], v[142:143], v[134:135]
	v_add_f64 v[104:105], v[104:105], -v[134:135]
	;; [unrolled: 8-line block ×26, first 2 shown]
	ds_read2_b64 v[134:137], v1 offset0:64 offset1:65
	s_waitcnt lgkmcnt(0)
	v_mul_f64 v[110:111], v[136:137], v[112:113]
	v_fma_f64 v[110:111], v[134:135], v[142:143], -v[110:111]
	v_mul_f64 v[134:135], v[134:135], v[112:113]
	v_add_f64 v[2:3], v[2:3], -v[110:111]
	v_fma_f64 v[134:135], v[136:137], v[142:143], v[134:135]
	v_mov_b32_e32 v110, v142
	v_mov_b32_e32 v111, v143
	v_add_f64 v[4:5], v[4:5], -v[134:135]
.LBB64_125:
	s_or_b32 exec_lo, exec_lo, s0
	v_lshl_add_u32 v134, v148, 4, v1
	s_barrier
	buffer_gl0_inv
	v_mov_b32_e32 v142, 6
	ds_write2_b64 v134, v[106:107], v[108:109] offset1:1
	s_waitcnt lgkmcnt(0)
	s_barrier
	buffer_gl0_inv
	ds_read2_b64 v[134:137], v1 offset0:12 offset1:13
	s_cmp_lt_i32 s18, 8
	s_cbranch_scc1 .LBB64_128
; %bb.126:
	v_add3_u32 v143, v144, 0, 0x70
	v_mov_b32_e32 v142, 6
	s_mov_b32 s1, 7
	s_inst_prefetch 0x1
	.p2align	6
.LBB64_127:                             ; =>This Inner Loop Header: Depth=1
	s_waitcnt lgkmcnt(0)
	v_cmp_gt_f64_e32 vcc_lo, 0, v[136:137]
	v_cmp_gt_f64_e64 s0, 0, v[134:135]
	ds_read2_b64 v[149:152], v143 offset1:1
	v_xor_b32_e32 v154, 0x80000000, v135
	v_xor_b32_e32 v156, 0x80000000, v137
	v_mov_b32_e32 v153, v134
	v_mov_b32_e32 v155, v136
	v_add_nc_u32_e32 v143, 16, v143
	s_waitcnt lgkmcnt(0)
	v_xor_b32_e32 v158, 0x80000000, v152
	v_cndmask_b32_e64 v154, v135, v154, s0
	v_cndmask_b32_e32 v156, v137, v156, vcc_lo
	v_cmp_gt_f64_e32 vcc_lo, 0, v[151:152]
	v_cmp_gt_f64_e64 s0, 0, v[149:150]
	v_mov_b32_e32 v157, v151
	v_add_f64 v[153:154], v[153:154], v[155:156]
	v_xor_b32_e32 v156, 0x80000000, v150
	v_mov_b32_e32 v155, v149
	v_cndmask_b32_e32 v158, v152, v158, vcc_lo
	v_cndmask_b32_e64 v156, v150, v156, s0
	v_add_f64 v[155:156], v[155:156], v[157:158]
	v_cmp_lt_f64_e32 vcc_lo, v[153:154], v[155:156]
	v_cndmask_b32_e32 v135, v135, v150, vcc_lo
	v_cndmask_b32_e32 v134, v134, v149, vcc_lo
	;; [unrolled: 1-line block ×4, first 2 shown]
	v_cndmask_b32_e64 v142, v142, s1, vcc_lo
	s_add_i32 s1, s1, 1
	s_cmp_lg_u32 s18, s1
	s_cbranch_scc1 .LBB64_127
.LBB64_128:
	s_inst_prefetch 0x2
	s_waitcnt lgkmcnt(0)
	v_cmp_eq_f64_e32 vcc_lo, 0, v[134:135]
	v_cmp_eq_f64_e64 s0, 0, v[136:137]
	s_and_b32 s0, vcc_lo, s0
	s_and_saveexec_b32 s1, s0
	s_xor_b32 s0, exec_lo, s1
; %bb.129:
	v_cmp_ne_u32_e32 vcc_lo, 0, v147
	v_cndmask_b32_e32 v147, 7, v147, vcc_lo
; %bb.130:
	s_andn2_saveexec_b32 s0, s0
	s_cbranch_execz .LBB64_136
; %bb.131:
	v_cmp_ngt_f64_e64 s1, |v[134:135]|, |v[136:137]|
	s_and_saveexec_b32 s2, s1
	s_xor_b32 s1, exec_lo, s2
	s_cbranch_execz .LBB64_133
; %bb.132:
	v_div_scale_f64 v[149:150], null, v[136:137], v[136:137], v[134:135]
	v_div_scale_f64 v[155:156], vcc_lo, v[134:135], v[136:137], v[134:135]
	v_rcp_f64_e32 v[151:152], v[149:150]
	v_fma_f64 v[153:154], -v[149:150], v[151:152], 1.0
	v_fma_f64 v[151:152], v[151:152], v[153:154], v[151:152]
	v_fma_f64 v[153:154], -v[149:150], v[151:152], 1.0
	v_fma_f64 v[151:152], v[151:152], v[153:154], v[151:152]
	v_mul_f64 v[153:154], v[155:156], v[151:152]
	v_fma_f64 v[149:150], -v[149:150], v[153:154], v[155:156]
	v_div_fmas_f64 v[149:150], v[149:150], v[151:152], v[153:154]
	v_div_fixup_f64 v[149:150], v[149:150], v[136:137], v[134:135]
	v_fma_f64 v[134:135], v[134:135], v[149:150], v[136:137]
	v_div_scale_f64 v[136:137], null, v[134:135], v[134:135], 1.0
	v_rcp_f64_e32 v[151:152], v[136:137]
	v_fma_f64 v[153:154], -v[136:137], v[151:152], 1.0
	v_fma_f64 v[151:152], v[151:152], v[153:154], v[151:152]
	v_fma_f64 v[153:154], -v[136:137], v[151:152], 1.0
	v_fma_f64 v[151:152], v[151:152], v[153:154], v[151:152]
	v_div_scale_f64 v[153:154], vcc_lo, 1.0, v[134:135], 1.0
	v_mul_f64 v[155:156], v[153:154], v[151:152]
	v_fma_f64 v[136:137], -v[136:137], v[155:156], v[153:154]
	v_div_fmas_f64 v[136:137], v[136:137], v[151:152], v[155:156]
	v_div_fixup_f64 v[136:137], v[136:137], v[134:135], 1.0
	v_mul_f64 v[134:135], v[149:150], v[136:137]
	v_xor_b32_e32 v137, 0x80000000, v137
.LBB64_133:
	s_andn2_saveexec_b32 s1, s1
	s_cbranch_execz .LBB64_135
; %bb.134:
	v_div_scale_f64 v[149:150], null, v[134:135], v[134:135], v[136:137]
	v_div_scale_f64 v[155:156], vcc_lo, v[136:137], v[134:135], v[136:137]
	v_rcp_f64_e32 v[151:152], v[149:150]
	v_fma_f64 v[153:154], -v[149:150], v[151:152], 1.0
	v_fma_f64 v[151:152], v[151:152], v[153:154], v[151:152]
	v_fma_f64 v[153:154], -v[149:150], v[151:152], 1.0
	v_fma_f64 v[151:152], v[151:152], v[153:154], v[151:152]
	v_mul_f64 v[153:154], v[155:156], v[151:152]
	v_fma_f64 v[149:150], -v[149:150], v[153:154], v[155:156]
	v_div_fmas_f64 v[149:150], v[149:150], v[151:152], v[153:154]
	v_div_fixup_f64 v[149:150], v[149:150], v[134:135], v[136:137]
	v_fma_f64 v[134:135], v[136:137], v[149:150], v[134:135]
	v_div_scale_f64 v[136:137], null, v[134:135], v[134:135], 1.0
	v_rcp_f64_e32 v[151:152], v[136:137]
	v_fma_f64 v[153:154], -v[136:137], v[151:152], 1.0
	v_fma_f64 v[151:152], v[151:152], v[153:154], v[151:152]
	v_fma_f64 v[153:154], -v[136:137], v[151:152], 1.0
	v_fma_f64 v[151:152], v[151:152], v[153:154], v[151:152]
	v_div_scale_f64 v[153:154], vcc_lo, 1.0, v[134:135], 1.0
	v_mul_f64 v[155:156], v[153:154], v[151:152]
	v_fma_f64 v[136:137], -v[136:137], v[155:156], v[153:154]
	v_div_fmas_f64 v[136:137], v[136:137], v[151:152], v[155:156]
	v_div_fixup_f64 v[134:135], v[136:137], v[134:135], 1.0
	v_mul_f64 v[136:137], v[149:150], -v[134:135]
.LBB64_135:
	s_or_b32 exec_lo, exec_lo, s1
.LBB64_136:
	s_or_b32 exec_lo, exec_lo, s0
	s_mov_b32 s0, exec_lo
	v_cmpx_ne_u32_e64 v148, v142
	s_xor_b32 s0, exec_lo, s0
	s_cbranch_execz .LBB64_142
; %bb.137:
	s_mov_b32 s1, exec_lo
	v_cmpx_eq_u32_e32 6, v148
	s_cbranch_execz .LBB64_141
; %bb.138:
	v_cmp_ne_u32_e32 vcc_lo, 6, v142
	s_xor_b32 s2, s16, -1
	s_and_b32 s3, s2, vcc_lo
	s_and_saveexec_b32 s2, s3
	s_cbranch_execz .LBB64_140
; %bb.139:
	v_ashrrev_i32_e32 v143, 31, v142
	v_lshlrev_b64 v[148:149], 2, v[142:143]
	v_add_co_u32 v148, vcc_lo, v140, v148
	v_add_co_ci_u32_e64 v149, null, v141, v149, vcc_lo
	s_clause 0x1
	global_load_dword v0, v[148:149], off
	global_load_dword v143, v[140:141], off offset:24
	s_waitcnt vmcnt(1)
	global_store_dword v[140:141], v0, off offset:24
	s_waitcnt vmcnt(0)
	global_store_dword v[148:149], v143, off
.LBB64_140:
	s_or_b32 exec_lo, exec_lo, s2
	v_mov_b32_e32 v148, v142
	v_mov_b32_e32 v0, v142
.LBB64_141:
	s_or_b32 exec_lo, exec_lo, s1
.LBB64_142:
	s_andn2_saveexec_b32 s0, s0
	s_cbranch_execz .LBB64_144
; %bb.143:
	v_mov_b32_e32 v148, 6
	ds_write2_b64 v1, v[102:103], v[104:105] offset0:14 offset1:15
	ds_write2_b64 v1, v[98:99], v[100:101] offset0:16 offset1:17
	;; [unrolled: 1-line block ×26, first 2 shown]
.LBB64_144:
	s_or_b32 exec_lo, exec_lo, s0
	s_mov_b32 s0, exec_lo
	s_waitcnt lgkmcnt(0)
	s_waitcnt_vscnt null, 0x0
	s_barrier
	buffer_gl0_inv
	v_cmpx_lt_i32_e32 6, v148
	s_cbranch_execz .LBB64_146
; %bb.145:
	v_mul_f64 v[142:143], v[136:137], v[108:109]
	v_mul_f64 v[108:109], v[134:135], v[108:109]
	v_fma_f64 v[142:143], v[134:135], v[106:107], -v[142:143]
	v_fma_f64 v[108:109], v[136:137], v[106:107], v[108:109]
	ds_read2_b64 v[134:137], v1 offset0:14 offset1:15
	s_waitcnt lgkmcnt(0)
	v_mul_f64 v[106:107], v[136:137], v[108:109]
	v_fma_f64 v[106:107], v[134:135], v[142:143], -v[106:107]
	v_mul_f64 v[134:135], v[134:135], v[108:109]
	v_add_f64 v[102:103], v[102:103], -v[106:107]
	v_fma_f64 v[134:135], v[136:137], v[142:143], v[134:135]
	v_add_f64 v[104:105], v[104:105], -v[134:135]
	ds_read2_b64 v[134:137], v1 offset0:16 offset1:17
	s_waitcnt lgkmcnt(0)
	v_mul_f64 v[106:107], v[136:137], v[108:109]
	v_fma_f64 v[106:107], v[134:135], v[142:143], -v[106:107]
	v_mul_f64 v[134:135], v[134:135], v[108:109]
	v_add_f64 v[98:99], v[98:99], -v[106:107]
	v_fma_f64 v[134:135], v[136:137], v[142:143], v[134:135]
	v_add_f64 v[100:101], v[100:101], -v[134:135]
	;; [unrolled: 8-line block ×25, first 2 shown]
	ds_read2_b64 v[134:137], v1 offset0:64 offset1:65
	s_waitcnt lgkmcnt(0)
	v_mul_f64 v[106:107], v[136:137], v[108:109]
	v_fma_f64 v[106:107], v[134:135], v[142:143], -v[106:107]
	v_mul_f64 v[134:135], v[134:135], v[108:109]
	v_add_f64 v[2:3], v[2:3], -v[106:107]
	v_fma_f64 v[134:135], v[136:137], v[142:143], v[134:135]
	v_mov_b32_e32 v106, v142
	v_mov_b32_e32 v107, v143
	v_add_f64 v[4:5], v[4:5], -v[134:135]
.LBB64_146:
	s_or_b32 exec_lo, exec_lo, s0
	v_lshl_add_u32 v134, v148, 4, v1
	s_barrier
	buffer_gl0_inv
	v_mov_b32_e32 v142, 7
	ds_write2_b64 v134, v[102:103], v[104:105] offset1:1
	s_waitcnt lgkmcnt(0)
	s_barrier
	buffer_gl0_inv
	ds_read2_b64 v[134:137], v1 offset0:14 offset1:15
	s_cmp_lt_i32 s18, 9
	s_cbranch_scc1 .LBB64_149
; %bb.147:
	v_add3_u32 v143, v144, 0, 0x80
	v_mov_b32_e32 v142, 7
	s_mov_b32 s1, 8
	s_inst_prefetch 0x1
	.p2align	6
.LBB64_148:                             ; =>This Inner Loop Header: Depth=1
	s_waitcnt lgkmcnt(0)
	v_cmp_gt_f64_e32 vcc_lo, 0, v[136:137]
	v_cmp_gt_f64_e64 s0, 0, v[134:135]
	ds_read2_b64 v[149:152], v143 offset1:1
	v_xor_b32_e32 v154, 0x80000000, v135
	v_xor_b32_e32 v156, 0x80000000, v137
	v_mov_b32_e32 v153, v134
	v_mov_b32_e32 v155, v136
	v_add_nc_u32_e32 v143, 16, v143
	s_waitcnt lgkmcnt(0)
	v_xor_b32_e32 v158, 0x80000000, v152
	v_cndmask_b32_e64 v154, v135, v154, s0
	v_cndmask_b32_e32 v156, v137, v156, vcc_lo
	v_cmp_gt_f64_e32 vcc_lo, 0, v[151:152]
	v_cmp_gt_f64_e64 s0, 0, v[149:150]
	v_mov_b32_e32 v157, v151
	v_add_f64 v[153:154], v[153:154], v[155:156]
	v_xor_b32_e32 v156, 0x80000000, v150
	v_mov_b32_e32 v155, v149
	v_cndmask_b32_e32 v158, v152, v158, vcc_lo
	v_cndmask_b32_e64 v156, v150, v156, s0
	v_add_f64 v[155:156], v[155:156], v[157:158]
	v_cmp_lt_f64_e32 vcc_lo, v[153:154], v[155:156]
	v_cndmask_b32_e32 v135, v135, v150, vcc_lo
	v_cndmask_b32_e32 v134, v134, v149, vcc_lo
	;; [unrolled: 1-line block ×4, first 2 shown]
	v_cndmask_b32_e64 v142, v142, s1, vcc_lo
	s_add_i32 s1, s1, 1
	s_cmp_lg_u32 s18, s1
	s_cbranch_scc1 .LBB64_148
.LBB64_149:
	s_inst_prefetch 0x2
	s_waitcnt lgkmcnt(0)
	v_cmp_eq_f64_e32 vcc_lo, 0, v[134:135]
	v_cmp_eq_f64_e64 s0, 0, v[136:137]
	s_and_b32 s0, vcc_lo, s0
	s_and_saveexec_b32 s1, s0
	s_xor_b32 s0, exec_lo, s1
; %bb.150:
	v_cmp_ne_u32_e32 vcc_lo, 0, v147
	v_cndmask_b32_e32 v147, 8, v147, vcc_lo
; %bb.151:
	s_andn2_saveexec_b32 s0, s0
	s_cbranch_execz .LBB64_157
; %bb.152:
	v_cmp_ngt_f64_e64 s1, |v[134:135]|, |v[136:137]|
	s_and_saveexec_b32 s2, s1
	s_xor_b32 s1, exec_lo, s2
	s_cbranch_execz .LBB64_154
; %bb.153:
	v_div_scale_f64 v[149:150], null, v[136:137], v[136:137], v[134:135]
	v_div_scale_f64 v[155:156], vcc_lo, v[134:135], v[136:137], v[134:135]
	v_rcp_f64_e32 v[151:152], v[149:150]
	v_fma_f64 v[153:154], -v[149:150], v[151:152], 1.0
	v_fma_f64 v[151:152], v[151:152], v[153:154], v[151:152]
	v_fma_f64 v[153:154], -v[149:150], v[151:152], 1.0
	v_fma_f64 v[151:152], v[151:152], v[153:154], v[151:152]
	v_mul_f64 v[153:154], v[155:156], v[151:152]
	v_fma_f64 v[149:150], -v[149:150], v[153:154], v[155:156]
	v_div_fmas_f64 v[149:150], v[149:150], v[151:152], v[153:154]
	v_div_fixup_f64 v[149:150], v[149:150], v[136:137], v[134:135]
	v_fma_f64 v[134:135], v[134:135], v[149:150], v[136:137]
	v_div_scale_f64 v[136:137], null, v[134:135], v[134:135], 1.0
	v_rcp_f64_e32 v[151:152], v[136:137]
	v_fma_f64 v[153:154], -v[136:137], v[151:152], 1.0
	v_fma_f64 v[151:152], v[151:152], v[153:154], v[151:152]
	v_fma_f64 v[153:154], -v[136:137], v[151:152], 1.0
	v_fma_f64 v[151:152], v[151:152], v[153:154], v[151:152]
	v_div_scale_f64 v[153:154], vcc_lo, 1.0, v[134:135], 1.0
	v_mul_f64 v[155:156], v[153:154], v[151:152]
	v_fma_f64 v[136:137], -v[136:137], v[155:156], v[153:154]
	v_div_fmas_f64 v[136:137], v[136:137], v[151:152], v[155:156]
	v_div_fixup_f64 v[136:137], v[136:137], v[134:135], 1.0
	v_mul_f64 v[134:135], v[149:150], v[136:137]
	v_xor_b32_e32 v137, 0x80000000, v137
.LBB64_154:
	s_andn2_saveexec_b32 s1, s1
	s_cbranch_execz .LBB64_156
; %bb.155:
	v_div_scale_f64 v[149:150], null, v[134:135], v[134:135], v[136:137]
	v_div_scale_f64 v[155:156], vcc_lo, v[136:137], v[134:135], v[136:137]
	v_rcp_f64_e32 v[151:152], v[149:150]
	v_fma_f64 v[153:154], -v[149:150], v[151:152], 1.0
	v_fma_f64 v[151:152], v[151:152], v[153:154], v[151:152]
	v_fma_f64 v[153:154], -v[149:150], v[151:152], 1.0
	v_fma_f64 v[151:152], v[151:152], v[153:154], v[151:152]
	v_mul_f64 v[153:154], v[155:156], v[151:152]
	v_fma_f64 v[149:150], -v[149:150], v[153:154], v[155:156]
	v_div_fmas_f64 v[149:150], v[149:150], v[151:152], v[153:154]
	v_div_fixup_f64 v[149:150], v[149:150], v[134:135], v[136:137]
	v_fma_f64 v[134:135], v[136:137], v[149:150], v[134:135]
	v_div_scale_f64 v[136:137], null, v[134:135], v[134:135], 1.0
	v_rcp_f64_e32 v[151:152], v[136:137]
	v_fma_f64 v[153:154], -v[136:137], v[151:152], 1.0
	v_fma_f64 v[151:152], v[151:152], v[153:154], v[151:152]
	v_fma_f64 v[153:154], -v[136:137], v[151:152], 1.0
	v_fma_f64 v[151:152], v[151:152], v[153:154], v[151:152]
	v_div_scale_f64 v[153:154], vcc_lo, 1.0, v[134:135], 1.0
	v_mul_f64 v[155:156], v[153:154], v[151:152]
	v_fma_f64 v[136:137], -v[136:137], v[155:156], v[153:154]
	v_div_fmas_f64 v[136:137], v[136:137], v[151:152], v[155:156]
	v_div_fixup_f64 v[134:135], v[136:137], v[134:135], 1.0
	v_mul_f64 v[136:137], v[149:150], -v[134:135]
.LBB64_156:
	s_or_b32 exec_lo, exec_lo, s1
.LBB64_157:
	s_or_b32 exec_lo, exec_lo, s0
	s_mov_b32 s0, exec_lo
	v_cmpx_ne_u32_e64 v148, v142
	s_xor_b32 s0, exec_lo, s0
	s_cbranch_execz .LBB64_163
; %bb.158:
	s_mov_b32 s1, exec_lo
	v_cmpx_eq_u32_e32 7, v148
	s_cbranch_execz .LBB64_162
; %bb.159:
	v_cmp_ne_u32_e32 vcc_lo, 7, v142
	s_xor_b32 s2, s16, -1
	s_and_b32 s3, s2, vcc_lo
	s_and_saveexec_b32 s2, s3
	s_cbranch_execz .LBB64_161
; %bb.160:
	v_ashrrev_i32_e32 v143, 31, v142
	v_lshlrev_b64 v[148:149], 2, v[142:143]
	v_add_co_u32 v148, vcc_lo, v140, v148
	v_add_co_ci_u32_e64 v149, null, v141, v149, vcc_lo
	s_clause 0x1
	global_load_dword v0, v[148:149], off
	global_load_dword v143, v[140:141], off offset:28
	s_waitcnt vmcnt(1)
	global_store_dword v[140:141], v0, off offset:28
	s_waitcnt vmcnt(0)
	global_store_dword v[148:149], v143, off
.LBB64_161:
	s_or_b32 exec_lo, exec_lo, s2
	v_mov_b32_e32 v148, v142
	v_mov_b32_e32 v0, v142
.LBB64_162:
	s_or_b32 exec_lo, exec_lo, s1
.LBB64_163:
	s_andn2_saveexec_b32 s0, s0
	s_cbranch_execz .LBB64_165
; %bb.164:
	v_mov_b32_e32 v148, 7
	ds_write2_b64 v1, v[98:99], v[100:101] offset0:16 offset1:17
	ds_write2_b64 v1, v[94:95], v[96:97] offset0:18 offset1:19
	;; [unrolled: 1-line block ×25, first 2 shown]
.LBB64_165:
	s_or_b32 exec_lo, exec_lo, s0
	s_mov_b32 s0, exec_lo
	s_waitcnt lgkmcnt(0)
	s_waitcnt_vscnt null, 0x0
	s_barrier
	buffer_gl0_inv
	v_cmpx_lt_i32_e32 7, v148
	s_cbranch_execz .LBB64_167
; %bb.166:
	v_mul_f64 v[142:143], v[136:137], v[104:105]
	v_mul_f64 v[104:105], v[134:135], v[104:105]
	v_fma_f64 v[142:143], v[134:135], v[102:103], -v[142:143]
	v_fma_f64 v[104:105], v[136:137], v[102:103], v[104:105]
	ds_read2_b64 v[134:137], v1 offset0:16 offset1:17
	s_waitcnt lgkmcnt(0)
	v_mul_f64 v[102:103], v[136:137], v[104:105]
	v_fma_f64 v[102:103], v[134:135], v[142:143], -v[102:103]
	v_mul_f64 v[134:135], v[134:135], v[104:105]
	v_add_f64 v[98:99], v[98:99], -v[102:103]
	v_fma_f64 v[134:135], v[136:137], v[142:143], v[134:135]
	v_add_f64 v[100:101], v[100:101], -v[134:135]
	ds_read2_b64 v[134:137], v1 offset0:18 offset1:19
	s_waitcnt lgkmcnt(0)
	v_mul_f64 v[102:103], v[136:137], v[104:105]
	v_fma_f64 v[102:103], v[134:135], v[142:143], -v[102:103]
	v_mul_f64 v[134:135], v[134:135], v[104:105]
	v_add_f64 v[94:95], v[94:95], -v[102:103]
	v_fma_f64 v[134:135], v[136:137], v[142:143], v[134:135]
	v_add_f64 v[96:97], v[96:97], -v[134:135]
	ds_read2_b64 v[134:137], v1 offset0:20 offset1:21
	s_waitcnt lgkmcnt(0)
	v_mul_f64 v[102:103], v[136:137], v[104:105]
	v_fma_f64 v[102:103], v[134:135], v[142:143], -v[102:103]
	v_mul_f64 v[134:135], v[134:135], v[104:105]
	v_add_f64 v[90:91], v[90:91], -v[102:103]
	v_fma_f64 v[134:135], v[136:137], v[142:143], v[134:135]
	v_add_f64 v[92:93], v[92:93], -v[134:135]
	ds_read2_b64 v[134:137], v1 offset0:22 offset1:23
	s_waitcnt lgkmcnt(0)
	v_mul_f64 v[102:103], v[136:137], v[104:105]
	v_fma_f64 v[102:103], v[134:135], v[142:143], -v[102:103]
	v_mul_f64 v[134:135], v[134:135], v[104:105]
	v_add_f64 v[86:87], v[86:87], -v[102:103]
	v_fma_f64 v[134:135], v[136:137], v[142:143], v[134:135]
	v_add_f64 v[88:89], v[88:89], -v[134:135]
	ds_read2_b64 v[134:137], v1 offset0:24 offset1:25
	s_waitcnt lgkmcnt(0)
	v_mul_f64 v[102:103], v[136:137], v[104:105]
	v_fma_f64 v[102:103], v[134:135], v[142:143], -v[102:103]
	v_mul_f64 v[134:135], v[134:135], v[104:105]
	v_add_f64 v[82:83], v[82:83], -v[102:103]
	v_fma_f64 v[134:135], v[136:137], v[142:143], v[134:135]
	v_add_f64 v[84:85], v[84:85], -v[134:135]
	ds_read2_b64 v[134:137], v1 offset0:26 offset1:27
	s_waitcnt lgkmcnt(0)
	v_mul_f64 v[102:103], v[136:137], v[104:105]
	v_fma_f64 v[102:103], v[134:135], v[142:143], -v[102:103]
	v_mul_f64 v[134:135], v[134:135], v[104:105]
	v_add_f64 v[78:79], v[78:79], -v[102:103]
	v_fma_f64 v[134:135], v[136:137], v[142:143], v[134:135]
	v_add_f64 v[80:81], v[80:81], -v[134:135]
	ds_read2_b64 v[134:137], v1 offset0:28 offset1:29
	s_waitcnt lgkmcnt(0)
	v_mul_f64 v[102:103], v[136:137], v[104:105]
	v_fma_f64 v[102:103], v[134:135], v[142:143], -v[102:103]
	v_mul_f64 v[134:135], v[134:135], v[104:105]
	v_add_f64 v[74:75], v[74:75], -v[102:103]
	v_fma_f64 v[134:135], v[136:137], v[142:143], v[134:135]
	v_add_f64 v[76:77], v[76:77], -v[134:135]
	ds_read2_b64 v[134:137], v1 offset0:30 offset1:31
	s_waitcnt lgkmcnt(0)
	v_mul_f64 v[102:103], v[136:137], v[104:105]
	v_fma_f64 v[102:103], v[134:135], v[142:143], -v[102:103]
	v_mul_f64 v[134:135], v[134:135], v[104:105]
	v_add_f64 v[70:71], v[70:71], -v[102:103]
	v_fma_f64 v[134:135], v[136:137], v[142:143], v[134:135]
	v_add_f64 v[72:73], v[72:73], -v[134:135]
	ds_read2_b64 v[134:137], v1 offset0:32 offset1:33
	s_waitcnt lgkmcnt(0)
	v_mul_f64 v[102:103], v[136:137], v[104:105]
	v_fma_f64 v[102:103], v[134:135], v[142:143], -v[102:103]
	v_mul_f64 v[134:135], v[134:135], v[104:105]
	v_add_f64 v[66:67], v[66:67], -v[102:103]
	v_fma_f64 v[134:135], v[136:137], v[142:143], v[134:135]
	v_add_f64 v[68:69], v[68:69], -v[134:135]
	ds_read2_b64 v[134:137], v1 offset0:34 offset1:35
	s_waitcnt lgkmcnt(0)
	v_mul_f64 v[102:103], v[136:137], v[104:105]
	v_fma_f64 v[102:103], v[134:135], v[142:143], -v[102:103]
	v_mul_f64 v[134:135], v[134:135], v[104:105]
	v_add_f64 v[62:63], v[62:63], -v[102:103]
	v_fma_f64 v[134:135], v[136:137], v[142:143], v[134:135]
	v_add_f64 v[64:65], v[64:65], -v[134:135]
	ds_read2_b64 v[134:137], v1 offset0:36 offset1:37
	s_waitcnt lgkmcnt(0)
	v_mul_f64 v[102:103], v[136:137], v[104:105]
	v_fma_f64 v[102:103], v[134:135], v[142:143], -v[102:103]
	v_mul_f64 v[134:135], v[134:135], v[104:105]
	v_add_f64 v[58:59], v[58:59], -v[102:103]
	v_fma_f64 v[134:135], v[136:137], v[142:143], v[134:135]
	v_add_f64 v[60:61], v[60:61], -v[134:135]
	ds_read2_b64 v[134:137], v1 offset0:38 offset1:39
	s_waitcnt lgkmcnt(0)
	v_mul_f64 v[102:103], v[136:137], v[104:105]
	v_fma_f64 v[102:103], v[134:135], v[142:143], -v[102:103]
	v_mul_f64 v[134:135], v[134:135], v[104:105]
	v_add_f64 v[54:55], v[54:55], -v[102:103]
	v_fma_f64 v[134:135], v[136:137], v[142:143], v[134:135]
	v_add_f64 v[56:57], v[56:57], -v[134:135]
	ds_read2_b64 v[134:137], v1 offset0:40 offset1:41
	s_waitcnt lgkmcnt(0)
	v_mul_f64 v[102:103], v[136:137], v[104:105]
	v_fma_f64 v[102:103], v[134:135], v[142:143], -v[102:103]
	v_mul_f64 v[134:135], v[134:135], v[104:105]
	v_add_f64 v[50:51], v[50:51], -v[102:103]
	v_fma_f64 v[134:135], v[136:137], v[142:143], v[134:135]
	v_add_f64 v[52:53], v[52:53], -v[134:135]
	ds_read2_b64 v[134:137], v1 offset0:42 offset1:43
	s_waitcnt lgkmcnt(0)
	v_mul_f64 v[102:103], v[136:137], v[104:105]
	v_fma_f64 v[102:103], v[134:135], v[142:143], -v[102:103]
	v_mul_f64 v[134:135], v[134:135], v[104:105]
	v_add_f64 v[46:47], v[46:47], -v[102:103]
	v_fma_f64 v[134:135], v[136:137], v[142:143], v[134:135]
	v_add_f64 v[48:49], v[48:49], -v[134:135]
	ds_read2_b64 v[134:137], v1 offset0:44 offset1:45
	s_waitcnt lgkmcnt(0)
	v_mul_f64 v[102:103], v[136:137], v[104:105]
	v_fma_f64 v[102:103], v[134:135], v[142:143], -v[102:103]
	v_mul_f64 v[134:135], v[134:135], v[104:105]
	v_add_f64 v[42:43], v[42:43], -v[102:103]
	v_fma_f64 v[134:135], v[136:137], v[142:143], v[134:135]
	v_add_f64 v[44:45], v[44:45], -v[134:135]
	ds_read2_b64 v[134:137], v1 offset0:46 offset1:47
	s_waitcnt lgkmcnt(0)
	v_mul_f64 v[102:103], v[136:137], v[104:105]
	v_fma_f64 v[102:103], v[134:135], v[142:143], -v[102:103]
	v_mul_f64 v[134:135], v[134:135], v[104:105]
	v_add_f64 v[38:39], v[38:39], -v[102:103]
	v_fma_f64 v[134:135], v[136:137], v[142:143], v[134:135]
	v_add_f64 v[40:41], v[40:41], -v[134:135]
	ds_read2_b64 v[134:137], v1 offset0:48 offset1:49
	s_waitcnt lgkmcnt(0)
	v_mul_f64 v[102:103], v[136:137], v[104:105]
	v_fma_f64 v[102:103], v[134:135], v[142:143], -v[102:103]
	v_mul_f64 v[134:135], v[134:135], v[104:105]
	v_add_f64 v[34:35], v[34:35], -v[102:103]
	v_fma_f64 v[134:135], v[136:137], v[142:143], v[134:135]
	v_add_f64 v[36:37], v[36:37], -v[134:135]
	ds_read2_b64 v[134:137], v1 offset0:50 offset1:51
	s_waitcnt lgkmcnt(0)
	v_mul_f64 v[102:103], v[136:137], v[104:105]
	v_fma_f64 v[102:103], v[134:135], v[142:143], -v[102:103]
	v_mul_f64 v[134:135], v[134:135], v[104:105]
	v_add_f64 v[30:31], v[30:31], -v[102:103]
	v_fma_f64 v[134:135], v[136:137], v[142:143], v[134:135]
	v_add_f64 v[32:33], v[32:33], -v[134:135]
	ds_read2_b64 v[134:137], v1 offset0:52 offset1:53
	s_waitcnt lgkmcnt(0)
	v_mul_f64 v[102:103], v[136:137], v[104:105]
	v_fma_f64 v[102:103], v[134:135], v[142:143], -v[102:103]
	v_mul_f64 v[134:135], v[134:135], v[104:105]
	v_add_f64 v[26:27], v[26:27], -v[102:103]
	v_fma_f64 v[134:135], v[136:137], v[142:143], v[134:135]
	v_add_f64 v[28:29], v[28:29], -v[134:135]
	ds_read2_b64 v[134:137], v1 offset0:54 offset1:55
	s_waitcnt lgkmcnt(0)
	v_mul_f64 v[102:103], v[136:137], v[104:105]
	v_fma_f64 v[102:103], v[134:135], v[142:143], -v[102:103]
	v_mul_f64 v[134:135], v[134:135], v[104:105]
	v_add_f64 v[22:23], v[22:23], -v[102:103]
	v_fma_f64 v[134:135], v[136:137], v[142:143], v[134:135]
	v_add_f64 v[24:25], v[24:25], -v[134:135]
	ds_read2_b64 v[134:137], v1 offset0:56 offset1:57
	s_waitcnt lgkmcnt(0)
	v_mul_f64 v[102:103], v[136:137], v[104:105]
	v_fma_f64 v[102:103], v[134:135], v[142:143], -v[102:103]
	v_mul_f64 v[134:135], v[134:135], v[104:105]
	v_add_f64 v[18:19], v[18:19], -v[102:103]
	v_fma_f64 v[134:135], v[136:137], v[142:143], v[134:135]
	v_add_f64 v[20:21], v[20:21], -v[134:135]
	ds_read2_b64 v[134:137], v1 offset0:58 offset1:59
	s_waitcnt lgkmcnt(0)
	v_mul_f64 v[102:103], v[136:137], v[104:105]
	v_fma_f64 v[102:103], v[134:135], v[142:143], -v[102:103]
	v_mul_f64 v[134:135], v[134:135], v[104:105]
	v_add_f64 v[14:15], v[14:15], -v[102:103]
	v_fma_f64 v[134:135], v[136:137], v[142:143], v[134:135]
	v_add_f64 v[16:17], v[16:17], -v[134:135]
	ds_read2_b64 v[134:137], v1 offset0:60 offset1:61
	s_waitcnt lgkmcnt(0)
	v_mul_f64 v[102:103], v[136:137], v[104:105]
	v_fma_f64 v[102:103], v[134:135], v[142:143], -v[102:103]
	v_mul_f64 v[134:135], v[134:135], v[104:105]
	v_add_f64 v[10:11], v[10:11], -v[102:103]
	v_fma_f64 v[134:135], v[136:137], v[142:143], v[134:135]
	v_add_f64 v[12:13], v[12:13], -v[134:135]
	ds_read2_b64 v[134:137], v1 offset0:62 offset1:63
	s_waitcnt lgkmcnt(0)
	v_mul_f64 v[102:103], v[136:137], v[104:105]
	v_fma_f64 v[102:103], v[134:135], v[142:143], -v[102:103]
	v_mul_f64 v[134:135], v[134:135], v[104:105]
	v_add_f64 v[6:7], v[6:7], -v[102:103]
	v_fma_f64 v[134:135], v[136:137], v[142:143], v[134:135]
	v_add_f64 v[8:9], v[8:9], -v[134:135]
	ds_read2_b64 v[134:137], v1 offset0:64 offset1:65
	s_waitcnt lgkmcnt(0)
	v_mul_f64 v[102:103], v[136:137], v[104:105]
	v_fma_f64 v[102:103], v[134:135], v[142:143], -v[102:103]
	v_mul_f64 v[134:135], v[134:135], v[104:105]
	v_add_f64 v[2:3], v[2:3], -v[102:103]
	v_fma_f64 v[134:135], v[136:137], v[142:143], v[134:135]
	v_mov_b32_e32 v102, v142
	v_mov_b32_e32 v103, v143
	v_add_f64 v[4:5], v[4:5], -v[134:135]
.LBB64_167:
	s_or_b32 exec_lo, exec_lo, s0
	v_lshl_add_u32 v134, v148, 4, v1
	s_barrier
	buffer_gl0_inv
	v_mov_b32_e32 v142, 8
	ds_write2_b64 v134, v[98:99], v[100:101] offset1:1
	s_waitcnt lgkmcnt(0)
	s_barrier
	buffer_gl0_inv
	ds_read2_b64 v[134:137], v1 offset0:16 offset1:17
	s_cmp_lt_i32 s18, 10
	s_cbranch_scc1 .LBB64_170
; %bb.168:
	v_add3_u32 v143, v144, 0, 0x90
	v_mov_b32_e32 v142, 8
	s_mov_b32 s1, 9
	s_inst_prefetch 0x1
	.p2align	6
.LBB64_169:                             ; =>This Inner Loop Header: Depth=1
	s_waitcnt lgkmcnt(0)
	v_cmp_gt_f64_e32 vcc_lo, 0, v[136:137]
	v_cmp_gt_f64_e64 s0, 0, v[134:135]
	ds_read2_b64 v[149:152], v143 offset1:1
	v_xor_b32_e32 v154, 0x80000000, v135
	v_xor_b32_e32 v156, 0x80000000, v137
	v_mov_b32_e32 v153, v134
	v_mov_b32_e32 v155, v136
	v_add_nc_u32_e32 v143, 16, v143
	s_waitcnt lgkmcnt(0)
	v_xor_b32_e32 v158, 0x80000000, v152
	v_cndmask_b32_e64 v154, v135, v154, s0
	v_cndmask_b32_e32 v156, v137, v156, vcc_lo
	v_cmp_gt_f64_e32 vcc_lo, 0, v[151:152]
	v_cmp_gt_f64_e64 s0, 0, v[149:150]
	v_mov_b32_e32 v157, v151
	v_add_f64 v[153:154], v[153:154], v[155:156]
	v_xor_b32_e32 v156, 0x80000000, v150
	v_mov_b32_e32 v155, v149
	v_cndmask_b32_e32 v158, v152, v158, vcc_lo
	v_cndmask_b32_e64 v156, v150, v156, s0
	v_add_f64 v[155:156], v[155:156], v[157:158]
	v_cmp_lt_f64_e32 vcc_lo, v[153:154], v[155:156]
	v_cndmask_b32_e32 v135, v135, v150, vcc_lo
	v_cndmask_b32_e32 v134, v134, v149, vcc_lo
	;; [unrolled: 1-line block ×4, first 2 shown]
	v_cndmask_b32_e64 v142, v142, s1, vcc_lo
	s_add_i32 s1, s1, 1
	s_cmp_lg_u32 s18, s1
	s_cbranch_scc1 .LBB64_169
.LBB64_170:
	s_inst_prefetch 0x2
	s_waitcnt lgkmcnt(0)
	v_cmp_eq_f64_e32 vcc_lo, 0, v[134:135]
	v_cmp_eq_f64_e64 s0, 0, v[136:137]
	s_and_b32 s0, vcc_lo, s0
	s_and_saveexec_b32 s1, s0
	s_xor_b32 s0, exec_lo, s1
; %bb.171:
	v_cmp_ne_u32_e32 vcc_lo, 0, v147
	v_cndmask_b32_e32 v147, 9, v147, vcc_lo
; %bb.172:
	s_andn2_saveexec_b32 s0, s0
	s_cbranch_execz .LBB64_178
; %bb.173:
	v_cmp_ngt_f64_e64 s1, |v[134:135]|, |v[136:137]|
	s_and_saveexec_b32 s2, s1
	s_xor_b32 s1, exec_lo, s2
	s_cbranch_execz .LBB64_175
; %bb.174:
	v_div_scale_f64 v[149:150], null, v[136:137], v[136:137], v[134:135]
	v_div_scale_f64 v[155:156], vcc_lo, v[134:135], v[136:137], v[134:135]
	v_rcp_f64_e32 v[151:152], v[149:150]
	v_fma_f64 v[153:154], -v[149:150], v[151:152], 1.0
	v_fma_f64 v[151:152], v[151:152], v[153:154], v[151:152]
	v_fma_f64 v[153:154], -v[149:150], v[151:152], 1.0
	v_fma_f64 v[151:152], v[151:152], v[153:154], v[151:152]
	v_mul_f64 v[153:154], v[155:156], v[151:152]
	v_fma_f64 v[149:150], -v[149:150], v[153:154], v[155:156]
	v_div_fmas_f64 v[149:150], v[149:150], v[151:152], v[153:154]
	v_div_fixup_f64 v[149:150], v[149:150], v[136:137], v[134:135]
	v_fma_f64 v[134:135], v[134:135], v[149:150], v[136:137]
	v_div_scale_f64 v[136:137], null, v[134:135], v[134:135], 1.0
	v_rcp_f64_e32 v[151:152], v[136:137]
	v_fma_f64 v[153:154], -v[136:137], v[151:152], 1.0
	v_fma_f64 v[151:152], v[151:152], v[153:154], v[151:152]
	v_fma_f64 v[153:154], -v[136:137], v[151:152], 1.0
	v_fma_f64 v[151:152], v[151:152], v[153:154], v[151:152]
	v_div_scale_f64 v[153:154], vcc_lo, 1.0, v[134:135], 1.0
	v_mul_f64 v[155:156], v[153:154], v[151:152]
	v_fma_f64 v[136:137], -v[136:137], v[155:156], v[153:154]
	v_div_fmas_f64 v[136:137], v[136:137], v[151:152], v[155:156]
	v_div_fixup_f64 v[136:137], v[136:137], v[134:135], 1.0
	v_mul_f64 v[134:135], v[149:150], v[136:137]
	v_xor_b32_e32 v137, 0x80000000, v137
.LBB64_175:
	s_andn2_saveexec_b32 s1, s1
	s_cbranch_execz .LBB64_177
; %bb.176:
	v_div_scale_f64 v[149:150], null, v[134:135], v[134:135], v[136:137]
	v_div_scale_f64 v[155:156], vcc_lo, v[136:137], v[134:135], v[136:137]
	v_rcp_f64_e32 v[151:152], v[149:150]
	v_fma_f64 v[153:154], -v[149:150], v[151:152], 1.0
	v_fma_f64 v[151:152], v[151:152], v[153:154], v[151:152]
	v_fma_f64 v[153:154], -v[149:150], v[151:152], 1.0
	v_fma_f64 v[151:152], v[151:152], v[153:154], v[151:152]
	v_mul_f64 v[153:154], v[155:156], v[151:152]
	v_fma_f64 v[149:150], -v[149:150], v[153:154], v[155:156]
	v_div_fmas_f64 v[149:150], v[149:150], v[151:152], v[153:154]
	v_div_fixup_f64 v[149:150], v[149:150], v[134:135], v[136:137]
	v_fma_f64 v[134:135], v[136:137], v[149:150], v[134:135]
	v_div_scale_f64 v[136:137], null, v[134:135], v[134:135], 1.0
	v_rcp_f64_e32 v[151:152], v[136:137]
	v_fma_f64 v[153:154], -v[136:137], v[151:152], 1.0
	v_fma_f64 v[151:152], v[151:152], v[153:154], v[151:152]
	v_fma_f64 v[153:154], -v[136:137], v[151:152], 1.0
	v_fma_f64 v[151:152], v[151:152], v[153:154], v[151:152]
	v_div_scale_f64 v[153:154], vcc_lo, 1.0, v[134:135], 1.0
	v_mul_f64 v[155:156], v[153:154], v[151:152]
	v_fma_f64 v[136:137], -v[136:137], v[155:156], v[153:154]
	v_div_fmas_f64 v[136:137], v[136:137], v[151:152], v[155:156]
	v_div_fixup_f64 v[134:135], v[136:137], v[134:135], 1.0
	v_mul_f64 v[136:137], v[149:150], -v[134:135]
.LBB64_177:
	s_or_b32 exec_lo, exec_lo, s1
.LBB64_178:
	s_or_b32 exec_lo, exec_lo, s0
	s_mov_b32 s0, exec_lo
	v_cmpx_ne_u32_e64 v148, v142
	s_xor_b32 s0, exec_lo, s0
	s_cbranch_execz .LBB64_184
; %bb.179:
	s_mov_b32 s1, exec_lo
	v_cmpx_eq_u32_e32 8, v148
	s_cbranch_execz .LBB64_183
; %bb.180:
	v_cmp_ne_u32_e32 vcc_lo, 8, v142
	s_xor_b32 s2, s16, -1
	s_and_b32 s3, s2, vcc_lo
	s_and_saveexec_b32 s2, s3
	s_cbranch_execz .LBB64_182
; %bb.181:
	v_ashrrev_i32_e32 v143, 31, v142
	v_lshlrev_b64 v[148:149], 2, v[142:143]
	v_add_co_u32 v148, vcc_lo, v140, v148
	v_add_co_ci_u32_e64 v149, null, v141, v149, vcc_lo
	s_clause 0x1
	global_load_dword v0, v[148:149], off
	global_load_dword v143, v[140:141], off offset:32
	s_waitcnt vmcnt(1)
	global_store_dword v[140:141], v0, off offset:32
	s_waitcnt vmcnt(0)
	global_store_dword v[148:149], v143, off
.LBB64_182:
	s_or_b32 exec_lo, exec_lo, s2
	v_mov_b32_e32 v148, v142
	v_mov_b32_e32 v0, v142
.LBB64_183:
	s_or_b32 exec_lo, exec_lo, s1
.LBB64_184:
	s_andn2_saveexec_b32 s0, s0
	s_cbranch_execz .LBB64_186
; %bb.185:
	v_mov_b32_e32 v148, 8
	ds_write2_b64 v1, v[94:95], v[96:97] offset0:18 offset1:19
	ds_write2_b64 v1, v[90:91], v[92:93] offset0:20 offset1:21
	;; [unrolled: 1-line block ×24, first 2 shown]
.LBB64_186:
	s_or_b32 exec_lo, exec_lo, s0
	s_mov_b32 s0, exec_lo
	s_waitcnt lgkmcnt(0)
	s_waitcnt_vscnt null, 0x0
	s_barrier
	buffer_gl0_inv
	v_cmpx_lt_i32_e32 8, v148
	s_cbranch_execz .LBB64_188
; %bb.187:
	v_mul_f64 v[142:143], v[136:137], v[100:101]
	v_mul_f64 v[100:101], v[134:135], v[100:101]
	v_fma_f64 v[142:143], v[134:135], v[98:99], -v[142:143]
	v_fma_f64 v[100:101], v[136:137], v[98:99], v[100:101]
	ds_read2_b64 v[134:137], v1 offset0:18 offset1:19
	s_waitcnt lgkmcnt(0)
	v_mul_f64 v[98:99], v[136:137], v[100:101]
	v_fma_f64 v[98:99], v[134:135], v[142:143], -v[98:99]
	v_mul_f64 v[134:135], v[134:135], v[100:101]
	v_add_f64 v[94:95], v[94:95], -v[98:99]
	v_fma_f64 v[134:135], v[136:137], v[142:143], v[134:135]
	v_add_f64 v[96:97], v[96:97], -v[134:135]
	ds_read2_b64 v[134:137], v1 offset0:20 offset1:21
	s_waitcnt lgkmcnt(0)
	v_mul_f64 v[98:99], v[136:137], v[100:101]
	v_fma_f64 v[98:99], v[134:135], v[142:143], -v[98:99]
	v_mul_f64 v[134:135], v[134:135], v[100:101]
	v_add_f64 v[90:91], v[90:91], -v[98:99]
	v_fma_f64 v[134:135], v[136:137], v[142:143], v[134:135]
	v_add_f64 v[92:93], v[92:93], -v[134:135]
	ds_read2_b64 v[134:137], v1 offset0:22 offset1:23
	s_waitcnt lgkmcnt(0)
	v_mul_f64 v[98:99], v[136:137], v[100:101]
	v_fma_f64 v[98:99], v[134:135], v[142:143], -v[98:99]
	v_mul_f64 v[134:135], v[134:135], v[100:101]
	v_add_f64 v[86:87], v[86:87], -v[98:99]
	v_fma_f64 v[134:135], v[136:137], v[142:143], v[134:135]
	v_add_f64 v[88:89], v[88:89], -v[134:135]
	ds_read2_b64 v[134:137], v1 offset0:24 offset1:25
	s_waitcnt lgkmcnt(0)
	v_mul_f64 v[98:99], v[136:137], v[100:101]
	v_fma_f64 v[98:99], v[134:135], v[142:143], -v[98:99]
	v_mul_f64 v[134:135], v[134:135], v[100:101]
	v_add_f64 v[82:83], v[82:83], -v[98:99]
	v_fma_f64 v[134:135], v[136:137], v[142:143], v[134:135]
	v_add_f64 v[84:85], v[84:85], -v[134:135]
	ds_read2_b64 v[134:137], v1 offset0:26 offset1:27
	s_waitcnt lgkmcnt(0)
	v_mul_f64 v[98:99], v[136:137], v[100:101]
	v_fma_f64 v[98:99], v[134:135], v[142:143], -v[98:99]
	v_mul_f64 v[134:135], v[134:135], v[100:101]
	v_add_f64 v[78:79], v[78:79], -v[98:99]
	v_fma_f64 v[134:135], v[136:137], v[142:143], v[134:135]
	v_add_f64 v[80:81], v[80:81], -v[134:135]
	ds_read2_b64 v[134:137], v1 offset0:28 offset1:29
	s_waitcnt lgkmcnt(0)
	v_mul_f64 v[98:99], v[136:137], v[100:101]
	v_fma_f64 v[98:99], v[134:135], v[142:143], -v[98:99]
	v_mul_f64 v[134:135], v[134:135], v[100:101]
	v_add_f64 v[74:75], v[74:75], -v[98:99]
	v_fma_f64 v[134:135], v[136:137], v[142:143], v[134:135]
	v_add_f64 v[76:77], v[76:77], -v[134:135]
	ds_read2_b64 v[134:137], v1 offset0:30 offset1:31
	s_waitcnt lgkmcnt(0)
	v_mul_f64 v[98:99], v[136:137], v[100:101]
	v_fma_f64 v[98:99], v[134:135], v[142:143], -v[98:99]
	v_mul_f64 v[134:135], v[134:135], v[100:101]
	v_add_f64 v[70:71], v[70:71], -v[98:99]
	v_fma_f64 v[134:135], v[136:137], v[142:143], v[134:135]
	v_add_f64 v[72:73], v[72:73], -v[134:135]
	ds_read2_b64 v[134:137], v1 offset0:32 offset1:33
	s_waitcnt lgkmcnt(0)
	v_mul_f64 v[98:99], v[136:137], v[100:101]
	v_fma_f64 v[98:99], v[134:135], v[142:143], -v[98:99]
	v_mul_f64 v[134:135], v[134:135], v[100:101]
	v_add_f64 v[66:67], v[66:67], -v[98:99]
	v_fma_f64 v[134:135], v[136:137], v[142:143], v[134:135]
	v_add_f64 v[68:69], v[68:69], -v[134:135]
	ds_read2_b64 v[134:137], v1 offset0:34 offset1:35
	s_waitcnt lgkmcnt(0)
	v_mul_f64 v[98:99], v[136:137], v[100:101]
	v_fma_f64 v[98:99], v[134:135], v[142:143], -v[98:99]
	v_mul_f64 v[134:135], v[134:135], v[100:101]
	v_add_f64 v[62:63], v[62:63], -v[98:99]
	v_fma_f64 v[134:135], v[136:137], v[142:143], v[134:135]
	v_add_f64 v[64:65], v[64:65], -v[134:135]
	ds_read2_b64 v[134:137], v1 offset0:36 offset1:37
	s_waitcnt lgkmcnt(0)
	v_mul_f64 v[98:99], v[136:137], v[100:101]
	v_fma_f64 v[98:99], v[134:135], v[142:143], -v[98:99]
	v_mul_f64 v[134:135], v[134:135], v[100:101]
	v_add_f64 v[58:59], v[58:59], -v[98:99]
	v_fma_f64 v[134:135], v[136:137], v[142:143], v[134:135]
	v_add_f64 v[60:61], v[60:61], -v[134:135]
	ds_read2_b64 v[134:137], v1 offset0:38 offset1:39
	s_waitcnt lgkmcnt(0)
	v_mul_f64 v[98:99], v[136:137], v[100:101]
	v_fma_f64 v[98:99], v[134:135], v[142:143], -v[98:99]
	v_mul_f64 v[134:135], v[134:135], v[100:101]
	v_add_f64 v[54:55], v[54:55], -v[98:99]
	v_fma_f64 v[134:135], v[136:137], v[142:143], v[134:135]
	v_add_f64 v[56:57], v[56:57], -v[134:135]
	ds_read2_b64 v[134:137], v1 offset0:40 offset1:41
	s_waitcnt lgkmcnt(0)
	v_mul_f64 v[98:99], v[136:137], v[100:101]
	v_fma_f64 v[98:99], v[134:135], v[142:143], -v[98:99]
	v_mul_f64 v[134:135], v[134:135], v[100:101]
	v_add_f64 v[50:51], v[50:51], -v[98:99]
	v_fma_f64 v[134:135], v[136:137], v[142:143], v[134:135]
	v_add_f64 v[52:53], v[52:53], -v[134:135]
	ds_read2_b64 v[134:137], v1 offset0:42 offset1:43
	s_waitcnt lgkmcnt(0)
	v_mul_f64 v[98:99], v[136:137], v[100:101]
	v_fma_f64 v[98:99], v[134:135], v[142:143], -v[98:99]
	v_mul_f64 v[134:135], v[134:135], v[100:101]
	v_add_f64 v[46:47], v[46:47], -v[98:99]
	v_fma_f64 v[134:135], v[136:137], v[142:143], v[134:135]
	v_add_f64 v[48:49], v[48:49], -v[134:135]
	ds_read2_b64 v[134:137], v1 offset0:44 offset1:45
	s_waitcnt lgkmcnt(0)
	v_mul_f64 v[98:99], v[136:137], v[100:101]
	v_fma_f64 v[98:99], v[134:135], v[142:143], -v[98:99]
	v_mul_f64 v[134:135], v[134:135], v[100:101]
	v_add_f64 v[42:43], v[42:43], -v[98:99]
	v_fma_f64 v[134:135], v[136:137], v[142:143], v[134:135]
	v_add_f64 v[44:45], v[44:45], -v[134:135]
	ds_read2_b64 v[134:137], v1 offset0:46 offset1:47
	s_waitcnt lgkmcnt(0)
	v_mul_f64 v[98:99], v[136:137], v[100:101]
	v_fma_f64 v[98:99], v[134:135], v[142:143], -v[98:99]
	v_mul_f64 v[134:135], v[134:135], v[100:101]
	v_add_f64 v[38:39], v[38:39], -v[98:99]
	v_fma_f64 v[134:135], v[136:137], v[142:143], v[134:135]
	v_add_f64 v[40:41], v[40:41], -v[134:135]
	ds_read2_b64 v[134:137], v1 offset0:48 offset1:49
	s_waitcnt lgkmcnt(0)
	v_mul_f64 v[98:99], v[136:137], v[100:101]
	v_fma_f64 v[98:99], v[134:135], v[142:143], -v[98:99]
	v_mul_f64 v[134:135], v[134:135], v[100:101]
	v_add_f64 v[34:35], v[34:35], -v[98:99]
	v_fma_f64 v[134:135], v[136:137], v[142:143], v[134:135]
	v_add_f64 v[36:37], v[36:37], -v[134:135]
	ds_read2_b64 v[134:137], v1 offset0:50 offset1:51
	s_waitcnt lgkmcnt(0)
	v_mul_f64 v[98:99], v[136:137], v[100:101]
	v_fma_f64 v[98:99], v[134:135], v[142:143], -v[98:99]
	v_mul_f64 v[134:135], v[134:135], v[100:101]
	v_add_f64 v[30:31], v[30:31], -v[98:99]
	v_fma_f64 v[134:135], v[136:137], v[142:143], v[134:135]
	v_add_f64 v[32:33], v[32:33], -v[134:135]
	ds_read2_b64 v[134:137], v1 offset0:52 offset1:53
	s_waitcnt lgkmcnt(0)
	v_mul_f64 v[98:99], v[136:137], v[100:101]
	v_fma_f64 v[98:99], v[134:135], v[142:143], -v[98:99]
	v_mul_f64 v[134:135], v[134:135], v[100:101]
	v_add_f64 v[26:27], v[26:27], -v[98:99]
	v_fma_f64 v[134:135], v[136:137], v[142:143], v[134:135]
	v_add_f64 v[28:29], v[28:29], -v[134:135]
	ds_read2_b64 v[134:137], v1 offset0:54 offset1:55
	s_waitcnt lgkmcnt(0)
	v_mul_f64 v[98:99], v[136:137], v[100:101]
	v_fma_f64 v[98:99], v[134:135], v[142:143], -v[98:99]
	v_mul_f64 v[134:135], v[134:135], v[100:101]
	v_add_f64 v[22:23], v[22:23], -v[98:99]
	v_fma_f64 v[134:135], v[136:137], v[142:143], v[134:135]
	v_add_f64 v[24:25], v[24:25], -v[134:135]
	ds_read2_b64 v[134:137], v1 offset0:56 offset1:57
	s_waitcnt lgkmcnt(0)
	v_mul_f64 v[98:99], v[136:137], v[100:101]
	v_fma_f64 v[98:99], v[134:135], v[142:143], -v[98:99]
	v_mul_f64 v[134:135], v[134:135], v[100:101]
	v_add_f64 v[18:19], v[18:19], -v[98:99]
	v_fma_f64 v[134:135], v[136:137], v[142:143], v[134:135]
	v_add_f64 v[20:21], v[20:21], -v[134:135]
	ds_read2_b64 v[134:137], v1 offset0:58 offset1:59
	s_waitcnt lgkmcnt(0)
	v_mul_f64 v[98:99], v[136:137], v[100:101]
	v_fma_f64 v[98:99], v[134:135], v[142:143], -v[98:99]
	v_mul_f64 v[134:135], v[134:135], v[100:101]
	v_add_f64 v[14:15], v[14:15], -v[98:99]
	v_fma_f64 v[134:135], v[136:137], v[142:143], v[134:135]
	v_add_f64 v[16:17], v[16:17], -v[134:135]
	ds_read2_b64 v[134:137], v1 offset0:60 offset1:61
	s_waitcnt lgkmcnt(0)
	v_mul_f64 v[98:99], v[136:137], v[100:101]
	v_fma_f64 v[98:99], v[134:135], v[142:143], -v[98:99]
	v_mul_f64 v[134:135], v[134:135], v[100:101]
	v_add_f64 v[10:11], v[10:11], -v[98:99]
	v_fma_f64 v[134:135], v[136:137], v[142:143], v[134:135]
	v_add_f64 v[12:13], v[12:13], -v[134:135]
	ds_read2_b64 v[134:137], v1 offset0:62 offset1:63
	s_waitcnt lgkmcnt(0)
	v_mul_f64 v[98:99], v[136:137], v[100:101]
	v_fma_f64 v[98:99], v[134:135], v[142:143], -v[98:99]
	v_mul_f64 v[134:135], v[134:135], v[100:101]
	v_add_f64 v[6:7], v[6:7], -v[98:99]
	v_fma_f64 v[134:135], v[136:137], v[142:143], v[134:135]
	v_add_f64 v[8:9], v[8:9], -v[134:135]
	ds_read2_b64 v[134:137], v1 offset0:64 offset1:65
	s_waitcnt lgkmcnt(0)
	v_mul_f64 v[98:99], v[136:137], v[100:101]
	v_fma_f64 v[98:99], v[134:135], v[142:143], -v[98:99]
	v_mul_f64 v[134:135], v[134:135], v[100:101]
	v_add_f64 v[2:3], v[2:3], -v[98:99]
	v_fma_f64 v[134:135], v[136:137], v[142:143], v[134:135]
	v_mov_b32_e32 v98, v142
	v_mov_b32_e32 v99, v143
	v_add_f64 v[4:5], v[4:5], -v[134:135]
.LBB64_188:
	s_or_b32 exec_lo, exec_lo, s0
	v_lshl_add_u32 v134, v148, 4, v1
	s_barrier
	buffer_gl0_inv
	v_mov_b32_e32 v142, 9
	ds_write2_b64 v134, v[94:95], v[96:97] offset1:1
	s_waitcnt lgkmcnt(0)
	s_barrier
	buffer_gl0_inv
	ds_read2_b64 v[134:137], v1 offset0:18 offset1:19
	s_cmp_lt_i32 s18, 11
	s_cbranch_scc1 .LBB64_191
; %bb.189:
	v_add3_u32 v143, v144, 0, 0xa0
	v_mov_b32_e32 v142, 9
	s_mov_b32 s1, 10
	s_inst_prefetch 0x1
	.p2align	6
.LBB64_190:                             ; =>This Inner Loop Header: Depth=1
	s_waitcnt lgkmcnt(0)
	v_cmp_gt_f64_e32 vcc_lo, 0, v[136:137]
	v_cmp_gt_f64_e64 s0, 0, v[134:135]
	ds_read2_b64 v[149:152], v143 offset1:1
	v_xor_b32_e32 v154, 0x80000000, v135
	v_xor_b32_e32 v156, 0x80000000, v137
	v_mov_b32_e32 v153, v134
	v_mov_b32_e32 v155, v136
	v_add_nc_u32_e32 v143, 16, v143
	s_waitcnt lgkmcnt(0)
	v_xor_b32_e32 v158, 0x80000000, v152
	v_cndmask_b32_e64 v154, v135, v154, s0
	v_cndmask_b32_e32 v156, v137, v156, vcc_lo
	v_cmp_gt_f64_e32 vcc_lo, 0, v[151:152]
	v_cmp_gt_f64_e64 s0, 0, v[149:150]
	v_mov_b32_e32 v157, v151
	v_add_f64 v[153:154], v[153:154], v[155:156]
	v_xor_b32_e32 v156, 0x80000000, v150
	v_mov_b32_e32 v155, v149
	v_cndmask_b32_e32 v158, v152, v158, vcc_lo
	v_cndmask_b32_e64 v156, v150, v156, s0
	v_add_f64 v[155:156], v[155:156], v[157:158]
	v_cmp_lt_f64_e32 vcc_lo, v[153:154], v[155:156]
	v_cndmask_b32_e32 v135, v135, v150, vcc_lo
	v_cndmask_b32_e32 v134, v134, v149, vcc_lo
	;; [unrolled: 1-line block ×4, first 2 shown]
	v_cndmask_b32_e64 v142, v142, s1, vcc_lo
	s_add_i32 s1, s1, 1
	s_cmp_lg_u32 s18, s1
	s_cbranch_scc1 .LBB64_190
.LBB64_191:
	s_inst_prefetch 0x2
	s_waitcnt lgkmcnt(0)
	v_cmp_eq_f64_e32 vcc_lo, 0, v[134:135]
	v_cmp_eq_f64_e64 s0, 0, v[136:137]
	s_and_b32 s0, vcc_lo, s0
	s_and_saveexec_b32 s1, s0
	s_xor_b32 s0, exec_lo, s1
; %bb.192:
	v_cmp_ne_u32_e32 vcc_lo, 0, v147
	v_cndmask_b32_e32 v147, 10, v147, vcc_lo
; %bb.193:
	s_andn2_saveexec_b32 s0, s0
	s_cbranch_execz .LBB64_199
; %bb.194:
	v_cmp_ngt_f64_e64 s1, |v[134:135]|, |v[136:137]|
	s_and_saveexec_b32 s2, s1
	s_xor_b32 s1, exec_lo, s2
	s_cbranch_execz .LBB64_196
; %bb.195:
	v_div_scale_f64 v[149:150], null, v[136:137], v[136:137], v[134:135]
	v_div_scale_f64 v[155:156], vcc_lo, v[134:135], v[136:137], v[134:135]
	v_rcp_f64_e32 v[151:152], v[149:150]
	v_fma_f64 v[153:154], -v[149:150], v[151:152], 1.0
	v_fma_f64 v[151:152], v[151:152], v[153:154], v[151:152]
	v_fma_f64 v[153:154], -v[149:150], v[151:152], 1.0
	v_fma_f64 v[151:152], v[151:152], v[153:154], v[151:152]
	v_mul_f64 v[153:154], v[155:156], v[151:152]
	v_fma_f64 v[149:150], -v[149:150], v[153:154], v[155:156]
	v_div_fmas_f64 v[149:150], v[149:150], v[151:152], v[153:154]
	v_div_fixup_f64 v[149:150], v[149:150], v[136:137], v[134:135]
	v_fma_f64 v[134:135], v[134:135], v[149:150], v[136:137]
	v_div_scale_f64 v[136:137], null, v[134:135], v[134:135], 1.0
	v_rcp_f64_e32 v[151:152], v[136:137]
	v_fma_f64 v[153:154], -v[136:137], v[151:152], 1.0
	v_fma_f64 v[151:152], v[151:152], v[153:154], v[151:152]
	v_fma_f64 v[153:154], -v[136:137], v[151:152], 1.0
	v_fma_f64 v[151:152], v[151:152], v[153:154], v[151:152]
	v_div_scale_f64 v[153:154], vcc_lo, 1.0, v[134:135], 1.0
	v_mul_f64 v[155:156], v[153:154], v[151:152]
	v_fma_f64 v[136:137], -v[136:137], v[155:156], v[153:154]
	v_div_fmas_f64 v[136:137], v[136:137], v[151:152], v[155:156]
	v_div_fixup_f64 v[136:137], v[136:137], v[134:135], 1.0
	v_mul_f64 v[134:135], v[149:150], v[136:137]
	v_xor_b32_e32 v137, 0x80000000, v137
.LBB64_196:
	s_andn2_saveexec_b32 s1, s1
	s_cbranch_execz .LBB64_198
; %bb.197:
	v_div_scale_f64 v[149:150], null, v[134:135], v[134:135], v[136:137]
	v_div_scale_f64 v[155:156], vcc_lo, v[136:137], v[134:135], v[136:137]
	v_rcp_f64_e32 v[151:152], v[149:150]
	v_fma_f64 v[153:154], -v[149:150], v[151:152], 1.0
	v_fma_f64 v[151:152], v[151:152], v[153:154], v[151:152]
	v_fma_f64 v[153:154], -v[149:150], v[151:152], 1.0
	v_fma_f64 v[151:152], v[151:152], v[153:154], v[151:152]
	v_mul_f64 v[153:154], v[155:156], v[151:152]
	v_fma_f64 v[149:150], -v[149:150], v[153:154], v[155:156]
	v_div_fmas_f64 v[149:150], v[149:150], v[151:152], v[153:154]
	v_div_fixup_f64 v[149:150], v[149:150], v[134:135], v[136:137]
	v_fma_f64 v[134:135], v[136:137], v[149:150], v[134:135]
	v_div_scale_f64 v[136:137], null, v[134:135], v[134:135], 1.0
	v_rcp_f64_e32 v[151:152], v[136:137]
	v_fma_f64 v[153:154], -v[136:137], v[151:152], 1.0
	v_fma_f64 v[151:152], v[151:152], v[153:154], v[151:152]
	v_fma_f64 v[153:154], -v[136:137], v[151:152], 1.0
	v_fma_f64 v[151:152], v[151:152], v[153:154], v[151:152]
	v_div_scale_f64 v[153:154], vcc_lo, 1.0, v[134:135], 1.0
	v_mul_f64 v[155:156], v[153:154], v[151:152]
	v_fma_f64 v[136:137], -v[136:137], v[155:156], v[153:154]
	v_div_fmas_f64 v[136:137], v[136:137], v[151:152], v[155:156]
	v_div_fixup_f64 v[134:135], v[136:137], v[134:135], 1.0
	v_mul_f64 v[136:137], v[149:150], -v[134:135]
.LBB64_198:
	s_or_b32 exec_lo, exec_lo, s1
.LBB64_199:
	s_or_b32 exec_lo, exec_lo, s0
	s_mov_b32 s0, exec_lo
	v_cmpx_ne_u32_e64 v148, v142
	s_xor_b32 s0, exec_lo, s0
	s_cbranch_execz .LBB64_205
; %bb.200:
	s_mov_b32 s1, exec_lo
	v_cmpx_eq_u32_e32 9, v148
	s_cbranch_execz .LBB64_204
; %bb.201:
	v_cmp_ne_u32_e32 vcc_lo, 9, v142
	s_xor_b32 s2, s16, -1
	s_and_b32 s3, s2, vcc_lo
	s_and_saveexec_b32 s2, s3
	s_cbranch_execz .LBB64_203
; %bb.202:
	v_ashrrev_i32_e32 v143, 31, v142
	v_lshlrev_b64 v[148:149], 2, v[142:143]
	v_add_co_u32 v148, vcc_lo, v140, v148
	v_add_co_ci_u32_e64 v149, null, v141, v149, vcc_lo
	s_clause 0x1
	global_load_dword v0, v[148:149], off
	global_load_dword v143, v[140:141], off offset:36
	s_waitcnt vmcnt(1)
	global_store_dword v[140:141], v0, off offset:36
	s_waitcnt vmcnt(0)
	global_store_dword v[148:149], v143, off
.LBB64_203:
	s_or_b32 exec_lo, exec_lo, s2
	v_mov_b32_e32 v148, v142
	v_mov_b32_e32 v0, v142
.LBB64_204:
	s_or_b32 exec_lo, exec_lo, s1
.LBB64_205:
	s_andn2_saveexec_b32 s0, s0
	s_cbranch_execz .LBB64_207
; %bb.206:
	v_mov_b32_e32 v148, 9
	ds_write2_b64 v1, v[90:91], v[92:93] offset0:20 offset1:21
	ds_write2_b64 v1, v[86:87], v[88:89] offset0:22 offset1:23
	;; [unrolled: 1-line block ×23, first 2 shown]
.LBB64_207:
	s_or_b32 exec_lo, exec_lo, s0
	s_mov_b32 s0, exec_lo
	s_waitcnt lgkmcnt(0)
	s_waitcnt_vscnt null, 0x0
	s_barrier
	buffer_gl0_inv
	v_cmpx_lt_i32_e32 9, v148
	s_cbranch_execz .LBB64_209
; %bb.208:
	v_mul_f64 v[142:143], v[136:137], v[96:97]
	v_mul_f64 v[96:97], v[134:135], v[96:97]
	v_fma_f64 v[142:143], v[134:135], v[94:95], -v[142:143]
	v_fma_f64 v[96:97], v[136:137], v[94:95], v[96:97]
	ds_read2_b64 v[134:137], v1 offset0:20 offset1:21
	s_waitcnt lgkmcnt(0)
	v_mul_f64 v[94:95], v[136:137], v[96:97]
	v_fma_f64 v[94:95], v[134:135], v[142:143], -v[94:95]
	v_mul_f64 v[134:135], v[134:135], v[96:97]
	v_add_f64 v[90:91], v[90:91], -v[94:95]
	v_fma_f64 v[134:135], v[136:137], v[142:143], v[134:135]
	v_add_f64 v[92:93], v[92:93], -v[134:135]
	ds_read2_b64 v[134:137], v1 offset0:22 offset1:23
	s_waitcnt lgkmcnt(0)
	v_mul_f64 v[94:95], v[136:137], v[96:97]
	v_fma_f64 v[94:95], v[134:135], v[142:143], -v[94:95]
	v_mul_f64 v[134:135], v[134:135], v[96:97]
	v_add_f64 v[86:87], v[86:87], -v[94:95]
	v_fma_f64 v[134:135], v[136:137], v[142:143], v[134:135]
	v_add_f64 v[88:89], v[88:89], -v[134:135]
	;; [unrolled: 8-line block ×22, first 2 shown]
	ds_read2_b64 v[134:137], v1 offset0:64 offset1:65
	s_waitcnt lgkmcnt(0)
	v_mul_f64 v[94:95], v[136:137], v[96:97]
	v_fma_f64 v[94:95], v[134:135], v[142:143], -v[94:95]
	v_mul_f64 v[134:135], v[134:135], v[96:97]
	v_add_f64 v[2:3], v[2:3], -v[94:95]
	v_fma_f64 v[134:135], v[136:137], v[142:143], v[134:135]
	v_mov_b32_e32 v94, v142
	v_mov_b32_e32 v95, v143
	v_add_f64 v[4:5], v[4:5], -v[134:135]
.LBB64_209:
	s_or_b32 exec_lo, exec_lo, s0
	v_lshl_add_u32 v134, v148, 4, v1
	s_barrier
	buffer_gl0_inv
	v_mov_b32_e32 v142, 10
	ds_write2_b64 v134, v[90:91], v[92:93] offset1:1
	s_waitcnt lgkmcnt(0)
	s_barrier
	buffer_gl0_inv
	ds_read2_b64 v[134:137], v1 offset0:20 offset1:21
	s_cmp_lt_i32 s18, 12
	s_cbranch_scc1 .LBB64_212
; %bb.210:
	v_add3_u32 v143, v144, 0, 0xb0
	v_mov_b32_e32 v142, 10
	s_mov_b32 s1, 11
	s_inst_prefetch 0x1
	.p2align	6
.LBB64_211:                             ; =>This Inner Loop Header: Depth=1
	s_waitcnt lgkmcnt(0)
	v_cmp_gt_f64_e32 vcc_lo, 0, v[136:137]
	v_cmp_gt_f64_e64 s0, 0, v[134:135]
	ds_read2_b64 v[149:152], v143 offset1:1
	v_xor_b32_e32 v154, 0x80000000, v135
	v_xor_b32_e32 v156, 0x80000000, v137
	v_mov_b32_e32 v153, v134
	v_mov_b32_e32 v155, v136
	v_add_nc_u32_e32 v143, 16, v143
	s_waitcnt lgkmcnt(0)
	v_xor_b32_e32 v158, 0x80000000, v152
	v_cndmask_b32_e64 v154, v135, v154, s0
	v_cndmask_b32_e32 v156, v137, v156, vcc_lo
	v_cmp_gt_f64_e32 vcc_lo, 0, v[151:152]
	v_cmp_gt_f64_e64 s0, 0, v[149:150]
	v_mov_b32_e32 v157, v151
	v_add_f64 v[153:154], v[153:154], v[155:156]
	v_xor_b32_e32 v156, 0x80000000, v150
	v_mov_b32_e32 v155, v149
	v_cndmask_b32_e32 v158, v152, v158, vcc_lo
	v_cndmask_b32_e64 v156, v150, v156, s0
	v_add_f64 v[155:156], v[155:156], v[157:158]
	v_cmp_lt_f64_e32 vcc_lo, v[153:154], v[155:156]
	v_cndmask_b32_e32 v135, v135, v150, vcc_lo
	v_cndmask_b32_e32 v134, v134, v149, vcc_lo
	;; [unrolled: 1-line block ×4, first 2 shown]
	v_cndmask_b32_e64 v142, v142, s1, vcc_lo
	s_add_i32 s1, s1, 1
	s_cmp_lg_u32 s18, s1
	s_cbranch_scc1 .LBB64_211
.LBB64_212:
	s_inst_prefetch 0x2
	s_waitcnt lgkmcnt(0)
	v_cmp_eq_f64_e32 vcc_lo, 0, v[134:135]
	v_cmp_eq_f64_e64 s0, 0, v[136:137]
	s_and_b32 s0, vcc_lo, s0
	s_and_saveexec_b32 s1, s0
	s_xor_b32 s0, exec_lo, s1
; %bb.213:
	v_cmp_ne_u32_e32 vcc_lo, 0, v147
	v_cndmask_b32_e32 v147, 11, v147, vcc_lo
; %bb.214:
	s_andn2_saveexec_b32 s0, s0
	s_cbranch_execz .LBB64_220
; %bb.215:
	v_cmp_ngt_f64_e64 s1, |v[134:135]|, |v[136:137]|
	s_and_saveexec_b32 s2, s1
	s_xor_b32 s1, exec_lo, s2
	s_cbranch_execz .LBB64_217
; %bb.216:
	v_div_scale_f64 v[149:150], null, v[136:137], v[136:137], v[134:135]
	v_div_scale_f64 v[155:156], vcc_lo, v[134:135], v[136:137], v[134:135]
	v_rcp_f64_e32 v[151:152], v[149:150]
	v_fma_f64 v[153:154], -v[149:150], v[151:152], 1.0
	v_fma_f64 v[151:152], v[151:152], v[153:154], v[151:152]
	v_fma_f64 v[153:154], -v[149:150], v[151:152], 1.0
	v_fma_f64 v[151:152], v[151:152], v[153:154], v[151:152]
	v_mul_f64 v[153:154], v[155:156], v[151:152]
	v_fma_f64 v[149:150], -v[149:150], v[153:154], v[155:156]
	v_div_fmas_f64 v[149:150], v[149:150], v[151:152], v[153:154]
	v_div_fixup_f64 v[149:150], v[149:150], v[136:137], v[134:135]
	v_fma_f64 v[134:135], v[134:135], v[149:150], v[136:137]
	v_div_scale_f64 v[136:137], null, v[134:135], v[134:135], 1.0
	v_rcp_f64_e32 v[151:152], v[136:137]
	v_fma_f64 v[153:154], -v[136:137], v[151:152], 1.0
	v_fma_f64 v[151:152], v[151:152], v[153:154], v[151:152]
	v_fma_f64 v[153:154], -v[136:137], v[151:152], 1.0
	v_fma_f64 v[151:152], v[151:152], v[153:154], v[151:152]
	v_div_scale_f64 v[153:154], vcc_lo, 1.0, v[134:135], 1.0
	v_mul_f64 v[155:156], v[153:154], v[151:152]
	v_fma_f64 v[136:137], -v[136:137], v[155:156], v[153:154]
	v_div_fmas_f64 v[136:137], v[136:137], v[151:152], v[155:156]
	v_div_fixup_f64 v[136:137], v[136:137], v[134:135], 1.0
	v_mul_f64 v[134:135], v[149:150], v[136:137]
	v_xor_b32_e32 v137, 0x80000000, v137
.LBB64_217:
	s_andn2_saveexec_b32 s1, s1
	s_cbranch_execz .LBB64_219
; %bb.218:
	v_div_scale_f64 v[149:150], null, v[134:135], v[134:135], v[136:137]
	v_div_scale_f64 v[155:156], vcc_lo, v[136:137], v[134:135], v[136:137]
	v_rcp_f64_e32 v[151:152], v[149:150]
	v_fma_f64 v[153:154], -v[149:150], v[151:152], 1.0
	v_fma_f64 v[151:152], v[151:152], v[153:154], v[151:152]
	v_fma_f64 v[153:154], -v[149:150], v[151:152], 1.0
	v_fma_f64 v[151:152], v[151:152], v[153:154], v[151:152]
	v_mul_f64 v[153:154], v[155:156], v[151:152]
	v_fma_f64 v[149:150], -v[149:150], v[153:154], v[155:156]
	v_div_fmas_f64 v[149:150], v[149:150], v[151:152], v[153:154]
	v_div_fixup_f64 v[149:150], v[149:150], v[134:135], v[136:137]
	v_fma_f64 v[134:135], v[136:137], v[149:150], v[134:135]
	v_div_scale_f64 v[136:137], null, v[134:135], v[134:135], 1.0
	v_rcp_f64_e32 v[151:152], v[136:137]
	v_fma_f64 v[153:154], -v[136:137], v[151:152], 1.0
	v_fma_f64 v[151:152], v[151:152], v[153:154], v[151:152]
	v_fma_f64 v[153:154], -v[136:137], v[151:152], 1.0
	v_fma_f64 v[151:152], v[151:152], v[153:154], v[151:152]
	v_div_scale_f64 v[153:154], vcc_lo, 1.0, v[134:135], 1.0
	v_mul_f64 v[155:156], v[153:154], v[151:152]
	v_fma_f64 v[136:137], -v[136:137], v[155:156], v[153:154]
	v_div_fmas_f64 v[136:137], v[136:137], v[151:152], v[155:156]
	v_div_fixup_f64 v[134:135], v[136:137], v[134:135], 1.0
	v_mul_f64 v[136:137], v[149:150], -v[134:135]
.LBB64_219:
	s_or_b32 exec_lo, exec_lo, s1
.LBB64_220:
	s_or_b32 exec_lo, exec_lo, s0
	s_mov_b32 s0, exec_lo
	v_cmpx_ne_u32_e64 v148, v142
	s_xor_b32 s0, exec_lo, s0
	s_cbranch_execz .LBB64_226
; %bb.221:
	s_mov_b32 s1, exec_lo
	v_cmpx_eq_u32_e32 10, v148
	s_cbranch_execz .LBB64_225
; %bb.222:
	v_cmp_ne_u32_e32 vcc_lo, 10, v142
	s_xor_b32 s2, s16, -1
	s_and_b32 s3, s2, vcc_lo
	s_and_saveexec_b32 s2, s3
	s_cbranch_execz .LBB64_224
; %bb.223:
	v_ashrrev_i32_e32 v143, 31, v142
	v_lshlrev_b64 v[148:149], 2, v[142:143]
	v_add_co_u32 v148, vcc_lo, v140, v148
	v_add_co_ci_u32_e64 v149, null, v141, v149, vcc_lo
	s_clause 0x1
	global_load_dword v0, v[148:149], off
	global_load_dword v143, v[140:141], off offset:40
	s_waitcnt vmcnt(1)
	global_store_dword v[140:141], v0, off offset:40
	s_waitcnt vmcnt(0)
	global_store_dword v[148:149], v143, off
.LBB64_224:
	s_or_b32 exec_lo, exec_lo, s2
	v_mov_b32_e32 v148, v142
	v_mov_b32_e32 v0, v142
.LBB64_225:
	s_or_b32 exec_lo, exec_lo, s1
.LBB64_226:
	s_andn2_saveexec_b32 s0, s0
	s_cbranch_execz .LBB64_228
; %bb.227:
	v_mov_b32_e32 v148, 10
	ds_write2_b64 v1, v[86:87], v[88:89] offset0:22 offset1:23
	ds_write2_b64 v1, v[82:83], v[84:85] offset0:24 offset1:25
	;; [unrolled: 1-line block ×22, first 2 shown]
.LBB64_228:
	s_or_b32 exec_lo, exec_lo, s0
	s_mov_b32 s0, exec_lo
	s_waitcnt lgkmcnt(0)
	s_waitcnt_vscnt null, 0x0
	s_barrier
	buffer_gl0_inv
	v_cmpx_lt_i32_e32 10, v148
	s_cbranch_execz .LBB64_230
; %bb.229:
	v_mul_f64 v[142:143], v[136:137], v[92:93]
	v_mul_f64 v[92:93], v[134:135], v[92:93]
	v_fma_f64 v[142:143], v[134:135], v[90:91], -v[142:143]
	v_fma_f64 v[92:93], v[136:137], v[90:91], v[92:93]
	ds_read2_b64 v[134:137], v1 offset0:22 offset1:23
	s_waitcnt lgkmcnt(0)
	v_mul_f64 v[90:91], v[136:137], v[92:93]
	v_fma_f64 v[90:91], v[134:135], v[142:143], -v[90:91]
	v_mul_f64 v[134:135], v[134:135], v[92:93]
	v_add_f64 v[86:87], v[86:87], -v[90:91]
	v_fma_f64 v[134:135], v[136:137], v[142:143], v[134:135]
	v_add_f64 v[88:89], v[88:89], -v[134:135]
	ds_read2_b64 v[134:137], v1 offset0:24 offset1:25
	s_waitcnt lgkmcnt(0)
	v_mul_f64 v[90:91], v[136:137], v[92:93]
	v_fma_f64 v[90:91], v[134:135], v[142:143], -v[90:91]
	v_mul_f64 v[134:135], v[134:135], v[92:93]
	v_add_f64 v[82:83], v[82:83], -v[90:91]
	v_fma_f64 v[134:135], v[136:137], v[142:143], v[134:135]
	v_add_f64 v[84:85], v[84:85], -v[134:135]
	;; [unrolled: 8-line block ×21, first 2 shown]
	ds_read2_b64 v[134:137], v1 offset0:64 offset1:65
	s_waitcnt lgkmcnt(0)
	v_mul_f64 v[90:91], v[136:137], v[92:93]
	v_fma_f64 v[90:91], v[134:135], v[142:143], -v[90:91]
	v_mul_f64 v[134:135], v[134:135], v[92:93]
	v_add_f64 v[2:3], v[2:3], -v[90:91]
	v_fma_f64 v[134:135], v[136:137], v[142:143], v[134:135]
	v_mov_b32_e32 v90, v142
	v_mov_b32_e32 v91, v143
	v_add_f64 v[4:5], v[4:5], -v[134:135]
.LBB64_230:
	s_or_b32 exec_lo, exec_lo, s0
	v_lshl_add_u32 v134, v148, 4, v1
	s_barrier
	buffer_gl0_inv
	v_mov_b32_e32 v142, 11
	ds_write2_b64 v134, v[86:87], v[88:89] offset1:1
	s_waitcnt lgkmcnt(0)
	s_barrier
	buffer_gl0_inv
	ds_read2_b64 v[134:137], v1 offset0:22 offset1:23
	s_cmp_lt_i32 s18, 13
	s_cbranch_scc1 .LBB64_233
; %bb.231:
	v_add3_u32 v143, v144, 0, 0xc0
	v_mov_b32_e32 v142, 11
	s_mov_b32 s1, 12
	s_inst_prefetch 0x1
	.p2align	6
.LBB64_232:                             ; =>This Inner Loop Header: Depth=1
	s_waitcnt lgkmcnt(0)
	v_cmp_gt_f64_e32 vcc_lo, 0, v[136:137]
	v_cmp_gt_f64_e64 s0, 0, v[134:135]
	ds_read2_b64 v[149:152], v143 offset1:1
	v_xor_b32_e32 v154, 0x80000000, v135
	v_xor_b32_e32 v156, 0x80000000, v137
	v_mov_b32_e32 v153, v134
	v_mov_b32_e32 v155, v136
	v_add_nc_u32_e32 v143, 16, v143
	s_waitcnt lgkmcnt(0)
	v_xor_b32_e32 v158, 0x80000000, v152
	v_cndmask_b32_e64 v154, v135, v154, s0
	v_cndmask_b32_e32 v156, v137, v156, vcc_lo
	v_cmp_gt_f64_e32 vcc_lo, 0, v[151:152]
	v_cmp_gt_f64_e64 s0, 0, v[149:150]
	v_mov_b32_e32 v157, v151
	v_add_f64 v[153:154], v[153:154], v[155:156]
	v_xor_b32_e32 v156, 0x80000000, v150
	v_mov_b32_e32 v155, v149
	v_cndmask_b32_e32 v158, v152, v158, vcc_lo
	v_cndmask_b32_e64 v156, v150, v156, s0
	v_add_f64 v[155:156], v[155:156], v[157:158]
	v_cmp_lt_f64_e32 vcc_lo, v[153:154], v[155:156]
	v_cndmask_b32_e32 v135, v135, v150, vcc_lo
	v_cndmask_b32_e32 v134, v134, v149, vcc_lo
	;; [unrolled: 1-line block ×4, first 2 shown]
	v_cndmask_b32_e64 v142, v142, s1, vcc_lo
	s_add_i32 s1, s1, 1
	s_cmp_lg_u32 s18, s1
	s_cbranch_scc1 .LBB64_232
.LBB64_233:
	s_inst_prefetch 0x2
	s_waitcnt lgkmcnt(0)
	v_cmp_eq_f64_e32 vcc_lo, 0, v[134:135]
	v_cmp_eq_f64_e64 s0, 0, v[136:137]
	s_and_b32 s0, vcc_lo, s0
	s_and_saveexec_b32 s1, s0
	s_xor_b32 s0, exec_lo, s1
; %bb.234:
	v_cmp_ne_u32_e32 vcc_lo, 0, v147
	v_cndmask_b32_e32 v147, 12, v147, vcc_lo
; %bb.235:
	s_andn2_saveexec_b32 s0, s0
	s_cbranch_execz .LBB64_241
; %bb.236:
	v_cmp_ngt_f64_e64 s1, |v[134:135]|, |v[136:137]|
	s_and_saveexec_b32 s2, s1
	s_xor_b32 s1, exec_lo, s2
	s_cbranch_execz .LBB64_238
; %bb.237:
	v_div_scale_f64 v[149:150], null, v[136:137], v[136:137], v[134:135]
	v_div_scale_f64 v[155:156], vcc_lo, v[134:135], v[136:137], v[134:135]
	v_rcp_f64_e32 v[151:152], v[149:150]
	v_fma_f64 v[153:154], -v[149:150], v[151:152], 1.0
	v_fma_f64 v[151:152], v[151:152], v[153:154], v[151:152]
	v_fma_f64 v[153:154], -v[149:150], v[151:152], 1.0
	v_fma_f64 v[151:152], v[151:152], v[153:154], v[151:152]
	v_mul_f64 v[153:154], v[155:156], v[151:152]
	v_fma_f64 v[149:150], -v[149:150], v[153:154], v[155:156]
	v_div_fmas_f64 v[149:150], v[149:150], v[151:152], v[153:154]
	v_div_fixup_f64 v[149:150], v[149:150], v[136:137], v[134:135]
	v_fma_f64 v[134:135], v[134:135], v[149:150], v[136:137]
	v_div_scale_f64 v[136:137], null, v[134:135], v[134:135], 1.0
	v_rcp_f64_e32 v[151:152], v[136:137]
	v_fma_f64 v[153:154], -v[136:137], v[151:152], 1.0
	v_fma_f64 v[151:152], v[151:152], v[153:154], v[151:152]
	v_fma_f64 v[153:154], -v[136:137], v[151:152], 1.0
	v_fma_f64 v[151:152], v[151:152], v[153:154], v[151:152]
	v_div_scale_f64 v[153:154], vcc_lo, 1.0, v[134:135], 1.0
	v_mul_f64 v[155:156], v[153:154], v[151:152]
	v_fma_f64 v[136:137], -v[136:137], v[155:156], v[153:154]
	v_div_fmas_f64 v[136:137], v[136:137], v[151:152], v[155:156]
	v_div_fixup_f64 v[136:137], v[136:137], v[134:135], 1.0
	v_mul_f64 v[134:135], v[149:150], v[136:137]
	v_xor_b32_e32 v137, 0x80000000, v137
.LBB64_238:
	s_andn2_saveexec_b32 s1, s1
	s_cbranch_execz .LBB64_240
; %bb.239:
	v_div_scale_f64 v[149:150], null, v[134:135], v[134:135], v[136:137]
	v_div_scale_f64 v[155:156], vcc_lo, v[136:137], v[134:135], v[136:137]
	v_rcp_f64_e32 v[151:152], v[149:150]
	v_fma_f64 v[153:154], -v[149:150], v[151:152], 1.0
	v_fma_f64 v[151:152], v[151:152], v[153:154], v[151:152]
	v_fma_f64 v[153:154], -v[149:150], v[151:152], 1.0
	v_fma_f64 v[151:152], v[151:152], v[153:154], v[151:152]
	v_mul_f64 v[153:154], v[155:156], v[151:152]
	v_fma_f64 v[149:150], -v[149:150], v[153:154], v[155:156]
	v_div_fmas_f64 v[149:150], v[149:150], v[151:152], v[153:154]
	v_div_fixup_f64 v[149:150], v[149:150], v[134:135], v[136:137]
	v_fma_f64 v[134:135], v[136:137], v[149:150], v[134:135]
	v_div_scale_f64 v[136:137], null, v[134:135], v[134:135], 1.0
	v_rcp_f64_e32 v[151:152], v[136:137]
	v_fma_f64 v[153:154], -v[136:137], v[151:152], 1.0
	v_fma_f64 v[151:152], v[151:152], v[153:154], v[151:152]
	v_fma_f64 v[153:154], -v[136:137], v[151:152], 1.0
	v_fma_f64 v[151:152], v[151:152], v[153:154], v[151:152]
	v_div_scale_f64 v[153:154], vcc_lo, 1.0, v[134:135], 1.0
	v_mul_f64 v[155:156], v[153:154], v[151:152]
	v_fma_f64 v[136:137], -v[136:137], v[155:156], v[153:154]
	v_div_fmas_f64 v[136:137], v[136:137], v[151:152], v[155:156]
	v_div_fixup_f64 v[134:135], v[136:137], v[134:135], 1.0
	v_mul_f64 v[136:137], v[149:150], -v[134:135]
.LBB64_240:
	s_or_b32 exec_lo, exec_lo, s1
.LBB64_241:
	s_or_b32 exec_lo, exec_lo, s0
	s_mov_b32 s0, exec_lo
	v_cmpx_ne_u32_e64 v148, v142
	s_xor_b32 s0, exec_lo, s0
	s_cbranch_execz .LBB64_247
; %bb.242:
	s_mov_b32 s1, exec_lo
	v_cmpx_eq_u32_e32 11, v148
	s_cbranch_execz .LBB64_246
; %bb.243:
	v_cmp_ne_u32_e32 vcc_lo, 11, v142
	s_xor_b32 s2, s16, -1
	s_and_b32 s3, s2, vcc_lo
	s_and_saveexec_b32 s2, s3
	s_cbranch_execz .LBB64_245
; %bb.244:
	v_ashrrev_i32_e32 v143, 31, v142
	v_lshlrev_b64 v[148:149], 2, v[142:143]
	v_add_co_u32 v148, vcc_lo, v140, v148
	v_add_co_ci_u32_e64 v149, null, v141, v149, vcc_lo
	s_clause 0x1
	global_load_dword v0, v[148:149], off
	global_load_dword v143, v[140:141], off offset:44
	s_waitcnt vmcnt(1)
	global_store_dword v[140:141], v0, off offset:44
	s_waitcnt vmcnt(0)
	global_store_dword v[148:149], v143, off
.LBB64_245:
	s_or_b32 exec_lo, exec_lo, s2
	v_mov_b32_e32 v148, v142
	v_mov_b32_e32 v0, v142
.LBB64_246:
	s_or_b32 exec_lo, exec_lo, s1
.LBB64_247:
	s_andn2_saveexec_b32 s0, s0
	s_cbranch_execz .LBB64_249
; %bb.248:
	v_mov_b32_e32 v148, 11
	ds_write2_b64 v1, v[82:83], v[84:85] offset0:24 offset1:25
	ds_write2_b64 v1, v[78:79], v[80:81] offset0:26 offset1:27
	;; [unrolled: 1-line block ×21, first 2 shown]
.LBB64_249:
	s_or_b32 exec_lo, exec_lo, s0
	s_mov_b32 s0, exec_lo
	s_waitcnt lgkmcnt(0)
	s_waitcnt_vscnt null, 0x0
	s_barrier
	buffer_gl0_inv
	v_cmpx_lt_i32_e32 11, v148
	s_cbranch_execz .LBB64_251
; %bb.250:
	v_mul_f64 v[142:143], v[136:137], v[88:89]
	v_mul_f64 v[88:89], v[134:135], v[88:89]
	v_fma_f64 v[142:143], v[134:135], v[86:87], -v[142:143]
	v_fma_f64 v[88:89], v[136:137], v[86:87], v[88:89]
	ds_read2_b64 v[134:137], v1 offset0:24 offset1:25
	s_waitcnt lgkmcnt(0)
	v_mul_f64 v[86:87], v[136:137], v[88:89]
	v_fma_f64 v[86:87], v[134:135], v[142:143], -v[86:87]
	v_mul_f64 v[134:135], v[134:135], v[88:89]
	v_add_f64 v[82:83], v[82:83], -v[86:87]
	v_fma_f64 v[134:135], v[136:137], v[142:143], v[134:135]
	v_add_f64 v[84:85], v[84:85], -v[134:135]
	ds_read2_b64 v[134:137], v1 offset0:26 offset1:27
	s_waitcnt lgkmcnt(0)
	v_mul_f64 v[86:87], v[136:137], v[88:89]
	v_fma_f64 v[86:87], v[134:135], v[142:143], -v[86:87]
	v_mul_f64 v[134:135], v[134:135], v[88:89]
	v_add_f64 v[78:79], v[78:79], -v[86:87]
	v_fma_f64 v[134:135], v[136:137], v[142:143], v[134:135]
	v_add_f64 v[80:81], v[80:81], -v[134:135]
	;; [unrolled: 8-line block ×20, first 2 shown]
	ds_read2_b64 v[134:137], v1 offset0:64 offset1:65
	s_waitcnt lgkmcnt(0)
	v_mul_f64 v[86:87], v[136:137], v[88:89]
	v_fma_f64 v[86:87], v[134:135], v[142:143], -v[86:87]
	v_mul_f64 v[134:135], v[134:135], v[88:89]
	v_add_f64 v[2:3], v[2:3], -v[86:87]
	v_fma_f64 v[134:135], v[136:137], v[142:143], v[134:135]
	v_mov_b32_e32 v86, v142
	v_mov_b32_e32 v87, v143
	v_add_f64 v[4:5], v[4:5], -v[134:135]
.LBB64_251:
	s_or_b32 exec_lo, exec_lo, s0
	v_lshl_add_u32 v134, v148, 4, v1
	s_barrier
	buffer_gl0_inv
	v_mov_b32_e32 v142, 12
	ds_write2_b64 v134, v[82:83], v[84:85] offset1:1
	s_waitcnt lgkmcnt(0)
	s_barrier
	buffer_gl0_inv
	ds_read2_b64 v[134:137], v1 offset0:24 offset1:25
	s_cmp_lt_i32 s18, 14
	s_cbranch_scc1 .LBB64_254
; %bb.252:
	v_add3_u32 v143, v144, 0, 0xd0
	v_mov_b32_e32 v142, 12
	s_mov_b32 s1, 13
	s_inst_prefetch 0x1
	.p2align	6
.LBB64_253:                             ; =>This Inner Loop Header: Depth=1
	s_waitcnt lgkmcnt(0)
	v_cmp_gt_f64_e32 vcc_lo, 0, v[136:137]
	v_cmp_gt_f64_e64 s0, 0, v[134:135]
	ds_read2_b64 v[149:152], v143 offset1:1
	v_xor_b32_e32 v154, 0x80000000, v135
	v_xor_b32_e32 v156, 0x80000000, v137
	v_mov_b32_e32 v153, v134
	v_mov_b32_e32 v155, v136
	v_add_nc_u32_e32 v143, 16, v143
	s_waitcnt lgkmcnt(0)
	v_xor_b32_e32 v158, 0x80000000, v152
	v_cndmask_b32_e64 v154, v135, v154, s0
	v_cndmask_b32_e32 v156, v137, v156, vcc_lo
	v_cmp_gt_f64_e32 vcc_lo, 0, v[151:152]
	v_cmp_gt_f64_e64 s0, 0, v[149:150]
	v_mov_b32_e32 v157, v151
	v_add_f64 v[153:154], v[153:154], v[155:156]
	v_xor_b32_e32 v156, 0x80000000, v150
	v_mov_b32_e32 v155, v149
	v_cndmask_b32_e32 v158, v152, v158, vcc_lo
	v_cndmask_b32_e64 v156, v150, v156, s0
	v_add_f64 v[155:156], v[155:156], v[157:158]
	v_cmp_lt_f64_e32 vcc_lo, v[153:154], v[155:156]
	v_cndmask_b32_e32 v135, v135, v150, vcc_lo
	v_cndmask_b32_e32 v134, v134, v149, vcc_lo
	;; [unrolled: 1-line block ×4, first 2 shown]
	v_cndmask_b32_e64 v142, v142, s1, vcc_lo
	s_add_i32 s1, s1, 1
	s_cmp_lg_u32 s18, s1
	s_cbranch_scc1 .LBB64_253
.LBB64_254:
	s_inst_prefetch 0x2
	s_waitcnt lgkmcnt(0)
	v_cmp_eq_f64_e32 vcc_lo, 0, v[134:135]
	v_cmp_eq_f64_e64 s0, 0, v[136:137]
	s_and_b32 s0, vcc_lo, s0
	s_and_saveexec_b32 s1, s0
	s_xor_b32 s0, exec_lo, s1
; %bb.255:
	v_cmp_ne_u32_e32 vcc_lo, 0, v147
	v_cndmask_b32_e32 v147, 13, v147, vcc_lo
; %bb.256:
	s_andn2_saveexec_b32 s0, s0
	s_cbranch_execz .LBB64_262
; %bb.257:
	v_cmp_ngt_f64_e64 s1, |v[134:135]|, |v[136:137]|
	s_and_saveexec_b32 s2, s1
	s_xor_b32 s1, exec_lo, s2
	s_cbranch_execz .LBB64_259
; %bb.258:
	v_div_scale_f64 v[149:150], null, v[136:137], v[136:137], v[134:135]
	v_div_scale_f64 v[155:156], vcc_lo, v[134:135], v[136:137], v[134:135]
	v_rcp_f64_e32 v[151:152], v[149:150]
	v_fma_f64 v[153:154], -v[149:150], v[151:152], 1.0
	v_fma_f64 v[151:152], v[151:152], v[153:154], v[151:152]
	v_fma_f64 v[153:154], -v[149:150], v[151:152], 1.0
	v_fma_f64 v[151:152], v[151:152], v[153:154], v[151:152]
	v_mul_f64 v[153:154], v[155:156], v[151:152]
	v_fma_f64 v[149:150], -v[149:150], v[153:154], v[155:156]
	v_div_fmas_f64 v[149:150], v[149:150], v[151:152], v[153:154]
	v_div_fixup_f64 v[149:150], v[149:150], v[136:137], v[134:135]
	v_fma_f64 v[134:135], v[134:135], v[149:150], v[136:137]
	v_div_scale_f64 v[136:137], null, v[134:135], v[134:135], 1.0
	v_rcp_f64_e32 v[151:152], v[136:137]
	v_fma_f64 v[153:154], -v[136:137], v[151:152], 1.0
	v_fma_f64 v[151:152], v[151:152], v[153:154], v[151:152]
	v_fma_f64 v[153:154], -v[136:137], v[151:152], 1.0
	v_fma_f64 v[151:152], v[151:152], v[153:154], v[151:152]
	v_div_scale_f64 v[153:154], vcc_lo, 1.0, v[134:135], 1.0
	v_mul_f64 v[155:156], v[153:154], v[151:152]
	v_fma_f64 v[136:137], -v[136:137], v[155:156], v[153:154]
	v_div_fmas_f64 v[136:137], v[136:137], v[151:152], v[155:156]
	v_div_fixup_f64 v[136:137], v[136:137], v[134:135], 1.0
	v_mul_f64 v[134:135], v[149:150], v[136:137]
	v_xor_b32_e32 v137, 0x80000000, v137
.LBB64_259:
	s_andn2_saveexec_b32 s1, s1
	s_cbranch_execz .LBB64_261
; %bb.260:
	v_div_scale_f64 v[149:150], null, v[134:135], v[134:135], v[136:137]
	v_div_scale_f64 v[155:156], vcc_lo, v[136:137], v[134:135], v[136:137]
	v_rcp_f64_e32 v[151:152], v[149:150]
	v_fma_f64 v[153:154], -v[149:150], v[151:152], 1.0
	v_fma_f64 v[151:152], v[151:152], v[153:154], v[151:152]
	v_fma_f64 v[153:154], -v[149:150], v[151:152], 1.0
	v_fma_f64 v[151:152], v[151:152], v[153:154], v[151:152]
	v_mul_f64 v[153:154], v[155:156], v[151:152]
	v_fma_f64 v[149:150], -v[149:150], v[153:154], v[155:156]
	v_div_fmas_f64 v[149:150], v[149:150], v[151:152], v[153:154]
	v_div_fixup_f64 v[149:150], v[149:150], v[134:135], v[136:137]
	v_fma_f64 v[134:135], v[136:137], v[149:150], v[134:135]
	v_div_scale_f64 v[136:137], null, v[134:135], v[134:135], 1.0
	v_rcp_f64_e32 v[151:152], v[136:137]
	v_fma_f64 v[153:154], -v[136:137], v[151:152], 1.0
	v_fma_f64 v[151:152], v[151:152], v[153:154], v[151:152]
	v_fma_f64 v[153:154], -v[136:137], v[151:152], 1.0
	v_fma_f64 v[151:152], v[151:152], v[153:154], v[151:152]
	v_div_scale_f64 v[153:154], vcc_lo, 1.0, v[134:135], 1.0
	v_mul_f64 v[155:156], v[153:154], v[151:152]
	v_fma_f64 v[136:137], -v[136:137], v[155:156], v[153:154]
	v_div_fmas_f64 v[136:137], v[136:137], v[151:152], v[155:156]
	v_div_fixup_f64 v[134:135], v[136:137], v[134:135], 1.0
	v_mul_f64 v[136:137], v[149:150], -v[134:135]
.LBB64_261:
	s_or_b32 exec_lo, exec_lo, s1
.LBB64_262:
	s_or_b32 exec_lo, exec_lo, s0
	s_mov_b32 s0, exec_lo
	v_cmpx_ne_u32_e64 v148, v142
	s_xor_b32 s0, exec_lo, s0
	s_cbranch_execz .LBB64_268
; %bb.263:
	s_mov_b32 s1, exec_lo
	v_cmpx_eq_u32_e32 12, v148
	s_cbranch_execz .LBB64_267
; %bb.264:
	v_cmp_ne_u32_e32 vcc_lo, 12, v142
	s_xor_b32 s2, s16, -1
	s_and_b32 s3, s2, vcc_lo
	s_and_saveexec_b32 s2, s3
	s_cbranch_execz .LBB64_266
; %bb.265:
	v_ashrrev_i32_e32 v143, 31, v142
	v_lshlrev_b64 v[148:149], 2, v[142:143]
	v_add_co_u32 v148, vcc_lo, v140, v148
	v_add_co_ci_u32_e64 v149, null, v141, v149, vcc_lo
	s_clause 0x1
	global_load_dword v0, v[148:149], off
	global_load_dword v143, v[140:141], off offset:48
	s_waitcnt vmcnt(1)
	global_store_dword v[140:141], v0, off offset:48
	s_waitcnt vmcnt(0)
	global_store_dword v[148:149], v143, off
.LBB64_266:
	s_or_b32 exec_lo, exec_lo, s2
	v_mov_b32_e32 v148, v142
	v_mov_b32_e32 v0, v142
.LBB64_267:
	s_or_b32 exec_lo, exec_lo, s1
.LBB64_268:
	s_andn2_saveexec_b32 s0, s0
	s_cbranch_execz .LBB64_270
; %bb.269:
	v_mov_b32_e32 v148, 12
	ds_write2_b64 v1, v[78:79], v[80:81] offset0:26 offset1:27
	ds_write2_b64 v1, v[74:75], v[76:77] offset0:28 offset1:29
	;; [unrolled: 1-line block ×20, first 2 shown]
.LBB64_270:
	s_or_b32 exec_lo, exec_lo, s0
	s_mov_b32 s0, exec_lo
	s_waitcnt lgkmcnt(0)
	s_waitcnt_vscnt null, 0x0
	s_barrier
	buffer_gl0_inv
	v_cmpx_lt_i32_e32 12, v148
	s_cbranch_execz .LBB64_272
; %bb.271:
	v_mul_f64 v[142:143], v[136:137], v[84:85]
	v_mul_f64 v[84:85], v[134:135], v[84:85]
	v_fma_f64 v[142:143], v[134:135], v[82:83], -v[142:143]
	v_fma_f64 v[84:85], v[136:137], v[82:83], v[84:85]
	ds_read2_b64 v[134:137], v1 offset0:26 offset1:27
	s_waitcnt lgkmcnt(0)
	v_mul_f64 v[82:83], v[136:137], v[84:85]
	v_fma_f64 v[82:83], v[134:135], v[142:143], -v[82:83]
	v_mul_f64 v[134:135], v[134:135], v[84:85]
	v_add_f64 v[78:79], v[78:79], -v[82:83]
	v_fma_f64 v[134:135], v[136:137], v[142:143], v[134:135]
	v_add_f64 v[80:81], v[80:81], -v[134:135]
	ds_read2_b64 v[134:137], v1 offset0:28 offset1:29
	s_waitcnt lgkmcnt(0)
	v_mul_f64 v[82:83], v[136:137], v[84:85]
	v_fma_f64 v[82:83], v[134:135], v[142:143], -v[82:83]
	v_mul_f64 v[134:135], v[134:135], v[84:85]
	v_add_f64 v[74:75], v[74:75], -v[82:83]
	v_fma_f64 v[134:135], v[136:137], v[142:143], v[134:135]
	v_add_f64 v[76:77], v[76:77], -v[134:135]
	;; [unrolled: 8-line block ×19, first 2 shown]
	ds_read2_b64 v[134:137], v1 offset0:64 offset1:65
	s_waitcnt lgkmcnt(0)
	v_mul_f64 v[82:83], v[136:137], v[84:85]
	v_fma_f64 v[82:83], v[134:135], v[142:143], -v[82:83]
	v_mul_f64 v[134:135], v[134:135], v[84:85]
	v_add_f64 v[2:3], v[2:3], -v[82:83]
	v_fma_f64 v[134:135], v[136:137], v[142:143], v[134:135]
	v_mov_b32_e32 v82, v142
	v_mov_b32_e32 v83, v143
	v_add_f64 v[4:5], v[4:5], -v[134:135]
.LBB64_272:
	s_or_b32 exec_lo, exec_lo, s0
	v_lshl_add_u32 v134, v148, 4, v1
	s_barrier
	buffer_gl0_inv
	v_mov_b32_e32 v142, 13
	ds_write2_b64 v134, v[78:79], v[80:81] offset1:1
	s_waitcnt lgkmcnt(0)
	s_barrier
	buffer_gl0_inv
	ds_read2_b64 v[134:137], v1 offset0:26 offset1:27
	s_cmp_lt_i32 s18, 15
	s_cbranch_scc1 .LBB64_275
; %bb.273:
	v_add3_u32 v143, v144, 0, 0xe0
	v_mov_b32_e32 v142, 13
	s_mov_b32 s1, 14
	s_inst_prefetch 0x1
	.p2align	6
.LBB64_274:                             ; =>This Inner Loop Header: Depth=1
	s_waitcnt lgkmcnt(0)
	v_cmp_gt_f64_e32 vcc_lo, 0, v[136:137]
	v_cmp_gt_f64_e64 s0, 0, v[134:135]
	ds_read2_b64 v[149:152], v143 offset1:1
	v_xor_b32_e32 v154, 0x80000000, v135
	v_xor_b32_e32 v156, 0x80000000, v137
	v_mov_b32_e32 v153, v134
	v_mov_b32_e32 v155, v136
	v_add_nc_u32_e32 v143, 16, v143
	s_waitcnt lgkmcnt(0)
	v_xor_b32_e32 v158, 0x80000000, v152
	v_cndmask_b32_e64 v154, v135, v154, s0
	v_cndmask_b32_e32 v156, v137, v156, vcc_lo
	v_cmp_gt_f64_e32 vcc_lo, 0, v[151:152]
	v_cmp_gt_f64_e64 s0, 0, v[149:150]
	v_mov_b32_e32 v157, v151
	v_add_f64 v[153:154], v[153:154], v[155:156]
	v_xor_b32_e32 v156, 0x80000000, v150
	v_mov_b32_e32 v155, v149
	v_cndmask_b32_e32 v158, v152, v158, vcc_lo
	v_cndmask_b32_e64 v156, v150, v156, s0
	v_add_f64 v[155:156], v[155:156], v[157:158]
	v_cmp_lt_f64_e32 vcc_lo, v[153:154], v[155:156]
	v_cndmask_b32_e32 v135, v135, v150, vcc_lo
	v_cndmask_b32_e32 v134, v134, v149, vcc_lo
	;; [unrolled: 1-line block ×4, first 2 shown]
	v_cndmask_b32_e64 v142, v142, s1, vcc_lo
	s_add_i32 s1, s1, 1
	s_cmp_lg_u32 s18, s1
	s_cbranch_scc1 .LBB64_274
.LBB64_275:
	s_inst_prefetch 0x2
	s_waitcnt lgkmcnt(0)
	v_cmp_eq_f64_e32 vcc_lo, 0, v[134:135]
	v_cmp_eq_f64_e64 s0, 0, v[136:137]
	s_and_b32 s0, vcc_lo, s0
	s_and_saveexec_b32 s1, s0
	s_xor_b32 s0, exec_lo, s1
; %bb.276:
	v_cmp_ne_u32_e32 vcc_lo, 0, v147
	v_cndmask_b32_e32 v147, 14, v147, vcc_lo
; %bb.277:
	s_andn2_saveexec_b32 s0, s0
	s_cbranch_execz .LBB64_283
; %bb.278:
	v_cmp_ngt_f64_e64 s1, |v[134:135]|, |v[136:137]|
	s_and_saveexec_b32 s2, s1
	s_xor_b32 s1, exec_lo, s2
	s_cbranch_execz .LBB64_280
; %bb.279:
	v_div_scale_f64 v[149:150], null, v[136:137], v[136:137], v[134:135]
	v_div_scale_f64 v[155:156], vcc_lo, v[134:135], v[136:137], v[134:135]
	v_rcp_f64_e32 v[151:152], v[149:150]
	v_fma_f64 v[153:154], -v[149:150], v[151:152], 1.0
	v_fma_f64 v[151:152], v[151:152], v[153:154], v[151:152]
	v_fma_f64 v[153:154], -v[149:150], v[151:152], 1.0
	v_fma_f64 v[151:152], v[151:152], v[153:154], v[151:152]
	v_mul_f64 v[153:154], v[155:156], v[151:152]
	v_fma_f64 v[149:150], -v[149:150], v[153:154], v[155:156]
	v_div_fmas_f64 v[149:150], v[149:150], v[151:152], v[153:154]
	v_div_fixup_f64 v[149:150], v[149:150], v[136:137], v[134:135]
	v_fma_f64 v[134:135], v[134:135], v[149:150], v[136:137]
	v_div_scale_f64 v[136:137], null, v[134:135], v[134:135], 1.0
	v_rcp_f64_e32 v[151:152], v[136:137]
	v_fma_f64 v[153:154], -v[136:137], v[151:152], 1.0
	v_fma_f64 v[151:152], v[151:152], v[153:154], v[151:152]
	v_fma_f64 v[153:154], -v[136:137], v[151:152], 1.0
	v_fma_f64 v[151:152], v[151:152], v[153:154], v[151:152]
	v_div_scale_f64 v[153:154], vcc_lo, 1.0, v[134:135], 1.0
	v_mul_f64 v[155:156], v[153:154], v[151:152]
	v_fma_f64 v[136:137], -v[136:137], v[155:156], v[153:154]
	v_div_fmas_f64 v[136:137], v[136:137], v[151:152], v[155:156]
	v_div_fixup_f64 v[136:137], v[136:137], v[134:135], 1.0
	v_mul_f64 v[134:135], v[149:150], v[136:137]
	v_xor_b32_e32 v137, 0x80000000, v137
.LBB64_280:
	s_andn2_saveexec_b32 s1, s1
	s_cbranch_execz .LBB64_282
; %bb.281:
	v_div_scale_f64 v[149:150], null, v[134:135], v[134:135], v[136:137]
	v_div_scale_f64 v[155:156], vcc_lo, v[136:137], v[134:135], v[136:137]
	v_rcp_f64_e32 v[151:152], v[149:150]
	v_fma_f64 v[153:154], -v[149:150], v[151:152], 1.0
	v_fma_f64 v[151:152], v[151:152], v[153:154], v[151:152]
	v_fma_f64 v[153:154], -v[149:150], v[151:152], 1.0
	v_fma_f64 v[151:152], v[151:152], v[153:154], v[151:152]
	v_mul_f64 v[153:154], v[155:156], v[151:152]
	v_fma_f64 v[149:150], -v[149:150], v[153:154], v[155:156]
	v_div_fmas_f64 v[149:150], v[149:150], v[151:152], v[153:154]
	v_div_fixup_f64 v[149:150], v[149:150], v[134:135], v[136:137]
	v_fma_f64 v[134:135], v[136:137], v[149:150], v[134:135]
	v_div_scale_f64 v[136:137], null, v[134:135], v[134:135], 1.0
	v_rcp_f64_e32 v[151:152], v[136:137]
	v_fma_f64 v[153:154], -v[136:137], v[151:152], 1.0
	v_fma_f64 v[151:152], v[151:152], v[153:154], v[151:152]
	v_fma_f64 v[153:154], -v[136:137], v[151:152], 1.0
	v_fma_f64 v[151:152], v[151:152], v[153:154], v[151:152]
	v_div_scale_f64 v[153:154], vcc_lo, 1.0, v[134:135], 1.0
	v_mul_f64 v[155:156], v[153:154], v[151:152]
	v_fma_f64 v[136:137], -v[136:137], v[155:156], v[153:154]
	v_div_fmas_f64 v[136:137], v[136:137], v[151:152], v[155:156]
	v_div_fixup_f64 v[134:135], v[136:137], v[134:135], 1.0
	v_mul_f64 v[136:137], v[149:150], -v[134:135]
.LBB64_282:
	s_or_b32 exec_lo, exec_lo, s1
.LBB64_283:
	s_or_b32 exec_lo, exec_lo, s0
	s_mov_b32 s0, exec_lo
	v_cmpx_ne_u32_e64 v148, v142
	s_xor_b32 s0, exec_lo, s0
	s_cbranch_execz .LBB64_289
; %bb.284:
	s_mov_b32 s1, exec_lo
	v_cmpx_eq_u32_e32 13, v148
	s_cbranch_execz .LBB64_288
; %bb.285:
	v_cmp_ne_u32_e32 vcc_lo, 13, v142
	s_xor_b32 s2, s16, -1
	s_and_b32 s3, s2, vcc_lo
	s_and_saveexec_b32 s2, s3
	s_cbranch_execz .LBB64_287
; %bb.286:
	v_ashrrev_i32_e32 v143, 31, v142
	v_lshlrev_b64 v[148:149], 2, v[142:143]
	v_add_co_u32 v148, vcc_lo, v140, v148
	v_add_co_ci_u32_e64 v149, null, v141, v149, vcc_lo
	s_clause 0x1
	global_load_dword v0, v[148:149], off
	global_load_dword v143, v[140:141], off offset:52
	s_waitcnt vmcnt(1)
	global_store_dword v[140:141], v0, off offset:52
	s_waitcnt vmcnt(0)
	global_store_dword v[148:149], v143, off
.LBB64_287:
	s_or_b32 exec_lo, exec_lo, s2
	v_mov_b32_e32 v148, v142
	v_mov_b32_e32 v0, v142
.LBB64_288:
	s_or_b32 exec_lo, exec_lo, s1
.LBB64_289:
	s_andn2_saveexec_b32 s0, s0
	s_cbranch_execz .LBB64_291
; %bb.290:
	v_mov_b32_e32 v148, 13
	ds_write2_b64 v1, v[74:75], v[76:77] offset0:28 offset1:29
	ds_write2_b64 v1, v[70:71], v[72:73] offset0:30 offset1:31
	;; [unrolled: 1-line block ×19, first 2 shown]
.LBB64_291:
	s_or_b32 exec_lo, exec_lo, s0
	s_mov_b32 s0, exec_lo
	s_waitcnt lgkmcnt(0)
	s_waitcnt_vscnt null, 0x0
	s_barrier
	buffer_gl0_inv
	v_cmpx_lt_i32_e32 13, v148
	s_cbranch_execz .LBB64_293
; %bb.292:
	v_mul_f64 v[142:143], v[136:137], v[80:81]
	v_mul_f64 v[80:81], v[134:135], v[80:81]
	v_fma_f64 v[142:143], v[134:135], v[78:79], -v[142:143]
	v_fma_f64 v[80:81], v[136:137], v[78:79], v[80:81]
	ds_read2_b64 v[134:137], v1 offset0:28 offset1:29
	s_waitcnt lgkmcnt(0)
	v_mul_f64 v[78:79], v[136:137], v[80:81]
	v_fma_f64 v[78:79], v[134:135], v[142:143], -v[78:79]
	v_mul_f64 v[134:135], v[134:135], v[80:81]
	v_add_f64 v[74:75], v[74:75], -v[78:79]
	v_fma_f64 v[134:135], v[136:137], v[142:143], v[134:135]
	v_add_f64 v[76:77], v[76:77], -v[134:135]
	ds_read2_b64 v[134:137], v1 offset0:30 offset1:31
	s_waitcnt lgkmcnt(0)
	v_mul_f64 v[78:79], v[136:137], v[80:81]
	v_fma_f64 v[78:79], v[134:135], v[142:143], -v[78:79]
	v_mul_f64 v[134:135], v[134:135], v[80:81]
	v_add_f64 v[70:71], v[70:71], -v[78:79]
	v_fma_f64 v[134:135], v[136:137], v[142:143], v[134:135]
	v_add_f64 v[72:73], v[72:73], -v[134:135]
	;; [unrolled: 8-line block ×18, first 2 shown]
	ds_read2_b64 v[134:137], v1 offset0:64 offset1:65
	s_waitcnt lgkmcnt(0)
	v_mul_f64 v[78:79], v[136:137], v[80:81]
	v_fma_f64 v[78:79], v[134:135], v[142:143], -v[78:79]
	v_mul_f64 v[134:135], v[134:135], v[80:81]
	v_add_f64 v[2:3], v[2:3], -v[78:79]
	v_fma_f64 v[134:135], v[136:137], v[142:143], v[134:135]
	v_mov_b32_e32 v78, v142
	v_mov_b32_e32 v79, v143
	v_add_f64 v[4:5], v[4:5], -v[134:135]
.LBB64_293:
	s_or_b32 exec_lo, exec_lo, s0
	v_lshl_add_u32 v134, v148, 4, v1
	s_barrier
	buffer_gl0_inv
	v_mov_b32_e32 v142, 14
	ds_write2_b64 v134, v[74:75], v[76:77] offset1:1
	s_waitcnt lgkmcnt(0)
	s_barrier
	buffer_gl0_inv
	ds_read2_b64 v[134:137], v1 offset0:28 offset1:29
	s_cmp_lt_i32 s18, 16
	s_cbranch_scc1 .LBB64_296
; %bb.294:
	v_add3_u32 v143, v144, 0, 0xf0
	v_mov_b32_e32 v142, 14
	s_mov_b32 s1, 15
	s_inst_prefetch 0x1
	.p2align	6
.LBB64_295:                             ; =>This Inner Loop Header: Depth=1
	s_waitcnt lgkmcnt(0)
	v_cmp_gt_f64_e32 vcc_lo, 0, v[136:137]
	v_cmp_gt_f64_e64 s0, 0, v[134:135]
	ds_read2_b64 v[149:152], v143 offset1:1
	v_xor_b32_e32 v154, 0x80000000, v135
	v_xor_b32_e32 v156, 0x80000000, v137
	v_mov_b32_e32 v153, v134
	v_mov_b32_e32 v155, v136
	v_add_nc_u32_e32 v143, 16, v143
	s_waitcnt lgkmcnt(0)
	v_xor_b32_e32 v158, 0x80000000, v152
	v_cndmask_b32_e64 v154, v135, v154, s0
	v_cndmask_b32_e32 v156, v137, v156, vcc_lo
	v_cmp_gt_f64_e32 vcc_lo, 0, v[151:152]
	v_cmp_gt_f64_e64 s0, 0, v[149:150]
	v_mov_b32_e32 v157, v151
	v_add_f64 v[153:154], v[153:154], v[155:156]
	v_xor_b32_e32 v156, 0x80000000, v150
	v_mov_b32_e32 v155, v149
	v_cndmask_b32_e32 v158, v152, v158, vcc_lo
	v_cndmask_b32_e64 v156, v150, v156, s0
	v_add_f64 v[155:156], v[155:156], v[157:158]
	v_cmp_lt_f64_e32 vcc_lo, v[153:154], v[155:156]
	v_cndmask_b32_e32 v135, v135, v150, vcc_lo
	v_cndmask_b32_e32 v134, v134, v149, vcc_lo
	;; [unrolled: 1-line block ×4, first 2 shown]
	v_cndmask_b32_e64 v142, v142, s1, vcc_lo
	s_add_i32 s1, s1, 1
	s_cmp_lg_u32 s18, s1
	s_cbranch_scc1 .LBB64_295
.LBB64_296:
	s_inst_prefetch 0x2
	s_waitcnt lgkmcnt(0)
	v_cmp_eq_f64_e32 vcc_lo, 0, v[134:135]
	v_cmp_eq_f64_e64 s0, 0, v[136:137]
	s_and_b32 s0, vcc_lo, s0
	s_and_saveexec_b32 s1, s0
	s_xor_b32 s0, exec_lo, s1
; %bb.297:
	v_cmp_ne_u32_e32 vcc_lo, 0, v147
	v_cndmask_b32_e32 v147, 15, v147, vcc_lo
; %bb.298:
	s_andn2_saveexec_b32 s0, s0
	s_cbranch_execz .LBB64_304
; %bb.299:
	v_cmp_ngt_f64_e64 s1, |v[134:135]|, |v[136:137]|
	s_and_saveexec_b32 s2, s1
	s_xor_b32 s1, exec_lo, s2
	s_cbranch_execz .LBB64_301
; %bb.300:
	v_div_scale_f64 v[149:150], null, v[136:137], v[136:137], v[134:135]
	v_div_scale_f64 v[155:156], vcc_lo, v[134:135], v[136:137], v[134:135]
	v_rcp_f64_e32 v[151:152], v[149:150]
	v_fma_f64 v[153:154], -v[149:150], v[151:152], 1.0
	v_fma_f64 v[151:152], v[151:152], v[153:154], v[151:152]
	v_fma_f64 v[153:154], -v[149:150], v[151:152], 1.0
	v_fma_f64 v[151:152], v[151:152], v[153:154], v[151:152]
	v_mul_f64 v[153:154], v[155:156], v[151:152]
	v_fma_f64 v[149:150], -v[149:150], v[153:154], v[155:156]
	v_div_fmas_f64 v[149:150], v[149:150], v[151:152], v[153:154]
	v_div_fixup_f64 v[149:150], v[149:150], v[136:137], v[134:135]
	v_fma_f64 v[134:135], v[134:135], v[149:150], v[136:137]
	v_div_scale_f64 v[136:137], null, v[134:135], v[134:135], 1.0
	v_rcp_f64_e32 v[151:152], v[136:137]
	v_fma_f64 v[153:154], -v[136:137], v[151:152], 1.0
	v_fma_f64 v[151:152], v[151:152], v[153:154], v[151:152]
	v_fma_f64 v[153:154], -v[136:137], v[151:152], 1.0
	v_fma_f64 v[151:152], v[151:152], v[153:154], v[151:152]
	v_div_scale_f64 v[153:154], vcc_lo, 1.0, v[134:135], 1.0
	v_mul_f64 v[155:156], v[153:154], v[151:152]
	v_fma_f64 v[136:137], -v[136:137], v[155:156], v[153:154]
	v_div_fmas_f64 v[136:137], v[136:137], v[151:152], v[155:156]
	v_div_fixup_f64 v[136:137], v[136:137], v[134:135], 1.0
	v_mul_f64 v[134:135], v[149:150], v[136:137]
	v_xor_b32_e32 v137, 0x80000000, v137
.LBB64_301:
	s_andn2_saveexec_b32 s1, s1
	s_cbranch_execz .LBB64_303
; %bb.302:
	v_div_scale_f64 v[149:150], null, v[134:135], v[134:135], v[136:137]
	v_div_scale_f64 v[155:156], vcc_lo, v[136:137], v[134:135], v[136:137]
	v_rcp_f64_e32 v[151:152], v[149:150]
	v_fma_f64 v[153:154], -v[149:150], v[151:152], 1.0
	v_fma_f64 v[151:152], v[151:152], v[153:154], v[151:152]
	v_fma_f64 v[153:154], -v[149:150], v[151:152], 1.0
	v_fma_f64 v[151:152], v[151:152], v[153:154], v[151:152]
	v_mul_f64 v[153:154], v[155:156], v[151:152]
	v_fma_f64 v[149:150], -v[149:150], v[153:154], v[155:156]
	v_div_fmas_f64 v[149:150], v[149:150], v[151:152], v[153:154]
	v_div_fixup_f64 v[149:150], v[149:150], v[134:135], v[136:137]
	v_fma_f64 v[134:135], v[136:137], v[149:150], v[134:135]
	v_div_scale_f64 v[136:137], null, v[134:135], v[134:135], 1.0
	v_rcp_f64_e32 v[151:152], v[136:137]
	v_fma_f64 v[153:154], -v[136:137], v[151:152], 1.0
	v_fma_f64 v[151:152], v[151:152], v[153:154], v[151:152]
	v_fma_f64 v[153:154], -v[136:137], v[151:152], 1.0
	v_fma_f64 v[151:152], v[151:152], v[153:154], v[151:152]
	v_div_scale_f64 v[153:154], vcc_lo, 1.0, v[134:135], 1.0
	v_mul_f64 v[155:156], v[153:154], v[151:152]
	v_fma_f64 v[136:137], -v[136:137], v[155:156], v[153:154]
	v_div_fmas_f64 v[136:137], v[136:137], v[151:152], v[155:156]
	v_div_fixup_f64 v[134:135], v[136:137], v[134:135], 1.0
	v_mul_f64 v[136:137], v[149:150], -v[134:135]
.LBB64_303:
	s_or_b32 exec_lo, exec_lo, s1
.LBB64_304:
	s_or_b32 exec_lo, exec_lo, s0
	s_mov_b32 s0, exec_lo
	v_cmpx_ne_u32_e64 v148, v142
	s_xor_b32 s0, exec_lo, s0
	s_cbranch_execz .LBB64_310
; %bb.305:
	s_mov_b32 s1, exec_lo
	v_cmpx_eq_u32_e32 14, v148
	s_cbranch_execz .LBB64_309
; %bb.306:
	v_cmp_ne_u32_e32 vcc_lo, 14, v142
	s_xor_b32 s2, s16, -1
	s_and_b32 s3, s2, vcc_lo
	s_and_saveexec_b32 s2, s3
	s_cbranch_execz .LBB64_308
; %bb.307:
	v_ashrrev_i32_e32 v143, 31, v142
	v_lshlrev_b64 v[148:149], 2, v[142:143]
	v_add_co_u32 v148, vcc_lo, v140, v148
	v_add_co_ci_u32_e64 v149, null, v141, v149, vcc_lo
	s_clause 0x1
	global_load_dword v0, v[148:149], off
	global_load_dword v143, v[140:141], off offset:56
	s_waitcnt vmcnt(1)
	global_store_dword v[140:141], v0, off offset:56
	s_waitcnt vmcnt(0)
	global_store_dword v[148:149], v143, off
.LBB64_308:
	s_or_b32 exec_lo, exec_lo, s2
	v_mov_b32_e32 v148, v142
	v_mov_b32_e32 v0, v142
.LBB64_309:
	s_or_b32 exec_lo, exec_lo, s1
.LBB64_310:
	s_andn2_saveexec_b32 s0, s0
	s_cbranch_execz .LBB64_312
; %bb.311:
	v_mov_b32_e32 v148, 14
	ds_write2_b64 v1, v[70:71], v[72:73] offset0:30 offset1:31
	ds_write2_b64 v1, v[66:67], v[68:69] offset0:32 offset1:33
	;; [unrolled: 1-line block ×18, first 2 shown]
.LBB64_312:
	s_or_b32 exec_lo, exec_lo, s0
	s_mov_b32 s0, exec_lo
	s_waitcnt lgkmcnt(0)
	s_waitcnt_vscnt null, 0x0
	s_barrier
	buffer_gl0_inv
	v_cmpx_lt_i32_e32 14, v148
	s_cbranch_execz .LBB64_314
; %bb.313:
	v_mul_f64 v[142:143], v[136:137], v[76:77]
	v_mul_f64 v[76:77], v[134:135], v[76:77]
	v_fma_f64 v[142:143], v[134:135], v[74:75], -v[142:143]
	v_fma_f64 v[76:77], v[136:137], v[74:75], v[76:77]
	ds_read2_b64 v[134:137], v1 offset0:30 offset1:31
	s_waitcnt lgkmcnt(0)
	v_mul_f64 v[74:75], v[136:137], v[76:77]
	v_fma_f64 v[74:75], v[134:135], v[142:143], -v[74:75]
	v_mul_f64 v[134:135], v[134:135], v[76:77]
	v_add_f64 v[70:71], v[70:71], -v[74:75]
	v_fma_f64 v[134:135], v[136:137], v[142:143], v[134:135]
	v_add_f64 v[72:73], v[72:73], -v[134:135]
	ds_read2_b64 v[134:137], v1 offset0:32 offset1:33
	s_waitcnt lgkmcnt(0)
	v_mul_f64 v[74:75], v[136:137], v[76:77]
	v_fma_f64 v[74:75], v[134:135], v[142:143], -v[74:75]
	v_mul_f64 v[134:135], v[134:135], v[76:77]
	v_add_f64 v[66:67], v[66:67], -v[74:75]
	v_fma_f64 v[134:135], v[136:137], v[142:143], v[134:135]
	v_add_f64 v[68:69], v[68:69], -v[134:135]
	;; [unrolled: 8-line block ×17, first 2 shown]
	ds_read2_b64 v[134:137], v1 offset0:64 offset1:65
	s_waitcnt lgkmcnt(0)
	v_mul_f64 v[74:75], v[136:137], v[76:77]
	v_fma_f64 v[74:75], v[134:135], v[142:143], -v[74:75]
	v_mul_f64 v[134:135], v[134:135], v[76:77]
	v_add_f64 v[2:3], v[2:3], -v[74:75]
	v_fma_f64 v[134:135], v[136:137], v[142:143], v[134:135]
	v_mov_b32_e32 v74, v142
	v_mov_b32_e32 v75, v143
	v_add_f64 v[4:5], v[4:5], -v[134:135]
.LBB64_314:
	s_or_b32 exec_lo, exec_lo, s0
	v_lshl_add_u32 v134, v148, 4, v1
	s_barrier
	buffer_gl0_inv
	v_mov_b32_e32 v142, 15
	ds_write2_b64 v134, v[70:71], v[72:73] offset1:1
	s_waitcnt lgkmcnt(0)
	s_barrier
	buffer_gl0_inv
	ds_read2_b64 v[134:137], v1 offset0:30 offset1:31
	s_cmp_lt_i32 s18, 17
	s_cbranch_scc1 .LBB64_317
; %bb.315:
	v_add3_u32 v143, v144, 0, 0x100
	v_mov_b32_e32 v142, 15
	s_mov_b32 s1, 16
	s_inst_prefetch 0x1
	.p2align	6
.LBB64_316:                             ; =>This Inner Loop Header: Depth=1
	s_waitcnt lgkmcnt(0)
	v_cmp_gt_f64_e32 vcc_lo, 0, v[136:137]
	v_cmp_gt_f64_e64 s0, 0, v[134:135]
	ds_read2_b64 v[149:152], v143 offset1:1
	v_xor_b32_e32 v154, 0x80000000, v135
	v_xor_b32_e32 v156, 0x80000000, v137
	v_mov_b32_e32 v153, v134
	v_mov_b32_e32 v155, v136
	v_add_nc_u32_e32 v143, 16, v143
	s_waitcnt lgkmcnt(0)
	v_xor_b32_e32 v158, 0x80000000, v152
	v_cndmask_b32_e64 v154, v135, v154, s0
	v_cndmask_b32_e32 v156, v137, v156, vcc_lo
	v_cmp_gt_f64_e32 vcc_lo, 0, v[151:152]
	v_cmp_gt_f64_e64 s0, 0, v[149:150]
	v_mov_b32_e32 v157, v151
	v_add_f64 v[153:154], v[153:154], v[155:156]
	v_xor_b32_e32 v156, 0x80000000, v150
	v_mov_b32_e32 v155, v149
	v_cndmask_b32_e32 v158, v152, v158, vcc_lo
	v_cndmask_b32_e64 v156, v150, v156, s0
	v_add_f64 v[155:156], v[155:156], v[157:158]
	v_cmp_lt_f64_e32 vcc_lo, v[153:154], v[155:156]
	v_cndmask_b32_e32 v135, v135, v150, vcc_lo
	v_cndmask_b32_e32 v134, v134, v149, vcc_lo
	v_cndmask_b32_e32 v137, v137, v152, vcc_lo
	v_cndmask_b32_e32 v136, v136, v151, vcc_lo
	v_cndmask_b32_e64 v142, v142, s1, vcc_lo
	s_add_i32 s1, s1, 1
	s_cmp_lg_u32 s18, s1
	s_cbranch_scc1 .LBB64_316
.LBB64_317:
	s_inst_prefetch 0x2
	s_waitcnt lgkmcnt(0)
	v_cmp_eq_f64_e32 vcc_lo, 0, v[134:135]
	v_cmp_eq_f64_e64 s0, 0, v[136:137]
	s_and_b32 s0, vcc_lo, s0
	s_and_saveexec_b32 s1, s0
	s_xor_b32 s0, exec_lo, s1
; %bb.318:
	v_cmp_ne_u32_e32 vcc_lo, 0, v147
	v_cndmask_b32_e32 v147, 16, v147, vcc_lo
; %bb.319:
	s_andn2_saveexec_b32 s0, s0
	s_cbranch_execz .LBB64_325
; %bb.320:
	v_cmp_ngt_f64_e64 s1, |v[134:135]|, |v[136:137]|
	s_and_saveexec_b32 s2, s1
	s_xor_b32 s1, exec_lo, s2
	s_cbranch_execz .LBB64_322
; %bb.321:
	v_div_scale_f64 v[149:150], null, v[136:137], v[136:137], v[134:135]
	v_div_scale_f64 v[155:156], vcc_lo, v[134:135], v[136:137], v[134:135]
	v_rcp_f64_e32 v[151:152], v[149:150]
	v_fma_f64 v[153:154], -v[149:150], v[151:152], 1.0
	v_fma_f64 v[151:152], v[151:152], v[153:154], v[151:152]
	v_fma_f64 v[153:154], -v[149:150], v[151:152], 1.0
	v_fma_f64 v[151:152], v[151:152], v[153:154], v[151:152]
	v_mul_f64 v[153:154], v[155:156], v[151:152]
	v_fma_f64 v[149:150], -v[149:150], v[153:154], v[155:156]
	v_div_fmas_f64 v[149:150], v[149:150], v[151:152], v[153:154]
	v_div_fixup_f64 v[149:150], v[149:150], v[136:137], v[134:135]
	v_fma_f64 v[134:135], v[134:135], v[149:150], v[136:137]
	v_div_scale_f64 v[136:137], null, v[134:135], v[134:135], 1.0
	v_rcp_f64_e32 v[151:152], v[136:137]
	v_fma_f64 v[153:154], -v[136:137], v[151:152], 1.0
	v_fma_f64 v[151:152], v[151:152], v[153:154], v[151:152]
	v_fma_f64 v[153:154], -v[136:137], v[151:152], 1.0
	v_fma_f64 v[151:152], v[151:152], v[153:154], v[151:152]
	v_div_scale_f64 v[153:154], vcc_lo, 1.0, v[134:135], 1.0
	v_mul_f64 v[155:156], v[153:154], v[151:152]
	v_fma_f64 v[136:137], -v[136:137], v[155:156], v[153:154]
	v_div_fmas_f64 v[136:137], v[136:137], v[151:152], v[155:156]
	v_div_fixup_f64 v[136:137], v[136:137], v[134:135], 1.0
	v_mul_f64 v[134:135], v[149:150], v[136:137]
	v_xor_b32_e32 v137, 0x80000000, v137
.LBB64_322:
	s_andn2_saveexec_b32 s1, s1
	s_cbranch_execz .LBB64_324
; %bb.323:
	v_div_scale_f64 v[149:150], null, v[134:135], v[134:135], v[136:137]
	v_div_scale_f64 v[155:156], vcc_lo, v[136:137], v[134:135], v[136:137]
	v_rcp_f64_e32 v[151:152], v[149:150]
	v_fma_f64 v[153:154], -v[149:150], v[151:152], 1.0
	v_fma_f64 v[151:152], v[151:152], v[153:154], v[151:152]
	v_fma_f64 v[153:154], -v[149:150], v[151:152], 1.0
	v_fma_f64 v[151:152], v[151:152], v[153:154], v[151:152]
	v_mul_f64 v[153:154], v[155:156], v[151:152]
	v_fma_f64 v[149:150], -v[149:150], v[153:154], v[155:156]
	v_div_fmas_f64 v[149:150], v[149:150], v[151:152], v[153:154]
	v_div_fixup_f64 v[149:150], v[149:150], v[134:135], v[136:137]
	v_fma_f64 v[134:135], v[136:137], v[149:150], v[134:135]
	v_div_scale_f64 v[136:137], null, v[134:135], v[134:135], 1.0
	v_rcp_f64_e32 v[151:152], v[136:137]
	v_fma_f64 v[153:154], -v[136:137], v[151:152], 1.0
	v_fma_f64 v[151:152], v[151:152], v[153:154], v[151:152]
	v_fma_f64 v[153:154], -v[136:137], v[151:152], 1.0
	v_fma_f64 v[151:152], v[151:152], v[153:154], v[151:152]
	v_div_scale_f64 v[153:154], vcc_lo, 1.0, v[134:135], 1.0
	v_mul_f64 v[155:156], v[153:154], v[151:152]
	v_fma_f64 v[136:137], -v[136:137], v[155:156], v[153:154]
	v_div_fmas_f64 v[136:137], v[136:137], v[151:152], v[155:156]
	v_div_fixup_f64 v[134:135], v[136:137], v[134:135], 1.0
	v_mul_f64 v[136:137], v[149:150], -v[134:135]
.LBB64_324:
	s_or_b32 exec_lo, exec_lo, s1
.LBB64_325:
	s_or_b32 exec_lo, exec_lo, s0
	s_mov_b32 s0, exec_lo
	v_cmpx_ne_u32_e64 v148, v142
	s_xor_b32 s0, exec_lo, s0
	s_cbranch_execz .LBB64_331
; %bb.326:
	s_mov_b32 s1, exec_lo
	v_cmpx_eq_u32_e32 15, v148
	s_cbranch_execz .LBB64_330
; %bb.327:
	v_cmp_ne_u32_e32 vcc_lo, 15, v142
	s_xor_b32 s2, s16, -1
	s_and_b32 s3, s2, vcc_lo
	s_and_saveexec_b32 s2, s3
	s_cbranch_execz .LBB64_329
; %bb.328:
	v_ashrrev_i32_e32 v143, 31, v142
	v_lshlrev_b64 v[148:149], 2, v[142:143]
	v_add_co_u32 v148, vcc_lo, v140, v148
	v_add_co_ci_u32_e64 v149, null, v141, v149, vcc_lo
	s_clause 0x1
	global_load_dword v0, v[148:149], off
	global_load_dword v143, v[140:141], off offset:60
	s_waitcnt vmcnt(1)
	global_store_dword v[140:141], v0, off offset:60
	s_waitcnt vmcnt(0)
	global_store_dword v[148:149], v143, off
.LBB64_329:
	s_or_b32 exec_lo, exec_lo, s2
	v_mov_b32_e32 v148, v142
	v_mov_b32_e32 v0, v142
.LBB64_330:
	s_or_b32 exec_lo, exec_lo, s1
.LBB64_331:
	s_andn2_saveexec_b32 s0, s0
	s_cbranch_execz .LBB64_333
; %bb.332:
	v_mov_b32_e32 v148, 15
	ds_write2_b64 v1, v[66:67], v[68:69] offset0:32 offset1:33
	ds_write2_b64 v1, v[62:63], v[64:65] offset0:34 offset1:35
	;; [unrolled: 1-line block ×17, first 2 shown]
.LBB64_333:
	s_or_b32 exec_lo, exec_lo, s0
	s_mov_b32 s0, exec_lo
	s_waitcnt lgkmcnt(0)
	s_waitcnt_vscnt null, 0x0
	s_barrier
	buffer_gl0_inv
	v_cmpx_lt_i32_e32 15, v148
	s_cbranch_execz .LBB64_335
; %bb.334:
	v_mul_f64 v[142:143], v[136:137], v[72:73]
	v_mul_f64 v[72:73], v[134:135], v[72:73]
	v_fma_f64 v[142:143], v[134:135], v[70:71], -v[142:143]
	v_fma_f64 v[72:73], v[136:137], v[70:71], v[72:73]
	ds_read2_b64 v[134:137], v1 offset0:32 offset1:33
	s_waitcnt lgkmcnt(0)
	v_mul_f64 v[70:71], v[136:137], v[72:73]
	v_fma_f64 v[70:71], v[134:135], v[142:143], -v[70:71]
	v_mul_f64 v[134:135], v[134:135], v[72:73]
	v_add_f64 v[66:67], v[66:67], -v[70:71]
	v_fma_f64 v[134:135], v[136:137], v[142:143], v[134:135]
	v_add_f64 v[68:69], v[68:69], -v[134:135]
	ds_read2_b64 v[134:137], v1 offset0:34 offset1:35
	s_waitcnt lgkmcnt(0)
	v_mul_f64 v[70:71], v[136:137], v[72:73]
	v_fma_f64 v[70:71], v[134:135], v[142:143], -v[70:71]
	v_mul_f64 v[134:135], v[134:135], v[72:73]
	v_add_f64 v[62:63], v[62:63], -v[70:71]
	v_fma_f64 v[134:135], v[136:137], v[142:143], v[134:135]
	v_add_f64 v[64:65], v[64:65], -v[134:135]
	;; [unrolled: 8-line block ×16, first 2 shown]
	ds_read2_b64 v[134:137], v1 offset0:64 offset1:65
	s_waitcnt lgkmcnt(0)
	v_mul_f64 v[70:71], v[136:137], v[72:73]
	v_fma_f64 v[70:71], v[134:135], v[142:143], -v[70:71]
	v_mul_f64 v[134:135], v[134:135], v[72:73]
	v_add_f64 v[2:3], v[2:3], -v[70:71]
	v_fma_f64 v[134:135], v[136:137], v[142:143], v[134:135]
	v_mov_b32_e32 v70, v142
	v_mov_b32_e32 v71, v143
	v_add_f64 v[4:5], v[4:5], -v[134:135]
.LBB64_335:
	s_or_b32 exec_lo, exec_lo, s0
	v_lshl_add_u32 v134, v148, 4, v1
	s_barrier
	buffer_gl0_inv
	v_mov_b32_e32 v142, 16
	ds_write2_b64 v134, v[66:67], v[68:69] offset1:1
	s_waitcnt lgkmcnt(0)
	s_barrier
	buffer_gl0_inv
	ds_read2_b64 v[134:137], v1 offset0:32 offset1:33
	s_cmp_lt_i32 s18, 18
	s_cbranch_scc1 .LBB64_338
; %bb.336:
	v_add3_u32 v143, v144, 0, 0x110
	v_mov_b32_e32 v142, 16
	s_mov_b32 s1, 17
	s_inst_prefetch 0x1
	.p2align	6
.LBB64_337:                             ; =>This Inner Loop Header: Depth=1
	s_waitcnt lgkmcnt(0)
	v_cmp_gt_f64_e32 vcc_lo, 0, v[136:137]
	v_cmp_gt_f64_e64 s0, 0, v[134:135]
	ds_read2_b64 v[149:152], v143 offset1:1
	v_xor_b32_e32 v154, 0x80000000, v135
	v_xor_b32_e32 v156, 0x80000000, v137
	v_mov_b32_e32 v153, v134
	v_mov_b32_e32 v155, v136
	v_add_nc_u32_e32 v143, 16, v143
	s_waitcnt lgkmcnt(0)
	v_xor_b32_e32 v158, 0x80000000, v152
	v_cndmask_b32_e64 v154, v135, v154, s0
	v_cndmask_b32_e32 v156, v137, v156, vcc_lo
	v_cmp_gt_f64_e32 vcc_lo, 0, v[151:152]
	v_cmp_gt_f64_e64 s0, 0, v[149:150]
	v_mov_b32_e32 v157, v151
	v_add_f64 v[153:154], v[153:154], v[155:156]
	v_xor_b32_e32 v156, 0x80000000, v150
	v_mov_b32_e32 v155, v149
	v_cndmask_b32_e32 v158, v152, v158, vcc_lo
	v_cndmask_b32_e64 v156, v150, v156, s0
	v_add_f64 v[155:156], v[155:156], v[157:158]
	v_cmp_lt_f64_e32 vcc_lo, v[153:154], v[155:156]
	v_cndmask_b32_e32 v135, v135, v150, vcc_lo
	v_cndmask_b32_e32 v134, v134, v149, vcc_lo
	;; [unrolled: 1-line block ×4, first 2 shown]
	v_cndmask_b32_e64 v142, v142, s1, vcc_lo
	s_add_i32 s1, s1, 1
	s_cmp_lg_u32 s18, s1
	s_cbranch_scc1 .LBB64_337
.LBB64_338:
	s_inst_prefetch 0x2
	s_waitcnt lgkmcnt(0)
	v_cmp_eq_f64_e32 vcc_lo, 0, v[134:135]
	v_cmp_eq_f64_e64 s0, 0, v[136:137]
	s_and_b32 s0, vcc_lo, s0
	s_and_saveexec_b32 s1, s0
	s_xor_b32 s0, exec_lo, s1
; %bb.339:
	v_cmp_ne_u32_e32 vcc_lo, 0, v147
	v_cndmask_b32_e32 v147, 17, v147, vcc_lo
; %bb.340:
	s_andn2_saveexec_b32 s0, s0
	s_cbranch_execz .LBB64_346
; %bb.341:
	v_cmp_ngt_f64_e64 s1, |v[134:135]|, |v[136:137]|
	s_and_saveexec_b32 s2, s1
	s_xor_b32 s1, exec_lo, s2
	s_cbranch_execz .LBB64_343
; %bb.342:
	v_div_scale_f64 v[149:150], null, v[136:137], v[136:137], v[134:135]
	v_div_scale_f64 v[155:156], vcc_lo, v[134:135], v[136:137], v[134:135]
	v_rcp_f64_e32 v[151:152], v[149:150]
	v_fma_f64 v[153:154], -v[149:150], v[151:152], 1.0
	v_fma_f64 v[151:152], v[151:152], v[153:154], v[151:152]
	v_fma_f64 v[153:154], -v[149:150], v[151:152], 1.0
	v_fma_f64 v[151:152], v[151:152], v[153:154], v[151:152]
	v_mul_f64 v[153:154], v[155:156], v[151:152]
	v_fma_f64 v[149:150], -v[149:150], v[153:154], v[155:156]
	v_div_fmas_f64 v[149:150], v[149:150], v[151:152], v[153:154]
	v_div_fixup_f64 v[149:150], v[149:150], v[136:137], v[134:135]
	v_fma_f64 v[134:135], v[134:135], v[149:150], v[136:137]
	v_div_scale_f64 v[136:137], null, v[134:135], v[134:135], 1.0
	v_rcp_f64_e32 v[151:152], v[136:137]
	v_fma_f64 v[153:154], -v[136:137], v[151:152], 1.0
	v_fma_f64 v[151:152], v[151:152], v[153:154], v[151:152]
	v_fma_f64 v[153:154], -v[136:137], v[151:152], 1.0
	v_fma_f64 v[151:152], v[151:152], v[153:154], v[151:152]
	v_div_scale_f64 v[153:154], vcc_lo, 1.0, v[134:135], 1.0
	v_mul_f64 v[155:156], v[153:154], v[151:152]
	v_fma_f64 v[136:137], -v[136:137], v[155:156], v[153:154]
	v_div_fmas_f64 v[136:137], v[136:137], v[151:152], v[155:156]
	v_div_fixup_f64 v[136:137], v[136:137], v[134:135], 1.0
	v_mul_f64 v[134:135], v[149:150], v[136:137]
	v_xor_b32_e32 v137, 0x80000000, v137
.LBB64_343:
	s_andn2_saveexec_b32 s1, s1
	s_cbranch_execz .LBB64_345
; %bb.344:
	v_div_scale_f64 v[149:150], null, v[134:135], v[134:135], v[136:137]
	v_div_scale_f64 v[155:156], vcc_lo, v[136:137], v[134:135], v[136:137]
	v_rcp_f64_e32 v[151:152], v[149:150]
	v_fma_f64 v[153:154], -v[149:150], v[151:152], 1.0
	v_fma_f64 v[151:152], v[151:152], v[153:154], v[151:152]
	v_fma_f64 v[153:154], -v[149:150], v[151:152], 1.0
	v_fma_f64 v[151:152], v[151:152], v[153:154], v[151:152]
	v_mul_f64 v[153:154], v[155:156], v[151:152]
	v_fma_f64 v[149:150], -v[149:150], v[153:154], v[155:156]
	v_div_fmas_f64 v[149:150], v[149:150], v[151:152], v[153:154]
	v_div_fixup_f64 v[149:150], v[149:150], v[134:135], v[136:137]
	v_fma_f64 v[134:135], v[136:137], v[149:150], v[134:135]
	v_div_scale_f64 v[136:137], null, v[134:135], v[134:135], 1.0
	v_rcp_f64_e32 v[151:152], v[136:137]
	v_fma_f64 v[153:154], -v[136:137], v[151:152], 1.0
	v_fma_f64 v[151:152], v[151:152], v[153:154], v[151:152]
	v_fma_f64 v[153:154], -v[136:137], v[151:152], 1.0
	v_fma_f64 v[151:152], v[151:152], v[153:154], v[151:152]
	v_div_scale_f64 v[153:154], vcc_lo, 1.0, v[134:135], 1.0
	v_mul_f64 v[155:156], v[153:154], v[151:152]
	v_fma_f64 v[136:137], -v[136:137], v[155:156], v[153:154]
	v_div_fmas_f64 v[136:137], v[136:137], v[151:152], v[155:156]
	v_div_fixup_f64 v[134:135], v[136:137], v[134:135], 1.0
	v_mul_f64 v[136:137], v[149:150], -v[134:135]
.LBB64_345:
	s_or_b32 exec_lo, exec_lo, s1
.LBB64_346:
	s_or_b32 exec_lo, exec_lo, s0
	s_mov_b32 s0, exec_lo
	v_cmpx_ne_u32_e64 v148, v142
	s_xor_b32 s0, exec_lo, s0
	s_cbranch_execz .LBB64_352
; %bb.347:
	s_mov_b32 s1, exec_lo
	v_cmpx_eq_u32_e32 16, v148
	s_cbranch_execz .LBB64_351
; %bb.348:
	v_cmp_ne_u32_e32 vcc_lo, 16, v142
	s_xor_b32 s2, s16, -1
	s_and_b32 s3, s2, vcc_lo
	s_and_saveexec_b32 s2, s3
	s_cbranch_execz .LBB64_350
; %bb.349:
	v_ashrrev_i32_e32 v143, 31, v142
	v_lshlrev_b64 v[148:149], 2, v[142:143]
	v_add_co_u32 v148, vcc_lo, v140, v148
	v_add_co_ci_u32_e64 v149, null, v141, v149, vcc_lo
	s_clause 0x1
	global_load_dword v0, v[148:149], off
	global_load_dword v143, v[140:141], off offset:64
	s_waitcnt vmcnt(1)
	global_store_dword v[140:141], v0, off offset:64
	s_waitcnt vmcnt(0)
	global_store_dword v[148:149], v143, off
.LBB64_350:
	s_or_b32 exec_lo, exec_lo, s2
	v_mov_b32_e32 v148, v142
	v_mov_b32_e32 v0, v142
.LBB64_351:
	s_or_b32 exec_lo, exec_lo, s1
.LBB64_352:
	s_andn2_saveexec_b32 s0, s0
	s_cbranch_execz .LBB64_354
; %bb.353:
	v_mov_b32_e32 v148, 16
	ds_write2_b64 v1, v[62:63], v[64:65] offset0:34 offset1:35
	ds_write2_b64 v1, v[58:59], v[60:61] offset0:36 offset1:37
	;; [unrolled: 1-line block ×16, first 2 shown]
.LBB64_354:
	s_or_b32 exec_lo, exec_lo, s0
	s_mov_b32 s0, exec_lo
	s_waitcnt lgkmcnt(0)
	s_waitcnt_vscnt null, 0x0
	s_barrier
	buffer_gl0_inv
	v_cmpx_lt_i32_e32 16, v148
	s_cbranch_execz .LBB64_356
; %bb.355:
	v_mul_f64 v[142:143], v[134:135], v[68:69]
	v_mul_f64 v[68:69], v[136:137], v[68:69]
	v_fma_f64 v[142:143], v[136:137], v[66:67], v[142:143]
	v_fma_f64 v[66:67], v[134:135], v[66:67], -v[68:69]
	ds_read2_b64 v[134:137], v1 offset0:34 offset1:35
	s_waitcnt lgkmcnt(0)
	v_mul_f64 v[68:69], v[136:137], v[142:143]
	v_fma_f64 v[68:69], v[134:135], v[66:67], -v[68:69]
	v_mul_f64 v[134:135], v[134:135], v[142:143]
	v_add_f64 v[62:63], v[62:63], -v[68:69]
	v_fma_f64 v[134:135], v[136:137], v[66:67], v[134:135]
	v_add_f64 v[64:65], v[64:65], -v[134:135]
	ds_read2_b64 v[134:137], v1 offset0:36 offset1:37
	s_waitcnt lgkmcnt(0)
	v_mul_f64 v[68:69], v[136:137], v[142:143]
	v_fma_f64 v[68:69], v[134:135], v[66:67], -v[68:69]
	v_mul_f64 v[134:135], v[134:135], v[142:143]
	v_add_f64 v[58:59], v[58:59], -v[68:69]
	v_fma_f64 v[134:135], v[136:137], v[66:67], v[134:135]
	v_add_f64 v[60:61], v[60:61], -v[134:135]
	;; [unrolled: 8-line block ×15, first 2 shown]
	ds_read2_b64 v[134:137], v1 offset0:64 offset1:65
	s_waitcnt lgkmcnt(0)
	v_mul_f64 v[68:69], v[136:137], v[142:143]
	v_fma_f64 v[68:69], v[134:135], v[66:67], -v[68:69]
	v_mul_f64 v[134:135], v[134:135], v[142:143]
	v_add_f64 v[2:3], v[2:3], -v[68:69]
	v_fma_f64 v[134:135], v[136:137], v[66:67], v[134:135]
	v_mov_b32_e32 v68, v142
	v_mov_b32_e32 v69, v143
	v_add_f64 v[4:5], v[4:5], -v[134:135]
.LBB64_356:
	s_or_b32 exec_lo, exec_lo, s0
	v_lshl_add_u32 v134, v148, 4, v1
	s_barrier
	buffer_gl0_inv
	v_mov_b32_e32 v142, 17
	ds_write2_b64 v134, v[62:63], v[64:65] offset1:1
	s_waitcnt lgkmcnt(0)
	s_barrier
	buffer_gl0_inv
	ds_read2_b64 v[134:137], v1 offset0:34 offset1:35
	s_cmp_lt_i32 s18, 19
	s_cbranch_scc1 .LBB64_359
; %bb.357:
	v_add3_u32 v143, v144, 0, 0x120
	v_mov_b32_e32 v142, 17
	s_mov_b32 s1, 18
	s_inst_prefetch 0x1
	.p2align	6
.LBB64_358:                             ; =>This Inner Loop Header: Depth=1
	s_waitcnt lgkmcnt(0)
	v_cmp_gt_f64_e32 vcc_lo, 0, v[136:137]
	v_cmp_gt_f64_e64 s0, 0, v[134:135]
	ds_read2_b64 v[149:152], v143 offset1:1
	v_xor_b32_e32 v154, 0x80000000, v135
	v_xor_b32_e32 v156, 0x80000000, v137
	v_mov_b32_e32 v153, v134
	v_mov_b32_e32 v155, v136
	v_add_nc_u32_e32 v143, 16, v143
	s_waitcnt lgkmcnt(0)
	v_xor_b32_e32 v158, 0x80000000, v152
	v_cndmask_b32_e64 v154, v135, v154, s0
	v_cndmask_b32_e32 v156, v137, v156, vcc_lo
	v_cmp_gt_f64_e32 vcc_lo, 0, v[151:152]
	v_cmp_gt_f64_e64 s0, 0, v[149:150]
	v_mov_b32_e32 v157, v151
	v_add_f64 v[153:154], v[153:154], v[155:156]
	v_xor_b32_e32 v156, 0x80000000, v150
	v_mov_b32_e32 v155, v149
	v_cndmask_b32_e32 v158, v152, v158, vcc_lo
	v_cndmask_b32_e64 v156, v150, v156, s0
	v_add_f64 v[155:156], v[155:156], v[157:158]
	v_cmp_lt_f64_e32 vcc_lo, v[153:154], v[155:156]
	v_cndmask_b32_e32 v135, v135, v150, vcc_lo
	v_cndmask_b32_e32 v134, v134, v149, vcc_lo
	;; [unrolled: 1-line block ×4, first 2 shown]
	v_cndmask_b32_e64 v142, v142, s1, vcc_lo
	s_add_i32 s1, s1, 1
	s_cmp_lg_u32 s18, s1
	s_cbranch_scc1 .LBB64_358
.LBB64_359:
	s_inst_prefetch 0x2
	s_waitcnt lgkmcnt(0)
	v_cmp_eq_f64_e32 vcc_lo, 0, v[134:135]
	v_cmp_eq_f64_e64 s0, 0, v[136:137]
	s_and_b32 s0, vcc_lo, s0
	s_and_saveexec_b32 s1, s0
	s_xor_b32 s0, exec_lo, s1
; %bb.360:
	v_cmp_ne_u32_e32 vcc_lo, 0, v147
	v_cndmask_b32_e32 v147, 18, v147, vcc_lo
; %bb.361:
	s_andn2_saveexec_b32 s0, s0
	s_cbranch_execz .LBB64_367
; %bb.362:
	v_cmp_ngt_f64_e64 s1, |v[134:135]|, |v[136:137]|
	s_and_saveexec_b32 s2, s1
	s_xor_b32 s1, exec_lo, s2
	s_cbranch_execz .LBB64_364
; %bb.363:
	v_div_scale_f64 v[149:150], null, v[136:137], v[136:137], v[134:135]
	v_div_scale_f64 v[155:156], vcc_lo, v[134:135], v[136:137], v[134:135]
	v_rcp_f64_e32 v[151:152], v[149:150]
	v_fma_f64 v[153:154], -v[149:150], v[151:152], 1.0
	v_fma_f64 v[151:152], v[151:152], v[153:154], v[151:152]
	v_fma_f64 v[153:154], -v[149:150], v[151:152], 1.0
	v_fma_f64 v[151:152], v[151:152], v[153:154], v[151:152]
	v_mul_f64 v[153:154], v[155:156], v[151:152]
	v_fma_f64 v[149:150], -v[149:150], v[153:154], v[155:156]
	v_div_fmas_f64 v[149:150], v[149:150], v[151:152], v[153:154]
	v_div_fixup_f64 v[149:150], v[149:150], v[136:137], v[134:135]
	v_fma_f64 v[134:135], v[134:135], v[149:150], v[136:137]
	v_div_scale_f64 v[136:137], null, v[134:135], v[134:135], 1.0
	v_rcp_f64_e32 v[151:152], v[136:137]
	v_fma_f64 v[153:154], -v[136:137], v[151:152], 1.0
	v_fma_f64 v[151:152], v[151:152], v[153:154], v[151:152]
	v_fma_f64 v[153:154], -v[136:137], v[151:152], 1.0
	v_fma_f64 v[151:152], v[151:152], v[153:154], v[151:152]
	v_div_scale_f64 v[153:154], vcc_lo, 1.0, v[134:135], 1.0
	v_mul_f64 v[155:156], v[153:154], v[151:152]
	v_fma_f64 v[136:137], -v[136:137], v[155:156], v[153:154]
	v_div_fmas_f64 v[136:137], v[136:137], v[151:152], v[155:156]
	v_div_fixup_f64 v[136:137], v[136:137], v[134:135], 1.0
	v_mul_f64 v[134:135], v[149:150], v[136:137]
	v_xor_b32_e32 v137, 0x80000000, v137
.LBB64_364:
	s_andn2_saveexec_b32 s1, s1
	s_cbranch_execz .LBB64_366
; %bb.365:
	v_div_scale_f64 v[149:150], null, v[134:135], v[134:135], v[136:137]
	v_div_scale_f64 v[155:156], vcc_lo, v[136:137], v[134:135], v[136:137]
	v_rcp_f64_e32 v[151:152], v[149:150]
	v_fma_f64 v[153:154], -v[149:150], v[151:152], 1.0
	v_fma_f64 v[151:152], v[151:152], v[153:154], v[151:152]
	v_fma_f64 v[153:154], -v[149:150], v[151:152], 1.0
	v_fma_f64 v[151:152], v[151:152], v[153:154], v[151:152]
	v_mul_f64 v[153:154], v[155:156], v[151:152]
	v_fma_f64 v[149:150], -v[149:150], v[153:154], v[155:156]
	v_div_fmas_f64 v[149:150], v[149:150], v[151:152], v[153:154]
	v_div_fixup_f64 v[149:150], v[149:150], v[134:135], v[136:137]
	v_fma_f64 v[134:135], v[136:137], v[149:150], v[134:135]
	v_div_scale_f64 v[136:137], null, v[134:135], v[134:135], 1.0
	v_rcp_f64_e32 v[151:152], v[136:137]
	v_fma_f64 v[153:154], -v[136:137], v[151:152], 1.0
	v_fma_f64 v[151:152], v[151:152], v[153:154], v[151:152]
	v_fma_f64 v[153:154], -v[136:137], v[151:152], 1.0
	v_fma_f64 v[151:152], v[151:152], v[153:154], v[151:152]
	v_div_scale_f64 v[153:154], vcc_lo, 1.0, v[134:135], 1.0
	v_mul_f64 v[155:156], v[153:154], v[151:152]
	v_fma_f64 v[136:137], -v[136:137], v[155:156], v[153:154]
	v_div_fmas_f64 v[136:137], v[136:137], v[151:152], v[155:156]
	v_div_fixup_f64 v[134:135], v[136:137], v[134:135], 1.0
	v_mul_f64 v[136:137], v[149:150], -v[134:135]
.LBB64_366:
	s_or_b32 exec_lo, exec_lo, s1
.LBB64_367:
	s_or_b32 exec_lo, exec_lo, s0
	s_mov_b32 s0, exec_lo
	v_cmpx_ne_u32_e64 v148, v142
	s_xor_b32 s0, exec_lo, s0
	s_cbranch_execz .LBB64_373
; %bb.368:
	s_mov_b32 s1, exec_lo
	v_cmpx_eq_u32_e32 17, v148
	s_cbranch_execz .LBB64_372
; %bb.369:
	v_cmp_ne_u32_e32 vcc_lo, 17, v142
	s_xor_b32 s2, s16, -1
	s_and_b32 s3, s2, vcc_lo
	s_and_saveexec_b32 s2, s3
	s_cbranch_execz .LBB64_371
; %bb.370:
	v_ashrrev_i32_e32 v143, 31, v142
	v_lshlrev_b64 v[148:149], 2, v[142:143]
	v_add_co_u32 v148, vcc_lo, v140, v148
	v_add_co_ci_u32_e64 v149, null, v141, v149, vcc_lo
	s_clause 0x1
	global_load_dword v0, v[148:149], off
	global_load_dword v143, v[140:141], off offset:68
	s_waitcnt vmcnt(1)
	global_store_dword v[140:141], v0, off offset:68
	s_waitcnt vmcnt(0)
	global_store_dword v[148:149], v143, off
.LBB64_371:
	s_or_b32 exec_lo, exec_lo, s2
	v_mov_b32_e32 v148, v142
	v_mov_b32_e32 v0, v142
.LBB64_372:
	s_or_b32 exec_lo, exec_lo, s1
.LBB64_373:
	s_andn2_saveexec_b32 s0, s0
	s_cbranch_execz .LBB64_375
; %bb.374:
	v_mov_b32_e32 v148, 17
	ds_write2_b64 v1, v[58:59], v[60:61] offset0:36 offset1:37
	ds_write2_b64 v1, v[54:55], v[56:57] offset0:38 offset1:39
	;; [unrolled: 1-line block ×15, first 2 shown]
.LBB64_375:
	s_or_b32 exec_lo, exec_lo, s0
	s_mov_b32 s0, exec_lo
	s_waitcnt lgkmcnt(0)
	s_waitcnt_vscnt null, 0x0
	s_barrier
	buffer_gl0_inv
	v_cmpx_lt_i32_e32 17, v148
	s_cbranch_execz .LBB64_377
; %bb.376:
	v_mul_f64 v[142:143], v[134:135], v[64:65]
	v_mul_f64 v[64:65], v[136:137], v[64:65]
	v_fma_f64 v[142:143], v[136:137], v[62:63], v[142:143]
	v_fma_f64 v[62:63], v[134:135], v[62:63], -v[64:65]
	ds_read2_b64 v[134:137], v1 offset0:36 offset1:37
	s_waitcnt lgkmcnt(0)
	v_mul_f64 v[64:65], v[136:137], v[142:143]
	v_fma_f64 v[64:65], v[134:135], v[62:63], -v[64:65]
	v_mul_f64 v[134:135], v[134:135], v[142:143]
	v_add_f64 v[58:59], v[58:59], -v[64:65]
	v_fma_f64 v[134:135], v[136:137], v[62:63], v[134:135]
	v_add_f64 v[60:61], v[60:61], -v[134:135]
	ds_read2_b64 v[134:137], v1 offset0:38 offset1:39
	s_waitcnt lgkmcnt(0)
	v_mul_f64 v[64:65], v[136:137], v[142:143]
	v_fma_f64 v[64:65], v[134:135], v[62:63], -v[64:65]
	v_mul_f64 v[134:135], v[134:135], v[142:143]
	v_add_f64 v[54:55], v[54:55], -v[64:65]
	v_fma_f64 v[134:135], v[136:137], v[62:63], v[134:135]
	v_add_f64 v[56:57], v[56:57], -v[134:135]
	;; [unrolled: 8-line block ×14, first 2 shown]
	ds_read2_b64 v[134:137], v1 offset0:64 offset1:65
	s_waitcnt lgkmcnt(0)
	v_mul_f64 v[64:65], v[136:137], v[142:143]
	v_fma_f64 v[64:65], v[134:135], v[62:63], -v[64:65]
	v_mul_f64 v[134:135], v[134:135], v[142:143]
	v_add_f64 v[2:3], v[2:3], -v[64:65]
	v_fma_f64 v[134:135], v[136:137], v[62:63], v[134:135]
	v_mov_b32_e32 v64, v142
	v_mov_b32_e32 v65, v143
	v_add_f64 v[4:5], v[4:5], -v[134:135]
.LBB64_377:
	s_or_b32 exec_lo, exec_lo, s0
	v_lshl_add_u32 v134, v148, 4, v1
	s_barrier
	buffer_gl0_inv
	v_mov_b32_e32 v142, 18
	ds_write2_b64 v134, v[58:59], v[60:61] offset1:1
	s_waitcnt lgkmcnt(0)
	s_barrier
	buffer_gl0_inv
	ds_read2_b64 v[134:137], v1 offset0:36 offset1:37
	s_cmp_lt_i32 s18, 20
	s_cbranch_scc1 .LBB64_380
; %bb.378:
	v_add3_u32 v143, v144, 0, 0x130
	v_mov_b32_e32 v142, 18
	s_mov_b32 s1, 19
	s_inst_prefetch 0x1
	.p2align	6
.LBB64_379:                             ; =>This Inner Loop Header: Depth=1
	s_waitcnt lgkmcnt(0)
	v_cmp_gt_f64_e32 vcc_lo, 0, v[136:137]
	v_cmp_gt_f64_e64 s0, 0, v[134:135]
	ds_read2_b64 v[149:152], v143 offset1:1
	v_xor_b32_e32 v154, 0x80000000, v135
	v_xor_b32_e32 v156, 0x80000000, v137
	v_mov_b32_e32 v153, v134
	v_mov_b32_e32 v155, v136
	v_add_nc_u32_e32 v143, 16, v143
	s_waitcnt lgkmcnt(0)
	v_xor_b32_e32 v158, 0x80000000, v152
	v_cndmask_b32_e64 v154, v135, v154, s0
	v_cndmask_b32_e32 v156, v137, v156, vcc_lo
	v_cmp_gt_f64_e32 vcc_lo, 0, v[151:152]
	v_cmp_gt_f64_e64 s0, 0, v[149:150]
	v_mov_b32_e32 v157, v151
	v_add_f64 v[153:154], v[153:154], v[155:156]
	v_xor_b32_e32 v156, 0x80000000, v150
	v_mov_b32_e32 v155, v149
	v_cndmask_b32_e32 v158, v152, v158, vcc_lo
	v_cndmask_b32_e64 v156, v150, v156, s0
	v_add_f64 v[155:156], v[155:156], v[157:158]
	v_cmp_lt_f64_e32 vcc_lo, v[153:154], v[155:156]
	v_cndmask_b32_e32 v135, v135, v150, vcc_lo
	v_cndmask_b32_e32 v134, v134, v149, vcc_lo
	;; [unrolled: 1-line block ×4, first 2 shown]
	v_cndmask_b32_e64 v142, v142, s1, vcc_lo
	s_add_i32 s1, s1, 1
	s_cmp_lg_u32 s18, s1
	s_cbranch_scc1 .LBB64_379
.LBB64_380:
	s_inst_prefetch 0x2
	s_waitcnt lgkmcnt(0)
	v_cmp_eq_f64_e32 vcc_lo, 0, v[134:135]
	v_cmp_eq_f64_e64 s0, 0, v[136:137]
	s_and_b32 s0, vcc_lo, s0
	s_and_saveexec_b32 s1, s0
	s_xor_b32 s0, exec_lo, s1
; %bb.381:
	v_cmp_ne_u32_e32 vcc_lo, 0, v147
	v_cndmask_b32_e32 v147, 19, v147, vcc_lo
; %bb.382:
	s_andn2_saveexec_b32 s0, s0
	s_cbranch_execz .LBB64_388
; %bb.383:
	v_cmp_ngt_f64_e64 s1, |v[134:135]|, |v[136:137]|
	s_and_saveexec_b32 s2, s1
	s_xor_b32 s1, exec_lo, s2
	s_cbranch_execz .LBB64_385
; %bb.384:
	v_div_scale_f64 v[149:150], null, v[136:137], v[136:137], v[134:135]
	v_div_scale_f64 v[155:156], vcc_lo, v[134:135], v[136:137], v[134:135]
	v_rcp_f64_e32 v[151:152], v[149:150]
	v_fma_f64 v[153:154], -v[149:150], v[151:152], 1.0
	v_fma_f64 v[151:152], v[151:152], v[153:154], v[151:152]
	v_fma_f64 v[153:154], -v[149:150], v[151:152], 1.0
	v_fma_f64 v[151:152], v[151:152], v[153:154], v[151:152]
	v_mul_f64 v[153:154], v[155:156], v[151:152]
	v_fma_f64 v[149:150], -v[149:150], v[153:154], v[155:156]
	v_div_fmas_f64 v[149:150], v[149:150], v[151:152], v[153:154]
	v_div_fixup_f64 v[149:150], v[149:150], v[136:137], v[134:135]
	v_fma_f64 v[134:135], v[134:135], v[149:150], v[136:137]
	v_div_scale_f64 v[136:137], null, v[134:135], v[134:135], 1.0
	v_rcp_f64_e32 v[151:152], v[136:137]
	v_fma_f64 v[153:154], -v[136:137], v[151:152], 1.0
	v_fma_f64 v[151:152], v[151:152], v[153:154], v[151:152]
	v_fma_f64 v[153:154], -v[136:137], v[151:152], 1.0
	v_fma_f64 v[151:152], v[151:152], v[153:154], v[151:152]
	v_div_scale_f64 v[153:154], vcc_lo, 1.0, v[134:135], 1.0
	v_mul_f64 v[155:156], v[153:154], v[151:152]
	v_fma_f64 v[136:137], -v[136:137], v[155:156], v[153:154]
	v_div_fmas_f64 v[136:137], v[136:137], v[151:152], v[155:156]
	v_div_fixup_f64 v[136:137], v[136:137], v[134:135], 1.0
	v_mul_f64 v[134:135], v[149:150], v[136:137]
	v_xor_b32_e32 v137, 0x80000000, v137
.LBB64_385:
	s_andn2_saveexec_b32 s1, s1
	s_cbranch_execz .LBB64_387
; %bb.386:
	v_div_scale_f64 v[149:150], null, v[134:135], v[134:135], v[136:137]
	v_div_scale_f64 v[155:156], vcc_lo, v[136:137], v[134:135], v[136:137]
	v_rcp_f64_e32 v[151:152], v[149:150]
	v_fma_f64 v[153:154], -v[149:150], v[151:152], 1.0
	v_fma_f64 v[151:152], v[151:152], v[153:154], v[151:152]
	v_fma_f64 v[153:154], -v[149:150], v[151:152], 1.0
	v_fma_f64 v[151:152], v[151:152], v[153:154], v[151:152]
	v_mul_f64 v[153:154], v[155:156], v[151:152]
	v_fma_f64 v[149:150], -v[149:150], v[153:154], v[155:156]
	v_div_fmas_f64 v[149:150], v[149:150], v[151:152], v[153:154]
	v_div_fixup_f64 v[149:150], v[149:150], v[134:135], v[136:137]
	v_fma_f64 v[134:135], v[136:137], v[149:150], v[134:135]
	v_div_scale_f64 v[136:137], null, v[134:135], v[134:135], 1.0
	v_rcp_f64_e32 v[151:152], v[136:137]
	v_fma_f64 v[153:154], -v[136:137], v[151:152], 1.0
	v_fma_f64 v[151:152], v[151:152], v[153:154], v[151:152]
	v_fma_f64 v[153:154], -v[136:137], v[151:152], 1.0
	v_fma_f64 v[151:152], v[151:152], v[153:154], v[151:152]
	v_div_scale_f64 v[153:154], vcc_lo, 1.0, v[134:135], 1.0
	v_mul_f64 v[155:156], v[153:154], v[151:152]
	v_fma_f64 v[136:137], -v[136:137], v[155:156], v[153:154]
	v_div_fmas_f64 v[136:137], v[136:137], v[151:152], v[155:156]
	v_div_fixup_f64 v[134:135], v[136:137], v[134:135], 1.0
	v_mul_f64 v[136:137], v[149:150], -v[134:135]
.LBB64_387:
	s_or_b32 exec_lo, exec_lo, s1
.LBB64_388:
	s_or_b32 exec_lo, exec_lo, s0
	s_mov_b32 s0, exec_lo
	v_cmpx_ne_u32_e64 v148, v142
	s_xor_b32 s0, exec_lo, s0
	s_cbranch_execz .LBB64_394
; %bb.389:
	s_mov_b32 s1, exec_lo
	v_cmpx_eq_u32_e32 18, v148
	s_cbranch_execz .LBB64_393
; %bb.390:
	v_cmp_ne_u32_e32 vcc_lo, 18, v142
	s_xor_b32 s2, s16, -1
	s_and_b32 s3, s2, vcc_lo
	s_and_saveexec_b32 s2, s3
	s_cbranch_execz .LBB64_392
; %bb.391:
	v_ashrrev_i32_e32 v143, 31, v142
	v_lshlrev_b64 v[148:149], 2, v[142:143]
	v_add_co_u32 v148, vcc_lo, v140, v148
	v_add_co_ci_u32_e64 v149, null, v141, v149, vcc_lo
	s_clause 0x1
	global_load_dword v0, v[148:149], off
	global_load_dword v143, v[140:141], off offset:72
	s_waitcnt vmcnt(1)
	global_store_dword v[140:141], v0, off offset:72
	s_waitcnt vmcnt(0)
	global_store_dword v[148:149], v143, off
.LBB64_392:
	s_or_b32 exec_lo, exec_lo, s2
	v_mov_b32_e32 v148, v142
	v_mov_b32_e32 v0, v142
.LBB64_393:
	s_or_b32 exec_lo, exec_lo, s1
.LBB64_394:
	s_andn2_saveexec_b32 s0, s0
	s_cbranch_execz .LBB64_396
; %bb.395:
	v_mov_b32_e32 v148, 18
	ds_write2_b64 v1, v[54:55], v[56:57] offset0:38 offset1:39
	ds_write2_b64 v1, v[50:51], v[52:53] offset0:40 offset1:41
	;; [unrolled: 1-line block ×14, first 2 shown]
.LBB64_396:
	s_or_b32 exec_lo, exec_lo, s0
	s_mov_b32 s0, exec_lo
	s_waitcnt lgkmcnt(0)
	s_waitcnt_vscnt null, 0x0
	s_barrier
	buffer_gl0_inv
	v_cmpx_lt_i32_e32 18, v148
	s_cbranch_execz .LBB64_398
; %bb.397:
	v_mul_f64 v[142:143], v[134:135], v[60:61]
	v_mul_f64 v[60:61], v[136:137], v[60:61]
	v_fma_f64 v[142:143], v[136:137], v[58:59], v[142:143]
	v_fma_f64 v[58:59], v[134:135], v[58:59], -v[60:61]
	ds_read2_b64 v[134:137], v1 offset0:38 offset1:39
	s_waitcnt lgkmcnt(0)
	v_mul_f64 v[60:61], v[136:137], v[142:143]
	v_fma_f64 v[60:61], v[134:135], v[58:59], -v[60:61]
	v_mul_f64 v[134:135], v[134:135], v[142:143]
	v_add_f64 v[54:55], v[54:55], -v[60:61]
	v_fma_f64 v[134:135], v[136:137], v[58:59], v[134:135]
	v_add_f64 v[56:57], v[56:57], -v[134:135]
	ds_read2_b64 v[134:137], v1 offset0:40 offset1:41
	s_waitcnt lgkmcnt(0)
	v_mul_f64 v[60:61], v[136:137], v[142:143]
	v_fma_f64 v[60:61], v[134:135], v[58:59], -v[60:61]
	v_mul_f64 v[134:135], v[134:135], v[142:143]
	v_add_f64 v[50:51], v[50:51], -v[60:61]
	v_fma_f64 v[134:135], v[136:137], v[58:59], v[134:135]
	v_add_f64 v[52:53], v[52:53], -v[134:135]
	;; [unrolled: 8-line block ×13, first 2 shown]
	ds_read2_b64 v[134:137], v1 offset0:64 offset1:65
	s_waitcnt lgkmcnt(0)
	v_mul_f64 v[60:61], v[136:137], v[142:143]
	v_fma_f64 v[60:61], v[134:135], v[58:59], -v[60:61]
	v_mul_f64 v[134:135], v[134:135], v[142:143]
	v_add_f64 v[2:3], v[2:3], -v[60:61]
	v_fma_f64 v[134:135], v[136:137], v[58:59], v[134:135]
	v_mov_b32_e32 v60, v142
	v_mov_b32_e32 v61, v143
	v_add_f64 v[4:5], v[4:5], -v[134:135]
.LBB64_398:
	s_or_b32 exec_lo, exec_lo, s0
	v_lshl_add_u32 v134, v148, 4, v1
	s_barrier
	buffer_gl0_inv
	v_mov_b32_e32 v142, 19
	ds_write2_b64 v134, v[54:55], v[56:57] offset1:1
	s_waitcnt lgkmcnt(0)
	s_barrier
	buffer_gl0_inv
	ds_read2_b64 v[134:137], v1 offset0:38 offset1:39
	s_cmp_lt_i32 s18, 21
	s_cbranch_scc1 .LBB64_401
; %bb.399:
	v_add3_u32 v143, v144, 0, 0x140
	v_mov_b32_e32 v142, 19
	s_mov_b32 s1, 20
	s_inst_prefetch 0x1
	.p2align	6
.LBB64_400:                             ; =>This Inner Loop Header: Depth=1
	s_waitcnt lgkmcnt(0)
	v_cmp_gt_f64_e32 vcc_lo, 0, v[136:137]
	v_cmp_gt_f64_e64 s0, 0, v[134:135]
	ds_read2_b64 v[149:152], v143 offset1:1
	v_xor_b32_e32 v154, 0x80000000, v135
	v_xor_b32_e32 v156, 0x80000000, v137
	v_mov_b32_e32 v153, v134
	v_mov_b32_e32 v155, v136
	v_add_nc_u32_e32 v143, 16, v143
	s_waitcnt lgkmcnt(0)
	v_xor_b32_e32 v158, 0x80000000, v152
	v_cndmask_b32_e64 v154, v135, v154, s0
	v_cndmask_b32_e32 v156, v137, v156, vcc_lo
	v_cmp_gt_f64_e32 vcc_lo, 0, v[151:152]
	v_cmp_gt_f64_e64 s0, 0, v[149:150]
	v_mov_b32_e32 v157, v151
	v_add_f64 v[153:154], v[153:154], v[155:156]
	v_xor_b32_e32 v156, 0x80000000, v150
	v_mov_b32_e32 v155, v149
	v_cndmask_b32_e32 v158, v152, v158, vcc_lo
	v_cndmask_b32_e64 v156, v150, v156, s0
	v_add_f64 v[155:156], v[155:156], v[157:158]
	v_cmp_lt_f64_e32 vcc_lo, v[153:154], v[155:156]
	v_cndmask_b32_e32 v135, v135, v150, vcc_lo
	v_cndmask_b32_e32 v134, v134, v149, vcc_lo
	;; [unrolled: 1-line block ×4, first 2 shown]
	v_cndmask_b32_e64 v142, v142, s1, vcc_lo
	s_add_i32 s1, s1, 1
	s_cmp_lg_u32 s18, s1
	s_cbranch_scc1 .LBB64_400
.LBB64_401:
	s_inst_prefetch 0x2
	s_waitcnt lgkmcnt(0)
	v_cmp_eq_f64_e32 vcc_lo, 0, v[134:135]
	v_cmp_eq_f64_e64 s0, 0, v[136:137]
	s_and_b32 s0, vcc_lo, s0
	s_and_saveexec_b32 s1, s0
	s_xor_b32 s0, exec_lo, s1
; %bb.402:
	v_cmp_ne_u32_e32 vcc_lo, 0, v147
	v_cndmask_b32_e32 v147, 20, v147, vcc_lo
; %bb.403:
	s_andn2_saveexec_b32 s0, s0
	s_cbranch_execz .LBB64_409
; %bb.404:
	v_cmp_ngt_f64_e64 s1, |v[134:135]|, |v[136:137]|
	s_and_saveexec_b32 s2, s1
	s_xor_b32 s1, exec_lo, s2
	s_cbranch_execz .LBB64_406
; %bb.405:
	v_div_scale_f64 v[149:150], null, v[136:137], v[136:137], v[134:135]
	v_div_scale_f64 v[155:156], vcc_lo, v[134:135], v[136:137], v[134:135]
	v_rcp_f64_e32 v[151:152], v[149:150]
	v_fma_f64 v[153:154], -v[149:150], v[151:152], 1.0
	v_fma_f64 v[151:152], v[151:152], v[153:154], v[151:152]
	v_fma_f64 v[153:154], -v[149:150], v[151:152], 1.0
	v_fma_f64 v[151:152], v[151:152], v[153:154], v[151:152]
	v_mul_f64 v[153:154], v[155:156], v[151:152]
	v_fma_f64 v[149:150], -v[149:150], v[153:154], v[155:156]
	v_div_fmas_f64 v[149:150], v[149:150], v[151:152], v[153:154]
	v_div_fixup_f64 v[149:150], v[149:150], v[136:137], v[134:135]
	v_fma_f64 v[134:135], v[134:135], v[149:150], v[136:137]
	v_div_scale_f64 v[136:137], null, v[134:135], v[134:135], 1.0
	v_rcp_f64_e32 v[151:152], v[136:137]
	v_fma_f64 v[153:154], -v[136:137], v[151:152], 1.0
	v_fma_f64 v[151:152], v[151:152], v[153:154], v[151:152]
	v_fma_f64 v[153:154], -v[136:137], v[151:152], 1.0
	v_fma_f64 v[151:152], v[151:152], v[153:154], v[151:152]
	v_div_scale_f64 v[153:154], vcc_lo, 1.0, v[134:135], 1.0
	v_mul_f64 v[155:156], v[153:154], v[151:152]
	v_fma_f64 v[136:137], -v[136:137], v[155:156], v[153:154]
	v_div_fmas_f64 v[136:137], v[136:137], v[151:152], v[155:156]
	v_div_fixup_f64 v[136:137], v[136:137], v[134:135], 1.0
	v_mul_f64 v[134:135], v[149:150], v[136:137]
	v_xor_b32_e32 v137, 0x80000000, v137
.LBB64_406:
	s_andn2_saveexec_b32 s1, s1
	s_cbranch_execz .LBB64_408
; %bb.407:
	v_div_scale_f64 v[149:150], null, v[134:135], v[134:135], v[136:137]
	v_div_scale_f64 v[155:156], vcc_lo, v[136:137], v[134:135], v[136:137]
	v_rcp_f64_e32 v[151:152], v[149:150]
	v_fma_f64 v[153:154], -v[149:150], v[151:152], 1.0
	v_fma_f64 v[151:152], v[151:152], v[153:154], v[151:152]
	v_fma_f64 v[153:154], -v[149:150], v[151:152], 1.0
	v_fma_f64 v[151:152], v[151:152], v[153:154], v[151:152]
	v_mul_f64 v[153:154], v[155:156], v[151:152]
	v_fma_f64 v[149:150], -v[149:150], v[153:154], v[155:156]
	v_div_fmas_f64 v[149:150], v[149:150], v[151:152], v[153:154]
	v_div_fixup_f64 v[149:150], v[149:150], v[134:135], v[136:137]
	v_fma_f64 v[134:135], v[136:137], v[149:150], v[134:135]
	v_div_scale_f64 v[136:137], null, v[134:135], v[134:135], 1.0
	v_rcp_f64_e32 v[151:152], v[136:137]
	v_fma_f64 v[153:154], -v[136:137], v[151:152], 1.0
	v_fma_f64 v[151:152], v[151:152], v[153:154], v[151:152]
	v_fma_f64 v[153:154], -v[136:137], v[151:152], 1.0
	v_fma_f64 v[151:152], v[151:152], v[153:154], v[151:152]
	v_div_scale_f64 v[153:154], vcc_lo, 1.0, v[134:135], 1.0
	v_mul_f64 v[155:156], v[153:154], v[151:152]
	v_fma_f64 v[136:137], -v[136:137], v[155:156], v[153:154]
	v_div_fmas_f64 v[136:137], v[136:137], v[151:152], v[155:156]
	v_div_fixup_f64 v[134:135], v[136:137], v[134:135], 1.0
	v_mul_f64 v[136:137], v[149:150], -v[134:135]
.LBB64_408:
	s_or_b32 exec_lo, exec_lo, s1
.LBB64_409:
	s_or_b32 exec_lo, exec_lo, s0
	s_mov_b32 s0, exec_lo
	v_cmpx_ne_u32_e64 v148, v142
	s_xor_b32 s0, exec_lo, s0
	s_cbranch_execz .LBB64_415
; %bb.410:
	s_mov_b32 s1, exec_lo
	v_cmpx_eq_u32_e32 19, v148
	s_cbranch_execz .LBB64_414
; %bb.411:
	v_cmp_ne_u32_e32 vcc_lo, 19, v142
	s_xor_b32 s2, s16, -1
	s_and_b32 s3, s2, vcc_lo
	s_and_saveexec_b32 s2, s3
	s_cbranch_execz .LBB64_413
; %bb.412:
	v_ashrrev_i32_e32 v143, 31, v142
	v_lshlrev_b64 v[148:149], 2, v[142:143]
	v_add_co_u32 v148, vcc_lo, v140, v148
	v_add_co_ci_u32_e64 v149, null, v141, v149, vcc_lo
	s_clause 0x1
	global_load_dword v0, v[148:149], off
	global_load_dword v143, v[140:141], off offset:76
	s_waitcnt vmcnt(1)
	global_store_dword v[140:141], v0, off offset:76
	s_waitcnt vmcnt(0)
	global_store_dword v[148:149], v143, off
.LBB64_413:
	s_or_b32 exec_lo, exec_lo, s2
	v_mov_b32_e32 v148, v142
	v_mov_b32_e32 v0, v142
.LBB64_414:
	s_or_b32 exec_lo, exec_lo, s1
.LBB64_415:
	s_andn2_saveexec_b32 s0, s0
	s_cbranch_execz .LBB64_417
; %bb.416:
	v_mov_b32_e32 v148, 19
	ds_write2_b64 v1, v[50:51], v[52:53] offset0:40 offset1:41
	ds_write2_b64 v1, v[46:47], v[48:49] offset0:42 offset1:43
	;; [unrolled: 1-line block ×13, first 2 shown]
.LBB64_417:
	s_or_b32 exec_lo, exec_lo, s0
	s_mov_b32 s0, exec_lo
	s_waitcnt lgkmcnt(0)
	s_waitcnt_vscnt null, 0x0
	s_barrier
	buffer_gl0_inv
	v_cmpx_lt_i32_e32 19, v148
	s_cbranch_execz .LBB64_419
; %bb.418:
	v_mul_f64 v[142:143], v[134:135], v[56:57]
	v_mul_f64 v[56:57], v[136:137], v[56:57]
	v_fma_f64 v[142:143], v[136:137], v[54:55], v[142:143]
	v_fma_f64 v[54:55], v[134:135], v[54:55], -v[56:57]
	ds_read2_b64 v[134:137], v1 offset0:40 offset1:41
	s_waitcnt lgkmcnt(0)
	v_mul_f64 v[56:57], v[136:137], v[142:143]
	v_fma_f64 v[56:57], v[134:135], v[54:55], -v[56:57]
	v_mul_f64 v[134:135], v[134:135], v[142:143]
	v_add_f64 v[50:51], v[50:51], -v[56:57]
	v_fma_f64 v[134:135], v[136:137], v[54:55], v[134:135]
	v_add_f64 v[52:53], v[52:53], -v[134:135]
	ds_read2_b64 v[134:137], v1 offset0:42 offset1:43
	s_waitcnt lgkmcnt(0)
	v_mul_f64 v[56:57], v[136:137], v[142:143]
	v_fma_f64 v[56:57], v[134:135], v[54:55], -v[56:57]
	v_mul_f64 v[134:135], v[134:135], v[142:143]
	v_add_f64 v[46:47], v[46:47], -v[56:57]
	v_fma_f64 v[134:135], v[136:137], v[54:55], v[134:135]
	v_add_f64 v[48:49], v[48:49], -v[134:135]
	;; [unrolled: 8-line block ×12, first 2 shown]
	ds_read2_b64 v[134:137], v1 offset0:64 offset1:65
	s_waitcnt lgkmcnt(0)
	v_mul_f64 v[56:57], v[136:137], v[142:143]
	v_fma_f64 v[56:57], v[134:135], v[54:55], -v[56:57]
	v_mul_f64 v[134:135], v[134:135], v[142:143]
	v_add_f64 v[2:3], v[2:3], -v[56:57]
	v_fma_f64 v[134:135], v[136:137], v[54:55], v[134:135]
	v_mov_b32_e32 v56, v142
	v_mov_b32_e32 v57, v143
	v_add_f64 v[4:5], v[4:5], -v[134:135]
.LBB64_419:
	s_or_b32 exec_lo, exec_lo, s0
	v_lshl_add_u32 v134, v148, 4, v1
	s_barrier
	buffer_gl0_inv
	v_mov_b32_e32 v142, 20
	ds_write2_b64 v134, v[50:51], v[52:53] offset1:1
	s_waitcnt lgkmcnt(0)
	s_barrier
	buffer_gl0_inv
	ds_read2_b64 v[134:137], v1 offset0:40 offset1:41
	s_cmp_lt_i32 s18, 22
	s_cbranch_scc1 .LBB64_422
; %bb.420:
	v_add3_u32 v143, v144, 0, 0x150
	v_mov_b32_e32 v142, 20
	s_mov_b32 s1, 21
	s_inst_prefetch 0x1
	.p2align	6
.LBB64_421:                             ; =>This Inner Loop Header: Depth=1
	s_waitcnt lgkmcnt(0)
	v_cmp_gt_f64_e32 vcc_lo, 0, v[136:137]
	v_cmp_gt_f64_e64 s0, 0, v[134:135]
	ds_read2_b64 v[149:152], v143 offset1:1
	v_xor_b32_e32 v154, 0x80000000, v135
	v_xor_b32_e32 v156, 0x80000000, v137
	v_mov_b32_e32 v153, v134
	v_mov_b32_e32 v155, v136
	v_add_nc_u32_e32 v143, 16, v143
	s_waitcnt lgkmcnt(0)
	v_xor_b32_e32 v158, 0x80000000, v152
	v_cndmask_b32_e64 v154, v135, v154, s0
	v_cndmask_b32_e32 v156, v137, v156, vcc_lo
	v_cmp_gt_f64_e32 vcc_lo, 0, v[151:152]
	v_cmp_gt_f64_e64 s0, 0, v[149:150]
	v_mov_b32_e32 v157, v151
	v_add_f64 v[153:154], v[153:154], v[155:156]
	v_xor_b32_e32 v156, 0x80000000, v150
	v_mov_b32_e32 v155, v149
	v_cndmask_b32_e32 v158, v152, v158, vcc_lo
	v_cndmask_b32_e64 v156, v150, v156, s0
	v_add_f64 v[155:156], v[155:156], v[157:158]
	v_cmp_lt_f64_e32 vcc_lo, v[153:154], v[155:156]
	v_cndmask_b32_e32 v135, v135, v150, vcc_lo
	v_cndmask_b32_e32 v134, v134, v149, vcc_lo
	v_cndmask_b32_e32 v137, v137, v152, vcc_lo
	v_cndmask_b32_e32 v136, v136, v151, vcc_lo
	v_cndmask_b32_e64 v142, v142, s1, vcc_lo
	s_add_i32 s1, s1, 1
	s_cmp_lg_u32 s18, s1
	s_cbranch_scc1 .LBB64_421
.LBB64_422:
	s_inst_prefetch 0x2
	s_waitcnt lgkmcnt(0)
	v_cmp_eq_f64_e32 vcc_lo, 0, v[134:135]
	v_cmp_eq_f64_e64 s0, 0, v[136:137]
	s_and_b32 s0, vcc_lo, s0
	s_and_saveexec_b32 s1, s0
	s_xor_b32 s0, exec_lo, s1
; %bb.423:
	v_cmp_ne_u32_e32 vcc_lo, 0, v147
	v_cndmask_b32_e32 v147, 21, v147, vcc_lo
; %bb.424:
	s_andn2_saveexec_b32 s0, s0
	s_cbranch_execz .LBB64_430
; %bb.425:
	v_cmp_ngt_f64_e64 s1, |v[134:135]|, |v[136:137]|
	s_and_saveexec_b32 s2, s1
	s_xor_b32 s1, exec_lo, s2
	s_cbranch_execz .LBB64_427
; %bb.426:
	v_div_scale_f64 v[149:150], null, v[136:137], v[136:137], v[134:135]
	v_div_scale_f64 v[155:156], vcc_lo, v[134:135], v[136:137], v[134:135]
	v_rcp_f64_e32 v[151:152], v[149:150]
	v_fma_f64 v[153:154], -v[149:150], v[151:152], 1.0
	v_fma_f64 v[151:152], v[151:152], v[153:154], v[151:152]
	v_fma_f64 v[153:154], -v[149:150], v[151:152], 1.0
	v_fma_f64 v[151:152], v[151:152], v[153:154], v[151:152]
	v_mul_f64 v[153:154], v[155:156], v[151:152]
	v_fma_f64 v[149:150], -v[149:150], v[153:154], v[155:156]
	v_div_fmas_f64 v[149:150], v[149:150], v[151:152], v[153:154]
	v_div_fixup_f64 v[149:150], v[149:150], v[136:137], v[134:135]
	v_fma_f64 v[134:135], v[134:135], v[149:150], v[136:137]
	v_div_scale_f64 v[136:137], null, v[134:135], v[134:135], 1.0
	v_rcp_f64_e32 v[151:152], v[136:137]
	v_fma_f64 v[153:154], -v[136:137], v[151:152], 1.0
	v_fma_f64 v[151:152], v[151:152], v[153:154], v[151:152]
	v_fma_f64 v[153:154], -v[136:137], v[151:152], 1.0
	v_fma_f64 v[151:152], v[151:152], v[153:154], v[151:152]
	v_div_scale_f64 v[153:154], vcc_lo, 1.0, v[134:135], 1.0
	v_mul_f64 v[155:156], v[153:154], v[151:152]
	v_fma_f64 v[136:137], -v[136:137], v[155:156], v[153:154]
	v_div_fmas_f64 v[136:137], v[136:137], v[151:152], v[155:156]
	v_div_fixup_f64 v[136:137], v[136:137], v[134:135], 1.0
	v_mul_f64 v[134:135], v[149:150], v[136:137]
	v_xor_b32_e32 v137, 0x80000000, v137
.LBB64_427:
	s_andn2_saveexec_b32 s1, s1
	s_cbranch_execz .LBB64_429
; %bb.428:
	v_div_scale_f64 v[149:150], null, v[134:135], v[134:135], v[136:137]
	v_div_scale_f64 v[155:156], vcc_lo, v[136:137], v[134:135], v[136:137]
	v_rcp_f64_e32 v[151:152], v[149:150]
	v_fma_f64 v[153:154], -v[149:150], v[151:152], 1.0
	v_fma_f64 v[151:152], v[151:152], v[153:154], v[151:152]
	v_fma_f64 v[153:154], -v[149:150], v[151:152], 1.0
	v_fma_f64 v[151:152], v[151:152], v[153:154], v[151:152]
	v_mul_f64 v[153:154], v[155:156], v[151:152]
	v_fma_f64 v[149:150], -v[149:150], v[153:154], v[155:156]
	v_div_fmas_f64 v[149:150], v[149:150], v[151:152], v[153:154]
	v_div_fixup_f64 v[149:150], v[149:150], v[134:135], v[136:137]
	v_fma_f64 v[134:135], v[136:137], v[149:150], v[134:135]
	v_div_scale_f64 v[136:137], null, v[134:135], v[134:135], 1.0
	v_rcp_f64_e32 v[151:152], v[136:137]
	v_fma_f64 v[153:154], -v[136:137], v[151:152], 1.0
	v_fma_f64 v[151:152], v[151:152], v[153:154], v[151:152]
	v_fma_f64 v[153:154], -v[136:137], v[151:152], 1.0
	v_fma_f64 v[151:152], v[151:152], v[153:154], v[151:152]
	v_div_scale_f64 v[153:154], vcc_lo, 1.0, v[134:135], 1.0
	v_mul_f64 v[155:156], v[153:154], v[151:152]
	v_fma_f64 v[136:137], -v[136:137], v[155:156], v[153:154]
	v_div_fmas_f64 v[136:137], v[136:137], v[151:152], v[155:156]
	v_div_fixup_f64 v[134:135], v[136:137], v[134:135], 1.0
	v_mul_f64 v[136:137], v[149:150], -v[134:135]
.LBB64_429:
	s_or_b32 exec_lo, exec_lo, s1
.LBB64_430:
	s_or_b32 exec_lo, exec_lo, s0
	s_mov_b32 s0, exec_lo
	v_cmpx_ne_u32_e64 v148, v142
	s_xor_b32 s0, exec_lo, s0
	s_cbranch_execz .LBB64_436
; %bb.431:
	s_mov_b32 s1, exec_lo
	v_cmpx_eq_u32_e32 20, v148
	s_cbranch_execz .LBB64_435
; %bb.432:
	v_cmp_ne_u32_e32 vcc_lo, 20, v142
	s_xor_b32 s2, s16, -1
	s_and_b32 s3, s2, vcc_lo
	s_and_saveexec_b32 s2, s3
	s_cbranch_execz .LBB64_434
; %bb.433:
	v_ashrrev_i32_e32 v143, 31, v142
	v_lshlrev_b64 v[148:149], 2, v[142:143]
	v_add_co_u32 v148, vcc_lo, v140, v148
	v_add_co_ci_u32_e64 v149, null, v141, v149, vcc_lo
	s_clause 0x1
	global_load_dword v0, v[148:149], off
	global_load_dword v143, v[140:141], off offset:80
	s_waitcnt vmcnt(1)
	global_store_dword v[140:141], v0, off offset:80
	s_waitcnt vmcnt(0)
	global_store_dword v[148:149], v143, off
.LBB64_434:
	s_or_b32 exec_lo, exec_lo, s2
	v_mov_b32_e32 v148, v142
	v_mov_b32_e32 v0, v142
.LBB64_435:
	s_or_b32 exec_lo, exec_lo, s1
.LBB64_436:
	s_andn2_saveexec_b32 s0, s0
	s_cbranch_execz .LBB64_438
; %bb.437:
	v_mov_b32_e32 v148, 20
	ds_write2_b64 v1, v[46:47], v[48:49] offset0:42 offset1:43
	ds_write2_b64 v1, v[42:43], v[44:45] offset0:44 offset1:45
	ds_write2_b64 v1, v[38:39], v[40:41] offset0:46 offset1:47
	ds_write2_b64 v1, v[34:35], v[36:37] offset0:48 offset1:49
	ds_write2_b64 v1, v[30:31], v[32:33] offset0:50 offset1:51
	ds_write2_b64 v1, v[26:27], v[28:29] offset0:52 offset1:53
	ds_write2_b64 v1, v[22:23], v[24:25] offset0:54 offset1:55
	ds_write2_b64 v1, v[18:19], v[20:21] offset0:56 offset1:57
	ds_write2_b64 v1, v[14:15], v[16:17] offset0:58 offset1:59
	ds_write2_b64 v1, v[10:11], v[12:13] offset0:60 offset1:61
	ds_write2_b64 v1, v[6:7], v[8:9] offset0:62 offset1:63
	ds_write2_b64 v1, v[2:3], v[4:5] offset0:64 offset1:65
.LBB64_438:
	s_or_b32 exec_lo, exec_lo, s0
	s_mov_b32 s0, exec_lo
	s_waitcnt lgkmcnt(0)
	s_waitcnt_vscnt null, 0x0
	s_barrier
	buffer_gl0_inv
	v_cmpx_lt_i32_e32 20, v148
	s_cbranch_execz .LBB64_440
; %bb.439:
	v_mul_f64 v[142:143], v[134:135], v[52:53]
	v_mul_f64 v[52:53], v[136:137], v[52:53]
	v_fma_f64 v[142:143], v[136:137], v[50:51], v[142:143]
	v_fma_f64 v[50:51], v[134:135], v[50:51], -v[52:53]
	ds_read2_b64 v[134:137], v1 offset0:42 offset1:43
	s_waitcnt lgkmcnt(0)
	v_mul_f64 v[52:53], v[136:137], v[142:143]
	v_fma_f64 v[52:53], v[134:135], v[50:51], -v[52:53]
	v_mul_f64 v[134:135], v[134:135], v[142:143]
	v_add_f64 v[46:47], v[46:47], -v[52:53]
	v_fma_f64 v[134:135], v[136:137], v[50:51], v[134:135]
	v_add_f64 v[48:49], v[48:49], -v[134:135]
	ds_read2_b64 v[134:137], v1 offset0:44 offset1:45
	s_waitcnt lgkmcnt(0)
	v_mul_f64 v[52:53], v[136:137], v[142:143]
	v_fma_f64 v[52:53], v[134:135], v[50:51], -v[52:53]
	v_mul_f64 v[134:135], v[134:135], v[142:143]
	v_add_f64 v[42:43], v[42:43], -v[52:53]
	v_fma_f64 v[134:135], v[136:137], v[50:51], v[134:135]
	v_add_f64 v[44:45], v[44:45], -v[134:135]
	;; [unrolled: 8-line block ×11, first 2 shown]
	ds_read2_b64 v[134:137], v1 offset0:64 offset1:65
	s_waitcnt lgkmcnt(0)
	v_mul_f64 v[52:53], v[136:137], v[142:143]
	v_fma_f64 v[52:53], v[134:135], v[50:51], -v[52:53]
	v_mul_f64 v[134:135], v[134:135], v[142:143]
	v_add_f64 v[2:3], v[2:3], -v[52:53]
	v_fma_f64 v[134:135], v[136:137], v[50:51], v[134:135]
	v_mov_b32_e32 v52, v142
	v_mov_b32_e32 v53, v143
	v_add_f64 v[4:5], v[4:5], -v[134:135]
.LBB64_440:
	s_or_b32 exec_lo, exec_lo, s0
	v_lshl_add_u32 v134, v148, 4, v1
	s_barrier
	buffer_gl0_inv
	v_mov_b32_e32 v142, 21
	ds_write2_b64 v134, v[46:47], v[48:49] offset1:1
	s_waitcnt lgkmcnt(0)
	s_barrier
	buffer_gl0_inv
	ds_read2_b64 v[134:137], v1 offset0:42 offset1:43
	s_cmp_lt_i32 s18, 23
	s_cbranch_scc1 .LBB64_443
; %bb.441:
	v_add3_u32 v143, v144, 0, 0x160
	v_mov_b32_e32 v142, 21
	s_mov_b32 s1, 22
	s_inst_prefetch 0x1
	.p2align	6
.LBB64_442:                             ; =>This Inner Loop Header: Depth=1
	s_waitcnt lgkmcnt(0)
	v_cmp_gt_f64_e32 vcc_lo, 0, v[136:137]
	v_cmp_gt_f64_e64 s0, 0, v[134:135]
	ds_read2_b64 v[149:152], v143 offset1:1
	v_xor_b32_e32 v154, 0x80000000, v135
	v_xor_b32_e32 v156, 0x80000000, v137
	v_mov_b32_e32 v153, v134
	v_mov_b32_e32 v155, v136
	v_add_nc_u32_e32 v143, 16, v143
	s_waitcnt lgkmcnt(0)
	v_xor_b32_e32 v158, 0x80000000, v152
	v_cndmask_b32_e64 v154, v135, v154, s0
	v_cndmask_b32_e32 v156, v137, v156, vcc_lo
	v_cmp_gt_f64_e32 vcc_lo, 0, v[151:152]
	v_cmp_gt_f64_e64 s0, 0, v[149:150]
	v_mov_b32_e32 v157, v151
	v_add_f64 v[153:154], v[153:154], v[155:156]
	v_xor_b32_e32 v156, 0x80000000, v150
	v_mov_b32_e32 v155, v149
	v_cndmask_b32_e32 v158, v152, v158, vcc_lo
	v_cndmask_b32_e64 v156, v150, v156, s0
	v_add_f64 v[155:156], v[155:156], v[157:158]
	v_cmp_lt_f64_e32 vcc_lo, v[153:154], v[155:156]
	v_cndmask_b32_e32 v135, v135, v150, vcc_lo
	v_cndmask_b32_e32 v134, v134, v149, vcc_lo
	;; [unrolled: 1-line block ×4, first 2 shown]
	v_cndmask_b32_e64 v142, v142, s1, vcc_lo
	s_add_i32 s1, s1, 1
	s_cmp_lg_u32 s18, s1
	s_cbranch_scc1 .LBB64_442
.LBB64_443:
	s_inst_prefetch 0x2
	s_waitcnt lgkmcnt(0)
	v_cmp_eq_f64_e32 vcc_lo, 0, v[134:135]
	v_cmp_eq_f64_e64 s0, 0, v[136:137]
	s_and_b32 s0, vcc_lo, s0
	s_and_saveexec_b32 s1, s0
	s_xor_b32 s0, exec_lo, s1
; %bb.444:
	v_cmp_ne_u32_e32 vcc_lo, 0, v147
	v_cndmask_b32_e32 v147, 22, v147, vcc_lo
; %bb.445:
	s_andn2_saveexec_b32 s0, s0
	s_cbranch_execz .LBB64_451
; %bb.446:
	v_cmp_ngt_f64_e64 s1, |v[134:135]|, |v[136:137]|
	s_and_saveexec_b32 s2, s1
	s_xor_b32 s1, exec_lo, s2
	s_cbranch_execz .LBB64_448
; %bb.447:
	v_div_scale_f64 v[149:150], null, v[136:137], v[136:137], v[134:135]
	v_div_scale_f64 v[155:156], vcc_lo, v[134:135], v[136:137], v[134:135]
	v_rcp_f64_e32 v[151:152], v[149:150]
	v_fma_f64 v[153:154], -v[149:150], v[151:152], 1.0
	v_fma_f64 v[151:152], v[151:152], v[153:154], v[151:152]
	v_fma_f64 v[153:154], -v[149:150], v[151:152], 1.0
	v_fma_f64 v[151:152], v[151:152], v[153:154], v[151:152]
	v_mul_f64 v[153:154], v[155:156], v[151:152]
	v_fma_f64 v[149:150], -v[149:150], v[153:154], v[155:156]
	v_div_fmas_f64 v[149:150], v[149:150], v[151:152], v[153:154]
	v_div_fixup_f64 v[149:150], v[149:150], v[136:137], v[134:135]
	v_fma_f64 v[134:135], v[134:135], v[149:150], v[136:137]
	v_div_scale_f64 v[136:137], null, v[134:135], v[134:135], 1.0
	v_rcp_f64_e32 v[151:152], v[136:137]
	v_fma_f64 v[153:154], -v[136:137], v[151:152], 1.0
	v_fma_f64 v[151:152], v[151:152], v[153:154], v[151:152]
	v_fma_f64 v[153:154], -v[136:137], v[151:152], 1.0
	v_fma_f64 v[151:152], v[151:152], v[153:154], v[151:152]
	v_div_scale_f64 v[153:154], vcc_lo, 1.0, v[134:135], 1.0
	v_mul_f64 v[155:156], v[153:154], v[151:152]
	v_fma_f64 v[136:137], -v[136:137], v[155:156], v[153:154]
	v_div_fmas_f64 v[136:137], v[136:137], v[151:152], v[155:156]
	v_div_fixup_f64 v[136:137], v[136:137], v[134:135], 1.0
	v_mul_f64 v[134:135], v[149:150], v[136:137]
	v_xor_b32_e32 v137, 0x80000000, v137
.LBB64_448:
	s_andn2_saveexec_b32 s1, s1
	s_cbranch_execz .LBB64_450
; %bb.449:
	v_div_scale_f64 v[149:150], null, v[134:135], v[134:135], v[136:137]
	v_div_scale_f64 v[155:156], vcc_lo, v[136:137], v[134:135], v[136:137]
	v_rcp_f64_e32 v[151:152], v[149:150]
	v_fma_f64 v[153:154], -v[149:150], v[151:152], 1.0
	v_fma_f64 v[151:152], v[151:152], v[153:154], v[151:152]
	v_fma_f64 v[153:154], -v[149:150], v[151:152], 1.0
	v_fma_f64 v[151:152], v[151:152], v[153:154], v[151:152]
	v_mul_f64 v[153:154], v[155:156], v[151:152]
	v_fma_f64 v[149:150], -v[149:150], v[153:154], v[155:156]
	v_div_fmas_f64 v[149:150], v[149:150], v[151:152], v[153:154]
	v_div_fixup_f64 v[149:150], v[149:150], v[134:135], v[136:137]
	v_fma_f64 v[134:135], v[136:137], v[149:150], v[134:135]
	v_div_scale_f64 v[136:137], null, v[134:135], v[134:135], 1.0
	v_rcp_f64_e32 v[151:152], v[136:137]
	v_fma_f64 v[153:154], -v[136:137], v[151:152], 1.0
	v_fma_f64 v[151:152], v[151:152], v[153:154], v[151:152]
	v_fma_f64 v[153:154], -v[136:137], v[151:152], 1.0
	v_fma_f64 v[151:152], v[151:152], v[153:154], v[151:152]
	v_div_scale_f64 v[153:154], vcc_lo, 1.0, v[134:135], 1.0
	v_mul_f64 v[155:156], v[153:154], v[151:152]
	v_fma_f64 v[136:137], -v[136:137], v[155:156], v[153:154]
	v_div_fmas_f64 v[136:137], v[136:137], v[151:152], v[155:156]
	v_div_fixup_f64 v[134:135], v[136:137], v[134:135], 1.0
	v_mul_f64 v[136:137], v[149:150], -v[134:135]
.LBB64_450:
	s_or_b32 exec_lo, exec_lo, s1
.LBB64_451:
	s_or_b32 exec_lo, exec_lo, s0
	s_mov_b32 s0, exec_lo
	v_cmpx_ne_u32_e64 v148, v142
	s_xor_b32 s0, exec_lo, s0
	s_cbranch_execz .LBB64_457
; %bb.452:
	s_mov_b32 s1, exec_lo
	v_cmpx_eq_u32_e32 21, v148
	s_cbranch_execz .LBB64_456
; %bb.453:
	v_cmp_ne_u32_e32 vcc_lo, 21, v142
	s_xor_b32 s2, s16, -1
	s_and_b32 s3, s2, vcc_lo
	s_and_saveexec_b32 s2, s3
	s_cbranch_execz .LBB64_455
; %bb.454:
	v_ashrrev_i32_e32 v143, 31, v142
	v_lshlrev_b64 v[148:149], 2, v[142:143]
	v_add_co_u32 v148, vcc_lo, v140, v148
	v_add_co_ci_u32_e64 v149, null, v141, v149, vcc_lo
	s_clause 0x1
	global_load_dword v0, v[148:149], off
	global_load_dword v143, v[140:141], off offset:84
	s_waitcnt vmcnt(1)
	global_store_dword v[140:141], v0, off offset:84
	s_waitcnt vmcnt(0)
	global_store_dword v[148:149], v143, off
.LBB64_455:
	s_or_b32 exec_lo, exec_lo, s2
	v_mov_b32_e32 v148, v142
	v_mov_b32_e32 v0, v142
.LBB64_456:
	s_or_b32 exec_lo, exec_lo, s1
.LBB64_457:
	s_andn2_saveexec_b32 s0, s0
	s_cbranch_execz .LBB64_459
; %bb.458:
	v_mov_b32_e32 v148, 21
	ds_write2_b64 v1, v[42:43], v[44:45] offset0:44 offset1:45
	ds_write2_b64 v1, v[38:39], v[40:41] offset0:46 offset1:47
	;; [unrolled: 1-line block ×11, first 2 shown]
.LBB64_459:
	s_or_b32 exec_lo, exec_lo, s0
	s_mov_b32 s0, exec_lo
	s_waitcnt lgkmcnt(0)
	s_waitcnt_vscnt null, 0x0
	s_barrier
	buffer_gl0_inv
	v_cmpx_lt_i32_e32 21, v148
	s_cbranch_execz .LBB64_461
; %bb.460:
	v_mul_f64 v[142:143], v[134:135], v[48:49]
	v_mul_f64 v[48:49], v[136:137], v[48:49]
	v_fma_f64 v[142:143], v[136:137], v[46:47], v[142:143]
	v_fma_f64 v[46:47], v[134:135], v[46:47], -v[48:49]
	ds_read2_b64 v[134:137], v1 offset0:44 offset1:45
	s_waitcnt lgkmcnt(0)
	v_mul_f64 v[48:49], v[136:137], v[142:143]
	v_fma_f64 v[48:49], v[134:135], v[46:47], -v[48:49]
	v_mul_f64 v[134:135], v[134:135], v[142:143]
	v_add_f64 v[42:43], v[42:43], -v[48:49]
	v_fma_f64 v[134:135], v[136:137], v[46:47], v[134:135]
	v_add_f64 v[44:45], v[44:45], -v[134:135]
	ds_read2_b64 v[134:137], v1 offset0:46 offset1:47
	s_waitcnt lgkmcnt(0)
	v_mul_f64 v[48:49], v[136:137], v[142:143]
	v_fma_f64 v[48:49], v[134:135], v[46:47], -v[48:49]
	v_mul_f64 v[134:135], v[134:135], v[142:143]
	v_add_f64 v[38:39], v[38:39], -v[48:49]
	v_fma_f64 v[134:135], v[136:137], v[46:47], v[134:135]
	v_add_f64 v[40:41], v[40:41], -v[134:135]
	;; [unrolled: 8-line block ×10, first 2 shown]
	ds_read2_b64 v[134:137], v1 offset0:64 offset1:65
	s_waitcnt lgkmcnt(0)
	v_mul_f64 v[48:49], v[136:137], v[142:143]
	v_fma_f64 v[48:49], v[134:135], v[46:47], -v[48:49]
	v_mul_f64 v[134:135], v[134:135], v[142:143]
	v_add_f64 v[2:3], v[2:3], -v[48:49]
	v_fma_f64 v[134:135], v[136:137], v[46:47], v[134:135]
	v_mov_b32_e32 v48, v142
	v_mov_b32_e32 v49, v143
	v_add_f64 v[4:5], v[4:5], -v[134:135]
.LBB64_461:
	s_or_b32 exec_lo, exec_lo, s0
	v_lshl_add_u32 v134, v148, 4, v1
	s_barrier
	buffer_gl0_inv
	v_mov_b32_e32 v142, 22
	ds_write2_b64 v134, v[42:43], v[44:45] offset1:1
	s_waitcnt lgkmcnt(0)
	s_barrier
	buffer_gl0_inv
	ds_read2_b64 v[134:137], v1 offset0:44 offset1:45
	s_cmp_lt_i32 s18, 24
	s_cbranch_scc1 .LBB64_464
; %bb.462:
	v_add3_u32 v143, v144, 0, 0x170
	v_mov_b32_e32 v142, 22
	s_mov_b32 s1, 23
	s_inst_prefetch 0x1
	.p2align	6
.LBB64_463:                             ; =>This Inner Loop Header: Depth=1
	s_waitcnt lgkmcnt(0)
	v_cmp_gt_f64_e32 vcc_lo, 0, v[136:137]
	v_cmp_gt_f64_e64 s0, 0, v[134:135]
	ds_read2_b64 v[149:152], v143 offset1:1
	v_xor_b32_e32 v154, 0x80000000, v135
	v_xor_b32_e32 v156, 0x80000000, v137
	v_mov_b32_e32 v153, v134
	v_mov_b32_e32 v155, v136
	v_add_nc_u32_e32 v143, 16, v143
	s_waitcnt lgkmcnt(0)
	v_xor_b32_e32 v158, 0x80000000, v152
	v_cndmask_b32_e64 v154, v135, v154, s0
	v_cndmask_b32_e32 v156, v137, v156, vcc_lo
	v_cmp_gt_f64_e32 vcc_lo, 0, v[151:152]
	v_cmp_gt_f64_e64 s0, 0, v[149:150]
	v_mov_b32_e32 v157, v151
	v_add_f64 v[153:154], v[153:154], v[155:156]
	v_xor_b32_e32 v156, 0x80000000, v150
	v_mov_b32_e32 v155, v149
	v_cndmask_b32_e32 v158, v152, v158, vcc_lo
	v_cndmask_b32_e64 v156, v150, v156, s0
	v_add_f64 v[155:156], v[155:156], v[157:158]
	v_cmp_lt_f64_e32 vcc_lo, v[153:154], v[155:156]
	v_cndmask_b32_e32 v135, v135, v150, vcc_lo
	v_cndmask_b32_e32 v134, v134, v149, vcc_lo
	;; [unrolled: 1-line block ×4, first 2 shown]
	v_cndmask_b32_e64 v142, v142, s1, vcc_lo
	s_add_i32 s1, s1, 1
	s_cmp_lg_u32 s18, s1
	s_cbranch_scc1 .LBB64_463
.LBB64_464:
	s_inst_prefetch 0x2
	s_waitcnt lgkmcnt(0)
	v_cmp_eq_f64_e32 vcc_lo, 0, v[134:135]
	v_cmp_eq_f64_e64 s0, 0, v[136:137]
	s_and_b32 s0, vcc_lo, s0
	s_and_saveexec_b32 s1, s0
	s_xor_b32 s0, exec_lo, s1
; %bb.465:
	v_cmp_ne_u32_e32 vcc_lo, 0, v147
	v_cndmask_b32_e32 v147, 23, v147, vcc_lo
; %bb.466:
	s_andn2_saveexec_b32 s0, s0
	s_cbranch_execz .LBB64_472
; %bb.467:
	v_cmp_ngt_f64_e64 s1, |v[134:135]|, |v[136:137]|
	s_and_saveexec_b32 s2, s1
	s_xor_b32 s1, exec_lo, s2
	s_cbranch_execz .LBB64_469
; %bb.468:
	v_div_scale_f64 v[149:150], null, v[136:137], v[136:137], v[134:135]
	v_div_scale_f64 v[155:156], vcc_lo, v[134:135], v[136:137], v[134:135]
	v_rcp_f64_e32 v[151:152], v[149:150]
	v_fma_f64 v[153:154], -v[149:150], v[151:152], 1.0
	v_fma_f64 v[151:152], v[151:152], v[153:154], v[151:152]
	v_fma_f64 v[153:154], -v[149:150], v[151:152], 1.0
	v_fma_f64 v[151:152], v[151:152], v[153:154], v[151:152]
	v_mul_f64 v[153:154], v[155:156], v[151:152]
	v_fma_f64 v[149:150], -v[149:150], v[153:154], v[155:156]
	v_div_fmas_f64 v[149:150], v[149:150], v[151:152], v[153:154]
	v_div_fixup_f64 v[149:150], v[149:150], v[136:137], v[134:135]
	v_fma_f64 v[134:135], v[134:135], v[149:150], v[136:137]
	v_div_scale_f64 v[136:137], null, v[134:135], v[134:135], 1.0
	v_rcp_f64_e32 v[151:152], v[136:137]
	v_fma_f64 v[153:154], -v[136:137], v[151:152], 1.0
	v_fma_f64 v[151:152], v[151:152], v[153:154], v[151:152]
	v_fma_f64 v[153:154], -v[136:137], v[151:152], 1.0
	v_fma_f64 v[151:152], v[151:152], v[153:154], v[151:152]
	v_div_scale_f64 v[153:154], vcc_lo, 1.0, v[134:135], 1.0
	v_mul_f64 v[155:156], v[153:154], v[151:152]
	v_fma_f64 v[136:137], -v[136:137], v[155:156], v[153:154]
	v_div_fmas_f64 v[136:137], v[136:137], v[151:152], v[155:156]
	v_div_fixup_f64 v[136:137], v[136:137], v[134:135], 1.0
	v_mul_f64 v[134:135], v[149:150], v[136:137]
	v_xor_b32_e32 v137, 0x80000000, v137
.LBB64_469:
	s_andn2_saveexec_b32 s1, s1
	s_cbranch_execz .LBB64_471
; %bb.470:
	v_div_scale_f64 v[149:150], null, v[134:135], v[134:135], v[136:137]
	v_div_scale_f64 v[155:156], vcc_lo, v[136:137], v[134:135], v[136:137]
	v_rcp_f64_e32 v[151:152], v[149:150]
	v_fma_f64 v[153:154], -v[149:150], v[151:152], 1.0
	v_fma_f64 v[151:152], v[151:152], v[153:154], v[151:152]
	v_fma_f64 v[153:154], -v[149:150], v[151:152], 1.0
	v_fma_f64 v[151:152], v[151:152], v[153:154], v[151:152]
	v_mul_f64 v[153:154], v[155:156], v[151:152]
	v_fma_f64 v[149:150], -v[149:150], v[153:154], v[155:156]
	v_div_fmas_f64 v[149:150], v[149:150], v[151:152], v[153:154]
	v_div_fixup_f64 v[149:150], v[149:150], v[134:135], v[136:137]
	v_fma_f64 v[134:135], v[136:137], v[149:150], v[134:135]
	v_div_scale_f64 v[136:137], null, v[134:135], v[134:135], 1.0
	v_rcp_f64_e32 v[151:152], v[136:137]
	v_fma_f64 v[153:154], -v[136:137], v[151:152], 1.0
	v_fma_f64 v[151:152], v[151:152], v[153:154], v[151:152]
	v_fma_f64 v[153:154], -v[136:137], v[151:152], 1.0
	v_fma_f64 v[151:152], v[151:152], v[153:154], v[151:152]
	v_div_scale_f64 v[153:154], vcc_lo, 1.0, v[134:135], 1.0
	v_mul_f64 v[155:156], v[153:154], v[151:152]
	v_fma_f64 v[136:137], -v[136:137], v[155:156], v[153:154]
	v_div_fmas_f64 v[136:137], v[136:137], v[151:152], v[155:156]
	v_div_fixup_f64 v[134:135], v[136:137], v[134:135], 1.0
	v_mul_f64 v[136:137], v[149:150], -v[134:135]
.LBB64_471:
	s_or_b32 exec_lo, exec_lo, s1
.LBB64_472:
	s_or_b32 exec_lo, exec_lo, s0
	s_mov_b32 s0, exec_lo
	v_cmpx_ne_u32_e64 v148, v142
	s_xor_b32 s0, exec_lo, s0
	s_cbranch_execz .LBB64_478
; %bb.473:
	s_mov_b32 s1, exec_lo
	v_cmpx_eq_u32_e32 22, v148
	s_cbranch_execz .LBB64_477
; %bb.474:
	v_cmp_ne_u32_e32 vcc_lo, 22, v142
	s_xor_b32 s2, s16, -1
	s_and_b32 s3, s2, vcc_lo
	s_and_saveexec_b32 s2, s3
	s_cbranch_execz .LBB64_476
; %bb.475:
	v_ashrrev_i32_e32 v143, 31, v142
	v_lshlrev_b64 v[148:149], 2, v[142:143]
	v_add_co_u32 v148, vcc_lo, v140, v148
	v_add_co_ci_u32_e64 v149, null, v141, v149, vcc_lo
	s_clause 0x1
	global_load_dword v0, v[148:149], off
	global_load_dword v143, v[140:141], off offset:88
	s_waitcnt vmcnt(1)
	global_store_dword v[140:141], v0, off offset:88
	s_waitcnt vmcnt(0)
	global_store_dword v[148:149], v143, off
.LBB64_476:
	s_or_b32 exec_lo, exec_lo, s2
	v_mov_b32_e32 v148, v142
	v_mov_b32_e32 v0, v142
.LBB64_477:
	s_or_b32 exec_lo, exec_lo, s1
.LBB64_478:
	s_andn2_saveexec_b32 s0, s0
	s_cbranch_execz .LBB64_480
; %bb.479:
	v_mov_b32_e32 v148, 22
	ds_write2_b64 v1, v[38:39], v[40:41] offset0:46 offset1:47
	ds_write2_b64 v1, v[34:35], v[36:37] offset0:48 offset1:49
	;; [unrolled: 1-line block ×10, first 2 shown]
.LBB64_480:
	s_or_b32 exec_lo, exec_lo, s0
	s_mov_b32 s0, exec_lo
	s_waitcnt lgkmcnt(0)
	s_waitcnt_vscnt null, 0x0
	s_barrier
	buffer_gl0_inv
	v_cmpx_lt_i32_e32 22, v148
	s_cbranch_execz .LBB64_482
; %bb.481:
	v_mul_f64 v[142:143], v[134:135], v[44:45]
	v_mul_f64 v[44:45], v[136:137], v[44:45]
	v_fma_f64 v[142:143], v[136:137], v[42:43], v[142:143]
	v_fma_f64 v[42:43], v[134:135], v[42:43], -v[44:45]
	ds_read2_b64 v[134:137], v1 offset0:46 offset1:47
	s_waitcnt lgkmcnt(0)
	v_mul_f64 v[44:45], v[136:137], v[142:143]
	v_fma_f64 v[44:45], v[134:135], v[42:43], -v[44:45]
	v_mul_f64 v[134:135], v[134:135], v[142:143]
	v_add_f64 v[38:39], v[38:39], -v[44:45]
	v_fma_f64 v[134:135], v[136:137], v[42:43], v[134:135]
	v_add_f64 v[40:41], v[40:41], -v[134:135]
	ds_read2_b64 v[134:137], v1 offset0:48 offset1:49
	s_waitcnt lgkmcnt(0)
	v_mul_f64 v[44:45], v[136:137], v[142:143]
	v_fma_f64 v[44:45], v[134:135], v[42:43], -v[44:45]
	v_mul_f64 v[134:135], v[134:135], v[142:143]
	v_add_f64 v[34:35], v[34:35], -v[44:45]
	v_fma_f64 v[134:135], v[136:137], v[42:43], v[134:135]
	v_add_f64 v[36:37], v[36:37], -v[134:135]
	;; [unrolled: 8-line block ×9, first 2 shown]
	ds_read2_b64 v[134:137], v1 offset0:64 offset1:65
	s_waitcnt lgkmcnt(0)
	v_mul_f64 v[44:45], v[136:137], v[142:143]
	v_fma_f64 v[44:45], v[134:135], v[42:43], -v[44:45]
	v_mul_f64 v[134:135], v[134:135], v[142:143]
	v_add_f64 v[2:3], v[2:3], -v[44:45]
	v_fma_f64 v[134:135], v[136:137], v[42:43], v[134:135]
	v_mov_b32_e32 v44, v142
	v_mov_b32_e32 v45, v143
	v_add_f64 v[4:5], v[4:5], -v[134:135]
.LBB64_482:
	s_or_b32 exec_lo, exec_lo, s0
	v_lshl_add_u32 v134, v148, 4, v1
	s_barrier
	buffer_gl0_inv
	v_mov_b32_e32 v142, 23
	ds_write2_b64 v134, v[38:39], v[40:41] offset1:1
	s_waitcnt lgkmcnt(0)
	s_barrier
	buffer_gl0_inv
	ds_read2_b64 v[134:137], v1 offset0:46 offset1:47
	s_cmp_lt_i32 s18, 25
	s_cbranch_scc1 .LBB64_485
; %bb.483:
	v_add3_u32 v143, v144, 0, 0x180
	v_mov_b32_e32 v142, 23
	s_mov_b32 s1, 24
	s_inst_prefetch 0x1
	.p2align	6
.LBB64_484:                             ; =>This Inner Loop Header: Depth=1
	s_waitcnt lgkmcnt(0)
	v_cmp_gt_f64_e32 vcc_lo, 0, v[136:137]
	v_cmp_gt_f64_e64 s0, 0, v[134:135]
	ds_read2_b64 v[149:152], v143 offset1:1
	v_xor_b32_e32 v154, 0x80000000, v135
	v_xor_b32_e32 v156, 0x80000000, v137
	v_mov_b32_e32 v153, v134
	v_mov_b32_e32 v155, v136
	v_add_nc_u32_e32 v143, 16, v143
	s_waitcnt lgkmcnt(0)
	v_xor_b32_e32 v158, 0x80000000, v152
	v_cndmask_b32_e64 v154, v135, v154, s0
	v_cndmask_b32_e32 v156, v137, v156, vcc_lo
	v_cmp_gt_f64_e32 vcc_lo, 0, v[151:152]
	v_cmp_gt_f64_e64 s0, 0, v[149:150]
	v_mov_b32_e32 v157, v151
	v_add_f64 v[153:154], v[153:154], v[155:156]
	v_xor_b32_e32 v156, 0x80000000, v150
	v_mov_b32_e32 v155, v149
	v_cndmask_b32_e32 v158, v152, v158, vcc_lo
	v_cndmask_b32_e64 v156, v150, v156, s0
	v_add_f64 v[155:156], v[155:156], v[157:158]
	v_cmp_lt_f64_e32 vcc_lo, v[153:154], v[155:156]
	v_cndmask_b32_e32 v135, v135, v150, vcc_lo
	v_cndmask_b32_e32 v134, v134, v149, vcc_lo
	v_cndmask_b32_e32 v137, v137, v152, vcc_lo
	v_cndmask_b32_e32 v136, v136, v151, vcc_lo
	v_cndmask_b32_e64 v142, v142, s1, vcc_lo
	s_add_i32 s1, s1, 1
	s_cmp_lg_u32 s18, s1
	s_cbranch_scc1 .LBB64_484
.LBB64_485:
	s_inst_prefetch 0x2
	s_waitcnt lgkmcnt(0)
	v_cmp_eq_f64_e32 vcc_lo, 0, v[134:135]
	v_cmp_eq_f64_e64 s0, 0, v[136:137]
	s_and_b32 s0, vcc_lo, s0
	s_and_saveexec_b32 s1, s0
	s_xor_b32 s0, exec_lo, s1
; %bb.486:
	v_cmp_ne_u32_e32 vcc_lo, 0, v147
	v_cndmask_b32_e32 v147, 24, v147, vcc_lo
; %bb.487:
	s_andn2_saveexec_b32 s0, s0
	s_cbranch_execz .LBB64_493
; %bb.488:
	v_cmp_ngt_f64_e64 s1, |v[134:135]|, |v[136:137]|
	s_and_saveexec_b32 s2, s1
	s_xor_b32 s1, exec_lo, s2
	s_cbranch_execz .LBB64_490
; %bb.489:
	v_div_scale_f64 v[149:150], null, v[136:137], v[136:137], v[134:135]
	v_div_scale_f64 v[155:156], vcc_lo, v[134:135], v[136:137], v[134:135]
	v_rcp_f64_e32 v[151:152], v[149:150]
	v_fma_f64 v[153:154], -v[149:150], v[151:152], 1.0
	v_fma_f64 v[151:152], v[151:152], v[153:154], v[151:152]
	v_fma_f64 v[153:154], -v[149:150], v[151:152], 1.0
	v_fma_f64 v[151:152], v[151:152], v[153:154], v[151:152]
	v_mul_f64 v[153:154], v[155:156], v[151:152]
	v_fma_f64 v[149:150], -v[149:150], v[153:154], v[155:156]
	v_div_fmas_f64 v[149:150], v[149:150], v[151:152], v[153:154]
	v_div_fixup_f64 v[149:150], v[149:150], v[136:137], v[134:135]
	v_fma_f64 v[134:135], v[134:135], v[149:150], v[136:137]
	v_div_scale_f64 v[136:137], null, v[134:135], v[134:135], 1.0
	v_rcp_f64_e32 v[151:152], v[136:137]
	v_fma_f64 v[153:154], -v[136:137], v[151:152], 1.0
	v_fma_f64 v[151:152], v[151:152], v[153:154], v[151:152]
	v_fma_f64 v[153:154], -v[136:137], v[151:152], 1.0
	v_fma_f64 v[151:152], v[151:152], v[153:154], v[151:152]
	v_div_scale_f64 v[153:154], vcc_lo, 1.0, v[134:135], 1.0
	v_mul_f64 v[155:156], v[153:154], v[151:152]
	v_fma_f64 v[136:137], -v[136:137], v[155:156], v[153:154]
	v_div_fmas_f64 v[136:137], v[136:137], v[151:152], v[155:156]
	v_div_fixup_f64 v[136:137], v[136:137], v[134:135], 1.0
	v_mul_f64 v[134:135], v[149:150], v[136:137]
	v_xor_b32_e32 v137, 0x80000000, v137
.LBB64_490:
	s_andn2_saveexec_b32 s1, s1
	s_cbranch_execz .LBB64_492
; %bb.491:
	v_div_scale_f64 v[149:150], null, v[134:135], v[134:135], v[136:137]
	v_div_scale_f64 v[155:156], vcc_lo, v[136:137], v[134:135], v[136:137]
	v_rcp_f64_e32 v[151:152], v[149:150]
	v_fma_f64 v[153:154], -v[149:150], v[151:152], 1.0
	v_fma_f64 v[151:152], v[151:152], v[153:154], v[151:152]
	v_fma_f64 v[153:154], -v[149:150], v[151:152], 1.0
	v_fma_f64 v[151:152], v[151:152], v[153:154], v[151:152]
	v_mul_f64 v[153:154], v[155:156], v[151:152]
	v_fma_f64 v[149:150], -v[149:150], v[153:154], v[155:156]
	v_div_fmas_f64 v[149:150], v[149:150], v[151:152], v[153:154]
	v_div_fixup_f64 v[149:150], v[149:150], v[134:135], v[136:137]
	v_fma_f64 v[134:135], v[136:137], v[149:150], v[134:135]
	v_div_scale_f64 v[136:137], null, v[134:135], v[134:135], 1.0
	v_rcp_f64_e32 v[151:152], v[136:137]
	v_fma_f64 v[153:154], -v[136:137], v[151:152], 1.0
	v_fma_f64 v[151:152], v[151:152], v[153:154], v[151:152]
	v_fma_f64 v[153:154], -v[136:137], v[151:152], 1.0
	v_fma_f64 v[151:152], v[151:152], v[153:154], v[151:152]
	v_div_scale_f64 v[153:154], vcc_lo, 1.0, v[134:135], 1.0
	v_mul_f64 v[155:156], v[153:154], v[151:152]
	v_fma_f64 v[136:137], -v[136:137], v[155:156], v[153:154]
	v_div_fmas_f64 v[136:137], v[136:137], v[151:152], v[155:156]
	v_div_fixup_f64 v[134:135], v[136:137], v[134:135], 1.0
	v_mul_f64 v[136:137], v[149:150], -v[134:135]
.LBB64_492:
	s_or_b32 exec_lo, exec_lo, s1
.LBB64_493:
	s_or_b32 exec_lo, exec_lo, s0
	s_mov_b32 s0, exec_lo
	v_cmpx_ne_u32_e64 v148, v142
	s_xor_b32 s0, exec_lo, s0
	s_cbranch_execz .LBB64_499
; %bb.494:
	s_mov_b32 s1, exec_lo
	v_cmpx_eq_u32_e32 23, v148
	s_cbranch_execz .LBB64_498
; %bb.495:
	v_cmp_ne_u32_e32 vcc_lo, 23, v142
	s_xor_b32 s2, s16, -1
	s_and_b32 s3, s2, vcc_lo
	s_and_saveexec_b32 s2, s3
	s_cbranch_execz .LBB64_497
; %bb.496:
	v_ashrrev_i32_e32 v143, 31, v142
	v_lshlrev_b64 v[148:149], 2, v[142:143]
	v_add_co_u32 v148, vcc_lo, v140, v148
	v_add_co_ci_u32_e64 v149, null, v141, v149, vcc_lo
	s_clause 0x1
	global_load_dword v0, v[148:149], off
	global_load_dword v143, v[140:141], off offset:92
	s_waitcnt vmcnt(1)
	global_store_dword v[140:141], v0, off offset:92
	s_waitcnt vmcnt(0)
	global_store_dword v[148:149], v143, off
.LBB64_497:
	s_or_b32 exec_lo, exec_lo, s2
	v_mov_b32_e32 v148, v142
	v_mov_b32_e32 v0, v142
.LBB64_498:
	s_or_b32 exec_lo, exec_lo, s1
.LBB64_499:
	s_andn2_saveexec_b32 s0, s0
	s_cbranch_execz .LBB64_501
; %bb.500:
	v_mov_b32_e32 v148, 23
	ds_write2_b64 v1, v[34:35], v[36:37] offset0:48 offset1:49
	ds_write2_b64 v1, v[30:31], v[32:33] offset0:50 offset1:51
	ds_write2_b64 v1, v[26:27], v[28:29] offset0:52 offset1:53
	ds_write2_b64 v1, v[22:23], v[24:25] offset0:54 offset1:55
	ds_write2_b64 v1, v[18:19], v[20:21] offset0:56 offset1:57
	ds_write2_b64 v1, v[14:15], v[16:17] offset0:58 offset1:59
	ds_write2_b64 v1, v[10:11], v[12:13] offset0:60 offset1:61
	ds_write2_b64 v1, v[6:7], v[8:9] offset0:62 offset1:63
	ds_write2_b64 v1, v[2:3], v[4:5] offset0:64 offset1:65
.LBB64_501:
	s_or_b32 exec_lo, exec_lo, s0
	s_mov_b32 s0, exec_lo
	s_waitcnt lgkmcnt(0)
	s_waitcnt_vscnt null, 0x0
	s_barrier
	buffer_gl0_inv
	v_cmpx_lt_i32_e32 23, v148
	s_cbranch_execz .LBB64_503
; %bb.502:
	v_mul_f64 v[142:143], v[134:135], v[40:41]
	v_mul_f64 v[40:41], v[136:137], v[40:41]
	v_fma_f64 v[142:143], v[136:137], v[38:39], v[142:143]
	v_fma_f64 v[38:39], v[134:135], v[38:39], -v[40:41]
	ds_read2_b64 v[134:137], v1 offset0:48 offset1:49
	s_waitcnt lgkmcnt(0)
	v_mul_f64 v[40:41], v[136:137], v[142:143]
	v_fma_f64 v[40:41], v[134:135], v[38:39], -v[40:41]
	v_mul_f64 v[134:135], v[134:135], v[142:143]
	v_add_f64 v[34:35], v[34:35], -v[40:41]
	v_fma_f64 v[134:135], v[136:137], v[38:39], v[134:135]
	v_add_f64 v[36:37], v[36:37], -v[134:135]
	ds_read2_b64 v[134:137], v1 offset0:50 offset1:51
	s_waitcnt lgkmcnt(0)
	v_mul_f64 v[40:41], v[136:137], v[142:143]
	v_fma_f64 v[40:41], v[134:135], v[38:39], -v[40:41]
	v_mul_f64 v[134:135], v[134:135], v[142:143]
	v_add_f64 v[30:31], v[30:31], -v[40:41]
	v_fma_f64 v[134:135], v[136:137], v[38:39], v[134:135]
	v_add_f64 v[32:33], v[32:33], -v[134:135]
	;; [unrolled: 8-line block ×8, first 2 shown]
	ds_read2_b64 v[134:137], v1 offset0:64 offset1:65
	s_waitcnt lgkmcnt(0)
	v_mul_f64 v[40:41], v[136:137], v[142:143]
	v_fma_f64 v[40:41], v[134:135], v[38:39], -v[40:41]
	v_mul_f64 v[134:135], v[134:135], v[142:143]
	v_add_f64 v[2:3], v[2:3], -v[40:41]
	v_fma_f64 v[134:135], v[136:137], v[38:39], v[134:135]
	v_mov_b32_e32 v40, v142
	v_mov_b32_e32 v41, v143
	v_add_f64 v[4:5], v[4:5], -v[134:135]
.LBB64_503:
	s_or_b32 exec_lo, exec_lo, s0
	v_lshl_add_u32 v134, v148, 4, v1
	s_barrier
	buffer_gl0_inv
	v_mov_b32_e32 v142, 24
	ds_write2_b64 v134, v[34:35], v[36:37] offset1:1
	s_waitcnt lgkmcnt(0)
	s_barrier
	buffer_gl0_inv
	ds_read2_b64 v[134:137], v1 offset0:48 offset1:49
	s_cmp_lt_i32 s18, 26
	s_cbranch_scc1 .LBB64_506
; %bb.504:
	v_add3_u32 v143, v144, 0, 0x190
	v_mov_b32_e32 v142, 24
	s_mov_b32 s1, 25
	s_inst_prefetch 0x1
	.p2align	6
.LBB64_505:                             ; =>This Inner Loop Header: Depth=1
	s_waitcnt lgkmcnt(0)
	v_cmp_gt_f64_e32 vcc_lo, 0, v[136:137]
	v_cmp_gt_f64_e64 s0, 0, v[134:135]
	ds_read2_b64 v[149:152], v143 offset1:1
	v_xor_b32_e32 v154, 0x80000000, v135
	v_xor_b32_e32 v156, 0x80000000, v137
	v_mov_b32_e32 v153, v134
	v_mov_b32_e32 v155, v136
	v_add_nc_u32_e32 v143, 16, v143
	s_waitcnt lgkmcnt(0)
	v_xor_b32_e32 v158, 0x80000000, v152
	v_cndmask_b32_e64 v154, v135, v154, s0
	v_cndmask_b32_e32 v156, v137, v156, vcc_lo
	v_cmp_gt_f64_e32 vcc_lo, 0, v[151:152]
	v_cmp_gt_f64_e64 s0, 0, v[149:150]
	v_mov_b32_e32 v157, v151
	v_add_f64 v[153:154], v[153:154], v[155:156]
	v_xor_b32_e32 v156, 0x80000000, v150
	v_mov_b32_e32 v155, v149
	v_cndmask_b32_e32 v158, v152, v158, vcc_lo
	v_cndmask_b32_e64 v156, v150, v156, s0
	v_add_f64 v[155:156], v[155:156], v[157:158]
	v_cmp_lt_f64_e32 vcc_lo, v[153:154], v[155:156]
	v_cndmask_b32_e32 v135, v135, v150, vcc_lo
	v_cndmask_b32_e32 v134, v134, v149, vcc_lo
	;; [unrolled: 1-line block ×4, first 2 shown]
	v_cndmask_b32_e64 v142, v142, s1, vcc_lo
	s_add_i32 s1, s1, 1
	s_cmp_lg_u32 s18, s1
	s_cbranch_scc1 .LBB64_505
.LBB64_506:
	s_inst_prefetch 0x2
	s_waitcnt lgkmcnt(0)
	v_cmp_eq_f64_e32 vcc_lo, 0, v[134:135]
	v_cmp_eq_f64_e64 s0, 0, v[136:137]
	s_and_b32 s0, vcc_lo, s0
	s_and_saveexec_b32 s1, s0
	s_xor_b32 s0, exec_lo, s1
; %bb.507:
	v_cmp_ne_u32_e32 vcc_lo, 0, v147
	v_cndmask_b32_e32 v147, 25, v147, vcc_lo
; %bb.508:
	s_andn2_saveexec_b32 s0, s0
	s_cbranch_execz .LBB64_514
; %bb.509:
	v_cmp_ngt_f64_e64 s1, |v[134:135]|, |v[136:137]|
	s_and_saveexec_b32 s2, s1
	s_xor_b32 s1, exec_lo, s2
	s_cbranch_execz .LBB64_511
; %bb.510:
	v_div_scale_f64 v[149:150], null, v[136:137], v[136:137], v[134:135]
	v_div_scale_f64 v[155:156], vcc_lo, v[134:135], v[136:137], v[134:135]
	v_rcp_f64_e32 v[151:152], v[149:150]
	v_fma_f64 v[153:154], -v[149:150], v[151:152], 1.0
	v_fma_f64 v[151:152], v[151:152], v[153:154], v[151:152]
	v_fma_f64 v[153:154], -v[149:150], v[151:152], 1.0
	v_fma_f64 v[151:152], v[151:152], v[153:154], v[151:152]
	v_mul_f64 v[153:154], v[155:156], v[151:152]
	v_fma_f64 v[149:150], -v[149:150], v[153:154], v[155:156]
	v_div_fmas_f64 v[149:150], v[149:150], v[151:152], v[153:154]
	v_div_fixup_f64 v[149:150], v[149:150], v[136:137], v[134:135]
	v_fma_f64 v[134:135], v[134:135], v[149:150], v[136:137]
	v_div_scale_f64 v[136:137], null, v[134:135], v[134:135], 1.0
	v_rcp_f64_e32 v[151:152], v[136:137]
	v_fma_f64 v[153:154], -v[136:137], v[151:152], 1.0
	v_fma_f64 v[151:152], v[151:152], v[153:154], v[151:152]
	v_fma_f64 v[153:154], -v[136:137], v[151:152], 1.0
	v_fma_f64 v[151:152], v[151:152], v[153:154], v[151:152]
	v_div_scale_f64 v[153:154], vcc_lo, 1.0, v[134:135], 1.0
	v_mul_f64 v[155:156], v[153:154], v[151:152]
	v_fma_f64 v[136:137], -v[136:137], v[155:156], v[153:154]
	v_div_fmas_f64 v[136:137], v[136:137], v[151:152], v[155:156]
	v_div_fixup_f64 v[136:137], v[136:137], v[134:135], 1.0
	v_mul_f64 v[134:135], v[149:150], v[136:137]
	v_xor_b32_e32 v137, 0x80000000, v137
.LBB64_511:
	s_andn2_saveexec_b32 s1, s1
	s_cbranch_execz .LBB64_513
; %bb.512:
	v_div_scale_f64 v[149:150], null, v[134:135], v[134:135], v[136:137]
	v_div_scale_f64 v[155:156], vcc_lo, v[136:137], v[134:135], v[136:137]
	v_rcp_f64_e32 v[151:152], v[149:150]
	v_fma_f64 v[153:154], -v[149:150], v[151:152], 1.0
	v_fma_f64 v[151:152], v[151:152], v[153:154], v[151:152]
	v_fma_f64 v[153:154], -v[149:150], v[151:152], 1.0
	v_fma_f64 v[151:152], v[151:152], v[153:154], v[151:152]
	v_mul_f64 v[153:154], v[155:156], v[151:152]
	v_fma_f64 v[149:150], -v[149:150], v[153:154], v[155:156]
	v_div_fmas_f64 v[149:150], v[149:150], v[151:152], v[153:154]
	v_div_fixup_f64 v[149:150], v[149:150], v[134:135], v[136:137]
	v_fma_f64 v[134:135], v[136:137], v[149:150], v[134:135]
	v_div_scale_f64 v[136:137], null, v[134:135], v[134:135], 1.0
	v_rcp_f64_e32 v[151:152], v[136:137]
	v_fma_f64 v[153:154], -v[136:137], v[151:152], 1.0
	v_fma_f64 v[151:152], v[151:152], v[153:154], v[151:152]
	v_fma_f64 v[153:154], -v[136:137], v[151:152], 1.0
	v_fma_f64 v[151:152], v[151:152], v[153:154], v[151:152]
	v_div_scale_f64 v[153:154], vcc_lo, 1.0, v[134:135], 1.0
	v_mul_f64 v[155:156], v[153:154], v[151:152]
	v_fma_f64 v[136:137], -v[136:137], v[155:156], v[153:154]
	v_div_fmas_f64 v[136:137], v[136:137], v[151:152], v[155:156]
	v_div_fixup_f64 v[134:135], v[136:137], v[134:135], 1.0
	v_mul_f64 v[136:137], v[149:150], -v[134:135]
.LBB64_513:
	s_or_b32 exec_lo, exec_lo, s1
.LBB64_514:
	s_or_b32 exec_lo, exec_lo, s0
	s_mov_b32 s0, exec_lo
	v_cmpx_ne_u32_e64 v148, v142
	s_xor_b32 s0, exec_lo, s0
	s_cbranch_execz .LBB64_520
; %bb.515:
	s_mov_b32 s1, exec_lo
	v_cmpx_eq_u32_e32 24, v148
	s_cbranch_execz .LBB64_519
; %bb.516:
	v_cmp_ne_u32_e32 vcc_lo, 24, v142
	s_xor_b32 s2, s16, -1
	s_and_b32 s3, s2, vcc_lo
	s_and_saveexec_b32 s2, s3
	s_cbranch_execz .LBB64_518
; %bb.517:
	v_ashrrev_i32_e32 v143, 31, v142
	v_lshlrev_b64 v[148:149], 2, v[142:143]
	v_add_co_u32 v148, vcc_lo, v140, v148
	v_add_co_ci_u32_e64 v149, null, v141, v149, vcc_lo
	s_clause 0x1
	global_load_dword v0, v[148:149], off
	global_load_dword v143, v[140:141], off offset:96
	s_waitcnt vmcnt(1)
	global_store_dword v[140:141], v0, off offset:96
	s_waitcnt vmcnt(0)
	global_store_dword v[148:149], v143, off
.LBB64_518:
	s_or_b32 exec_lo, exec_lo, s2
	v_mov_b32_e32 v148, v142
	v_mov_b32_e32 v0, v142
.LBB64_519:
	s_or_b32 exec_lo, exec_lo, s1
.LBB64_520:
	s_andn2_saveexec_b32 s0, s0
	s_cbranch_execz .LBB64_522
; %bb.521:
	v_mov_b32_e32 v148, 24
	ds_write2_b64 v1, v[30:31], v[32:33] offset0:50 offset1:51
	ds_write2_b64 v1, v[26:27], v[28:29] offset0:52 offset1:53
	;; [unrolled: 1-line block ×8, first 2 shown]
.LBB64_522:
	s_or_b32 exec_lo, exec_lo, s0
	s_mov_b32 s0, exec_lo
	s_waitcnt lgkmcnt(0)
	s_waitcnt_vscnt null, 0x0
	s_barrier
	buffer_gl0_inv
	v_cmpx_lt_i32_e32 24, v148
	s_cbranch_execz .LBB64_524
; %bb.523:
	v_mul_f64 v[142:143], v[134:135], v[36:37]
	v_mul_f64 v[36:37], v[136:137], v[36:37]
	v_fma_f64 v[142:143], v[136:137], v[34:35], v[142:143]
	v_fma_f64 v[34:35], v[134:135], v[34:35], -v[36:37]
	ds_read2_b64 v[134:137], v1 offset0:50 offset1:51
	s_waitcnt lgkmcnt(0)
	v_mul_f64 v[36:37], v[136:137], v[142:143]
	v_fma_f64 v[36:37], v[134:135], v[34:35], -v[36:37]
	v_mul_f64 v[134:135], v[134:135], v[142:143]
	v_add_f64 v[30:31], v[30:31], -v[36:37]
	v_fma_f64 v[134:135], v[136:137], v[34:35], v[134:135]
	v_add_f64 v[32:33], v[32:33], -v[134:135]
	ds_read2_b64 v[134:137], v1 offset0:52 offset1:53
	s_waitcnt lgkmcnt(0)
	v_mul_f64 v[36:37], v[136:137], v[142:143]
	v_fma_f64 v[36:37], v[134:135], v[34:35], -v[36:37]
	v_mul_f64 v[134:135], v[134:135], v[142:143]
	v_add_f64 v[26:27], v[26:27], -v[36:37]
	v_fma_f64 v[134:135], v[136:137], v[34:35], v[134:135]
	v_add_f64 v[28:29], v[28:29], -v[134:135]
	;; [unrolled: 8-line block ×7, first 2 shown]
	ds_read2_b64 v[134:137], v1 offset0:64 offset1:65
	s_waitcnt lgkmcnt(0)
	v_mul_f64 v[36:37], v[136:137], v[142:143]
	v_fma_f64 v[36:37], v[134:135], v[34:35], -v[36:37]
	v_mul_f64 v[134:135], v[134:135], v[142:143]
	v_add_f64 v[2:3], v[2:3], -v[36:37]
	v_fma_f64 v[134:135], v[136:137], v[34:35], v[134:135]
	v_mov_b32_e32 v36, v142
	v_mov_b32_e32 v37, v143
	v_add_f64 v[4:5], v[4:5], -v[134:135]
.LBB64_524:
	s_or_b32 exec_lo, exec_lo, s0
	v_lshl_add_u32 v134, v148, 4, v1
	s_barrier
	buffer_gl0_inv
	v_mov_b32_e32 v142, 25
	ds_write2_b64 v134, v[30:31], v[32:33] offset1:1
	s_waitcnt lgkmcnt(0)
	s_barrier
	buffer_gl0_inv
	ds_read2_b64 v[134:137], v1 offset0:50 offset1:51
	s_cmp_lt_i32 s18, 27
	s_cbranch_scc1 .LBB64_527
; %bb.525:
	v_add3_u32 v143, v144, 0, 0x1a0
	v_mov_b32_e32 v142, 25
	s_mov_b32 s1, 26
	s_inst_prefetch 0x1
	.p2align	6
.LBB64_526:                             ; =>This Inner Loop Header: Depth=1
	s_waitcnt lgkmcnt(0)
	v_cmp_gt_f64_e32 vcc_lo, 0, v[136:137]
	v_cmp_gt_f64_e64 s0, 0, v[134:135]
	ds_read2_b64 v[149:152], v143 offset1:1
	v_xor_b32_e32 v154, 0x80000000, v135
	v_xor_b32_e32 v156, 0x80000000, v137
	v_mov_b32_e32 v153, v134
	v_mov_b32_e32 v155, v136
	v_add_nc_u32_e32 v143, 16, v143
	s_waitcnt lgkmcnt(0)
	v_xor_b32_e32 v158, 0x80000000, v152
	v_cndmask_b32_e64 v154, v135, v154, s0
	v_cndmask_b32_e32 v156, v137, v156, vcc_lo
	v_cmp_gt_f64_e32 vcc_lo, 0, v[151:152]
	v_cmp_gt_f64_e64 s0, 0, v[149:150]
	v_mov_b32_e32 v157, v151
	v_add_f64 v[153:154], v[153:154], v[155:156]
	v_xor_b32_e32 v156, 0x80000000, v150
	v_mov_b32_e32 v155, v149
	v_cndmask_b32_e32 v158, v152, v158, vcc_lo
	v_cndmask_b32_e64 v156, v150, v156, s0
	v_add_f64 v[155:156], v[155:156], v[157:158]
	v_cmp_lt_f64_e32 vcc_lo, v[153:154], v[155:156]
	v_cndmask_b32_e32 v135, v135, v150, vcc_lo
	v_cndmask_b32_e32 v134, v134, v149, vcc_lo
	;; [unrolled: 1-line block ×4, first 2 shown]
	v_cndmask_b32_e64 v142, v142, s1, vcc_lo
	s_add_i32 s1, s1, 1
	s_cmp_lg_u32 s18, s1
	s_cbranch_scc1 .LBB64_526
.LBB64_527:
	s_inst_prefetch 0x2
	s_waitcnt lgkmcnt(0)
	v_cmp_eq_f64_e32 vcc_lo, 0, v[134:135]
	v_cmp_eq_f64_e64 s0, 0, v[136:137]
	s_and_b32 s0, vcc_lo, s0
	s_and_saveexec_b32 s1, s0
	s_xor_b32 s0, exec_lo, s1
; %bb.528:
	v_cmp_ne_u32_e32 vcc_lo, 0, v147
	v_cndmask_b32_e32 v147, 26, v147, vcc_lo
; %bb.529:
	s_andn2_saveexec_b32 s0, s0
	s_cbranch_execz .LBB64_535
; %bb.530:
	v_cmp_ngt_f64_e64 s1, |v[134:135]|, |v[136:137]|
	s_and_saveexec_b32 s2, s1
	s_xor_b32 s1, exec_lo, s2
	s_cbranch_execz .LBB64_532
; %bb.531:
	v_div_scale_f64 v[149:150], null, v[136:137], v[136:137], v[134:135]
	v_div_scale_f64 v[155:156], vcc_lo, v[134:135], v[136:137], v[134:135]
	v_rcp_f64_e32 v[151:152], v[149:150]
	v_fma_f64 v[153:154], -v[149:150], v[151:152], 1.0
	v_fma_f64 v[151:152], v[151:152], v[153:154], v[151:152]
	v_fma_f64 v[153:154], -v[149:150], v[151:152], 1.0
	v_fma_f64 v[151:152], v[151:152], v[153:154], v[151:152]
	v_mul_f64 v[153:154], v[155:156], v[151:152]
	v_fma_f64 v[149:150], -v[149:150], v[153:154], v[155:156]
	v_div_fmas_f64 v[149:150], v[149:150], v[151:152], v[153:154]
	v_div_fixup_f64 v[149:150], v[149:150], v[136:137], v[134:135]
	v_fma_f64 v[134:135], v[134:135], v[149:150], v[136:137]
	v_div_scale_f64 v[136:137], null, v[134:135], v[134:135], 1.0
	v_rcp_f64_e32 v[151:152], v[136:137]
	v_fma_f64 v[153:154], -v[136:137], v[151:152], 1.0
	v_fma_f64 v[151:152], v[151:152], v[153:154], v[151:152]
	v_fma_f64 v[153:154], -v[136:137], v[151:152], 1.0
	v_fma_f64 v[151:152], v[151:152], v[153:154], v[151:152]
	v_div_scale_f64 v[153:154], vcc_lo, 1.0, v[134:135], 1.0
	v_mul_f64 v[155:156], v[153:154], v[151:152]
	v_fma_f64 v[136:137], -v[136:137], v[155:156], v[153:154]
	v_div_fmas_f64 v[136:137], v[136:137], v[151:152], v[155:156]
	v_div_fixup_f64 v[136:137], v[136:137], v[134:135], 1.0
	v_mul_f64 v[134:135], v[149:150], v[136:137]
	v_xor_b32_e32 v137, 0x80000000, v137
.LBB64_532:
	s_andn2_saveexec_b32 s1, s1
	s_cbranch_execz .LBB64_534
; %bb.533:
	v_div_scale_f64 v[149:150], null, v[134:135], v[134:135], v[136:137]
	v_div_scale_f64 v[155:156], vcc_lo, v[136:137], v[134:135], v[136:137]
	v_rcp_f64_e32 v[151:152], v[149:150]
	v_fma_f64 v[153:154], -v[149:150], v[151:152], 1.0
	v_fma_f64 v[151:152], v[151:152], v[153:154], v[151:152]
	v_fma_f64 v[153:154], -v[149:150], v[151:152], 1.0
	v_fma_f64 v[151:152], v[151:152], v[153:154], v[151:152]
	v_mul_f64 v[153:154], v[155:156], v[151:152]
	v_fma_f64 v[149:150], -v[149:150], v[153:154], v[155:156]
	v_div_fmas_f64 v[149:150], v[149:150], v[151:152], v[153:154]
	v_div_fixup_f64 v[149:150], v[149:150], v[134:135], v[136:137]
	v_fma_f64 v[134:135], v[136:137], v[149:150], v[134:135]
	v_div_scale_f64 v[136:137], null, v[134:135], v[134:135], 1.0
	v_rcp_f64_e32 v[151:152], v[136:137]
	v_fma_f64 v[153:154], -v[136:137], v[151:152], 1.0
	v_fma_f64 v[151:152], v[151:152], v[153:154], v[151:152]
	v_fma_f64 v[153:154], -v[136:137], v[151:152], 1.0
	v_fma_f64 v[151:152], v[151:152], v[153:154], v[151:152]
	v_div_scale_f64 v[153:154], vcc_lo, 1.0, v[134:135], 1.0
	v_mul_f64 v[155:156], v[153:154], v[151:152]
	v_fma_f64 v[136:137], -v[136:137], v[155:156], v[153:154]
	v_div_fmas_f64 v[136:137], v[136:137], v[151:152], v[155:156]
	v_div_fixup_f64 v[134:135], v[136:137], v[134:135], 1.0
	v_mul_f64 v[136:137], v[149:150], -v[134:135]
.LBB64_534:
	s_or_b32 exec_lo, exec_lo, s1
.LBB64_535:
	s_or_b32 exec_lo, exec_lo, s0
	s_mov_b32 s0, exec_lo
	v_cmpx_ne_u32_e64 v148, v142
	s_xor_b32 s0, exec_lo, s0
	s_cbranch_execz .LBB64_541
; %bb.536:
	s_mov_b32 s1, exec_lo
	v_cmpx_eq_u32_e32 25, v148
	s_cbranch_execz .LBB64_540
; %bb.537:
	v_cmp_ne_u32_e32 vcc_lo, 25, v142
	s_xor_b32 s2, s16, -1
	s_and_b32 s3, s2, vcc_lo
	s_and_saveexec_b32 s2, s3
	s_cbranch_execz .LBB64_539
; %bb.538:
	v_ashrrev_i32_e32 v143, 31, v142
	v_lshlrev_b64 v[148:149], 2, v[142:143]
	v_add_co_u32 v148, vcc_lo, v140, v148
	v_add_co_ci_u32_e64 v149, null, v141, v149, vcc_lo
	s_clause 0x1
	global_load_dword v0, v[148:149], off
	global_load_dword v143, v[140:141], off offset:100
	s_waitcnt vmcnt(1)
	global_store_dword v[140:141], v0, off offset:100
	s_waitcnt vmcnt(0)
	global_store_dword v[148:149], v143, off
.LBB64_539:
	s_or_b32 exec_lo, exec_lo, s2
	v_mov_b32_e32 v148, v142
	v_mov_b32_e32 v0, v142
.LBB64_540:
	s_or_b32 exec_lo, exec_lo, s1
.LBB64_541:
	s_andn2_saveexec_b32 s0, s0
	s_cbranch_execz .LBB64_543
; %bb.542:
	v_mov_b32_e32 v148, 25
	ds_write2_b64 v1, v[26:27], v[28:29] offset0:52 offset1:53
	ds_write2_b64 v1, v[22:23], v[24:25] offset0:54 offset1:55
	ds_write2_b64 v1, v[18:19], v[20:21] offset0:56 offset1:57
	ds_write2_b64 v1, v[14:15], v[16:17] offset0:58 offset1:59
	ds_write2_b64 v1, v[10:11], v[12:13] offset0:60 offset1:61
	ds_write2_b64 v1, v[6:7], v[8:9] offset0:62 offset1:63
	ds_write2_b64 v1, v[2:3], v[4:5] offset0:64 offset1:65
.LBB64_543:
	s_or_b32 exec_lo, exec_lo, s0
	s_mov_b32 s0, exec_lo
	s_waitcnt lgkmcnt(0)
	s_waitcnt_vscnt null, 0x0
	s_barrier
	buffer_gl0_inv
	v_cmpx_lt_i32_e32 25, v148
	s_cbranch_execz .LBB64_545
; %bb.544:
	v_mul_f64 v[142:143], v[134:135], v[32:33]
	v_mul_f64 v[32:33], v[136:137], v[32:33]
	v_fma_f64 v[142:143], v[136:137], v[30:31], v[142:143]
	v_fma_f64 v[30:31], v[134:135], v[30:31], -v[32:33]
	ds_read2_b64 v[134:137], v1 offset0:52 offset1:53
	s_waitcnt lgkmcnt(0)
	v_mul_f64 v[32:33], v[136:137], v[142:143]
	v_fma_f64 v[32:33], v[134:135], v[30:31], -v[32:33]
	v_mul_f64 v[134:135], v[134:135], v[142:143]
	v_add_f64 v[26:27], v[26:27], -v[32:33]
	v_fma_f64 v[134:135], v[136:137], v[30:31], v[134:135]
	v_add_f64 v[28:29], v[28:29], -v[134:135]
	ds_read2_b64 v[134:137], v1 offset0:54 offset1:55
	s_waitcnt lgkmcnt(0)
	v_mul_f64 v[32:33], v[136:137], v[142:143]
	v_fma_f64 v[32:33], v[134:135], v[30:31], -v[32:33]
	v_mul_f64 v[134:135], v[134:135], v[142:143]
	v_add_f64 v[22:23], v[22:23], -v[32:33]
	v_fma_f64 v[134:135], v[136:137], v[30:31], v[134:135]
	v_add_f64 v[24:25], v[24:25], -v[134:135]
	;; [unrolled: 8-line block ×6, first 2 shown]
	ds_read2_b64 v[134:137], v1 offset0:64 offset1:65
	s_waitcnt lgkmcnt(0)
	v_mul_f64 v[32:33], v[136:137], v[142:143]
	v_fma_f64 v[32:33], v[134:135], v[30:31], -v[32:33]
	v_mul_f64 v[134:135], v[134:135], v[142:143]
	v_add_f64 v[2:3], v[2:3], -v[32:33]
	v_fma_f64 v[134:135], v[136:137], v[30:31], v[134:135]
	v_mov_b32_e32 v32, v142
	v_mov_b32_e32 v33, v143
	v_add_f64 v[4:5], v[4:5], -v[134:135]
.LBB64_545:
	s_or_b32 exec_lo, exec_lo, s0
	v_lshl_add_u32 v134, v148, 4, v1
	s_barrier
	buffer_gl0_inv
	v_mov_b32_e32 v142, 26
	ds_write2_b64 v134, v[26:27], v[28:29] offset1:1
	s_waitcnt lgkmcnt(0)
	s_barrier
	buffer_gl0_inv
	ds_read2_b64 v[134:137], v1 offset0:52 offset1:53
	s_cmp_lt_i32 s18, 28
	s_cbranch_scc1 .LBB64_548
; %bb.546:
	v_add3_u32 v143, v144, 0, 0x1b0
	v_mov_b32_e32 v142, 26
	s_mov_b32 s1, 27
	s_inst_prefetch 0x1
	.p2align	6
.LBB64_547:                             ; =>This Inner Loop Header: Depth=1
	s_waitcnt lgkmcnt(0)
	v_cmp_gt_f64_e32 vcc_lo, 0, v[136:137]
	v_cmp_gt_f64_e64 s0, 0, v[134:135]
	ds_read2_b64 v[149:152], v143 offset1:1
	v_xor_b32_e32 v154, 0x80000000, v135
	v_xor_b32_e32 v156, 0x80000000, v137
	v_mov_b32_e32 v153, v134
	v_mov_b32_e32 v155, v136
	v_add_nc_u32_e32 v143, 16, v143
	s_waitcnt lgkmcnt(0)
	v_xor_b32_e32 v158, 0x80000000, v152
	v_cndmask_b32_e64 v154, v135, v154, s0
	v_cndmask_b32_e32 v156, v137, v156, vcc_lo
	v_cmp_gt_f64_e32 vcc_lo, 0, v[151:152]
	v_cmp_gt_f64_e64 s0, 0, v[149:150]
	v_mov_b32_e32 v157, v151
	v_add_f64 v[153:154], v[153:154], v[155:156]
	v_xor_b32_e32 v156, 0x80000000, v150
	v_mov_b32_e32 v155, v149
	v_cndmask_b32_e32 v158, v152, v158, vcc_lo
	v_cndmask_b32_e64 v156, v150, v156, s0
	v_add_f64 v[155:156], v[155:156], v[157:158]
	v_cmp_lt_f64_e32 vcc_lo, v[153:154], v[155:156]
	v_cndmask_b32_e32 v135, v135, v150, vcc_lo
	v_cndmask_b32_e32 v134, v134, v149, vcc_lo
	;; [unrolled: 1-line block ×4, first 2 shown]
	v_cndmask_b32_e64 v142, v142, s1, vcc_lo
	s_add_i32 s1, s1, 1
	s_cmp_lg_u32 s18, s1
	s_cbranch_scc1 .LBB64_547
.LBB64_548:
	s_inst_prefetch 0x2
	s_waitcnt lgkmcnt(0)
	v_cmp_eq_f64_e32 vcc_lo, 0, v[134:135]
	v_cmp_eq_f64_e64 s0, 0, v[136:137]
	s_and_b32 s0, vcc_lo, s0
	s_and_saveexec_b32 s1, s0
	s_xor_b32 s0, exec_lo, s1
; %bb.549:
	v_cmp_ne_u32_e32 vcc_lo, 0, v147
	v_cndmask_b32_e32 v147, 27, v147, vcc_lo
; %bb.550:
	s_andn2_saveexec_b32 s0, s0
	s_cbranch_execz .LBB64_556
; %bb.551:
	v_cmp_ngt_f64_e64 s1, |v[134:135]|, |v[136:137]|
	s_and_saveexec_b32 s2, s1
	s_xor_b32 s1, exec_lo, s2
	s_cbranch_execz .LBB64_553
; %bb.552:
	v_div_scale_f64 v[149:150], null, v[136:137], v[136:137], v[134:135]
	v_div_scale_f64 v[155:156], vcc_lo, v[134:135], v[136:137], v[134:135]
	v_rcp_f64_e32 v[151:152], v[149:150]
	v_fma_f64 v[153:154], -v[149:150], v[151:152], 1.0
	v_fma_f64 v[151:152], v[151:152], v[153:154], v[151:152]
	v_fma_f64 v[153:154], -v[149:150], v[151:152], 1.0
	v_fma_f64 v[151:152], v[151:152], v[153:154], v[151:152]
	v_mul_f64 v[153:154], v[155:156], v[151:152]
	v_fma_f64 v[149:150], -v[149:150], v[153:154], v[155:156]
	v_div_fmas_f64 v[149:150], v[149:150], v[151:152], v[153:154]
	v_div_fixup_f64 v[149:150], v[149:150], v[136:137], v[134:135]
	v_fma_f64 v[134:135], v[134:135], v[149:150], v[136:137]
	v_div_scale_f64 v[136:137], null, v[134:135], v[134:135], 1.0
	v_rcp_f64_e32 v[151:152], v[136:137]
	v_fma_f64 v[153:154], -v[136:137], v[151:152], 1.0
	v_fma_f64 v[151:152], v[151:152], v[153:154], v[151:152]
	v_fma_f64 v[153:154], -v[136:137], v[151:152], 1.0
	v_fma_f64 v[151:152], v[151:152], v[153:154], v[151:152]
	v_div_scale_f64 v[153:154], vcc_lo, 1.0, v[134:135], 1.0
	v_mul_f64 v[155:156], v[153:154], v[151:152]
	v_fma_f64 v[136:137], -v[136:137], v[155:156], v[153:154]
	v_div_fmas_f64 v[136:137], v[136:137], v[151:152], v[155:156]
	v_div_fixup_f64 v[136:137], v[136:137], v[134:135], 1.0
	v_mul_f64 v[134:135], v[149:150], v[136:137]
	v_xor_b32_e32 v137, 0x80000000, v137
.LBB64_553:
	s_andn2_saveexec_b32 s1, s1
	s_cbranch_execz .LBB64_555
; %bb.554:
	v_div_scale_f64 v[149:150], null, v[134:135], v[134:135], v[136:137]
	v_div_scale_f64 v[155:156], vcc_lo, v[136:137], v[134:135], v[136:137]
	v_rcp_f64_e32 v[151:152], v[149:150]
	v_fma_f64 v[153:154], -v[149:150], v[151:152], 1.0
	v_fma_f64 v[151:152], v[151:152], v[153:154], v[151:152]
	v_fma_f64 v[153:154], -v[149:150], v[151:152], 1.0
	v_fma_f64 v[151:152], v[151:152], v[153:154], v[151:152]
	v_mul_f64 v[153:154], v[155:156], v[151:152]
	v_fma_f64 v[149:150], -v[149:150], v[153:154], v[155:156]
	v_div_fmas_f64 v[149:150], v[149:150], v[151:152], v[153:154]
	v_div_fixup_f64 v[149:150], v[149:150], v[134:135], v[136:137]
	v_fma_f64 v[134:135], v[136:137], v[149:150], v[134:135]
	v_div_scale_f64 v[136:137], null, v[134:135], v[134:135], 1.0
	v_rcp_f64_e32 v[151:152], v[136:137]
	v_fma_f64 v[153:154], -v[136:137], v[151:152], 1.0
	v_fma_f64 v[151:152], v[151:152], v[153:154], v[151:152]
	v_fma_f64 v[153:154], -v[136:137], v[151:152], 1.0
	v_fma_f64 v[151:152], v[151:152], v[153:154], v[151:152]
	v_div_scale_f64 v[153:154], vcc_lo, 1.0, v[134:135], 1.0
	v_mul_f64 v[155:156], v[153:154], v[151:152]
	v_fma_f64 v[136:137], -v[136:137], v[155:156], v[153:154]
	v_div_fmas_f64 v[136:137], v[136:137], v[151:152], v[155:156]
	v_div_fixup_f64 v[134:135], v[136:137], v[134:135], 1.0
	v_mul_f64 v[136:137], v[149:150], -v[134:135]
.LBB64_555:
	s_or_b32 exec_lo, exec_lo, s1
.LBB64_556:
	s_or_b32 exec_lo, exec_lo, s0
	s_mov_b32 s0, exec_lo
	v_cmpx_ne_u32_e64 v148, v142
	s_xor_b32 s0, exec_lo, s0
	s_cbranch_execz .LBB64_562
; %bb.557:
	s_mov_b32 s1, exec_lo
	v_cmpx_eq_u32_e32 26, v148
	s_cbranch_execz .LBB64_561
; %bb.558:
	v_cmp_ne_u32_e32 vcc_lo, 26, v142
	s_xor_b32 s2, s16, -1
	s_and_b32 s3, s2, vcc_lo
	s_and_saveexec_b32 s2, s3
	s_cbranch_execz .LBB64_560
; %bb.559:
	v_ashrrev_i32_e32 v143, 31, v142
	v_lshlrev_b64 v[148:149], 2, v[142:143]
	v_add_co_u32 v148, vcc_lo, v140, v148
	v_add_co_ci_u32_e64 v149, null, v141, v149, vcc_lo
	s_clause 0x1
	global_load_dword v0, v[148:149], off
	global_load_dword v143, v[140:141], off offset:104
	s_waitcnt vmcnt(1)
	global_store_dword v[140:141], v0, off offset:104
	s_waitcnt vmcnt(0)
	global_store_dword v[148:149], v143, off
.LBB64_560:
	s_or_b32 exec_lo, exec_lo, s2
	v_mov_b32_e32 v148, v142
	v_mov_b32_e32 v0, v142
.LBB64_561:
	s_or_b32 exec_lo, exec_lo, s1
.LBB64_562:
	s_andn2_saveexec_b32 s0, s0
	s_cbranch_execz .LBB64_564
; %bb.563:
	v_mov_b32_e32 v148, 26
	ds_write2_b64 v1, v[22:23], v[24:25] offset0:54 offset1:55
	ds_write2_b64 v1, v[18:19], v[20:21] offset0:56 offset1:57
	;; [unrolled: 1-line block ×6, first 2 shown]
.LBB64_564:
	s_or_b32 exec_lo, exec_lo, s0
	s_mov_b32 s0, exec_lo
	s_waitcnt lgkmcnt(0)
	s_waitcnt_vscnt null, 0x0
	s_barrier
	buffer_gl0_inv
	v_cmpx_lt_i32_e32 26, v148
	s_cbranch_execz .LBB64_566
; %bb.565:
	v_mul_f64 v[142:143], v[134:135], v[28:29]
	v_mul_f64 v[28:29], v[136:137], v[28:29]
	v_fma_f64 v[142:143], v[136:137], v[26:27], v[142:143]
	v_fma_f64 v[26:27], v[134:135], v[26:27], -v[28:29]
	ds_read2_b64 v[134:137], v1 offset0:54 offset1:55
	s_waitcnt lgkmcnt(0)
	v_mul_f64 v[28:29], v[136:137], v[142:143]
	v_fma_f64 v[28:29], v[134:135], v[26:27], -v[28:29]
	v_mul_f64 v[134:135], v[134:135], v[142:143]
	v_add_f64 v[22:23], v[22:23], -v[28:29]
	v_fma_f64 v[134:135], v[136:137], v[26:27], v[134:135]
	v_add_f64 v[24:25], v[24:25], -v[134:135]
	ds_read2_b64 v[134:137], v1 offset0:56 offset1:57
	s_waitcnt lgkmcnt(0)
	v_mul_f64 v[28:29], v[136:137], v[142:143]
	v_fma_f64 v[28:29], v[134:135], v[26:27], -v[28:29]
	v_mul_f64 v[134:135], v[134:135], v[142:143]
	v_add_f64 v[18:19], v[18:19], -v[28:29]
	v_fma_f64 v[134:135], v[136:137], v[26:27], v[134:135]
	v_add_f64 v[20:21], v[20:21], -v[134:135]
	;; [unrolled: 8-line block ×5, first 2 shown]
	ds_read2_b64 v[134:137], v1 offset0:64 offset1:65
	s_waitcnt lgkmcnt(0)
	v_mul_f64 v[28:29], v[136:137], v[142:143]
	v_fma_f64 v[28:29], v[134:135], v[26:27], -v[28:29]
	v_mul_f64 v[134:135], v[134:135], v[142:143]
	v_add_f64 v[2:3], v[2:3], -v[28:29]
	v_fma_f64 v[134:135], v[136:137], v[26:27], v[134:135]
	v_mov_b32_e32 v28, v142
	v_mov_b32_e32 v29, v143
	v_add_f64 v[4:5], v[4:5], -v[134:135]
.LBB64_566:
	s_or_b32 exec_lo, exec_lo, s0
	v_lshl_add_u32 v134, v148, 4, v1
	s_barrier
	buffer_gl0_inv
	v_mov_b32_e32 v142, 27
	ds_write2_b64 v134, v[22:23], v[24:25] offset1:1
	s_waitcnt lgkmcnt(0)
	s_barrier
	buffer_gl0_inv
	ds_read2_b64 v[134:137], v1 offset0:54 offset1:55
	s_cmp_lt_i32 s18, 29
	s_cbranch_scc1 .LBB64_569
; %bb.567:
	v_add3_u32 v143, v144, 0, 0x1c0
	v_mov_b32_e32 v142, 27
	s_mov_b32 s1, 28
	s_inst_prefetch 0x1
	.p2align	6
.LBB64_568:                             ; =>This Inner Loop Header: Depth=1
	s_waitcnt lgkmcnt(0)
	v_cmp_gt_f64_e32 vcc_lo, 0, v[136:137]
	v_cmp_gt_f64_e64 s0, 0, v[134:135]
	ds_read2_b64 v[149:152], v143 offset1:1
	v_xor_b32_e32 v154, 0x80000000, v135
	v_xor_b32_e32 v156, 0x80000000, v137
	v_mov_b32_e32 v153, v134
	v_mov_b32_e32 v155, v136
	v_add_nc_u32_e32 v143, 16, v143
	s_waitcnt lgkmcnt(0)
	v_xor_b32_e32 v158, 0x80000000, v152
	v_cndmask_b32_e64 v154, v135, v154, s0
	v_cndmask_b32_e32 v156, v137, v156, vcc_lo
	v_cmp_gt_f64_e32 vcc_lo, 0, v[151:152]
	v_cmp_gt_f64_e64 s0, 0, v[149:150]
	v_mov_b32_e32 v157, v151
	v_add_f64 v[153:154], v[153:154], v[155:156]
	v_xor_b32_e32 v156, 0x80000000, v150
	v_mov_b32_e32 v155, v149
	v_cndmask_b32_e32 v158, v152, v158, vcc_lo
	v_cndmask_b32_e64 v156, v150, v156, s0
	v_add_f64 v[155:156], v[155:156], v[157:158]
	v_cmp_lt_f64_e32 vcc_lo, v[153:154], v[155:156]
	v_cndmask_b32_e32 v135, v135, v150, vcc_lo
	v_cndmask_b32_e32 v134, v134, v149, vcc_lo
	;; [unrolled: 1-line block ×4, first 2 shown]
	v_cndmask_b32_e64 v142, v142, s1, vcc_lo
	s_add_i32 s1, s1, 1
	s_cmp_lg_u32 s18, s1
	s_cbranch_scc1 .LBB64_568
.LBB64_569:
	s_inst_prefetch 0x2
	s_waitcnt lgkmcnt(0)
	v_cmp_eq_f64_e32 vcc_lo, 0, v[134:135]
	v_cmp_eq_f64_e64 s0, 0, v[136:137]
	s_and_b32 s0, vcc_lo, s0
	s_and_saveexec_b32 s1, s0
	s_xor_b32 s0, exec_lo, s1
; %bb.570:
	v_cmp_ne_u32_e32 vcc_lo, 0, v147
	v_cndmask_b32_e32 v147, 28, v147, vcc_lo
; %bb.571:
	s_andn2_saveexec_b32 s0, s0
	s_cbranch_execz .LBB64_577
; %bb.572:
	v_cmp_ngt_f64_e64 s1, |v[134:135]|, |v[136:137]|
	s_and_saveexec_b32 s2, s1
	s_xor_b32 s1, exec_lo, s2
	s_cbranch_execz .LBB64_574
; %bb.573:
	v_div_scale_f64 v[149:150], null, v[136:137], v[136:137], v[134:135]
	v_div_scale_f64 v[155:156], vcc_lo, v[134:135], v[136:137], v[134:135]
	v_rcp_f64_e32 v[151:152], v[149:150]
	v_fma_f64 v[153:154], -v[149:150], v[151:152], 1.0
	v_fma_f64 v[151:152], v[151:152], v[153:154], v[151:152]
	v_fma_f64 v[153:154], -v[149:150], v[151:152], 1.0
	v_fma_f64 v[151:152], v[151:152], v[153:154], v[151:152]
	v_mul_f64 v[153:154], v[155:156], v[151:152]
	v_fma_f64 v[149:150], -v[149:150], v[153:154], v[155:156]
	v_div_fmas_f64 v[149:150], v[149:150], v[151:152], v[153:154]
	v_div_fixup_f64 v[149:150], v[149:150], v[136:137], v[134:135]
	v_fma_f64 v[134:135], v[134:135], v[149:150], v[136:137]
	v_div_scale_f64 v[136:137], null, v[134:135], v[134:135], 1.0
	v_rcp_f64_e32 v[151:152], v[136:137]
	v_fma_f64 v[153:154], -v[136:137], v[151:152], 1.0
	v_fma_f64 v[151:152], v[151:152], v[153:154], v[151:152]
	v_fma_f64 v[153:154], -v[136:137], v[151:152], 1.0
	v_fma_f64 v[151:152], v[151:152], v[153:154], v[151:152]
	v_div_scale_f64 v[153:154], vcc_lo, 1.0, v[134:135], 1.0
	v_mul_f64 v[155:156], v[153:154], v[151:152]
	v_fma_f64 v[136:137], -v[136:137], v[155:156], v[153:154]
	v_div_fmas_f64 v[136:137], v[136:137], v[151:152], v[155:156]
	v_div_fixup_f64 v[136:137], v[136:137], v[134:135], 1.0
	v_mul_f64 v[134:135], v[149:150], v[136:137]
	v_xor_b32_e32 v137, 0x80000000, v137
.LBB64_574:
	s_andn2_saveexec_b32 s1, s1
	s_cbranch_execz .LBB64_576
; %bb.575:
	v_div_scale_f64 v[149:150], null, v[134:135], v[134:135], v[136:137]
	v_div_scale_f64 v[155:156], vcc_lo, v[136:137], v[134:135], v[136:137]
	v_rcp_f64_e32 v[151:152], v[149:150]
	v_fma_f64 v[153:154], -v[149:150], v[151:152], 1.0
	v_fma_f64 v[151:152], v[151:152], v[153:154], v[151:152]
	v_fma_f64 v[153:154], -v[149:150], v[151:152], 1.0
	v_fma_f64 v[151:152], v[151:152], v[153:154], v[151:152]
	v_mul_f64 v[153:154], v[155:156], v[151:152]
	v_fma_f64 v[149:150], -v[149:150], v[153:154], v[155:156]
	v_div_fmas_f64 v[149:150], v[149:150], v[151:152], v[153:154]
	v_div_fixup_f64 v[149:150], v[149:150], v[134:135], v[136:137]
	v_fma_f64 v[134:135], v[136:137], v[149:150], v[134:135]
	v_div_scale_f64 v[136:137], null, v[134:135], v[134:135], 1.0
	v_rcp_f64_e32 v[151:152], v[136:137]
	v_fma_f64 v[153:154], -v[136:137], v[151:152], 1.0
	v_fma_f64 v[151:152], v[151:152], v[153:154], v[151:152]
	v_fma_f64 v[153:154], -v[136:137], v[151:152], 1.0
	v_fma_f64 v[151:152], v[151:152], v[153:154], v[151:152]
	v_div_scale_f64 v[153:154], vcc_lo, 1.0, v[134:135], 1.0
	v_mul_f64 v[155:156], v[153:154], v[151:152]
	v_fma_f64 v[136:137], -v[136:137], v[155:156], v[153:154]
	v_div_fmas_f64 v[136:137], v[136:137], v[151:152], v[155:156]
	v_div_fixup_f64 v[134:135], v[136:137], v[134:135], 1.0
	v_mul_f64 v[136:137], v[149:150], -v[134:135]
.LBB64_576:
	s_or_b32 exec_lo, exec_lo, s1
.LBB64_577:
	s_or_b32 exec_lo, exec_lo, s0
	s_mov_b32 s0, exec_lo
	v_cmpx_ne_u32_e64 v148, v142
	s_xor_b32 s0, exec_lo, s0
	s_cbranch_execz .LBB64_583
; %bb.578:
	s_mov_b32 s1, exec_lo
	v_cmpx_eq_u32_e32 27, v148
	s_cbranch_execz .LBB64_582
; %bb.579:
	v_cmp_ne_u32_e32 vcc_lo, 27, v142
	s_xor_b32 s2, s16, -1
	s_and_b32 s3, s2, vcc_lo
	s_and_saveexec_b32 s2, s3
	s_cbranch_execz .LBB64_581
; %bb.580:
	v_ashrrev_i32_e32 v143, 31, v142
	v_lshlrev_b64 v[148:149], 2, v[142:143]
	v_add_co_u32 v148, vcc_lo, v140, v148
	v_add_co_ci_u32_e64 v149, null, v141, v149, vcc_lo
	s_clause 0x1
	global_load_dword v0, v[148:149], off
	global_load_dword v143, v[140:141], off offset:108
	s_waitcnt vmcnt(1)
	global_store_dword v[140:141], v0, off offset:108
	s_waitcnt vmcnt(0)
	global_store_dword v[148:149], v143, off
.LBB64_581:
	s_or_b32 exec_lo, exec_lo, s2
	v_mov_b32_e32 v148, v142
	v_mov_b32_e32 v0, v142
.LBB64_582:
	s_or_b32 exec_lo, exec_lo, s1
.LBB64_583:
	s_andn2_saveexec_b32 s0, s0
	s_cbranch_execz .LBB64_585
; %bb.584:
	v_mov_b32_e32 v148, 27
	ds_write2_b64 v1, v[18:19], v[20:21] offset0:56 offset1:57
	ds_write2_b64 v1, v[14:15], v[16:17] offset0:58 offset1:59
	;; [unrolled: 1-line block ×5, first 2 shown]
.LBB64_585:
	s_or_b32 exec_lo, exec_lo, s0
	s_mov_b32 s0, exec_lo
	s_waitcnt lgkmcnt(0)
	s_waitcnt_vscnt null, 0x0
	s_barrier
	buffer_gl0_inv
	v_cmpx_lt_i32_e32 27, v148
	s_cbranch_execz .LBB64_587
; %bb.586:
	v_mul_f64 v[142:143], v[134:135], v[24:25]
	v_mul_f64 v[24:25], v[136:137], v[24:25]
	ds_read2_b64 v[149:152], v1 offset0:56 offset1:57
	ds_read2_b64 v[153:156], v1 offset0:58 offset1:59
	;; [unrolled: 1-line block ×5, first 2 shown]
	v_fma_f64 v[136:137], v[136:137], v[22:23], v[142:143]
	v_fma_f64 v[22:23], v[134:135], v[22:23], -v[24:25]
	s_waitcnt lgkmcnt(4)
	v_mul_f64 v[24:25], v[151:152], v[136:137]
	v_mul_f64 v[134:135], v[149:150], v[136:137]
	s_waitcnt lgkmcnt(3)
	v_mul_f64 v[142:143], v[155:156], v[136:137]
	v_mul_f64 v[169:170], v[153:154], v[136:137]
	;; [unrolled: 3-line block ×5, first 2 shown]
	v_fma_f64 v[24:25], v[149:150], v[22:23], -v[24:25]
	v_fma_f64 v[134:135], v[151:152], v[22:23], v[134:135]
	v_fma_f64 v[142:143], v[153:154], v[22:23], -v[142:143]
	v_fma_f64 v[149:150], v[155:156], v[22:23], v[169:170]
	;; [unrolled: 2-line block ×5, first 2 shown]
	v_add_f64 v[18:19], v[18:19], -v[24:25]
	v_add_f64 v[20:21], v[20:21], -v[134:135]
	;; [unrolled: 1-line block ×10, first 2 shown]
	v_mov_b32_e32 v24, v136
	v_mov_b32_e32 v25, v137
.LBB64_587:
	s_or_b32 exec_lo, exec_lo, s0
	v_lshl_add_u32 v134, v148, 4, v1
	s_barrier
	buffer_gl0_inv
	v_mov_b32_e32 v142, 28
	ds_write2_b64 v134, v[18:19], v[20:21] offset1:1
	s_waitcnt lgkmcnt(0)
	s_barrier
	buffer_gl0_inv
	ds_read2_b64 v[134:137], v1 offset0:56 offset1:57
	s_cmp_lt_i32 s18, 30
	s_cbranch_scc1 .LBB64_590
; %bb.588:
	v_add3_u32 v143, v144, 0, 0x1d0
	v_mov_b32_e32 v142, 28
	s_mov_b32 s1, 29
	s_inst_prefetch 0x1
	.p2align	6
.LBB64_589:                             ; =>This Inner Loop Header: Depth=1
	s_waitcnt lgkmcnt(0)
	v_cmp_gt_f64_e32 vcc_lo, 0, v[136:137]
	v_cmp_gt_f64_e64 s0, 0, v[134:135]
	ds_read2_b64 v[149:152], v143 offset1:1
	v_xor_b32_e32 v154, 0x80000000, v135
	v_xor_b32_e32 v156, 0x80000000, v137
	v_mov_b32_e32 v153, v134
	v_mov_b32_e32 v155, v136
	v_add_nc_u32_e32 v143, 16, v143
	s_waitcnt lgkmcnt(0)
	v_xor_b32_e32 v158, 0x80000000, v152
	v_cndmask_b32_e64 v154, v135, v154, s0
	v_cndmask_b32_e32 v156, v137, v156, vcc_lo
	v_cmp_gt_f64_e32 vcc_lo, 0, v[151:152]
	v_cmp_gt_f64_e64 s0, 0, v[149:150]
	v_mov_b32_e32 v157, v151
	v_add_f64 v[153:154], v[153:154], v[155:156]
	v_xor_b32_e32 v156, 0x80000000, v150
	v_mov_b32_e32 v155, v149
	v_cndmask_b32_e32 v158, v152, v158, vcc_lo
	v_cndmask_b32_e64 v156, v150, v156, s0
	v_add_f64 v[155:156], v[155:156], v[157:158]
	v_cmp_lt_f64_e32 vcc_lo, v[153:154], v[155:156]
	v_cndmask_b32_e32 v135, v135, v150, vcc_lo
	v_cndmask_b32_e32 v134, v134, v149, vcc_lo
	;; [unrolled: 1-line block ×4, first 2 shown]
	v_cndmask_b32_e64 v142, v142, s1, vcc_lo
	s_add_i32 s1, s1, 1
	s_cmp_lg_u32 s18, s1
	s_cbranch_scc1 .LBB64_589
.LBB64_590:
	s_inst_prefetch 0x2
	s_waitcnt lgkmcnt(0)
	v_cmp_eq_f64_e32 vcc_lo, 0, v[134:135]
	v_cmp_eq_f64_e64 s0, 0, v[136:137]
	s_and_b32 s0, vcc_lo, s0
	s_and_saveexec_b32 s1, s0
	s_xor_b32 s0, exec_lo, s1
; %bb.591:
	v_cmp_ne_u32_e32 vcc_lo, 0, v147
	v_cndmask_b32_e32 v147, 29, v147, vcc_lo
; %bb.592:
	s_andn2_saveexec_b32 s0, s0
	s_cbranch_execz .LBB64_598
; %bb.593:
	v_cmp_ngt_f64_e64 s1, |v[134:135]|, |v[136:137]|
	s_and_saveexec_b32 s2, s1
	s_xor_b32 s1, exec_lo, s2
	s_cbranch_execz .LBB64_595
; %bb.594:
	v_div_scale_f64 v[149:150], null, v[136:137], v[136:137], v[134:135]
	v_div_scale_f64 v[155:156], vcc_lo, v[134:135], v[136:137], v[134:135]
	v_rcp_f64_e32 v[151:152], v[149:150]
	v_fma_f64 v[153:154], -v[149:150], v[151:152], 1.0
	v_fma_f64 v[151:152], v[151:152], v[153:154], v[151:152]
	v_fma_f64 v[153:154], -v[149:150], v[151:152], 1.0
	v_fma_f64 v[151:152], v[151:152], v[153:154], v[151:152]
	v_mul_f64 v[153:154], v[155:156], v[151:152]
	v_fma_f64 v[149:150], -v[149:150], v[153:154], v[155:156]
	v_div_fmas_f64 v[149:150], v[149:150], v[151:152], v[153:154]
	v_div_fixup_f64 v[149:150], v[149:150], v[136:137], v[134:135]
	v_fma_f64 v[134:135], v[134:135], v[149:150], v[136:137]
	v_div_scale_f64 v[136:137], null, v[134:135], v[134:135], 1.0
	v_rcp_f64_e32 v[151:152], v[136:137]
	v_fma_f64 v[153:154], -v[136:137], v[151:152], 1.0
	v_fma_f64 v[151:152], v[151:152], v[153:154], v[151:152]
	v_fma_f64 v[153:154], -v[136:137], v[151:152], 1.0
	v_fma_f64 v[151:152], v[151:152], v[153:154], v[151:152]
	v_div_scale_f64 v[153:154], vcc_lo, 1.0, v[134:135], 1.0
	v_mul_f64 v[155:156], v[153:154], v[151:152]
	v_fma_f64 v[136:137], -v[136:137], v[155:156], v[153:154]
	v_div_fmas_f64 v[136:137], v[136:137], v[151:152], v[155:156]
	v_div_fixup_f64 v[136:137], v[136:137], v[134:135], 1.0
	v_mul_f64 v[134:135], v[149:150], v[136:137]
	v_xor_b32_e32 v137, 0x80000000, v137
.LBB64_595:
	s_andn2_saveexec_b32 s1, s1
	s_cbranch_execz .LBB64_597
; %bb.596:
	v_div_scale_f64 v[149:150], null, v[134:135], v[134:135], v[136:137]
	v_div_scale_f64 v[155:156], vcc_lo, v[136:137], v[134:135], v[136:137]
	v_rcp_f64_e32 v[151:152], v[149:150]
	v_fma_f64 v[153:154], -v[149:150], v[151:152], 1.0
	v_fma_f64 v[151:152], v[151:152], v[153:154], v[151:152]
	v_fma_f64 v[153:154], -v[149:150], v[151:152], 1.0
	v_fma_f64 v[151:152], v[151:152], v[153:154], v[151:152]
	v_mul_f64 v[153:154], v[155:156], v[151:152]
	v_fma_f64 v[149:150], -v[149:150], v[153:154], v[155:156]
	v_div_fmas_f64 v[149:150], v[149:150], v[151:152], v[153:154]
	v_div_fixup_f64 v[149:150], v[149:150], v[134:135], v[136:137]
	v_fma_f64 v[134:135], v[136:137], v[149:150], v[134:135]
	v_div_scale_f64 v[136:137], null, v[134:135], v[134:135], 1.0
	v_rcp_f64_e32 v[151:152], v[136:137]
	v_fma_f64 v[153:154], -v[136:137], v[151:152], 1.0
	v_fma_f64 v[151:152], v[151:152], v[153:154], v[151:152]
	v_fma_f64 v[153:154], -v[136:137], v[151:152], 1.0
	v_fma_f64 v[151:152], v[151:152], v[153:154], v[151:152]
	v_div_scale_f64 v[153:154], vcc_lo, 1.0, v[134:135], 1.0
	v_mul_f64 v[155:156], v[153:154], v[151:152]
	v_fma_f64 v[136:137], -v[136:137], v[155:156], v[153:154]
	v_div_fmas_f64 v[136:137], v[136:137], v[151:152], v[155:156]
	v_div_fixup_f64 v[134:135], v[136:137], v[134:135], 1.0
	v_mul_f64 v[136:137], v[149:150], -v[134:135]
.LBB64_597:
	s_or_b32 exec_lo, exec_lo, s1
.LBB64_598:
	s_or_b32 exec_lo, exec_lo, s0
	s_mov_b32 s0, exec_lo
	v_cmpx_ne_u32_e64 v148, v142
	s_xor_b32 s0, exec_lo, s0
	s_cbranch_execz .LBB64_604
; %bb.599:
	s_mov_b32 s1, exec_lo
	v_cmpx_eq_u32_e32 28, v148
	s_cbranch_execz .LBB64_603
; %bb.600:
	v_cmp_ne_u32_e32 vcc_lo, 28, v142
	s_xor_b32 s2, s16, -1
	s_and_b32 s3, s2, vcc_lo
	s_and_saveexec_b32 s2, s3
	s_cbranch_execz .LBB64_602
; %bb.601:
	v_ashrrev_i32_e32 v143, 31, v142
	v_lshlrev_b64 v[148:149], 2, v[142:143]
	v_add_co_u32 v148, vcc_lo, v140, v148
	v_add_co_ci_u32_e64 v149, null, v141, v149, vcc_lo
	s_clause 0x1
	global_load_dword v0, v[148:149], off
	global_load_dword v143, v[140:141], off offset:112
	s_waitcnt vmcnt(1)
	global_store_dword v[140:141], v0, off offset:112
	s_waitcnt vmcnt(0)
	global_store_dword v[148:149], v143, off
.LBB64_602:
	s_or_b32 exec_lo, exec_lo, s2
	v_mov_b32_e32 v148, v142
	v_mov_b32_e32 v0, v142
.LBB64_603:
	s_or_b32 exec_lo, exec_lo, s1
.LBB64_604:
	s_andn2_saveexec_b32 s0, s0
	s_cbranch_execz .LBB64_606
; %bb.605:
	v_mov_b32_e32 v148, 28
	ds_write2_b64 v1, v[14:15], v[16:17] offset0:58 offset1:59
	ds_write2_b64 v1, v[10:11], v[12:13] offset0:60 offset1:61
	;; [unrolled: 1-line block ×4, first 2 shown]
.LBB64_606:
	s_or_b32 exec_lo, exec_lo, s0
	s_mov_b32 s0, exec_lo
	s_waitcnt lgkmcnt(0)
	s_waitcnt_vscnt null, 0x0
	s_barrier
	buffer_gl0_inv
	v_cmpx_lt_i32_e32 28, v148
	s_cbranch_execz .LBB64_608
; %bb.607:
	v_mul_f64 v[142:143], v[134:135], v[20:21]
	v_mul_f64 v[20:21], v[136:137], v[20:21]
	ds_read2_b64 v[149:152], v1 offset0:58 offset1:59
	ds_read2_b64 v[153:156], v1 offset0:60 offset1:61
	;; [unrolled: 1-line block ×4, first 2 shown]
	v_fma_f64 v[136:137], v[136:137], v[18:19], v[142:143]
	v_fma_f64 v[18:19], v[134:135], v[18:19], -v[20:21]
	s_waitcnt lgkmcnt(3)
	v_mul_f64 v[20:21], v[151:152], v[136:137]
	v_mul_f64 v[134:135], v[149:150], v[136:137]
	s_waitcnt lgkmcnt(2)
	v_mul_f64 v[142:143], v[155:156], v[136:137]
	v_mul_f64 v[165:166], v[153:154], v[136:137]
	;; [unrolled: 3-line block ×4, first 2 shown]
	v_fma_f64 v[20:21], v[149:150], v[18:19], -v[20:21]
	v_fma_f64 v[134:135], v[151:152], v[18:19], v[134:135]
	v_fma_f64 v[142:143], v[153:154], v[18:19], -v[142:143]
	v_fma_f64 v[149:150], v[155:156], v[18:19], v[165:166]
	;; [unrolled: 2-line block ×4, first 2 shown]
	v_add_f64 v[14:15], v[14:15], -v[20:21]
	v_add_f64 v[16:17], v[16:17], -v[134:135]
	;; [unrolled: 1-line block ×8, first 2 shown]
	v_mov_b32_e32 v20, v136
	v_mov_b32_e32 v21, v137
.LBB64_608:
	s_or_b32 exec_lo, exec_lo, s0
	v_lshl_add_u32 v134, v148, 4, v1
	s_barrier
	buffer_gl0_inv
	v_mov_b32_e32 v142, 29
	ds_write2_b64 v134, v[14:15], v[16:17] offset1:1
	s_waitcnt lgkmcnt(0)
	s_barrier
	buffer_gl0_inv
	ds_read2_b64 v[134:137], v1 offset0:58 offset1:59
	s_cmp_lt_i32 s18, 31
	s_cbranch_scc1 .LBB64_611
; %bb.609:
	v_add3_u32 v143, v144, 0, 0x1e0
	v_mov_b32_e32 v142, 29
	s_mov_b32 s1, 30
	s_inst_prefetch 0x1
	.p2align	6
.LBB64_610:                             ; =>This Inner Loop Header: Depth=1
	s_waitcnt lgkmcnt(0)
	v_cmp_gt_f64_e32 vcc_lo, 0, v[136:137]
	v_cmp_gt_f64_e64 s0, 0, v[134:135]
	ds_read2_b64 v[149:152], v143 offset1:1
	v_xor_b32_e32 v154, 0x80000000, v135
	v_xor_b32_e32 v156, 0x80000000, v137
	v_mov_b32_e32 v153, v134
	v_mov_b32_e32 v155, v136
	v_add_nc_u32_e32 v143, 16, v143
	s_waitcnt lgkmcnt(0)
	v_xor_b32_e32 v158, 0x80000000, v152
	v_cndmask_b32_e64 v154, v135, v154, s0
	v_cndmask_b32_e32 v156, v137, v156, vcc_lo
	v_cmp_gt_f64_e32 vcc_lo, 0, v[151:152]
	v_cmp_gt_f64_e64 s0, 0, v[149:150]
	v_mov_b32_e32 v157, v151
	v_add_f64 v[153:154], v[153:154], v[155:156]
	v_xor_b32_e32 v156, 0x80000000, v150
	v_mov_b32_e32 v155, v149
	v_cndmask_b32_e32 v158, v152, v158, vcc_lo
	v_cndmask_b32_e64 v156, v150, v156, s0
	v_add_f64 v[155:156], v[155:156], v[157:158]
	v_cmp_lt_f64_e32 vcc_lo, v[153:154], v[155:156]
	v_cndmask_b32_e32 v135, v135, v150, vcc_lo
	v_cndmask_b32_e32 v134, v134, v149, vcc_lo
	;; [unrolled: 1-line block ×4, first 2 shown]
	v_cndmask_b32_e64 v142, v142, s1, vcc_lo
	s_add_i32 s1, s1, 1
	s_cmp_lg_u32 s18, s1
	s_cbranch_scc1 .LBB64_610
.LBB64_611:
	s_inst_prefetch 0x2
	s_waitcnt lgkmcnt(0)
	v_cmp_eq_f64_e32 vcc_lo, 0, v[134:135]
	v_cmp_eq_f64_e64 s0, 0, v[136:137]
	s_and_b32 s0, vcc_lo, s0
	s_and_saveexec_b32 s1, s0
	s_xor_b32 s0, exec_lo, s1
; %bb.612:
	v_cmp_ne_u32_e32 vcc_lo, 0, v147
	v_cndmask_b32_e32 v147, 30, v147, vcc_lo
; %bb.613:
	s_andn2_saveexec_b32 s0, s0
	s_cbranch_execz .LBB64_619
; %bb.614:
	v_cmp_ngt_f64_e64 s1, |v[134:135]|, |v[136:137]|
	s_and_saveexec_b32 s2, s1
	s_xor_b32 s1, exec_lo, s2
	s_cbranch_execz .LBB64_616
; %bb.615:
	v_div_scale_f64 v[149:150], null, v[136:137], v[136:137], v[134:135]
	v_div_scale_f64 v[155:156], vcc_lo, v[134:135], v[136:137], v[134:135]
	v_rcp_f64_e32 v[151:152], v[149:150]
	v_fma_f64 v[153:154], -v[149:150], v[151:152], 1.0
	v_fma_f64 v[151:152], v[151:152], v[153:154], v[151:152]
	v_fma_f64 v[153:154], -v[149:150], v[151:152], 1.0
	v_fma_f64 v[151:152], v[151:152], v[153:154], v[151:152]
	v_mul_f64 v[153:154], v[155:156], v[151:152]
	v_fma_f64 v[149:150], -v[149:150], v[153:154], v[155:156]
	v_div_fmas_f64 v[149:150], v[149:150], v[151:152], v[153:154]
	v_div_fixup_f64 v[149:150], v[149:150], v[136:137], v[134:135]
	v_fma_f64 v[134:135], v[134:135], v[149:150], v[136:137]
	v_div_scale_f64 v[136:137], null, v[134:135], v[134:135], 1.0
	v_rcp_f64_e32 v[151:152], v[136:137]
	v_fma_f64 v[153:154], -v[136:137], v[151:152], 1.0
	v_fma_f64 v[151:152], v[151:152], v[153:154], v[151:152]
	v_fma_f64 v[153:154], -v[136:137], v[151:152], 1.0
	v_fma_f64 v[151:152], v[151:152], v[153:154], v[151:152]
	v_div_scale_f64 v[153:154], vcc_lo, 1.0, v[134:135], 1.0
	v_mul_f64 v[155:156], v[153:154], v[151:152]
	v_fma_f64 v[136:137], -v[136:137], v[155:156], v[153:154]
	v_div_fmas_f64 v[136:137], v[136:137], v[151:152], v[155:156]
	v_div_fixup_f64 v[136:137], v[136:137], v[134:135], 1.0
	v_mul_f64 v[134:135], v[149:150], v[136:137]
	v_xor_b32_e32 v137, 0x80000000, v137
.LBB64_616:
	s_andn2_saveexec_b32 s1, s1
	s_cbranch_execz .LBB64_618
; %bb.617:
	v_div_scale_f64 v[149:150], null, v[134:135], v[134:135], v[136:137]
	v_div_scale_f64 v[155:156], vcc_lo, v[136:137], v[134:135], v[136:137]
	v_rcp_f64_e32 v[151:152], v[149:150]
	v_fma_f64 v[153:154], -v[149:150], v[151:152], 1.0
	v_fma_f64 v[151:152], v[151:152], v[153:154], v[151:152]
	v_fma_f64 v[153:154], -v[149:150], v[151:152], 1.0
	v_fma_f64 v[151:152], v[151:152], v[153:154], v[151:152]
	v_mul_f64 v[153:154], v[155:156], v[151:152]
	v_fma_f64 v[149:150], -v[149:150], v[153:154], v[155:156]
	v_div_fmas_f64 v[149:150], v[149:150], v[151:152], v[153:154]
	v_div_fixup_f64 v[149:150], v[149:150], v[134:135], v[136:137]
	v_fma_f64 v[134:135], v[136:137], v[149:150], v[134:135]
	v_div_scale_f64 v[136:137], null, v[134:135], v[134:135], 1.0
	v_rcp_f64_e32 v[151:152], v[136:137]
	v_fma_f64 v[153:154], -v[136:137], v[151:152], 1.0
	v_fma_f64 v[151:152], v[151:152], v[153:154], v[151:152]
	v_fma_f64 v[153:154], -v[136:137], v[151:152], 1.0
	v_fma_f64 v[151:152], v[151:152], v[153:154], v[151:152]
	v_div_scale_f64 v[153:154], vcc_lo, 1.0, v[134:135], 1.0
	v_mul_f64 v[155:156], v[153:154], v[151:152]
	v_fma_f64 v[136:137], -v[136:137], v[155:156], v[153:154]
	v_div_fmas_f64 v[136:137], v[136:137], v[151:152], v[155:156]
	v_div_fixup_f64 v[134:135], v[136:137], v[134:135], 1.0
	v_mul_f64 v[136:137], v[149:150], -v[134:135]
.LBB64_618:
	s_or_b32 exec_lo, exec_lo, s1
.LBB64_619:
	s_or_b32 exec_lo, exec_lo, s0
	s_mov_b32 s0, exec_lo
	v_cmpx_ne_u32_e64 v148, v142
	s_xor_b32 s0, exec_lo, s0
	s_cbranch_execz .LBB64_625
; %bb.620:
	s_mov_b32 s1, exec_lo
	v_cmpx_eq_u32_e32 29, v148
	s_cbranch_execz .LBB64_624
; %bb.621:
	v_cmp_ne_u32_e32 vcc_lo, 29, v142
	s_xor_b32 s2, s16, -1
	s_and_b32 s3, s2, vcc_lo
	s_and_saveexec_b32 s2, s3
	s_cbranch_execz .LBB64_623
; %bb.622:
	v_ashrrev_i32_e32 v143, 31, v142
	v_lshlrev_b64 v[148:149], 2, v[142:143]
	v_add_co_u32 v148, vcc_lo, v140, v148
	v_add_co_ci_u32_e64 v149, null, v141, v149, vcc_lo
	s_clause 0x1
	global_load_dword v0, v[148:149], off
	global_load_dword v143, v[140:141], off offset:116
	s_waitcnt vmcnt(1)
	global_store_dword v[140:141], v0, off offset:116
	s_waitcnt vmcnt(0)
	global_store_dword v[148:149], v143, off
.LBB64_623:
	s_or_b32 exec_lo, exec_lo, s2
	v_mov_b32_e32 v148, v142
	v_mov_b32_e32 v0, v142
.LBB64_624:
	s_or_b32 exec_lo, exec_lo, s1
.LBB64_625:
	s_andn2_saveexec_b32 s0, s0
	s_cbranch_execz .LBB64_627
; %bb.626:
	v_mov_b32_e32 v148, 29
	ds_write2_b64 v1, v[10:11], v[12:13] offset0:60 offset1:61
	ds_write2_b64 v1, v[6:7], v[8:9] offset0:62 offset1:63
	;; [unrolled: 1-line block ×3, first 2 shown]
.LBB64_627:
	s_or_b32 exec_lo, exec_lo, s0
	s_mov_b32 s0, exec_lo
	s_waitcnt lgkmcnt(0)
	s_waitcnt_vscnt null, 0x0
	s_barrier
	buffer_gl0_inv
	v_cmpx_lt_i32_e32 29, v148
	s_cbranch_execz .LBB64_629
; %bb.628:
	v_mul_f64 v[142:143], v[134:135], v[16:17]
	v_mul_f64 v[16:17], v[136:137], v[16:17]
	ds_read2_b64 v[149:152], v1 offset0:60 offset1:61
	ds_read2_b64 v[153:156], v1 offset0:62 offset1:63
	;; [unrolled: 1-line block ×3, first 2 shown]
	v_fma_f64 v[136:137], v[136:137], v[14:15], v[142:143]
	v_fma_f64 v[14:15], v[134:135], v[14:15], -v[16:17]
	s_waitcnt lgkmcnt(2)
	v_mul_f64 v[16:17], v[151:152], v[136:137]
	v_mul_f64 v[134:135], v[149:150], v[136:137]
	s_waitcnt lgkmcnt(1)
	v_mul_f64 v[142:143], v[155:156], v[136:137]
	v_mul_f64 v[161:162], v[153:154], v[136:137]
	;; [unrolled: 3-line block ×3, first 2 shown]
	v_fma_f64 v[16:17], v[149:150], v[14:15], -v[16:17]
	v_fma_f64 v[134:135], v[151:152], v[14:15], v[134:135]
	v_fma_f64 v[142:143], v[153:154], v[14:15], -v[142:143]
	v_fma_f64 v[149:150], v[155:156], v[14:15], v[161:162]
	;; [unrolled: 2-line block ×3, first 2 shown]
	v_add_f64 v[10:11], v[10:11], -v[16:17]
	v_add_f64 v[12:13], v[12:13], -v[134:135]
	;; [unrolled: 1-line block ×6, first 2 shown]
	v_mov_b32_e32 v16, v136
	v_mov_b32_e32 v17, v137
.LBB64_629:
	s_or_b32 exec_lo, exec_lo, s0
	v_lshl_add_u32 v134, v148, 4, v1
	s_barrier
	buffer_gl0_inv
	v_mov_b32_e32 v142, 30
	ds_write2_b64 v134, v[10:11], v[12:13] offset1:1
	s_waitcnt lgkmcnt(0)
	s_barrier
	buffer_gl0_inv
	ds_read2_b64 v[134:137], v1 offset0:60 offset1:61
	s_cmp_lt_i32 s18, 32
	s_cbranch_scc1 .LBB64_632
; %bb.630:
	v_add3_u32 v143, v144, 0, 0x1f0
	v_mov_b32_e32 v142, 30
	s_mov_b32 s1, 31
	s_inst_prefetch 0x1
	.p2align	6
.LBB64_631:                             ; =>This Inner Loop Header: Depth=1
	s_waitcnt lgkmcnt(0)
	v_cmp_gt_f64_e32 vcc_lo, 0, v[136:137]
	v_cmp_gt_f64_e64 s0, 0, v[134:135]
	ds_read2_b64 v[149:152], v143 offset1:1
	v_xor_b32_e32 v154, 0x80000000, v135
	v_xor_b32_e32 v156, 0x80000000, v137
	v_mov_b32_e32 v153, v134
	v_mov_b32_e32 v155, v136
	v_add_nc_u32_e32 v143, 16, v143
	s_waitcnt lgkmcnt(0)
	v_xor_b32_e32 v158, 0x80000000, v152
	v_cndmask_b32_e64 v154, v135, v154, s0
	v_cndmask_b32_e32 v156, v137, v156, vcc_lo
	v_cmp_gt_f64_e32 vcc_lo, 0, v[151:152]
	v_cmp_gt_f64_e64 s0, 0, v[149:150]
	v_mov_b32_e32 v157, v151
	v_add_f64 v[153:154], v[153:154], v[155:156]
	v_xor_b32_e32 v156, 0x80000000, v150
	v_mov_b32_e32 v155, v149
	v_cndmask_b32_e32 v158, v152, v158, vcc_lo
	v_cndmask_b32_e64 v156, v150, v156, s0
	v_add_f64 v[155:156], v[155:156], v[157:158]
	v_cmp_lt_f64_e32 vcc_lo, v[153:154], v[155:156]
	v_cndmask_b32_e32 v135, v135, v150, vcc_lo
	v_cndmask_b32_e32 v134, v134, v149, vcc_lo
	;; [unrolled: 1-line block ×4, first 2 shown]
	v_cndmask_b32_e64 v142, v142, s1, vcc_lo
	s_add_i32 s1, s1, 1
	s_cmp_lg_u32 s18, s1
	s_cbranch_scc1 .LBB64_631
.LBB64_632:
	s_inst_prefetch 0x2
	s_waitcnt lgkmcnt(0)
	v_cmp_eq_f64_e32 vcc_lo, 0, v[134:135]
	v_cmp_eq_f64_e64 s0, 0, v[136:137]
	s_and_b32 s0, vcc_lo, s0
	s_and_saveexec_b32 s1, s0
	s_xor_b32 s0, exec_lo, s1
; %bb.633:
	v_cmp_ne_u32_e32 vcc_lo, 0, v147
	v_cndmask_b32_e32 v147, 31, v147, vcc_lo
; %bb.634:
	s_andn2_saveexec_b32 s0, s0
	s_cbranch_execz .LBB64_640
; %bb.635:
	v_cmp_ngt_f64_e64 s1, |v[134:135]|, |v[136:137]|
	s_and_saveexec_b32 s2, s1
	s_xor_b32 s1, exec_lo, s2
	s_cbranch_execz .LBB64_637
; %bb.636:
	v_div_scale_f64 v[149:150], null, v[136:137], v[136:137], v[134:135]
	v_div_scale_f64 v[155:156], vcc_lo, v[134:135], v[136:137], v[134:135]
	v_rcp_f64_e32 v[151:152], v[149:150]
	v_fma_f64 v[153:154], -v[149:150], v[151:152], 1.0
	v_fma_f64 v[151:152], v[151:152], v[153:154], v[151:152]
	v_fma_f64 v[153:154], -v[149:150], v[151:152], 1.0
	v_fma_f64 v[151:152], v[151:152], v[153:154], v[151:152]
	v_mul_f64 v[153:154], v[155:156], v[151:152]
	v_fma_f64 v[149:150], -v[149:150], v[153:154], v[155:156]
	v_div_fmas_f64 v[149:150], v[149:150], v[151:152], v[153:154]
	v_div_fixup_f64 v[149:150], v[149:150], v[136:137], v[134:135]
	v_fma_f64 v[134:135], v[134:135], v[149:150], v[136:137]
	v_div_scale_f64 v[136:137], null, v[134:135], v[134:135], 1.0
	v_rcp_f64_e32 v[151:152], v[136:137]
	v_fma_f64 v[153:154], -v[136:137], v[151:152], 1.0
	v_fma_f64 v[151:152], v[151:152], v[153:154], v[151:152]
	v_fma_f64 v[153:154], -v[136:137], v[151:152], 1.0
	v_fma_f64 v[151:152], v[151:152], v[153:154], v[151:152]
	v_div_scale_f64 v[153:154], vcc_lo, 1.0, v[134:135], 1.0
	v_mul_f64 v[155:156], v[153:154], v[151:152]
	v_fma_f64 v[136:137], -v[136:137], v[155:156], v[153:154]
	v_div_fmas_f64 v[136:137], v[136:137], v[151:152], v[155:156]
	v_div_fixup_f64 v[136:137], v[136:137], v[134:135], 1.0
	v_mul_f64 v[134:135], v[149:150], v[136:137]
	v_xor_b32_e32 v137, 0x80000000, v137
.LBB64_637:
	s_andn2_saveexec_b32 s1, s1
	s_cbranch_execz .LBB64_639
; %bb.638:
	v_div_scale_f64 v[149:150], null, v[134:135], v[134:135], v[136:137]
	v_div_scale_f64 v[155:156], vcc_lo, v[136:137], v[134:135], v[136:137]
	v_rcp_f64_e32 v[151:152], v[149:150]
	v_fma_f64 v[153:154], -v[149:150], v[151:152], 1.0
	v_fma_f64 v[151:152], v[151:152], v[153:154], v[151:152]
	v_fma_f64 v[153:154], -v[149:150], v[151:152], 1.0
	v_fma_f64 v[151:152], v[151:152], v[153:154], v[151:152]
	v_mul_f64 v[153:154], v[155:156], v[151:152]
	v_fma_f64 v[149:150], -v[149:150], v[153:154], v[155:156]
	v_div_fmas_f64 v[149:150], v[149:150], v[151:152], v[153:154]
	v_div_fixup_f64 v[149:150], v[149:150], v[134:135], v[136:137]
	v_fma_f64 v[134:135], v[136:137], v[149:150], v[134:135]
	v_div_scale_f64 v[136:137], null, v[134:135], v[134:135], 1.0
	v_rcp_f64_e32 v[151:152], v[136:137]
	v_fma_f64 v[153:154], -v[136:137], v[151:152], 1.0
	v_fma_f64 v[151:152], v[151:152], v[153:154], v[151:152]
	v_fma_f64 v[153:154], -v[136:137], v[151:152], 1.0
	v_fma_f64 v[151:152], v[151:152], v[153:154], v[151:152]
	v_div_scale_f64 v[153:154], vcc_lo, 1.0, v[134:135], 1.0
	v_mul_f64 v[155:156], v[153:154], v[151:152]
	v_fma_f64 v[136:137], -v[136:137], v[155:156], v[153:154]
	v_div_fmas_f64 v[136:137], v[136:137], v[151:152], v[155:156]
	v_div_fixup_f64 v[134:135], v[136:137], v[134:135], 1.0
	v_mul_f64 v[136:137], v[149:150], -v[134:135]
.LBB64_639:
	s_or_b32 exec_lo, exec_lo, s1
.LBB64_640:
	s_or_b32 exec_lo, exec_lo, s0
	s_mov_b32 s0, exec_lo
	v_cmpx_ne_u32_e64 v148, v142
	s_xor_b32 s0, exec_lo, s0
	s_cbranch_execz .LBB64_646
; %bb.641:
	s_mov_b32 s1, exec_lo
	v_cmpx_eq_u32_e32 30, v148
	s_cbranch_execz .LBB64_645
; %bb.642:
	v_cmp_ne_u32_e32 vcc_lo, 30, v142
	s_xor_b32 s2, s16, -1
	s_and_b32 s3, s2, vcc_lo
	s_and_saveexec_b32 s2, s3
	s_cbranch_execz .LBB64_644
; %bb.643:
	v_ashrrev_i32_e32 v143, 31, v142
	v_lshlrev_b64 v[148:149], 2, v[142:143]
	v_add_co_u32 v148, vcc_lo, v140, v148
	v_add_co_ci_u32_e64 v149, null, v141, v149, vcc_lo
	s_clause 0x1
	global_load_dword v0, v[148:149], off
	global_load_dword v143, v[140:141], off offset:120
	s_waitcnt vmcnt(1)
	global_store_dword v[140:141], v0, off offset:120
	s_waitcnt vmcnt(0)
	global_store_dword v[148:149], v143, off
.LBB64_644:
	s_or_b32 exec_lo, exec_lo, s2
	v_mov_b32_e32 v148, v142
	v_mov_b32_e32 v0, v142
.LBB64_645:
	s_or_b32 exec_lo, exec_lo, s1
.LBB64_646:
	s_andn2_saveexec_b32 s0, s0
	s_cbranch_execz .LBB64_648
; %bb.647:
	v_mov_b32_e32 v148, 30
	ds_write2_b64 v1, v[6:7], v[8:9] offset0:62 offset1:63
	ds_write2_b64 v1, v[2:3], v[4:5] offset0:64 offset1:65
.LBB64_648:
	s_or_b32 exec_lo, exec_lo, s0
	s_mov_b32 s0, exec_lo
	s_waitcnt lgkmcnt(0)
	s_waitcnt_vscnt null, 0x0
	s_barrier
	buffer_gl0_inv
	v_cmpx_lt_i32_e32 30, v148
	s_cbranch_execz .LBB64_650
; %bb.649:
	v_mul_f64 v[142:143], v[134:135], v[12:13]
	v_mul_f64 v[12:13], v[136:137], v[12:13]
	ds_read2_b64 v[149:152], v1 offset0:62 offset1:63
	ds_read2_b64 v[153:156], v1 offset0:64 offset1:65
	v_fma_f64 v[136:137], v[136:137], v[10:11], v[142:143]
	v_fma_f64 v[10:11], v[134:135], v[10:11], -v[12:13]
	s_waitcnt lgkmcnt(1)
	v_mul_f64 v[12:13], v[151:152], v[136:137]
	v_mul_f64 v[134:135], v[149:150], v[136:137]
	s_waitcnt lgkmcnt(0)
	v_mul_f64 v[142:143], v[155:156], v[136:137]
	v_mul_f64 v[157:158], v[153:154], v[136:137]
	v_fma_f64 v[12:13], v[149:150], v[10:11], -v[12:13]
	v_fma_f64 v[134:135], v[151:152], v[10:11], v[134:135]
	v_fma_f64 v[142:143], v[153:154], v[10:11], -v[142:143]
	v_fma_f64 v[149:150], v[155:156], v[10:11], v[157:158]
	v_add_f64 v[6:7], v[6:7], -v[12:13]
	v_add_f64 v[8:9], v[8:9], -v[134:135]
	;; [unrolled: 1-line block ×4, first 2 shown]
	v_mov_b32_e32 v12, v136
	v_mov_b32_e32 v13, v137
.LBB64_650:
	s_or_b32 exec_lo, exec_lo, s0
	v_lshl_add_u32 v134, v148, 4, v1
	s_barrier
	buffer_gl0_inv
	v_mov_b32_e32 v142, 31
	ds_write2_b64 v134, v[6:7], v[8:9] offset1:1
	s_waitcnt lgkmcnt(0)
	s_barrier
	buffer_gl0_inv
	ds_read2_b64 v[134:137], v1 offset0:62 offset1:63
	s_cmp_lt_i32 s18, 33
	s_cbranch_scc1 .LBB64_653
; %bb.651:
	v_add3_u32 v143, v144, 0, 0x200
	v_mov_b32_e32 v142, 31
	s_mov_b32 s1, 32
	s_inst_prefetch 0x1
	.p2align	6
.LBB64_652:                             ; =>This Inner Loop Header: Depth=1
	s_waitcnt lgkmcnt(0)
	v_cmp_gt_f64_e32 vcc_lo, 0, v[136:137]
	v_cmp_gt_f64_e64 s0, 0, v[134:135]
	ds_read2_b64 v[149:152], v143 offset1:1
	v_xor_b32_e32 v154, 0x80000000, v135
	v_xor_b32_e32 v156, 0x80000000, v137
	v_mov_b32_e32 v153, v134
	v_mov_b32_e32 v155, v136
	v_add_nc_u32_e32 v143, 16, v143
	s_waitcnt lgkmcnt(0)
	v_xor_b32_e32 v158, 0x80000000, v152
	v_cndmask_b32_e64 v154, v135, v154, s0
	v_cndmask_b32_e32 v156, v137, v156, vcc_lo
	v_cmp_gt_f64_e32 vcc_lo, 0, v[151:152]
	v_cmp_gt_f64_e64 s0, 0, v[149:150]
	v_mov_b32_e32 v157, v151
	v_add_f64 v[153:154], v[153:154], v[155:156]
	v_xor_b32_e32 v156, 0x80000000, v150
	v_mov_b32_e32 v155, v149
	v_cndmask_b32_e32 v158, v152, v158, vcc_lo
	v_cndmask_b32_e64 v156, v150, v156, s0
	v_add_f64 v[155:156], v[155:156], v[157:158]
	v_cmp_lt_f64_e32 vcc_lo, v[153:154], v[155:156]
	v_cndmask_b32_e32 v135, v135, v150, vcc_lo
	v_cndmask_b32_e32 v134, v134, v149, vcc_lo
	v_cndmask_b32_e32 v137, v137, v152, vcc_lo
	v_cndmask_b32_e32 v136, v136, v151, vcc_lo
	v_cndmask_b32_e64 v142, v142, s1, vcc_lo
	s_add_i32 s1, s1, 1
	s_cmp_lg_u32 s18, s1
	s_cbranch_scc1 .LBB64_652
.LBB64_653:
	s_inst_prefetch 0x2
	s_waitcnt lgkmcnt(0)
	v_cmp_eq_f64_e32 vcc_lo, 0, v[134:135]
	v_cmp_eq_f64_e64 s0, 0, v[136:137]
	s_and_b32 s0, vcc_lo, s0
	s_and_saveexec_b32 s1, s0
	s_xor_b32 s0, exec_lo, s1
; %bb.654:
	v_cmp_ne_u32_e32 vcc_lo, 0, v147
	v_cndmask_b32_e32 v147, 32, v147, vcc_lo
; %bb.655:
	s_andn2_saveexec_b32 s0, s0
	s_cbranch_execz .LBB64_661
; %bb.656:
	v_cmp_ngt_f64_e64 s1, |v[134:135]|, |v[136:137]|
	s_and_saveexec_b32 s2, s1
	s_xor_b32 s1, exec_lo, s2
	s_cbranch_execz .LBB64_658
; %bb.657:
	v_div_scale_f64 v[149:150], null, v[136:137], v[136:137], v[134:135]
	v_div_scale_f64 v[155:156], vcc_lo, v[134:135], v[136:137], v[134:135]
	v_rcp_f64_e32 v[151:152], v[149:150]
	v_fma_f64 v[153:154], -v[149:150], v[151:152], 1.0
	v_fma_f64 v[151:152], v[151:152], v[153:154], v[151:152]
	v_fma_f64 v[153:154], -v[149:150], v[151:152], 1.0
	v_fma_f64 v[151:152], v[151:152], v[153:154], v[151:152]
	v_mul_f64 v[153:154], v[155:156], v[151:152]
	v_fma_f64 v[149:150], -v[149:150], v[153:154], v[155:156]
	v_div_fmas_f64 v[149:150], v[149:150], v[151:152], v[153:154]
	v_div_fixup_f64 v[149:150], v[149:150], v[136:137], v[134:135]
	v_fma_f64 v[134:135], v[134:135], v[149:150], v[136:137]
	v_div_scale_f64 v[136:137], null, v[134:135], v[134:135], 1.0
	v_rcp_f64_e32 v[151:152], v[136:137]
	v_fma_f64 v[153:154], -v[136:137], v[151:152], 1.0
	v_fma_f64 v[151:152], v[151:152], v[153:154], v[151:152]
	v_fma_f64 v[153:154], -v[136:137], v[151:152], 1.0
	v_fma_f64 v[151:152], v[151:152], v[153:154], v[151:152]
	v_div_scale_f64 v[153:154], vcc_lo, 1.0, v[134:135], 1.0
	v_mul_f64 v[155:156], v[153:154], v[151:152]
	v_fma_f64 v[136:137], -v[136:137], v[155:156], v[153:154]
	v_div_fmas_f64 v[136:137], v[136:137], v[151:152], v[155:156]
	v_div_fixup_f64 v[136:137], v[136:137], v[134:135], 1.0
	v_mul_f64 v[134:135], v[149:150], v[136:137]
	v_xor_b32_e32 v137, 0x80000000, v137
.LBB64_658:
	s_andn2_saveexec_b32 s1, s1
	s_cbranch_execz .LBB64_660
; %bb.659:
	v_div_scale_f64 v[149:150], null, v[134:135], v[134:135], v[136:137]
	v_div_scale_f64 v[155:156], vcc_lo, v[136:137], v[134:135], v[136:137]
	v_rcp_f64_e32 v[151:152], v[149:150]
	v_fma_f64 v[153:154], -v[149:150], v[151:152], 1.0
	v_fma_f64 v[151:152], v[151:152], v[153:154], v[151:152]
	v_fma_f64 v[153:154], -v[149:150], v[151:152], 1.0
	v_fma_f64 v[151:152], v[151:152], v[153:154], v[151:152]
	v_mul_f64 v[153:154], v[155:156], v[151:152]
	v_fma_f64 v[149:150], -v[149:150], v[153:154], v[155:156]
	v_div_fmas_f64 v[149:150], v[149:150], v[151:152], v[153:154]
	v_div_fixup_f64 v[149:150], v[149:150], v[134:135], v[136:137]
	v_fma_f64 v[134:135], v[136:137], v[149:150], v[134:135]
	v_div_scale_f64 v[136:137], null, v[134:135], v[134:135], 1.0
	v_rcp_f64_e32 v[151:152], v[136:137]
	v_fma_f64 v[153:154], -v[136:137], v[151:152], 1.0
	v_fma_f64 v[151:152], v[151:152], v[153:154], v[151:152]
	v_fma_f64 v[153:154], -v[136:137], v[151:152], 1.0
	v_fma_f64 v[151:152], v[151:152], v[153:154], v[151:152]
	v_div_scale_f64 v[153:154], vcc_lo, 1.0, v[134:135], 1.0
	v_mul_f64 v[155:156], v[153:154], v[151:152]
	v_fma_f64 v[136:137], -v[136:137], v[155:156], v[153:154]
	v_div_fmas_f64 v[136:137], v[136:137], v[151:152], v[155:156]
	v_div_fixup_f64 v[134:135], v[136:137], v[134:135], 1.0
	v_mul_f64 v[136:137], v[149:150], -v[134:135]
.LBB64_660:
	s_or_b32 exec_lo, exec_lo, s1
.LBB64_661:
	s_or_b32 exec_lo, exec_lo, s0
	s_mov_b32 s0, exec_lo
	v_cmpx_ne_u32_e64 v148, v142
	s_xor_b32 s0, exec_lo, s0
	s_cbranch_execz .LBB64_667
; %bb.662:
	s_mov_b32 s1, exec_lo
	v_cmpx_eq_u32_e32 31, v148
	s_cbranch_execz .LBB64_666
; %bb.663:
	v_cmp_ne_u32_e32 vcc_lo, 31, v142
	s_xor_b32 s2, s16, -1
	s_and_b32 s3, s2, vcc_lo
	s_and_saveexec_b32 s2, s3
	s_cbranch_execz .LBB64_665
; %bb.664:
	v_ashrrev_i32_e32 v143, 31, v142
	v_lshlrev_b64 v[148:149], 2, v[142:143]
	v_add_co_u32 v148, vcc_lo, v140, v148
	v_add_co_ci_u32_e64 v149, null, v141, v149, vcc_lo
	s_clause 0x1
	global_load_dword v0, v[148:149], off
	global_load_dword v143, v[140:141], off offset:124
	s_waitcnt vmcnt(1)
	global_store_dword v[140:141], v0, off offset:124
	s_waitcnt vmcnt(0)
	global_store_dword v[148:149], v143, off
.LBB64_665:
	s_or_b32 exec_lo, exec_lo, s2
	v_mov_b32_e32 v148, v142
	v_mov_b32_e32 v0, v142
.LBB64_666:
	s_or_b32 exec_lo, exec_lo, s1
.LBB64_667:
	s_andn2_saveexec_b32 s0, s0
; %bb.668:
	v_mov_b32_e32 v148, 31
	ds_write2_b64 v1, v[2:3], v[4:5] offset0:64 offset1:65
; %bb.669:
	s_or_b32 exec_lo, exec_lo, s0
	s_mov_b32 s0, exec_lo
	s_waitcnt lgkmcnt(0)
	s_waitcnt_vscnt null, 0x0
	s_barrier
	buffer_gl0_inv
	v_cmpx_lt_i32_e32 31, v148
	s_cbranch_execz .LBB64_671
; %bb.670:
	v_mul_f64 v[142:143], v[134:135], v[8:9]
	v_mul_f64 v[8:9], v[136:137], v[8:9]
	ds_read2_b64 v[149:152], v1 offset0:64 offset1:65
	v_fma_f64 v[136:137], v[136:137], v[6:7], v[142:143]
	v_fma_f64 v[6:7], v[134:135], v[6:7], -v[8:9]
	s_waitcnt lgkmcnt(0)
	v_mul_f64 v[8:9], v[151:152], v[136:137]
	v_mul_f64 v[134:135], v[149:150], v[136:137]
	v_fma_f64 v[8:9], v[149:150], v[6:7], -v[8:9]
	v_fma_f64 v[134:135], v[151:152], v[6:7], v[134:135]
	v_add_f64 v[2:3], v[2:3], -v[8:9]
	v_add_f64 v[4:5], v[4:5], -v[134:135]
	v_mov_b32_e32 v8, v136
	v_mov_b32_e32 v9, v137
.LBB64_671:
	s_or_b32 exec_lo, exec_lo, s0
	v_lshl_add_u32 v134, v148, 4, v1
	s_barrier
	buffer_gl0_inv
	v_mov_b32_e32 v142, 32
	ds_write2_b64 v134, v[2:3], v[4:5] offset1:1
	s_waitcnt lgkmcnt(0)
	s_barrier
	buffer_gl0_inv
	ds_read2_b64 v[134:137], v1 offset0:64 offset1:65
	s_cmp_lt_i32 s18, 34
	s_cbranch_scc1 .LBB64_674
; %bb.672:
	v_add3_u32 v1, v144, 0, 0x210
	v_mov_b32_e32 v142, 32
	s_mov_b32 s1, 33
	s_inst_prefetch 0x1
	.p2align	6
.LBB64_673:                             ; =>This Inner Loop Header: Depth=1
	s_waitcnt lgkmcnt(0)
	v_cmp_gt_f64_e32 vcc_lo, 0, v[136:137]
	v_cmp_gt_f64_e64 s0, 0, v[134:135]
	ds_read2_b64 v[149:152], v1 offset1:1
	v_xor_b32_e32 v144, 0x80000000, v135
	v_xor_b32_e32 v154, 0x80000000, v137
	v_mov_b32_e32 v143, v134
	v_mov_b32_e32 v153, v136
	v_add_nc_u32_e32 v1, 16, v1
	s_waitcnt lgkmcnt(0)
	v_xor_b32_e32 v156, 0x80000000, v152
	v_cndmask_b32_e64 v144, v135, v144, s0
	v_cndmask_b32_e32 v154, v137, v154, vcc_lo
	v_cmp_gt_f64_e32 vcc_lo, 0, v[151:152]
	v_cmp_gt_f64_e64 s0, 0, v[149:150]
	v_mov_b32_e32 v155, v151
	v_add_f64 v[143:144], v[143:144], v[153:154]
	v_xor_b32_e32 v154, 0x80000000, v150
	v_mov_b32_e32 v153, v149
	v_cndmask_b32_e32 v156, v152, v156, vcc_lo
	v_cndmask_b32_e64 v154, v150, v154, s0
	v_add_f64 v[153:154], v[153:154], v[155:156]
	v_cmp_lt_f64_e32 vcc_lo, v[143:144], v[153:154]
	v_cndmask_b32_e32 v135, v135, v150, vcc_lo
	v_cndmask_b32_e32 v134, v134, v149, vcc_lo
	;; [unrolled: 1-line block ×4, first 2 shown]
	v_cndmask_b32_e64 v142, v142, s1, vcc_lo
	s_add_i32 s1, s1, 1
	s_cmp_lg_u32 s18, s1
	s_cbranch_scc1 .LBB64_673
.LBB64_674:
	s_inst_prefetch 0x2
	s_waitcnt lgkmcnt(0)
	v_cmp_eq_f64_e32 vcc_lo, 0, v[134:135]
	v_cmp_eq_f64_e64 s0, 0, v[136:137]
	s_and_b32 s0, vcc_lo, s0
	s_and_saveexec_b32 s1, s0
	s_xor_b32 s0, exec_lo, s1
; %bb.675:
	v_cmp_ne_u32_e32 vcc_lo, 0, v147
	v_cndmask_b32_e32 v147, 33, v147, vcc_lo
; %bb.676:
	s_andn2_saveexec_b32 s0, s0
	s_cbranch_execz .LBB64_682
; %bb.677:
	v_cmp_ngt_f64_e64 s1, |v[134:135]|, |v[136:137]|
	s_and_saveexec_b32 s2, s1
	s_xor_b32 s1, exec_lo, s2
	s_cbranch_execz .LBB64_679
; %bb.678:
	v_div_scale_f64 v[143:144], null, v[136:137], v[136:137], v[134:135]
	v_div_scale_f64 v[153:154], vcc_lo, v[134:135], v[136:137], v[134:135]
	v_rcp_f64_e32 v[149:150], v[143:144]
	v_fma_f64 v[151:152], -v[143:144], v[149:150], 1.0
	v_fma_f64 v[149:150], v[149:150], v[151:152], v[149:150]
	v_fma_f64 v[151:152], -v[143:144], v[149:150], 1.0
	v_fma_f64 v[149:150], v[149:150], v[151:152], v[149:150]
	v_mul_f64 v[151:152], v[153:154], v[149:150]
	v_fma_f64 v[143:144], -v[143:144], v[151:152], v[153:154]
	v_div_fmas_f64 v[143:144], v[143:144], v[149:150], v[151:152]
	v_div_fixup_f64 v[143:144], v[143:144], v[136:137], v[134:135]
	v_fma_f64 v[134:135], v[134:135], v[143:144], v[136:137]
	v_div_scale_f64 v[136:137], null, v[134:135], v[134:135], 1.0
	v_rcp_f64_e32 v[149:150], v[136:137]
	v_fma_f64 v[151:152], -v[136:137], v[149:150], 1.0
	v_fma_f64 v[149:150], v[149:150], v[151:152], v[149:150]
	v_fma_f64 v[151:152], -v[136:137], v[149:150], 1.0
	v_fma_f64 v[149:150], v[149:150], v[151:152], v[149:150]
	v_div_scale_f64 v[151:152], vcc_lo, 1.0, v[134:135], 1.0
	v_mul_f64 v[153:154], v[151:152], v[149:150]
	v_fma_f64 v[136:137], -v[136:137], v[153:154], v[151:152]
	v_div_fmas_f64 v[136:137], v[136:137], v[149:150], v[153:154]
	v_div_fixup_f64 v[136:137], v[136:137], v[134:135], 1.0
	v_mul_f64 v[134:135], v[143:144], v[136:137]
	v_xor_b32_e32 v137, 0x80000000, v137
.LBB64_679:
	s_andn2_saveexec_b32 s1, s1
	s_cbranch_execz .LBB64_681
; %bb.680:
	v_div_scale_f64 v[143:144], null, v[134:135], v[134:135], v[136:137]
	v_div_scale_f64 v[153:154], vcc_lo, v[136:137], v[134:135], v[136:137]
	v_rcp_f64_e32 v[149:150], v[143:144]
	v_fma_f64 v[151:152], -v[143:144], v[149:150], 1.0
	v_fma_f64 v[149:150], v[149:150], v[151:152], v[149:150]
	v_fma_f64 v[151:152], -v[143:144], v[149:150], 1.0
	v_fma_f64 v[149:150], v[149:150], v[151:152], v[149:150]
	v_mul_f64 v[151:152], v[153:154], v[149:150]
	v_fma_f64 v[143:144], -v[143:144], v[151:152], v[153:154]
	v_div_fmas_f64 v[143:144], v[143:144], v[149:150], v[151:152]
	v_div_fixup_f64 v[143:144], v[143:144], v[134:135], v[136:137]
	v_fma_f64 v[134:135], v[136:137], v[143:144], v[134:135]
	v_div_scale_f64 v[136:137], null, v[134:135], v[134:135], 1.0
	v_rcp_f64_e32 v[149:150], v[136:137]
	v_fma_f64 v[151:152], -v[136:137], v[149:150], 1.0
	v_fma_f64 v[149:150], v[149:150], v[151:152], v[149:150]
	v_fma_f64 v[151:152], -v[136:137], v[149:150], 1.0
	v_fma_f64 v[149:150], v[149:150], v[151:152], v[149:150]
	v_div_scale_f64 v[151:152], vcc_lo, 1.0, v[134:135], 1.0
	v_mul_f64 v[153:154], v[151:152], v[149:150]
	v_fma_f64 v[136:137], -v[136:137], v[153:154], v[151:152]
	v_div_fmas_f64 v[136:137], v[136:137], v[149:150], v[153:154]
	v_div_fixup_f64 v[134:135], v[136:137], v[134:135], 1.0
	v_mul_f64 v[136:137], v[143:144], -v[134:135]
.LBB64_681:
	s_or_b32 exec_lo, exec_lo, s1
.LBB64_682:
	s_or_b32 exec_lo, exec_lo, s0
	v_mov_b32_e32 v143, 32
	s_mov_b32 s0, exec_lo
	v_cmpx_ne_u32_e64 v148, v142
	s_cbranch_execz .LBB64_688
; %bb.683:
	s_mov_b32 s1, exec_lo
	v_cmpx_eq_u32_e32 32, v148
	s_cbranch_execz .LBB64_687
; %bb.684:
	v_cmp_ne_u32_e32 vcc_lo, 32, v142
	s_xor_b32 s2, s16, -1
	s_and_b32 s3, s2, vcc_lo
	s_and_saveexec_b32 s2, s3
	s_cbranch_execz .LBB64_686
; %bb.685:
	v_ashrrev_i32_e32 v143, 31, v142
	v_lshlrev_b64 v[0:1], 2, v[142:143]
	v_add_co_u32 v0, vcc_lo, v140, v0
	v_add_co_ci_u32_e64 v1, null, v141, v1, vcc_lo
	s_clause 0x1
	global_load_dword v143, v[0:1], off
	global_load_dword v144, v[140:141], off offset:128
	s_waitcnt vmcnt(1)
	global_store_dword v[140:141], v143, off offset:128
	s_waitcnt vmcnt(0)
	global_store_dword v[0:1], v144, off
.LBB64_686:
	s_or_b32 exec_lo, exec_lo, s2
	v_mov_b32_e32 v148, v142
	v_mov_b32_e32 v0, v142
.LBB64_687:
	s_or_b32 exec_lo, exec_lo, s1
	v_mov_b32_e32 v143, v148
.LBB64_688:
	s_or_b32 exec_lo, exec_lo, s0
	s_mov_b32 s0, exec_lo
	s_waitcnt_vscnt null, 0x0
	s_barrier
	buffer_gl0_inv
	v_cmpx_lt_i32_e32 32, v143
	s_cbranch_execz .LBB64_690
; %bb.689:
	v_mul_f64 v[140:141], v[136:137], v[4:5]
	v_mul_f64 v[4:5], v[134:135], v[4:5]
	v_fma_f64 v[134:135], v[134:135], v[2:3], -v[140:141]
	v_fma_f64 v[4:5], v[136:137], v[2:3], v[4:5]
	v_mov_b32_e32 v2, v134
	v_mov_b32_e32 v3, v135
.LBB64_690:
	s_or_b32 exec_lo, exec_lo, s0
	v_ashrrev_i32_e32 v144, 31, v143
	s_mov_b32 s0, exec_lo
	s_barrier
	buffer_gl0_inv
	v_cmpx_gt_i32_e32 33, v143
	s_cbranch_execz .LBB64_692
; %bb.691:
	v_mul_lo_u32 v1, s15, v138
	v_mul_lo_u32 v136, s14, v139
	v_mad_u64_u32 v[134:135], null, s14, v138, 0
	s_lshl_b64 s[2:3], s[12:13], 2
	v_add3_u32 v0, v0, s17, 1
	v_add3_u32 v135, v135, v136, v1
	v_lshlrev_b64 v[134:135], 2, v[134:135]
	v_add_co_u32 v1, vcc_lo, s10, v134
	v_add_co_ci_u32_e64 v136, null, s11, v135, vcc_lo
	v_lshlrev_b64 v[134:135], 2, v[143:144]
	v_add_co_u32 v1, vcc_lo, v1, s2
	v_add_co_ci_u32_e64 v136, null, s3, v136, vcc_lo
	v_add_co_u32 v134, vcc_lo, v1, v134
	v_add_co_ci_u32_e64 v135, null, v136, v135, vcc_lo
	global_store_dword v[134:135], v0, off
.LBB64_692:
	s_or_b32 exec_lo, exec_lo, s0
	s_mov_b32 s1, exec_lo
	v_cmpx_eq_u32_e32 0, v143
	s_cbranch_execz .LBB64_695
; %bb.693:
	v_lshlrev_b64 v[0:1], 2, v[138:139]
	v_cmp_ne_u32_e64 s0, 0, v147
	v_add_co_u32 v0, vcc_lo, s4, v0
	v_add_co_ci_u32_e64 v1, null, s5, v1, vcc_lo
	global_load_dword v134, v[0:1], off
	s_waitcnt vmcnt(0)
	v_cmp_eq_u32_e32 vcc_lo, 0, v134
	s_and_b32 s0, vcc_lo, s0
	s_and_b32 exec_lo, exec_lo, s0
	s_cbranch_execz .LBB64_695
; %bb.694:
	v_add_nc_u32_e32 v134, s17, v147
	global_store_dword v[0:1], v134, off
.LBB64_695:
	s_or_b32 exec_lo, exec_lo, s1
	v_lshlrev_b64 v[134:135], 4, v[143:144]
	v_add3_u32 v0, s6, s6, v143
	v_add_nc_u32_e32 v136, s6, v0
	v_add_co_u32 v134, vcc_lo, v145, v134
	v_add_co_ci_u32_e64 v135, null, v146, v135, vcc_lo
	v_ashrrev_i32_e32 v1, 31, v0
	v_ashrrev_i32_e32 v137, 31, v136
	global_store_dwordx4 v[134:135], v[130:133], off
	v_add_nc_u32_e32 v132, s6, v136
	v_lshlrev_b64 v[0:1], 4, v[0:1]
	v_add_co_u32 v130, vcc_lo, v134, s8
	v_add_co_ci_u32_e64 v131, null, s9, v135, vcc_lo
	v_add_nc_u32_e32 v134, s6, v132
	v_add_co_u32 v0, vcc_lo, v145, v0
	v_ashrrev_i32_e32 v133, 31, v132
	v_add_co_ci_u32_e64 v1, null, v146, v1, vcc_lo
	v_ashrrev_i32_e32 v135, 31, v134
	v_lshlrev_b64 v[136:137], 4, v[136:137]
	global_store_dwordx4 v[130:131], v[122:125], off
	global_store_dwordx4 v[0:1], v[126:129], off
	v_lshlrev_b64 v[0:1], 4, v[132:133]
	v_add_nc_u32_e32 v126, s6, v134
	v_lshlrev_b64 v[124:125], 4, v[134:135]
	v_add_co_u32 v122, vcc_lo, v145, v136
	v_add_co_ci_u32_e64 v123, null, v146, v137, vcc_lo
	v_add_co_u32 v0, vcc_lo, v145, v0
	v_add_co_ci_u32_e64 v1, null, v146, v1, vcc_lo
	v_add_co_u32 v124, vcc_lo, v145, v124
	v_add_nc_u32_e32 v128, s6, v126
	v_add_co_ci_u32_e64 v125, null, v146, v125, vcc_lo
	v_ashrrev_i32_e32 v127, 31, v126
	global_store_dwordx4 v[122:123], v[118:121], off
	global_store_dwordx4 v[0:1], v[114:117], off
	global_store_dwordx4 v[124:125], v[110:113], off
	v_add_nc_u32_e32 v110, s6, v128
	v_ashrrev_i32_e32 v129, 31, v128
	v_lshlrev_b64 v[118:119], 4, v[126:127]
	v_add_nc_u32_e32 v114, s6, v110
	v_lshlrev_b64 v[0:1], 4, v[128:129]
	v_ashrrev_i32_e32 v111, 31, v110
	v_add_co_u32 v112, vcc_lo, v145, v118
	v_add_nc_u32_e32 v116, s6, v114
	v_add_co_ci_u32_e64 v113, null, v146, v119, vcc_lo
	v_add_co_u32 v0, vcc_lo, v145, v0
	v_ashrrev_i32_e32 v115, 31, v114
	v_add_co_ci_u32_e64 v1, null, v146, v1, vcc_lo
	v_ashrrev_i32_e32 v117, 31, v116
	v_lshlrev_b64 v[110:111], 4, v[110:111]
	global_store_dwordx4 v[112:113], v[106:109], off
	global_store_dwordx4 v[0:1], v[102:105], off
	v_lshlrev_b64 v[0:1], 4, v[114:115]
	v_add_nc_u32_e32 v106, s6, v116
	v_lshlrev_b64 v[104:105], 4, v[116:117]
	v_add_co_u32 v102, vcc_lo, v145, v110
	v_add_co_ci_u32_e64 v103, null, v146, v111, vcc_lo
	v_add_co_u32 v0, vcc_lo, v145, v0
	v_add_co_ci_u32_e64 v1, null, v146, v1, vcc_lo
	v_add_co_u32 v104, vcc_lo, v145, v104
	v_add_nc_u32_e32 v108, s6, v106
	v_add_co_ci_u32_e64 v105, null, v146, v105, vcc_lo
	v_ashrrev_i32_e32 v107, 31, v106
	global_store_dwordx4 v[102:103], v[98:101], off
	global_store_dwordx4 v[0:1], v[94:97], off
	global_store_dwordx4 v[104:105], v[90:93], off
	v_add_nc_u32_e32 v90, s6, v108
	v_ashrrev_i32_e32 v109, 31, v108
	v_lshlrev_b64 v[98:99], 4, v[106:107]
	v_add_nc_u32_e32 v94, s6, v90
	v_lshlrev_b64 v[0:1], 4, v[108:109]
	v_ashrrev_i32_e32 v91, 31, v90
	v_add_co_u32 v92, vcc_lo, v145, v98
	v_add_nc_u32_e32 v96, s6, v94
	v_add_co_ci_u32_e64 v93, null, v146, v99, vcc_lo
	;; [unrolled: 30-line block ×4, first 2 shown]
	v_add_co_u32 v0, vcc_lo, v145, v0
	v_ashrrev_i32_e32 v55, 31, v54
	v_add_co_ci_u32_e64 v1, null, v146, v1, vcc_lo
	v_ashrrev_i32_e32 v57, 31, v56
	v_lshlrev_b64 v[50:51], 4, v[50:51]
	global_store_dwordx4 v[52:53], v[46:49], off
	global_store_dwordx4 v[0:1], v[42:45], off
	v_lshlrev_b64 v[0:1], 4, v[54:55]
	v_add_nc_u32_e32 v46, s6, v56
	v_lshlrev_b64 v[44:45], 4, v[56:57]
	v_add_co_u32 v42, vcc_lo, v145, v50
	v_add_co_ci_u32_e64 v43, null, v146, v51, vcc_lo
	v_add_co_u32 v0, vcc_lo, v145, v0
	v_add_nc_u32_e32 v48, s6, v46
	v_add_co_ci_u32_e64 v1, null, v146, v1, vcc_lo
	v_add_co_u32 v44, vcc_lo, v145, v44
	v_ashrrev_i32_e32 v47, 31, v46
	v_add_co_ci_u32_e64 v45, null, v146, v45, vcc_lo
	v_ashrrev_i32_e32 v49, 31, v48
	global_store_dwordx4 v[42:43], v[38:41], off
	v_lshlrev_b64 v[38:39], 4, v[46:47]
	global_store_dwordx4 v[0:1], v[34:37], off
	global_store_dwordx4 v[44:45], v[30:33], off
	v_add_nc_u32_e32 v30, s6, v48
	v_lshlrev_b64 v[0:1], 4, v[48:49]
	v_add_co_u32 v32, vcc_lo, v145, v38
	v_add_nc_u32_e32 v34, s6, v30
	v_add_co_ci_u32_e64 v33, null, v146, v39, vcc_lo
	v_add_co_u32 v0, vcc_lo, v145, v0
	v_add_co_ci_u32_e64 v1, null, v146, v1, vcc_lo
	v_add_nc_u32_e32 v36, s6, v34
	v_ashrrev_i32_e32 v31, 31, v30
	global_store_dwordx4 v[32:33], v[26:29], off
	global_store_dwordx4 v[0:1], v[22:25], off
	v_ashrrev_i32_e32 v35, 31, v34
	v_add_nc_u32_e32 v22, s6, v36
	v_lshlrev_b64 v[26:27], 4, v[30:31]
	v_ashrrev_i32_e32 v37, 31, v36
	v_lshlrev_b64 v[0:1], 4, v[34:35]
	v_add_nc_u32_e32 v28, s6, v22
	v_ashrrev_i32_e32 v23, 31, v22
	v_add_co_u32 v24, vcc_lo, v145, v26
	v_add_co_ci_u32_e64 v25, null, v146, v27, vcc_lo
	v_ashrrev_i32_e32 v29, 31, v28
	v_lshlrev_b64 v[26:27], 4, v[36:37]
	v_lshlrev_b64 v[22:23], 4, v[22:23]
	v_add_co_u32 v0, vcc_lo, v145, v0
	v_lshlrev_b64 v[28:29], 4, v[28:29]
	v_add_co_ci_u32_e64 v1, null, v146, v1, vcc_lo
	v_add_co_u32 v26, vcc_lo, v145, v26
	v_add_co_ci_u32_e64 v27, null, v146, v27, vcc_lo
	v_add_co_u32 v22, vcc_lo, v145, v22
	;; [unrolled: 2-line block ×3, first 2 shown]
	v_add_co_ci_u32_e64 v29, null, v146, v29, vcc_lo
	global_store_dwordx4 v[24:25], v[18:21], off
	global_store_dwordx4 v[0:1], v[14:17], off
	;; [unrolled: 1-line block ×5, first 2 shown]
.LBB64_696:
	s_endpgm
	.section	.rodata,"a",@progbits
	.p2align	6, 0x0
	.amdhsa_kernel _ZN9rocsolver6v33100L18getf2_small_kernelILi33E19rocblas_complex_numIdEiiPS3_EEvT1_T3_lS5_lPS5_llPT2_S5_S5_S7_l
		.amdhsa_group_segment_fixed_size 0
		.amdhsa_private_segment_fixed_size 0
		.amdhsa_kernarg_size 352
		.amdhsa_user_sgpr_count 6
		.amdhsa_user_sgpr_private_segment_buffer 1
		.amdhsa_user_sgpr_dispatch_ptr 0
		.amdhsa_user_sgpr_queue_ptr 0
		.amdhsa_user_sgpr_kernarg_segment_ptr 1
		.amdhsa_user_sgpr_dispatch_id 0
		.amdhsa_user_sgpr_flat_scratch_init 0
		.amdhsa_user_sgpr_private_segment_size 0
		.amdhsa_wavefront_size32 1
		.amdhsa_uses_dynamic_stack 0
		.amdhsa_system_sgpr_private_segment_wavefront_offset 0
		.amdhsa_system_sgpr_workgroup_id_x 1
		.amdhsa_system_sgpr_workgroup_id_y 1
		.amdhsa_system_sgpr_workgroup_id_z 0
		.amdhsa_system_sgpr_workgroup_info 0
		.amdhsa_system_vgpr_workitem_id 1
		.amdhsa_next_free_vgpr 183
		.amdhsa_next_free_sgpr 19
		.amdhsa_reserve_vcc 1
		.amdhsa_reserve_flat_scratch 0
		.amdhsa_float_round_mode_32 0
		.amdhsa_float_round_mode_16_64 0
		.amdhsa_float_denorm_mode_32 3
		.amdhsa_float_denorm_mode_16_64 3
		.amdhsa_dx10_clamp 1
		.amdhsa_ieee_mode 1
		.amdhsa_fp16_overflow 0
		.amdhsa_workgroup_processor_mode 1
		.amdhsa_memory_ordered 1
		.amdhsa_forward_progress 1
		.amdhsa_shared_vgpr_count 0
		.amdhsa_exception_fp_ieee_invalid_op 0
		.amdhsa_exception_fp_denorm_src 0
		.amdhsa_exception_fp_ieee_div_zero 0
		.amdhsa_exception_fp_ieee_overflow 0
		.amdhsa_exception_fp_ieee_underflow 0
		.amdhsa_exception_fp_ieee_inexact 0
		.amdhsa_exception_int_div_zero 0
	.end_amdhsa_kernel
	.section	.text._ZN9rocsolver6v33100L18getf2_small_kernelILi33E19rocblas_complex_numIdEiiPS3_EEvT1_T3_lS5_lPS5_llPT2_S5_S5_S7_l,"axG",@progbits,_ZN9rocsolver6v33100L18getf2_small_kernelILi33E19rocblas_complex_numIdEiiPS3_EEvT1_T3_lS5_lPS5_llPT2_S5_S5_S7_l,comdat
.Lfunc_end64:
	.size	_ZN9rocsolver6v33100L18getf2_small_kernelILi33E19rocblas_complex_numIdEiiPS3_EEvT1_T3_lS5_lPS5_llPT2_S5_S5_S7_l, .Lfunc_end64-_ZN9rocsolver6v33100L18getf2_small_kernelILi33E19rocblas_complex_numIdEiiPS3_EEvT1_T3_lS5_lPS5_llPT2_S5_S5_S7_l
                                        ; -- End function
	.set _ZN9rocsolver6v33100L18getf2_small_kernelILi33E19rocblas_complex_numIdEiiPS3_EEvT1_T3_lS5_lPS5_llPT2_S5_S5_S7_l.num_vgpr, 183
	.set _ZN9rocsolver6v33100L18getf2_small_kernelILi33E19rocblas_complex_numIdEiiPS3_EEvT1_T3_lS5_lPS5_llPT2_S5_S5_S7_l.num_agpr, 0
	.set _ZN9rocsolver6v33100L18getf2_small_kernelILi33E19rocblas_complex_numIdEiiPS3_EEvT1_T3_lS5_lPS5_llPT2_S5_S5_S7_l.numbered_sgpr, 19
	.set _ZN9rocsolver6v33100L18getf2_small_kernelILi33E19rocblas_complex_numIdEiiPS3_EEvT1_T3_lS5_lPS5_llPT2_S5_S5_S7_l.num_named_barrier, 0
	.set _ZN9rocsolver6v33100L18getf2_small_kernelILi33E19rocblas_complex_numIdEiiPS3_EEvT1_T3_lS5_lPS5_llPT2_S5_S5_S7_l.private_seg_size, 0
	.set _ZN9rocsolver6v33100L18getf2_small_kernelILi33E19rocblas_complex_numIdEiiPS3_EEvT1_T3_lS5_lPS5_llPT2_S5_S5_S7_l.uses_vcc, 1
	.set _ZN9rocsolver6v33100L18getf2_small_kernelILi33E19rocblas_complex_numIdEiiPS3_EEvT1_T3_lS5_lPS5_llPT2_S5_S5_S7_l.uses_flat_scratch, 0
	.set _ZN9rocsolver6v33100L18getf2_small_kernelILi33E19rocblas_complex_numIdEiiPS3_EEvT1_T3_lS5_lPS5_llPT2_S5_S5_S7_l.has_dyn_sized_stack, 0
	.set _ZN9rocsolver6v33100L18getf2_small_kernelILi33E19rocblas_complex_numIdEiiPS3_EEvT1_T3_lS5_lPS5_llPT2_S5_S5_S7_l.has_recursion, 0
	.set _ZN9rocsolver6v33100L18getf2_small_kernelILi33E19rocblas_complex_numIdEiiPS3_EEvT1_T3_lS5_lPS5_llPT2_S5_S5_S7_l.has_indirect_call, 0
	.section	.AMDGPU.csdata,"",@progbits
; Kernel info:
; codeLenInByte = 71448
; TotalNumSgprs: 21
; NumVgprs: 183
; ScratchSize: 0
; MemoryBound: 0
; FloatMode: 240
; IeeeMode: 1
; LDSByteSize: 0 bytes/workgroup (compile time only)
; SGPRBlocks: 0
; VGPRBlocks: 22
; NumSGPRsForWavesPerEU: 21
; NumVGPRsForWavesPerEU: 183
; Occupancy: 5
; WaveLimiterHint : 0
; COMPUTE_PGM_RSRC2:SCRATCH_EN: 0
; COMPUTE_PGM_RSRC2:USER_SGPR: 6
; COMPUTE_PGM_RSRC2:TRAP_HANDLER: 0
; COMPUTE_PGM_RSRC2:TGID_X_EN: 1
; COMPUTE_PGM_RSRC2:TGID_Y_EN: 1
; COMPUTE_PGM_RSRC2:TGID_Z_EN: 0
; COMPUTE_PGM_RSRC2:TIDIG_COMP_CNT: 1
	.section	.text._ZN9rocsolver6v33100L23getf2_npvt_small_kernelILi33E19rocblas_complex_numIdEiiPS3_EEvT1_T3_lS5_lPT2_S5_S5_,"axG",@progbits,_ZN9rocsolver6v33100L23getf2_npvt_small_kernelILi33E19rocblas_complex_numIdEiiPS3_EEvT1_T3_lS5_lPT2_S5_S5_,comdat
	.globl	_ZN9rocsolver6v33100L23getf2_npvt_small_kernelILi33E19rocblas_complex_numIdEiiPS3_EEvT1_T3_lS5_lPT2_S5_S5_ ; -- Begin function _ZN9rocsolver6v33100L23getf2_npvt_small_kernelILi33E19rocblas_complex_numIdEiiPS3_EEvT1_T3_lS5_lPT2_S5_S5_
	.p2align	8
	.type	_ZN9rocsolver6v33100L23getf2_npvt_small_kernelILi33E19rocblas_complex_numIdEiiPS3_EEvT1_T3_lS5_lPT2_S5_S5_,@function
_ZN9rocsolver6v33100L23getf2_npvt_small_kernelILi33E19rocblas_complex_numIdEiiPS3_EEvT1_T3_lS5_lPT2_S5_S5_: ; @_ZN9rocsolver6v33100L23getf2_npvt_small_kernelILi33E19rocblas_complex_numIdEiiPS3_EEvT1_T3_lS5_lPT2_S5_S5_
; %bb.0:
	s_mov_b64 s[18:19], s[2:3]
	s_mov_b64 s[16:17], s[0:1]
	s_clause 0x1
	s_load_dword s0, s[4:5], 0x44
	s_load_dwordx2 s[12:13], s[4:5], 0x30
	s_add_u32 s16, s16, s8
	s_addc_u32 s17, s17, 0
	s_waitcnt lgkmcnt(0)
	s_lshr_b32 s14, s0, 16
	s_mov_b32 s0, exec_lo
	v_mad_u64_u32 v[199:200], null, s7, s14, v[1:2]
	v_cmpx_gt_i32_e64 s12, v199
	s_cbranch_execz .LBB65_302
; %bb.1:
	s_clause 0x2
	s_load_dwordx4 s[8:11], s[4:5], 0x20
	s_load_dword s6, s[4:5], 0x18
	s_load_dwordx4 s[0:3], s[4:5], 0x8
	v_ashrrev_i32_e32 v200, 31, v199
	v_lshlrev_b32_e32 v134, 4, v1
	s_mulk_i32 s14, 0x210
	v_mad_u32_u24 v148, 0x210, v1, 0
	v_add3_u32 v1, 0, s14, v134
	s_waitcnt lgkmcnt(0)
	v_mul_lo_u32 v5, s9, v199
	v_mul_lo_u32 v7, s8, v200
	v_mad_u64_u32 v[2:3], null, s8, v199, 0
	v_add3_u32 v4, s6, s6, v0
	s_lshl_b64 s[2:3], s[2:3], 4
	s_ashr_i32 s7, s6, 31
	v_add_nc_u32_e32 v6, s6, v4
	v_add3_u32 v3, v3, v7, v5
	v_ashrrev_i32_e32 v5, 31, v4
	v_add_nc_u32_e32 v8, s6, v6
	v_lshlrev_b64 v[2:3], 4, v[2:3]
	v_ashrrev_i32_e32 v7, 31, v6
	v_lshlrev_b64 v[4:5], 4, v[4:5]
	v_add_nc_u32_e32 v10, s6, v8
	v_ashrrev_i32_e32 v9, 31, v8
	v_add_co_u32 v2, vcc_lo, s0, v2
	v_add_co_ci_u32_e64 v3, null, s1, v3, vcc_lo
	v_add_nc_u32_e32 v12, s6, v10
	v_add_co_u32 v2, vcc_lo, v2, s2
	v_lshlrev_b64 v[6:7], 4, v[6:7]
	v_ashrrev_i32_e32 v11, 31, v10
	v_add_co_ci_u32_e64 v3, null, s3, v3, vcc_lo
	v_add_nc_u32_e32 v14, s6, v12
	v_lshlrev_b64 v[8:9], 4, v[8:9]
	v_ashrrev_i32_e32 v13, 31, v12
	v_add_co_u32 v159, vcc_lo, v2, v4
	v_lshlrev_b64 v[10:11], 4, v[10:11]
	v_add_co_ci_u32_e64 v160, null, v3, v5, vcc_lo
	v_add_co_u32 v16, vcc_lo, v2, v6
	v_add_nc_u32_e32 v6, s6, v14
	v_lshlrev_b64 v[4:5], 4, v[12:13]
	v_ashrrev_i32_e32 v15, 31, v14
	v_add_co_ci_u32_e64 v17, null, v3, v7, vcc_lo
	v_add_co_u32 v248, vcc_lo, v2, v8
	v_add_co_ci_u32_e64 v249, null, v3, v9, vcc_lo
	v_add_co_u32 v157, vcc_lo, v2, v10
	v_ashrrev_i32_e32 v7, 31, v6
	v_add_nc_u32_e32 v10, s6, v6
	v_lshlrev_b64 v[8:9], 4, v[14:15]
	v_add_co_ci_u32_e64 v158, null, v3, v11, vcc_lo
	v_add_co_u32 v163, vcc_lo, v2, v4
	v_add_co_ci_u32_e64 v164, null, v3, v5, vcc_lo
	v_lshlrev_b64 v[4:5], 4, v[6:7]
	v_ashrrev_i32_e32 v11, 31, v10
	v_add_nc_u32_e32 v6, s6, v10
	v_add_co_u32 v161, vcc_lo, v2, v8
	v_add_co_ci_u32_e64 v162, null, v3, v9, vcc_lo
	v_lshlrev_b64 v[8:9], 4, v[10:11]
	v_ashrrev_i32_e32 v7, 31, v6
	v_add_nc_u32_e32 v10, s6, v6
	;; [unrolled: 5-line block ×21, first 2 shown]
	v_add_co_u32 v203, vcc_lo, v2, v8
	v_add_co_ci_u32_e64 v204, null, v3, v9, vcc_lo
	v_lshlrev_b64 v[8:9], 4, v[10:11]
	v_add_nc_u32_e32 v10, s6, v6
	v_ashrrev_i32_e32 v7, 31, v6
	v_add_co_u32 v207, vcc_lo, v2, v4
	v_add_co_ci_u32_e64 v208, null, v3, v5, vcc_lo
	v_ashrrev_i32_e32 v11, 31, v10
	v_lshlrev_b64 v[4:5], 4, v[6:7]
	v_add_co_u32 v201, vcc_lo, v2, v8
	v_add_nc_u32_e32 v8, s6, v10
	v_lshlrev_b64 v[6:7], 4, v[10:11]
	v_lshlrev_b32_e32 v10, 4, v0
	v_add_co_ci_u32_e64 v202, null, v3, v9, vcc_lo
	v_add_co_u32 v205, vcc_lo, v2, v4
	v_add_co_ci_u32_e64 v206, null, v3, v5, vcc_lo
	v_add_co_u32 v211, vcc_lo, v2, v6
	;; [unrolled: 2-line block ×3, first 2 shown]
	v_add_co_ci_u32_e64 v214, null, 0, v3, vcc_lo
	s_lshl_b64 s[0:1], s[6:7], 4
	v_ashrrev_i32_e32 v9, 31, v8
	v_add_co_u32 v215, vcc_lo, v213, s0
	v_add_co_ci_u32_e64 v216, null, s1, v214, vcc_lo
	s_clause 0x2
	global_load_dwordx4 v[130:133], v[213:214], off
	global_load_dwordx4 v[126:129], v[215:216], off
	;; [unrolled: 1-line block ×3, first 2 shown]
	buffer_store_dword v16, off, s[16:19], 0 offset:48 ; 4-byte Folded Spill
	buffer_store_dword v17, off, s[16:19], 0 offset:52 ; 4-byte Folded Spill
	v_lshlrev_b64 v[4:5], 4, v[8:9]
	v_cmp_ne_u32_e64 s1, 0, v0
	v_cmp_eq_u32_e64 s0, 0, v0
	v_add_co_u32 v209, vcc_lo, v2, v4
	v_add_co_ci_u32_e64 v210, null, v3, v5, vcc_lo
	s_clause 0x1d
	global_load_dwordx4 v[118:121], v[16:17], off
	global_load_dwordx4 v[114:117], v[248:249], off
	;; [unrolled: 1-line block ×30, first 2 shown]
	s_and_saveexec_b32 s3, s0
	s_cbranch_execz .LBB65_8
; %bb.2:
	s_waitcnt vmcnt(32)
	ds_write2_b64 v1, v[130:131], v[132:133] offset1:1
	s_waitcnt vmcnt(31)
	ds_write2_b64 v148, v[126:127], v[128:129] offset0:2 offset1:3
	s_waitcnt vmcnt(30)
	ds_write2_b64 v148, v[122:123], v[124:125] offset0:4 offset1:5
	;; [unrolled: 2-line block ×32, first 2 shown]
	ds_read2_b64 v[134:137], v1 offset1:1
	s_waitcnt lgkmcnt(0)
	v_cmp_neq_f64_e32 vcc_lo, 0, v[134:135]
	v_cmp_neq_f64_e64 s2, 0, v[136:137]
	s_or_b32 s2, vcc_lo, s2
	s_and_b32 exec_lo, exec_lo, s2
	s_cbranch_execz .LBB65_8
; %bb.3:
	v_cmp_ngt_f64_e64 s2, |v[134:135]|, |v[136:137]|
                                        ; implicit-def: $vgpr138_vgpr139
	s_and_saveexec_b32 s4, s2
	s_xor_b32 s2, exec_lo, s4
                                        ; implicit-def: $vgpr140_vgpr141
	s_cbranch_execz .LBB65_5
; %bb.4:
	v_div_scale_f64 v[138:139], null, v[136:137], v[136:137], v[134:135]
	v_div_scale_f64 v[144:145], vcc_lo, v[134:135], v[136:137], v[134:135]
	v_rcp_f64_e32 v[140:141], v[138:139]
	v_fma_f64 v[142:143], -v[138:139], v[140:141], 1.0
	v_fma_f64 v[140:141], v[140:141], v[142:143], v[140:141]
	v_fma_f64 v[142:143], -v[138:139], v[140:141], 1.0
	v_fma_f64 v[140:141], v[140:141], v[142:143], v[140:141]
	v_mul_f64 v[142:143], v[144:145], v[140:141]
	v_fma_f64 v[138:139], -v[138:139], v[142:143], v[144:145]
	v_div_fmas_f64 v[138:139], v[138:139], v[140:141], v[142:143]
	v_div_fixup_f64 v[138:139], v[138:139], v[136:137], v[134:135]
	v_fma_f64 v[134:135], v[134:135], v[138:139], v[136:137]
	v_div_scale_f64 v[136:137], null, v[134:135], v[134:135], 1.0
	v_rcp_f64_e32 v[140:141], v[136:137]
	v_fma_f64 v[142:143], -v[136:137], v[140:141], 1.0
	v_fma_f64 v[140:141], v[140:141], v[142:143], v[140:141]
	v_fma_f64 v[142:143], -v[136:137], v[140:141], 1.0
	v_fma_f64 v[140:141], v[140:141], v[142:143], v[140:141]
	v_div_scale_f64 v[142:143], vcc_lo, 1.0, v[134:135], 1.0
	v_mul_f64 v[144:145], v[142:143], v[140:141]
	v_fma_f64 v[136:137], -v[136:137], v[144:145], v[142:143]
	v_div_fmas_f64 v[136:137], v[136:137], v[140:141], v[144:145]
	v_div_fixup_f64 v[140:141], v[136:137], v[134:135], 1.0
                                        ; implicit-def: $vgpr134_vgpr135
	v_mul_f64 v[138:139], v[138:139], v[140:141]
	v_xor_b32_e32 v141, 0x80000000, v141
.LBB65_5:
	s_andn2_saveexec_b32 s2, s2
	s_cbranch_execz .LBB65_7
; %bb.6:
	v_div_scale_f64 v[138:139], null, v[134:135], v[134:135], v[136:137]
	v_div_scale_f64 v[144:145], vcc_lo, v[136:137], v[134:135], v[136:137]
	v_rcp_f64_e32 v[140:141], v[138:139]
	v_fma_f64 v[142:143], -v[138:139], v[140:141], 1.0
	v_fma_f64 v[140:141], v[140:141], v[142:143], v[140:141]
	v_fma_f64 v[142:143], -v[138:139], v[140:141], 1.0
	v_fma_f64 v[140:141], v[140:141], v[142:143], v[140:141]
	v_mul_f64 v[142:143], v[144:145], v[140:141]
	v_fma_f64 v[138:139], -v[138:139], v[142:143], v[144:145]
	v_div_fmas_f64 v[138:139], v[138:139], v[140:141], v[142:143]
	v_div_fixup_f64 v[140:141], v[138:139], v[134:135], v[136:137]
	v_fma_f64 v[134:135], v[136:137], v[140:141], v[134:135]
	v_div_scale_f64 v[136:137], null, v[134:135], v[134:135], 1.0
	v_rcp_f64_e32 v[138:139], v[136:137]
	v_fma_f64 v[142:143], -v[136:137], v[138:139], 1.0
	v_fma_f64 v[138:139], v[138:139], v[142:143], v[138:139]
	v_fma_f64 v[142:143], -v[136:137], v[138:139], 1.0
	v_fma_f64 v[138:139], v[138:139], v[142:143], v[138:139]
	v_div_scale_f64 v[142:143], vcc_lo, 1.0, v[134:135], 1.0
	v_mul_f64 v[144:145], v[142:143], v[138:139]
	v_fma_f64 v[136:137], -v[136:137], v[144:145], v[142:143]
	v_div_fmas_f64 v[136:137], v[136:137], v[138:139], v[144:145]
	v_div_fixup_f64 v[138:139], v[136:137], v[134:135], 1.0
	v_mul_f64 v[140:141], v[140:141], -v[138:139]
.LBB65_7:
	s_or_b32 exec_lo, exec_lo, s2
	ds_write2_b64 v1, v[138:139], v[140:141] offset1:1
.LBB65_8:
	s_or_b32 exec_lo, exec_lo, s3
	s_waitcnt vmcnt(0) lgkmcnt(0)
	s_waitcnt_vscnt null, 0x0
	s_barrier
	buffer_gl0_inv
	ds_read2_b64 v[134:137], v1 offset1:1
	s_waitcnt lgkmcnt(0)
	buffer_store_dword v134, off, s[16:19], 0 ; 4-byte Folded Spill
	buffer_store_dword v135, off, s[16:19], 0 offset:4 ; 4-byte Folded Spill
	buffer_store_dword v136, off, s[16:19], 0 offset:8 ; 4-byte Folded Spill
	;; [unrolled: 1-line block ×3, first 2 shown]
	s_and_saveexec_b32 s2, s1
	s_cbranch_execz .LBB65_10
; %bb.9:
	s_clause 0x3
	buffer_load_dword v136, off, s[16:19], 0
	buffer_load_dword v137, off, s[16:19], 0 offset:4
	buffer_load_dword v138, off, s[16:19], 0 offset:8
	;; [unrolled: 1-line block ×3, first 2 shown]
	s_waitcnt vmcnt(0)
	v_mul_f64 v[134:135], v[138:139], v[132:133]
	v_mul_f64 v[132:133], v[136:137], v[132:133]
	v_fma_f64 v[134:135], v[136:137], v[130:131], -v[134:135]
	v_fma_f64 v[132:133], v[138:139], v[130:131], v[132:133]
	ds_read2_b64 v[136:139], v148 offset0:2 offset1:3
	s_waitcnt lgkmcnt(0)
	v_mul_f64 v[130:131], v[138:139], v[132:133]
	v_fma_f64 v[130:131], v[136:137], v[134:135], -v[130:131]
	v_mul_f64 v[136:137], v[136:137], v[132:133]
	v_add_f64 v[126:127], v[126:127], -v[130:131]
	v_fma_f64 v[136:137], v[138:139], v[134:135], v[136:137]
	v_add_f64 v[128:129], v[128:129], -v[136:137]
	ds_read2_b64 v[136:139], v148 offset0:4 offset1:5
	s_waitcnt lgkmcnt(0)
	v_mul_f64 v[130:131], v[138:139], v[132:133]
	v_fma_f64 v[130:131], v[136:137], v[134:135], -v[130:131]
	v_mul_f64 v[136:137], v[136:137], v[132:133]
	v_add_f64 v[122:123], v[122:123], -v[130:131]
	v_fma_f64 v[136:137], v[138:139], v[134:135], v[136:137]
	v_add_f64 v[124:125], v[124:125], -v[136:137]
	;; [unrolled: 8-line block ×31, first 2 shown]
	ds_read2_b64 v[136:139], v148 offset0:64 offset1:65
	s_waitcnt lgkmcnt(0)
	v_mul_f64 v[130:131], v[138:139], v[132:133]
	v_fma_f64 v[130:131], v[136:137], v[134:135], -v[130:131]
	v_mul_f64 v[136:137], v[136:137], v[132:133]
	v_add_f64 v[2:3], v[2:3], -v[130:131]
	v_fma_f64 v[136:137], v[138:139], v[134:135], v[136:137]
	v_mov_b32_e32 v130, v134
	v_mov_b32_e32 v131, v135
	v_add_f64 v[4:5], v[4:5], -v[136:137]
.LBB65_10:
	s_or_b32 exec_lo, exec_lo, s2
	s_mov_b32 s2, exec_lo
	s_waitcnt_vscnt null, 0x0
	s_barrier
	buffer_gl0_inv
	v_cmpx_eq_u32_e32 1, v0
	s_cbranch_execz .LBB65_17
; %bb.11:
	ds_write2_b64 v1, v[126:127], v[128:129] offset1:1
	ds_write2_b64 v148, v[122:123], v[124:125] offset0:4 offset1:5
	ds_write2_b64 v148, v[118:119], v[120:121] offset0:6 offset1:7
	;; [unrolled: 1-line block ×31, first 2 shown]
	ds_read2_b64 v[134:137], v1 offset1:1
	s_waitcnt lgkmcnt(0)
	v_cmp_neq_f64_e32 vcc_lo, 0, v[134:135]
	v_cmp_neq_f64_e64 s1, 0, v[136:137]
	s_or_b32 s1, vcc_lo, s1
	s_and_b32 exec_lo, exec_lo, s1
	s_cbranch_execz .LBB65_17
; %bb.12:
	v_cmp_ngt_f64_e64 s1, |v[134:135]|, |v[136:137]|
                                        ; implicit-def: $vgpr138_vgpr139
	s_and_saveexec_b32 s3, s1
	s_xor_b32 s1, exec_lo, s3
                                        ; implicit-def: $vgpr140_vgpr141
	s_cbranch_execz .LBB65_14
; %bb.13:
	v_div_scale_f64 v[138:139], null, v[136:137], v[136:137], v[134:135]
	v_div_scale_f64 v[144:145], vcc_lo, v[134:135], v[136:137], v[134:135]
	v_rcp_f64_e32 v[140:141], v[138:139]
	v_fma_f64 v[142:143], -v[138:139], v[140:141], 1.0
	v_fma_f64 v[140:141], v[140:141], v[142:143], v[140:141]
	v_fma_f64 v[142:143], -v[138:139], v[140:141], 1.0
	v_fma_f64 v[140:141], v[140:141], v[142:143], v[140:141]
	v_mul_f64 v[142:143], v[144:145], v[140:141]
	v_fma_f64 v[138:139], -v[138:139], v[142:143], v[144:145]
	v_div_fmas_f64 v[138:139], v[138:139], v[140:141], v[142:143]
	v_div_fixup_f64 v[138:139], v[138:139], v[136:137], v[134:135]
	v_fma_f64 v[134:135], v[134:135], v[138:139], v[136:137]
	v_div_scale_f64 v[136:137], null, v[134:135], v[134:135], 1.0
	v_rcp_f64_e32 v[140:141], v[136:137]
	v_fma_f64 v[142:143], -v[136:137], v[140:141], 1.0
	v_fma_f64 v[140:141], v[140:141], v[142:143], v[140:141]
	v_fma_f64 v[142:143], -v[136:137], v[140:141], 1.0
	v_fma_f64 v[140:141], v[140:141], v[142:143], v[140:141]
	v_div_scale_f64 v[142:143], vcc_lo, 1.0, v[134:135], 1.0
	v_mul_f64 v[144:145], v[142:143], v[140:141]
	v_fma_f64 v[136:137], -v[136:137], v[144:145], v[142:143]
	v_div_fmas_f64 v[136:137], v[136:137], v[140:141], v[144:145]
	v_div_fixup_f64 v[140:141], v[136:137], v[134:135], 1.0
                                        ; implicit-def: $vgpr134_vgpr135
	v_mul_f64 v[138:139], v[138:139], v[140:141]
	v_xor_b32_e32 v141, 0x80000000, v141
.LBB65_14:
	s_andn2_saveexec_b32 s1, s1
	s_cbranch_execz .LBB65_16
; %bb.15:
	v_div_scale_f64 v[138:139], null, v[134:135], v[134:135], v[136:137]
	v_div_scale_f64 v[144:145], vcc_lo, v[136:137], v[134:135], v[136:137]
	v_rcp_f64_e32 v[140:141], v[138:139]
	v_fma_f64 v[142:143], -v[138:139], v[140:141], 1.0
	v_fma_f64 v[140:141], v[140:141], v[142:143], v[140:141]
	v_fma_f64 v[142:143], -v[138:139], v[140:141], 1.0
	v_fma_f64 v[140:141], v[140:141], v[142:143], v[140:141]
	v_mul_f64 v[142:143], v[144:145], v[140:141]
	v_fma_f64 v[138:139], -v[138:139], v[142:143], v[144:145]
	v_div_fmas_f64 v[138:139], v[138:139], v[140:141], v[142:143]
	v_div_fixup_f64 v[140:141], v[138:139], v[134:135], v[136:137]
	v_fma_f64 v[134:135], v[136:137], v[140:141], v[134:135]
	v_div_scale_f64 v[136:137], null, v[134:135], v[134:135], 1.0
	v_rcp_f64_e32 v[138:139], v[136:137]
	v_fma_f64 v[142:143], -v[136:137], v[138:139], 1.0
	v_fma_f64 v[138:139], v[138:139], v[142:143], v[138:139]
	v_fma_f64 v[142:143], -v[136:137], v[138:139], 1.0
	v_fma_f64 v[138:139], v[138:139], v[142:143], v[138:139]
	v_div_scale_f64 v[142:143], vcc_lo, 1.0, v[134:135], 1.0
	v_mul_f64 v[144:145], v[142:143], v[138:139]
	v_fma_f64 v[136:137], -v[136:137], v[144:145], v[142:143]
	v_div_fmas_f64 v[136:137], v[136:137], v[138:139], v[144:145]
	v_div_fixup_f64 v[138:139], v[136:137], v[134:135], 1.0
	v_mul_f64 v[140:141], v[140:141], -v[138:139]
.LBB65_16:
	s_or_b32 exec_lo, exec_lo, s1
	ds_write2_b64 v1, v[138:139], v[140:141] offset1:1
.LBB65_17:
	s_or_b32 exec_lo, exec_lo, s2
	s_waitcnt lgkmcnt(0)
	s_barrier
	buffer_gl0_inv
	ds_read2_b64 v[134:137], v1 offset1:1
	s_mov_b32 s1, exec_lo
	s_waitcnt lgkmcnt(0)
	buffer_store_dword v134, off, s[16:19], 0 offset:16 ; 4-byte Folded Spill
	buffer_store_dword v135, off, s[16:19], 0 offset:20 ; 4-byte Folded Spill
	;; [unrolled: 1-line block ×4, first 2 shown]
	v_cmpx_lt_u32_e32 1, v0
	s_cbranch_execz .LBB65_19
; %bb.18:
	s_clause 0x3
	buffer_load_dword v136, off, s[16:19], 0 offset:16
	buffer_load_dword v137, off, s[16:19], 0 offset:20
	;; [unrolled: 1-line block ×4, first 2 shown]
	s_waitcnt vmcnt(0)
	v_mul_f64 v[134:135], v[138:139], v[128:129]
	v_mul_f64 v[128:129], v[136:137], v[128:129]
	v_fma_f64 v[134:135], v[136:137], v[126:127], -v[134:135]
	v_fma_f64 v[128:129], v[138:139], v[126:127], v[128:129]
	ds_read2_b64 v[136:139], v148 offset0:4 offset1:5
	s_waitcnt lgkmcnt(0)
	v_mul_f64 v[126:127], v[138:139], v[128:129]
	v_fma_f64 v[126:127], v[136:137], v[134:135], -v[126:127]
	v_mul_f64 v[136:137], v[136:137], v[128:129]
	v_add_f64 v[122:123], v[122:123], -v[126:127]
	v_fma_f64 v[136:137], v[138:139], v[134:135], v[136:137]
	v_add_f64 v[124:125], v[124:125], -v[136:137]
	ds_read2_b64 v[136:139], v148 offset0:6 offset1:7
	s_waitcnt lgkmcnt(0)
	v_mul_f64 v[126:127], v[138:139], v[128:129]
	v_fma_f64 v[126:127], v[136:137], v[134:135], -v[126:127]
	v_mul_f64 v[136:137], v[136:137], v[128:129]
	v_add_f64 v[118:119], v[118:119], -v[126:127]
	v_fma_f64 v[136:137], v[138:139], v[134:135], v[136:137]
	v_add_f64 v[120:121], v[120:121], -v[136:137]
	;; [unrolled: 8-line block ×30, first 2 shown]
	ds_read2_b64 v[136:139], v148 offset0:64 offset1:65
	s_waitcnt lgkmcnt(0)
	v_mul_f64 v[126:127], v[138:139], v[128:129]
	v_fma_f64 v[126:127], v[136:137], v[134:135], -v[126:127]
	v_mul_f64 v[136:137], v[136:137], v[128:129]
	v_add_f64 v[2:3], v[2:3], -v[126:127]
	v_fma_f64 v[136:137], v[138:139], v[134:135], v[136:137]
	v_mov_b32_e32 v126, v134
	v_mov_b32_e32 v127, v135
	v_add_f64 v[4:5], v[4:5], -v[136:137]
.LBB65_19:
	s_or_b32 exec_lo, exec_lo, s1
	s_mov_b32 s2, exec_lo
	s_waitcnt_vscnt null, 0x0
	s_barrier
	buffer_gl0_inv
	v_cmpx_eq_u32_e32 2, v0
	s_cbranch_execz .LBB65_26
; %bb.20:
	ds_write2_b64 v1, v[122:123], v[124:125] offset1:1
	ds_write2_b64 v148, v[118:119], v[120:121] offset0:6 offset1:7
	ds_write2_b64 v148, v[114:115], v[116:117] offset0:8 offset1:9
	;; [unrolled: 1-line block ×30, first 2 shown]
	ds_read2_b64 v[134:137], v1 offset1:1
	s_waitcnt lgkmcnt(0)
	v_cmp_neq_f64_e32 vcc_lo, 0, v[134:135]
	v_cmp_neq_f64_e64 s1, 0, v[136:137]
	s_or_b32 s1, vcc_lo, s1
	s_and_b32 exec_lo, exec_lo, s1
	s_cbranch_execz .LBB65_26
; %bb.21:
	v_cmp_ngt_f64_e64 s1, |v[134:135]|, |v[136:137]|
                                        ; implicit-def: $vgpr138_vgpr139
	s_and_saveexec_b32 s3, s1
	s_xor_b32 s1, exec_lo, s3
                                        ; implicit-def: $vgpr140_vgpr141
	s_cbranch_execz .LBB65_23
; %bb.22:
	v_div_scale_f64 v[138:139], null, v[136:137], v[136:137], v[134:135]
	v_div_scale_f64 v[144:145], vcc_lo, v[134:135], v[136:137], v[134:135]
	v_rcp_f64_e32 v[140:141], v[138:139]
	v_fma_f64 v[142:143], -v[138:139], v[140:141], 1.0
	v_fma_f64 v[140:141], v[140:141], v[142:143], v[140:141]
	v_fma_f64 v[142:143], -v[138:139], v[140:141], 1.0
	v_fma_f64 v[140:141], v[140:141], v[142:143], v[140:141]
	v_mul_f64 v[142:143], v[144:145], v[140:141]
	v_fma_f64 v[138:139], -v[138:139], v[142:143], v[144:145]
	v_div_fmas_f64 v[138:139], v[138:139], v[140:141], v[142:143]
	v_div_fixup_f64 v[138:139], v[138:139], v[136:137], v[134:135]
	v_fma_f64 v[134:135], v[134:135], v[138:139], v[136:137]
	v_div_scale_f64 v[136:137], null, v[134:135], v[134:135], 1.0
	v_rcp_f64_e32 v[140:141], v[136:137]
	v_fma_f64 v[142:143], -v[136:137], v[140:141], 1.0
	v_fma_f64 v[140:141], v[140:141], v[142:143], v[140:141]
	v_fma_f64 v[142:143], -v[136:137], v[140:141], 1.0
	v_fma_f64 v[140:141], v[140:141], v[142:143], v[140:141]
	v_div_scale_f64 v[142:143], vcc_lo, 1.0, v[134:135], 1.0
	v_mul_f64 v[144:145], v[142:143], v[140:141]
	v_fma_f64 v[136:137], -v[136:137], v[144:145], v[142:143]
	v_div_fmas_f64 v[136:137], v[136:137], v[140:141], v[144:145]
	v_div_fixup_f64 v[140:141], v[136:137], v[134:135], 1.0
                                        ; implicit-def: $vgpr134_vgpr135
	v_mul_f64 v[138:139], v[138:139], v[140:141]
	v_xor_b32_e32 v141, 0x80000000, v141
.LBB65_23:
	s_andn2_saveexec_b32 s1, s1
	s_cbranch_execz .LBB65_25
; %bb.24:
	v_div_scale_f64 v[138:139], null, v[134:135], v[134:135], v[136:137]
	v_div_scale_f64 v[144:145], vcc_lo, v[136:137], v[134:135], v[136:137]
	v_rcp_f64_e32 v[140:141], v[138:139]
	v_fma_f64 v[142:143], -v[138:139], v[140:141], 1.0
	v_fma_f64 v[140:141], v[140:141], v[142:143], v[140:141]
	v_fma_f64 v[142:143], -v[138:139], v[140:141], 1.0
	v_fma_f64 v[140:141], v[140:141], v[142:143], v[140:141]
	v_mul_f64 v[142:143], v[144:145], v[140:141]
	v_fma_f64 v[138:139], -v[138:139], v[142:143], v[144:145]
	v_div_fmas_f64 v[138:139], v[138:139], v[140:141], v[142:143]
	v_div_fixup_f64 v[140:141], v[138:139], v[134:135], v[136:137]
	v_fma_f64 v[134:135], v[136:137], v[140:141], v[134:135]
	v_div_scale_f64 v[136:137], null, v[134:135], v[134:135], 1.0
	v_rcp_f64_e32 v[138:139], v[136:137]
	v_fma_f64 v[142:143], -v[136:137], v[138:139], 1.0
	v_fma_f64 v[138:139], v[138:139], v[142:143], v[138:139]
	v_fma_f64 v[142:143], -v[136:137], v[138:139], 1.0
	v_fma_f64 v[138:139], v[138:139], v[142:143], v[138:139]
	v_div_scale_f64 v[142:143], vcc_lo, 1.0, v[134:135], 1.0
	v_mul_f64 v[144:145], v[142:143], v[138:139]
	v_fma_f64 v[136:137], -v[136:137], v[144:145], v[142:143]
	v_div_fmas_f64 v[136:137], v[136:137], v[138:139], v[144:145]
	v_div_fixup_f64 v[138:139], v[136:137], v[134:135], 1.0
	v_mul_f64 v[140:141], v[140:141], -v[138:139]
.LBB65_25:
	s_or_b32 exec_lo, exec_lo, s1
	ds_write2_b64 v1, v[138:139], v[140:141] offset1:1
.LBB65_26:
	s_or_b32 exec_lo, exec_lo, s2
	s_waitcnt lgkmcnt(0)
	s_barrier
	buffer_gl0_inv
	ds_read2_b64 v[134:137], v1 offset1:1
	s_mov_b32 s1, exec_lo
	s_waitcnt lgkmcnt(0)
	buffer_store_dword v134, off, s[16:19], 0 offset:32 ; 4-byte Folded Spill
	buffer_store_dword v135, off, s[16:19], 0 offset:36 ; 4-byte Folded Spill
	;; [unrolled: 1-line block ×4, first 2 shown]
	v_cmpx_lt_u32_e32 2, v0
	s_cbranch_execz .LBB65_28
; %bb.27:
	s_clause 0x3
	buffer_load_dword v136, off, s[16:19], 0 offset:32
	buffer_load_dword v137, off, s[16:19], 0 offset:36
	;; [unrolled: 1-line block ×4, first 2 shown]
	s_waitcnt vmcnt(0)
	v_mul_f64 v[134:135], v[138:139], v[124:125]
	v_mul_f64 v[124:125], v[136:137], v[124:125]
	v_fma_f64 v[134:135], v[136:137], v[122:123], -v[134:135]
	v_fma_f64 v[124:125], v[138:139], v[122:123], v[124:125]
	ds_read2_b64 v[136:139], v148 offset0:6 offset1:7
	s_waitcnt lgkmcnt(0)
	v_mul_f64 v[122:123], v[138:139], v[124:125]
	v_fma_f64 v[122:123], v[136:137], v[134:135], -v[122:123]
	v_mul_f64 v[136:137], v[136:137], v[124:125]
	v_add_f64 v[118:119], v[118:119], -v[122:123]
	v_fma_f64 v[136:137], v[138:139], v[134:135], v[136:137]
	v_add_f64 v[120:121], v[120:121], -v[136:137]
	ds_read2_b64 v[136:139], v148 offset0:8 offset1:9
	s_waitcnt lgkmcnt(0)
	v_mul_f64 v[122:123], v[138:139], v[124:125]
	v_fma_f64 v[122:123], v[136:137], v[134:135], -v[122:123]
	v_mul_f64 v[136:137], v[136:137], v[124:125]
	v_add_f64 v[114:115], v[114:115], -v[122:123]
	v_fma_f64 v[136:137], v[138:139], v[134:135], v[136:137]
	v_add_f64 v[116:117], v[116:117], -v[136:137]
	;; [unrolled: 8-line block ×29, first 2 shown]
	ds_read2_b64 v[136:139], v148 offset0:64 offset1:65
	s_waitcnt lgkmcnt(0)
	v_mul_f64 v[122:123], v[138:139], v[124:125]
	v_fma_f64 v[122:123], v[136:137], v[134:135], -v[122:123]
	v_mul_f64 v[136:137], v[136:137], v[124:125]
	v_add_f64 v[2:3], v[2:3], -v[122:123]
	v_fma_f64 v[136:137], v[138:139], v[134:135], v[136:137]
	v_mov_b32_e32 v122, v134
	v_mov_b32_e32 v123, v135
	v_add_f64 v[4:5], v[4:5], -v[136:137]
.LBB65_28:
	s_or_b32 exec_lo, exec_lo, s1
	s_mov_b32 s2, exec_lo
	s_waitcnt_vscnt null, 0x0
	s_barrier
	buffer_gl0_inv
	v_cmpx_eq_u32_e32 3, v0
	s_cbranch_execz .LBB65_35
; %bb.29:
	ds_write2_b64 v1, v[118:119], v[120:121] offset1:1
	ds_write2_b64 v148, v[114:115], v[116:117] offset0:8 offset1:9
	ds_write2_b64 v148, v[110:111], v[112:113] offset0:10 offset1:11
	;; [unrolled: 1-line block ×29, first 2 shown]
	ds_read2_b64 v[134:137], v1 offset1:1
	s_waitcnt lgkmcnt(0)
	v_cmp_neq_f64_e32 vcc_lo, 0, v[134:135]
	v_cmp_neq_f64_e64 s1, 0, v[136:137]
	s_or_b32 s1, vcc_lo, s1
	s_and_b32 exec_lo, exec_lo, s1
	s_cbranch_execz .LBB65_35
; %bb.30:
	v_cmp_ngt_f64_e64 s1, |v[134:135]|, |v[136:137]|
                                        ; implicit-def: $vgpr138_vgpr139
	s_and_saveexec_b32 s3, s1
	s_xor_b32 s1, exec_lo, s3
                                        ; implicit-def: $vgpr140_vgpr141
	s_cbranch_execz .LBB65_32
; %bb.31:
	v_div_scale_f64 v[138:139], null, v[136:137], v[136:137], v[134:135]
	v_div_scale_f64 v[144:145], vcc_lo, v[134:135], v[136:137], v[134:135]
	v_rcp_f64_e32 v[140:141], v[138:139]
	v_fma_f64 v[142:143], -v[138:139], v[140:141], 1.0
	v_fma_f64 v[140:141], v[140:141], v[142:143], v[140:141]
	v_fma_f64 v[142:143], -v[138:139], v[140:141], 1.0
	v_fma_f64 v[140:141], v[140:141], v[142:143], v[140:141]
	v_mul_f64 v[142:143], v[144:145], v[140:141]
	v_fma_f64 v[138:139], -v[138:139], v[142:143], v[144:145]
	v_div_fmas_f64 v[138:139], v[138:139], v[140:141], v[142:143]
	v_div_fixup_f64 v[138:139], v[138:139], v[136:137], v[134:135]
	v_fma_f64 v[134:135], v[134:135], v[138:139], v[136:137]
	v_div_scale_f64 v[136:137], null, v[134:135], v[134:135], 1.0
	v_rcp_f64_e32 v[140:141], v[136:137]
	v_fma_f64 v[142:143], -v[136:137], v[140:141], 1.0
	v_fma_f64 v[140:141], v[140:141], v[142:143], v[140:141]
	v_fma_f64 v[142:143], -v[136:137], v[140:141], 1.0
	v_fma_f64 v[140:141], v[140:141], v[142:143], v[140:141]
	v_div_scale_f64 v[142:143], vcc_lo, 1.0, v[134:135], 1.0
	v_mul_f64 v[144:145], v[142:143], v[140:141]
	v_fma_f64 v[136:137], -v[136:137], v[144:145], v[142:143]
	v_div_fmas_f64 v[136:137], v[136:137], v[140:141], v[144:145]
	v_div_fixup_f64 v[140:141], v[136:137], v[134:135], 1.0
                                        ; implicit-def: $vgpr134_vgpr135
	v_mul_f64 v[138:139], v[138:139], v[140:141]
	v_xor_b32_e32 v141, 0x80000000, v141
.LBB65_32:
	s_andn2_saveexec_b32 s1, s1
	s_cbranch_execz .LBB65_34
; %bb.33:
	v_div_scale_f64 v[138:139], null, v[134:135], v[134:135], v[136:137]
	v_div_scale_f64 v[144:145], vcc_lo, v[136:137], v[134:135], v[136:137]
	v_rcp_f64_e32 v[140:141], v[138:139]
	v_fma_f64 v[142:143], -v[138:139], v[140:141], 1.0
	v_fma_f64 v[140:141], v[140:141], v[142:143], v[140:141]
	v_fma_f64 v[142:143], -v[138:139], v[140:141], 1.0
	v_fma_f64 v[140:141], v[140:141], v[142:143], v[140:141]
	v_mul_f64 v[142:143], v[144:145], v[140:141]
	v_fma_f64 v[138:139], -v[138:139], v[142:143], v[144:145]
	v_div_fmas_f64 v[138:139], v[138:139], v[140:141], v[142:143]
	v_div_fixup_f64 v[140:141], v[138:139], v[134:135], v[136:137]
	v_fma_f64 v[134:135], v[136:137], v[140:141], v[134:135]
	v_div_scale_f64 v[136:137], null, v[134:135], v[134:135], 1.0
	v_rcp_f64_e32 v[138:139], v[136:137]
	v_fma_f64 v[142:143], -v[136:137], v[138:139], 1.0
	v_fma_f64 v[138:139], v[138:139], v[142:143], v[138:139]
	v_fma_f64 v[142:143], -v[136:137], v[138:139], 1.0
	v_fma_f64 v[138:139], v[138:139], v[142:143], v[138:139]
	v_div_scale_f64 v[142:143], vcc_lo, 1.0, v[134:135], 1.0
	v_mul_f64 v[144:145], v[142:143], v[138:139]
	v_fma_f64 v[136:137], -v[136:137], v[144:145], v[142:143]
	v_div_fmas_f64 v[136:137], v[136:137], v[138:139], v[144:145]
	v_div_fixup_f64 v[138:139], v[136:137], v[134:135], 1.0
	v_mul_f64 v[140:141], v[140:141], -v[138:139]
.LBB65_34:
	s_or_b32 exec_lo, exec_lo, s1
	ds_write2_b64 v1, v[138:139], v[140:141] offset1:1
.LBB65_35:
	s_or_b32 exec_lo, exec_lo, s2
	s_waitcnt lgkmcnt(0)
	s_barrier
	buffer_gl0_inv
	ds_read2_b64 v[153:156], v1 offset1:1
	s_mov_b32 s1, exec_lo
	v_cmpx_lt_u32_e32 3, v0
	s_cbranch_execz .LBB65_37
; %bb.36:
	s_waitcnt lgkmcnt(0)
	v_mul_f64 v[134:135], v[155:156], v[120:121]
	v_mul_f64 v[120:121], v[153:154], v[120:121]
	ds_read2_b64 v[136:139], v148 offset0:8 offset1:9
	v_fma_f64 v[134:135], v[153:154], v[118:119], -v[134:135]
	v_fma_f64 v[120:121], v[155:156], v[118:119], v[120:121]
	s_waitcnt lgkmcnt(0)
	v_mul_f64 v[118:119], v[138:139], v[120:121]
	v_fma_f64 v[118:119], v[136:137], v[134:135], -v[118:119]
	v_mul_f64 v[136:137], v[136:137], v[120:121]
	v_add_f64 v[114:115], v[114:115], -v[118:119]
	v_fma_f64 v[136:137], v[138:139], v[134:135], v[136:137]
	v_add_f64 v[116:117], v[116:117], -v[136:137]
	ds_read2_b64 v[136:139], v148 offset0:10 offset1:11
	s_waitcnt lgkmcnt(0)
	v_mul_f64 v[118:119], v[138:139], v[120:121]
	v_fma_f64 v[118:119], v[136:137], v[134:135], -v[118:119]
	v_mul_f64 v[136:137], v[136:137], v[120:121]
	v_add_f64 v[110:111], v[110:111], -v[118:119]
	v_fma_f64 v[136:137], v[138:139], v[134:135], v[136:137]
	v_add_f64 v[112:113], v[112:113], -v[136:137]
	ds_read2_b64 v[136:139], v148 offset0:12 offset1:13
	;; [unrolled: 8-line block ×28, first 2 shown]
	s_waitcnt lgkmcnt(0)
	v_mul_f64 v[118:119], v[138:139], v[120:121]
	v_fma_f64 v[118:119], v[136:137], v[134:135], -v[118:119]
	v_mul_f64 v[136:137], v[136:137], v[120:121]
	v_add_f64 v[2:3], v[2:3], -v[118:119]
	v_fma_f64 v[136:137], v[138:139], v[134:135], v[136:137]
	v_mov_b32_e32 v118, v134
	v_mov_b32_e32 v119, v135
	v_add_f64 v[4:5], v[4:5], -v[136:137]
.LBB65_37:
	s_or_b32 exec_lo, exec_lo, s1
	s_mov_b32 s2, exec_lo
	s_waitcnt lgkmcnt(0)
	s_barrier
	buffer_gl0_inv
	v_cmpx_eq_u32_e32 4, v0
	s_cbranch_execz .LBB65_44
; %bb.38:
	ds_write2_b64 v1, v[114:115], v[116:117] offset1:1
	ds_write2_b64 v148, v[110:111], v[112:113] offset0:10 offset1:11
	ds_write2_b64 v148, v[106:107], v[108:109] offset0:12 offset1:13
	ds_write2_b64 v148, v[102:103], v[104:105] offset0:14 offset1:15
	ds_write2_b64 v148, v[98:99], v[100:101] offset0:16 offset1:17
	ds_write2_b64 v148, v[94:95], v[96:97] offset0:18 offset1:19
	ds_write2_b64 v148, v[90:91], v[92:93] offset0:20 offset1:21
	ds_write2_b64 v148, v[86:87], v[88:89] offset0:22 offset1:23
	ds_write2_b64 v148, v[82:83], v[84:85] offset0:24 offset1:25
	ds_write2_b64 v148, v[78:79], v[80:81] offset0:26 offset1:27
	ds_write2_b64 v148, v[74:75], v[76:77] offset0:28 offset1:29
	ds_write2_b64 v148, v[70:71], v[72:73] offset0:30 offset1:31
	ds_write2_b64 v148, v[66:67], v[68:69] offset0:32 offset1:33
	ds_write2_b64 v148, v[62:63], v[64:65] offset0:34 offset1:35
	ds_write2_b64 v148, v[58:59], v[60:61] offset0:36 offset1:37
	ds_write2_b64 v148, v[54:55], v[56:57] offset0:38 offset1:39
	ds_write2_b64 v148, v[50:51], v[52:53] offset0:40 offset1:41
	ds_write2_b64 v148, v[46:47], v[48:49] offset0:42 offset1:43
	ds_write2_b64 v148, v[42:43], v[44:45] offset0:44 offset1:45
	ds_write2_b64 v148, v[38:39], v[40:41] offset0:46 offset1:47
	ds_write2_b64 v148, v[34:35], v[36:37] offset0:48 offset1:49
	ds_write2_b64 v148, v[30:31], v[32:33] offset0:50 offset1:51
	ds_write2_b64 v148, v[26:27], v[28:29] offset0:52 offset1:53
	ds_write2_b64 v148, v[22:23], v[24:25] offset0:54 offset1:55
	ds_write2_b64 v148, v[18:19], v[20:21] offset0:56 offset1:57
	ds_write2_b64 v148, v[14:15], v[16:17] offset0:58 offset1:59
	ds_write2_b64 v148, v[10:11], v[12:13] offset0:60 offset1:61
	ds_write2_b64 v148, v[6:7], v[8:9] offset0:62 offset1:63
	ds_write2_b64 v148, v[2:3], v[4:5] offset0:64 offset1:65
	ds_read2_b64 v[134:137], v1 offset1:1
	s_waitcnt lgkmcnt(0)
	v_cmp_neq_f64_e32 vcc_lo, 0, v[134:135]
	v_cmp_neq_f64_e64 s1, 0, v[136:137]
	s_or_b32 s1, vcc_lo, s1
	s_and_b32 exec_lo, exec_lo, s1
	s_cbranch_execz .LBB65_44
; %bb.39:
	v_cmp_ngt_f64_e64 s1, |v[134:135]|, |v[136:137]|
                                        ; implicit-def: $vgpr138_vgpr139
	s_and_saveexec_b32 s3, s1
	s_xor_b32 s1, exec_lo, s3
                                        ; implicit-def: $vgpr140_vgpr141
	s_cbranch_execz .LBB65_41
; %bb.40:
	v_div_scale_f64 v[138:139], null, v[136:137], v[136:137], v[134:135]
	v_div_scale_f64 v[144:145], vcc_lo, v[134:135], v[136:137], v[134:135]
	v_rcp_f64_e32 v[140:141], v[138:139]
	v_fma_f64 v[142:143], -v[138:139], v[140:141], 1.0
	v_fma_f64 v[140:141], v[140:141], v[142:143], v[140:141]
	v_fma_f64 v[142:143], -v[138:139], v[140:141], 1.0
	v_fma_f64 v[140:141], v[140:141], v[142:143], v[140:141]
	v_mul_f64 v[142:143], v[144:145], v[140:141]
	v_fma_f64 v[138:139], -v[138:139], v[142:143], v[144:145]
	v_div_fmas_f64 v[138:139], v[138:139], v[140:141], v[142:143]
	v_div_fixup_f64 v[138:139], v[138:139], v[136:137], v[134:135]
	v_fma_f64 v[134:135], v[134:135], v[138:139], v[136:137]
	v_div_scale_f64 v[136:137], null, v[134:135], v[134:135], 1.0
	v_rcp_f64_e32 v[140:141], v[136:137]
	v_fma_f64 v[142:143], -v[136:137], v[140:141], 1.0
	v_fma_f64 v[140:141], v[140:141], v[142:143], v[140:141]
	v_fma_f64 v[142:143], -v[136:137], v[140:141], 1.0
	v_fma_f64 v[140:141], v[140:141], v[142:143], v[140:141]
	v_div_scale_f64 v[142:143], vcc_lo, 1.0, v[134:135], 1.0
	v_mul_f64 v[144:145], v[142:143], v[140:141]
	v_fma_f64 v[136:137], -v[136:137], v[144:145], v[142:143]
	v_div_fmas_f64 v[136:137], v[136:137], v[140:141], v[144:145]
	v_div_fixup_f64 v[140:141], v[136:137], v[134:135], 1.0
                                        ; implicit-def: $vgpr134_vgpr135
	v_mul_f64 v[138:139], v[138:139], v[140:141]
	v_xor_b32_e32 v141, 0x80000000, v141
.LBB65_41:
	s_andn2_saveexec_b32 s1, s1
	s_cbranch_execz .LBB65_43
; %bb.42:
	v_div_scale_f64 v[138:139], null, v[134:135], v[134:135], v[136:137]
	v_div_scale_f64 v[144:145], vcc_lo, v[136:137], v[134:135], v[136:137]
	v_rcp_f64_e32 v[140:141], v[138:139]
	v_fma_f64 v[142:143], -v[138:139], v[140:141], 1.0
	v_fma_f64 v[140:141], v[140:141], v[142:143], v[140:141]
	v_fma_f64 v[142:143], -v[138:139], v[140:141], 1.0
	v_fma_f64 v[140:141], v[140:141], v[142:143], v[140:141]
	v_mul_f64 v[142:143], v[144:145], v[140:141]
	v_fma_f64 v[138:139], -v[138:139], v[142:143], v[144:145]
	v_div_fmas_f64 v[138:139], v[138:139], v[140:141], v[142:143]
	v_div_fixup_f64 v[140:141], v[138:139], v[134:135], v[136:137]
	v_fma_f64 v[134:135], v[136:137], v[140:141], v[134:135]
	v_div_scale_f64 v[136:137], null, v[134:135], v[134:135], 1.0
	v_rcp_f64_e32 v[138:139], v[136:137]
	v_fma_f64 v[142:143], -v[136:137], v[138:139], 1.0
	v_fma_f64 v[138:139], v[138:139], v[142:143], v[138:139]
	v_fma_f64 v[142:143], -v[136:137], v[138:139], 1.0
	v_fma_f64 v[138:139], v[138:139], v[142:143], v[138:139]
	v_div_scale_f64 v[142:143], vcc_lo, 1.0, v[134:135], 1.0
	v_mul_f64 v[144:145], v[142:143], v[138:139]
	v_fma_f64 v[136:137], -v[136:137], v[144:145], v[142:143]
	v_div_fmas_f64 v[136:137], v[136:137], v[138:139], v[144:145]
	v_div_fixup_f64 v[138:139], v[136:137], v[134:135], 1.0
	v_mul_f64 v[140:141], v[140:141], -v[138:139]
.LBB65_43:
	s_or_b32 exec_lo, exec_lo, s1
	ds_write2_b64 v1, v[138:139], v[140:141] offset1:1
.LBB65_44:
	s_or_b32 exec_lo, exec_lo, s2
	s_waitcnt lgkmcnt(0)
	s_barrier
	buffer_gl0_inv
	ds_read2_b64 v[232:235], v1 offset1:1
	s_mov_b32 s1, exec_lo
	v_cmpx_lt_u32_e32 4, v0
	s_cbranch_execz .LBB65_46
; %bb.45:
	s_waitcnt lgkmcnt(0)
	v_mul_f64 v[134:135], v[234:235], v[116:117]
	v_mul_f64 v[116:117], v[232:233], v[116:117]
	ds_read2_b64 v[136:139], v148 offset0:10 offset1:11
	v_fma_f64 v[134:135], v[232:233], v[114:115], -v[134:135]
	v_fma_f64 v[116:117], v[234:235], v[114:115], v[116:117]
	s_waitcnt lgkmcnt(0)
	v_mul_f64 v[114:115], v[138:139], v[116:117]
	v_fma_f64 v[114:115], v[136:137], v[134:135], -v[114:115]
	v_mul_f64 v[136:137], v[136:137], v[116:117]
	v_add_f64 v[110:111], v[110:111], -v[114:115]
	v_fma_f64 v[136:137], v[138:139], v[134:135], v[136:137]
	v_add_f64 v[112:113], v[112:113], -v[136:137]
	ds_read2_b64 v[136:139], v148 offset0:12 offset1:13
	s_waitcnt lgkmcnt(0)
	v_mul_f64 v[114:115], v[138:139], v[116:117]
	v_fma_f64 v[114:115], v[136:137], v[134:135], -v[114:115]
	v_mul_f64 v[136:137], v[136:137], v[116:117]
	v_add_f64 v[106:107], v[106:107], -v[114:115]
	v_fma_f64 v[136:137], v[138:139], v[134:135], v[136:137]
	v_add_f64 v[108:109], v[108:109], -v[136:137]
	ds_read2_b64 v[136:139], v148 offset0:14 offset1:15
	;; [unrolled: 8-line block ×27, first 2 shown]
	s_waitcnt lgkmcnt(0)
	v_mul_f64 v[114:115], v[138:139], v[116:117]
	v_fma_f64 v[114:115], v[136:137], v[134:135], -v[114:115]
	v_mul_f64 v[136:137], v[136:137], v[116:117]
	v_add_f64 v[2:3], v[2:3], -v[114:115]
	v_fma_f64 v[136:137], v[138:139], v[134:135], v[136:137]
	v_mov_b32_e32 v114, v134
	v_mov_b32_e32 v115, v135
	v_add_f64 v[4:5], v[4:5], -v[136:137]
.LBB65_46:
	s_or_b32 exec_lo, exec_lo, s1
	s_mov_b32 s2, exec_lo
	s_waitcnt lgkmcnt(0)
	s_barrier
	buffer_gl0_inv
	v_cmpx_eq_u32_e32 5, v0
	s_cbranch_execz .LBB65_53
; %bb.47:
	ds_write2_b64 v1, v[110:111], v[112:113] offset1:1
	ds_write2_b64 v148, v[106:107], v[108:109] offset0:12 offset1:13
	ds_write2_b64 v148, v[102:103], v[104:105] offset0:14 offset1:15
	;; [unrolled: 1-line block ×27, first 2 shown]
	ds_read2_b64 v[134:137], v1 offset1:1
	s_waitcnt lgkmcnt(0)
	v_cmp_neq_f64_e32 vcc_lo, 0, v[134:135]
	v_cmp_neq_f64_e64 s1, 0, v[136:137]
	s_or_b32 s1, vcc_lo, s1
	s_and_b32 exec_lo, exec_lo, s1
	s_cbranch_execz .LBB65_53
; %bb.48:
	v_cmp_ngt_f64_e64 s1, |v[134:135]|, |v[136:137]|
                                        ; implicit-def: $vgpr138_vgpr139
	s_and_saveexec_b32 s3, s1
	s_xor_b32 s1, exec_lo, s3
                                        ; implicit-def: $vgpr140_vgpr141
	s_cbranch_execz .LBB65_50
; %bb.49:
	v_div_scale_f64 v[138:139], null, v[136:137], v[136:137], v[134:135]
	v_div_scale_f64 v[144:145], vcc_lo, v[134:135], v[136:137], v[134:135]
	v_rcp_f64_e32 v[140:141], v[138:139]
	v_fma_f64 v[142:143], -v[138:139], v[140:141], 1.0
	v_fma_f64 v[140:141], v[140:141], v[142:143], v[140:141]
	v_fma_f64 v[142:143], -v[138:139], v[140:141], 1.0
	v_fma_f64 v[140:141], v[140:141], v[142:143], v[140:141]
	v_mul_f64 v[142:143], v[144:145], v[140:141]
	v_fma_f64 v[138:139], -v[138:139], v[142:143], v[144:145]
	v_div_fmas_f64 v[138:139], v[138:139], v[140:141], v[142:143]
	v_div_fixup_f64 v[138:139], v[138:139], v[136:137], v[134:135]
	v_fma_f64 v[134:135], v[134:135], v[138:139], v[136:137]
	v_div_scale_f64 v[136:137], null, v[134:135], v[134:135], 1.0
	v_rcp_f64_e32 v[140:141], v[136:137]
	v_fma_f64 v[142:143], -v[136:137], v[140:141], 1.0
	v_fma_f64 v[140:141], v[140:141], v[142:143], v[140:141]
	v_fma_f64 v[142:143], -v[136:137], v[140:141], 1.0
	v_fma_f64 v[140:141], v[140:141], v[142:143], v[140:141]
	v_div_scale_f64 v[142:143], vcc_lo, 1.0, v[134:135], 1.0
	v_mul_f64 v[144:145], v[142:143], v[140:141]
	v_fma_f64 v[136:137], -v[136:137], v[144:145], v[142:143]
	v_div_fmas_f64 v[136:137], v[136:137], v[140:141], v[144:145]
	v_div_fixup_f64 v[140:141], v[136:137], v[134:135], 1.0
                                        ; implicit-def: $vgpr134_vgpr135
	v_mul_f64 v[138:139], v[138:139], v[140:141]
	v_xor_b32_e32 v141, 0x80000000, v141
.LBB65_50:
	s_andn2_saveexec_b32 s1, s1
	s_cbranch_execz .LBB65_52
; %bb.51:
	v_div_scale_f64 v[138:139], null, v[134:135], v[134:135], v[136:137]
	v_div_scale_f64 v[144:145], vcc_lo, v[136:137], v[134:135], v[136:137]
	v_rcp_f64_e32 v[140:141], v[138:139]
	v_fma_f64 v[142:143], -v[138:139], v[140:141], 1.0
	v_fma_f64 v[140:141], v[140:141], v[142:143], v[140:141]
	v_fma_f64 v[142:143], -v[138:139], v[140:141], 1.0
	v_fma_f64 v[140:141], v[140:141], v[142:143], v[140:141]
	v_mul_f64 v[142:143], v[144:145], v[140:141]
	v_fma_f64 v[138:139], -v[138:139], v[142:143], v[144:145]
	v_div_fmas_f64 v[138:139], v[138:139], v[140:141], v[142:143]
	v_div_fixup_f64 v[140:141], v[138:139], v[134:135], v[136:137]
	v_fma_f64 v[134:135], v[136:137], v[140:141], v[134:135]
	v_div_scale_f64 v[136:137], null, v[134:135], v[134:135], 1.0
	v_rcp_f64_e32 v[138:139], v[136:137]
	v_fma_f64 v[142:143], -v[136:137], v[138:139], 1.0
	v_fma_f64 v[138:139], v[138:139], v[142:143], v[138:139]
	v_fma_f64 v[142:143], -v[136:137], v[138:139], 1.0
	v_fma_f64 v[138:139], v[138:139], v[142:143], v[138:139]
	v_div_scale_f64 v[142:143], vcc_lo, 1.0, v[134:135], 1.0
	v_mul_f64 v[144:145], v[142:143], v[138:139]
	v_fma_f64 v[136:137], -v[136:137], v[144:145], v[142:143]
	v_div_fmas_f64 v[136:137], v[136:137], v[138:139], v[144:145]
	v_div_fixup_f64 v[138:139], v[136:137], v[134:135], 1.0
	v_mul_f64 v[140:141], v[140:141], -v[138:139]
.LBB65_52:
	s_or_b32 exec_lo, exec_lo, s1
	ds_write2_b64 v1, v[138:139], v[140:141] offset1:1
.LBB65_53:
	s_or_b32 exec_lo, exec_lo, s2
	s_waitcnt lgkmcnt(0)
	s_barrier
	buffer_gl0_inv
	ds_read2_b64 v[217:220], v1 offset1:1
	s_mov_b32 s1, exec_lo
	v_cmpx_lt_u32_e32 5, v0
	s_cbranch_execz .LBB65_55
; %bb.54:
	s_waitcnt lgkmcnt(0)
	v_mul_f64 v[134:135], v[219:220], v[112:113]
	v_mul_f64 v[112:113], v[217:218], v[112:113]
	ds_read2_b64 v[136:139], v148 offset0:12 offset1:13
	v_fma_f64 v[134:135], v[217:218], v[110:111], -v[134:135]
	v_fma_f64 v[112:113], v[219:220], v[110:111], v[112:113]
	s_waitcnt lgkmcnt(0)
	v_mul_f64 v[110:111], v[138:139], v[112:113]
	v_fma_f64 v[110:111], v[136:137], v[134:135], -v[110:111]
	v_mul_f64 v[136:137], v[136:137], v[112:113]
	v_add_f64 v[106:107], v[106:107], -v[110:111]
	v_fma_f64 v[136:137], v[138:139], v[134:135], v[136:137]
	v_add_f64 v[108:109], v[108:109], -v[136:137]
	ds_read2_b64 v[136:139], v148 offset0:14 offset1:15
	s_waitcnt lgkmcnt(0)
	v_mul_f64 v[110:111], v[138:139], v[112:113]
	v_fma_f64 v[110:111], v[136:137], v[134:135], -v[110:111]
	v_mul_f64 v[136:137], v[136:137], v[112:113]
	v_add_f64 v[102:103], v[102:103], -v[110:111]
	v_fma_f64 v[136:137], v[138:139], v[134:135], v[136:137]
	v_add_f64 v[104:105], v[104:105], -v[136:137]
	ds_read2_b64 v[136:139], v148 offset0:16 offset1:17
	;; [unrolled: 8-line block ×26, first 2 shown]
	s_waitcnt lgkmcnt(0)
	v_mul_f64 v[110:111], v[138:139], v[112:113]
	v_fma_f64 v[110:111], v[136:137], v[134:135], -v[110:111]
	v_mul_f64 v[136:137], v[136:137], v[112:113]
	v_add_f64 v[2:3], v[2:3], -v[110:111]
	v_fma_f64 v[136:137], v[138:139], v[134:135], v[136:137]
	v_mov_b32_e32 v110, v134
	v_mov_b32_e32 v111, v135
	v_add_f64 v[4:5], v[4:5], -v[136:137]
.LBB65_55:
	s_or_b32 exec_lo, exec_lo, s1
	s_mov_b32 s2, exec_lo
	s_waitcnt lgkmcnt(0)
	s_barrier
	buffer_gl0_inv
	v_cmpx_eq_u32_e32 6, v0
	s_cbranch_execz .LBB65_62
; %bb.56:
	ds_write2_b64 v1, v[106:107], v[108:109] offset1:1
	ds_write2_b64 v148, v[102:103], v[104:105] offset0:14 offset1:15
	ds_write2_b64 v148, v[98:99], v[100:101] offset0:16 offset1:17
	;; [unrolled: 1-line block ×26, first 2 shown]
	ds_read2_b64 v[134:137], v1 offset1:1
	s_waitcnt lgkmcnt(0)
	v_cmp_neq_f64_e32 vcc_lo, 0, v[134:135]
	v_cmp_neq_f64_e64 s1, 0, v[136:137]
	s_or_b32 s1, vcc_lo, s1
	s_and_b32 exec_lo, exec_lo, s1
	s_cbranch_execz .LBB65_62
; %bb.57:
	v_cmp_ngt_f64_e64 s1, |v[134:135]|, |v[136:137]|
                                        ; implicit-def: $vgpr138_vgpr139
	s_and_saveexec_b32 s3, s1
	s_xor_b32 s1, exec_lo, s3
                                        ; implicit-def: $vgpr140_vgpr141
	s_cbranch_execz .LBB65_59
; %bb.58:
	v_div_scale_f64 v[138:139], null, v[136:137], v[136:137], v[134:135]
	v_div_scale_f64 v[144:145], vcc_lo, v[134:135], v[136:137], v[134:135]
	v_rcp_f64_e32 v[140:141], v[138:139]
	v_fma_f64 v[142:143], -v[138:139], v[140:141], 1.0
	v_fma_f64 v[140:141], v[140:141], v[142:143], v[140:141]
	v_fma_f64 v[142:143], -v[138:139], v[140:141], 1.0
	v_fma_f64 v[140:141], v[140:141], v[142:143], v[140:141]
	v_mul_f64 v[142:143], v[144:145], v[140:141]
	v_fma_f64 v[138:139], -v[138:139], v[142:143], v[144:145]
	v_div_fmas_f64 v[138:139], v[138:139], v[140:141], v[142:143]
	v_div_fixup_f64 v[138:139], v[138:139], v[136:137], v[134:135]
	v_fma_f64 v[134:135], v[134:135], v[138:139], v[136:137]
	v_div_scale_f64 v[136:137], null, v[134:135], v[134:135], 1.0
	v_rcp_f64_e32 v[140:141], v[136:137]
	v_fma_f64 v[142:143], -v[136:137], v[140:141], 1.0
	v_fma_f64 v[140:141], v[140:141], v[142:143], v[140:141]
	v_fma_f64 v[142:143], -v[136:137], v[140:141], 1.0
	v_fma_f64 v[140:141], v[140:141], v[142:143], v[140:141]
	v_div_scale_f64 v[142:143], vcc_lo, 1.0, v[134:135], 1.0
	v_mul_f64 v[144:145], v[142:143], v[140:141]
	v_fma_f64 v[136:137], -v[136:137], v[144:145], v[142:143]
	v_div_fmas_f64 v[136:137], v[136:137], v[140:141], v[144:145]
	v_div_fixup_f64 v[140:141], v[136:137], v[134:135], 1.0
                                        ; implicit-def: $vgpr134_vgpr135
	v_mul_f64 v[138:139], v[138:139], v[140:141]
	v_xor_b32_e32 v141, 0x80000000, v141
.LBB65_59:
	s_andn2_saveexec_b32 s1, s1
	s_cbranch_execz .LBB65_61
; %bb.60:
	v_div_scale_f64 v[138:139], null, v[134:135], v[134:135], v[136:137]
	v_div_scale_f64 v[144:145], vcc_lo, v[136:137], v[134:135], v[136:137]
	v_rcp_f64_e32 v[140:141], v[138:139]
	v_fma_f64 v[142:143], -v[138:139], v[140:141], 1.0
	v_fma_f64 v[140:141], v[140:141], v[142:143], v[140:141]
	v_fma_f64 v[142:143], -v[138:139], v[140:141], 1.0
	v_fma_f64 v[140:141], v[140:141], v[142:143], v[140:141]
	v_mul_f64 v[142:143], v[144:145], v[140:141]
	v_fma_f64 v[138:139], -v[138:139], v[142:143], v[144:145]
	v_div_fmas_f64 v[138:139], v[138:139], v[140:141], v[142:143]
	v_div_fixup_f64 v[140:141], v[138:139], v[134:135], v[136:137]
	v_fma_f64 v[134:135], v[136:137], v[140:141], v[134:135]
	v_div_scale_f64 v[136:137], null, v[134:135], v[134:135], 1.0
	v_rcp_f64_e32 v[138:139], v[136:137]
	v_fma_f64 v[142:143], -v[136:137], v[138:139], 1.0
	v_fma_f64 v[138:139], v[138:139], v[142:143], v[138:139]
	v_fma_f64 v[142:143], -v[136:137], v[138:139], 1.0
	v_fma_f64 v[138:139], v[138:139], v[142:143], v[138:139]
	v_div_scale_f64 v[142:143], vcc_lo, 1.0, v[134:135], 1.0
	v_mul_f64 v[144:145], v[142:143], v[138:139]
	v_fma_f64 v[136:137], -v[136:137], v[144:145], v[142:143]
	v_div_fmas_f64 v[136:137], v[136:137], v[138:139], v[144:145]
	v_div_fixup_f64 v[138:139], v[136:137], v[134:135], 1.0
	v_mul_f64 v[140:141], v[140:141], -v[138:139]
.LBB65_61:
	s_or_b32 exec_lo, exec_lo, s1
	ds_write2_b64 v1, v[138:139], v[140:141] offset1:1
.LBB65_62:
	s_or_b32 exec_lo, exec_lo, s2
	s_waitcnt lgkmcnt(0)
	s_barrier
	buffer_gl0_inv
	ds_read2_b64 v[221:224], v1 offset1:1
	s_mov_b32 s1, exec_lo
	v_cmpx_lt_u32_e32 6, v0
	s_cbranch_execz .LBB65_64
; %bb.63:
	s_waitcnt lgkmcnt(0)
	v_mul_f64 v[134:135], v[223:224], v[108:109]
	v_mul_f64 v[108:109], v[221:222], v[108:109]
	ds_read2_b64 v[136:139], v148 offset0:14 offset1:15
	v_fma_f64 v[134:135], v[221:222], v[106:107], -v[134:135]
	v_fma_f64 v[108:109], v[223:224], v[106:107], v[108:109]
	s_waitcnt lgkmcnt(0)
	v_mul_f64 v[106:107], v[138:139], v[108:109]
	v_fma_f64 v[106:107], v[136:137], v[134:135], -v[106:107]
	v_mul_f64 v[136:137], v[136:137], v[108:109]
	v_add_f64 v[102:103], v[102:103], -v[106:107]
	v_fma_f64 v[136:137], v[138:139], v[134:135], v[136:137]
	v_add_f64 v[104:105], v[104:105], -v[136:137]
	ds_read2_b64 v[136:139], v148 offset0:16 offset1:17
	s_waitcnt lgkmcnt(0)
	v_mul_f64 v[106:107], v[138:139], v[108:109]
	v_fma_f64 v[106:107], v[136:137], v[134:135], -v[106:107]
	v_mul_f64 v[136:137], v[136:137], v[108:109]
	v_add_f64 v[98:99], v[98:99], -v[106:107]
	v_fma_f64 v[136:137], v[138:139], v[134:135], v[136:137]
	v_add_f64 v[100:101], v[100:101], -v[136:137]
	ds_read2_b64 v[136:139], v148 offset0:18 offset1:19
	;; [unrolled: 8-line block ×25, first 2 shown]
	s_waitcnt lgkmcnt(0)
	v_mul_f64 v[106:107], v[138:139], v[108:109]
	v_fma_f64 v[106:107], v[136:137], v[134:135], -v[106:107]
	v_mul_f64 v[136:137], v[136:137], v[108:109]
	v_add_f64 v[2:3], v[2:3], -v[106:107]
	v_fma_f64 v[136:137], v[138:139], v[134:135], v[136:137]
	v_mov_b32_e32 v106, v134
	v_mov_b32_e32 v107, v135
	v_add_f64 v[4:5], v[4:5], -v[136:137]
.LBB65_64:
	s_or_b32 exec_lo, exec_lo, s1
	s_mov_b32 s2, exec_lo
	s_waitcnt lgkmcnt(0)
	s_barrier
	buffer_gl0_inv
	v_cmpx_eq_u32_e32 7, v0
	s_cbranch_execz .LBB65_71
; %bb.65:
	ds_write2_b64 v1, v[102:103], v[104:105] offset1:1
	ds_write2_b64 v148, v[98:99], v[100:101] offset0:16 offset1:17
	ds_write2_b64 v148, v[94:95], v[96:97] offset0:18 offset1:19
	;; [unrolled: 1-line block ×25, first 2 shown]
	ds_read2_b64 v[134:137], v1 offset1:1
	s_waitcnt lgkmcnt(0)
	v_cmp_neq_f64_e32 vcc_lo, 0, v[134:135]
	v_cmp_neq_f64_e64 s1, 0, v[136:137]
	s_or_b32 s1, vcc_lo, s1
	s_and_b32 exec_lo, exec_lo, s1
	s_cbranch_execz .LBB65_71
; %bb.66:
	v_cmp_ngt_f64_e64 s1, |v[134:135]|, |v[136:137]|
                                        ; implicit-def: $vgpr138_vgpr139
	s_and_saveexec_b32 s3, s1
	s_xor_b32 s1, exec_lo, s3
                                        ; implicit-def: $vgpr140_vgpr141
	s_cbranch_execz .LBB65_68
; %bb.67:
	v_div_scale_f64 v[138:139], null, v[136:137], v[136:137], v[134:135]
	v_div_scale_f64 v[144:145], vcc_lo, v[134:135], v[136:137], v[134:135]
	v_rcp_f64_e32 v[140:141], v[138:139]
	v_fma_f64 v[142:143], -v[138:139], v[140:141], 1.0
	v_fma_f64 v[140:141], v[140:141], v[142:143], v[140:141]
	v_fma_f64 v[142:143], -v[138:139], v[140:141], 1.0
	v_fma_f64 v[140:141], v[140:141], v[142:143], v[140:141]
	v_mul_f64 v[142:143], v[144:145], v[140:141]
	v_fma_f64 v[138:139], -v[138:139], v[142:143], v[144:145]
	v_div_fmas_f64 v[138:139], v[138:139], v[140:141], v[142:143]
	v_div_fixup_f64 v[138:139], v[138:139], v[136:137], v[134:135]
	v_fma_f64 v[134:135], v[134:135], v[138:139], v[136:137]
	v_div_scale_f64 v[136:137], null, v[134:135], v[134:135], 1.0
	v_rcp_f64_e32 v[140:141], v[136:137]
	v_fma_f64 v[142:143], -v[136:137], v[140:141], 1.0
	v_fma_f64 v[140:141], v[140:141], v[142:143], v[140:141]
	v_fma_f64 v[142:143], -v[136:137], v[140:141], 1.0
	v_fma_f64 v[140:141], v[140:141], v[142:143], v[140:141]
	v_div_scale_f64 v[142:143], vcc_lo, 1.0, v[134:135], 1.0
	v_mul_f64 v[144:145], v[142:143], v[140:141]
	v_fma_f64 v[136:137], -v[136:137], v[144:145], v[142:143]
	v_div_fmas_f64 v[136:137], v[136:137], v[140:141], v[144:145]
	v_div_fixup_f64 v[140:141], v[136:137], v[134:135], 1.0
                                        ; implicit-def: $vgpr134_vgpr135
	v_mul_f64 v[138:139], v[138:139], v[140:141]
	v_xor_b32_e32 v141, 0x80000000, v141
.LBB65_68:
	s_andn2_saveexec_b32 s1, s1
	s_cbranch_execz .LBB65_70
; %bb.69:
	v_div_scale_f64 v[138:139], null, v[134:135], v[134:135], v[136:137]
	v_div_scale_f64 v[144:145], vcc_lo, v[136:137], v[134:135], v[136:137]
	v_rcp_f64_e32 v[140:141], v[138:139]
	v_fma_f64 v[142:143], -v[138:139], v[140:141], 1.0
	v_fma_f64 v[140:141], v[140:141], v[142:143], v[140:141]
	v_fma_f64 v[142:143], -v[138:139], v[140:141], 1.0
	v_fma_f64 v[140:141], v[140:141], v[142:143], v[140:141]
	v_mul_f64 v[142:143], v[144:145], v[140:141]
	v_fma_f64 v[138:139], -v[138:139], v[142:143], v[144:145]
	v_div_fmas_f64 v[138:139], v[138:139], v[140:141], v[142:143]
	v_div_fixup_f64 v[140:141], v[138:139], v[134:135], v[136:137]
	v_fma_f64 v[134:135], v[136:137], v[140:141], v[134:135]
	v_div_scale_f64 v[136:137], null, v[134:135], v[134:135], 1.0
	v_rcp_f64_e32 v[138:139], v[136:137]
	v_fma_f64 v[142:143], -v[136:137], v[138:139], 1.0
	v_fma_f64 v[138:139], v[138:139], v[142:143], v[138:139]
	v_fma_f64 v[142:143], -v[136:137], v[138:139], 1.0
	v_fma_f64 v[138:139], v[138:139], v[142:143], v[138:139]
	v_div_scale_f64 v[142:143], vcc_lo, 1.0, v[134:135], 1.0
	v_mul_f64 v[144:145], v[142:143], v[138:139]
	v_fma_f64 v[136:137], -v[136:137], v[144:145], v[142:143]
	v_div_fmas_f64 v[136:137], v[136:137], v[138:139], v[144:145]
	v_div_fixup_f64 v[138:139], v[136:137], v[134:135], 1.0
	v_mul_f64 v[140:141], v[140:141], -v[138:139]
.LBB65_70:
	s_or_b32 exec_lo, exec_lo, s1
	ds_write2_b64 v1, v[138:139], v[140:141] offset1:1
.LBB65_71:
	s_or_b32 exec_lo, exec_lo, s2
	s_waitcnt lgkmcnt(0)
	s_barrier
	buffer_gl0_inv
	ds_read2_b64 v[225:228], v1 offset1:1
	s_mov_b32 s1, exec_lo
	v_cmpx_lt_u32_e32 7, v0
	s_cbranch_execz .LBB65_73
; %bb.72:
	s_waitcnt lgkmcnt(0)
	v_mul_f64 v[134:135], v[227:228], v[104:105]
	v_mul_f64 v[104:105], v[225:226], v[104:105]
	ds_read2_b64 v[136:139], v148 offset0:16 offset1:17
	v_fma_f64 v[134:135], v[225:226], v[102:103], -v[134:135]
	v_fma_f64 v[104:105], v[227:228], v[102:103], v[104:105]
	s_waitcnt lgkmcnt(0)
	v_mul_f64 v[102:103], v[138:139], v[104:105]
	v_fma_f64 v[102:103], v[136:137], v[134:135], -v[102:103]
	v_mul_f64 v[136:137], v[136:137], v[104:105]
	v_add_f64 v[98:99], v[98:99], -v[102:103]
	v_fma_f64 v[136:137], v[138:139], v[134:135], v[136:137]
	v_add_f64 v[100:101], v[100:101], -v[136:137]
	ds_read2_b64 v[136:139], v148 offset0:18 offset1:19
	s_waitcnt lgkmcnt(0)
	v_mul_f64 v[102:103], v[138:139], v[104:105]
	v_fma_f64 v[102:103], v[136:137], v[134:135], -v[102:103]
	v_mul_f64 v[136:137], v[136:137], v[104:105]
	v_add_f64 v[94:95], v[94:95], -v[102:103]
	v_fma_f64 v[136:137], v[138:139], v[134:135], v[136:137]
	v_add_f64 v[96:97], v[96:97], -v[136:137]
	ds_read2_b64 v[136:139], v148 offset0:20 offset1:21
	;; [unrolled: 8-line block ×24, first 2 shown]
	s_waitcnt lgkmcnt(0)
	v_mul_f64 v[102:103], v[138:139], v[104:105]
	v_fma_f64 v[102:103], v[136:137], v[134:135], -v[102:103]
	v_mul_f64 v[136:137], v[136:137], v[104:105]
	v_add_f64 v[2:3], v[2:3], -v[102:103]
	v_fma_f64 v[136:137], v[138:139], v[134:135], v[136:137]
	v_mov_b32_e32 v102, v134
	v_mov_b32_e32 v103, v135
	v_add_f64 v[4:5], v[4:5], -v[136:137]
.LBB65_73:
	s_or_b32 exec_lo, exec_lo, s1
	s_mov_b32 s2, exec_lo
	s_waitcnt lgkmcnt(0)
	s_barrier
	buffer_gl0_inv
	v_cmpx_eq_u32_e32 8, v0
	s_cbranch_execz .LBB65_80
; %bb.74:
	ds_write2_b64 v1, v[98:99], v[100:101] offset1:1
	ds_write2_b64 v148, v[94:95], v[96:97] offset0:18 offset1:19
	ds_write2_b64 v148, v[90:91], v[92:93] offset0:20 offset1:21
	;; [unrolled: 1-line block ×24, first 2 shown]
	ds_read2_b64 v[134:137], v1 offset1:1
	s_waitcnt lgkmcnt(0)
	v_cmp_neq_f64_e32 vcc_lo, 0, v[134:135]
	v_cmp_neq_f64_e64 s1, 0, v[136:137]
	s_or_b32 s1, vcc_lo, s1
	s_and_b32 exec_lo, exec_lo, s1
	s_cbranch_execz .LBB65_80
; %bb.75:
	v_cmp_ngt_f64_e64 s1, |v[134:135]|, |v[136:137]|
                                        ; implicit-def: $vgpr138_vgpr139
	s_and_saveexec_b32 s3, s1
	s_xor_b32 s1, exec_lo, s3
                                        ; implicit-def: $vgpr140_vgpr141
	s_cbranch_execz .LBB65_77
; %bb.76:
	v_div_scale_f64 v[138:139], null, v[136:137], v[136:137], v[134:135]
	v_div_scale_f64 v[144:145], vcc_lo, v[134:135], v[136:137], v[134:135]
	v_rcp_f64_e32 v[140:141], v[138:139]
	v_fma_f64 v[142:143], -v[138:139], v[140:141], 1.0
	v_fma_f64 v[140:141], v[140:141], v[142:143], v[140:141]
	v_fma_f64 v[142:143], -v[138:139], v[140:141], 1.0
	v_fma_f64 v[140:141], v[140:141], v[142:143], v[140:141]
	v_mul_f64 v[142:143], v[144:145], v[140:141]
	v_fma_f64 v[138:139], -v[138:139], v[142:143], v[144:145]
	v_div_fmas_f64 v[138:139], v[138:139], v[140:141], v[142:143]
	v_div_fixup_f64 v[138:139], v[138:139], v[136:137], v[134:135]
	v_fma_f64 v[134:135], v[134:135], v[138:139], v[136:137]
	v_div_scale_f64 v[136:137], null, v[134:135], v[134:135], 1.0
	v_rcp_f64_e32 v[140:141], v[136:137]
	v_fma_f64 v[142:143], -v[136:137], v[140:141], 1.0
	v_fma_f64 v[140:141], v[140:141], v[142:143], v[140:141]
	v_fma_f64 v[142:143], -v[136:137], v[140:141], 1.0
	v_fma_f64 v[140:141], v[140:141], v[142:143], v[140:141]
	v_div_scale_f64 v[142:143], vcc_lo, 1.0, v[134:135], 1.0
	v_mul_f64 v[144:145], v[142:143], v[140:141]
	v_fma_f64 v[136:137], -v[136:137], v[144:145], v[142:143]
	v_div_fmas_f64 v[136:137], v[136:137], v[140:141], v[144:145]
	v_div_fixup_f64 v[140:141], v[136:137], v[134:135], 1.0
                                        ; implicit-def: $vgpr134_vgpr135
	v_mul_f64 v[138:139], v[138:139], v[140:141]
	v_xor_b32_e32 v141, 0x80000000, v141
.LBB65_77:
	s_andn2_saveexec_b32 s1, s1
	s_cbranch_execz .LBB65_79
; %bb.78:
	v_div_scale_f64 v[138:139], null, v[134:135], v[134:135], v[136:137]
	v_div_scale_f64 v[144:145], vcc_lo, v[136:137], v[134:135], v[136:137]
	v_rcp_f64_e32 v[140:141], v[138:139]
	v_fma_f64 v[142:143], -v[138:139], v[140:141], 1.0
	v_fma_f64 v[140:141], v[140:141], v[142:143], v[140:141]
	v_fma_f64 v[142:143], -v[138:139], v[140:141], 1.0
	v_fma_f64 v[140:141], v[140:141], v[142:143], v[140:141]
	v_mul_f64 v[142:143], v[144:145], v[140:141]
	v_fma_f64 v[138:139], -v[138:139], v[142:143], v[144:145]
	v_div_fmas_f64 v[138:139], v[138:139], v[140:141], v[142:143]
	v_div_fixup_f64 v[140:141], v[138:139], v[134:135], v[136:137]
	v_fma_f64 v[134:135], v[136:137], v[140:141], v[134:135]
	v_div_scale_f64 v[136:137], null, v[134:135], v[134:135], 1.0
	v_rcp_f64_e32 v[138:139], v[136:137]
	v_fma_f64 v[142:143], -v[136:137], v[138:139], 1.0
	v_fma_f64 v[138:139], v[138:139], v[142:143], v[138:139]
	v_fma_f64 v[142:143], -v[136:137], v[138:139], 1.0
	v_fma_f64 v[138:139], v[138:139], v[142:143], v[138:139]
	v_div_scale_f64 v[142:143], vcc_lo, 1.0, v[134:135], 1.0
	v_mul_f64 v[144:145], v[142:143], v[138:139]
	v_fma_f64 v[136:137], -v[136:137], v[144:145], v[142:143]
	v_div_fmas_f64 v[136:137], v[136:137], v[138:139], v[144:145]
	v_div_fixup_f64 v[138:139], v[136:137], v[134:135], 1.0
	v_mul_f64 v[140:141], v[140:141], -v[138:139]
.LBB65_79:
	s_or_b32 exec_lo, exec_lo, s1
	ds_write2_b64 v1, v[138:139], v[140:141] offset1:1
.LBB65_80:
	s_or_b32 exec_lo, exec_lo, s2
	s_waitcnt lgkmcnt(0)
	s_barrier
	buffer_gl0_inv
	ds_read2_b64 v[236:239], v1 offset1:1
	s_mov_b32 s1, exec_lo
	v_cmpx_lt_u32_e32 8, v0
	s_cbranch_execz .LBB65_82
; %bb.81:
	s_waitcnt lgkmcnt(0)
	v_mul_f64 v[134:135], v[238:239], v[100:101]
	v_mul_f64 v[100:101], v[236:237], v[100:101]
	ds_read2_b64 v[136:139], v148 offset0:18 offset1:19
	v_fma_f64 v[134:135], v[236:237], v[98:99], -v[134:135]
	v_fma_f64 v[100:101], v[238:239], v[98:99], v[100:101]
	s_waitcnt lgkmcnt(0)
	v_mul_f64 v[98:99], v[138:139], v[100:101]
	v_fma_f64 v[98:99], v[136:137], v[134:135], -v[98:99]
	v_mul_f64 v[136:137], v[136:137], v[100:101]
	v_add_f64 v[94:95], v[94:95], -v[98:99]
	v_fma_f64 v[136:137], v[138:139], v[134:135], v[136:137]
	v_add_f64 v[96:97], v[96:97], -v[136:137]
	ds_read2_b64 v[136:139], v148 offset0:20 offset1:21
	s_waitcnt lgkmcnt(0)
	v_mul_f64 v[98:99], v[138:139], v[100:101]
	v_fma_f64 v[98:99], v[136:137], v[134:135], -v[98:99]
	v_mul_f64 v[136:137], v[136:137], v[100:101]
	v_add_f64 v[90:91], v[90:91], -v[98:99]
	v_fma_f64 v[136:137], v[138:139], v[134:135], v[136:137]
	v_add_f64 v[92:93], v[92:93], -v[136:137]
	ds_read2_b64 v[136:139], v148 offset0:22 offset1:23
	;; [unrolled: 8-line block ×23, first 2 shown]
	s_waitcnt lgkmcnt(0)
	v_mul_f64 v[98:99], v[138:139], v[100:101]
	v_fma_f64 v[98:99], v[136:137], v[134:135], -v[98:99]
	v_mul_f64 v[136:137], v[136:137], v[100:101]
	v_add_f64 v[2:3], v[2:3], -v[98:99]
	v_fma_f64 v[136:137], v[138:139], v[134:135], v[136:137]
	v_mov_b32_e32 v98, v134
	v_mov_b32_e32 v99, v135
	v_add_f64 v[4:5], v[4:5], -v[136:137]
.LBB65_82:
	s_or_b32 exec_lo, exec_lo, s1
	s_mov_b32 s2, exec_lo
	s_waitcnt lgkmcnt(0)
	s_barrier
	buffer_gl0_inv
	v_cmpx_eq_u32_e32 9, v0
	s_cbranch_execz .LBB65_89
; %bb.83:
	ds_write2_b64 v1, v[94:95], v[96:97] offset1:1
	ds_write2_b64 v148, v[90:91], v[92:93] offset0:20 offset1:21
	ds_write2_b64 v148, v[86:87], v[88:89] offset0:22 offset1:23
	;; [unrolled: 1-line block ×23, first 2 shown]
	ds_read2_b64 v[134:137], v1 offset1:1
	s_waitcnt lgkmcnt(0)
	v_cmp_neq_f64_e32 vcc_lo, 0, v[134:135]
	v_cmp_neq_f64_e64 s1, 0, v[136:137]
	s_or_b32 s1, vcc_lo, s1
	s_and_b32 exec_lo, exec_lo, s1
	s_cbranch_execz .LBB65_89
; %bb.84:
	v_cmp_ngt_f64_e64 s1, |v[134:135]|, |v[136:137]|
                                        ; implicit-def: $vgpr138_vgpr139
	s_and_saveexec_b32 s3, s1
	s_xor_b32 s1, exec_lo, s3
                                        ; implicit-def: $vgpr140_vgpr141
	s_cbranch_execz .LBB65_86
; %bb.85:
	v_div_scale_f64 v[138:139], null, v[136:137], v[136:137], v[134:135]
	v_div_scale_f64 v[144:145], vcc_lo, v[134:135], v[136:137], v[134:135]
	v_rcp_f64_e32 v[140:141], v[138:139]
	v_fma_f64 v[142:143], -v[138:139], v[140:141], 1.0
	v_fma_f64 v[140:141], v[140:141], v[142:143], v[140:141]
	v_fma_f64 v[142:143], -v[138:139], v[140:141], 1.0
	v_fma_f64 v[140:141], v[140:141], v[142:143], v[140:141]
	v_mul_f64 v[142:143], v[144:145], v[140:141]
	v_fma_f64 v[138:139], -v[138:139], v[142:143], v[144:145]
	v_div_fmas_f64 v[138:139], v[138:139], v[140:141], v[142:143]
	v_div_fixup_f64 v[138:139], v[138:139], v[136:137], v[134:135]
	v_fma_f64 v[134:135], v[134:135], v[138:139], v[136:137]
	v_div_scale_f64 v[136:137], null, v[134:135], v[134:135], 1.0
	v_rcp_f64_e32 v[140:141], v[136:137]
	v_fma_f64 v[142:143], -v[136:137], v[140:141], 1.0
	v_fma_f64 v[140:141], v[140:141], v[142:143], v[140:141]
	v_fma_f64 v[142:143], -v[136:137], v[140:141], 1.0
	v_fma_f64 v[140:141], v[140:141], v[142:143], v[140:141]
	v_div_scale_f64 v[142:143], vcc_lo, 1.0, v[134:135], 1.0
	v_mul_f64 v[144:145], v[142:143], v[140:141]
	v_fma_f64 v[136:137], -v[136:137], v[144:145], v[142:143]
	v_div_fmas_f64 v[136:137], v[136:137], v[140:141], v[144:145]
	v_div_fixup_f64 v[140:141], v[136:137], v[134:135], 1.0
                                        ; implicit-def: $vgpr134_vgpr135
	v_mul_f64 v[138:139], v[138:139], v[140:141]
	v_xor_b32_e32 v141, 0x80000000, v141
.LBB65_86:
	s_andn2_saveexec_b32 s1, s1
	s_cbranch_execz .LBB65_88
; %bb.87:
	v_div_scale_f64 v[138:139], null, v[134:135], v[134:135], v[136:137]
	v_div_scale_f64 v[144:145], vcc_lo, v[136:137], v[134:135], v[136:137]
	v_rcp_f64_e32 v[140:141], v[138:139]
	v_fma_f64 v[142:143], -v[138:139], v[140:141], 1.0
	v_fma_f64 v[140:141], v[140:141], v[142:143], v[140:141]
	v_fma_f64 v[142:143], -v[138:139], v[140:141], 1.0
	v_fma_f64 v[140:141], v[140:141], v[142:143], v[140:141]
	v_mul_f64 v[142:143], v[144:145], v[140:141]
	v_fma_f64 v[138:139], -v[138:139], v[142:143], v[144:145]
	v_div_fmas_f64 v[138:139], v[138:139], v[140:141], v[142:143]
	v_div_fixup_f64 v[140:141], v[138:139], v[134:135], v[136:137]
	v_fma_f64 v[134:135], v[136:137], v[140:141], v[134:135]
	v_div_scale_f64 v[136:137], null, v[134:135], v[134:135], 1.0
	v_rcp_f64_e32 v[138:139], v[136:137]
	v_fma_f64 v[142:143], -v[136:137], v[138:139], 1.0
	v_fma_f64 v[138:139], v[138:139], v[142:143], v[138:139]
	v_fma_f64 v[142:143], -v[136:137], v[138:139], 1.0
	v_fma_f64 v[138:139], v[138:139], v[142:143], v[138:139]
	v_div_scale_f64 v[142:143], vcc_lo, 1.0, v[134:135], 1.0
	v_mul_f64 v[144:145], v[142:143], v[138:139]
	v_fma_f64 v[136:137], -v[136:137], v[144:145], v[142:143]
	v_div_fmas_f64 v[136:137], v[136:137], v[138:139], v[144:145]
	v_div_fixup_f64 v[138:139], v[136:137], v[134:135], 1.0
	v_mul_f64 v[140:141], v[140:141], -v[138:139]
.LBB65_88:
	s_or_b32 exec_lo, exec_lo, s1
	ds_write2_b64 v1, v[138:139], v[140:141] offset1:1
.LBB65_89:
	s_or_b32 exec_lo, exec_lo, s2
	s_waitcnt lgkmcnt(0)
	s_barrier
	buffer_gl0_inv
	ds_read2_b64 v[240:243], v1 offset1:1
	s_mov_b32 s1, exec_lo
	v_cmpx_lt_u32_e32 9, v0
	s_cbranch_execz .LBB65_91
; %bb.90:
	s_waitcnt lgkmcnt(0)
	v_mul_f64 v[134:135], v[242:243], v[96:97]
	v_mul_f64 v[96:97], v[240:241], v[96:97]
	ds_read2_b64 v[136:139], v148 offset0:20 offset1:21
	v_fma_f64 v[134:135], v[240:241], v[94:95], -v[134:135]
	v_fma_f64 v[96:97], v[242:243], v[94:95], v[96:97]
	s_waitcnt lgkmcnt(0)
	v_mul_f64 v[94:95], v[138:139], v[96:97]
	v_fma_f64 v[94:95], v[136:137], v[134:135], -v[94:95]
	v_mul_f64 v[136:137], v[136:137], v[96:97]
	v_add_f64 v[90:91], v[90:91], -v[94:95]
	v_fma_f64 v[136:137], v[138:139], v[134:135], v[136:137]
	v_add_f64 v[92:93], v[92:93], -v[136:137]
	ds_read2_b64 v[136:139], v148 offset0:22 offset1:23
	s_waitcnt lgkmcnt(0)
	v_mul_f64 v[94:95], v[138:139], v[96:97]
	v_fma_f64 v[94:95], v[136:137], v[134:135], -v[94:95]
	v_mul_f64 v[136:137], v[136:137], v[96:97]
	v_add_f64 v[86:87], v[86:87], -v[94:95]
	v_fma_f64 v[136:137], v[138:139], v[134:135], v[136:137]
	v_add_f64 v[88:89], v[88:89], -v[136:137]
	ds_read2_b64 v[136:139], v148 offset0:24 offset1:25
	;; [unrolled: 8-line block ×22, first 2 shown]
	s_waitcnt lgkmcnt(0)
	v_mul_f64 v[94:95], v[138:139], v[96:97]
	v_fma_f64 v[94:95], v[136:137], v[134:135], -v[94:95]
	v_mul_f64 v[136:137], v[136:137], v[96:97]
	v_add_f64 v[2:3], v[2:3], -v[94:95]
	v_fma_f64 v[136:137], v[138:139], v[134:135], v[136:137]
	v_mov_b32_e32 v94, v134
	v_mov_b32_e32 v95, v135
	v_add_f64 v[4:5], v[4:5], -v[136:137]
.LBB65_91:
	s_or_b32 exec_lo, exec_lo, s1
	s_mov_b32 s2, exec_lo
	s_waitcnt lgkmcnt(0)
	s_barrier
	buffer_gl0_inv
	v_cmpx_eq_u32_e32 10, v0
	s_cbranch_execz .LBB65_98
; %bb.92:
	ds_write2_b64 v1, v[90:91], v[92:93] offset1:1
	ds_write2_b64 v148, v[86:87], v[88:89] offset0:22 offset1:23
	ds_write2_b64 v148, v[82:83], v[84:85] offset0:24 offset1:25
	;; [unrolled: 1-line block ×22, first 2 shown]
	ds_read2_b64 v[134:137], v1 offset1:1
	s_waitcnt lgkmcnt(0)
	v_cmp_neq_f64_e32 vcc_lo, 0, v[134:135]
	v_cmp_neq_f64_e64 s1, 0, v[136:137]
	s_or_b32 s1, vcc_lo, s1
	s_and_b32 exec_lo, exec_lo, s1
	s_cbranch_execz .LBB65_98
; %bb.93:
	v_cmp_ngt_f64_e64 s1, |v[134:135]|, |v[136:137]|
                                        ; implicit-def: $vgpr138_vgpr139
	s_and_saveexec_b32 s3, s1
	s_xor_b32 s1, exec_lo, s3
                                        ; implicit-def: $vgpr140_vgpr141
	s_cbranch_execz .LBB65_95
; %bb.94:
	v_div_scale_f64 v[138:139], null, v[136:137], v[136:137], v[134:135]
	v_div_scale_f64 v[144:145], vcc_lo, v[134:135], v[136:137], v[134:135]
	v_rcp_f64_e32 v[140:141], v[138:139]
	v_fma_f64 v[142:143], -v[138:139], v[140:141], 1.0
	v_fma_f64 v[140:141], v[140:141], v[142:143], v[140:141]
	v_fma_f64 v[142:143], -v[138:139], v[140:141], 1.0
	v_fma_f64 v[140:141], v[140:141], v[142:143], v[140:141]
	v_mul_f64 v[142:143], v[144:145], v[140:141]
	v_fma_f64 v[138:139], -v[138:139], v[142:143], v[144:145]
	v_div_fmas_f64 v[138:139], v[138:139], v[140:141], v[142:143]
	v_div_fixup_f64 v[138:139], v[138:139], v[136:137], v[134:135]
	v_fma_f64 v[134:135], v[134:135], v[138:139], v[136:137]
	v_div_scale_f64 v[136:137], null, v[134:135], v[134:135], 1.0
	v_rcp_f64_e32 v[140:141], v[136:137]
	v_fma_f64 v[142:143], -v[136:137], v[140:141], 1.0
	v_fma_f64 v[140:141], v[140:141], v[142:143], v[140:141]
	v_fma_f64 v[142:143], -v[136:137], v[140:141], 1.0
	v_fma_f64 v[140:141], v[140:141], v[142:143], v[140:141]
	v_div_scale_f64 v[142:143], vcc_lo, 1.0, v[134:135], 1.0
	v_mul_f64 v[144:145], v[142:143], v[140:141]
	v_fma_f64 v[136:137], -v[136:137], v[144:145], v[142:143]
	v_div_fmas_f64 v[136:137], v[136:137], v[140:141], v[144:145]
	v_div_fixup_f64 v[140:141], v[136:137], v[134:135], 1.0
                                        ; implicit-def: $vgpr134_vgpr135
	v_mul_f64 v[138:139], v[138:139], v[140:141]
	v_xor_b32_e32 v141, 0x80000000, v141
.LBB65_95:
	s_andn2_saveexec_b32 s1, s1
	s_cbranch_execz .LBB65_97
; %bb.96:
	v_div_scale_f64 v[138:139], null, v[134:135], v[134:135], v[136:137]
	v_div_scale_f64 v[144:145], vcc_lo, v[136:137], v[134:135], v[136:137]
	v_rcp_f64_e32 v[140:141], v[138:139]
	v_fma_f64 v[142:143], -v[138:139], v[140:141], 1.0
	v_fma_f64 v[140:141], v[140:141], v[142:143], v[140:141]
	v_fma_f64 v[142:143], -v[138:139], v[140:141], 1.0
	v_fma_f64 v[140:141], v[140:141], v[142:143], v[140:141]
	v_mul_f64 v[142:143], v[144:145], v[140:141]
	v_fma_f64 v[138:139], -v[138:139], v[142:143], v[144:145]
	v_div_fmas_f64 v[138:139], v[138:139], v[140:141], v[142:143]
	v_div_fixup_f64 v[140:141], v[138:139], v[134:135], v[136:137]
	v_fma_f64 v[134:135], v[136:137], v[140:141], v[134:135]
	v_div_scale_f64 v[136:137], null, v[134:135], v[134:135], 1.0
	v_rcp_f64_e32 v[138:139], v[136:137]
	v_fma_f64 v[142:143], -v[136:137], v[138:139], 1.0
	v_fma_f64 v[138:139], v[138:139], v[142:143], v[138:139]
	v_fma_f64 v[142:143], -v[136:137], v[138:139], 1.0
	v_fma_f64 v[138:139], v[138:139], v[142:143], v[138:139]
	v_div_scale_f64 v[142:143], vcc_lo, 1.0, v[134:135], 1.0
	v_mul_f64 v[144:145], v[142:143], v[138:139]
	v_fma_f64 v[136:137], -v[136:137], v[144:145], v[142:143]
	v_div_fmas_f64 v[136:137], v[136:137], v[138:139], v[144:145]
	v_div_fixup_f64 v[138:139], v[136:137], v[134:135], 1.0
	v_mul_f64 v[140:141], v[140:141], -v[138:139]
.LBB65_97:
	s_or_b32 exec_lo, exec_lo, s1
	ds_write2_b64 v1, v[138:139], v[140:141] offset1:1
.LBB65_98:
	s_or_b32 exec_lo, exec_lo, s2
	s_waitcnt lgkmcnt(0)
	s_barrier
	buffer_gl0_inv
	ds_read2_b64 v[244:247], v1 offset1:1
	s_mov_b32 s1, exec_lo
	v_cmpx_lt_u32_e32 10, v0
	s_cbranch_execz .LBB65_100
; %bb.99:
	s_waitcnt lgkmcnt(0)
	v_mul_f64 v[134:135], v[246:247], v[92:93]
	v_mul_f64 v[92:93], v[244:245], v[92:93]
	ds_read2_b64 v[136:139], v148 offset0:22 offset1:23
	v_fma_f64 v[134:135], v[244:245], v[90:91], -v[134:135]
	v_fma_f64 v[92:93], v[246:247], v[90:91], v[92:93]
	s_waitcnt lgkmcnt(0)
	v_mul_f64 v[90:91], v[138:139], v[92:93]
	v_fma_f64 v[90:91], v[136:137], v[134:135], -v[90:91]
	v_mul_f64 v[136:137], v[136:137], v[92:93]
	v_add_f64 v[86:87], v[86:87], -v[90:91]
	v_fma_f64 v[136:137], v[138:139], v[134:135], v[136:137]
	v_add_f64 v[88:89], v[88:89], -v[136:137]
	ds_read2_b64 v[136:139], v148 offset0:24 offset1:25
	s_waitcnt lgkmcnt(0)
	v_mul_f64 v[90:91], v[138:139], v[92:93]
	v_fma_f64 v[90:91], v[136:137], v[134:135], -v[90:91]
	v_mul_f64 v[136:137], v[136:137], v[92:93]
	v_add_f64 v[82:83], v[82:83], -v[90:91]
	v_fma_f64 v[136:137], v[138:139], v[134:135], v[136:137]
	v_add_f64 v[84:85], v[84:85], -v[136:137]
	ds_read2_b64 v[136:139], v148 offset0:26 offset1:27
	;; [unrolled: 8-line block ×21, first 2 shown]
	s_waitcnt lgkmcnt(0)
	v_mul_f64 v[90:91], v[138:139], v[92:93]
	v_fma_f64 v[90:91], v[136:137], v[134:135], -v[90:91]
	v_mul_f64 v[136:137], v[136:137], v[92:93]
	v_add_f64 v[2:3], v[2:3], -v[90:91]
	v_fma_f64 v[136:137], v[138:139], v[134:135], v[136:137]
	v_mov_b32_e32 v90, v134
	v_mov_b32_e32 v91, v135
	v_add_f64 v[4:5], v[4:5], -v[136:137]
.LBB65_100:
	s_or_b32 exec_lo, exec_lo, s1
	s_mov_b32 s2, exec_lo
	s_waitcnt lgkmcnt(0)
	s_barrier
	buffer_gl0_inv
	v_cmpx_eq_u32_e32 11, v0
	s_cbranch_execz .LBB65_107
; %bb.101:
	ds_write2_b64 v1, v[86:87], v[88:89] offset1:1
	ds_write2_b64 v148, v[82:83], v[84:85] offset0:24 offset1:25
	ds_write2_b64 v148, v[78:79], v[80:81] offset0:26 offset1:27
	;; [unrolled: 1-line block ×21, first 2 shown]
	ds_read2_b64 v[134:137], v1 offset1:1
	s_waitcnt lgkmcnt(0)
	v_cmp_neq_f64_e32 vcc_lo, 0, v[134:135]
	v_cmp_neq_f64_e64 s1, 0, v[136:137]
	s_or_b32 s1, vcc_lo, s1
	s_and_b32 exec_lo, exec_lo, s1
	s_cbranch_execz .LBB65_107
; %bb.102:
	v_cmp_ngt_f64_e64 s1, |v[134:135]|, |v[136:137]|
                                        ; implicit-def: $vgpr138_vgpr139
	s_and_saveexec_b32 s3, s1
	s_xor_b32 s1, exec_lo, s3
                                        ; implicit-def: $vgpr140_vgpr141
	s_cbranch_execz .LBB65_104
; %bb.103:
	v_div_scale_f64 v[138:139], null, v[136:137], v[136:137], v[134:135]
	v_div_scale_f64 v[144:145], vcc_lo, v[134:135], v[136:137], v[134:135]
	v_rcp_f64_e32 v[140:141], v[138:139]
	v_fma_f64 v[142:143], -v[138:139], v[140:141], 1.0
	v_fma_f64 v[140:141], v[140:141], v[142:143], v[140:141]
	v_fma_f64 v[142:143], -v[138:139], v[140:141], 1.0
	v_fma_f64 v[140:141], v[140:141], v[142:143], v[140:141]
	v_mul_f64 v[142:143], v[144:145], v[140:141]
	v_fma_f64 v[138:139], -v[138:139], v[142:143], v[144:145]
	v_div_fmas_f64 v[138:139], v[138:139], v[140:141], v[142:143]
	v_div_fixup_f64 v[138:139], v[138:139], v[136:137], v[134:135]
	v_fma_f64 v[134:135], v[134:135], v[138:139], v[136:137]
	v_div_scale_f64 v[136:137], null, v[134:135], v[134:135], 1.0
	v_rcp_f64_e32 v[140:141], v[136:137]
	v_fma_f64 v[142:143], -v[136:137], v[140:141], 1.0
	v_fma_f64 v[140:141], v[140:141], v[142:143], v[140:141]
	v_fma_f64 v[142:143], -v[136:137], v[140:141], 1.0
	v_fma_f64 v[140:141], v[140:141], v[142:143], v[140:141]
	v_div_scale_f64 v[142:143], vcc_lo, 1.0, v[134:135], 1.0
	v_mul_f64 v[144:145], v[142:143], v[140:141]
	v_fma_f64 v[136:137], -v[136:137], v[144:145], v[142:143]
	v_div_fmas_f64 v[136:137], v[136:137], v[140:141], v[144:145]
	v_div_fixup_f64 v[140:141], v[136:137], v[134:135], 1.0
                                        ; implicit-def: $vgpr134_vgpr135
	v_mul_f64 v[138:139], v[138:139], v[140:141]
	v_xor_b32_e32 v141, 0x80000000, v141
.LBB65_104:
	s_andn2_saveexec_b32 s1, s1
	s_cbranch_execz .LBB65_106
; %bb.105:
	v_div_scale_f64 v[138:139], null, v[134:135], v[134:135], v[136:137]
	v_div_scale_f64 v[144:145], vcc_lo, v[136:137], v[134:135], v[136:137]
	v_rcp_f64_e32 v[140:141], v[138:139]
	v_fma_f64 v[142:143], -v[138:139], v[140:141], 1.0
	v_fma_f64 v[140:141], v[140:141], v[142:143], v[140:141]
	v_fma_f64 v[142:143], -v[138:139], v[140:141], 1.0
	v_fma_f64 v[140:141], v[140:141], v[142:143], v[140:141]
	v_mul_f64 v[142:143], v[144:145], v[140:141]
	v_fma_f64 v[138:139], -v[138:139], v[142:143], v[144:145]
	v_div_fmas_f64 v[138:139], v[138:139], v[140:141], v[142:143]
	v_div_fixup_f64 v[140:141], v[138:139], v[134:135], v[136:137]
	v_fma_f64 v[134:135], v[136:137], v[140:141], v[134:135]
	v_div_scale_f64 v[136:137], null, v[134:135], v[134:135], 1.0
	v_rcp_f64_e32 v[138:139], v[136:137]
	v_fma_f64 v[142:143], -v[136:137], v[138:139], 1.0
	v_fma_f64 v[138:139], v[138:139], v[142:143], v[138:139]
	v_fma_f64 v[142:143], -v[136:137], v[138:139], 1.0
	v_fma_f64 v[138:139], v[138:139], v[142:143], v[138:139]
	v_div_scale_f64 v[142:143], vcc_lo, 1.0, v[134:135], 1.0
	v_mul_f64 v[144:145], v[142:143], v[138:139]
	v_fma_f64 v[136:137], -v[136:137], v[144:145], v[142:143]
	v_div_fmas_f64 v[136:137], v[136:137], v[138:139], v[144:145]
	v_div_fixup_f64 v[138:139], v[136:137], v[134:135], 1.0
	v_mul_f64 v[140:141], v[140:141], -v[138:139]
.LBB65_106:
	s_or_b32 exec_lo, exec_lo, s1
	ds_write2_b64 v1, v[138:139], v[140:141] offset1:1
.LBB65_107:
	s_or_b32 exec_lo, exec_lo, s2
	s_waitcnt lgkmcnt(0)
	s_barrier
	buffer_gl0_inv
	ds_read2_b64 v[134:137], v1 offset1:1
	s_mov_b32 s1, exec_lo
	s_waitcnt lgkmcnt(0)
	buffer_store_dword v134, off, s[16:19], 0 offset:56 ; 4-byte Folded Spill
	buffer_store_dword v135, off, s[16:19], 0 offset:60 ; 4-byte Folded Spill
	;; [unrolled: 1-line block ×4, first 2 shown]
	v_cmpx_lt_u32_e32 11, v0
	s_cbranch_execz .LBB65_109
; %bb.108:
	s_clause 0x3
	buffer_load_dword v136, off, s[16:19], 0 offset:56
	buffer_load_dword v137, off, s[16:19], 0 offset:60
	;; [unrolled: 1-line block ×4, first 2 shown]
	s_waitcnt vmcnt(0)
	v_mul_f64 v[134:135], v[138:139], v[88:89]
	v_mul_f64 v[88:89], v[136:137], v[88:89]
	v_fma_f64 v[134:135], v[136:137], v[86:87], -v[134:135]
	v_fma_f64 v[88:89], v[138:139], v[86:87], v[88:89]
	ds_read2_b64 v[136:139], v148 offset0:24 offset1:25
	s_waitcnt lgkmcnt(0)
	v_mul_f64 v[86:87], v[138:139], v[88:89]
	v_fma_f64 v[86:87], v[136:137], v[134:135], -v[86:87]
	v_mul_f64 v[136:137], v[136:137], v[88:89]
	v_add_f64 v[82:83], v[82:83], -v[86:87]
	v_fma_f64 v[136:137], v[138:139], v[134:135], v[136:137]
	v_add_f64 v[84:85], v[84:85], -v[136:137]
	ds_read2_b64 v[136:139], v148 offset0:26 offset1:27
	s_waitcnt lgkmcnt(0)
	v_mul_f64 v[86:87], v[138:139], v[88:89]
	v_fma_f64 v[86:87], v[136:137], v[134:135], -v[86:87]
	v_mul_f64 v[136:137], v[136:137], v[88:89]
	v_add_f64 v[78:79], v[78:79], -v[86:87]
	v_fma_f64 v[136:137], v[138:139], v[134:135], v[136:137]
	v_add_f64 v[80:81], v[80:81], -v[136:137]
	;; [unrolled: 8-line block ×20, first 2 shown]
	ds_read2_b64 v[136:139], v148 offset0:64 offset1:65
	s_waitcnt lgkmcnt(0)
	v_mul_f64 v[86:87], v[138:139], v[88:89]
	v_fma_f64 v[86:87], v[136:137], v[134:135], -v[86:87]
	v_mul_f64 v[136:137], v[136:137], v[88:89]
	v_add_f64 v[2:3], v[2:3], -v[86:87]
	v_fma_f64 v[136:137], v[138:139], v[134:135], v[136:137]
	v_mov_b32_e32 v86, v134
	v_mov_b32_e32 v87, v135
	v_add_f64 v[4:5], v[4:5], -v[136:137]
.LBB65_109:
	s_or_b32 exec_lo, exec_lo, s1
	s_mov_b32 s2, exec_lo
	s_waitcnt_vscnt null, 0x0
	s_barrier
	buffer_gl0_inv
	v_cmpx_eq_u32_e32 12, v0
	s_cbranch_execz .LBB65_116
; %bb.110:
	ds_write2_b64 v1, v[82:83], v[84:85] offset1:1
	ds_write2_b64 v148, v[78:79], v[80:81] offset0:26 offset1:27
	ds_write2_b64 v148, v[74:75], v[76:77] offset0:28 offset1:29
	ds_write2_b64 v148, v[70:71], v[72:73] offset0:30 offset1:31
	ds_write2_b64 v148, v[66:67], v[68:69] offset0:32 offset1:33
	ds_write2_b64 v148, v[62:63], v[64:65] offset0:34 offset1:35
	ds_write2_b64 v148, v[58:59], v[60:61] offset0:36 offset1:37
	ds_write2_b64 v148, v[54:55], v[56:57] offset0:38 offset1:39
	ds_write2_b64 v148, v[50:51], v[52:53] offset0:40 offset1:41
	ds_write2_b64 v148, v[46:47], v[48:49] offset0:42 offset1:43
	ds_write2_b64 v148, v[42:43], v[44:45] offset0:44 offset1:45
	ds_write2_b64 v148, v[38:39], v[40:41] offset0:46 offset1:47
	ds_write2_b64 v148, v[34:35], v[36:37] offset0:48 offset1:49
	ds_write2_b64 v148, v[30:31], v[32:33] offset0:50 offset1:51
	ds_write2_b64 v148, v[26:27], v[28:29] offset0:52 offset1:53
	ds_write2_b64 v148, v[22:23], v[24:25] offset0:54 offset1:55
	ds_write2_b64 v148, v[18:19], v[20:21] offset0:56 offset1:57
	ds_write2_b64 v148, v[14:15], v[16:17] offset0:58 offset1:59
	ds_write2_b64 v148, v[10:11], v[12:13] offset0:60 offset1:61
	ds_write2_b64 v148, v[6:7], v[8:9] offset0:62 offset1:63
	ds_write2_b64 v148, v[2:3], v[4:5] offset0:64 offset1:65
	ds_read2_b64 v[134:137], v1 offset1:1
	s_waitcnt lgkmcnt(0)
	v_cmp_neq_f64_e32 vcc_lo, 0, v[134:135]
	v_cmp_neq_f64_e64 s1, 0, v[136:137]
	s_or_b32 s1, vcc_lo, s1
	s_and_b32 exec_lo, exec_lo, s1
	s_cbranch_execz .LBB65_116
; %bb.111:
	v_cmp_ngt_f64_e64 s1, |v[134:135]|, |v[136:137]|
                                        ; implicit-def: $vgpr138_vgpr139
	s_and_saveexec_b32 s3, s1
	s_xor_b32 s1, exec_lo, s3
                                        ; implicit-def: $vgpr140_vgpr141
	s_cbranch_execz .LBB65_113
; %bb.112:
	v_div_scale_f64 v[138:139], null, v[136:137], v[136:137], v[134:135]
	v_div_scale_f64 v[144:145], vcc_lo, v[134:135], v[136:137], v[134:135]
	v_rcp_f64_e32 v[140:141], v[138:139]
	v_fma_f64 v[142:143], -v[138:139], v[140:141], 1.0
	v_fma_f64 v[140:141], v[140:141], v[142:143], v[140:141]
	v_fma_f64 v[142:143], -v[138:139], v[140:141], 1.0
	v_fma_f64 v[140:141], v[140:141], v[142:143], v[140:141]
	v_mul_f64 v[142:143], v[144:145], v[140:141]
	v_fma_f64 v[138:139], -v[138:139], v[142:143], v[144:145]
	v_div_fmas_f64 v[138:139], v[138:139], v[140:141], v[142:143]
	v_div_fixup_f64 v[138:139], v[138:139], v[136:137], v[134:135]
	v_fma_f64 v[134:135], v[134:135], v[138:139], v[136:137]
	v_div_scale_f64 v[136:137], null, v[134:135], v[134:135], 1.0
	v_rcp_f64_e32 v[140:141], v[136:137]
	v_fma_f64 v[142:143], -v[136:137], v[140:141], 1.0
	v_fma_f64 v[140:141], v[140:141], v[142:143], v[140:141]
	v_fma_f64 v[142:143], -v[136:137], v[140:141], 1.0
	v_fma_f64 v[140:141], v[140:141], v[142:143], v[140:141]
	v_div_scale_f64 v[142:143], vcc_lo, 1.0, v[134:135], 1.0
	v_mul_f64 v[144:145], v[142:143], v[140:141]
	v_fma_f64 v[136:137], -v[136:137], v[144:145], v[142:143]
	v_div_fmas_f64 v[136:137], v[136:137], v[140:141], v[144:145]
	v_div_fixup_f64 v[140:141], v[136:137], v[134:135], 1.0
                                        ; implicit-def: $vgpr134_vgpr135
	v_mul_f64 v[138:139], v[138:139], v[140:141]
	v_xor_b32_e32 v141, 0x80000000, v141
.LBB65_113:
	s_andn2_saveexec_b32 s1, s1
	s_cbranch_execz .LBB65_115
; %bb.114:
	v_div_scale_f64 v[138:139], null, v[134:135], v[134:135], v[136:137]
	v_div_scale_f64 v[144:145], vcc_lo, v[136:137], v[134:135], v[136:137]
	v_rcp_f64_e32 v[140:141], v[138:139]
	v_fma_f64 v[142:143], -v[138:139], v[140:141], 1.0
	v_fma_f64 v[140:141], v[140:141], v[142:143], v[140:141]
	v_fma_f64 v[142:143], -v[138:139], v[140:141], 1.0
	v_fma_f64 v[140:141], v[140:141], v[142:143], v[140:141]
	v_mul_f64 v[142:143], v[144:145], v[140:141]
	v_fma_f64 v[138:139], -v[138:139], v[142:143], v[144:145]
	v_div_fmas_f64 v[138:139], v[138:139], v[140:141], v[142:143]
	v_div_fixup_f64 v[140:141], v[138:139], v[134:135], v[136:137]
	v_fma_f64 v[134:135], v[136:137], v[140:141], v[134:135]
	v_div_scale_f64 v[136:137], null, v[134:135], v[134:135], 1.0
	v_rcp_f64_e32 v[138:139], v[136:137]
	v_fma_f64 v[142:143], -v[136:137], v[138:139], 1.0
	v_fma_f64 v[138:139], v[138:139], v[142:143], v[138:139]
	v_fma_f64 v[142:143], -v[136:137], v[138:139], 1.0
	v_fma_f64 v[138:139], v[138:139], v[142:143], v[138:139]
	v_div_scale_f64 v[142:143], vcc_lo, 1.0, v[134:135], 1.0
	v_mul_f64 v[144:145], v[142:143], v[138:139]
	v_fma_f64 v[136:137], -v[136:137], v[144:145], v[142:143]
	v_div_fmas_f64 v[136:137], v[136:137], v[138:139], v[144:145]
	v_div_fixup_f64 v[138:139], v[136:137], v[134:135], 1.0
	v_mul_f64 v[140:141], v[140:141], -v[138:139]
.LBB65_115:
	s_or_b32 exec_lo, exec_lo, s1
	ds_write2_b64 v1, v[138:139], v[140:141] offset1:1
.LBB65_116:
	s_or_b32 exec_lo, exec_lo, s2
	s_waitcnt lgkmcnt(0)
	s_barrier
	buffer_gl0_inv
	ds_read2_b64 v[134:137], v1 offset1:1
	s_mov_b32 s1, exec_lo
	s_waitcnt lgkmcnt(0)
	buffer_store_dword v134, off, s[16:19], 0 offset:72 ; 4-byte Folded Spill
	buffer_store_dword v135, off, s[16:19], 0 offset:76 ; 4-byte Folded Spill
	;; [unrolled: 1-line block ×4, first 2 shown]
	v_cmpx_lt_u32_e32 12, v0
	s_cbranch_execz .LBB65_118
; %bb.117:
	s_clause 0x3
	buffer_load_dword v136, off, s[16:19], 0 offset:72
	buffer_load_dword v137, off, s[16:19], 0 offset:76
	buffer_load_dword v138, off, s[16:19], 0 offset:80
	buffer_load_dword v139, off, s[16:19], 0 offset:84
	s_waitcnt vmcnt(0)
	v_mul_f64 v[134:135], v[138:139], v[84:85]
	v_mul_f64 v[84:85], v[136:137], v[84:85]
	v_fma_f64 v[134:135], v[136:137], v[82:83], -v[134:135]
	v_fma_f64 v[84:85], v[138:139], v[82:83], v[84:85]
	ds_read2_b64 v[136:139], v148 offset0:26 offset1:27
	s_waitcnt lgkmcnt(0)
	v_mul_f64 v[82:83], v[138:139], v[84:85]
	v_fma_f64 v[82:83], v[136:137], v[134:135], -v[82:83]
	v_mul_f64 v[136:137], v[136:137], v[84:85]
	v_add_f64 v[78:79], v[78:79], -v[82:83]
	v_fma_f64 v[136:137], v[138:139], v[134:135], v[136:137]
	v_add_f64 v[80:81], v[80:81], -v[136:137]
	ds_read2_b64 v[136:139], v148 offset0:28 offset1:29
	s_waitcnt lgkmcnt(0)
	v_mul_f64 v[82:83], v[138:139], v[84:85]
	v_fma_f64 v[82:83], v[136:137], v[134:135], -v[82:83]
	v_mul_f64 v[136:137], v[136:137], v[84:85]
	v_add_f64 v[74:75], v[74:75], -v[82:83]
	v_fma_f64 v[136:137], v[138:139], v[134:135], v[136:137]
	v_add_f64 v[76:77], v[76:77], -v[136:137]
	;; [unrolled: 8-line block ×19, first 2 shown]
	ds_read2_b64 v[136:139], v148 offset0:64 offset1:65
	s_waitcnt lgkmcnt(0)
	v_mul_f64 v[82:83], v[138:139], v[84:85]
	v_fma_f64 v[82:83], v[136:137], v[134:135], -v[82:83]
	v_mul_f64 v[136:137], v[136:137], v[84:85]
	v_add_f64 v[2:3], v[2:3], -v[82:83]
	v_fma_f64 v[136:137], v[138:139], v[134:135], v[136:137]
	v_mov_b32_e32 v82, v134
	v_mov_b32_e32 v83, v135
	v_add_f64 v[4:5], v[4:5], -v[136:137]
.LBB65_118:
	s_or_b32 exec_lo, exec_lo, s1
	s_mov_b32 s2, exec_lo
	s_waitcnt_vscnt null, 0x0
	s_barrier
	buffer_gl0_inv
	v_cmpx_eq_u32_e32 13, v0
	s_cbranch_execz .LBB65_125
; %bb.119:
	ds_write2_b64 v1, v[78:79], v[80:81] offset1:1
	ds_write2_b64 v148, v[74:75], v[76:77] offset0:28 offset1:29
	ds_write2_b64 v148, v[70:71], v[72:73] offset0:30 offset1:31
	;; [unrolled: 1-line block ×19, first 2 shown]
	ds_read2_b64 v[134:137], v1 offset1:1
	s_waitcnt lgkmcnt(0)
	v_cmp_neq_f64_e32 vcc_lo, 0, v[134:135]
	v_cmp_neq_f64_e64 s1, 0, v[136:137]
	s_or_b32 s1, vcc_lo, s1
	s_and_b32 exec_lo, exec_lo, s1
	s_cbranch_execz .LBB65_125
; %bb.120:
	v_cmp_ngt_f64_e64 s1, |v[134:135]|, |v[136:137]|
                                        ; implicit-def: $vgpr138_vgpr139
	s_and_saveexec_b32 s3, s1
	s_xor_b32 s1, exec_lo, s3
                                        ; implicit-def: $vgpr140_vgpr141
	s_cbranch_execz .LBB65_122
; %bb.121:
	v_div_scale_f64 v[138:139], null, v[136:137], v[136:137], v[134:135]
	v_div_scale_f64 v[144:145], vcc_lo, v[134:135], v[136:137], v[134:135]
	v_rcp_f64_e32 v[140:141], v[138:139]
	v_fma_f64 v[142:143], -v[138:139], v[140:141], 1.0
	v_fma_f64 v[140:141], v[140:141], v[142:143], v[140:141]
	v_fma_f64 v[142:143], -v[138:139], v[140:141], 1.0
	v_fma_f64 v[140:141], v[140:141], v[142:143], v[140:141]
	v_mul_f64 v[142:143], v[144:145], v[140:141]
	v_fma_f64 v[138:139], -v[138:139], v[142:143], v[144:145]
	v_div_fmas_f64 v[138:139], v[138:139], v[140:141], v[142:143]
	v_div_fixup_f64 v[138:139], v[138:139], v[136:137], v[134:135]
	v_fma_f64 v[134:135], v[134:135], v[138:139], v[136:137]
	v_div_scale_f64 v[136:137], null, v[134:135], v[134:135], 1.0
	v_rcp_f64_e32 v[140:141], v[136:137]
	v_fma_f64 v[142:143], -v[136:137], v[140:141], 1.0
	v_fma_f64 v[140:141], v[140:141], v[142:143], v[140:141]
	v_fma_f64 v[142:143], -v[136:137], v[140:141], 1.0
	v_fma_f64 v[140:141], v[140:141], v[142:143], v[140:141]
	v_div_scale_f64 v[142:143], vcc_lo, 1.0, v[134:135], 1.0
	v_mul_f64 v[144:145], v[142:143], v[140:141]
	v_fma_f64 v[136:137], -v[136:137], v[144:145], v[142:143]
	v_div_fmas_f64 v[136:137], v[136:137], v[140:141], v[144:145]
	v_div_fixup_f64 v[140:141], v[136:137], v[134:135], 1.0
                                        ; implicit-def: $vgpr134_vgpr135
	v_mul_f64 v[138:139], v[138:139], v[140:141]
	v_xor_b32_e32 v141, 0x80000000, v141
.LBB65_122:
	s_andn2_saveexec_b32 s1, s1
	s_cbranch_execz .LBB65_124
; %bb.123:
	v_div_scale_f64 v[138:139], null, v[134:135], v[134:135], v[136:137]
	v_div_scale_f64 v[144:145], vcc_lo, v[136:137], v[134:135], v[136:137]
	v_rcp_f64_e32 v[140:141], v[138:139]
	v_fma_f64 v[142:143], -v[138:139], v[140:141], 1.0
	v_fma_f64 v[140:141], v[140:141], v[142:143], v[140:141]
	v_fma_f64 v[142:143], -v[138:139], v[140:141], 1.0
	v_fma_f64 v[140:141], v[140:141], v[142:143], v[140:141]
	v_mul_f64 v[142:143], v[144:145], v[140:141]
	v_fma_f64 v[138:139], -v[138:139], v[142:143], v[144:145]
	v_div_fmas_f64 v[138:139], v[138:139], v[140:141], v[142:143]
	v_div_fixup_f64 v[140:141], v[138:139], v[134:135], v[136:137]
	v_fma_f64 v[134:135], v[136:137], v[140:141], v[134:135]
	v_div_scale_f64 v[136:137], null, v[134:135], v[134:135], 1.0
	v_rcp_f64_e32 v[138:139], v[136:137]
	v_fma_f64 v[142:143], -v[136:137], v[138:139], 1.0
	v_fma_f64 v[138:139], v[138:139], v[142:143], v[138:139]
	v_fma_f64 v[142:143], -v[136:137], v[138:139], 1.0
	v_fma_f64 v[138:139], v[138:139], v[142:143], v[138:139]
	v_div_scale_f64 v[142:143], vcc_lo, 1.0, v[134:135], 1.0
	v_mul_f64 v[144:145], v[142:143], v[138:139]
	v_fma_f64 v[136:137], -v[136:137], v[144:145], v[142:143]
	v_div_fmas_f64 v[136:137], v[136:137], v[138:139], v[144:145]
	v_div_fixup_f64 v[138:139], v[136:137], v[134:135], 1.0
	v_mul_f64 v[140:141], v[140:141], -v[138:139]
.LBB65_124:
	s_or_b32 exec_lo, exec_lo, s1
	ds_write2_b64 v1, v[138:139], v[140:141] offset1:1
.LBB65_125:
	s_or_b32 exec_lo, exec_lo, s2
	s_waitcnt lgkmcnt(0)
	s_barrier
	buffer_gl0_inv
	ds_read2_b64 v[134:137], v1 offset1:1
	s_mov_b32 s1, exec_lo
	s_waitcnt lgkmcnt(0)
	buffer_store_dword v134, off, s[16:19], 0 offset:88 ; 4-byte Folded Spill
	buffer_store_dword v135, off, s[16:19], 0 offset:92 ; 4-byte Folded Spill
	;; [unrolled: 1-line block ×4, first 2 shown]
	v_cmpx_lt_u32_e32 13, v0
	s_cbranch_execz .LBB65_127
; %bb.126:
	s_clause 0x3
	buffer_load_dword v136, off, s[16:19], 0 offset:88
	buffer_load_dword v137, off, s[16:19], 0 offset:92
	;; [unrolled: 1-line block ×4, first 2 shown]
	s_waitcnt vmcnt(0)
	v_mul_f64 v[134:135], v[138:139], v[80:81]
	v_mul_f64 v[80:81], v[136:137], v[80:81]
	v_fma_f64 v[134:135], v[136:137], v[78:79], -v[134:135]
	v_fma_f64 v[80:81], v[138:139], v[78:79], v[80:81]
	ds_read2_b64 v[136:139], v148 offset0:28 offset1:29
	s_waitcnt lgkmcnt(0)
	v_mul_f64 v[78:79], v[138:139], v[80:81]
	v_fma_f64 v[78:79], v[136:137], v[134:135], -v[78:79]
	v_mul_f64 v[136:137], v[136:137], v[80:81]
	v_add_f64 v[74:75], v[74:75], -v[78:79]
	v_fma_f64 v[136:137], v[138:139], v[134:135], v[136:137]
	v_add_f64 v[76:77], v[76:77], -v[136:137]
	ds_read2_b64 v[136:139], v148 offset0:30 offset1:31
	s_waitcnt lgkmcnt(0)
	v_mul_f64 v[78:79], v[138:139], v[80:81]
	v_fma_f64 v[78:79], v[136:137], v[134:135], -v[78:79]
	v_mul_f64 v[136:137], v[136:137], v[80:81]
	v_add_f64 v[70:71], v[70:71], -v[78:79]
	v_fma_f64 v[136:137], v[138:139], v[134:135], v[136:137]
	v_add_f64 v[72:73], v[72:73], -v[136:137]
	;; [unrolled: 8-line block ×18, first 2 shown]
	ds_read2_b64 v[136:139], v148 offset0:64 offset1:65
	s_waitcnt lgkmcnt(0)
	v_mul_f64 v[78:79], v[138:139], v[80:81]
	v_fma_f64 v[78:79], v[136:137], v[134:135], -v[78:79]
	v_mul_f64 v[136:137], v[136:137], v[80:81]
	v_add_f64 v[2:3], v[2:3], -v[78:79]
	v_fma_f64 v[136:137], v[138:139], v[134:135], v[136:137]
	v_mov_b32_e32 v78, v134
	v_mov_b32_e32 v79, v135
	v_add_f64 v[4:5], v[4:5], -v[136:137]
.LBB65_127:
	s_or_b32 exec_lo, exec_lo, s1
	s_mov_b32 s2, exec_lo
	s_waitcnt_vscnt null, 0x0
	s_barrier
	buffer_gl0_inv
	v_cmpx_eq_u32_e32 14, v0
	s_cbranch_execz .LBB65_134
; %bb.128:
	ds_write2_b64 v1, v[74:75], v[76:77] offset1:1
	ds_write2_b64 v148, v[70:71], v[72:73] offset0:30 offset1:31
	ds_write2_b64 v148, v[66:67], v[68:69] offset0:32 offset1:33
	;; [unrolled: 1-line block ×18, first 2 shown]
	ds_read2_b64 v[134:137], v1 offset1:1
	s_waitcnt lgkmcnt(0)
	v_cmp_neq_f64_e32 vcc_lo, 0, v[134:135]
	v_cmp_neq_f64_e64 s1, 0, v[136:137]
	s_or_b32 s1, vcc_lo, s1
	s_and_b32 exec_lo, exec_lo, s1
	s_cbranch_execz .LBB65_134
; %bb.129:
	v_cmp_ngt_f64_e64 s1, |v[134:135]|, |v[136:137]|
                                        ; implicit-def: $vgpr138_vgpr139
	s_and_saveexec_b32 s3, s1
	s_xor_b32 s1, exec_lo, s3
                                        ; implicit-def: $vgpr140_vgpr141
	s_cbranch_execz .LBB65_131
; %bb.130:
	v_div_scale_f64 v[138:139], null, v[136:137], v[136:137], v[134:135]
	v_div_scale_f64 v[144:145], vcc_lo, v[134:135], v[136:137], v[134:135]
	v_rcp_f64_e32 v[140:141], v[138:139]
	v_fma_f64 v[142:143], -v[138:139], v[140:141], 1.0
	v_fma_f64 v[140:141], v[140:141], v[142:143], v[140:141]
	v_fma_f64 v[142:143], -v[138:139], v[140:141], 1.0
	v_fma_f64 v[140:141], v[140:141], v[142:143], v[140:141]
	v_mul_f64 v[142:143], v[144:145], v[140:141]
	v_fma_f64 v[138:139], -v[138:139], v[142:143], v[144:145]
	v_div_fmas_f64 v[138:139], v[138:139], v[140:141], v[142:143]
	v_div_fixup_f64 v[138:139], v[138:139], v[136:137], v[134:135]
	v_fma_f64 v[134:135], v[134:135], v[138:139], v[136:137]
	v_div_scale_f64 v[136:137], null, v[134:135], v[134:135], 1.0
	v_rcp_f64_e32 v[140:141], v[136:137]
	v_fma_f64 v[142:143], -v[136:137], v[140:141], 1.0
	v_fma_f64 v[140:141], v[140:141], v[142:143], v[140:141]
	v_fma_f64 v[142:143], -v[136:137], v[140:141], 1.0
	v_fma_f64 v[140:141], v[140:141], v[142:143], v[140:141]
	v_div_scale_f64 v[142:143], vcc_lo, 1.0, v[134:135], 1.0
	v_mul_f64 v[144:145], v[142:143], v[140:141]
	v_fma_f64 v[136:137], -v[136:137], v[144:145], v[142:143]
	v_div_fmas_f64 v[136:137], v[136:137], v[140:141], v[144:145]
	v_div_fixup_f64 v[140:141], v[136:137], v[134:135], 1.0
                                        ; implicit-def: $vgpr134_vgpr135
	v_mul_f64 v[138:139], v[138:139], v[140:141]
	v_xor_b32_e32 v141, 0x80000000, v141
.LBB65_131:
	s_andn2_saveexec_b32 s1, s1
	s_cbranch_execz .LBB65_133
; %bb.132:
	v_div_scale_f64 v[138:139], null, v[134:135], v[134:135], v[136:137]
	v_div_scale_f64 v[144:145], vcc_lo, v[136:137], v[134:135], v[136:137]
	v_rcp_f64_e32 v[140:141], v[138:139]
	v_fma_f64 v[142:143], -v[138:139], v[140:141], 1.0
	v_fma_f64 v[140:141], v[140:141], v[142:143], v[140:141]
	v_fma_f64 v[142:143], -v[138:139], v[140:141], 1.0
	v_fma_f64 v[140:141], v[140:141], v[142:143], v[140:141]
	v_mul_f64 v[142:143], v[144:145], v[140:141]
	v_fma_f64 v[138:139], -v[138:139], v[142:143], v[144:145]
	v_div_fmas_f64 v[138:139], v[138:139], v[140:141], v[142:143]
	v_div_fixup_f64 v[140:141], v[138:139], v[134:135], v[136:137]
	v_fma_f64 v[134:135], v[136:137], v[140:141], v[134:135]
	v_div_scale_f64 v[136:137], null, v[134:135], v[134:135], 1.0
	v_rcp_f64_e32 v[138:139], v[136:137]
	v_fma_f64 v[142:143], -v[136:137], v[138:139], 1.0
	v_fma_f64 v[138:139], v[138:139], v[142:143], v[138:139]
	v_fma_f64 v[142:143], -v[136:137], v[138:139], 1.0
	v_fma_f64 v[138:139], v[138:139], v[142:143], v[138:139]
	v_div_scale_f64 v[142:143], vcc_lo, 1.0, v[134:135], 1.0
	v_mul_f64 v[144:145], v[142:143], v[138:139]
	v_fma_f64 v[136:137], -v[136:137], v[144:145], v[142:143]
	v_div_fmas_f64 v[136:137], v[136:137], v[138:139], v[144:145]
	v_div_fixup_f64 v[138:139], v[136:137], v[134:135], 1.0
	v_mul_f64 v[140:141], v[140:141], -v[138:139]
.LBB65_133:
	s_or_b32 exec_lo, exec_lo, s1
	ds_write2_b64 v1, v[138:139], v[140:141] offset1:1
.LBB65_134:
	s_or_b32 exec_lo, exec_lo, s2
	s_waitcnt lgkmcnt(0)
	s_barrier
	buffer_gl0_inv
	ds_read2_b64 v[134:137], v1 offset1:1
	s_mov_b32 s1, exec_lo
	s_waitcnt lgkmcnt(0)
	buffer_store_dword v134, off, s[16:19], 0 offset:104 ; 4-byte Folded Spill
	buffer_store_dword v135, off, s[16:19], 0 offset:108 ; 4-byte Folded Spill
	;; [unrolled: 1-line block ×4, first 2 shown]
	v_cmpx_lt_u32_e32 14, v0
	s_cbranch_execz .LBB65_136
; %bb.135:
	s_clause 0x3
	buffer_load_dword v136, off, s[16:19], 0 offset:104
	buffer_load_dword v137, off, s[16:19], 0 offset:108
	;; [unrolled: 1-line block ×4, first 2 shown]
	s_waitcnt vmcnt(0)
	v_mul_f64 v[134:135], v[138:139], v[76:77]
	v_mul_f64 v[76:77], v[136:137], v[76:77]
	v_fma_f64 v[134:135], v[136:137], v[74:75], -v[134:135]
	v_fma_f64 v[76:77], v[138:139], v[74:75], v[76:77]
	ds_read2_b64 v[136:139], v148 offset0:30 offset1:31
	s_waitcnt lgkmcnt(0)
	v_mul_f64 v[74:75], v[138:139], v[76:77]
	v_fma_f64 v[74:75], v[136:137], v[134:135], -v[74:75]
	v_mul_f64 v[136:137], v[136:137], v[76:77]
	v_add_f64 v[70:71], v[70:71], -v[74:75]
	v_fma_f64 v[136:137], v[138:139], v[134:135], v[136:137]
	v_add_f64 v[72:73], v[72:73], -v[136:137]
	ds_read2_b64 v[136:139], v148 offset0:32 offset1:33
	s_waitcnt lgkmcnt(0)
	v_mul_f64 v[74:75], v[138:139], v[76:77]
	v_fma_f64 v[74:75], v[136:137], v[134:135], -v[74:75]
	v_mul_f64 v[136:137], v[136:137], v[76:77]
	v_add_f64 v[66:67], v[66:67], -v[74:75]
	v_fma_f64 v[136:137], v[138:139], v[134:135], v[136:137]
	v_add_f64 v[68:69], v[68:69], -v[136:137]
	;; [unrolled: 8-line block ×17, first 2 shown]
	ds_read2_b64 v[136:139], v148 offset0:64 offset1:65
	s_waitcnt lgkmcnt(0)
	v_mul_f64 v[74:75], v[138:139], v[76:77]
	v_fma_f64 v[74:75], v[136:137], v[134:135], -v[74:75]
	v_mul_f64 v[136:137], v[136:137], v[76:77]
	v_add_f64 v[2:3], v[2:3], -v[74:75]
	v_fma_f64 v[136:137], v[138:139], v[134:135], v[136:137]
	v_mov_b32_e32 v74, v134
	v_mov_b32_e32 v75, v135
	v_add_f64 v[4:5], v[4:5], -v[136:137]
.LBB65_136:
	s_or_b32 exec_lo, exec_lo, s1
	s_mov_b32 s2, exec_lo
	s_waitcnt_vscnt null, 0x0
	s_barrier
	buffer_gl0_inv
	v_cmpx_eq_u32_e32 15, v0
	s_cbranch_execz .LBB65_143
; %bb.137:
	ds_write2_b64 v1, v[70:71], v[72:73] offset1:1
	ds_write2_b64 v148, v[66:67], v[68:69] offset0:32 offset1:33
	ds_write2_b64 v148, v[62:63], v[64:65] offset0:34 offset1:35
	ds_write2_b64 v148, v[58:59], v[60:61] offset0:36 offset1:37
	ds_write2_b64 v148, v[54:55], v[56:57] offset0:38 offset1:39
	ds_write2_b64 v148, v[50:51], v[52:53] offset0:40 offset1:41
	ds_write2_b64 v148, v[46:47], v[48:49] offset0:42 offset1:43
	ds_write2_b64 v148, v[42:43], v[44:45] offset0:44 offset1:45
	ds_write2_b64 v148, v[38:39], v[40:41] offset0:46 offset1:47
	ds_write2_b64 v148, v[34:35], v[36:37] offset0:48 offset1:49
	ds_write2_b64 v148, v[30:31], v[32:33] offset0:50 offset1:51
	ds_write2_b64 v148, v[26:27], v[28:29] offset0:52 offset1:53
	ds_write2_b64 v148, v[22:23], v[24:25] offset0:54 offset1:55
	ds_write2_b64 v148, v[18:19], v[20:21] offset0:56 offset1:57
	ds_write2_b64 v148, v[14:15], v[16:17] offset0:58 offset1:59
	ds_write2_b64 v148, v[10:11], v[12:13] offset0:60 offset1:61
	ds_write2_b64 v148, v[6:7], v[8:9] offset0:62 offset1:63
	ds_write2_b64 v148, v[2:3], v[4:5] offset0:64 offset1:65
	ds_read2_b64 v[134:137], v1 offset1:1
	s_waitcnt lgkmcnt(0)
	v_cmp_neq_f64_e32 vcc_lo, 0, v[134:135]
	v_cmp_neq_f64_e64 s1, 0, v[136:137]
	s_or_b32 s1, vcc_lo, s1
	s_and_b32 exec_lo, exec_lo, s1
	s_cbranch_execz .LBB65_143
; %bb.138:
	v_cmp_ngt_f64_e64 s1, |v[134:135]|, |v[136:137]|
                                        ; implicit-def: $vgpr138_vgpr139
	s_and_saveexec_b32 s3, s1
	s_xor_b32 s1, exec_lo, s3
                                        ; implicit-def: $vgpr140_vgpr141
	s_cbranch_execz .LBB65_140
; %bb.139:
	v_div_scale_f64 v[138:139], null, v[136:137], v[136:137], v[134:135]
	v_div_scale_f64 v[144:145], vcc_lo, v[134:135], v[136:137], v[134:135]
	v_rcp_f64_e32 v[140:141], v[138:139]
	v_fma_f64 v[142:143], -v[138:139], v[140:141], 1.0
	v_fma_f64 v[140:141], v[140:141], v[142:143], v[140:141]
	v_fma_f64 v[142:143], -v[138:139], v[140:141], 1.0
	v_fma_f64 v[140:141], v[140:141], v[142:143], v[140:141]
	v_mul_f64 v[142:143], v[144:145], v[140:141]
	v_fma_f64 v[138:139], -v[138:139], v[142:143], v[144:145]
	v_div_fmas_f64 v[138:139], v[138:139], v[140:141], v[142:143]
	v_div_fixup_f64 v[138:139], v[138:139], v[136:137], v[134:135]
	v_fma_f64 v[134:135], v[134:135], v[138:139], v[136:137]
	v_div_scale_f64 v[136:137], null, v[134:135], v[134:135], 1.0
	v_rcp_f64_e32 v[140:141], v[136:137]
	v_fma_f64 v[142:143], -v[136:137], v[140:141], 1.0
	v_fma_f64 v[140:141], v[140:141], v[142:143], v[140:141]
	v_fma_f64 v[142:143], -v[136:137], v[140:141], 1.0
	v_fma_f64 v[140:141], v[140:141], v[142:143], v[140:141]
	v_div_scale_f64 v[142:143], vcc_lo, 1.0, v[134:135], 1.0
	v_mul_f64 v[144:145], v[142:143], v[140:141]
	v_fma_f64 v[136:137], -v[136:137], v[144:145], v[142:143]
	v_div_fmas_f64 v[136:137], v[136:137], v[140:141], v[144:145]
	v_div_fixup_f64 v[140:141], v[136:137], v[134:135], 1.0
                                        ; implicit-def: $vgpr134_vgpr135
	v_mul_f64 v[138:139], v[138:139], v[140:141]
	v_xor_b32_e32 v141, 0x80000000, v141
.LBB65_140:
	s_andn2_saveexec_b32 s1, s1
	s_cbranch_execz .LBB65_142
; %bb.141:
	v_div_scale_f64 v[138:139], null, v[134:135], v[134:135], v[136:137]
	v_div_scale_f64 v[144:145], vcc_lo, v[136:137], v[134:135], v[136:137]
	v_rcp_f64_e32 v[140:141], v[138:139]
	v_fma_f64 v[142:143], -v[138:139], v[140:141], 1.0
	v_fma_f64 v[140:141], v[140:141], v[142:143], v[140:141]
	v_fma_f64 v[142:143], -v[138:139], v[140:141], 1.0
	v_fma_f64 v[140:141], v[140:141], v[142:143], v[140:141]
	v_mul_f64 v[142:143], v[144:145], v[140:141]
	v_fma_f64 v[138:139], -v[138:139], v[142:143], v[144:145]
	v_div_fmas_f64 v[138:139], v[138:139], v[140:141], v[142:143]
	v_div_fixup_f64 v[140:141], v[138:139], v[134:135], v[136:137]
	v_fma_f64 v[134:135], v[136:137], v[140:141], v[134:135]
	v_div_scale_f64 v[136:137], null, v[134:135], v[134:135], 1.0
	v_rcp_f64_e32 v[138:139], v[136:137]
	v_fma_f64 v[142:143], -v[136:137], v[138:139], 1.0
	v_fma_f64 v[138:139], v[138:139], v[142:143], v[138:139]
	v_fma_f64 v[142:143], -v[136:137], v[138:139], 1.0
	v_fma_f64 v[138:139], v[138:139], v[142:143], v[138:139]
	v_div_scale_f64 v[142:143], vcc_lo, 1.0, v[134:135], 1.0
	v_mul_f64 v[144:145], v[142:143], v[138:139]
	v_fma_f64 v[136:137], -v[136:137], v[144:145], v[142:143]
	v_div_fmas_f64 v[136:137], v[136:137], v[138:139], v[144:145]
	v_div_fixup_f64 v[138:139], v[136:137], v[134:135], 1.0
	v_mul_f64 v[140:141], v[140:141], -v[138:139]
.LBB65_142:
	s_or_b32 exec_lo, exec_lo, s1
	ds_write2_b64 v1, v[138:139], v[140:141] offset1:1
.LBB65_143:
	s_or_b32 exec_lo, exec_lo, s2
	s_waitcnt lgkmcnt(0)
	s_barrier
	buffer_gl0_inv
	ds_read2_b64 v[134:137], v1 offset1:1
	s_mov_b32 s1, exec_lo
	s_waitcnt lgkmcnt(0)
	buffer_store_dword v134, off, s[16:19], 0 offset:120 ; 4-byte Folded Spill
	buffer_store_dword v135, off, s[16:19], 0 offset:124 ; 4-byte Folded Spill
	;; [unrolled: 1-line block ×4, first 2 shown]
	v_cmpx_lt_u32_e32 15, v0
	s_cbranch_execz .LBB65_145
; %bb.144:
	s_clause 0x3
	buffer_load_dword v136, off, s[16:19], 0 offset:120
	buffer_load_dword v137, off, s[16:19], 0 offset:124
	;; [unrolled: 1-line block ×4, first 2 shown]
	s_waitcnt vmcnt(0)
	v_mul_f64 v[134:135], v[138:139], v[72:73]
	v_mul_f64 v[72:73], v[136:137], v[72:73]
	v_fma_f64 v[134:135], v[136:137], v[70:71], -v[134:135]
	v_fma_f64 v[72:73], v[138:139], v[70:71], v[72:73]
	ds_read2_b64 v[136:139], v148 offset0:32 offset1:33
	s_waitcnt lgkmcnt(0)
	v_mul_f64 v[70:71], v[138:139], v[72:73]
	v_fma_f64 v[70:71], v[136:137], v[134:135], -v[70:71]
	v_mul_f64 v[136:137], v[136:137], v[72:73]
	v_add_f64 v[66:67], v[66:67], -v[70:71]
	v_fma_f64 v[136:137], v[138:139], v[134:135], v[136:137]
	v_add_f64 v[68:69], v[68:69], -v[136:137]
	ds_read2_b64 v[136:139], v148 offset0:34 offset1:35
	s_waitcnt lgkmcnt(0)
	v_mul_f64 v[70:71], v[138:139], v[72:73]
	v_fma_f64 v[70:71], v[136:137], v[134:135], -v[70:71]
	v_mul_f64 v[136:137], v[136:137], v[72:73]
	v_add_f64 v[62:63], v[62:63], -v[70:71]
	v_fma_f64 v[136:137], v[138:139], v[134:135], v[136:137]
	v_add_f64 v[64:65], v[64:65], -v[136:137]
	;; [unrolled: 8-line block ×16, first 2 shown]
	ds_read2_b64 v[136:139], v148 offset0:64 offset1:65
	s_waitcnt lgkmcnt(0)
	v_mul_f64 v[70:71], v[138:139], v[72:73]
	v_fma_f64 v[70:71], v[136:137], v[134:135], -v[70:71]
	v_mul_f64 v[136:137], v[136:137], v[72:73]
	v_add_f64 v[2:3], v[2:3], -v[70:71]
	v_fma_f64 v[136:137], v[138:139], v[134:135], v[136:137]
	v_mov_b32_e32 v70, v134
	v_mov_b32_e32 v71, v135
	v_add_f64 v[4:5], v[4:5], -v[136:137]
.LBB65_145:
	s_or_b32 exec_lo, exec_lo, s1
	s_mov_b32 s2, exec_lo
	s_waitcnt_vscnt null, 0x0
	s_barrier
	buffer_gl0_inv
	v_cmpx_eq_u32_e32 16, v0
	s_cbranch_execz .LBB65_152
; %bb.146:
	ds_write2_b64 v1, v[66:67], v[68:69] offset1:1
	ds_write2_b64 v148, v[62:63], v[64:65] offset0:34 offset1:35
	ds_write2_b64 v148, v[58:59], v[60:61] offset0:36 offset1:37
	;; [unrolled: 1-line block ×16, first 2 shown]
	ds_read2_b64 v[134:137], v1 offset1:1
	s_waitcnt lgkmcnt(0)
	v_cmp_neq_f64_e32 vcc_lo, 0, v[134:135]
	v_cmp_neq_f64_e64 s1, 0, v[136:137]
	s_or_b32 s1, vcc_lo, s1
	s_and_b32 exec_lo, exec_lo, s1
	s_cbranch_execz .LBB65_152
; %bb.147:
	v_cmp_ngt_f64_e64 s1, |v[134:135]|, |v[136:137]|
                                        ; implicit-def: $vgpr138_vgpr139
	s_and_saveexec_b32 s3, s1
	s_xor_b32 s1, exec_lo, s3
                                        ; implicit-def: $vgpr140_vgpr141
	s_cbranch_execz .LBB65_149
; %bb.148:
	v_div_scale_f64 v[138:139], null, v[136:137], v[136:137], v[134:135]
	v_div_scale_f64 v[144:145], vcc_lo, v[134:135], v[136:137], v[134:135]
	v_rcp_f64_e32 v[140:141], v[138:139]
	v_fma_f64 v[142:143], -v[138:139], v[140:141], 1.0
	v_fma_f64 v[140:141], v[140:141], v[142:143], v[140:141]
	v_fma_f64 v[142:143], -v[138:139], v[140:141], 1.0
	v_fma_f64 v[140:141], v[140:141], v[142:143], v[140:141]
	v_mul_f64 v[142:143], v[144:145], v[140:141]
	v_fma_f64 v[138:139], -v[138:139], v[142:143], v[144:145]
	v_div_fmas_f64 v[138:139], v[138:139], v[140:141], v[142:143]
	v_div_fixup_f64 v[138:139], v[138:139], v[136:137], v[134:135]
	v_fma_f64 v[134:135], v[134:135], v[138:139], v[136:137]
	v_div_scale_f64 v[136:137], null, v[134:135], v[134:135], 1.0
	v_rcp_f64_e32 v[140:141], v[136:137]
	v_fma_f64 v[142:143], -v[136:137], v[140:141], 1.0
	v_fma_f64 v[140:141], v[140:141], v[142:143], v[140:141]
	v_fma_f64 v[142:143], -v[136:137], v[140:141], 1.0
	v_fma_f64 v[140:141], v[140:141], v[142:143], v[140:141]
	v_div_scale_f64 v[142:143], vcc_lo, 1.0, v[134:135], 1.0
	v_mul_f64 v[144:145], v[142:143], v[140:141]
	v_fma_f64 v[136:137], -v[136:137], v[144:145], v[142:143]
	v_div_fmas_f64 v[136:137], v[136:137], v[140:141], v[144:145]
	v_div_fixup_f64 v[140:141], v[136:137], v[134:135], 1.0
                                        ; implicit-def: $vgpr134_vgpr135
	v_mul_f64 v[138:139], v[138:139], v[140:141]
	v_xor_b32_e32 v141, 0x80000000, v141
.LBB65_149:
	s_andn2_saveexec_b32 s1, s1
	s_cbranch_execz .LBB65_151
; %bb.150:
	v_div_scale_f64 v[138:139], null, v[134:135], v[134:135], v[136:137]
	v_div_scale_f64 v[144:145], vcc_lo, v[136:137], v[134:135], v[136:137]
	v_rcp_f64_e32 v[140:141], v[138:139]
	v_fma_f64 v[142:143], -v[138:139], v[140:141], 1.0
	v_fma_f64 v[140:141], v[140:141], v[142:143], v[140:141]
	v_fma_f64 v[142:143], -v[138:139], v[140:141], 1.0
	v_fma_f64 v[140:141], v[140:141], v[142:143], v[140:141]
	v_mul_f64 v[142:143], v[144:145], v[140:141]
	v_fma_f64 v[138:139], -v[138:139], v[142:143], v[144:145]
	v_div_fmas_f64 v[138:139], v[138:139], v[140:141], v[142:143]
	v_div_fixup_f64 v[140:141], v[138:139], v[134:135], v[136:137]
	v_fma_f64 v[134:135], v[136:137], v[140:141], v[134:135]
	v_div_scale_f64 v[136:137], null, v[134:135], v[134:135], 1.0
	v_rcp_f64_e32 v[138:139], v[136:137]
	v_fma_f64 v[142:143], -v[136:137], v[138:139], 1.0
	v_fma_f64 v[138:139], v[138:139], v[142:143], v[138:139]
	v_fma_f64 v[142:143], -v[136:137], v[138:139], 1.0
	v_fma_f64 v[138:139], v[138:139], v[142:143], v[138:139]
	v_div_scale_f64 v[142:143], vcc_lo, 1.0, v[134:135], 1.0
	v_mul_f64 v[144:145], v[142:143], v[138:139]
	v_fma_f64 v[136:137], -v[136:137], v[144:145], v[142:143]
	v_div_fmas_f64 v[136:137], v[136:137], v[138:139], v[144:145]
	v_div_fixup_f64 v[138:139], v[136:137], v[134:135], 1.0
	v_mul_f64 v[140:141], v[140:141], -v[138:139]
.LBB65_151:
	s_or_b32 exec_lo, exec_lo, s1
	ds_write2_b64 v1, v[138:139], v[140:141] offset1:1
.LBB65_152:
	s_or_b32 exec_lo, exec_lo, s2
	s_waitcnt lgkmcnt(0)
	s_barrier
	buffer_gl0_inv
	ds_read2_b64 v[134:137], v1 offset1:1
	s_mov_b32 s1, exec_lo
	s_waitcnt lgkmcnt(0)
	buffer_store_dword v134, off, s[16:19], 0 offset:136 ; 4-byte Folded Spill
	buffer_store_dword v135, off, s[16:19], 0 offset:140 ; 4-byte Folded Spill
	;; [unrolled: 1-line block ×4, first 2 shown]
	v_cmpx_lt_u32_e32 16, v0
	s_cbranch_execz .LBB65_154
; %bb.153:
	s_clause 0x3
	buffer_load_dword v136, off, s[16:19], 0 offset:136
	buffer_load_dword v137, off, s[16:19], 0 offset:140
	;; [unrolled: 1-line block ×4, first 2 shown]
	s_waitcnt vmcnt(2)
	v_mul_f64 v[134:135], v[136:137], v[68:69]
	s_waitcnt vmcnt(0)
	v_mul_f64 v[68:69], v[138:139], v[68:69]
	v_fma_f64 v[134:135], v[138:139], v[66:67], v[134:135]
	v_fma_f64 v[66:67], v[136:137], v[66:67], -v[68:69]
	ds_read2_b64 v[136:139], v148 offset0:34 offset1:35
	s_waitcnt lgkmcnt(0)
	v_mul_f64 v[68:69], v[138:139], v[134:135]
	v_fma_f64 v[68:69], v[136:137], v[66:67], -v[68:69]
	v_mul_f64 v[136:137], v[136:137], v[134:135]
	v_add_f64 v[62:63], v[62:63], -v[68:69]
	v_fma_f64 v[136:137], v[138:139], v[66:67], v[136:137]
	v_add_f64 v[64:65], v[64:65], -v[136:137]
	ds_read2_b64 v[136:139], v148 offset0:36 offset1:37
	s_waitcnt lgkmcnt(0)
	v_mul_f64 v[68:69], v[138:139], v[134:135]
	v_fma_f64 v[68:69], v[136:137], v[66:67], -v[68:69]
	v_mul_f64 v[136:137], v[136:137], v[134:135]
	v_add_f64 v[58:59], v[58:59], -v[68:69]
	v_fma_f64 v[136:137], v[138:139], v[66:67], v[136:137]
	v_add_f64 v[60:61], v[60:61], -v[136:137]
	;; [unrolled: 8-line block ×15, first 2 shown]
	ds_read2_b64 v[136:139], v148 offset0:64 offset1:65
	s_waitcnt lgkmcnt(0)
	v_mul_f64 v[68:69], v[138:139], v[134:135]
	v_fma_f64 v[68:69], v[136:137], v[66:67], -v[68:69]
	v_mul_f64 v[136:137], v[136:137], v[134:135]
	v_add_f64 v[2:3], v[2:3], -v[68:69]
	v_fma_f64 v[136:137], v[138:139], v[66:67], v[136:137]
	v_mov_b32_e32 v68, v134
	v_mov_b32_e32 v69, v135
	v_add_f64 v[4:5], v[4:5], -v[136:137]
.LBB65_154:
	s_or_b32 exec_lo, exec_lo, s1
	s_mov_b32 s2, exec_lo
	s_waitcnt_vscnt null, 0x0
	s_barrier
	buffer_gl0_inv
	v_cmpx_eq_u32_e32 17, v0
	s_cbranch_execz .LBB65_161
; %bb.155:
	ds_write2_b64 v1, v[62:63], v[64:65] offset1:1
	ds_write2_b64 v148, v[58:59], v[60:61] offset0:36 offset1:37
	ds_write2_b64 v148, v[54:55], v[56:57] offset0:38 offset1:39
	;; [unrolled: 1-line block ×15, first 2 shown]
	ds_read2_b64 v[134:137], v1 offset1:1
	s_waitcnt lgkmcnt(0)
	v_cmp_neq_f64_e32 vcc_lo, 0, v[134:135]
	v_cmp_neq_f64_e64 s1, 0, v[136:137]
	s_or_b32 s1, vcc_lo, s1
	s_and_b32 exec_lo, exec_lo, s1
	s_cbranch_execz .LBB65_161
; %bb.156:
	v_cmp_ngt_f64_e64 s1, |v[134:135]|, |v[136:137]|
                                        ; implicit-def: $vgpr138_vgpr139
	s_and_saveexec_b32 s3, s1
	s_xor_b32 s1, exec_lo, s3
                                        ; implicit-def: $vgpr140_vgpr141
	s_cbranch_execz .LBB65_158
; %bb.157:
	v_div_scale_f64 v[138:139], null, v[136:137], v[136:137], v[134:135]
	v_div_scale_f64 v[144:145], vcc_lo, v[134:135], v[136:137], v[134:135]
	v_rcp_f64_e32 v[140:141], v[138:139]
	v_fma_f64 v[142:143], -v[138:139], v[140:141], 1.0
	v_fma_f64 v[140:141], v[140:141], v[142:143], v[140:141]
	v_fma_f64 v[142:143], -v[138:139], v[140:141], 1.0
	v_fma_f64 v[140:141], v[140:141], v[142:143], v[140:141]
	v_mul_f64 v[142:143], v[144:145], v[140:141]
	v_fma_f64 v[138:139], -v[138:139], v[142:143], v[144:145]
	v_div_fmas_f64 v[138:139], v[138:139], v[140:141], v[142:143]
	v_div_fixup_f64 v[138:139], v[138:139], v[136:137], v[134:135]
	v_fma_f64 v[134:135], v[134:135], v[138:139], v[136:137]
	v_div_scale_f64 v[136:137], null, v[134:135], v[134:135], 1.0
	v_rcp_f64_e32 v[140:141], v[136:137]
	v_fma_f64 v[142:143], -v[136:137], v[140:141], 1.0
	v_fma_f64 v[140:141], v[140:141], v[142:143], v[140:141]
	v_fma_f64 v[142:143], -v[136:137], v[140:141], 1.0
	v_fma_f64 v[140:141], v[140:141], v[142:143], v[140:141]
	v_div_scale_f64 v[142:143], vcc_lo, 1.0, v[134:135], 1.0
	v_mul_f64 v[144:145], v[142:143], v[140:141]
	v_fma_f64 v[136:137], -v[136:137], v[144:145], v[142:143]
	v_div_fmas_f64 v[136:137], v[136:137], v[140:141], v[144:145]
	v_div_fixup_f64 v[140:141], v[136:137], v[134:135], 1.0
                                        ; implicit-def: $vgpr134_vgpr135
	v_mul_f64 v[138:139], v[138:139], v[140:141]
	v_xor_b32_e32 v141, 0x80000000, v141
.LBB65_158:
	s_andn2_saveexec_b32 s1, s1
	s_cbranch_execz .LBB65_160
; %bb.159:
	v_div_scale_f64 v[138:139], null, v[134:135], v[134:135], v[136:137]
	v_div_scale_f64 v[144:145], vcc_lo, v[136:137], v[134:135], v[136:137]
	v_rcp_f64_e32 v[140:141], v[138:139]
	v_fma_f64 v[142:143], -v[138:139], v[140:141], 1.0
	v_fma_f64 v[140:141], v[140:141], v[142:143], v[140:141]
	v_fma_f64 v[142:143], -v[138:139], v[140:141], 1.0
	v_fma_f64 v[140:141], v[140:141], v[142:143], v[140:141]
	v_mul_f64 v[142:143], v[144:145], v[140:141]
	v_fma_f64 v[138:139], -v[138:139], v[142:143], v[144:145]
	v_div_fmas_f64 v[138:139], v[138:139], v[140:141], v[142:143]
	v_div_fixup_f64 v[140:141], v[138:139], v[134:135], v[136:137]
	v_fma_f64 v[134:135], v[136:137], v[140:141], v[134:135]
	v_div_scale_f64 v[136:137], null, v[134:135], v[134:135], 1.0
	v_rcp_f64_e32 v[138:139], v[136:137]
	v_fma_f64 v[142:143], -v[136:137], v[138:139], 1.0
	v_fma_f64 v[138:139], v[138:139], v[142:143], v[138:139]
	v_fma_f64 v[142:143], -v[136:137], v[138:139], 1.0
	v_fma_f64 v[138:139], v[138:139], v[142:143], v[138:139]
	v_div_scale_f64 v[142:143], vcc_lo, 1.0, v[134:135], 1.0
	v_mul_f64 v[144:145], v[142:143], v[138:139]
	v_fma_f64 v[136:137], -v[136:137], v[144:145], v[142:143]
	v_div_fmas_f64 v[136:137], v[136:137], v[138:139], v[144:145]
	v_div_fixup_f64 v[138:139], v[136:137], v[134:135], 1.0
	v_mul_f64 v[140:141], v[140:141], -v[138:139]
.LBB65_160:
	s_or_b32 exec_lo, exec_lo, s1
	ds_write2_b64 v1, v[138:139], v[140:141] offset1:1
.LBB65_161:
	s_or_b32 exec_lo, exec_lo, s2
	s_waitcnt lgkmcnt(0)
	s_barrier
	buffer_gl0_inv
	ds_read2_b64 v[134:137], v1 offset1:1
	s_mov_b32 s1, exec_lo
	s_waitcnt lgkmcnt(0)
	buffer_store_dword v134, off, s[16:19], 0 offset:152 ; 4-byte Folded Spill
	buffer_store_dword v135, off, s[16:19], 0 offset:156 ; 4-byte Folded Spill
	;; [unrolled: 1-line block ×4, first 2 shown]
	v_cmpx_lt_u32_e32 17, v0
	s_cbranch_execz .LBB65_163
; %bb.162:
	s_clause 0x3
	buffer_load_dword v136, off, s[16:19], 0 offset:152
	buffer_load_dword v137, off, s[16:19], 0 offset:156
	;; [unrolled: 1-line block ×4, first 2 shown]
	s_waitcnt vmcnt(2)
	v_mul_f64 v[134:135], v[136:137], v[64:65]
	s_waitcnt vmcnt(0)
	v_mul_f64 v[64:65], v[138:139], v[64:65]
	v_fma_f64 v[134:135], v[138:139], v[62:63], v[134:135]
	v_fma_f64 v[62:63], v[136:137], v[62:63], -v[64:65]
	ds_read2_b64 v[136:139], v148 offset0:36 offset1:37
	s_waitcnt lgkmcnt(0)
	v_mul_f64 v[64:65], v[138:139], v[134:135]
	v_fma_f64 v[64:65], v[136:137], v[62:63], -v[64:65]
	v_mul_f64 v[136:137], v[136:137], v[134:135]
	v_add_f64 v[58:59], v[58:59], -v[64:65]
	v_fma_f64 v[136:137], v[138:139], v[62:63], v[136:137]
	v_add_f64 v[60:61], v[60:61], -v[136:137]
	ds_read2_b64 v[136:139], v148 offset0:38 offset1:39
	s_waitcnt lgkmcnt(0)
	v_mul_f64 v[64:65], v[138:139], v[134:135]
	v_fma_f64 v[64:65], v[136:137], v[62:63], -v[64:65]
	v_mul_f64 v[136:137], v[136:137], v[134:135]
	v_add_f64 v[54:55], v[54:55], -v[64:65]
	v_fma_f64 v[136:137], v[138:139], v[62:63], v[136:137]
	v_add_f64 v[56:57], v[56:57], -v[136:137]
	ds_read2_b64 v[136:139], v148 offset0:40 offset1:41
	s_waitcnt lgkmcnt(0)
	v_mul_f64 v[64:65], v[138:139], v[134:135]
	v_fma_f64 v[64:65], v[136:137], v[62:63], -v[64:65]
	v_mul_f64 v[136:137], v[136:137], v[134:135]
	v_add_f64 v[50:51], v[50:51], -v[64:65]
	v_fma_f64 v[136:137], v[138:139], v[62:63], v[136:137]
	v_add_f64 v[52:53], v[52:53], -v[136:137]
	ds_read2_b64 v[136:139], v148 offset0:42 offset1:43
	s_waitcnt lgkmcnt(0)
	v_mul_f64 v[64:65], v[138:139], v[134:135]
	v_fma_f64 v[64:65], v[136:137], v[62:63], -v[64:65]
	v_mul_f64 v[136:137], v[136:137], v[134:135]
	v_add_f64 v[46:47], v[46:47], -v[64:65]
	v_fma_f64 v[136:137], v[138:139], v[62:63], v[136:137]
	v_add_f64 v[48:49], v[48:49], -v[136:137]
	ds_read2_b64 v[136:139], v148 offset0:44 offset1:45
	s_waitcnt lgkmcnt(0)
	v_mul_f64 v[64:65], v[138:139], v[134:135]
	v_fma_f64 v[64:65], v[136:137], v[62:63], -v[64:65]
	v_mul_f64 v[136:137], v[136:137], v[134:135]
	v_add_f64 v[42:43], v[42:43], -v[64:65]
	v_fma_f64 v[136:137], v[138:139], v[62:63], v[136:137]
	v_add_f64 v[44:45], v[44:45], -v[136:137]
	ds_read2_b64 v[136:139], v148 offset0:46 offset1:47
	s_waitcnt lgkmcnt(0)
	v_mul_f64 v[64:65], v[138:139], v[134:135]
	v_fma_f64 v[64:65], v[136:137], v[62:63], -v[64:65]
	v_mul_f64 v[136:137], v[136:137], v[134:135]
	v_add_f64 v[38:39], v[38:39], -v[64:65]
	v_fma_f64 v[136:137], v[138:139], v[62:63], v[136:137]
	v_add_f64 v[40:41], v[40:41], -v[136:137]
	ds_read2_b64 v[136:139], v148 offset0:48 offset1:49
	s_waitcnt lgkmcnt(0)
	v_mul_f64 v[64:65], v[138:139], v[134:135]
	v_fma_f64 v[64:65], v[136:137], v[62:63], -v[64:65]
	v_mul_f64 v[136:137], v[136:137], v[134:135]
	v_add_f64 v[34:35], v[34:35], -v[64:65]
	v_fma_f64 v[136:137], v[138:139], v[62:63], v[136:137]
	v_add_f64 v[36:37], v[36:37], -v[136:137]
	ds_read2_b64 v[136:139], v148 offset0:50 offset1:51
	s_waitcnt lgkmcnt(0)
	v_mul_f64 v[64:65], v[138:139], v[134:135]
	v_fma_f64 v[64:65], v[136:137], v[62:63], -v[64:65]
	v_mul_f64 v[136:137], v[136:137], v[134:135]
	v_add_f64 v[30:31], v[30:31], -v[64:65]
	v_fma_f64 v[136:137], v[138:139], v[62:63], v[136:137]
	v_add_f64 v[32:33], v[32:33], -v[136:137]
	ds_read2_b64 v[136:139], v148 offset0:52 offset1:53
	s_waitcnt lgkmcnt(0)
	v_mul_f64 v[64:65], v[138:139], v[134:135]
	v_fma_f64 v[64:65], v[136:137], v[62:63], -v[64:65]
	v_mul_f64 v[136:137], v[136:137], v[134:135]
	v_add_f64 v[26:27], v[26:27], -v[64:65]
	v_fma_f64 v[136:137], v[138:139], v[62:63], v[136:137]
	v_add_f64 v[28:29], v[28:29], -v[136:137]
	ds_read2_b64 v[136:139], v148 offset0:54 offset1:55
	s_waitcnt lgkmcnt(0)
	v_mul_f64 v[64:65], v[138:139], v[134:135]
	v_fma_f64 v[64:65], v[136:137], v[62:63], -v[64:65]
	v_mul_f64 v[136:137], v[136:137], v[134:135]
	v_add_f64 v[22:23], v[22:23], -v[64:65]
	v_fma_f64 v[136:137], v[138:139], v[62:63], v[136:137]
	v_add_f64 v[24:25], v[24:25], -v[136:137]
	ds_read2_b64 v[136:139], v148 offset0:56 offset1:57
	s_waitcnt lgkmcnt(0)
	v_mul_f64 v[64:65], v[138:139], v[134:135]
	v_fma_f64 v[64:65], v[136:137], v[62:63], -v[64:65]
	v_mul_f64 v[136:137], v[136:137], v[134:135]
	v_add_f64 v[18:19], v[18:19], -v[64:65]
	v_fma_f64 v[136:137], v[138:139], v[62:63], v[136:137]
	v_add_f64 v[20:21], v[20:21], -v[136:137]
	ds_read2_b64 v[136:139], v148 offset0:58 offset1:59
	s_waitcnt lgkmcnt(0)
	v_mul_f64 v[64:65], v[138:139], v[134:135]
	v_fma_f64 v[64:65], v[136:137], v[62:63], -v[64:65]
	v_mul_f64 v[136:137], v[136:137], v[134:135]
	v_add_f64 v[14:15], v[14:15], -v[64:65]
	v_fma_f64 v[136:137], v[138:139], v[62:63], v[136:137]
	v_add_f64 v[16:17], v[16:17], -v[136:137]
	ds_read2_b64 v[136:139], v148 offset0:60 offset1:61
	s_waitcnt lgkmcnt(0)
	v_mul_f64 v[64:65], v[138:139], v[134:135]
	v_fma_f64 v[64:65], v[136:137], v[62:63], -v[64:65]
	v_mul_f64 v[136:137], v[136:137], v[134:135]
	v_add_f64 v[10:11], v[10:11], -v[64:65]
	v_fma_f64 v[136:137], v[138:139], v[62:63], v[136:137]
	v_add_f64 v[12:13], v[12:13], -v[136:137]
	ds_read2_b64 v[136:139], v148 offset0:62 offset1:63
	s_waitcnt lgkmcnt(0)
	v_mul_f64 v[64:65], v[138:139], v[134:135]
	v_fma_f64 v[64:65], v[136:137], v[62:63], -v[64:65]
	v_mul_f64 v[136:137], v[136:137], v[134:135]
	v_add_f64 v[6:7], v[6:7], -v[64:65]
	v_fma_f64 v[136:137], v[138:139], v[62:63], v[136:137]
	v_add_f64 v[8:9], v[8:9], -v[136:137]
	ds_read2_b64 v[136:139], v148 offset0:64 offset1:65
	s_waitcnt lgkmcnt(0)
	v_mul_f64 v[64:65], v[138:139], v[134:135]
	v_fma_f64 v[64:65], v[136:137], v[62:63], -v[64:65]
	v_mul_f64 v[136:137], v[136:137], v[134:135]
	v_add_f64 v[2:3], v[2:3], -v[64:65]
	v_fma_f64 v[136:137], v[138:139], v[62:63], v[136:137]
	v_mov_b32_e32 v64, v134
	v_mov_b32_e32 v65, v135
	v_add_f64 v[4:5], v[4:5], -v[136:137]
.LBB65_163:
	s_or_b32 exec_lo, exec_lo, s1
	s_mov_b32 s2, exec_lo
	s_waitcnt_vscnt null, 0x0
	s_barrier
	buffer_gl0_inv
	v_cmpx_eq_u32_e32 18, v0
	s_cbranch_execz .LBB65_170
; %bb.164:
	ds_write2_b64 v1, v[58:59], v[60:61] offset1:1
	ds_write2_b64 v148, v[54:55], v[56:57] offset0:38 offset1:39
	ds_write2_b64 v148, v[50:51], v[52:53] offset0:40 offset1:41
	;; [unrolled: 1-line block ×14, first 2 shown]
	ds_read2_b64 v[134:137], v1 offset1:1
	s_waitcnt lgkmcnt(0)
	v_cmp_neq_f64_e32 vcc_lo, 0, v[134:135]
	v_cmp_neq_f64_e64 s1, 0, v[136:137]
	s_or_b32 s1, vcc_lo, s1
	s_and_b32 exec_lo, exec_lo, s1
	s_cbranch_execz .LBB65_170
; %bb.165:
	v_cmp_ngt_f64_e64 s1, |v[134:135]|, |v[136:137]|
                                        ; implicit-def: $vgpr138_vgpr139
	s_and_saveexec_b32 s3, s1
	s_xor_b32 s1, exec_lo, s3
                                        ; implicit-def: $vgpr140_vgpr141
	s_cbranch_execz .LBB65_167
; %bb.166:
	v_div_scale_f64 v[138:139], null, v[136:137], v[136:137], v[134:135]
	v_div_scale_f64 v[144:145], vcc_lo, v[134:135], v[136:137], v[134:135]
	v_rcp_f64_e32 v[140:141], v[138:139]
	v_fma_f64 v[142:143], -v[138:139], v[140:141], 1.0
	v_fma_f64 v[140:141], v[140:141], v[142:143], v[140:141]
	v_fma_f64 v[142:143], -v[138:139], v[140:141], 1.0
	v_fma_f64 v[140:141], v[140:141], v[142:143], v[140:141]
	v_mul_f64 v[142:143], v[144:145], v[140:141]
	v_fma_f64 v[138:139], -v[138:139], v[142:143], v[144:145]
	v_div_fmas_f64 v[138:139], v[138:139], v[140:141], v[142:143]
	v_div_fixup_f64 v[138:139], v[138:139], v[136:137], v[134:135]
	v_fma_f64 v[134:135], v[134:135], v[138:139], v[136:137]
	v_div_scale_f64 v[136:137], null, v[134:135], v[134:135], 1.0
	v_rcp_f64_e32 v[140:141], v[136:137]
	v_fma_f64 v[142:143], -v[136:137], v[140:141], 1.0
	v_fma_f64 v[140:141], v[140:141], v[142:143], v[140:141]
	v_fma_f64 v[142:143], -v[136:137], v[140:141], 1.0
	v_fma_f64 v[140:141], v[140:141], v[142:143], v[140:141]
	v_div_scale_f64 v[142:143], vcc_lo, 1.0, v[134:135], 1.0
	v_mul_f64 v[144:145], v[142:143], v[140:141]
	v_fma_f64 v[136:137], -v[136:137], v[144:145], v[142:143]
	v_div_fmas_f64 v[136:137], v[136:137], v[140:141], v[144:145]
	v_div_fixup_f64 v[140:141], v[136:137], v[134:135], 1.0
                                        ; implicit-def: $vgpr134_vgpr135
	v_mul_f64 v[138:139], v[138:139], v[140:141]
	v_xor_b32_e32 v141, 0x80000000, v141
.LBB65_167:
	s_andn2_saveexec_b32 s1, s1
	s_cbranch_execz .LBB65_169
; %bb.168:
	v_div_scale_f64 v[138:139], null, v[134:135], v[134:135], v[136:137]
	v_div_scale_f64 v[144:145], vcc_lo, v[136:137], v[134:135], v[136:137]
	v_rcp_f64_e32 v[140:141], v[138:139]
	v_fma_f64 v[142:143], -v[138:139], v[140:141], 1.0
	v_fma_f64 v[140:141], v[140:141], v[142:143], v[140:141]
	v_fma_f64 v[142:143], -v[138:139], v[140:141], 1.0
	v_fma_f64 v[140:141], v[140:141], v[142:143], v[140:141]
	v_mul_f64 v[142:143], v[144:145], v[140:141]
	v_fma_f64 v[138:139], -v[138:139], v[142:143], v[144:145]
	v_div_fmas_f64 v[138:139], v[138:139], v[140:141], v[142:143]
	v_div_fixup_f64 v[140:141], v[138:139], v[134:135], v[136:137]
	v_fma_f64 v[134:135], v[136:137], v[140:141], v[134:135]
	v_div_scale_f64 v[136:137], null, v[134:135], v[134:135], 1.0
	v_rcp_f64_e32 v[138:139], v[136:137]
	v_fma_f64 v[142:143], -v[136:137], v[138:139], 1.0
	v_fma_f64 v[138:139], v[138:139], v[142:143], v[138:139]
	v_fma_f64 v[142:143], -v[136:137], v[138:139], 1.0
	v_fma_f64 v[138:139], v[138:139], v[142:143], v[138:139]
	v_div_scale_f64 v[142:143], vcc_lo, 1.0, v[134:135], 1.0
	v_mul_f64 v[144:145], v[142:143], v[138:139]
	v_fma_f64 v[136:137], -v[136:137], v[144:145], v[142:143]
	v_div_fmas_f64 v[136:137], v[136:137], v[138:139], v[144:145]
	v_div_fixup_f64 v[138:139], v[136:137], v[134:135], 1.0
	v_mul_f64 v[140:141], v[140:141], -v[138:139]
.LBB65_169:
	s_or_b32 exec_lo, exec_lo, s1
	ds_write2_b64 v1, v[138:139], v[140:141] offset1:1
.LBB65_170:
	s_or_b32 exec_lo, exec_lo, s2
	s_waitcnt lgkmcnt(0)
	s_barrier
	buffer_gl0_inv
	ds_read2_b64 v[134:137], v1 offset1:1
	s_mov_b32 s1, exec_lo
	s_waitcnt lgkmcnt(0)
	buffer_store_dword v134, off, s[16:19], 0 offset:168 ; 4-byte Folded Spill
	buffer_store_dword v135, off, s[16:19], 0 offset:172 ; 4-byte Folded Spill
	;; [unrolled: 1-line block ×4, first 2 shown]
	v_cmpx_lt_u32_e32 18, v0
	s_cbranch_execz .LBB65_172
; %bb.171:
	s_clause 0x3
	buffer_load_dword v136, off, s[16:19], 0 offset:168
	buffer_load_dword v137, off, s[16:19], 0 offset:172
	;; [unrolled: 1-line block ×4, first 2 shown]
	s_waitcnt vmcnt(2)
	v_mul_f64 v[134:135], v[136:137], v[60:61]
	s_waitcnt vmcnt(0)
	v_mul_f64 v[60:61], v[138:139], v[60:61]
	v_fma_f64 v[134:135], v[138:139], v[58:59], v[134:135]
	v_fma_f64 v[58:59], v[136:137], v[58:59], -v[60:61]
	ds_read2_b64 v[136:139], v148 offset0:38 offset1:39
	s_waitcnt lgkmcnt(0)
	v_mul_f64 v[60:61], v[138:139], v[134:135]
	v_fma_f64 v[60:61], v[136:137], v[58:59], -v[60:61]
	v_mul_f64 v[136:137], v[136:137], v[134:135]
	v_add_f64 v[54:55], v[54:55], -v[60:61]
	v_fma_f64 v[136:137], v[138:139], v[58:59], v[136:137]
	v_add_f64 v[56:57], v[56:57], -v[136:137]
	ds_read2_b64 v[136:139], v148 offset0:40 offset1:41
	s_waitcnt lgkmcnt(0)
	v_mul_f64 v[60:61], v[138:139], v[134:135]
	v_fma_f64 v[60:61], v[136:137], v[58:59], -v[60:61]
	v_mul_f64 v[136:137], v[136:137], v[134:135]
	v_add_f64 v[50:51], v[50:51], -v[60:61]
	v_fma_f64 v[136:137], v[138:139], v[58:59], v[136:137]
	v_add_f64 v[52:53], v[52:53], -v[136:137]
	;; [unrolled: 8-line block ×13, first 2 shown]
	ds_read2_b64 v[136:139], v148 offset0:64 offset1:65
	s_waitcnt lgkmcnt(0)
	v_mul_f64 v[60:61], v[138:139], v[134:135]
	v_fma_f64 v[60:61], v[136:137], v[58:59], -v[60:61]
	v_mul_f64 v[136:137], v[136:137], v[134:135]
	v_add_f64 v[2:3], v[2:3], -v[60:61]
	v_fma_f64 v[136:137], v[138:139], v[58:59], v[136:137]
	v_mov_b32_e32 v60, v134
	v_mov_b32_e32 v61, v135
	v_add_f64 v[4:5], v[4:5], -v[136:137]
.LBB65_172:
	s_or_b32 exec_lo, exec_lo, s1
	s_mov_b32 s2, exec_lo
	s_waitcnt_vscnt null, 0x0
	s_barrier
	buffer_gl0_inv
	v_cmpx_eq_u32_e32 19, v0
	s_cbranch_execz .LBB65_179
; %bb.173:
	ds_write2_b64 v1, v[54:55], v[56:57] offset1:1
	ds_write2_b64 v148, v[50:51], v[52:53] offset0:40 offset1:41
	ds_write2_b64 v148, v[46:47], v[48:49] offset0:42 offset1:43
	;; [unrolled: 1-line block ×13, first 2 shown]
	ds_read2_b64 v[134:137], v1 offset1:1
	s_waitcnt lgkmcnt(0)
	v_cmp_neq_f64_e32 vcc_lo, 0, v[134:135]
	v_cmp_neq_f64_e64 s1, 0, v[136:137]
	s_or_b32 s1, vcc_lo, s1
	s_and_b32 exec_lo, exec_lo, s1
	s_cbranch_execz .LBB65_179
; %bb.174:
	v_cmp_ngt_f64_e64 s1, |v[134:135]|, |v[136:137]|
                                        ; implicit-def: $vgpr138_vgpr139
	s_and_saveexec_b32 s3, s1
	s_xor_b32 s1, exec_lo, s3
                                        ; implicit-def: $vgpr140_vgpr141
	s_cbranch_execz .LBB65_176
; %bb.175:
	v_div_scale_f64 v[138:139], null, v[136:137], v[136:137], v[134:135]
	v_div_scale_f64 v[144:145], vcc_lo, v[134:135], v[136:137], v[134:135]
	v_rcp_f64_e32 v[140:141], v[138:139]
	v_fma_f64 v[142:143], -v[138:139], v[140:141], 1.0
	v_fma_f64 v[140:141], v[140:141], v[142:143], v[140:141]
	v_fma_f64 v[142:143], -v[138:139], v[140:141], 1.0
	v_fma_f64 v[140:141], v[140:141], v[142:143], v[140:141]
	v_mul_f64 v[142:143], v[144:145], v[140:141]
	v_fma_f64 v[138:139], -v[138:139], v[142:143], v[144:145]
	v_div_fmas_f64 v[138:139], v[138:139], v[140:141], v[142:143]
	v_div_fixup_f64 v[138:139], v[138:139], v[136:137], v[134:135]
	v_fma_f64 v[134:135], v[134:135], v[138:139], v[136:137]
	v_div_scale_f64 v[136:137], null, v[134:135], v[134:135], 1.0
	v_rcp_f64_e32 v[140:141], v[136:137]
	v_fma_f64 v[142:143], -v[136:137], v[140:141], 1.0
	v_fma_f64 v[140:141], v[140:141], v[142:143], v[140:141]
	v_fma_f64 v[142:143], -v[136:137], v[140:141], 1.0
	v_fma_f64 v[140:141], v[140:141], v[142:143], v[140:141]
	v_div_scale_f64 v[142:143], vcc_lo, 1.0, v[134:135], 1.0
	v_mul_f64 v[144:145], v[142:143], v[140:141]
	v_fma_f64 v[136:137], -v[136:137], v[144:145], v[142:143]
	v_div_fmas_f64 v[136:137], v[136:137], v[140:141], v[144:145]
	v_div_fixup_f64 v[140:141], v[136:137], v[134:135], 1.0
                                        ; implicit-def: $vgpr134_vgpr135
	v_mul_f64 v[138:139], v[138:139], v[140:141]
	v_xor_b32_e32 v141, 0x80000000, v141
.LBB65_176:
	s_andn2_saveexec_b32 s1, s1
	s_cbranch_execz .LBB65_178
; %bb.177:
	v_div_scale_f64 v[138:139], null, v[134:135], v[134:135], v[136:137]
	v_div_scale_f64 v[144:145], vcc_lo, v[136:137], v[134:135], v[136:137]
	v_rcp_f64_e32 v[140:141], v[138:139]
	v_fma_f64 v[142:143], -v[138:139], v[140:141], 1.0
	v_fma_f64 v[140:141], v[140:141], v[142:143], v[140:141]
	v_fma_f64 v[142:143], -v[138:139], v[140:141], 1.0
	v_fma_f64 v[140:141], v[140:141], v[142:143], v[140:141]
	v_mul_f64 v[142:143], v[144:145], v[140:141]
	v_fma_f64 v[138:139], -v[138:139], v[142:143], v[144:145]
	v_div_fmas_f64 v[138:139], v[138:139], v[140:141], v[142:143]
	v_div_fixup_f64 v[140:141], v[138:139], v[134:135], v[136:137]
	v_fma_f64 v[134:135], v[136:137], v[140:141], v[134:135]
	v_div_scale_f64 v[136:137], null, v[134:135], v[134:135], 1.0
	v_rcp_f64_e32 v[138:139], v[136:137]
	v_fma_f64 v[142:143], -v[136:137], v[138:139], 1.0
	v_fma_f64 v[138:139], v[138:139], v[142:143], v[138:139]
	v_fma_f64 v[142:143], -v[136:137], v[138:139], 1.0
	v_fma_f64 v[138:139], v[138:139], v[142:143], v[138:139]
	v_div_scale_f64 v[142:143], vcc_lo, 1.0, v[134:135], 1.0
	v_mul_f64 v[144:145], v[142:143], v[138:139]
	v_fma_f64 v[136:137], -v[136:137], v[144:145], v[142:143]
	v_div_fmas_f64 v[136:137], v[136:137], v[138:139], v[144:145]
	v_div_fixup_f64 v[138:139], v[136:137], v[134:135], 1.0
	v_mul_f64 v[140:141], v[140:141], -v[138:139]
.LBB65_178:
	s_or_b32 exec_lo, exec_lo, s1
	ds_write2_b64 v1, v[138:139], v[140:141] offset1:1
.LBB65_179:
	s_or_b32 exec_lo, exec_lo, s2
	s_waitcnt lgkmcnt(0)
	s_barrier
	buffer_gl0_inv
	ds_read2_b64 v[134:137], v1 offset1:1
	s_mov_b32 s1, exec_lo
	s_waitcnt lgkmcnt(0)
	buffer_store_dword v134, off, s[16:19], 0 offset:184 ; 4-byte Folded Spill
	buffer_store_dword v135, off, s[16:19], 0 offset:188 ; 4-byte Folded Spill
	;; [unrolled: 1-line block ×4, first 2 shown]
	v_cmpx_lt_u32_e32 19, v0
	s_cbranch_execz .LBB65_181
; %bb.180:
	s_clause 0x3
	buffer_load_dword v136, off, s[16:19], 0 offset:184
	buffer_load_dword v137, off, s[16:19], 0 offset:188
	;; [unrolled: 1-line block ×4, first 2 shown]
	s_waitcnt vmcnt(2)
	v_mul_f64 v[134:135], v[136:137], v[56:57]
	s_waitcnt vmcnt(0)
	v_mul_f64 v[56:57], v[138:139], v[56:57]
	v_fma_f64 v[134:135], v[138:139], v[54:55], v[134:135]
	v_fma_f64 v[54:55], v[136:137], v[54:55], -v[56:57]
	ds_read2_b64 v[136:139], v148 offset0:40 offset1:41
	s_waitcnt lgkmcnt(0)
	v_mul_f64 v[56:57], v[138:139], v[134:135]
	v_fma_f64 v[56:57], v[136:137], v[54:55], -v[56:57]
	v_mul_f64 v[136:137], v[136:137], v[134:135]
	v_add_f64 v[50:51], v[50:51], -v[56:57]
	v_fma_f64 v[136:137], v[138:139], v[54:55], v[136:137]
	v_add_f64 v[52:53], v[52:53], -v[136:137]
	ds_read2_b64 v[136:139], v148 offset0:42 offset1:43
	s_waitcnt lgkmcnt(0)
	v_mul_f64 v[56:57], v[138:139], v[134:135]
	v_fma_f64 v[56:57], v[136:137], v[54:55], -v[56:57]
	v_mul_f64 v[136:137], v[136:137], v[134:135]
	v_add_f64 v[46:47], v[46:47], -v[56:57]
	v_fma_f64 v[136:137], v[138:139], v[54:55], v[136:137]
	v_add_f64 v[48:49], v[48:49], -v[136:137]
	;; [unrolled: 8-line block ×12, first 2 shown]
	ds_read2_b64 v[136:139], v148 offset0:64 offset1:65
	s_waitcnt lgkmcnt(0)
	v_mul_f64 v[56:57], v[138:139], v[134:135]
	v_fma_f64 v[56:57], v[136:137], v[54:55], -v[56:57]
	v_mul_f64 v[136:137], v[136:137], v[134:135]
	v_add_f64 v[2:3], v[2:3], -v[56:57]
	v_fma_f64 v[136:137], v[138:139], v[54:55], v[136:137]
	v_mov_b32_e32 v56, v134
	v_mov_b32_e32 v57, v135
	v_add_f64 v[4:5], v[4:5], -v[136:137]
.LBB65_181:
	s_or_b32 exec_lo, exec_lo, s1
	s_mov_b32 s2, exec_lo
	s_waitcnt_vscnt null, 0x0
	s_barrier
	buffer_gl0_inv
	v_cmpx_eq_u32_e32 20, v0
	s_cbranch_execz .LBB65_188
; %bb.182:
	ds_write2_b64 v1, v[50:51], v[52:53] offset1:1
	ds_write2_b64 v148, v[46:47], v[48:49] offset0:42 offset1:43
	ds_write2_b64 v148, v[42:43], v[44:45] offset0:44 offset1:45
	;; [unrolled: 1-line block ×12, first 2 shown]
	ds_read2_b64 v[134:137], v1 offset1:1
	s_waitcnt lgkmcnt(0)
	v_cmp_neq_f64_e32 vcc_lo, 0, v[134:135]
	v_cmp_neq_f64_e64 s1, 0, v[136:137]
	s_or_b32 s1, vcc_lo, s1
	s_and_b32 exec_lo, exec_lo, s1
	s_cbranch_execz .LBB65_188
; %bb.183:
	v_cmp_ngt_f64_e64 s1, |v[134:135]|, |v[136:137]|
                                        ; implicit-def: $vgpr138_vgpr139
	s_and_saveexec_b32 s3, s1
	s_xor_b32 s1, exec_lo, s3
                                        ; implicit-def: $vgpr140_vgpr141
	s_cbranch_execz .LBB65_185
; %bb.184:
	v_div_scale_f64 v[138:139], null, v[136:137], v[136:137], v[134:135]
	v_div_scale_f64 v[144:145], vcc_lo, v[134:135], v[136:137], v[134:135]
	v_rcp_f64_e32 v[140:141], v[138:139]
	v_fma_f64 v[142:143], -v[138:139], v[140:141], 1.0
	v_fma_f64 v[140:141], v[140:141], v[142:143], v[140:141]
	v_fma_f64 v[142:143], -v[138:139], v[140:141], 1.0
	v_fma_f64 v[140:141], v[140:141], v[142:143], v[140:141]
	v_mul_f64 v[142:143], v[144:145], v[140:141]
	v_fma_f64 v[138:139], -v[138:139], v[142:143], v[144:145]
	v_div_fmas_f64 v[138:139], v[138:139], v[140:141], v[142:143]
	v_div_fixup_f64 v[138:139], v[138:139], v[136:137], v[134:135]
	v_fma_f64 v[134:135], v[134:135], v[138:139], v[136:137]
	v_div_scale_f64 v[136:137], null, v[134:135], v[134:135], 1.0
	v_rcp_f64_e32 v[140:141], v[136:137]
	v_fma_f64 v[142:143], -v[136:137], v[140:141], 1.0
	v_fma_f64 v[140:141], v[140:141], v[142:143], v[140:141]
	v_fma_f64 v[142:143], -v[136:137], v[140:141], 1.0
	v_fma_f64 v[140:141], v[140:141], v[142:143], v[140:141]
	v_div_scale_f64 v[142:143], vcc_lo, 1.0, v[134:135], 1.0
	v_mul_f64 v[144:145], v[142:143], v[140:141]
	v_fma_f64 v[136:137], -v[136:137], v[144:145], v[142:143]
	v_div_fmas_f64 v[136:137], v[136:137], v[140:141], v[144:145]
	v_div_fixup_f64 v[140:141], v[136:137], v[134:135], 1.0
                                        ; implicit-def: $vgpr134_vgpr135
	v_mul_f64 v[138:139], v[138:139], v[140:141]
	v_xor_b32_e32 v141, 0x80000000, v141
.LBB65_185:
	s_andn2_saveexec_b32 s1, s1
	s_cbranch_execz .LBB65_187
; %bb.186:
	v_div_scale_f64 v[138:139], null, v[134:135], v[134:135], v[136:137]
	v_div_scale_f64 v[144:145], vcc_lo, v[136:137], v[134:135], v[136:137]
	v_rcp_f64_e32 v[140:141], v[138:139]
	v_fma_f64 v[142:143], -v[138:139], v[140:141], 1.0
	v_fma_f64 v[140:141], v[140:141], v[142:143], v[140:141]
	v_fma_f64 v[142:143], -v[138:139], v[140:141], 1.0
	v_fma_f64 v[140:141], v[140:141], v[142:143], v[140:141]
	v_mul_f64 v[142:143], v[144:145], v[140:141]
	v_fma_f64 v[138:139], -v[138:139], v[142:143], v[144:145]
	v_div_fmas_f64 v[138:139], v[138:139], v[140:141], v[142:143]
	v_div_fixup_f64 v[140:141], v[138:139], v[134:135], v[136:137]
	v_fma_f64 v[134:135], v[136:137], v[140:141], v[134:135]
	v_div_scale_f64 v[136:137], null, v[134:135], v[134:135], 1.0
	v_rcp_f64_e32 v[138:139], v[136:137]
	v_fma_f64 v[142:143], -v[136:137], v[138:139], 1.0
	v_fma_f64 v[138:139], v[138:139], v[142:143], v[138:139]
	v_fma_f64 v[142:143], -v[136:137], v[138:139], 1.0
	v_fma_f64 v[138:139], v[138:139], v[142:143], v[138:139]
	v_div_scale_f64 v[142:143], vcc_lo, 1.0, v[134:135], 1.0
	v_mul_f64 v[144:145], v[142:143], v[138:139]
	v_fma_f64 v[136:137], -v[136:137], v[144:145], v[142:143]
	v_div_fmas_f64 v[136:137], v[136:137], v[138:139], v[144:145]
	v_div_fixup_f64 v[138:139], v[136:137], v[134:135], 1.0
	v_mul_f64 v[140:141], v[140:141], -v[138:139]
.LBB65_187:
	s_or_b32 exec_lo, exec_lo, s1
	ds_write2_b64 v1, v[138:139], v[140:141] offset1:1
.LBB65_188:
	s_or_b32 exec_lo, exec_lo, s2
	s_waitcnt lgkmcnt(0)
	s_barrier
	buffer_gl0_inv
	ds_read2_b64 v[134:137], v1 offset1:1
	s_mov_b32 s1, exec_lo
	s_waitcnt lgkmcnt(0)
	buffer_store_dword v134, off, s[16:19], 0 offset:200 ; 4-byte Folded Spill
	buffer_store_dword v135, off, s[16:19], 0 offset:204 ; 4-byte Folded Spill
	;; [unrolled: 1-line block ×4, first 2 shown]
	v_cmpx_lt_u32_e32 20, v0
	s_cbranch_execz .LBB65_190
; %bb.189:
	s_clause 0x3
	buffer_load_dword v140, off, s[16:19], 0 offset:200
	buffer_load_dword v141, off, s[16:19], 0 offset:204
	;; [unrolled: 1-line block ×4, first 2 shown]
	s_waitcnt vmcnt(2)
	v_mul_f64 v[134:135], v[140:141], v[52:53]
	s_waitcnt vmcnt(0)
	v_mul_f64 v[52:53], v[142:143], v[52:53]
	v_fma_f64 v[138:139], v[142:143], v[50:51], v[134:135]
	ds_read2_b64 v[134:137], v148 offset0:42 offset1:43
	v_fma_f64 v[50:51], v[140:141], v[50:51], -v[52:53]
	s_waitcnt lgkmcnt(0)
	v_mul_f64 v[52:53], v[136:137], v[138:139]
	v_fma_f64 v[52:53], v[134:135], v[50:51], -v[52:53]
	v_mul_f64 v[134:135], v[134:135], v[138:139]
	v_add_f64 v[46:47], v[46:47], -v[52:53]
	v_fma_f64 v[134:135], v[136:137], v[50:51], v[134:135]
	v_add_f64 v[48:49], v[48:49], -v[134:135]
	ds_read2_b64 v[134:137], v148 offset0:44 offset1:45
	s_waitcnt lgkmcnt(0)
	v_mul_f64 v[52:53], v[136:137], v[138:139]
	v_fma_f64 v[52:53], v[134:135], v[50:51], -v[52:53]
	v_mul_f64 v[134:135], v[134:135], v[138:139]
	v_add_f64 v[42:43], v[42:43], -v[52:53]
	v_fma_f64 v[134:135], v[136:137], v[50:51], v[134:135]
	v_add_f64 v[44:45], v[44:45], -v[134:135]
	ds_read2_b64 v[134:137], v148 offset0:46 offset1:47
	;; [unrolled: 8-line block ×11, first 2 shown]
	s_waitcnt lgkmcnt(0)
	v_mul_f64 v[52:53], v[136:137], v[138:139]
	v_fma_f64 v[52:53], v[134:135], v[50:51], -v[52:53]
	v_mul_f64 v[134:135], v[134:135], v[138:139]
	v_add_f64 v[2:3], v[2:3], -v[52:53]
	v_fma_f64 v[134:135], v[136:137], v[50:51], v[134:135]
	v_mov_b32_e32 v52, v138
	v_mov_b32_e32 v53, v139
	v_add_f64 v[4:5], v[4:5], -v[134:135]
.LBB65_190:
	s_or_b32 exec_lo, exec_lo, s1
	s_mov_b32 s2, exec_lo
	s_waitcnt_vscnt null, 0x0
	s_barrier
	buffer_gl0_inv
	v_cmpx_eq_u32_e32 21, v0
	s_cbranch_execz .LBB65_197
; %bb.191:
	ds_write2_b64 v1, v[46:47], v[48:49] offset1:1
	ds_write2_b64 v148, v[42:43], v[44:45] offset0:44 offset1:45
	ds_write2_b64 v148, v[38:39], v[40:41] offset0:46 offset1:47
	;; [unrolled: 1-line block ×11, first 2 shown]
	ds_read2_b64 v[134:137], v1 offset1:1
	s_waitcnt lgkmcnt(0)
	v_cmp_neq_f64_e32 vcc_lo, 0, v[134:135]
	v_cmp_neq_f64_e64 s1, 0, v[136:137]
	s_or_b32 s1, vcc_lo, s1
	s_and_b32 exec_lo, exec_lo, s1
	s_cbranch_execz .LBB65_197
; %bb.192:
	v_cmp_ngt_f64_e64 s1, |v[134:135]|, |v[136:137]|
                                        ; implicit-def: $vgpr138_vgpr139
	s_and_saveexec_b32 s3, s1
	s_xor_b32 s1, exec_lo, s3
                                        ; implicit-def: $vgpr140_vgpr141
	s_cbranch_execz .LBB65_194
; %bb.193:
	v_div_scale_f64 v[138:139], null, v[136:137], v[136:137], v[134:135]
	v_div_scale_f64 v[144:145], vcc_lo, v[134:135], v[136:137], v[134:135]
	v_rcp_f64_e32 v[140:141], v[138:139]
	v_fma_f64 v[142:143], -v[138:139], v[140:141], 1.0
	v_fma_f64 v[140:141], v[140:141], v[142:143], v[140:141]
	v_fma_f64 v[142:143], -v[138:139], v[140:141], 1.0
	v_fma_f64 v[140:141], v[140:141], v[142:143], v[140:141]
	v_mul_f64 v[142:143], v[144:145], v[140:141]
	v_fma_f64 v[138:139], -v[138:139], v[142:143], v[144:145]
	v_div_fmas_f64 v[138:139], v[138:139], v[140:141], v[142:143]
	v_div_fixup_f64 v[138:139], v[138:139], v[136:137], v[134:135]
	v_fma_f64 v[134:135], v[134:135], v[138:139], v[136:137]
	v_div_scale_f64 v[136:137], null, v[134:135], v[134:135], 1.0
	v_rcp_f64_e32 v[140:141], v[136:137]
	v_fma_f64 v[142:143], -v[136:137], v[140:141], 1.0
	v_fma_f64 v[140:141], v[140:141], v[142:143], v[140:141]
	v_fma_f64 v[142:143], -v[136:137], v[140:141], 1.0
	v_fma_f64 v[140:141], v[140:141], v[142:143], v[140:141]
	v_div_scale_f64 v[142:143], vcc_lo, 1.0, v[134:135], 1.0
	v_mul_f64 v[144:145], v[142:143], v[140:141]
	v_fma_f64 v[136:137], -v[136:137], v[144:145], v[142:143]
	v_div_fmas_f64 v[136:137], v[136:137], v[140:141], v[144:145]
	v_div_fixup_f64 v[140:141], v[136:137], v[134:135], 1.0
                                        ; implicit-def: $vgpr134_vgpr135
	v_mul_f64 v[138:139], v[138:139], v[140:141]
	v_xor_b32_e32 v141, 0x80000000, v141
.LBB65_194:
	s_andn2_saveexec_b32 s1, s1
	s_cbranch_execz .LBB65_196
; %bb.195:
	v_div_scale_f64 v[138:139], null, v[134:135], v[134:135], v[136:137]
	v_div_scale_f64 v[144:145], vcc_lo, v[136:137], v[134:135], v[136:137]
	v_rcp_f64_e32 v[140:141], v[138:139]
	v_fma_f64 v[142:143], -v[138:139], v[140:141], 1.0
	v_fma_f64 v[140:141], v[140:141], v[142:143], v[140:141]
	v_fma_f64 v[142:143], -v[138:139], v[140:141], 1.0
	v_fma_f64 v[140:141], v[140:141], v[142:143], v[140:141]
	v_mul_f64 v[142:143], v[144:145], v[140:141]
	v_fma_f64 v[138:139], -v[138:139], v[142:143], v[144:145]
	v_div_fmas_f64 v[138:139], v[138:139], v[140:141], v[142:143]
	v_div_fixup_f64 v[140:141], v[138:139], v[134:135], v[136:137]
	v_fma_f64 v[134:135], v[136:137], v[140:141], v[134:135]
	v_div_scale_f64 v[136:137], null, v[134:135], v[134:135], 1.0
	v_rcp_f64_e32 v[138:139], v[136:137]
	v_fma_f64 v[142:143], -v[136:137], v[138:139], 1.0
	v_fma_f64 v[138:139], v[138:139], v[142:143], v[138:139]
	v_fma_f64 v[142:143], -v[136:137], v[138:139], 1.0
	v_fma_f64 v[138:139], v[138:139], v[142:143], v[138:139]
	v_div_scale_f64 v[142:143], vcc_lo, 1.0, v[134:135], 1.0
	v_mul_f64 v[144:145], v[142:143], v[138:139]
	v_fma_f64 v[136:137], -v[136:137], v[144:145], v[142:143]
	v_div_fmas_f64 v[136:137], v[136:137], v[138:139], v[144:145]
	v_div_fixup_f64 v[138:139], v[136:137], v[134:135], 1.0
	v_mul_f64 v[140:141], v[140:141], -v[138:139]
.LBB65_196:
	s_or_b32 exec_lo, exec_lo, s1
	ds_write2_b64 v1, v[138:139], v[140:141] offset1:1
.LBB65_197:
	s_or_b32 exec_lo, exec_lo, s2
	s_waitcnt lgkmcnt(0)
	s_barrier
	buffer_gl0_inv
	ds_read2_b64 v[134:137], v1 offset1:1
	s_mov_b32 s1, exec_lo
	s_waitcnt lgkmcnt(0)
	buffer_store_dword v134, off, s[16:19], 0 offset:216 ; 4-byte Folded Spill
	buffer_store_dword v135, off, s[16:19], 0 offset:220 ; 4-byte Folded Spill
	;; [unrolled: 1-line block ×4, first 2 shown]
	v_cmpx_lt_u32_e32 21, v0
	s_cbranch_execz .LBB65_199
; %bb.198:
	s_clause 0x3
	buffer_load_dword v140, off, s[16:19], 0 offset:216
	buffer_load_dword v141, off, s[16:19], 0 offset:220
	;; [unrolled: 1-line block ×4, first 2 shown]
	s_waitcnt vmcnt(2)
	v_mul_f64 v[134:135], v[140:141], v[48:49]
	s_waitcnt vmcnt(0)
	v_mul_f64 v[48:49], v[142:143], v[48:49]
	v_fma_f64 v[138:139], v[142:143], v[46:47], v[134:135]
	ds_read2_b64 v[134:137], v148 offset0:44 offset1:45
	v_fma_f64 v[46:47], v[140:141], v[46:47], -v[48:49]
	s_waitcnt lgkmcnt(0)
	v_mul_f64 v[48:49], v[136:137], v[138:139]
	v_fma_f64 v[48:49], v[134:135], v[46:47], -v[48:49]
	v_mul_f64 v[134:135], v[134:135], v[138:139]
	v_add_f64 v[42:43], v[42:43], -v[48:49]
	v_fma_f64 v[134:135], v[136:137], v[46:47], v[134:135]
	v_add_f64 v[44:45], v[44:45], -v[134:135]
	ds_read2_b64 v[134:137], v148 offset0:46 offset1:47
	s_waitcnt lgkmcnt(0)
	v_mul_f64 v[48:49], v[136:137], v[138:139]
	v_fma_f64 v[48:49], v[134:135], v[46:47], -v[48:49]
	v_mul_f64 v[134:135], v[134:135], v[138:139]
	v_add_f64 v[38:39], v[38:39], -v[48:49]
	v_fma_f64 v[134:135], v[136:137], v[46:47], v[134:135]
	v_add_f64 v[40:41], v[40:41], -v[134:135]
	ds_read2_b64 v[134:137], v148 offset0:48 offset1:49
	;; [unrolled: 8-line block ×10, first 2 shown]
	s_waitcnt lgkmcnt(0)
	v_mul_f64 v[48:49], v[136:137], v[138:139]
	v_fma_f64 v[48:49], v[134:135], v[46:47], -v[48:49]
	v_mul_f64 v[134:135], v[134:135], v[138:139]
	v_add_f64 v[2:3], v[2:3], -v[48:49]
	v_fma_f64 v[134:135], v[136:137], v[46:47], v[134:135]
	v_mov_b32_e32 v48, v138
	v_mov_b32_e32 v49, v139
	v_add_f64 v[4:5], v[4:5], -v[134:135]
.LBB65_199:
	s_or_b32 exec_lo, exec_lo, s1
	s_mov_b32 s2, exec_lo
	s_waitcnt_vscnt null, 0x0
	s_barrier
	buffer_gl0_inv
	v_cmpx_eq_u32_e32 22, v0
	s_cbranch_execz .LBB65_206
; %bb.200:
	ds_write2_b64 v1, v[42:43], v[44:45] offset1:1
	ds_write2_b64 v148, v[38:39], v[40:41] offset0:46 offset1:47
	ds_write2_b64 v148, v[34:35], v[36:37] offset0:48 offset1:49
	;; [unrolled: 1-line block ×10, first 2 shown]
	ds_read2_b64 v[134:137], v1 offset1:1
	s_waitcnt lgkmcnt(0)
	v_cmp_neq_f64_e32 vcc_lo, 0, v[134:135]
	v_cmp_neq_f64_e64 s1, 0, v[136:137]
	s_or_b32 s1, vcc_lo, s1
	s_and_b32 exec_lo, exec_lo, s1
	s_cbranch_execz .LBB65_206
; %bb.201:
	v_cmp_ngt_f64_e64 s1, |v[134:135]|, |v[136:137]|
                                        ; implicit-def: $vgpr138_vgpr139
	s_and_saveexec_b32 s3, s1
	s_xor_b32 s1, exec_lo, s3
                                        ; implicit-def: $vgpr140_vgpr141
	s_cbranch_execz .LBB65_203
; %bb.202:
	v_div_scale_f64 v[138:139], null, v[136:137], v[136:137], v[134:135]
	v_div_scale_f64 v[144:145], vcc_lo, v[134:135], v[136:137], v[134:135]
	v_rcp_f64_e32 v[140:141], v[138:139]
	v_fma_f64 v[142:143], -v[138:139], v[140:141], 1.0
	v_fma_f64 v[140:141], v[140:141], v[142:143], v[140:141]
	v_fma_f64 v[142:143], -v[138:139], v[140:141], 1.0
	v_fma_f64 v[140:141], v[140:141], v[142:143], v[140:141]
	v_mul_f64 v[142:143], v[144:145], v[140:141]
	v_fma_f64 v[138:139], -v[138:139], v[142:143], v[144:145]
	v_div_fmas_f64 v[138:139], v[138:139], v[140:141], v[142:143]
	v_div_fixup_f64 v[138:139], v[138:139], v[136:137], v[134:135]
	v_fma_f64 v[134:135], v[134:135], v[138:139], v[136:137]
	v_div_scale_f64 v[136:137], null, v[134:135], v[134:135], 1.0
	v_rcp_f64_e32 v[140:141], v[136:137]
	v_fma_f64 v[142:143], -v[136:137], v[140:141], 1.0
	v_fma_f64 v[140:141], v[140:141], v[142:143], v[140:141]
	v_fma_f64 v[142:143], -v[136:137], v[140:141], 1.0
	v_fma_f64 v[140:141], v[140:141], v[142:143], v[140:141]
	v_div_scale_f64 v[142:143], vcc_lo, 1.0, v[134:135], 1.0
	v_mul_f64 v[144:145], v[142:143], v[140:141]
	v_fma_f64 v[136:137], -v[136:137], v[144:145], v[142:143]
	v_div_fmas_f64 v[136:137], v[136:137], v[140:141], v[144:145]
	v_div_fixup_f64 v[140:141], v[136:137], v[134:135], 1.0
                                        ; implicit-def: $vgpr134_vgpr135
	v_mul_f64 v[138:139], v[138:139], v[140:141]
	v_xor_b32_e32 v141, 0x80000000, v141
.LBB65_203:
	s_andn2_saveexec_b32 s1, s1
	s_cbranch_execz .LBB65_205
; %bb.204:
	v_div_scale_f64 v[138:139], null, v[134:135], v[134:135], v[136:137]
	v_div_scale_f64 v[144:145], vcc_lo, v[136:137], v[134:135], v[136:137]
	v_rcp_f64_e32 v[140:141], v[138:139]
	v_fma_f64 v[142:143], -v[138:139], v[140:141], 1.0
	v_fma_f64 v[140:141], v[140:141], v[142:143], v[140:141]
	v_fma_f64 v[142:143], -v[138:139], v[140:141], 1.0
	v_fma_f64 v[140:141], v[140:141], v[142:143], v[140:141]
	v_mul_f64 v[142:143], v[144:145], v[140:141]
	v_fma_f64 v[138:139], -v[138:139], v[142:143], v[144:145]
	v_div_fmas_f64 v[138:139], v[138:139], v[140:141], v[142:143]
	v_div_fixup_f64 v[140:141], v[138:139], v[134:135], v[136:137]
	v_fma_f64 v[134:135], v[136:137], v[140:141], v[134:135]
	v_div_scale_f64 v[136:137], null, v[134:135], v[134:135], 1.0
	v_rcp_f64_e32 v[138:139], v[136:137]
	v_fma_f64 v[142:143], -v[136:137], v[138:139], 1.0
	v_fma_f64 v[138:139], v[138:139], v[142:143], v[138:139]
	v_fma_f64 v[142:143], -v[136:137], v[138:139], 1.0
	v_fma_f64 v[138:139], v[138:139], v[142:143], v[138:139]
	v_div_scale_f64 v[142:143], vcc_lo, 1.0, v[134:135], 1.0
	v_mul_f64 v[144:145], v[142:143], v[138:139]
	v_fma_f64 v[136:137], -v[136:137], v[144:145], v[142:143]
	v_div_fmas_f64 v[136:137], v[136:137], v[138:139], v[144:145]
	v_div_fixup_f64 v[138:139], v[136:137], v[134:135], 1.0
	v_mul_f64 v[140:141], v[140:141], -v[138:139]
.LBB65_205:
	s_or_b32 exec_lo, exec_lo, s1
	ds_write2_b64 v1, v[138:139], v[140:141] offset1:1
.LBB65_206:
	s_or_b32 exec_lo, exec_lo, s2
	s_waitcnt lgkmcnt(0)
	s_barrier
	buffer_gl0_inv
	ds_read2_b64 v[134:137], v1 offset1:1
	s_mov_b32 s1, exec_lo
	s_waitcnt lgkmcnt(0)
	buffer_store_dword v134, off, s[16:19], 0 offset:232 ; 4-byte Folded Spill
	buffer_store_dword v135, off, s[16:19], 0 offset:236 ; 4-byte Folded Spill
	;; [unrolled: 1-line block ×4, first 2 shown]
	v_cmpx_lt_u32_e32 22, v0
	s_cbranch_execz .LBB65_208
; %bb.207:
	s_clause 0x3
	buffer_load_dword v140, off, s[16:19], 0 offset:232
	buffer_load_dword v141, off, s[16:19], 0 offset:236
	;; [unrolled: 1-line block ×4, first 2 shown]
	s_waitcnt vmcnt(2)
	v_mul_f64 v[134:135], v[140:141], v[44:45]
	s_waitcnt vmcnt(0)
	v_mul_f64 v[44:45], v[142:143], v[44:45]
	v_fma_f64 v[138:139], v[142:143], v[42:43], v[134:135]
	ds_read2_b64 v[134:137], v148 offset0:46 offset1:47
	v_fma_f64 v[42:43], v[140:141], v[42:43], -v[44:45]
	s_waitcnt lgkmcnt(0)
	v_mul_f64 v[44:45], v[136:137], v[138:139]
	v_fma_f64 v[44:45], v[134:135], v[42:43], -v[44:45]
	v_mul_f64 v[134:135], v[134:135], v[138:139]
	v_add_f64 v[38:39], v[38:39], -v[44:45]
	v_fma_f64 v[134:135], v[136:137], v[42:43], v[134:135]
	v_add_f64 v[40:41], v[40:41], -v[134:135]
	ds_read2_b64 v[134:137], v148 offset0:48 offset1:49
	s_waitcnt lgkmcnt(0)
	v_mul_f64 v[44:45], v[136:137], v[138:139]
	v_fma_f64 v[44:45], v[134:135], v[42:43], -v[44:45]
	v_mul_f64 v[134:135], v[134:135], v[138:139]
	v_add_f64 v[34:35], v[34:35], -v[44:45]
	v_fma_f64 v[134:135], v[136:137], v[42:43], v[134:135]
	v_add_f64 v[36:37], v[36:37], -v[134:135]
	ds_read2_b64 v[134:137], v148 offset0:50 offset1:51
	;; [unrolled: 8-line block ×9, first 2 shown]
	s_waitcnt lgkmcnt(0)
	v_mul_f64 v[44:45], v[136:137], v[138:139]
	v_fma_f64 v[44:45], v[134:135], v[42:43], -v[44:45]
	v_mul_f64 v[134:135], v[134:135], v[138:139]
	v_add_f64 v[2:3], v[2:3], -v[44:45]
	v_fma_f64 v[134:135], v[136:137], v[42:43], v[134:135]
	v_mov_b32_e32 v44, v138
	v_mov_b32_e32 v45, v139
	v_add_f64 v[4:5], v[4:5], -v[134:135]
.LBB65_208:
	s_or_b32 exec_lo, exec_lo, s1
	s_mov_b32 s2, exec_lo
	s_waitcnt_vscnt null, 0x0
	s_barrier
	buffer_gl0_inv
	v_cmpx_eq_u32_e32 23, v0
	s_cbranch_execz .LBB65_215
; %bb.209:
	ds_write2_b64 v1, v[38:39], v[40:41] offset1:1
	ds_write2_b64 v148, v[34:35], v[36:37] offset0:48 offset1:49
	ds_write2_b64 v148, v[30:31], v[32:33] offset0:50 offset1:51
	;; [unrolled: 1-line block ×9, first 2 shown]
	ds_read2_b64 v[134:137], v1 offset1:1
	s_waitcnt lgkmcnt(0)
	v_cmp_neq_f64_e32 vcc_lo, 0, v[134:135]
	v_cmp_neq_f64_e64 s1, 0, v[136:137]
	s_or_b32 s1, vcc_lo, s1
	s_and_b32 exec_lo, exec_lo, s1
	s_cbranch_execz .LBB65_215
; %bb.210:
	v_cmp_ngt_f64_e64 s1, |v[134:135]|, |v[136:137]|
                                        ; implicit-def: $vgpr138_vgpr139
	s_and_saveexec_b32 s3, s1
	s_xor_b32 s1, exec_lo, s3
                                        ; implicit-def: $vgpr140_vgpr141
	s_cbranch_execz .LBB65_212
; %bb.211:
	v_div_scale_f64 v[138:139], null, v[136:137], v[136:137], v[134:135]
	v_div_scale_f64 v[144:145], vcc_lo, v[134:135], v[136:137], v[134:135]
	v_rcp_f64_e32 v[140:141], v[138:139]
	v_fma_f64 v[142:143], -v[138:139], v[140:141], 1.0
	v_fma_f64 v[140:141], v[140:141], v[142:143], v[140:141]
	v_fma_f64 v[142:143], -v[138:139], v[140:141], 1.0
	v_fma_f64 v[140:141], v[140:141], v[142:143], v[140:141]
	v_mul_f64 v[142:143], v[144:145], v[140:141]
	v_fma_f64 v[138:139], -v[138:139], v[142:143], v[144:145]
	v_div_fmas_f64 v[138:139], v[138:139], v[140:141], v[142:143]
	v_div_fixup_f64 v[138:139], v[138:139], v[136:137], v[134:135]
	v_fma_f64 v[134:135], v[134:135], v[138:139], v[136:137]
	v_div_scale_f64 v[136:137], null, v[134:135], v[134:135], 1.0
	v_rcp_f64_e32 v[140:141], v[136:137]
	v_fma_f64 v[142:143], -v[136:137], v[140:141], 1.0
	v_fma_f64 v[140:141], v[140:141], v[142:143], v[140:141]
	v_fma_f64 v[142:143], -v[136:137], v[140:141], 1.0
	v_fma_f64 v[140:141], v[140:141], v[142:143], v[140:141]
	v_div_scale_f64 v[142:143], vcc_lo, 1.0, v[134:135], 1.0
	v_mul_f64 v[144:145], v[142:143], v[140:141]
	v_fma_f64 v[136:137], -v[136:137], v[144:145], v[142:143]
	v_div_fmas_f64 v[136:137], v[136:137], v[140:141], v[144:145]
	v_div_fixup_f64 v[140:141], v[136:137], v[134:135], 1.0
                                        ; implicit-def: $vgpr134_vgpr135
	v_mul_f64 v[138:139], v[138:139], v[140:141]
	v_xor_b32_e32 v141, 0x80000000, v141
.LBB65_212:
	s_andn2_saveexec_b32 s1, s1
	s_cbranch_execz .LBB65_214
; %bb.213:
	v_div_scale_f64 v[138:139], null, v[134:135], v[134:135], v[136:137]
	v_div_scale_f64 v[144:145], vcc_lo, v[136:137], v[134:135], v[136:137]
	v_rcp_f64_e32 v[140:141], v[138:139]
	v_fma_f64 v[142:143], -v[138:139], v[140:141], 1.0
	v_fma_f64 v[140:141], v[140:141], v[142:143], v[140:141]
	v_fma_f64 v[142:143], -v[138:139], v[140:141], 1.0
	v_fma_f64 v[140:141], v[140:141], v[142:143], v[140:141]
	v_mul_f64 v[142:143], v[144:145], v[140:141]
	v_fma_f64 v[138:139], -v[138:139], v[142:143], v[144:145]
	v_div_fmas_f64 v[138:139], v[138:139], v[140:141], v[142:143]
	v_div_fixup_f64 v[140:141], v[138:139], v[134:135], v[136:137]
	v_fma_f64 v[134:135], v[136:137], v[140:141], v[134:135]
	v_div_scale_f64 v[136:137], null, v[134:135], v[134:135], 1.0
	v_rcp_f64_e32 v[138:139], v[136:137]
	v_fma_f64 v[142:143], -v[136:137], v[138:139], 1.0
	v_fma_f64 v[138:139], v[138:139], v[142:143], v[138:139]
	v_fma_f64 v[142:143], -v[136:137], v[138:139], 1.0
	v_fma_f64 v[138:139], v[138:139], v[142:143], v[138:139]
	v_div_scale_f64 v[142:143], vcc_lo, 1.0, v[134:135], 1.0
	v_mul_f64 v[144:145], v[142:143], v[138:139]
	v_fma_f64 v[136:137], -v[136:137], v[144:145], v[142:143]
	v_div_fmas_f64 v[136:137], v[136:137], v[138:139], v[144:145]
	v_div_fixup_f64 v[138:139], v[136:137], v[134:135], 1.0
	v_mul_f64 v[140:141], v[140:141], -v[138:139]
.LBB65_214:
	s_or_b32 exec_lo, exec_lo, s1
	ds_write2_b64 v1, v[138:139], v[140:141] offset1:1
.LBB65_215:
	s_or_b32 exec_lo, exec_lo, s2
	s_waitcnt lgkmcnt(0)
	s_barrier
	buffer_gl0_inv
	ds_read2_b64 v[134:137], v1 offset1:1
	s_mov_b32 s1, exec_lo
	s_waitcnt lgkmcnt(0)
	buffer_store_dword v134, off, s[16:19], 0 offset:248 ; 4-byte Folded Spill
	buffer_store_dword v135, off, s[16:19], 0 offset:252 ; 4-byte Folded Spill
	;; [unrolled: 1-line block ×4, first 2 shown]
	v_cmpx_lt_u32_e32 23, v0
	s_cbranch_execz .LBB65_217
; %bb.216:
	s_clause 0x3
	buffer_load_dword v140, off, s[16:19], 0 offset:248
	buffer_load_dword v141, off, s[16:19], 0 offset:252
	;; [unrolled: 1-line block ×4, first 2 shown]
	s_waitcnt vmcnt(2)
	v_mul_f64 v[134:135], v[140:141], v[40:41]
	s_waitcnt vmcnt(0)
	v_mul_f64 v[40:41], v[142:143], v[40:41]
	v_fma_f64 v[138:139], v[142:143], v[38:39], v[134:135]
	ds_read2_b64 v[134:137], v148 offset0:48 offset1:49
	v_fma_f64 v[38:39], v[140:141], v[38:39], -v[40:41]
	s_waitcnt lgkmcnt(0)
	v_mul_f64 v[40:41], v[136:137], v[138:139]
	v_fma_f64 v[40:41], v[134:135], v[38:39], -v[40:41]
	v_mul_f64 v[134:135], v[134:135], v[138:139]
	v_add_f64 v[34:35], v[34:35], -v[40:41]
	v_fma_f64 v[134:135], v[136:137], v[38:39], v[134:135]
	v_add_f64 v[36:37], v[36:37], -v[134:135]
	ds_read2_b64 v[134:137], v148 offset0:50 offset1:51
	s_waitcnt lgkmcnt(0)
	v_mul_f64 v[40:41], v[136:137], v[138:139]
	v_fma_f64 v[40:41], v[134:135], v[38:39], -v[40:41]
	v_mul_f64 v[134:135], v[134:135], v[138:139]
	v_add_f64 v[30:31], v[30:31], -v[40:41]
	v_fma_f64 v[134:135], v[136:137], v[38:39], v[134:135]
	v_add_f64 v[32:33], v[32:33], -v[134:135]
	ds_read2_b64 v[134:137], v148 offset0:52 offset1:53
	;; [unrolled: 8-line block ×8, first 2 shown]
	s_waitcnt lgkmcnt(0)
	v_mul_f64 v[40:41], v[136:137], v[138:139]
	v_fma_f64 v[40:41], v[134:135], v[38:39], -v[40:41]
	v_mul_f64 v[134:135], v[134:135], v[138:139]
	v_add_f64 v[2:3], v[2:3], -v[40:41]
	v_fma_f64 v[134:135], v[136:137], v[38:39], v[134:135]
	v_mov_b32_e32 v40, v138
	v_mov_b32_e32 v41, v139
	v_add_f64 v[4:5], v[4:5], -v[134:135]
.LBB65_217:
	s_or_b32 exec_lo, exec_lo, s1
	s_mov_b32 s2, exec_lo
	s_waitcnt_vscnt null, 0x0
	s_barrier
	buffer_gl0_inv
	v_cmpx_eq_u32_e32 24, v0
	s_cbranch_execz .LBB65_224
; %bb.218:
	ds_write2_b64 v1, v[34:35], v[36:37] offset1:1
	ds_write2_b64 v148, v[30:31], v[32:33] offset0:50 offset1:51
	ds_write2_b64 v148, v[26:27], v[28:29] offset0:52 offset1:53
	;; [unrolled: 1-line block ×8, first 2 shown]
	ds_read2_b64 v[134:137], v1 offset1:1
	s_waitcnt lgkmcnt(0)
	v_cmp_neq_f64_e32 vcc_lo, 0, v[134:135]
	v_cmp_neq_f64_e64 s1, 0, v[136:137]
	s_or_b32 s1, vcc_lo, s1
	s_and_b32 exec_lo, exec_lo, s1
	s_cbranch_execz .LBB65_224
; %bb.219:
	v_cmp_ngt_f64_e64 s1, |v[134:135]|, |v[136:137]|
                                        ; implicit-def: $vgpr138_vgpr139
	s_and_saveexec_b32 s3, s1
	s_xor_b32 s1, exec_lo, s3
                                        ; implicit-def: $vgpr140_vgpr141
	s_cbranch_execz .LBB65_221
; %bb.220:
	v_div_scale_f64 v[138:139], null, v[136:137], v[136:137], v[134:135]
	v_div_scale_f64 v[144:145], vcc_lo, v[134:135], v[136:137], v[134:135]
	v_rcp_f64_e32 v[140:141], v[138:139]
	v_fma_f64 v[142:143], -v[138:139], v[140:141], 1.0
	v_fma_f64 v[140:141], v[140:141], v[142:143], v[140:141]
	v_fma_f64 v[142:143], -v[138:139], v[140:141], 1.0
	v_fma_f64 v[140:141], v[140:141], v[142:143], v[140:141]
	v_mul_f64 v[142:143], v[144:145], v[140:141]
	v_fma_f64 v[138:139], -v[138:139], v[142:143], v[144:145]
	v_div_fmas_f64 v[138:139], v[138:139], v[140:141], v[142:143]
	v_div_fixup_f64 v[138:139], v[138:139], v[136:137], v[134:135]
	v_fma_f64 v[134:135], v[134:135], v[138:139], v[136:137]
	v_div_scale_f64 v[136:137], null, v[134:135], v[134:135], 1.0
	v_rcp_f64_e32 v[140:141], v[136:137]
	v_fma_f64 v[142:143], -v[136:137], v[140:141], 1.0
	v_fma_f64 v[140:141], v[140:141], v[142:143], v[140:141]
	v_fma_f64 v[142:143], -v[136:137], v[140:141], 1.0
	v_fma_f64 v[140:141], v[140:141], v[142:143], v[140:141]
	v_div_scale_f64 v[142:143], vcc_lo, 1.0, v[134:135], 1.0
	v_mul_f64 v[144:145], v[142:143], v[140:141]
	v_fma_f64 v[136:137], -v[136:137], v[144:145], v[142:143]
	v_div_fmas_f64 v[136:137], v[136:137], v[140:141], v[144:145]
	v_div_fixup_f64 v[140:141], v[136:137], v[134:135], 1.0
                                        ; implicit-def: $vgpr134_vgpr135
	v_mul_f64 v[138:139], v[138:139], v[140:141]
	v_xor_b32_e32 v141, 0x80000000, v141
.LBB65_221:
	s_andn2_saveexec_b32 s1, s1
	s_cbranch_execz .LBB65_223
; %bb.222:
	v_div_scale_f64 v[138:139], null, v[134:135], v[134:135], v[136:137]
	v_div_scale_f64 v[144:145], vcc_lo, v[136:137], v[134:135], v[136:137]
	v_rcp_f64_e32 v[140:141], v[138:139]
	v_fma_f64 v[142:143], -v[138:139], v[140:141], 1.0
	v_fma_f64 v[140:141], v[140:141], v[142:143], v[140:141]
	v_fma_f64 v[142:143], -v[138:139], v[140:141], 1.0
	v_fma_f64 v[140:141], v[140:141], v[142:143], v[140:141]
	v_mul_f64 v[142:143], v[144:145], v[140:141]
	v_fma_f64 v[138:139], -v[138:139], v[142:143], v[144:145]
	v_div_fmas_f64 v[138:139], v[138:139], v[140:141], v[142:143]
	v_div_fixup_f64 v[140:141], v[138:139], v[134:135], v[136:137]
	v_fma_f64 v[134:135], v[136:137], v[140:141], v[134:135]
	v_div_scale_f64 v[136:137], null, v[134:135], v[134:135], 1.0
	v_rcp_f64_e32 v[138:139], v[136:137]
	v_fma_f64 v[142:143], -v[136:137], v[138:139], 1.0
	v_fma_f64 v[138:139], v[138:139], v[142:143], v[138:139]
	v_fma_f64 v[142:143], -v[136:137], v[138:139], 1.0
	v_fma_f64 v[138:139], v[138:139], v[142:143], v[138:139]
	v_div_scale_f64 v[142:143], vcc_lo, 1.0, v[134:135], 1.0
	v_mul_f64 v[144:145], v[142:143], v[138:139]
	v_fma_f64 v[136:137], -v[136:137], v[144:145], v[142:143]
	v_div_fmas_f64 v[136:137], v[136:137], v[138:139], v[144:145]
	v_div_fixup_f64 v[138:139], v[136:137], v[134:135], 1.0
	v_mul_f64 v[140:141], v[140:141], -v[138:139]
.LBB65_223:
	s_or_b32 exec_lo, exec_lo, s1
	ds_write2_b64 v1, v[138:139], v[140:141] offset1:1
.LBB65_224:
	s_or_b32 exec_lo, exec_lo, s2
	s_waitcnt lgkmcnt(0)
	s_barrier
	buffer_gl0_inv
	ds_read2_b64 v[134:137], v1 offset1:1
	s_mov_b32 s1, exec_lo
	s_waitcnt lgkmcnt(0)
	buffer_store_dword v134, off, s[16:19], 0 offset:264 ; 4-byte Folded Spill
	buffer_store_dword v135, off, s[16:19], 0 offset:268 ; 4-byte Folded Spill
	;; [unrolled: 1-line block ×4, first 2 shown]
	v_cmpx_lt_u32_e32 24, v0
	s_cbranch_execz .LBB65_226
; %bb.225:
	s_clause 0x3
	buffer_load_dword v140, off, s[16:19], 0 offset:264
	buffer_load_dword v141, off, s[16:19], 0 offset:268
	buffer_load_dword v142, off, s[16:19], 0 offset:272
	buffer_load_dword v143, off, s[16:19], 0 offset:276
	s_waitcnt vmcnt(2)
	v_mul_f64 v[134:135], v[140:141], v[36:37]
	s_waitcnt vmcnt(0)
	v_mul_f64 v[36:37], v[142:143], v[36:37]
	v_fma_f64 v[138:139], v[142:143], v[34:35], v[134:135]
	ds_read2_b64 v[134:137], v148 offset0:50 offset1:51
	v_fma_f64 v[34:35], v[140:141], v[34:35], -v[36:37]
	s_waitcnt lgkmcnt(0)
	v_mul_f64 v[36:37], v[136:137], v[138:139]
	v_fma_f64 v[36:37], v[134:135], v[34:35], -v[36:37]
	v_mul_f64 v[134:135], v[134:135], v[138:139]
	v_add_f64 v[30:31], v[30:31], -v[36:37]
	v_fma_f64 v[134:135], v[136:137], v[34:35], v[134:135]
	v_add_f64 v[32:33], v[32:33], -v[134:135]
	ds_read2_b64 v[134:137], v148 offset0:52 offset1:53
	s_waitcnt lgkmcnt(0)
	v_mul_f64 v[36:37], v[136:137], v[138:139]
	v_fma_f64 v[36:37], v[134:135], v[34:35], -v[36:37]
	v_mul_f64 v[134:135], v[134:135], v[138:139]
	v_add_f64 v[26:27], v[26:27], -v[36:37]
	v_fma_f64 v[134:135], v[136:137], v[34:35], v[134:135]
	v_add_f64 v[28:29], v[28:29], -v[134:135]
	ds_read2_b64 v[134:137], v148 offset0:54 offset1:55
	;; [unrolled: 8-line block ×7, first 2 shown]
	s_waitcnt lgkmcnt(0)
	v_mul_f64 v[36:37], v[136:137], v[138:139]
	v_fma_f64 v[36:37], v[134:135], v[34:35], -v[36:37]
	v_mul_f64 v[134:135], v[134:135], v[138:139]
	v_add_f64 v[2:3], v[2:3], -v[36:37]
	v_fma_f64 v[134:135], v[136:137], v[34:35], v[134:135]
	v_mov_b32_e32 v36, v138
	v_mov_b32_e32 v37, v139
	v_add_f64 v[4:5], v[4:5], -v[134:135]
.LBB65_226:
	s_or_b32 exec_lo, exec_lo, s1
	s_mov_b32 s2, exec_lo
	s_waitcnt_vscnt null, 0x0
	s_barrier
	buffer_gl0_inv
	v_cmpx_eq_u32_e32 25, v0
	s_cbranch_execz .LBB65_233
; %bb.227:
	ds_write2_b64 v1, v[30:31], v[32:33] offset1:1
	ds_write2_b64 v148, v[26:27], v[28:29] offset0:52 offset1:53
	ds_write2_b64 v148, v[22:23], v[24:25] offset0:54 offset1:55
	;; [unrolled: 1-line block ×7, first 2 shown]
	ds_read2_b64 v[134:137], v1 offset1:1
	s_waitcnt lgkmcnt(0)
	v_cmp_neq_f64_e32 vcc_lo, 0, v[134:135]
	v_cmp_neq_f64_e64 s1, 0, v[136:137]
	s_or_b32 s1, vcc_lo, s1
	s_and_b32 exec_lo, exec_lo, s1
	s_cbranch_execz .LBB65_233
; %bb.228:
	v_cmp_ngt_f64_e64 s1, |v[134:135]|, |v[136:137]|
                                        ; implicit-def: $vgpr138_vgpr139
	s_and_saveexec_b32 s3, s1
	s_xor_b32 s1, exec_lo, s3
                                        ; implicit-def: $vgpr140_vgpr141
	s_cbranch_execz .LBB65_230
; %bb.229:
	v_div_scale_f64 v[138:139], null, v[136:137], v[136:137], v[134:135]
	v_div_scale_f64 v[144:145], vcc_lo, v[134:135], v[136:137], v[134:135]
	v_rcp_f64_e32 v[140:141], v[138:139]
	v_fma_f64 v[142:143], -v[138:139], v[140:141], 1.0
	v_fma_f64 v[140:141], v[140:141], v[142:143], v[140:141]
	v_fma_f64 v[142:143], -v[138:139], v[140:141], 1.0
	v_fma_f64 v[140:141], v[140:141], v[142:143], v[140:141]
	v_mul_f64 v[142:143], v[144:145], v[140:141]
	v_fma_f64 v[138:139], -v[138:139], v[142:143], v[144:145]
	v_div_fmas_f64 v[138:139], v[138:139], v[140:141], v[142:143]
	v_div_fixup_f64 v[138:139], v[138:139], v[136:137], v[134:135]
	v_fma_f64 v[134:135], v[134:135], v[138:139], v[136:137]
	v_div_scale_f64 v[136:137], null, v[134:135], v[134:135], 1.0
	v_rcp_f64_e32 v[140:141], v[136:137]
	v_fma_f64 v[142:143], -v[136:137], v[140:141], 1.0
	v_fma_f64 v[140:141], v[140:141], v[142:143], v[140:141]
	v_fma_f64 v[142:143], -v[136:137], v[140:141], 1.0
	v_fma_f64 v[140:141], v[140:141], v[142:143], v[140:141]
	v_div_scale_f64 v[142:143], vcc_lo, 1.0, v[134:135], 1.0
	v_mul_f64 v[144:145], v[142:143], v[140:141]
	v_fma_f64 v[136:137], -v[136:137], v[144:145], v[142:143]
	v_div_fmas_f64 v[136:137], v[136:137], v[140:141], v[144:145]
	v_div_fixup_f64 v[140:141], v[136:137], v[134:135], 1.0
                                        ; implicit-def: $vgpr134_vgpr135
	v_mul_f64 v[138:139], v[138:139], v[140:141]
	v_xor_b32_e32 v141, 0x80000000, v141
.LBB65_230:
	s_andn2_saveexec_b32 s1, s1
	s_cbranch_execz .LBB65_232
; %bb.231:
	v_div_scale_f64 v[138:139], null, v[134:135], v[134:135], v[136:137]
	v_div_scale_f64 v[144:145], vcc_lo, v[136:137], v[134:135], v[136:137]
	v_rcp_f64_e32 v[140:141], v[138:139]
	v_fma_f64 v[142:143], -v[138:139], v[140:141], 1.0
	v_fma_f64 v[140:141], v[140:141], v[142:143], v[140:141]
	v_fma_f64 v[142:143], -v[138:139], v[140:141], 1.0
	v_fma_f64 v[140:141], v[140:141], v[142:143], v[140:141]
	v_mul_f64 v[142:143], v[144:145], v[140:141]
	v_fma_f64 v[138:139], -v[138:139], v[142:143], v[144:145]
	v_div_fmas_f64 v[138:139], v[138:139], v[140:141], v[142:143]
	v_div_fixup_f64 v[140:141], v[138:139], v[134:135], v[136:137]
	v_fma_f64 v[134:135], v[136:137], v[140:141], v[134:135]
	v_div_scale_f64 v[136:137], null, v[134:135], v[134:135], 1.0
	v_rcp_f64_e32 v[138:139], v[136:137]
	v_fma_f64 v[142:143], -v[136:137], v[138:139], 1.0
	v_fma_f64 v[138:139], v[138:139], v[142:143], v[138:139]
	v_fma_f64 v[142:143], -v[136:137], v[138:139], 1.0
	v_fma_f64 v[138:139], v[138:139], v[142:143], v[138:139]
	v_div_scale_f64 v[142:143], vcc_lo, 1.0, v[134:135], 1.0
	v_mul_f64 v[144:145], v[142:143], v[138:139]
	v_fma_f64 v[136:137], -v[136:137], v[144:145], v[142:143]
	v_div_fmas_f64 v[136:137], v[136:137], v[138:139], v[144:145]
	v_div_fixup_f64 v[138:139], v[136:137], v[134:135], 1.0
	v_mul_f64 v[140:141], v[140:141], -v[138:139]
.LBB65_232:
	s_or_b32 exec_lo, exec_lo, s1
	ds_write2_b64 v1, v[138:139], v[140:141] offset1:1
.LBB65_233:
	s_or_b32 exec_lo, exec_lo, s2
	s_waitcnt lgkmcnt(0)
	s_barrier
	buffer_gl0_inv
	ds_read2_b64 v[134:137], v1 offset1:1
	s_mov_b32 s1, exec_lo
	s_waitcnt lgkmcnt(0)
	buffer_store_dword v134, off, s[16:19], 0 offset:280 ; 4-byte Folded Spill
	buffer_store_dword v135, off, s[16:19], 0 offset:284 ; 4-byte Folded Spill
	;; [unrolled: 1-line block ×4, first 2 shown]
	v_cmpx_lt_u32_e32 25, v0
	s_cbranch_execz .LBB65_235
; %bb.234:
	s_clause 0x3
	buffer_load_dword v140, off, s[16:19], 0 offset:280
	buffer_load_dword v141, off, s[16:19], 0 offset:284
	;; [unrolled: 1-line block ×4, first 2 shown]
	s_waitcnt vmcnt(2)
	v_mul_f64 v[134:135], v[140:141], v[32:33]
	s_waitcnt vmcnt(0)
	v_mul_f64 v[32:33], v[142:143], v[32:33]
	v_fma_f64 v[138:139], v[142:143], v[30:31], v[134:135]
	ds_read2_b64 v[134:137], v148 offset0:52 offset1:53
	v_fma_f64 v[30:31], v[140:141], v[30:31], -v[32:33]
	s_waitcnt lgkmcnt(0)
	v_mul_f64 v[32:33], v[136:137], v[138:139]
	v_fma_f64 v[32:33], v[134:135], v[30:31], -v[32:33]
	v_mul_f64 v[134:135], v[134:135], v[138:139]
	v_add_f64 v[26:27], v[26:27], -v[32:33]
	v_fma_f64 v[134:135], v[136:137], v[30:31], v[134:135]
	v_add_f64 v[28:29], v[28:29], -v[134:135]
	ds_read2_b64 v[134:137], v148 offset0:54 offset1:55
	s_waitcnt lgkmcnt(0)
	v_mul_f64 v[32:33], v[136:137], v[138:139]
	v_fma_f64 v[32:33], v[134:135], v[30:31], -v[32:33]
	v_mul_f64 v[134:135], v[134:135], v[138:139]
	v_add_f64 v[22:23], v[22:23], -v[32:33]
	v_fma_f64 v[134:135], v[136:137], v[30:31], v[134:135]
	v_add_f64 v[24:25], v[24:25], -v[134:135]
	ds_read2_b64 v[134:137], v148 offset0:56 offset1:57
	;; [unrolled: 8-line block ×6, first 2 shown]
	s_waitcnt lgkmcnt(0)
	v_mul_f64 v[32:33], v[136:137], v[138:139]
	v_fma_f64 v[32:33], v[134:135], v[30:31], -v[32:33]
	v_mul_f64 v[134:135], v[134:135], v[138:139]
	v_add_f64 v[2:3], v[2:3], -v[32:33]
	v_fma_f64 v[134:135], v[136:137], v[30:31], v[134:135]
	v_mov_b32_e32 v32, v138
	v_mov_b32_e32 v33, v139
	v_add_f64 v[4:5], v[4:5], -v[134:135]
.LBB65_235:
	s_or_b32 exec_lo, exec_lo, s1
	s_mov_b32 s2, exec_lo
	s_waitcnt_vscnt null, 0x0
	s_barrier
	buffer_gl0_inv
	v_cmpx_eq_u32_e32 26, v0
	s_cbranch_execz .LBB65_242
; %bb.236:
	ds_write2_b64 v1, v[26:27], v[28:29] offset1:1
	ds_write2_b64 v148, v[22:23], v[24:25] offset0:54 offset1:55
	ds_write2_b64 v148, v[18:19], v[20:21] offset0:56 offset1:57
	ds_write2_b64 v148, v[14:15], v[16:17] offset0:58 offset1:59
	ds_write2_b64 v148, v[10:11], v[12:13] offset0:60 offset1:61
	ds_write2_b64 v148, v[6:7], v[8:9] offset0:62 offset1:63
	ds_write2_b64 v148, v[2:3], v[4:5] offset0:64 offset1:65
	ds_read2_b64 v[134:137], v1 offset1:1
	s_waitcnt lgkmcnt(0)
	v_cmp_neq_f64_e32 vcc_lo, 0, v[134:135]
	v_cmp_neq_f64_e64 s1, 0, v[136:137]
	s_or_b32 s1, vcc_lo, s1
	s_and_b32 exec_lo, exec_lo, s1
	s_cbranch_execz .LBB65_242
; %bb.237:
	v_cmp_ngt_f64_e64 s1, |v[134:135]|, |v[136:137]|
                                        ; implicit-def: $vgpr138_vgpr139
	s_and_saveexec_b32 s3, s1
	s_xor_b32 s1, exec_lo, s3
                                        ; implicit-def: $vgpr140_vgpr141
	s_cbranch_execz .LBB65_239
; %bb.238:
	v_div_scale_f64 v[138:139], null, v[136:137], v[136:137], v[134:135]
	v_div_scale_f64 v[144:145], vcc_lo, v[134:135], v[136:137], v[134:135]
	v_rcp_f64_e32 v[140:141], v[138:139]
	v_fma_f64 v[142:143], -v[138:139], v[140:141], 1.0
	v_fma_f64 v[140:141], v[140:141], v[142:143], v[140:141]
	v_fma_f64 v[142:143], -v[138:139], v[140:141], 1.0
	v_fma_f64 v[140:141], v[140:141], v[142:143], v[140:141]
	v_mul_f64 v[142:143], v[144:145], v[140:141]
	v_fma_f64 v[138:139], -v[138:139], v[142:143], v[144:145]
	v_div_fmas_f64 v[138:139], v[138:139], v[140:141], v[142:143]
	v_div_fixup_f64 v[138:139], v[138:139], v[136:137], v[134:135]
	v_fma_f64 v[134:135], v[134:135], v[138:139], v[136:137]
	v_div_scale_f64 v[136:137], null, v[134:135], v[134:135], 1.0
	v_rcp_f64_e32 v[140:141], v[136:137]
	v_fma_f64 v[142:143], -v[136:137], v[140:141], 1.0
	v_fma_f64 v[140:141], v[140:141], v[142:143], v[140:141]
	v_fma_f64 v[142:143], -v[136:137], v[140:141], 1.0
	v_fma_f64 v[140:141], v[140:141], v[142:143], v[140:141]
	v_div_scale_f64 v[142:143], vcc_lo, 1.0, v[134:135], 1.0
	v_mul_f64 v[144:145], v[142:143], v[140:141]
	v_fma_f64 v[136:137], -v[136:137], v[144:145], v[142:143]
	v_div_fmas_f64 v[136:137], v[136:137], v[140:141], v[144:145]
	v_div_fixup_f64 v[140:141], v[136:137], v[134:135], 1.0
                                        ; implicit-def: $vgpr134_vgpr135
	v_mul_f64 v[138:139], v[138:139], v[140:141]
	v_xor_b32_e32 v141, 0x80000000, v141
.LBB65_239:
	s_andn2_saveexec_b32 s1, s1
	s_cbranch_execz .LBB65_241
; %bb.240:
	v_div_scale_f64 v[138:139], null, v[134:135], v[134:135], v[136:137]
	v_div_scale_f64 v[144:145], vcc_lo, v[136:137], v[134:135], v[136:137]
	v_rcp_f64_e32 v[140:141], v[138:139]
	v_fma_f64 v[142:143], -v[138:139], v[140:141], 1.0
	v_fma_f64 v[140:141], v[140:141], v[142:143], v[140:141]
	v_fma_f64 v[142:143], -v[138:139], v[140:141], 1.0
	v_fma_f64 v[140:141], v[140:141], v[142:143], v[140:141]
	v_mul_f64 v[142:143], v[144:145], v[140:141]
	v_fma_f64 v[138:139], -v[138:139], v[142:143], v[144:145]
	v_div_fmas_f64 v[138:139], v[138:139], v[140:141], v[142:143]
	v_div_fixup_f64 v[140:141], v[138:139], v[134:135], v[136:137]
	v_fma_f64 v[134:135], v[136:137], v[140:141], v[134:135]
	v_div_scale_f64 v[136:137], null, v[134:135], v[134:135], 1.0
	v_rcp_f64_e32 v[138:139], v[136:137]
	v_fma_f64 v[142:143], -v[136:137], v[138:139], 1.0
	v_fma_f64 v[138:139], v[138:139], v[142:143], v[138:139]
	v_fma_f64 v[142:143], -v[136:137], v[138:139], 1.0
	v_fma_f64 v[138:139], v[138:139], v[142:143], v[138:139]
	v_div_scale_f64 v[142:143], vcc_lo, 1.0, v[134:135], 1.0
	v_mul_f64 v[144:145], v[142:143], v[138:139]
	v_fma_f64 v[136:137], -v[136:137], v[144:145], v[142:143]
	v_div_fmas_f64 v[136:137], v[136:137], v[138:139], v[144:145]
	v_div_fixup_f64 v[138:139], v[136:137], v[134:135], 1.0
	v_mul_f64 v[140:141], v[140:141], -v[138:139]
.LBB65_241:
	s_or_b32 exec_lo, exec_lo, s1
	ds_write2_b64 v1, v[138:139], v[140:141] offset1:1
.LBB65_242:
	s_or_b32 exec_lo, exec_lo, s2
	s_waitcnt lgkmcnt(0)
	s_barrier
	buffer_gl0_inv
	ds_read2_b64 v[134:137], v1 offset1:1
	s_mov_b32 s1, exec_lo
	s_waitcnt lgkmcnt(0)
	buffer_store_dword v134, off, s[16:19], 0 offset:296 ; 4-byte Folded Spill
	buffer_store_dword v135, off, s[16:19], 0 offset:300 ; 4-byte Folded Spill
	;; [unrolled: 1-line block ×4, first 2 shown]
	v_cmpx_lt_u32_e32 26, v0
	s_cbranch_execz .LBB65_244
; %bb.243:
	s_clause 0x3
	buffer_load_dword v140, off, s[16:19], 0 offset:296
	buffer_load_dword v141, off, s[16:19], 0 offset:300
	;; [unrolled: 1-line block ×4, first 2 shown]
	s_waitcnt vmcnt(2)
	v_mul_f64 v[134:135], v[140:141], v[28:29]
	s_waitcnt vmcnt(0)
	v_mul_f64 v[28:29], v[142:143], v[28:29]
	v_fma_f64 v[138:139], v[142:143], v[26:27], v[134:135]
	ds_read2_b64 v[134:137], v148 offset0:54 offset1:55
	v_fma_f64 v[26:27], v[140:141], v[26:27], -v[28:29]
	s_waitcnt lgkmcnt(0)
	v_mul_f64 v[28:29], v[136:137], v[138:139]
	v_fma_f64 v[28:29], v[134:135], v[26:27], -v[28:29]
	v_mul_f64 v[134:135], v[134:135], v[138:139]
	v_add_f64 v[22:23], v[22:23], -v[28:29]
	v_fma_f64 v[134:135], v[136:137], v[26:27], v[134:135]
	v_add_f64 v[24:25], v[24:25], -v[134:135]
	ds_read2_b64 v[134:137], v148 offset0:56 offset1:57
	s_waitcnt lgkmcnt(0)
	v_mul_f64 v[28:29], v[136:137], v[138:139]
	v_fma_f64 v[28:29], v[134:135], v[26:27], -v[28:29]
	v_mul_f64 v[134:135], v[134:135], v[138:139]
	v_add_f64 v[18:19], v[18:19], -v[28:29]
	v_fma_f64 v[134:135], v[136:137], v[26:27], v[134:135]
	v_add_f64 v[20:21], v[20:21], -v[134:135]
	ds_read2_b64 v[134:137], v148 offset0:58 offset1:59
	;; [unrolled: 8-line block ×5, first 2 shown]
	s_waitcnt lgkmcnt(0)
	v_mul_f64 v[28:29], v[136:137], v[138:139]
	v_fma_f64 v[28:29], v[134:135], v[26:27], -v[28:29]
	v_mul_f64 v[134:135], v[134:135], v[138:139]
	v_add_f64 v[2:3], v[2:3], -v[28:29]
	v_fma_f64 v[134:135], v[136:137], v[26:27], v[134:135]
	v_mov_b32_e32 v28, v138
	v_mov_b32_e32 v29, v139
	v_add_f64 v[4:5], v[4:5], -v[134:135]
.LBB65_244:
	s_or_b32 exec_lo, exec_lo, s1
	s_mov_b32 s2, exec_lo
	s_waitcnt_vscnt null, 0x0
	s_barrier
	buffer_gl0_inv
	v_cmpx_eq_u32_e32 27, v0
	s_cbranch_execz .LBB65_251
; %bb.245:
	ds_write2_b64 v1, v[22:23], v[24:25] offset1:1
	ds_write2_b64 v148, v[18:19], v[20:21] offset0:56 offset1:57
	ds_write2_b64 v148, v[14:15], v[16:17] offset0:58 offset1:59
	;; [unrolled: 1-line block ×5, first 2 shown]
	ds_read2_b64 v[134:137], v1 offset1:1
	s_waitcnt lgkmcnt(0)
	v_cmp_neq_f64_e32 vcc_lo, 0, v[134:135]
	v_cmp_neq_f64_e64 s1, 0, v[136:137]
	s_or_b32 s1, vcc_lo, s1
	s_and_b32 exec_lo, exec_lo, s1
	s_cbranch_execz .LBB65_251
; %bb.246:
	v_cmp_ngt_f64_e64 s1, |v[134:135]|, |v[136:137]|
                                        ; implicit-def: $vgpr138_vgpr139
	s_and_saveexec_b32 s3, s1
	s_xor_b32 s1, exec_lo, s3
                                        ; implicit-def: $vgpr140_vgpr141
	s_cbranch_execz .LBB65_248
; %bb.247:
	v_div_scale_f64 v[138:139], null, v[136:137], v[136:137], v[134:135]
	v_div_scale_f64 v[144:145], vcc_lo, v[134:135], v[136:137], v[134:135]
	v_rcp_f64_e32 v[140:141], v[138:139]
	v_fma_f64 v[142:143], -v[138:139], v[140:141], 1.0
	v_fma_f64 v[140:141], v[140:141], v[142:143], v[140:141]
	v_fma_f64 v[142:143], -v[138:139], v[140:141], 1.0
	v_fma_f64 v[140:141], v[140:141], v[142:143], v[140:141]
	v_mul_f64 v[142:143], v[144:145], v[140:141]
	v_fma_f64 v[138:139], -v[138:139], v[142:143], v[144:145]
	v_div_fmas_f64 v[138:139], v[138:139], v[140:141], v[142:143]
	v_div_fixup_f64 v[138:139], v[138:139], v[136:137], v[134:135]
	v_fma_f64 v[134:135], v[134:135], v[138:139], v[136:137]
	v_div_scale_f64 v[136:137], null, v[134:135], v[134:135], 1.0
	v_rcp_f64_e32 v[140:141], v[136:137]
	v_fma_f64 v[142:143], -v[136:137], v[140:141], 1.0
	v_fma_f64 v[140:141], v[140:141], v[142:143], v[140:141]
	v_fma_f64 v[142:143], -v[136:137], v[140:141], 1.0
	v_fma_f64 v[140:141], v[140:141], v[142:143], v[140:141]
	v_div_scale_f64 v[142:143], vcc_lo, 1.0, v[134:135], 1.0
	v_mul_f64 v[144:145], v[142:143], v[140:141]
	v_fma_f64 v[136:137], -v[136:137], v[144:145], v[142:143]
	v_div_fmas_f64 v[136:137], v[136:137], v[140:141], v[144:145]
	v_div_fixup_f64 v[140:141], v[136:137], v[134:135], 1.0
                                        ; implicit-def: $vgpr134_vgpr135
	v_mul_f64 v[138:139], v[138:139], v[140:141]
	v_xor_b32_e32 v141, 0x80000000, v141
.LBB65_248:
	s_andn2_saveexec_b32 s1, s1
	s_cbranch_execz .LBB65_250
; %bb.249:
	v_div_scale_f64 v[138:139], null, v[134:135], v[134:135], v[136:137]
	v_div_scale_f64 v[144:145], vcc_lo, v[136:137], v[134:135], v[136:137]
	v_rcp_f64_e32 v[140:141], v[138:139]
	v_fma_f64 v[142:143], -v[138:139], v[140:141], 1.0
	v_fma_f64 v[140:141], v[140:141], v[142:143], v[140:141]
	v_fma_f64 v[142:143], -v[138:139], v[140:141], 1.0
	v_fma_f64 v[140:141], v[140:141], v[142:143], v[140:141]
	v_mul_f64 v[142:143], v[144:145], v[140:141]
	v_fma_f64 v[138:139], -v[138:139], v[142:143], v[144:145]
	v_div_fmas_f64 v[138:139], v[138:139], v[140:141], v[142:143]
	v_div_fixup_f64 v[140:141], v[138:139], v[134:135], v[136:137]
	v_fma_f64 v[134:135], v[136:137], v[140:141], v[134:135]
	v_div_scale_f64 v[136:137], null, v[134:135], v[134:135], 1.0
	v_rcp_f64_e32 v[138:139], v[136:137]
	v_fma_f64 v[142:143], -v[136:137], v[138:139], 1.0
	v_fma_f64 v[138:139], v[138:139], v[142:143], v[138:139]
	v_fma_f64 v[142:143], -v[136:137], v[138:139], 1.0
	v_fma_f64 v[138:139], v[138:139], v[142:143], v[138:139]
	v_div_scale_f64 v[142:143], vcc_lo, 1.0, v[134:135], 1.0
	v_mul_f64 v[144:145], v[142:143], v[138:139]
	v_fma_f64 v[136:137], -v[136:137], v[144:145], v[142:143]
	v_div_fmas_f64 v[136:137], v[136:137], v[138:139], v[144:145]
	v_div_fixup_f64 v[138:139], v[136:137], v[134:135], 1.0
	v_mul_f64 v[140:141], v[140:141], -v[138:139]
.LBB65_250:
	s_or_b32 exec_lo, exec_lo, s1
	ds_write2_b64 v1, v[138:139], v[140:141] offset1:1
.LBB65_251:
	s_or_b32 exec_lo, exec_lo, s2
	s_waitcnt lgkmcnt(0)
	s_barrier
	buffer_gl0_inv
	ds_read2_b64 v[134:137], v1 offset1:1
	s_mov_b32 s1, exec_lo
	s_waitcnt lgkmcnt(0)
	buffer_store_dword v134, off, s[16:19], 0 offset:312 ; 4-byte Folded Spill
	buffer_store_dword v135, off, s[16:19], 0 offset:316 ; 4-byte Folded Spill
	;; [unrolled: 1-line block ×4, first 2 shown]
	v_cmpx_lt_u32_e32 27, v0
	s_cbranch_execz .LBB65_253
; %bb.252:
	s_clause 0x3
	buffer_load_dword v140, off, s[16:19], 0 offset:312
	buffer_load_dword v141, off, s[16:19], 0 offset:316
	;; [unrolled: 1-line block ×4, first 2 shown]
	s_waitcnt vmcnt(2)
	v_mul_f64 v[134:135], v[140:141], v[24:25]
	s_waitcnt vmcnt(0)
	v_mul_f64 v[24:25], v[142:143], v[24:25]
	v_fma_f64 v[138:139], v[142:143], v[22:23], v[134:135]
	ds_read2_b64 v[134:137], v148 offset0:56 offset1:57
	v_fma_f64 v[22:23], v[140:141], v[22:23], -v[24:25]
	s_waitcnt lgkmcnt(0)
	v_mul_f64 v[24:25], v[136:137], v[138:139]
	v_fma_f64 v[24:25], v[134:135], v[22:23], -v[24:25]
	v_mul_f64 v[134:135], v[134:135], v[138:139]
	v_add_f64 v[18:19], v[18:19], -v[24:25]
	v_fma_f64 v[134:135], v[136:137], v[22:23], v[134:135]
	v_add_f64 v[20:21], v[20:21], -v[134:135]
	ds_read2_b64 v[134:137], v148 offset0:58 offset1:59
	s_waitcnt lgkmcnt(0)
	v_mul_f64 v[24:25], v[136:137], v[138:139]
	v_fma_f64 v[24:25], v[134:135], v[22:23], -v[24:25]
	v_mul_f64 v[134:135], v[134:135], v[138:139]
	v_add_f64 v[14:15], v[14:15], -v[24:25]
	v_fma_f64 v[134:135], v[136:137], v[22:23], v[134:135]
	v_add_f64 v[16:17], v[16:17], -v[134:135]
	ds_read2_b64 v[134:137], v148 offset0:60 offset1:61
	;; [unrolled: 8-line block ×4, first 2 shown]
	s_waitcnt lgkmcnt(0)
	v_mul_f64 v[24:25], v[136:137], v[138:139]
	v_fma_f64 v[24:25], v[134:135], v[22:23], -v[24:25]
	v_mul_f64 v[134:135], v[134:135], v[138:139]
	v_add_f64 v[2:3], v[2:3], -v[24:25]
	v_fma_f64 v[134:135], v[136:137], v[22:23], v[134:135]
	v_mov_b32_e32 v24, v138
	v_mov_b32_e32 v25, v139
	v_add_f64 v[4:5], v[4:5], -v[134:135]
.LBB65_253:
	s_or_b32 exec_lo, exec_lo, s1
	s_mov_b32 s2, exec_lo
	s_waitcnt_vscnt null, 0x0
	s_barrier
	buffer_gl0_inv
	v_cmpx_eq_u32_e32 28, v0
	s_cbranch_execz .LBB65_260
; %bb.254:
	ds_write2_b64 v1, v[18:19], v[20:21] offset1:1
	ds_write2_b64 v148, v[14:15], v[16:17] offset0:58 offset1:59
	ds_write2_b64 v148, v[10:11], v[12:13] offset0:60 offset1:61
	;; [unrolled: 1-line block ×4, first 2 shown]
	ds_read2_b64 v[134:137], v1 offset1:1
	s_waitcnt lgkmcnt(0)
	v_cmp_neq_f64_e32 vcc_lo, 0, v[134:135]
	v_cmp_neq_f64_e64 s1, 0, v[136:137]
	s_or_b32 s1, vcc_lo, s1
	s_and_b32 exec_lo, exec_lo, s1
	s_cbranch_execz .LBB65_260
; %bb.255:
	v_cmp_ngt_f64_e64 s1, |v[134:135]|, |v[136:137]|
                                        ; implicit-def: $vgpr138_vgpr139
	s_and_saveexec_b32 s3, s1
	s_xor_b32 s1, exec_lo, s3
                                        ; implicit-def: $vgpr140_vgpr141
	s_cbranch_execz .LBB65_257
; %bb.256:
	v_div_scale_f64 v[138:139], null, v[136:137], v[136:137], v[134:135]
	v_div_scale_f64 v[144:145], vcc_lo, v[134:135], v[136:137], v[134:135]
	v_rcp_f64_e32 v[140:141], v[138:139]
	v_fma_f64 v[142:143], -v[138:139], v[140:141], 1.0
	v_fma_f64 v[140:141], v[140:141], v[142:143], v[140:141]
	v_fma_f64 v[142:143], -v[138:139], v[140:141], 1.0
	v_fma_f64 v[140:141], v[140:141], v[142:143], v[140:141]
	v_mul_f64 v[142:143], v[144:145], v[140:141]
	v_fma_f64 v[138:139], -v[138:139], v[142:143], v[144:145]
	v_div_fmas_f64 v[138:139], v[138:139], v[140:141], v[142:143]
	v_div_fixup_f64 v[138:139], v[138:139], v[136:137], v[134:135]
	v_fma_f64 v[134:135], v[134:135], v[138:139], v[136:137]
	v_div_scale_f64 v[136:137], null, v[134:135], v[134:135], 1.0
	v_rcp_f64_e32 v[140:141], v[136:137]
	v_fma_f64 v[142:143], -v[136:137], v[140:141], 1.0
	v_fma_f64 v[140:141], v[140:141], v[142:143], v[140:141]
	v_fma_f64 v[142:143], -v[136:137], v[140:141], 1.0
	v_fma_f64 v[140:141], v[140:141], v[142:143], v[140:141]
	v_div_scale_f64 v[142:143], vcc_lo, 1.0, v[134:135], 1.0
	v_mul_f64 v[144:145], v[142:143], v[140:141]
	v_fma_f64 v[136:137], -v[136:137], v[144:145], v[142:143]
	v_div_fmas_f64 v[136:137], v[136:137], v[140:141], v[144:145]
	v_div_fixup_f64 v[140:141], v[136:137], v[134:135], 1.0
                                        ; implicit-def: $vgpr134_vgpr135
	v_mul_f64 v[138:139], v[138:139], v[140:141]
	v_xor_b32_e32 v141, 0x80000000, v141
.LBB65_257:
	s_andn2_saveexec_b32 s1, s1
	s_cbranch_execz .LBB65_259
; %bb.258:
	v_div_scale_f64 v[138:139], null, v[134:135], v[134:135], v[136:137]
	v_div_scale_f64 v[144:145], vcc_lo, v[136:137], v[134:135], v[136:137]
	v_rcp_f64_e32 v[140:141], v[138:139]
	v_fma_f64 v[142:143], -v[138:139], v[140:141], 1.0
	v_fma_f64 v[140:141], v[140:141], v[142:143], v[140:141]
	v_fma_f64 v[142:143], -v[138:139], v[140:141], 1.0
	v_fma_f64 v[140:141], v[140:141], v[142:143], v[140:141]
	v_mul_f64 v[142:143], v[144:145], v[140:141]
	v_fma_f64 v[138:139], -v[138:139], v[142:143], v[144:145]
	v_div_fmas_f64 v[138:139], v[138:139], v[140:141], v[142:143]
	v_div_fixup_f64 v[140:141], v[138:139], v[134:135], v[136:137]
	v_fma_f64 v[134:135], v[136:137], v[140:141], v[134:135]
	v_div_scale_f64 v[136:137], null, v[134:135], v[134:135], 1.0
	v_rcp_f64_e32 v[138:139], v[136:137]
	v_fma_f64 v[142:143], -v[136:137], v[138:139], 1.0
	v_fma_f64 v[138:139], v[138:139], v[142:143], v[138:139]
	v_fma_f64 v[142:143], -v[136:137], v[138:139], 1.0
	v_fma_f64 v[138:139], v[138:139], v[142:143], v[138:139]
	v_div_scale_f64 v[142:143], vcc_lo, 1.0, v[134:135], 1.0
	v_mul_f64 v[144:145], v[142:143], v[138:139]
	v_fma_f64 v[136:137], -v[136:137], v[144:145], v[142:143]
	v_div_fmas_f64 v[136:137], v[136:137], v[138:139], v[144:145]
	v_div_fixup_f64 v[138:139], v[136:137], v[134:135], 1.0
	v_mul_f64 v[140:141], v[140:141], -v[138:139]
.LBB65_259:
	s_or_b32 exec_lo, exec_lo, s1
	ds_write2_b64 v1, v[138:139], v[140:141] offset1:1
.LBB65_260:
	s_or_b32 exec_lo, exec_lo, s2
	s_waitcnt lgkmcnt(0)
	s_barrier
	buffer_gl0_inv
	ds_read2_b64 v[134:137], v1 offset1:1
	s_mov_b32 s1, exec_lo
	s_waitcnt lgkmcnt(0)
	buffer_store_dword v134, off, s[16:19], 0 offset:328 ; 4-byte Folded Spill
	buffer_store_dword v135, off, s[16:19], 0 offset:332 ; 4-byte Folded Spill
	;; [unrolled: 1-line block ×4, first 2 shown]
	v_cmpx_lt_u32_e32 28, v0
	s_cbranch_execz .LBB65_262
; %bb.261:
	s_clause 0x3
	buffer_load_dword v140, off, s[16:19], 0 offset:328
	buffer_load_dword v141, off, s[16:19], 0 offset:332
	;; [unrolled: 1-line block ×4, first 2 shown]
	s_waitcnt vmcnt(2)
	v_mul_f64 v[134:135], v[140:141], v[20:21]
	s_waitcnt vmcnt(0)
	v_mul_f64 v[20:21], v[142:143], v[20:21]
	v_fma_f64 v[138:139], v[142:143], v[18:19], v[134:135]
	ds_read2_b64 v[134:137], v148 offset0:58 offset1:59
	v_fma_f64 v[18:19], v[140:141], v[18:19], -v[20:21]
	s_waitcnt lgkmcnt(0)
	v_mul_f64 v[20:21], v[136:137], v[138:139]
	v_fma_f64 v[20:21], v[134:135], v[18:19], -v[20:21]
	v_mul_f64 v[134:135], v[134:135], v[138:139]
	v_add_f64 v[14:15], v[14:15], -v[20:21]
	v_fma_f64 v[134:135], v[136:137], v[18:19], v[134:135]
	v_add_f64 v[16:17], v[16:17], -v[134:135]
	ds_read2_b64 v[134:137], v148 offset0:60 offset1:61
	s_waitcnt lgkmcnt(0)
	v_mul_f64 v[20:21], v[136:137], v[138:139]
	v_fma_f64 v[20:21], v[134:135], v[18:19], -v[20:21]
	v_mul_f64 v[134:135], v[134:135], v[138:139]
	v_add_f64 v[10:11], v[10:11], -v[20:21]
	v_fma_f64 v[134:135], v[136:137], v[18:19], v[134:135]
	v_add_f64 v[12:13], v[12:13], -v[134:135]
	ds_read2_b64 v[134:137], v148 offset0:62 offset1:63
	;; [unrolled: 8-line block ×3, first 2 shown]
	s_waitcnt lgkmcnt(0)
	v_mul_f64 v[20:21], v[136:137], v[138:139]
	v_fma_f64 v[20:21], v[134:135], v[18:19], -v[20:21]
	v_mul_f64 v[134:135], v[134:135], v[138:139]
	v_add_f64 v[2:3], v[2:3], -v[20:21]
	v_fma_f64 v[134:135], v[136:137], v[18:19], v[134:135]
	v_mov_b32_e32 v20, v138
	v_mov_b32_e32 v21, v139
	v_add_f64 v[4:5], v[4:5], -v[134:135]
.LBB65_262:
	s_or_b32 exec_lo, exec_lo, s1
	s_mov_b32 s2, exec_lo
	s_waitcnt_vscnt null, 0x0
	s_barrier
	buffer_gl0_inv
	v_cmpx_eq_u32_e32 29, v0
	s_cbranch_execz .LBB65_269
; %bb.263:
	ds_write2_b64 v1, v[14:15], v[16:17] offset1:1
	ds_write2_b64 v148, v[10:11], v[12:13] offset0:60 offset1:61
	ds_write2_b64 v148, v[6:7], v[8:9] offset0:62 offset1:63
	;; [unrolled: 1-line block ×3, first 2 shown]
	ds_read2_b64 v[134:137], v1 offset1:1
	s_waitcnt lgkmcnt(0)
	v_cmp_neq_f64_e32 vcc_lo, 0, v[134:135]
	v_cmp_neq_f64_e64 s1, 0, v[136:137]
	s_or_b32 s1, vcc_lo, s1
	s_and_b32 exec_lo, exec_lo, s1
	s_cbranch_execz .LBB65_269
; %bb.264:
	v_cmp_ngt_f64_e64 s1, |v[134:135]|, |v[136:137]|
                                        ; implicit-def: $vgpr138_vgpr139
	s_and_saveexec_b32 s3, s1
	s_xor_b32 s1, exec_lo, s3
                                        ; implicit-def: $vgpr140_vgpr141
	s_cbranch_execz .LBB65_266
; %bb.265:
	v_div_scale_f64 v[138:139], null, v[136:137], v[136:137], v[134:135]
	v_div_scale_f64 v[144:145], vcc_lo, v[134:135], v[136:137], v[134:135]
	v_rcp_f64_e32 v[140:141], v[138:139]
	v_fma_f64 v[142:143], -v[138:139], v[140:141], 1.0
	v_fma_f64 v[140:141], v[140:141], v[142:143], v[140:141]
	v_fma_f64 v[142:143], -v[138:139], v[140:141], 1.0
	v_fma_f64 v[140:141], v[140:141], v[142:143], v[140:141]
	v_mul_f64 v[142:143], v[144:145], v[140:141]
	v_fma_f64 v[138:139], -v[138:139], v[142:143], v[144:145]
	v_div_fmas_f64 v[138:139], v[138:139], v[140:141], v[142:143]
	v_div_fixup_f64 v[138:139], v[138:139], v[136:137], v[134:135]
	v_fma_f64 v[134:135], v[134:135], v[138:139], v[136:137]
	v_div_scale_f64 v[136:137], null, v[134:135], v[134:135], 1.0
	v_rcp_f64_e32 v[140:141], v[136:137]
	v_fma_f64 v[142:143], -v[136:137], v[140:141], 1.0
	v_fma_f64 v[140:141], v[140:141], v[142:143], v[140:141]
	v_fma_f64 v[142:143], -v[136:137], v[140:141], 1.0
	v_fma_f64 v[140:141], v[140:141], v[142:143], v[140:141]
	v_div_scale_f64 v[142:143], vcc_lo, 1.0, v[134:135], 1.0
	v_mul_f64 v[144:145], v[142:143], v[140:141]
	v_fma_f64 v[136:137], -v[136:137], v[144:145], v[142:143]
	v_div_fmas_f64 v[136:137], v[136:137], v[140:141], v[144:145]
	v_div_fixup_f64 v[140:141], v[136:137], v[134:135], 1.0
                                        ; implicit-def: $vgpr134_vgpr135
	v_mul_f64 v[138:139], v[138:139], v[140:141]
	v_xor_b32_e32 v141, 0x80000000, v141
.LBB65_266:
	s_andn2_saveexec_b32 s1, s1
	s_cbranch_execz .LBB65_268
; %bb.267:
	v_div_scale_f64 v[138:139], null, v[134:135], v[134:135], v[136:137]
	v_div_scale_f64 v[144:145], vcc_lo, v[136:137], v[134:135], v[136:137]
	v_rcp_f64_e32 v[140:141], v[138:139]
	v_fma_f64 v[142:143], -v[138:139], v[140:141], 1.0
	v_fma_f64 v[140:141], v[140:141], v[142:143], v[140:141]
	v_fma_f64 v[142:143], -v[138:139], v[140:141], 1.0
	v_fma_f64 v[140:141], v[140:141], v[142:143], v[140:141]
	v_mul_f64 v[142:143], v[144:145], v[140:141]
	v_fma_f64 v[138:139], -v[138:139], v[142:143], v[144:145]
	v_div_fmas_f64 v[138:139], v[138:139], v[140:141], v[142:143]
	v_div_fixup_f64 v[140:141], v[138:139], v[134:135], v[136:137]
	v_fma_f64 v[134:135], v[136:137], v[140:141], v[134:135]
	v_div_scale_f64 v[136:137], null, v[134:135], v[134:135], 1.0
	v_rcp_f64_e32 v[138:139], v[136:137]
	v_fma_f64 v[142:143], -v[136:137], v[138:139], 1.0
	v_fma_f64 v[138:139], v[138:139], v[142:143], v[138:139]
	v_fma_f64 v[142:143], -v[136:137], v[138:139], 1.0
	v_fma_f64 v[138:139], v[138:139], v[142:143], v[138:139]
	v_div_scale_f64 v[142:143], vcc_lo, 1.0, v[134:135], 1.0
	v_mul_f64 v[144:145], v[142:143], v[138:139]
	v_fma_f64 v[136:137], -v[136:137], v[144:145], v[142:143]
	v_div_fmas_f64 v[136:137], v[136:137], v[138:139], v[144:145]
	v_div_fixup_f64 v[138:139], v[136:137], v[134:135], 1.0
	v_mul_f64 v[140:141], v[140:141], -v[138:139]
.LBB65_268:
	s_or_b32 exec_lo, exec_lo, s1
	ds_write2_b64 v1, v[138:139], v[140:141] offset1:1
.LBB65_269:
	s_or_b32 exec_lo, exec_lo, s2
	s_waitcnt lgkmcnt(0)
	s_barrier
	buffer_gl0_inv
	ds_read2_b64 v[250:253], v1 offset1:1
	s_mov_b32 s1, exec_lo
	v_cmpx_lt_u32_e32 29, v0
	s_cbranch_execz .LBB65_271
; %bb.270:
	s_waitcnt lgkmcnt(0)
	v_mul_f64 v[134:135], v[250:251], v[16:17]
	v_mul_f64 v[16:17], v[252:253], v[16:17]
	v_fma_f64 v[138:139], v[252:253], v[14:15], v[134:135]
	ds_read2_b64 v[134:137], v148 offset0:60 offset1:61
	v_fma_f64 v[14:15], v[250:251], v[14:15], -v[16:17]
	s_waitcnt lgkmcnt(0)
	v_mul_f64 v[16:17], v[136:137], v[138:139]
	v_fma_f64 v[16:17], v[134:135], v[14:15], -v[16:17]
	v_mul_f64 v[134:135], v[134:135], v[138:139]
	v_add_f64 v[10:11], v[10:11], -v[16:17]
	v_fma_f64 v[134:135], v[136:137], v[14:15], v[134:135]
	v_add_f64 v[12:13], v[12:13], -v[134:135]
	ds_read2_b64 v[134:137], v148 offset0:62 offset1:63
	s_waitcnt lgkmcnt(0)
	v_mul_f64 v[16:17], v[136:137], v[138:139]
	v_fma_f64 v[16:17], v[134:135], v[14:15], -v[16:17]
	v_mul_f64 v[134:135], v[134:135], v[138:139]
	v_add_f64 v[6:7], v[6:7], -v[16:17]
	v_fma_f64 v[134:135], v[136:137], v[14:15], v[134:135]
	v_add_f64 v[8:9], v[8:9], -v[134:135]
	ds_read2_b64 v[134:137], v148 offset0:64 offset1:65
	s_waitcnt lgkmcnt(0)
	v_mul_f64 v[16:17], v[136:137], v[138:139]
	v_fma_f64 v[16:17], v[134:135], v[14:15], -v[16:17]
	v_mul_f64 v[134:135], v[134:135], v[138:139]
	v_add_f64 v[2:3], v[2:3], -v[16:17]
	v_fma_f64 v[134:135], v[136:137], v[14:15], v[134:135]
	v_mov_b32_e32 v16, v138
	v_mov_b32_e32 v17, v139
	v_add_f64 v[4:5], v[4:5], -v[134:135]
.LBB65_271:
	s_or_b32 exec_lo, exec_lo, s1
	s_mov_b32 s2, exec_lo
	s_waitcnt lgkmcnt(0)
	s_barrier
	buffer_gl0_inv
	v_cmpx_eq_u32_e32 30, v0
	s_cbranch_execz .LBB65_278
; %bb.272:
	ds_write2_b64 v1, v[10:11], v[12:13] offset1:1
	ds_write2_b64 v148, v[6:7], v[8:9] offset0:62 offset1:63
	ds_write2_b64 v148, v[2:3], v[4:5] offset0:64 offset1:65
	ds_read2_b64 v[134:137], v1 offset1:1
	s_waitcnt lgkmcnt(0)
	v_cmp_neq_f64_e32 vcc_lo, 0, v[134:135]
	v_cmp_neq_f64_e64 s1, 0, v[136:137]
	s_or_b32 s1, vcc_lo, s1
	s_and_b32 exec_lo, exec_lo, s1
	s_cbranch_execz .LBB65_278
; %bb.273:
	v_cmp_ngt_f64_e64 s1, |v[134:135]|, |v[136:137]|
                                        ; implicit-def: $vgpr138_vgpr139
	s_and_saveexec_b32 s3, s1
	s_xor_b32 s1, exec_lo, s3
                                        ; implicit-def: $vgpr140_vgpr141
	s_cbranch_execz .LBB65_275
; %bb.274:
	v_div_scale_f64 v[138:139], null, v[136:137], v[136:137], v[134:135]
	v_div_scale_f64 v[144:145], vcc_lo, v[134:135], v[136:137], v[134:135]
	v_rcp_f64_e32 v[140:141], v[138:139]
	v_fma_f64 v[142:143], -v[138:139], v[140:141], 1.0
	v_fma_f64 v[140:141], v[140:141], v[142:143], v[140:141]
	v_fma_f64 v[142:143], -v[138:139], v[140:141], 1.0
	v_fma_f64 v[140:141], v[140:141], v[142:143], v[140:141]
	v_mul_f64 v[142:143], v[144:145], v[140:141]
	v_fma_f64 v[138:139], -v[138:139], v[142:143], v[144:145]
	v_div_fmas_f64 v[138:139], v[138:139], v[140:141], v[142:143]
	v_div_fixup_f64 v[138:139], v[138:139], v[136:137], v[134:135]
	v_fma_f64 v[134:135], v[134:135], v[138:139], v[136:137]
	v_div_scale_f64 v[136:137], null, v[134:135], v[134:135], 1.0
	v_rcp_f64_e32 v[140:141], v[136:137]
	v_fma_f64 v[142:143], -v[136:137], v[140:141], 1.0
	v_fma_f64 v[140:141], v[140:141], v[142:143], v[140:141]
	v_fma_f64 v[142:143], -v[136:137], v[140:141], 1.0
	v_fma_f64 v[140:141], v[140:141], v[142:143], v[140:141]
	v_div_scale_f64 v[142:143], vcc_lo, 1.0, v[134:135], 1.0
	v_mul_f64 v[144:145], v[142:143], v[140:141]
	v_fma_f64 v[136:137], -v[136:137], v[144:145], v[142:143]
	v_div_fmas_f64 v[136:137], v[136:137], v[140:141], v[144:145]
	v_div_fixup_f64 v[140:141], v[136:137], v[134:135], 1.0
                                        ; implicit-def: $vgpr134_vgpr135
	v_mul_f64 v[138:139], v[138:139], v[140:141]
	v_xor_b32_e32 v141, 0x80000000, v141
.LBB65_275:
	s_andn2_saveexec_b32 s1, s1
	s_cbranch_execz .LBB65_277
; %bb.276:
	v_div_scale_f64 v[138:139], null, v[134:135], v[134:135], v[136:137]
	v_div_scale_f64 v[144:145], vcc_lo, v[136:137], v[134:135], v[136:137]
	v_rcp_f64_e32 v[140:141], v[138:139]
	v_fma_f64 v[142:143], -v[138:139], v[140:141], 1.0
	v_fma_f64 v[140:141], v[140:141], v[142:143], v[140:141]
	v_fma_f64 v[142:143], -v[138:139], v[140:141], 1.0
	v_fma_f64 v[140:141], v[140:141], v[142:143], v[140:141]
	v_mul_f64 v[142:143], v[144:145], v[140:141]
	v_fma_f64 v[138:139], -v[138:139], v[142:143], v[144:145]
	v_div_fmas_f64 v[138:139], v[138:139], v[140:141], v[142:143]
	v_div_fixup_f64 v[140:141], v[138:139], v[134:135], v[136:137]
	v_fma_f64 v[134:135], v[136:137], v[140:141], v[134:135]
	v_div_scale_f64 v[136:137], null, v[134:135], v[134:135], 1.0
	v_rcp_f64_e32 v[138:139], v[136:137]
	v_fma_f64 v[142:143], -v[136:137], v[138:139], 1.0
	v_fma_f64 v[138:139], v[138:139], v[142:143], v[138:139]
	v_fma_f64 v[142:143], -v[136:137], v[138:139], 1.0
	v_fma_f64 v[138:139], v[138:139], v[142:143], v[138:139]
	v_div_scale_f64 v[142:143], vcc_lo, 1.0, v[134:135], 1.0
	v_mul_f64 v[144:145], v[142:143], v[138:139]
	v_fma_f64 v[136:137], -v[136:137], v[144:145], v[142:143]
	v_div_fmas_f64 v[136:137], v[136:137], v[138:139], v[144:145]
	v_div_fixup_f64 v[138:139], v[136:137], v[134:135], 1.0
	v_mul_f64 v[140:141], v[140:141], -v[138:139]
.LBB65_277:
	s_or_b32 exec_lo, exec_lo, s1
	ds_write2_b64 v1, v[138:139], v[140:141] offset1:1
.LBB65_278:
	s_or_b32 exec_lo, exec_lo, s2
	s_waitcnt lgkmcnt(0)
	s_barrier
	buffer_gl0_inv
	ds_read2_b64 v[134:137], v1 offset1:1
	s_mov_b32 s1, exec_lo
	v_cmpx_lt_u32_e32 30, v0
	s_cbranch_execz .LBB65_280
; %bb.279:
	s_waitcnt lgkmcnt(0)
	v_mul_f64 v[138:139], v[134:135], v[12:13]
	v_mul_f64 v[12:13], v[136:137], v[12:13]
	v_fma_f64 v[142:143], v[136:137], v[10:11], v[138:139]
	ds_read2_b64 v[138:141], v148 offset0:62 offset1:63
	v_fma_f64 v[10:11], v[134:135], v[10:11], -v[12:13]
	s_waitcnt lgkmcnt(0)
	v_mul_f64 v[12:13], v[140:141], v[142:143]
	v_fma_f64 v[12:13], v[138:139], v[10:11], -v[12:13]
	v_mul_f64 v[138:139], v[138:139], v[142:143]
	v_add_f64 v[6:7], v[6:7], -v[12:13]
	v_fma_f64 v[138:139], v[140:141], v[10:11], v[138:139]
	v_add_f64 v[8:9], v[8:9], -v[138:139]
	ds_read2_b64 v[138:141], v148 offset0:64 offset1:65
	s_waitcnt lgkmcnt(0)
	v_mul_f64 v[12:13], v[140:141], v[142:143]
	v_fma_f64 v[12:13], v[138:139], v[10:11], -v[12:13]
	v_mul_f64 v[138:139], v[138:139], v[142:143]
	v_add_f64 v[2:3], v[2:3], -v[12:13]
	v_fma_f64 v[138:139], v[140:141], v[10:11], v[138:139]
	v_mov_b32_e32 v12, v142
	v_mov_b32_e32 v13, v143
	v_add_f64 v[4:5], v[4:5], -v[138:139]
.LBB65_280:
	s_or_b32 exec_lo, exec_lo, s1
	s_mov_b32 s2, exec_lo
	s_waitcnt lgkmcnt(0)
	s_barrier
	buffer_gl0_inv
	v_cmpx_eq_u32_e32 31, v0
	s_cbranch_execz .LBB65_287
; %bb.281:
	ds_write2_b64 v1, v[6:7], v[8:9] offset1:1
	ds_write2_b64 v148, v[2:3], v[4:5] offset0:64 offset1:65
	ds_read2_b64 v[138:141], v1 offset1:1
	s_waitcnt lgkmcnt(0)
	v_cmp_neq_f64_e32 vcc_lo, 0, v[138:139]
	v_cmp_neq_f64_e64 s1, 0, v[140:141]
	s_or_b32 s1, vcc_lo, s1
	s_and_b32 exec_lo, exec_lo, s1
	s_cbranch_execz .LBB65_287
; %bb.282:
	v_cmp_ngt_f64_e64 s1, |v[138:139]|, |v[140:141]|
                                        ; implicit-def: $vgpr142_vgpr143
	s_and_saveexec_b32 s3, s1
	s_xor_b32 s1, exec_lo, s3
                                        ; implicit-def: $vgpr144_vgpr145
	s_cbranch_execz .LBB65_284
; %bb.283:
	v_div_scale_f64 v[142:143], null, v[140:141], v[140:141], v[138:139]
	v_div_scale_f64 v[151:152], vcc_lo, v[138:139], v[140:141], v[138:139]
	v_rcp_f64_e32 v[144:145], v[142:143]
	v_fma_f64 v[149:150], -v[142:143], v[144:145], 1.0
	v_fma_f64 v[144:145], v[144:145], v[149:150], v[144:145]
	v_fma_f64 v[149:150], -v[142:143], v[144:145], 1.0
	v_fma_f64 v[144:145], v[144:145], v[149:150], v[144:145]
	v_mul_f64 v[149:150], v[151:152], v[144:145]
	v_fma_f64 v[142:143], -v[142:143], v[149:150], v[151:152]
	v_div_fmas_f64 v[142:143], v[142:143], v[144:145], v[149:150]
	v_div_fixup_f64 v[142:143], v[142:143], v[140:141], v[138:139]
	v_fma_f64 v[138:139], v[138:139], v[142:143], v[140:141]
	v_div_scale_f64 v[140:141], null, v[138:139], v[138:139], 1.0
	v_rcp_f64_e32 v[144:145], v[140:141]
	v_fma_f64 v[149:150], -v[140:141], v[144:145], 1.0
	v_fma_f64 v[144:145], v[144:145], v[149:150], v[144:145]
	v_fma_f64 v[149:150], -v[140:141], v[144:145], 1.0
	v_fma_f64 v[144:145], v[144:145], v[149:150], v[144:145]
	v_div_scale_f64 v[149:150], vcc_lo, 1.0, v[138:139], 1.0
	v_mul_f64 v[151:152], v[149:150], v[144:145]
	v_fma_f64 v[140:141], -v[140:141], v[151:152], v[149:150]
	v_div_fmas_f64 v[140:141], v[140:141], v[144:145], v[151:152]
	v_div_fixup_f64 v[144:145], v[140:141], v[138:139], 1.0
                                        ; implicit-def: $vgpr138_vgpr139
	v_mul_f64 v[142:143], v[142:143], v[144:145]
	v_xor_b32_e32 v145, 0x80000000, v145
.LBB65_284:
	s_andn2_saveexec_b32 s1, s1
	s_cbranch_execz .LBB65_286
; %bb.285:
	v_div_scale_f64 v[142:143], null, v[138:139], v[138:139], v[140:141]
	v_div_scale_f64 v[151:152], vcc_lo, v[140:141], v[138:139], v[140:141]
	v_rcp_f64_e32 v[144:145], v[142:143]
	v_fma_f64 v[149:150], -v[142:143], v[144:145], 1.0
	v_fma_f64 v[144:145], v[144:145], v[149:150], v[144:145]
	v_fma_f64 v[149:150], -v[142:143], v[144:145], 1.0
	v_fma_f64 v[144:145], v[144:145], v[149:150], v[144:145]
	v_mul_f64 v[149:150], v[151:152], v[144:145]
	v_fma_f64 v[142:143], -v[142:143], v[149:150], v[151:152]
	v_div_fmas_f64 v[142:143], v[142:143], v[144:145], v[149:150]
	v_div_fixup_f64 v[144:145], v[142:143], v[138:139], v[140:141]
	v_fma_f64 v[138:139], v[140:141], v[144:145], v[138:139]
	v_div_scale_f64 v[140:141], null, v[138:139], v[138:139], 1.0
	v_rcp_f64_e32 v[142:143], v[140:141]
	v_fma_f64 v[149:150], -v[140:141], v[142:143], 1.0
	v_fma_f64 v[142:143], v[142:143], v[149:150], v[142:143]
	v_fma_f64 v[149:150], -v[140:141], v[142:143], 1.0
	v_fma_f64 v[142:143], v[142:143], v[149:150], v[142:143]
	v_div_scale_f64 v[149:150], vcc_lo, 1.0, v[138:139], 1.0
	v_mul_f64 v[151:152], v[149:150], v[142:143]
	v_fma_f64 v[140:141], -v[140:141], v[151:152], v[149:150]
	v_div_fmas_f64 v[140:141], v[140:141], v[142:143], v[151:152]
	v_div_fixup_f64 v[142:143], v[140:141], v[138:139], 1.0
	v_mul_f64 v[144:145], v[144:145], -v[142:143]
.LBB65_286:
	s_or_b32 exec_lo, exec_lo, s1
	ds_write2_b64 v1, v[142:143], v[144:145] offset1:1
.LBB65_287:
	s_or_b32 exec_lo, exec_lo, s2
	s_waitcnt lgkmcnt(0)
	s_barrier
	buffer_gl0_inv
	ds_read2_b64 v[138:141], v1 offset1:1
	s_mov_b32 s1, exec_lo
	v_cmpx_lt_u32_e32 31, v0
	s_cbranch_execz .LBB65_289
; %bb.288:
	s_waitcnt lgkmcnt(0)
	v_mul_f64 v[142:143], v[138:139], v[8:9]
	v_mul_f64 v[8:9], v[140:141], v[8:9]
	v_fma_f64 v[149:150], v[140:141], v[6:7], v[142:143]
	ds_read2_b64 v[142:145], v148 offset0:64 offset1:65
	v_fma_f64 v[6:7], v[138:139], v[6:7], -v[8:9]
	s_waitcnt lgkmcnt(0)
	v_mul_f64 v[8:9], v[144:145], v[149:150]
	v_fma_f64 v[8:9], v[142:143], v[6:7], -v[8:9]
	v_mul_f64 v[142:143], v[142:143], v[149:150]
	v_add_f64 v[2:3], v[2:3], -v[8:9]
	v_fma_f64 v[142:143], v[144:145], v[6:7], v[142:143]
	v_mov_b32_e32 v8, v149
	v_mov_b32_e32 v9, v150
	v_add_f64 v[4:5], v[4:5], -v[142:143]
.LBB65_289:
	s_or_b32 exec_lo, exec_lo, s1
	s_mov_b32 s2, exec_lo
	s_waitcnt lgkmcnt(0)
	s_barrier
	buffer_gl0_inv
	v_cmpx_eq_u32_e32 32, v0
	s_cbranch_execz .LBB65_296
; %bb.290:
	v_cmp_neq_f64_e32 vcc_lo, 0, v[2:3]
	v_cmp_neq_f64_e64 s1, 0, v[4:5]
	ds_write2_b64 v1, v[2:3], v[4:5] offset1:1
	s_or_b32 s1, vcc_lo, s1
	s_and_b32 exec_lo, exec_lo, s1
	s_cbranch_execz .LBB65_296
; %bb.291:
	v_cmp_ngt_f64_e64 s1, |v[2:3]|, |v[4:5]|
                                        ; implicit-def: $vgpr142_vgpr143
	s_mov_b32 s3, exec_lo
	s_and_b32 s4, s3, s1
                                        ; implicit-def: $vgpr144_vgpr145
	buffer_store_dword v26, off, s[16:19], 0 offset:344 ; 4-byte Folded Spill
	buffer_store_dword v27, off, s[16:19], 0 offset:348 ; 4-byte Folded Spill
	;; [unrolled: 1-line block ×4, first 2 shown]
	s_xor_b32 s1, s4, s3
	s_mov_b32 exec_lo, s4
	s_cbranch_execz .LBB65_293
; %bb.292:
	v_div_scale_f64 v[142:143], null, v[4:5], v[4:5], v[2:3]
	v_div_scale_f64 v[150:151], vcc_lo, v[2:3], v[4:5], v[2:3]
	v_mov_b32_e32 v26, v244
	v_mov_b32_e32 v27, v245
	;; [unrolled: 1-line block ×18, first 2 shown]
	v_rcp_f64_e32 v[144:145], v[142:143]
	v_mov_b32_e32 v40, v44
	v_mov_b32_e32 v41, v45
	;; [unrolled: 1-line block ×23, first 2 shown]
	v_fma_f64 v[148:149], -v[142:143], v[144:145], 1.0
	v_mov_b32_e32 v63, v67
	v_mov_b32_e32 v64, v68
	;; [unrolled: 1-line block ×21, first 2 shown]
	v_fma_f64 v[144:145], v[144:145], v[148:149], v[144:145]
	v_mov_b32_e32 v80, v84
	v_mov_b32_e32 v81, v85
	;; [unrolled: 1-line block ×21, first 2 shown]
	v_fma_f64 v[148:149], -v[142:143], v[144:145], 1.0
	v_mov_b32_e32 v101, v239
	v_mov_b32_e32 v239, v105
	;; [unrolled: 1-line block ×21, first 2 shown]
	v_fma_f64 v[144:145], v[144:145], v[148:149], v[144:145]
	v_mov_b32_e32 v118, v122
	v_mov_b32_e32 v119, v123
	;; [unrolled: 1-line block ×21, first 2 shown]
	v_mul_f64 v[148:149], v[150:151], v[144:145]
	v_mov_b32_e32 v234, v128
	v_mov_b32_e32 v233, v127
	;; [unrolled: 1-line block ×21, first 2 shown]
	v_fma_f64 v[142:143], -v[142:143], v[148:149], v[150:151]
	v_mov_b32_e32 v209, v206
	v_mov_b32_e32 v208, v205
	;; [unrolled: 1-line block ×21, first 2 shown]
	v_div_fmas_f64 v[142:143], v[142:143], v[144:145], v[148:149]
	v_mov_b32_e32 v188, v185
	v_mov_b32_e32 v186, v254
	;; [unrolled: 1-line block ×21, first 2 shown]
	v_div_fixup_f64 v[142:143], v[142:143], v[4:5], v[2:3]
	v_mov_b32_e32 v146, v167
	v_mov_b32_e32 v147, v168
	;; [unrolled: 1-line block ×17, first 2 shown]
	v_fma_f64 v[144:145], v[2:3], v[142:143], v[4:5]
	v_mov_b32_e32 v166, v169
	v_mov_b32_e32 v168, v147
	;; [unrolled: 1-line block ×21, first 2 shown]
	v_div_scale_f64 v[148:149], null, v[144:145], v[144:145], 1.0
	v_mov_b32_e32 v255, v187
	v_mov_b32_e32 v254, v186
	;; [unrolled: 1-line block ×20, first 2 shown]
	v_rcp_f64_e32 v[150:151], v[148:149]
	v_mov_b32_e32 v203, v206
	v_mov_b32_e32 v204, v207
	;; [unrolled: 1-line block ×14, first 2 shown]
	v_fma_f64 v[152:153], -v[148:149], v[150:151], 1.0
	v_fma_f64 v[150:151], v[150:151], v[152:153], v[150:151]
	v_fma_f64 v[152:153], -v[148:149], v[150:151], 1.0
	v_fma_f64 v[150:151], v[150:151], v[152:153], v[150:151]
	v_div_scale_f64 v[152:153], vcc_lo, 1.0, v[144:145], 1.0
	v_mul_f64 v[154:155], v[152:153], v[150:151]
	v_fma_f64 v[148:149], -v[148:149], v[154:155], v[152:153]
	v_div_fmas_f64 v[148:149], v[148:149], v[150:151], v[154:155]
	v_mov_b32_e32 v156, v133
	v_mov_b32_e32 v155, v132
	;; [unrolled: 1-line block ×136, first 2 shown]
	s_clause 0x3
	buffer_load_dword v26, off, s[16:19], 0 offset:344
	buffer_load_dword v27, off, s[16:19], 0 offset:348
	;; [unrolled: 1-line block ×4, first 2 shown]
	v_div_fixup_f64 v[144:145], v[148:149], v[144:145], 1.0
	v_mul_f64 v[142:143], v[142:143], v[144:145]
	v_xor_b32_e32 v145, 0x80000000, v145
.LBB65_293:
	s_andn2_saveexec_b32 s1, s1
	s_cbranch_execz .LBB65_295
; %bb.294:
	v_div_scale_f64 v[142:143], null, v[2:3], v[2:3], v[4:5]
	v_div_scale_f64 v[150:151], vcc_lo, v[4:5], v[2:3], v[4:5]
	s_waitcnt vmcnt(0)
	v_mov_b32_e32 v26, v244
	v_mov_b32_e32 v27, v245
	;; [unrolled: 1-line block ×18, first 2 shown]
	v_rcp_f64_e32 v[144:145], v[142:143]
	v_mov_b32_e32 v40, v44
	v_mov_b32_e32 v41, v45
	;; [unrolled: 1-line block ×23, first 2 shown]
	v_fma_f64 v[148:149], -v[142:143], v[144:145], 1.0
	v_mov_b32_e32 v63, v67
	v_mov_b32_e32 v64, v68
	;; [unrolled: 1-line block ×21, first 2 shown]
	v_fma_f64 v[144:145], v[144:145], v[148:149], v[144:145]
	v_mov_b32_e32 v80, v84
	v_mov_b32_e32 v81, v85
	;; [unrolled: 1-line block ×21, first 2 shown]
	v_fma_f64 v[148:149], -v[142:143], v[144:145], 1.0
	v_mov_b32_e32 v101, v239
	v_mov_b32_e32 v239, v105
	;; [unrolled: 1-line block ×21, first 2 shown]
	v_fma_f64 v[144:145], v[144:145], v[148:149], v[144:145]
	v_mov_b32_e32 v118, v122
	v_mov_b32_e32 v119, v123
	;; [unrolled: 1-line block ×21, first 2 shown]
	v_mul_f64 v[148:149], v[150:151], v[144:145]
	v_mov_b32_e32 v234, v128
	v_mov_b32_e32 v233, v127
	;; [unrolled: 1-line block ×21, first 2 shown]
	v_fma_f64 v[142:143], -v[142:143], v[148:149], v[150:151]
	v_mov_b32_e32 v209, v206
	v_mov_b32_e32 v208, v205
	;; [unrolled: 1-line block ×21, first 2 shown]
	v_div_fmas_f64 v[142:143], v[142:143], v[144:145], v[148:149]
	v_mov_b32_e32 v188, v185
	v_mov_b32_e32 v186, v254
	;; [unrolled: 1-line block ×21, first 2 shown]
	v_div_fixup_f64 v[144:145], v[142:143], v[2:3], v[4:5]
	v_mov_b32_e32 v146, v167
	v_mov_b32_e32 v147, v168
	;; [unrolled: 1-line block ×17, first 2 shown]
	v_fma_f64 v[142:143], v[4:5], v[144:145], v[2:3]
	v_mov_b32_e32 v166, v169
	v_mov_b32_e32 v168, v147
	;; [unrolled: 1-line block ×21, first 2 shown]
	v_div_scale_f64 v[148:149], null, v[142:143], v[142:143], 1.0
	v_mov_b32_e32 v255, v187
	v_mov_b32_e32 v254, v186
	;; [unrolled: 1-line block ×20, first 2 shown]
	v_rcp_f64_e32 v[150:151], v[148:149]
	v_mov_b32_e32 v203, v206
	v_mov_b32_e32 v204, v207
	;; [unrolled: 1-line block ×14, first 2 shown]
	v_fma_f64 v[152:153], -v[148:149], v[150:151], 1.0
	v_fma_f64 v[150:151], v[150:151], v[152:153], v[150:151]
	v_fma_f64 v[152:153], -v[148:149], v[150:151], 1.0
	v_fma_f64 v[150:151], v[150:151], v[152:153], v[150:151]
	v_div_scale_f64 v[152:153], vcc_lo, 1.0, v[142:143], 1.0
	v_mul_f64 v[154:155], v[152:153], v[150:151]
	v_fma_f64 v[148:149], -v[148:149], v[154:155], v[152:153]
	v_div_fmas_f64 v[148:149], v[148:149], v[150:151], v[154:155]
	v_mov_b32_e32 v156, v133
	v_mov_b32_e32 v155, v132
	;; [unrolled: 1-line block ×136, first 2 shown]
	s_clause 0x3
	buffer_load_dword v26, off, s[16:19], 0 offset:344
	buffer_load_dword v27, off, s[16:19], 0 offset:348
	buffer_load_dword v28, off, s[16:19], 0 offset:352
	buffer_load_dword v29, off, s[16:19], 0 offset:356
	v_div_fixup_f64 v[142:143], v[148:149], v[142:143], 1.0
	v_mul_f64 v[144:145], v[144:145], -v[142:143]
.LBB65_295:
	s_or_b32 exec_lo, exec_lo, s1
	ds_write2_b64 v1, v[142:143], v[144:145] offset1:1
.LBB65_296:
	s_or_b32 exec_lo, exec_lo, s2
	s_waitcnt vmcnt(0) lgkmcnt(0)
	s_waitcnt_vscnt null, 0x0
	s_barrier
	buffer_gl0_inv
	ds_read2_b64 v[142:145], v1 offset1:1
	s_mov_b32 s1, exec_lo
	v_cmpx_lt_u32_e32 32, v0
	s_cbranch_execz .LBB65_298
; %bb.297:
	s_waitcnt lgkmcnt(0)
	v_mul_f64 v[0:1], v[144:145], v[4:5]
	v_mul_f64 v[4:5], v[142:143], v[4:5]
	v_fma_f64 v[0:1], v[142:143], v[2:3], -v[0:1]
	v_fma_f64 v[4:5], v[144:145], v[2:3], v[4:5]
	v_mov_b32_e32 v3, v1
	v_mov_b32_e32 v2, v0
.LBB65_298:
	s_or_b32 exec_lo, exec_lo, s1
	s_waitcnt lgkmcnt(0)
	s_barrier
	buffer_gl0_inv
	s_and_saveexec_b32 s7, s0
	s_cbranch_execz .LBB65_301
; %bb.299:
	s_clause 0x3
	buffer_load_dword v148, off, s[16:19], 0
	buffer_load_dword v149, off, s[16:19], 0 offset:4
	buffer_load_dword v150, off, s[16:19], 0 offset:8
	;; [unrolled: 1-line block ×3, first 2 shown]
	v_cmp_eq_f64_e64 s5, 0, v[153:154]
	v_cmp_eq_f64_e64 s6, 0, v[155:156]
	s_and_b32 s5, s5, s6
	s_waitcnt vmcnt(2)
	v_cmp_eq_f64_e32 vcc_lo, 0, v[148:149]
	s_waitcnt vmcnt(0)
	v_cmp_eq_f64_e64 s0, 0, v[150:151]
	s_clause 0x3
	buffer_load_dword v148, off, s[16:19], 0 offset:16
	buffer_load_dword v149, off, s[16:19], 0 offset:20
	;; [unrolled: 1-line block ×4, first 2 shown]
	s_and_b32 s0, vcc_lo, s0
	v_cndmask_b32_e64 v0, 0, 1, s0
	s_waitcnt vmcnt(2)
	v_cmp_neq_f64_e64 s1, 0, v[148:149]
	s_waitcnt vmcnt(0)
	v_cmp_neq_f64_e64 s2, 0, v[150:151]
	s_clause 0x3
	buffer_load_dword v148, off, s[16:19], 0 offset:32
	buffer_load_dword v149, off, s[16:19], 0 offset:36
	buffer_load_dword v150, off, s[16:19], 0 offset:40
	buffer_load_dword v151, off, s[16:19], 0 offset:44
	s_or_b32 s1, s1, s2
	s_or_b32 vcc_lo, s1, s0
	v_cmp_eq_f64_e64 s0, 0, v[234:235]
	v_cndmask_b32_e32 v0, 2, v0, vcc_lo
	v_cmp_eq_f64_e32 vcc_lo, 0, v[232:233]
	v_cmp_eq_u32_e64 s1, 0, v0
	s_and_b32 s0, vcc_lo, s0
	s_waitcnt vmcnt(2)
	v_cmp_eq_f64_e64 s3, 0, v[148:149]
	s_waitcnt vmcnt(0)
	v_cmp_eq_f64_e64 s4, 0, v[150:151]
	s_and_b32 s2, s3, s4
	s_and_b32 s1, s2, s1
	v_cmp_eq_f64_e64 s2, 0, v[219:220]
	v_cndmask_b32_e64 v148, v0, 3, s1
	v_lshlrev_b64 v[0:1], 2, v[199:200]
	v_cmp_eq_f64_e64 s1, 0, v[217:218]
	v_cmp_eq_u32_e64 s3, 0, v148
	v_add_co_u32 v0, s4, s10, v0
	v_add_co_ci_u32_e64 v1, null, s11, v1, s4
	s_and_b32 s3, s5, s3
	v_cmp_eq_f64_e64 s4, 0, v[221:222]
	v_cndmask_b32_e64 v148, v148, 4, s3
	global_load_dword v149, v[0:1], off
	s_clause 0x3
	buffer_load_dword v150, off, s[16:19], 0 offset:56
	buffer_load_dword v151, off, s[16:19], 0 offset:60
	buffer_load_dword v152, off, s[16:19], 0 offset:64
	buffer_load_dword v153, off, s[16:19], 0 offset:68
	v_cmp_eq_f64_e64 s5, 0, v[223:224]
	v_cmp_eq_u32_e64 s3, 0, v148
	s_and_b32 s0, s0, s3
	s_and_b32 s1, s1, s2
	v_cndmask_b32_e64 v148, v148, 5, s0
	v_cmp_eq_f64_e64 s0, 0, v[225:226]
	v_cmp_eq_f64_e64 s3, 0, v[227:228]
	v_cmp_eq_f64_e64 s2, 0, v[238:239]
	v_cmp_eq_u32_e32 vcc_lo, 0, v148
	s_and_b32 s1, s1, vcc_lo
	v_cndmask_b32_e64 v148, v148, 6, s1
	s_and_b32 s4, s4, s5
	v_cmp_eq_f64_e64 s1, 0, v[236:237]
	v_cmp_eq_f64_e64 s5, 0, v[242:243]
	v_cmp_eq_u32_e32 vcc_lo, 0, v148
	s_and_b32 s4, s4, vcc_lo
	v_cndmask_b32_e64 v148, v148, 7, s4
	s_and_b32 s0, s0, s3
	v_cmp_eq_f64_e64 s4, 0, v[240:241]
	v_cmp_eq_f64_e64 s3, 0, v[246:247]
	v_cmp_eq_u32_e32 vcc_lo, 0, v148
	s_and_b32 s0, s0, vcc_lo
	v_cndmask_b32_e64 v148, v148, 8, s0
	s_and_b32 s1, s1, s2
	v_cmp_eq_f64_e64 s0, 0, v[244:245]
	v_cmp_eq_u32_e32 vcc_lo, 0, v148
	s_and_b32 s1, s1, vcc_lo
	v_cndmask_b32_e64 v148, v148, 9, s1
	s_and_b32 s4, s4, s5
	v_cmp_eq_u32_e32 vcc_lo, 0, v148
	s_and_b32 s4, s4, vcc_lo
	v_cndmask_b32_e64 v148, v148, 10, s4
	s_and_b32 s0, s0, s3
	v_cmp_eq_u32_e32 vcc_lo, 0, v148
	s_and_b32 s0, s0, vcc_lo
	v_cndmask_b32_e64 v148, v148, 11, s0
	v_cmp_eq_u32_e32 vcc_lo, 0, v148
	s_waitcnt vmcnt(2)
	v_cmp_eq_f64_e64 s1, 0, v[150:151]
	s_waitcnt vmcnt(0)
	v_cmp_eq_f64_e64 s2, 0, v[152:153]
	s_clause 0x3
	buffer_load_dword v150, off, s[16:19], 0 offset:72
	buffer_load_dword v151, off, s[16:19], 0 offset:76
	buffer_load_dword v152, off, s[16:19], 0 offset:80
	buffer_load_dword v153, off, s[16:19], 0 offset:84
	s_and_b32 s1, s1, s2
	s_and_b32 s1, s1, vcc_lo
	v_cndmask_b32_e64 v148, v148, 12, s1
	v_cmp_eq_u32_e32 vcc_lo, 0, v148
	s_waitcnt vmcnt(2)
	v_cmp_eq_f64_e64 s4, 0, v[150:151]
	s_waitcnt vmcnt(0)
	v_cmp_eq_f64_e64 s5, 0, v[152:153]
	s_clause 0x3
	buffer_load_dword v150, off, s[16:19], 0 offset:88
	buffer_load_dword v151, off, s[16:19], 0 offset:92
	buffer_load_dword v152, off, s[16:19], 0 offset:96
	buffer_load_dword v153, off, s[16:19], 0 offset:100
	s_and_b32 s4, s4, s5
	;; [unrolled: 13-line block ×16, first 2 shown]
	v_cmp_eq_f64_e64 s2, 0, v[252:253]
	s_and_b32 s1, s1, vcc_lo
	v_cndmask_b32_e64 v148, v148, 27, s1
	v_cmp_eq_f64_e64 s1, 0, v[250:251]
	v_cmp_eq_u32_e32 vcc_lo, 0, v148
	s_and_b32 s1, s1, s2
	v_cmp_eq_f64_e64 s2, 0, v[144:145]
	s_waitcnt vmcnt(2)
	v_cmp_eq_f64_e64 s4, 0, v[150:151]
	s_waitcnt vmcnt(0)
	v_cmp_eq_f64_e64 s5, 0, v[152:153]
	s_clause 0x3
	buffer_load_dword v150, off, s[16:19], 0 offset:328
	buffer_load_dword v151, off, s[16:19], 0 offset:332
	;; [unrolled: 1-line block ×4, first 2 shown]
	s_and_b32 s4, s4, s5
	v_cmp_eq_f64_e64 s5, 0, v[136:137]
	s_and_b32 s4, s4, vcc_lo
	v_cndmask_b32_e64 v148, v148, 28, s4
	v_cmp_eq_f64_e64 s4, 0, v[134:135]
	v_cmp_eq_u32_e32 vcc_lo, 0, v148
	s_and_b32 s4, s4, s5
	s_waitcnt vmcnt(2)
	v_cmp_eq_f64_e64 s0, 0, v[150:151]
	s_waitcnt vmcnt(0)
	v_cmp_eq_f64_e64 s3, 0, v[152:153]
	s_and_b32 s0, s0, s3
	v_cmp_eq_f64_e64 s3, 0, v[140:141]
	s_and_b32 s0, s0, vcc_lo
	v_cndmask_b32_e64 v134, v148, 29, s0
	v_cmp_eq_f64_e64 s0, 0, v[138:139]
	v_cmp_eq_u32_e32 vcc_lo, 0, v134
	s_and_b32 s1, s1, vcc_lo
	v_cndmask_b32_e64 v134, v134, 30, s1
	v_cmp_eq_f64_e64 s1, 0, v[142:143]
	v_cmp_eq_u32_e32 vcc_lo, 0, v134
	s_and_b32 s4, s4, vcc_lo
	s_and_b32 s0, s0, s3
	v_cndmask_b32_e64 v134, v134, 31, s4
	v_cmp_eq_u32_e32 vcc_lo, 0, v134
	s_and_b32 s0, s0, vcc_lo
	v_cndmask_b32_e64 v134, v134, 32, s0
	s_and_b32 s0, s1, s2
	v_cmp_eq_u32_e32 vcc_lo, 0, v134
	s_and_b32 s0, s0, vcc_lo
	v_cmp_eq_u32_e32 vcc_lo, 0, v149
	v_cndmask_b32_e64 v134, v134, 33, s0
	v_cmp_ne_u32_e64 s0, 0, v134
	s_and_b32 s0, vcc_lo, s0
	s_and_b32 exec_lo, exec_lo, s0
	s_cbranch_execz .LBB65_301
; %bb.300:
	v_add_nc_u32_e32 v134, s13, v134
	global_store_dword v[0:1], v134, off
.LBB65_301:
	s_or_b32 exec_lo, exec_lo, s7
	global_store_dwordx4 v[213:214], v[130:133], off
	global_store_dwordx4 v[215:216], v[126:129], off
	;; [unrolled: 1-line block ×3, first 2 shown]
	s_clause 0x1
	buffer_load_dword v0, off, s[16:19], 0 offset:48
	buffer_load_dword v1, off, s[16:19], 0 offset:52
	s_waitcnt vmcnt(0)
	global_store_dwordx4 v[0:1], v[118:121], off
	global_store_dwordx4 v[248:249], v[114:117], off
	global_store_dwordx4 v[157:158], v[110:113], off
	global_store_dwordx4 v[163:164], v[106:109], off
	global_store_dwordx4 v[161:162], v[102:105], off
	global_store_dwordx4 v[167:168], v[98:101], off
	global_store_dwordx4 v[165:166], v[94:97], off
	global_store_dwordx4 v[146:147], v[90:93], off
	global_store_dwordx4 v[171:172], v[86:89], off
	global_store_dwordx4 v[169:170], v[82:85], off
	global_store_dwordx4 v[175:176], v[78:81], off
	global_store_dwordx4 v[173:174], v[74:77], off
	global_store_dwordx4 v[179:180], v[70:73], off
	global_store_dwordx4 v[177:178], v[66:69], off
	global_store_dwordx4 v[183:184], v[62:65], off
	global_store_dwordx4 v[181:182], v[58:61], off
	global_store_dwordx4 v[254:255], v[54:57], off
	global_store_dwordx4 v[187:188], v[50:53], off
	global_store_dwordx4 v[185:186], v[46:49], off
	global_store_dwordx4 v[191:192], v[42:45], off
	global_store_dwordx4 v[189:190], v[38:41], off
	global_store_dwordx4 v[195:196], v[34:37], off
	global_store_dwordx4 v[193:194], v[30:33], off
	global_store_dwordx4 v[197:198], v[26:29], off
	global_store_dwordx4 v[203:204], v[22:25], off
	global_store_dwordx4 v[207:208], v[18:21], off
	global_store_dwordx4 v[201:202], v[14:17], off
	global_store_dwordx4 v[205:206], v[10:13], off
	global_store_dwordx4 v[211:212], v[6:9], off
	global_store_dwordx4 v[209:210], v[2:5], off
.LBB65_302:
	s_endpgm
	.section	.rodata,"a",@progbits
	.p2align	6, 0x0
	.amdhsa_kernel _ZN9rocsolver6v33100L23getf2_npvt_small_kernelILi33E19rocblas_complex_numIdEiiPS3_EEvT1_T3_lS5_lPT2_S5_S5_
		.amdhsa_group_segment_fixed_size 0
		.amdhsa_private_segment_fixed_size 364
		.amdhsa_kernarg_size 312
		.amdhsa_user_sgpr_count 6
		.amdhsa_user_sgpr_private_segment_buffer 1
		.amdhsa_user_sgpr_dispatch_ptr 0
		.amdhsa_user_sgpr_queue_ptr 0
		.amdhsa_user_sgpr_kernarg_segment_ptr 1
		.amdhsa_user_sgpr_dispatch_id 0
		.amdhsa_user_sgpr_flat_scratch_init 0
		.amdhsa_user_sgpr_private_segment_size 0
		.amdhsa_wavefront_size32 1
		.amdhsa_uses_dynamic_stack 0
		.amdhsa_system_sgpr_private_segment_wavefront_offset 1
		.amdhsa_system_sgpr_workgroup_id_x 1
		.amdhsa_system_sgpr_workgroup_id_y 1
		.amdhsa_system_sgpr_workgroup_id_z 0
		.amdhsa_system_sgpr_workgroup_info 0
		.amdhsa_system_vgpr_workitem_id 1
		.amdhsa_next_free_vgpr 256
		.amdhsa_next_free_sgpr 20
		.amdhsa_reserve_vcc 1
		.amdhsa_reserve_flat_scratch 0
		.amdhsa_float_round_mode_32 0
		.amdhsa_float_round_mode_16_64 0
		.amdhsa_float_denorm_mode_32 3
		.amdhsa_float_denorm_mode_16_64 3
		.amdhsa_dx10_clamp 1
		.amdhsa_ieee_mode 1
		.amdhsa_fp16_overflow 0
		.amdhsa_workgroup_processor_mode 1
		.amdhsa_memory_ordered 1
		.amdhsa_forward_progress 1
		.amdhsa_shared_vgpr_count 0
		.amdhsa_exception_fp_ieee_invalid_op 0
		.amdhsa_exception_fp_denorm_src 0
		.amdhsa_exception_fp_ieee_div_zero 0
		.amdhsa_exception_fp_ieee_overflow 0
		.amdhsa_exception_fp_ieee_underflow 0
		.amdhsa_exception_fp_ieee_inexact 0
		.amdhsa_exception_int_div_zero 0
	.end_amdhsa_kernel
	.section	.text._ZN9rocsolver6v33100L23getf2_npvt_small_kernelILi33E19rocblas_complex_numIdEiiPS3_EEvT1_T3_lS5_lPT2_S5_S5_,"axG",@progbits,_ZN9rocsolver6v33100L23getf2_npvt_small_kernelILi33E19rocblas_complex_numIdEiiPS3_EEvT1_T3_lS5_lPT2_S5_S5_,comdat
.Lfunc_end65:
	.size	_ZN9rocsolver6v33100L23getf2_npvt_small_kernelILi33E19rocblas_complex_numIdEiiPS3_EEvT1_T3_lS5_lPT2_S5_S5_, .Lfunc_end65-_ZN9rocsolver6v33100L23getf2_npvt_small_kernelILi33E19rocblas_complex_numIdEiiPS3_EEvT1_T3_lS5_lPT2_S5_S5_
                                        ; -- End function
	.set _ZN9rocsolver6v33100L23getf2_npvt_small_kernelILi33E19rocblas_complex_numIdEiiPS3_EEvT1_T3_lS5_lPT2_S5_S5_.num_vgpr, 256
	.set _ZN9rocsolver6v33100L23getf2_npvt_small_kernelILi33E19rocblas_complex_numIdEiiPS3_EEvT1_T3_lS5_lPT2_S5_S5_.num_agpr, 0
	.set _ZN9rocsolver6v33100L23getf2_npvt_small_kernelILi33E19rocblas_complex_numIdEiiPS3_EEvT1_T3_lS5_lPT2_S5_S5_.numbered_sgpr, 20
	.set _ZN9rocsolver6v33100L23getf2_npvt_small_kernelILi33E19rocblas_complex_numIdEiiPS3_EEvT1_T3_lS5_lPT2_S5_S5_.num_named_barrier, 0
	.set _ZN9rocsolver6v33100L23getf2_npvt_small_kernelILi33E19rocblas_complex_numIdEiiPS3_EEvT1_T3_lS5_lPT2_S5_S5_.private_seg_size, 364
	.set _ZN9rocsolver6v33100L23getf2_npvt_small_kernelILi33E19rocblas_complex_numIdEiiPS3_EEvT1_T3_lS5_lPT2_S5_S5_.uses_vcc, 1
	.set _ZN9rocsolver6v33100L23getf2_npvt_small_kernelILi33E19rocblas_complex_numIdEiiPS3_EEvT1_T3_lS5_lPT2_S5_S5_.uses_flat_scratch, 0
	.set _ZN9rocsolver6v33100L23getf2_npvt_small_kernelILi33E19rocblas_complex_numIdEiiPS3_EEvT1_T3_lS5_lPT2_S5_S5_.has_dyn_sized_stack, 0
	.set _ZN9rocsolver6v33100L23getf2_npvt_small_kernelILi33E19rocblas_complex_numIdEiiPS3_EEvT1_T3_lS5_lPT2_S5_S5_.has_recursion, 0
	.set _ZN9rocsolver6v33100L23getf2_npvt_small_kernelILi33E19rocblas_complex_numIdEiiPS3_EEvT1_T3_lS5_lPT2_S5_S5_.has_indirect_call, 0
	.section	.AMDGPU.csdata,"",@progbits
; Kernel info:
; codeLenInByte = 63904
; TotalNumSgprs: 22
; NumVgprs: 256
; ScratchSize: 364
; MemoryBound: 1
; FloatMode: 240
; IeeeMode: 1
; LDSByteSize: 0 bytes/workgroup (compile time only)
; SGPRBlocks: 0
; VGPRBlocks: 31
; NumSGPRsForWavesPerEU: 22
; NumVGPRsForWavesPerEU: 256
; Occupancy: 4
; WaveLimiterHint : 0
; COMPUTE_PGM_RSRC2:SCRATCH_EN: 1
; COMPUTE_PGM_RSRC2:USER_SGPR: 6
; COMPUTE_PGM_RSRC2:TRAP_HANDLER: 0
; COMPUTE_PGM_RSRC2:TGID_X_EN: 1
; COMPUTE_PGM_RSRC2:TGID_Y_EN: 1
; COMPUTE_PGM_RSRC2:TGID_Z_EN: 0
; COMPUTE_PGM_RSRC2:TIDIG_COMP_CNT: 1
	.section	.text._ZN9rocsolver6v33100L18getf2_small_kernelILi34E19rocblas_complex_numIdEiiPS3_EEvT1_T3_lS5_lPS5_llPT2_S5_S5_S7_l,"axG",@progbits,_ZN9rocsolver6v33100L18getf2_small_kernelILi34E19rocblas_complex_numIdEiiPS3_EEvT1_T3_lS5_lPS5_llPT2_S5_S5_S7_l,comdat
	.globl	_ZN9rocsolver6v33100L18getf2_small_kernelILi34E19rocblas_complex_numIdEiiPS3_EEvT1_T3_lS5_lPS5_llPT2_S5_S5_S7_l ; -- Begin function _ZN9rocsolver6v33100L18getf2_small_kernelILi34E19rocblas_complex_numIdEiiPS3_EEvT1_T3_lS5_lPS5_llPT2_S5_S5_S7_l
	.p2align	8
	.type	_ZN9rocsolver6v33100L18getf2_small_kernelILi34E19rocblas_complex_numIdEiiPS3_EEvT1_T3_lS5_lPS5_llPT2_S5_S5_S7_l,@function
_ZN9rocsolver6v33100L18getf2_small_kernelILi34E19rocblas_complex_numIdEiiPS3_EEvT1_T3_lS5_lPS5_llPT2_S5_S5_S7_l: ; @_ZN9rocsolver6v33100L18getf2_small_kernelILi34E19rocblas_complex_numIdEiiPS3_EEvT1_T3_lS5_lPS5_llPT2_S5_S5_S7_l
; %bb.0:
	s_clause 0x1
	s_load_dword s0, s[4:5], 0x6c
	s_load_dwordx2 s[16:17], s[4:5], 0x48
	s_waitcnt lgkmcnt(0)
	s_lshr_b32 s0, s0, 16
	v_mad_u64_u32 v[142:143], null, s7, s0, v[1:2]
	s_mov_b32 s0, exec_lo
	v_cmpx_gt_i32_e64 s16, v142
	s_cbranch_execz .LBB66_717
; %bb.1:
	s_load_dwordx4 s[0:3], s[4:5], 0x50
	v_mov_b32_e32 v144, 0
	v_ashrrev_i32_e32 v143, 31, v142
	v_mov_b32_e32 v145, 0
	s_waitcnt lgkmcnt(0)
	s_cmp_eq_u64 s[0:1], 0
	s_cselect_b32 s16, -1, 0
	s_and_b32 vcc_lo, exec_lo, s16
	s_cbranch_vccnz .LBB66_3
; %bb.2:
	v_mul_lo_u32 v4, s3, v142
	v_mul_lo_u32 v5, s2, v143
	v_mad_u64_u32 v[2:3], null, s2, v142, 0
	v_add3_u32 v3, v3, v5, v4
	v_lshlrev_b64 v[2:3], 2, v[2:3]
	v_add_co_u32 v144, vcc_lo, s0, v2
	v_add_co_ci_u32_e64 v145, null, s1, v3, vcc_lo
.LBB66_3:
	s_clause 0x2
	s_load_dwordx8 s[8:15], s[4:5], 0x20
	s_load_dword s6, s[4:5], 0x18
	s_load_dwordx4 s[0:3], s[4:5], 0x8
	v_lshlrev_b32_e32 v148, 4, v0
	s_clause 0x1
	s_load_dword s18, s[4:5], 0x0
	s_load_dwordx2 s[4:5], s[4:5], 0x40
	s_waitcnt lgkmcnt(0)
	v_mul_lo_u32 v5, s9, v142
	v_mul_lo_u32 v7, s8, v143
	v_mad_u64_u32 v[2:3], null, s8, v142, 0
	v_add3_u32 v4, s6, s6, v0
	s_lshl_b64 s[2:3], s[2:3], 4
	s_ashr_i32 s7, s6, 31
	s_lshl_b64 s[8:9], s[6:7], 4
	v_add_nc_u32_e32 v6, s6, v4
	v_add3_u32 v3, v3, v7, v5
	v_ashrrev_i32_e32 v5, 31, v4
	v_add_nc_u32_e32 v8, s6, v6
	v_lshlrev_b64 v[2:3], 4, v[2:3]
	v_ashrrev_i32_e32 v7, 31, v6
	v_lshlrev_b64 v[4:5], 4, v[4:5]
	v_ashrrev_i32_e32 v9, 31, v8
	v_add_nc_u32_e32 v10, s6, v8
	v_add_co_u32 v12, vcc_lo, s0, v2
	v_add_co_ci_u32_e64 v13, null, s1, v3, vcc_lo
	v_lshlrev_b64 v[2:3], 4, v[8:9]
	v_add_nc_u32_e32 v8, s6, v10
	v_add_co_u32 v149, vcc_lo, v12, s2
	v_ashrrev_i32_e32 v11, 31, v10
	v_lshlrev_b64 v[6:7], 4, v[6:7]
	v_add_nc_u32_e32 v12, s6, v8
	v_add_co_ci_u32_e64 v150, null, s3, v13, vcc_lo
	v_ashrrev_i32_e32 v9, 31, v8
	v_lshlrev_b64 v[10:11], 4, v[10:11]
	v_add_nc_u32_e32 v14, s6, v12
	v_ashrrev_i32_e32 v13, 31, v12
	v_add_co_u32 v4, vcc_lo, v149, v4
	v_add_co_ci_u32_e64 v5, null, v150, v5, vcc_lo
	v_add_nc_u32_e32 v16, s6, v14
	v_ashrrev_i32_e32 v15, 31, v14
	v_add_co_u32 v6, vcc_lo, v149, v6
	v_lshlrev_b64 v[8:9], 4, v[8:9]
	v_add_nc_u32_e32 v18, s6, v16
	v_ashrrev_i32_e32 v17, 31, v16
	v_add_co_ci_u32_e64 v7, null, v150, v7, vcc_lo
	v_add_co_u32 v2, vcc_lo, v149, v2
	v_add_nc_u32_e32 v20, s6, v18
	v_lshlrev_b64 v[12:13], 4, v[12:13]
	v_ashrrev_i32_e32 v19, 31, v18
	v_add_co_ci_u32_e64 v3, null, v150, v3, vcc_lo
	v_add_nc_u32_e32 v22, s6, v20
	v_add_co_u32 v10, vcc_lo, v149, v10
	v_lshlrev_b64 v[14:15], 4, v[14:15]
	v_ashrrev_i32_e32 v21, 31, v20
	v_add_nc_u32_e32 v24, s6, v22
	v_add_co_ci_u32_e64 v11, null, v150, v11, vcc_lo
	v_add_co_u32 v8, vcc_lo, v149, v8
	v_add_nc_u32_e32 v26, s6, v24
	v_lshlrev_b64 v[16:17], 4, v[16:17]
	v_ashrrev_i32_e32 v23, 31, v22
	v_add_co_ci_u32_e64 v9, null, v150, v9, vcc_lo
	v_add_nc_u32_e32 v28, s6, v26
	v_add_co_u32 v12, vcc_lo, v149, v12
	v_lshlrev_b64 v[18:19], 4, v[18:19]
	v_ashrrev_i32_e32 v25, 31, v24
	v_add_nc_u32_e32 v30, s6, v28
	;; [unrolled: 11-line block ×4, first 2 shown]
	v_add_co_ci_u32_e64 v21, null, v150, v21, vcc_lo
	v_add_co_u32 v22, vcc_lo, v149, v22
	v_lshlrev_b64 v[28:29], 4, v[28:29]
	v_ashrrev_i32_e32 v35, 31, v34
	v_add_nc_u32_e32 v44, s6, v42
	v_add_co_ci_u32_e64 v23, null, v150, v23, vcc_lo
	v_add_co_u32 v24, vcc_lo, v149, v24
	v_lshlrev_b64 v[30:31], 4, v[30:31]
	v_ashrrev_i32_e32 v37, 31, v36
	v_add_co_ci_u32_e64 v25, null, v150, v25, vcc_lo
	v_add_co_u32 v26, vcc_lo, v149, v26
	v_lshlrev_b64 v[32:33], 4, v[32:33]
	v_ashrrev_i32_e32 v39, 31, v38
	v_add_co_ci_u32_e64 v27, null, v150, v27, vcc_lo
	v_add_co_u32 v28, vcc_lo, v149, v28
	v_lshlrev_b64 v[34:35], 4, v[34:35]
	v_add_nc_u32_e32 v46, s6, v44
	v_ashrrev_i32_e32 v41, 31, v40
	v_add_co_ci_u32_e64 v29, null, v150, v29, vcc_lo
	v_add_co_u32 v30, vcc_lo, v149, v30
	v_lshlrev_b64 v[36:37], 4, v[36:37]
	v_ashrrev_i32_e32 v43, 31, v42
	v_add_co_ci_u32_e64 v31, null, v150, v31, vcc_lo
	v_add_co_u32 v32, vcc_lo, v149, v32
	v_lshlrev_b64 v[38:39], 4, v[38:39]
	v_ashrrev_i32_e32 v45, 31, v44
	v_add_nc_u32_e32 v48, s6, v46
	v_add_co_ci_u32_e64 v33, null, v150, v33, vcc_lo
	v_add_co_u32 v34, vcc_lo, v149, v34
	v_lshlrev_b64 v[40:41], 4, v[40:41]
	v_ashrrev_i32_e32 v47, 31, v46
	v_add_co_ci_u32_e64 v35, null, v150, v35, vcc_lo
	v_add_co_u32 v36, vcc_lo, v149, v36
	v_lshlrev_b64 v[42:43], 4, v[42:43]
	v_add_co_ci_u32_e64 v37, null, v150, v37, vcc_lo
	v_add_co_u32 v38, vcc_lo, v149, v38
	v_lshlrev_b64 v[44:45], 4, v[44:45]
	v_add_nc_u32_e32 v50, s6, v48
	v_add_co_ci_u32_e64 v39, null, v150, v39, vcc_lo
	v_add_co_u32 v40, vcc_lo, v149, v40
	v_lshlrev_b64 v[46:47], 4, v[46:47]
	v_ashrrev_i32_e32 v49, 31, v48
	v_add_co_ci_u32_e64 v41, null, v150, v41, vcc_lo
	v_add_co_u32 v42, vcc_lo, v149, v42
	v_ashrrev_i32_e32 v51, 31, v50
	v_add_nc_u32_e32 v52, s6, v50
	v_add_co_ci_u32_e64 v43, null, v150, v43, vcc_lo
	v_add_co_u32 v44, vcc_lo, v149, v44
	v_lshlrev_b64 v[48:49], 4, v[48:49]
	v_add_co_ci_u32_e64 v45, null, v150, v45, vcc_lo
	v_add_co_u32 v138, vcc_lo, v149, v46
	v_add_co_ci_u32_e64 v139, null, v150, v47, vcc_lo
	v_lshlrev_b64 v[46:47], 4, v[50:51]
	v_ashrrev_i32_e32 v53, 31, v52
	v_add_nc_u32_e32 v50, s6, v52
	v_add_co_u32 v140, vcc_lo, v149, v48
	v_add_co_ci_u32_e64 v141, null, v150, v49, vcc_lo
	v_lshlrev_b64 v[48:49], 4, v[52:53]
	v_ashrrev_i32_e32 v51, 31, v50
	v_add_nc_u32_e32 v52, s6, v50
	;; [unrolled: 5-line block ×4, first 2 shown]
	v_add_co_u32 v153, vcc_lo, v149, v46
	v_add_co_ci_u32_e64 v154, null, v150, v47, vcc_lo
	v_lshlrev_b64 v[46:47], 4, v[50:51]
	v_add_nc_u32_e32 v50, s6, v52
	v_ashrrev_i32_e32 v53, 31, v52
	v_add_co_u32 v155, vcc_lo, v149, v48
	v_add_co_ci_u32_e64 v156, null, v150, v49, vcc_lo
	v_ashrrev_i32_e32 v51, 31, v50
	v_lshlrev_b64 v[48:49], 4, v[52:53]
	v_add_co_u32 v157, vcc_lo, v149, v46
	v_add_co_ci_u32_e64 v158, null, v150, v47, vcc_lo
	v_lshlrev_b64 v[46:47], 4, v[50:51]
	v_add_nc_u32_e32 v50, s6, v50
	v_add_co_u32 v159, vcc_lo, v149, v48
	v_add_co_ci_u32_e64 v160, null, v150, v49, vcc_lo
	v_ashrrev_i32_e32 v51, 31, v50
	v_add_co_u32 v161, vcc_lo, v149, v46
	v_add_co_ci_u32_e64 v162, null, v150, v47, vcc_lo
	v_add_co_u32 v48, vcc_lo, v149, v148
	v_add_co_ci_u32_e64 v49, null, 0, v150, vcc_lo
	v_lshlrev_b64 v[46:47], 4, v[50:51]
	v_add_co_u32 v50, vcc_lo, v48, s8
	v_add_co_ci_u32_e64 v51, null, s9, v49, vcc_lo
	s_max_i32 s0, s18, 34
	v_add_co_u32 v163, vcc_lo, v149, v46
	v_add_co_ci_u32_e64 v164, null, v150, v47, vcc_lo
	s_clause 0x21
	global_load_dwordx4 v[134:137], v[48:49], off
	global_load_dwordx4 v[130:133], v[50:51], off
	;; [unrolled: 1-line block ×34, first 2 shown]
	v_mul_lo_u32 v146, s0, v1
	s_cmp_lt_i32 s18, 2
	v_lshl_add_u32 v1, v146, 4, 0
	v_add_nc_u32_e32 v138, v1, v148
	v_lshlrev_b32_e32 v148, 4, v146
	v_mov_b32_e32 v146, 0
	s_waitcnt vmcnt(33)
	ds_write2_b64 v138, v[134:135], v[136:137] offset1:1
	s_waitcnt vmcnt(0) lgkmcnt(0)
	s_barrier
	buffer_gl0_inv
	ds_read2_b64 v[138:141], v1 offset1:1
	s_cbranch_scc1 .LBB66_6
; %bb.4:
	v_add3_u32 v147, v148, 0, 16
	v_mov_b32_e32 v146, 0
	s_mov_b32 s3, 1
	s_inst_prefetch 0x1
	.p2align	6
.LBB66_5:                               ; =>This Inner Loop Header: Depth=1
	ds_read2_b64 v[151:154], v147 offset1:1
	s_waitcnt lgkmcnt(1)
	v_cmp_gt_f64_e32 vcc_lo, 0, v[138:139]
	v_cmp_gt_f64_e64 s0, 0, v[140:141]
	v_xor_b32_e32 v156, 0x80000000, v139
	v_xor_b32_e32 v158, 0x80000000, v141
	v_mov_b32_e32 v155, v138
	v_mov_b32_e32 v157, v140
	v_add_nc_u32_e32 v147, 16, v147
	s_waitcnt lgkmcnt(0)
	v_cmp_gt_f64_e64 s1, 0, v[151:152]
	v_cmp_gt_f64_e64 s2, 0, v[153:154]
	v_xor_b32_e32 v160, 0x80000000, v152
	v_xor_b32_e32 v162, 0x80000000, v154
	v_mov_b32_e32 v159, v151
	v_mov_b32_e32 v161, v153
	v_cndmask_b32_e32 v156, v139, v156, vcc_lo
	v_cndmask_b32_e64 v158, v141, v158, s0
	v_add_f64 v[155:156], v[155:156], v[157:158]
	v_cndmask_b32_e64 v160, v152, v160, s1
	v_cndmask_b32_e64 v162, v154, v162, s2
	v_add_f64 v[157:158], v[159:160], v[161:162]
	v_cmp_lt_f64_e32 vcc_lo, v[155:156], v[157:158]
	v_cndmask_b32_e32 v139, v139, v152, vcc_lo
	v_cndmask_b32_e32 v138, v138, v151, vcc_lo
	;; [unrolled: 1-line block ×4, first 2 shown]
	v_cndmask_b32_e64 v146, v146, s3, vcc_lo
	s_add_i32 s3, s3, 1
	s_cmp_eq_u32 s18, s3
	s_cbranch_scc0 .LBB66_5
.LBB66_6:
	s_inst_prefetch 0x2
	s_waitcnt lgkmcnt(0)
	v_cmp_neq_f64_e32 vcc_lo, 0, v[138:139]
	v_cmp_neq_f64_e64 s0, 0, v[140:141]
	v_mov_b32_e32 v151, 1
	v_mov_b32_e32 v153, 1
	s_or_b32 s1, vcc_lo, s0
	s_and_saveexec_b32 s0, s1
	s_cbranch_execz .LBB66_12
; %bb.7:
	v_cmp_ngt_f64_e64 s1, |v[138:139]|, |v[140:141]|
	s_and_saveexec_b32 s2, s1
	s_xor_b32 s1, exec_lo, s2
	s_cbranch_execz .LBB66_9
; %bb.8:
	v_div_scale_f64 v[151:152], null, v[140:141], v[140:141], v[138:139]
	v_div_scale_f64 v[157:158], vcc_lo, v[138:139], v[140:141], v[138:139]
	v_rcp_f64_e32 v[153:154], v[151:152]
	v_fma_f64 v[155:156], -v[151:152], v[153:154], 1.0
	v_fma_f64 v[153:154], v[153:154], v[155:156], v[153:154]
	v_fma_f64 v[155:156], -v[151:152], v[153:154], 1.0
	v_fma_f64 v[153:154], v[153:154], v[155:156], v[153:154]
	v_mul_f64 v[155:156], v[157:158], v[153:154]
	v_fma_f64 v[151:152], -v[151:152], v[155:156], v[157:158]
	v_div_fmas_f64 v[151:152], v[151:152], v[153:154], v[155:156]
	v_div_fixup_f64 v[151:152], v[151:152], v[140:141], v[138:139]
	v_fma_f64 v[138:139], v[138:139], v[151:152], v[140:141]
	v_div_scale_f64 v[140:141], null, v[138:139], v[138:139], 1.0
	v_rcp_f64_e32 v[153:154], v[140:141]
	v_fma_f64 v[155:156], -v[140:141], v[153:154], 1.0
	v_fma_f64 v[153:154], v[153:154], v[155:156], v[153:154]
	v_fma_f64 v[155:156], -v[140:141], v[153:154], 1.0
	v_fma_f64 v[153:154], v[153:154], v[155:156], v[153:154]
	v_div_scale_f64 v[155:156], vcc_lo, 1.0, v[138:139], 1.0
	v_mul_f64 v[157:158], v[155:156], v[153:154]
	v_fma_f64 v[140:141], -v[140:141], v[157:158], v[155:156]
	v_div_fmas_f64 v[140:141], v[140:141], v[153:154], v[157:158]
	v_div_fixup_f64 v[140:141], v[140:141], v[138:139], 1.0
	v_mul_f64 v[138:139], v[151:152], v[140:141]
	v_xor_b32_e32 v141, 0x80000000, v141
.LBB66_9:
	s_andn2_saveexec_b32 s1, s1
	s_cbranch_execz .LBB66_11
; %bb.10:
	v_div_scale_f64 v[151:152], null, v[138:139], v[138:139], v[140:141]
	v_div_scale_f64 v[157:158], vcc_lo, v[140:141], v[138:139], v[140:141]
	v_rcp_f64_e32 v[153:154], v[151:152]
	v_fma_f64 v[155:156], -v[151:152], v[153:154], 1.0
	v_fma_f64 v[153:154], v[153:154], v[155:156], v[153:154]
	v_fma_f64 v[155:156], -v[151:152], v[153:154], 1.0
	v_fma_f64 v[153:154], v[153:154], v[155:156], v[153:154]
	v_mul_f64 v[155:156], v[157:158], v[153:154]
	v_fma_f64 v[151:152], -v[151:152], v[155:156], v[157:158]
	v_div_fmas_f64 v[151:152], v[151:152], v[153:154], v[155:156]
	v_div_fixup_f64 v[151:152], v[151:152], v[138:139], v[140:141]
	v_fma_f64 v[138:139], v[140:141], v[151:152], v[138:139]
	v_div_scale_f64 v[140:141], null, v[138:139], v[138:139], 1.0
	v_rcp_f64_e32 v[153:154], v[140:141]
	v_fma_f64 v[155:156], -v[140:141], v[153:154], 1.0
	v_fma_f64 v[153:154], v[153:154], v[155:156], v[153:154]
	v_fma_f64 v[155:156], -v[140:141], v[153:154], 1.0
	v_fma_f64 v[153:154], v[153:154], v[155:156], v[153:154]
	v_div_scale_f64 v[155:156], vcc_lo, 1.0, v[138:139], 1.0
	v_mul_f64 v[157:158], v[155:156], v[153:154]
	v_fma_f64 v[140:141], -v[140:141], v[157:158], v[155:156]
	v_div_fmas_f64 v[140:141], v[140:141], v[153:154], v[157:158]
	v_div_fixup_f64 v[138:139], v[140:141], v[138:139], 1.0
	v_mul_f64 v[140:141], v[151:152], -v[138:139]
.LBB66_11:
	s_or_b32 exec_lo, exec_lo, s1
	v_mov_b32_e32 v153, 0
	v_mov_b32_e32 v151, 2
.LBB66_12:
	s_or_b32 exec_lo, exec_lo, s0
	s_mov_b32 s0, exec_lo
	v_cmpx_ne_u32_e64 v0, v146
	s_xor_b32 s0, exec_lo, s0
	s_cbranch_execz .LBB66_18
; %bb.13:
	s_mov_b32 s1, exec_lo
	v_cmpx_eq_u32_e32 0, v0
	s_cbranch_execz .LBB66_17
; %bb.14:
	v_cmp_ne_u32_e32 vcc_lo, 0, v146
	s_xor_b32 s2, s16, -1
	s_and_b32 s3, s2, vcc_lo
	s_and_saveexec_b32 s2, s3
	s_cbranch_execz .LBB66_16
; %bb.15:
	v_ashrrev_i32_e32 v147, 31, v146
	v_lshlrev_b64 v[154:155], 2, v[146:147]
	v_add_co_u32 v154, vcc_lo, v144, v154
	v_add_co_ci_u32_e64 v155, null, v145, v155, vcc_lo
	s_clause 0x1
	global_load_dword v0, v[154:155], off
	global_load_dword v147, v[144:145], off
	s_waitcnt vmcnt(1)
	global_store_dword v[144:145], v0, off
	s_waitcnt vmcnt(0)
	global_store_dword v[154:155], v147, off
.LBB66_16:
	s_or_b32 exec_lo, exec_lo, s2
	v_mov_b32_e32 v0, v146
.LBB66_17:
	s_or_b32 exec_lo, exec_lo, s1
.LBB66_18:
	s_or_saveexec_b32 s0, s0
	v_mov_b32_e32 v152, v0
	s_xor_b32 exec_lo, exec_lo, s0
	s_cbranch_execz .LBB66_20
; %bb.19:
	v_mov_b32_e32 v152, 0
	ds_write2_b64 v1, v[130:131], v[132:133] offset0:2 offset1:3
	ds_write2_b64 v1, v[126:127], v[128:129] offset0:4 offset1:5
	;; [unrolled: 1-line block ×33, first 2 shown]
.LBB66_20:
	s_or_b32 exec_lo, exec_lo, s0
	s_mov_b32 s0, exec_lo
	s_waitcnt lgkmcnt(0)
	s_waitcnt_vscnt null, 0x0
	s_barrier
	buffer_gl0_inv
	v_cmpx_lt_i32_e32 0, v152
	s_cbranch_execz .LBB66_22
; %bb.21:
	v_mul_f64 v[146:147], v[140:141], v[136:137]
	v_mul_f64 v[136:137], v[138:139], v[136:137]
	v_fma_f64 v[146:147], v[138:139], v[134:135], -v[146:147]
	v_fma_f64 v[136:137], v[140:141], v[134:135], v[136:137]
	ds_read2_b64 v[138:141], v1 offset0:2 offset1:3
	s_waitcnt lgkmcnt(0)
	v_mul_f64 v[134:135], v[140:141], v[136:137]
	v_fma_f64 v[134:135], v[138:139], v[146:147], -v[134:135]
	v_mul_f64 v[138:139], v[138:139], v[136:137]
	v_add_f64 v[130:131], v[130:131], -v[134:135]
	v_fma_f64 v[138:139], v[140:141], v[146:147], v[138:139]
	v_add_f64 v[132:133], v[132:133], -v[138:139]
	ds_read2_b64 v[138:141], v1 offset0:4 offset1:5
	s_waitcnt lgkmcnt(0)
	v_mul_f64 v[134:135], v[140:141], v[136:137]
	v_fma_f64 v[134:135], v[138:139], v[146:147], -v[134:135]
	v_mul_f64 v[138:139], v[138:139], v[136:137]
	v_add_f64 v[126:127], v[126:127], -v[134:135]
	v_fma_f64 v[138:139], v[140:141], v[146:147], v[138:139]
	v_add_f64 v[128:129], v[128:129], -v[138:139]
	;; [unrolled: 8-line block ×32, first 2 shown]
	ds_read2_b64 v[138:141], v1 offset0:66 offset1:67
	s_waitcnt lgkmcnt(0)
	v_mul_f64 v[134:135], v[140:141], v[136:137]
	v_fma_f64 v[134:135], v[138:139], v[146:147], -v[134:135]
	v_mul_f64 v[138:139], v[138:139], v[136:137]
	v_add_f64 v[2:3], v[2:3], -v[134:135]
	v_fma_f64 v[138:139], v[140:141], v[146:147], v[138:139]
	v_mov_b32_e32 v134, v146
	v_mov_b32_e32 v135, v147
	v_add_f64 v[4:5], v[4:5], -v[138:139]
.LBB66_22:
	s_or_b32 exec_lo, exec_lo, s0
	v_lshl_add_u32 v138, v152, 4, v1
	s_barrier
	buffer_gl0_inv
	v_mov_b32_e32 v146, 1
	ds_write2_b64 v138, v[130:131], v[132:133] offset1:1
	s_waitcnt lgkmcnt(0)
	s_barrier
	buffer_gl0_inv
	ds_read2_b64 v[138:141], v1 offset0:2 offset1:3
	s_cmp_lt_i32 s18, 3
	s_cbranch_scc1 .LBB66_25
; %bb.23:
	v_add3_u32 v147, v148, 0, 32
	v_mov_b32_e32 v146, 1
	s_mov_b32 s1, 2
	s_inst_prefetch 0x1
	.p2align	6
.LBB66_24:                              ; =>This Inner Loop Header: Depth=1
	s_waitcnt lgkmcnt(0)
	v_cmp_gt_f64_e32 vcc_lo, 0, v[140:141]
	v_cmp_gt_f64_e64 s0, 0, v[138:139]
	ds_read2_b64 v[154:157], v147 offset1:1
	v_xor_b32_e32 v159, 0x80000000, v139
	v_xor_b32_e32 v161, 0x80000000, v141
	v_mov_b32_e32 v158, v138
	v_mov_b32_e32 v160, v140
	v_add_nc_u32_e32 v147, 16, v147
	s_waitcnt lgkmcnt(0)
	v_xor_b32_e32 v163, 0x80000000, v157
	v_cndmask_b32_e64 v159, v139, v159, s0
	v_cndmask_b32_e32 v161, v141, v161, vcc_lo
	v_cmp_gt_f64_e32 vcc_lo, 0, v[156:157]
	v_cmp_gt_f64_e64 s0, 0, v[154:155]
	v_mov_b32_e32 v162, v156
	v_add_f64 v[158:159], v[158:159], v[160:161]
	v_xor_b32_e32 v161, 0x80000000, v155
	v_mov_b32_e32 v160, v154
	v_cndmask_b32_e32 v163, v157, v163, vcc_lo
	v_cndmask_b32_e64 v161, v155, v161, s0
	v_add_f64 v[160:161], v[160:161], v[162:163]
	v_cmp_lt_f64_e32 vcc_lo, v[158:159], v[160:161]
	v_cndmask_b32_e32 v139, v139, v155, vcc_lo
	v_cndmask_b32_e32 v138, v138, v154, vcc_lo
	;; [unrolled: 1-line block ×4, first 2 shown]
	v_cndmask_b32_e64 v146, v146, s1, vcc_lo
	s_add_i32 s1, s1, 1
	s_cmp_lg_u32 s18, s1
	s_cbranch_scc1 .LBB66_24
.LBB66_25:
	s_inst_prefetch 0x2
	s_waitcnt lgkmcnt(0)
	v_cmp_neq_f64_e32 vcc_lo, 0, v[138:139]
	v_cmp_neq_f64_e64 s0, 0, v[140:141]
	s_or_b32 s1, vcc_lo, s0
	s_and_saveexec_b32 s0, s1
	s_cbranch_execz .LBB66_31
; %bb.26:
	v_cmp_ngt_f64_e64 s1, |v[138:139]|, |v[140:141]|
	s_and_saveexec_b32 s2, s1
	s_xor_b32 s1, exec_lo, s2
	s_cbranch_execz .LBB66_28
; %bb.27:
	v_div_scale_f64 v[154:155], null, v[140:141], v[140:141], v[138:139]
	v_div_scale_f64 v[160:161], vcc_lo, v[138:139], v[140:141], v[138:139]
	v_rcp_f64_e32 v[156:157], v[154:155]
	v_fma_f64 v[158:159], -v[154:155], v[156:157], 1.0
	v_fma_f64 v[156:157], v[156:157], v[158:159], v[156:157]
	v_fma_f64 v[158:159], -v[154:155], v[156:157], 1.0
	v_fma_f64 v[156:157], v[156:157], v[158:159], v[156:157]
	v_mul_f64 v[158:159], v[160:161], v[156:157]
	v_fma_f64 v[154:155], -v[154:155], v[158:159], v[160:161]
	v_div_fmas_f64 v[154:155], v[154:155], v[156:157], v[158:159]
	v_div_fixup_f64 v[154:155], v[154:155], v[140:141], v[138:139]
	v_fma_f64 v[138:139], v[138:139], v[154:155], v[140:141]
	v_div_scale_f64 v[140:141], null, v[138:139], v[138:139], 1.0
	v_rcp_f64_e32 v[156:157], v[140:141]
	v_fma_f64 v[158:159], -v[140:141], v[156:157], 1.0
	v_fma_f64 v[156:157], v[156:157], v[158:159], v[156:157]
	v_fma_f64 v[158:159], -v[140:141], v[156:157], 1.0
	v_fma_f64 v[156:157], v[156:157], v[158:159], v[156:157]
	v_div_scale_f64 v[158:159], vcc_lo, 1.0, v[138:139], 1.0
	v_mul_f64 v[160:161], v[158:159], v[156:157]
	v_fma_f64 v[140:141], -v[140:141], v[160:161], v[158:159]
	v_div_fmas_f64 v[140:141], v[140:141], v[156:157], v[160:161]
	v_div_fixup_f64 v[140:141], v[140:141], v[138:139], 1.0
	v_mul_f64 v[138:139], v[154:155], v[140:141]
	v_xor_b32_e32 v141, 0x80000000, v141
.LBB66_28:
	s_andn2_saveexec_b32 s1, s1
	s_cbranch_execz .LBB66_30
; %bb.29:
	v_div_scale_f64 v[154:155], null, v[138:139], v[138:139], v[140:141]
	v_div_scale_f64 v[160:161], vcc_lo, v[140:141], v[138:139], v[140:141]
	v_rcp_f64_e32 v[156:157], v[154:155]
	v_fma_f64 v[158:159], -v[154:155], v[156:157], 1.0
	v_fma_f64 v[156:157], v[156:157], v[158:159], v[156:157]
	v_fma_f64 v[158:159], -v[154:155], v[156:157], 1.0
	v_fma_f64 v[156:157], v[156:157], v[158:159], v[156:157]
	v_mul_f64 v[158:159], v[160:161], v[156:157]
	v_fma_f64 v[154:155], -v[154:155], v[158:159], v[160:161]
	v_div_fmas_f64 v[154:155], v[154:155], v[156:157], v[158:159]
	v_div_fixup_f64 v[154:155], v[154:155], v[138:139], v[140:141]
	v_fma_f64 v[138:139], v[140:141], v[154:155], v[138:139]
	v_div_scale_f64 v[140:141], null, v[138:139], v[138:139], 1.0
	v_rcp_f64_e32 v[156:157], v[140:141]
	v_fma_f64 v[158:159], -v[140:141], v[156:157], 1.0
	v_fma_f64 v[156:157], v[156:157], v[158:159], v[156:157]
	v_fma_f64 v[158:159], -v[140:141], v[156:157], 1.0
	v_fma_f64 v[156:157], v[156:157], v[158:159], v[156:157]
	v_div_scale_f64 v[158:159], vcc_lo, 1.0, v[138:139], 1.0
	v_mul_f64 v[160:161], v[158:159], v[156:157]
	v_fma_f64 v[140:141], -v[140:141], v[160:161], v[158:159]
	v_div_fmas_f64 v[140:141], v[140:141], v[156:157], v[160:161]
	v_div_fixup_f64 v[138:139], v[140:141], v[138:139], 1.0
	v_mul_f64 v[140:141], v[154:155], -v[138:139]
.LBB66_30:
	s_or_b32 exec_lo, exec_lo, s1
	v_mov_b32_e32 v151, v153
.LBB66_31:
	s_or_b32 exec_lo, exec_lo, s0
	s_mov_b32 s0, exec_lo
	v_cmpx_ne_u32_e64 v152, v146
	s_xor_b32 s0, exec_lo, s0
	s_cbranch_execz .LBB66_37
; %bb.32:
	s_mov_b32 s1, exec_lo
	v_cmpx_eq_u32_e32 1, v152
	s_cbranch_execz .LBB66_36
; %bb.33:
	v_cmp_ne_u32_e32 vcc_lo, 1, v146
	s_xor_b32 s2, s16, -1
	s_and_b32 s3, s2, vcc_lo
	s_and_saveexec_b32 s2, s3
	s_cbranch_execz .LBB66_35
; %bb.34:
	v_ashrrev_i32_e32 v147, 31, v146
	v_lshlrev_b64 v[152:153], 2, v[146:147]
	v_add_co_u32 v152, vcc_lo, v144, v152
	v_add_co_ci_u32_e64 v153, null, v145, v153, vcc_lo
	s_clause 0x1
	global_load_dword v0, v[152:153], off
	global_load_dword v147, v[144:145], off offset:4
	s_waitcnt vmcnt(1)
	global_store_dword v[144:145], v0, off offset:4
	s_waitcnt vmcnt(0)
	global_store_dword v[152:153], v147, off
.LBB66_35:
	s_or_b32 exec_lo, exec_lo, s2
	v_mov_b32_e32 v152, v146
	v_mov_b32_e32 v0, v146
.LBB66_36:
	s_or_b32 exec_lo, exec_lo, s1
.LBB66_37:
	s_andn2_saveexec_b32 s0, s0
	s_cbranch_execz .LBB66_39
; %bb.38:
	v_mov_b32_e32 v152, 1
	ds_write2_b64 v1, v[126:127], v[128:129] offset0:4 offset1:5
	ds_write2_b64 v1, v[122:123], v[124:125] offset0:6 offset1:7
	ds_write2_b64 v1, v[118:119], v[120:121] offset0:8 offset1:9
	ds_write2_b64 v1, v[114:115], v[116:117] offset0:10 offset1:11
	ds_write2_b64 v1, v[110:111], v[112:113] offset0:12 offset1:13
	ds_write2_b64 v1, v[106:107], v[108:109] offset0:14 offset1:15
	ds_write2_b64 v1, v[102:103], v[104:105] offset0:16 offset1:17
	ds_write2_b64 v1, v[98:99], v[100:101] offset0:18 offset1:19
	ds_write2_b64 v1, v[94:95], v[96:97] offset0:20 offset1:21
	ds_write2_b64 v1, v[90:91], v[92:93] offset0:22 offset1:23
	ds_write2_b64 v1, v[86:87], v[88:89] offset0:24 offset1:25
	ds_write2_b64 v1, v[82:83], v[84:85] offset0:26 offset1:27
	ds_write2_b64 v1, v[78:79], v[80:81] offset0:28 offset1:29
	ds_write2_b64 v1, v[74:75], v[76:77] offset0:30 offset1:31
	ds_write2_b64 v1, v[70:71], v[72:73] offset0:32 offset1:33
	ds_write2_b64 v1, v[66:67], v[68:69] offset0:34 offset1:35
	ds_write2_b64 v1, v[62:63], v[64:65] offset0:36 offset1:37
	ds_write2_b64 v1, v[58:59], v[60:61] offset0:38 offset1:39
	ds_write2_b64 v1, v[54:55], v[56:57] offset0:40 offset1:41
	ds_write2_b64 v1, v[50:51], v[52:53] offset0:42 offset1:43
	ds_write2_b64 v1, v[46:47], v[48:49] offset0:44 offset1:45
	ds_write2_b64 v1, v[42:43], v[44:45] offset0:46 offset1:47
	ds_write2_b64 v1, v[38:39], v[40:41] offset0:48 offset1:49
	ds_write2_b64 v1, v[34:35], v[36:37] offset0:50 offset1:51
	ds_write2_b64 v1, v[30:31], v[32:33] offset0:52 offset1:53
	ds_write2_b64 v1, v[26:27], v[28:29] offset0:54 offset1:55
	ds_write2_b64 v1, v[22:23], v[24:25] offset0:56 offset1:57
	ds_write2_b64 v1, v[18:19], v[20:21] offset0:58 offset1:59
	ds_write2_b64 v1, v[14:15], v[16:17] offset0:60 offset1:61
	ds_write2_b64 v1, v[10:11], v[12:13] offset0:62 offset1:63
	ds_write2_b64 v1, v[6:7], v[8:9] offset0:64 offset1:65
	ds_write2_b64 v1, v[2:3], v[4:5] offset0:66 offset1:67
.LBB66_39:
	s_or_b32 exec_lo, exec_lo, s0
	s_mov_b32 s0, exec_lo
	s_waitcnt lgkmcnt(0)
	s_waitcnt_vscnt null, 0x0
	s_barrier
	buffer_gl0_inv
	v_cmpx_lt_i32_e32 1, v152
	s_cbranch_execz .LBB66_41
; %bb.40:
	v_mul_f64 v[146:147], v[140:141], v[132:133]
	v_mul_f64 v[132:133], v[138:139], v[132:133]
	v_fma_f64 v[146:147], v[138:139], v[130:131], -v[146:147]
	v_fma_f64 v[132:133], v[140:141], v[130:131], v[132:133]
	ds_read2_b64 v[138:141], v1 offset0:4 offset1:5
	s_waitcnt lgkmcnt(0)
	v_mul_f64 v[130:131], v[140:141], v[132:133]
	v_fma_f64 v[130:131], v[138:139], v[146:147], -v[130:131]
	v_mul_f64 v[138:139], v[138:139], v[132:133]
	v_add_f64 v[126:127], v[126:127], -v[130:131]
	v_fma_f64 v[138:139], v[140:141], v[146:147], v[138:139]
	v_add_f64 v[128:129], v[128:129], -v[138:139]
	ds_read2_b64 v[138:141], v1 offset0:6 offset1:7
	s_waitcnt lgkmcnt(0)
	v_mul_f64 v[130:131], v[140:141], v[132:133]
	v_fma_f64 v[130:131], v[138:139], v[146:147], -v[130:131]
	v_mul_f64 v[138:139], v[138:139], v[132:133]
	v_add_f64 v[122:123], v[122:123], -v[130:131]
	v_fma_f64 v[138:139], v[140:141], v[146:147], v[138:139]
	v_add_f64 v[124:125], v[124:125], -v[138:139]
	;; [unrolled: 8-line block ×31, first 2 shown]
	ds_read2_b64 v[138:141], v1 offset0:66 offset1:67
	s_waitcnt lgkmcnt(0)
	v_mul_f64 v[130:131], v[140:141], v[132:133]
	v_fma_f64 v[130:131], v[138:139], v[146:147], -v[130:131]
	v_mul_f64 v[138:139], v[138:139], v[132:133]
	v_add_f64 v[2:3], v[2:3], -v[130:131]
	v_fma_f64 v[138:139], v[140:141], v[146:147], v[138:139]
	v_mov_b32_e32 v130, v146
	v_mov_b32_e32 v131, v147
	v_add_f64 v[4:5], v[4:5], -v[138:139]
.LBB66_41:
	s_or_b32 exec_lo, exec_lo, s0
	v_lshl_add_u32 v138, v152, 4, v1
	s_barrier
	buffer_gl0_inv
	v_mov_b32_e32 v146, 2
	ds_write2_b64 v138, v[126:127], v[128:129] offset1:1
	s_waitcnt lgkmcnt(0)
	s_barrier
	buffer_gl0_inv
	ds_read2_b64 v[138:141], v1 offset0:4 offset1:5
	s_cmp_lt_i32 s18, 4
	s_cbranch_scc1 .LBB66_44
; %bb.42:
	v_add3_u32 v147, v148, 0, 48
	v_mov_b32_e32 v146, 2
	s_mov_b32 s1, 3
	s_inst_prefetch 0x1
	.p2align	6
.LBB66_43:                              ; =>This Inner Loop Header: Depth=1
	s_waitcnt lgkmcnt(0)
	v_cmp_gt_f64_e32 vcc_lo, 0, v[140:141]
	v_cmp_gt_f64_e64 s0, 0, v[138:139]
	ds_read2_b64 v[153:156], v147 offset1:1
	v_xor_b32_e32 v158, 0x80000000, v139
	v_xor_b32_e32 v160, 0x80000000, v141
	v_mov_b32_e32 v157, v138
	v_mov_b32_e32 v159, v140
	v_add_nc_u32_e32 v147, 16, v147
	s_waitcnt lgkmcnt(0)
	v_xor_b32_e32 v162, 0x80000000, v156
	v_cndmask_b32_e64 v158, v139, v158, s0
	v_cndmask_b32_e32 v160, v141, v160, vcc_lo
	v_cmp_gt_f64_e32 vcc_lo, 0, v[155:156]
	v_cmp_gt_f64_e64 s0, 0, v[153:154]
	v_mov_b32_e32 v161, v155
	v_add_f64 v[157:158], v[157:158], v[159:160]
	v_xor_b32_e32 v160, 0x80000000, v154
	v_mov_b32_e32 v159, v153
	v_cndmask_b32_e32 v162, v156, v162, vcc_lo
	v_cndmask_b32_e64 v160, v154, v160, s0
	v_add_f64 v[159:160], v[159:160], v[161:162]
	v_cmp_lt_f64_e32 vcc_lo, v[157:158], v[159:160]
	v_cndmask_b32_e32 v139, v139, v154, vcc_lo
	v_cndmask_b32_e32 v138, v138, v153, vcc_lo
	;; [unrolled: 1-line block ×4, first 2 shown]
	v_cndmask_b32_e64 v146, v146, s1, vcc_lo
	s_add_i32 s1, s1, 1
	s_cmp_lg_u32 s18, s1
	s_cbranch_scc1 .LBB66_43
.LBB66_44:
	s_inst_prefetch 0x2
	s_waitcnt lgkmcnt(0)
	v_cmp_eq_f64_e32 vcc_lo, 0, v[138:139]
	v_cmp_eq_f64_e64 s0, 0, v[140:141]
	s_and_b32 s0, vcc_lo, s0
	s_and_saveexec_b32 s1, s0
	s_xor_b32 s0, exec_lo, s1
; %bb.45:
	v_cmp_ne_u32_e32 vcc_lo, 0, v151
	v_cndmask_b32_e32 v151, 3, v151, vcc_lo
; %bb.46:
	s_andn2_saveexec_b32 s0, s0
	s_cbranch_execz .LBB66_52
; %bb.47:
	v_cmp_ngt_f64_e64 s1, |v[138:139]|, |v[140:141]|
	s_and_saveexec_b32 s2, s1
	s_xor_b32 s1, exec_lo, s2
	s_cbranch_execz .LBB66_49
; %bb.48:
	v_div_scale_f64 v[153:154], null, v[140:141], v[140:141], v[138:139]
	v_div_scale_f64 v[159:160], vcc_lo, v[138:139], v[140:141], v[138:139]
	v_rcp_f64_e32 v[155:156], v[153:154]
	v_fma_f64 v[157:158], -v[153:154], v[155:156], 1.0
	v_fma_f64 v[155:156], v[155:156], v[157:158], v[155:156]
	v_fma_f64 v[157:158], -v[153:154], v[155:156], 1.0
	v_fma_f64 v[155:156], v[155:156], v[157:158], v[155:156]
	v_mul_f64 v[157:158], v[159:160], v[155:156]
	v_fma_f64 v[153:154], -v[153:154], v[157:158], v[159:160]
	v_div_fmas_f64 v[153:154], v[153:154], v[155:156], v[157:158]
	v_div_fixup_f64 v[153:154], v[153:154], v[140:141], v[138:139]
	v_fma_f64 v[138:139], v[138:139], v[153:154], v[140:141]
	v_div_scale_f64 v[140:141], null, v[138:139], v[138:139], 1.0
	v_rcp_f64_e32 v[155:156], v[140:141]
	v_fma_f64 v[157:158], -v[140:141], v[155:156], 1.0
	v_fma_f64 v[155:156], v[155:156], v[157:158], v[155:156]
	v_fma_f64 v[157:158], -v[140:141], v[155:156], 1.0
	v_fma_f64 v[155:156], v[155:156], v[157:158], v[155:156]
	v_div_scale_f64 v[157:158], vcc_lo, 1.0, v[138:139], 1.0
	v_mul_f64 v[159:160], v[157:158], v[155:156]
	v_fma_f64 v[140:141], -v[140:141], v[159:160], v[157:158]
	v_div_fmas_f64 v[140:141], v[140:141], v[155:156], v[159:160]
	v_div_fixup_f64 v[140:141], v[140:141], v[138:139], 1.0
	v_mul_f64 v[138:139], v[153:154], v[140:141]
	v_xor_b32_e32 v141, 0x80000000, v141
.LBB66_49:
	s_andn2_saveexec_b32 s1, s1
	s_cbranch_execz .LBB66_51
; %bb.50:
	v_div_scale_f64 v[153:154], null, v[138:139], v[138:139], v[140:141]
	v_div_scale_f64 v[159:160], vcc_lo, v[140:141], v[138:139], v[140:141]
	v_rcp_f64_e32 v[155:156], v[153:154]
	v_fma_f64 v[157:158], -v[153:154], v[155:156], 1.0
	v_fma_f64 v[155:156], v[155:156], v[157:158], v[155:156]
	v_fma_f64 v[157:158], -v[153:154], v[155:156], 1.0
	v_fma_f64 v[155:156], v[155:156], v[157:158], v[155:156]
	v_mul_f64 v[157:158], v[159:160], v[155:156]
	v_fma_f64 v[153:154], -v[153:154], v[157:158], v[159:160]
	v_div_fmas_f64 v[153:154], v[153:154], v[155:156], v[157:158]
	v_div_fixup_f64 v[153:154], v[153:154], v[138:139], v[140:141]
	v_fma_f64 v[138:139], v[140:141], v[153:154], v[138:139]
	v_div_scale_f64 v[140:141], null, v[138:139], v[138:139], 1.0
	v_rcp_f64_e32 v[155:156], v[140:141]
	v_fma_f64 v[157:158], -v[140:141], v[155:156], 1.0
	v_fma_f64 v[155:156], v[155:156], v[157:158], v[155:156]
	v_fma_f64 v[157:158], -v[140:141], v[155:156], 1.0
	v_fma_f64 v[155:156], v[155:156], v[157:158], v[155:156]
	v_div_scale_f64 v[157:158], vcc_lo, 1.0, v[138:139], 1.0
	v_mul_f64 v[159:160], v[157:158], v[155:156]
	v_fma_f64 v[140:141], -v[140:141], v[159:160], v[157:158]
	v_div_fmas_f64 v[140:141], v[140:141], v[155:156], v[159:160]
	v_div_fixup_f64 v[138:139], v[140:141], v[138:139], 1.0
	v_mul_f64 v[140:141], v[153:154], -v[138:139]
.LBB66_51:
	s_or_b32 exec_lo, exec_lo, s1
.LBB66_52:
	s_or_b32 exec_lo, exec_lo, s0
	s_mov_b32 s0, exec_lo
	v_cmpx_ne_u32_e64 v152, v146
	s_xor_b32 s0, exec_lo, s0
	s_cbranch_execz .LBB66_58
; %bb.53:
	s_mov_b32 s1, exec_lo
	v_cmpx_eq_u32_e32 2, v152
	s_cbranch_execz .LBB66_57
; %bb.54:
	v_cmp_ne_u32_e32 vcc_lo, 2, v146
	s_xor_b32 s2, s16, -1
	s_and_b32 s3, s2, vcc_lo
	s_and_saveexec_b32 s2, s3
	s_cbranch_execz .LBB66_56
; %bb.55:
	v_ashrrev_i32_e32 v147, 31, v146
	v_lshlrev_b64 v[152:153], 2, v[146:147]
	v_add_co_u32 v152, vcc_lo, v144, v152
	v_add_co_ci_u32_e64 v153, null, v145, v153, vcc_lo
	s_clause 0x1
	global_load_dword v0, v[152:153], off
	global_load_dword v147, v[144:145], off offset:8
	s_waitcnt vmcnt(1)
	global_store_dword v[144:145], v0, off offset:8
	s_waitcnt vmcnt(0)
	global_store_dword v[152:153], v147, off
.LBB66_56:
	s_or_b32 exec_lo, exec_lo, s2
	v_mov_b32_e32 v152, v146
	v_mov_b32_e32 v0, v146
.LBB66_57:
	s_or_b32 exec_lo, exec_lo, s1
.LBB66_58:
	s_andn2_saveexec_b32 s0, s0
	s_cbranch_execz .LBB66_60
; %bb.59:
	v_mov_b32_e32 v152, 2
	ds_write2_b64 v1, v[122:123], v[124:125] offset0:6 offset1:7
	ds_write2_b64 v1, v[118:119], v[120:121] offset0:8 offset1:9
	;; [unrolled: 1-line block ×31, first 2 shown]
.LBB66_60:
	s_or_b32 exec_lo, exec_lo, s0
	s_mov_b32 s0, exec_lo
	s_waitcnt lgkmcnt(0)
	s_waitcnt_vscnt null, 0x0
	s_barrier
	buffer_gl0_inv
	v_cmpx_lt_i32_e32 2, v152
	s_cbranch_execz .LBB66_62
; %bb.61:
	v_mul_f64 v[146:147], v[140:141], v[128:129]
	v_mul_f64 v[128:129], v[138:139], v[128:129]
	v_fma_f64 v[146:147], v[138:139], v[126:127], -v[146:147]
	v_fma_f64 v[128:129], v[140:141], v[126:127], v[128:129]
	ds_read2_b64 v[138:141], v1 offset0:6 offset1:7
	s_waitcnt lgkmcnt(0)
	v_mul_f64 v[126:127], v[140:141], v[128:129]
	v_fma_f64 v[126:127], v[138:139], v[146:147], -v[126:127]
	v_mul_f64 v[138:139], v[138:139], v[128:129]
	v_add_f64 v[122:123], v[122:123], -v[126:127]
	v_fma_f64 v[138:139], v[140:141], v[146:147], v[138:139]
	v_add_f64 v[124:125], v[124:125], -v[138:139]
	ds_read2_b64 v[138:141], v1 offset0:8 offset1:9
	s_waitcnt lgkmcnt(0)
	v_mul_f64 v[126:127], v[140:141], v[128:129]
	v_fma_f64 v[126:127], v[138:139], v[146:147], -v[126:127]
	v_mul_f64 v[138:139], v[138:139], v[128:129]
	v_add_f64 v[118:119], v[118:119], -v[126:127]
	v_fma_f64 v[138:139], v[140:141], v[146:147], v[138:139]
	v_add_f64 v[120:121], v[120:121], -v[138:139]
	;; [unrolled: 8-line block ×30, first 2 shown]
	ds_read2_b64 v[138:141], v1 offset0:66 offset1:67
	s_waitcnt lgkmcnt(0)
	v_mul_f64 v[126:127], v[140:141], v[128:129]
	v_fma_f64 v[126:127], v[138:139], v[146:147], -v[126:127]
	v_mul_f64 v[138:139], v[138:139], v[128:129]
	v_add_f64 v[2:3], v[2:3], -v[126:127]
	v_fma_f64 v[138:139], v[140:141], v[146:147], v[138:139]
	v_mov_b32_e32 v126, v146
	v_mov_b32_e32 v127, v147
	v_add_f64 v[4:5], v[4:5], -v[138:139]
.LBB66_62:
	s_or_b32 exec_lo, exec_lo, s0
	v_lshl_add_u32 v138, v152, 4, v1
	s_barrier
	buffer_gl0_inv
	v_mov_b32_e32 v146, 3
	ds_write2_b64 v138, v[122:123], v[124:125] offset1:1
	s_waitcnt lgkmcnt(0)
	s_barrier
	buffer_gl0_inv
	ds_read2_b64 v[138:141], v1 offset0:6 offset1:7
	s_cmp_lt_i32 s18, 5
	s_mov_b32 s1, 4
	s_cbranch_scc1 .LBB66_65
; %bb.63:
	v_add3_u32 v147, v148, 0, 64
	v_mov_b32_e32 v146, 3
	s_inst_prefetch 0x1
	.p2align	6
.LBB66_64:                              ; =>This Inner Loop Header: Depth=1
	s_waitcnt lgkmcnt(0)
	v_cmp_gt_f64_e32 vcc_lo, 0, v[140:141]
	v_cmp_gt_f64_e64 s0, 0, v[138:139]
	ds_read2_b64 v[153:156], v147 offset1:1
	v_xor_b32_e32 v158, 0x80000000, v139
	v_xor_b32_e32 v160, 0x80000000, v141
	v_mov_b32_e32 v157, v138
	v_mov_b32_e32 v159, v140
	v_add_nc_u32_e32 v147, 16, v147
	s_waitcnt lgkmcnt(0)
	v_xor_b32_e32 v162, 0x80000000, v156
	v_cndmask_b32_e64 v158, v139, v158, s0
	v_cndmask_b32_e32 v160, v141, v160, vcc_lo
	v_cmp_gt_f64_e32 vcc_lo, 0, v[155:156]
	v_cmp_gt_f64_e64 s0, 0, v[153:154]
	v_mov_b32_e32 v161, v155
	v_add_f64 v[157:158], v[157:158], v[159:160]
	v_xor_b32_e32 v160, 0x80000000, v154
	v_mov_b32_e32 v159, v153
	v_cndmask_b32_e32 v162, v156, v162, vcc_lo
	v_cndmask_b32_e64 v160, v154, v160, s0
	v_add_f64 v[159:160], v[159:160], v[161:162]
	v_cmp_lt_f64_e32 vcc_lo, v[157:158], v[159:160]
	v_cndmask_b32_e32 v139, v139, v154, vcc_lo
	v_cndmask_b32_e32 v138, v138, v153, vcc_lo
	;; [unrolled: 1-line block ×4, first 2 shown]
	v_cndmask_b32_e64 v146, v146, s1, vcc_lo
	s_add_i32 s1, s1, 1
	s_cmp_lg_u32 s18, s1
	s_cbranch_scc1 .LBB66_64
.LBB66_65:
	s_inst_prefetch 0x2
	s_waitcnt lgkmcnt(0)
	v_cmp_eq_f64_e32 vcc_lo, 0, v[138:139]
	v_cmp_eq_f64_e64 s0, 0, v[140:141]
	s_and_b32 s0, vcc_lo, s0
	s_and_saveexec_b32 s1, s0
	s_xor_b32 s0, exec_lo, s1
; %bb.66:
	v_cmp_ne_u32_e32 vcc_lo, 0, v151
	v_cndmask_b32_e32 v151, 4, v151, vcc_lo
; %bb.67:
	s_andn2_saveexec_b32 s0, s0
	s_cbranch_execz .LBB66_73
; %bb.68:
	v_cmp_ngt_f64_e64 s1, |v[138:139]|, |v[140:141]|
	s_and_saveexec_b32 s2, s1
	s_xor_b32 s1, exec_lo, s2
	s_cbranch_execz .LBB66_70
; %bb.69:
	v_div_scale_f64 v[153:154], null, v[140:141], v[140:141], v[138:139]
	v_div_scale_f64 v[159:160], vcc_lo, v[138:139], v[140:141], v[138:139]
	v_rcp_f64_e32 v[155:156], v[153:154]
	v_fma_f64 v[157:158], -v[153:154], v[155:156], 1.0
	v_fma_f64 v[155:156], v[155:156], v[157:158], v[155:156]
	v_fma_f64 v[157:158], -v[153:154], v[155:156], 1.0
	v_fma_f64 v[155:156], v[155:156], v[157:158], v[155:156]
	v_mul_f64 v[157:158], v[159:160], v[155:156]
	v_fma_f64 v[153:154], -v[153:154], v[157:158], v[159:160]
	v_div_fmas_f64 v[153:154], v[153:154], v[155:156], v[157:158]
	v_div_fixup_f64 v[153:154], v[153:154], v[140:141], v[138:139]
	v_fma_f64 v[138:139], v[138:139], v[153:154], v[140:141]
	v_div_scale_f64 v[140:141], null, v[138:139], v[138:139], 1.0
	v_rcp_f64_e32 v[155:156], v[140:141]
	v_fma_f64 v[157:158], -v[140:141], v[155:156], 1.0
	v_fma_f64 v[155:156], v[155:156], v[157:158], v[155:156]
	v_fma_f64 v[157:158], -v[140:141], v[155:156], 1.0
	v_fma_f64 v[155:156], v[155:156], v[157:158], v[155:156]
	v_div_scale_f64 v[157:158], vcc_lo, 1.0, v[138:139], 1.0
	v_mul_f64 v[159:160], v[157:158], v[155:156]
	v_fma_f64 v[140:141], -v[140:141], v[159:160], v[157:158]
	v_div_fmas_f64 v[140:141], v[140:141], v[155:156], v[159:160]
	v_div_fixup_f64 v[140:141], v[140:141], v[138:139], 1.0
	v_mul_f64 v[138:139], v[153:154], v[140:141]
	v_xor_b32_e32 v141, 0x80000000, v141
.LBB66_70:
	s_andn2_saveexec_b32 s1, s1
	s_cbranch_execz .LBB66_72
; %bb.71:
	v_div_scale_f64 v[153:154], null, v[138:139], v[138:139], v[140:141]
	v_div_scale_f64 v[159:160], vcc_lo, v[140:141], v[138:139], v[140:141]
	v_rcp_f64_e32 v[155:156], v[153:154]
	v_fma_f64 v[157:158], -v[153:154], v[155:156], 1.0
	v_fma_f64 v[155:156], v[155:156], v[157:158], v[155:156]
	v_fma_f64 v[157:158], -v[153:154], v[155:156], 1.0
	v_fma_f64 v[155:156], v[155:156], v[157:158], v[155:156]
	v_mul_f64 v[157:158], v[159:160], v[155:156]
	v_fma_f64 v[153:154], -v[153:154], v[157:158], v[159:160]
	v_div_fmas_f64 v[153:154], v[153:154], v[155:156], v[157:158]
	v_div_fixup_f64 v[153:154], v[153:154], v[138:139], v[140:141]
	v_fma_f64 v[138:139], v[140:141], v[153:154], v[138:139]
	v_div_scale_f64 v[140:141], null, v[138:139], v[138:139], 1.0
	v_rcp_f64_e32 v[155:156], v[140:141]
	v_fma_f64 v[157:158], -v[140:141], v[155:156], 1.0
	v_fma_f64 v[155:156], v[155:156], v[157:158], v[155:156]
	v_fma_f64 v[157:158], -v[140:141], v[155:156], 1.0
	v_fma_f64 v[155:156], v[155:156], v[157:158], v[155:156]
	v_div_scale_f64 v[157:158], vcc_lo, 1.0, v[138:139], 1.0
	v_mul_f64 v[159:160], v[157:158], v[155:156]
	v_fma_f64 v[140:141], -v[140:141], v[159:160], v[157:158]
	v_div_fmas_f64 v[140:141], v[140:141], v[155:156], v[159:160]
	v_div_fixup_f64 v[138:139], v[140:141], v[138:139], 1.0
	v_mul_f64 v[140:141], v[153:154], -v[138:139]
.LBB66_72:
	s_or_b32 exec_lo, exec_lo, s1
.LBB66_73:
	s_or_b32 exec_lo, exec_lo, s0
	s_mov_b32 s0, exec_lo
	v_cmpx_ne_u32_e64 v152, v146
	s_xor_b32 s0, exec_lo, s0
	s_cbranch_execz .LBB66_79
; %bb.74:
	s_mov_b32 s1, exec_lo
	v_cmpx_eq_u32_e32 3, v152
	s_cbranch_execz .LBB66_78
; %bb.75:
	v_cmp_ne_u32_e32 vcc_lo, 3, v146
	s_xor_b32 s2, s16, -1
	s_and_b32 s3, s2, vcc_lo
	s_and_saveexec_b32 s2, s3
	s_cbranch_execz .LBB66_77
; %bb.76:
	v_ashrrev_i32_e32 v147, 31, v146
	v_lshlrev_b64 v[152:153], 2, v[146:147]
	v_add_co_u32 v152, vcc_lo, v144, v152
	v_add_co_ci_u32_e64 v153, null, v145, v153, vcc_lo
	s_clause 0x1
	global_load_dword v0, v[152:153], off
	global_load_dword v147, v[144:145], off offset:12
	s_waitcnt vmcnt(1)
	global_store_dword v[144:145], v0, off offset:12
	s_waitcnt vmcnt(0)
	global_store_dword v[152:153], v147, off
.LBB66_77:
	s_or_b32 exec_lo, exec_lo, s2
	v_mov_b32_e32 v152, v146
	v_mov_b32_e32 v0, v146
.LBB66_78:
	s_or_b32 exec_lo, exec_lo, s1
.LBB66_79:
	s_andn2_saveexec_b32 s0, s0
	s_cbranch_execz .LBB66_81
; %bb.80:
	v_mov_b32_e32 v152, 3
	ds_write2_b64 v1, v[118:119], v[120:121] offset0:8 offset1:9
	ds_write2_b64 v1, v[114:115], v[116:117] offset0:10 offset1:11
	;; [unrolled: 1-line block ×30, first 2 shown]
.LBB66_81:
	s_or_b32 exec_lo, exec_lo, s0
	s_mov_b32 s0, exec_lo
	s_waitcnt lgkmcnt(0)
	s_waitcnt_vscnt null, 0x0
	s_barrier
	buffer_gl0_inv
	v_cmpx_lt_i32_e32 3, v152
	s_cbranch_execz .LBB66_83
; %bb.82:
	v_mul_f64 v[146:147], v[140:141], v[124:125]
	v_mul_f64 v[124:125], v[138:139], v[124:125]
	v_fma_f64 v[146:147], v[138:139], v[122:123], -v[146:147]
	v_fma_f64 v[124:125], v[140:141], v[122:123], v[124:125]
	ds_read2_b64 v[138:141], v1 offset0:8 offset1:9
	s_waitcnt lgkmcnt(0)
	v_mul_f64 v[122:123], v[140:141], v[124:125]
	v_fma_f64 v[122:123], v[138:139], v[146:147], -v[122:123]
	v_mul_f64 v[138:139], v[138:139], v[124:125]
	v_add_f64 v[118:119], v[118:119], -v[122:123]
	v_fma_f64 v[138:139], v[140:141], v[146:147], v[138:139]
	v_add_f64 v[120:121], v[120:121], -v[138:139]
	ds_read2_b64 v[138:141], v1 offset0:10 offset1:11
	s_waitcnt lgkmcnt(0)
	v_mul_f64 v[122:123], v[140:141], v[124:125]
	v_fma_f64 v[122:123], v[138:139], v[146:147], -v[122:123]
	v_mul_f64 v[138:139], v[138:139], v[124:125]
	v_add_f64 v[114:115], v[114:115], -v[122:123]
	v_fma_f64 v[138:139], v[140:141], v[146:147], v[138:139]
	v_add_f64 v[116:117], v[116:117], -v[138:139]
	;; [unrolled: 8-line block ×29, first 2 shown]
	ds_read2_b64 v[138:141], v1 offset0:66 offset1:67
	s_waitcnt lgkmcnt(0)
	v_mul_f64 v[122:123], v[140:141], v[124:125]
	v_fma_f64 v[122:123], v[138:139], v[146:147], -v[122:123]
	v_mul_f64 v[138:139], v[138:139], v[124:125]
	v_add_f64 v[2:3], v[2:3], -v[122:123]
	v_fma_f64 v[138:139], v[140:141], v[146:147], v[138:139]
	v_mov_b32_e32 v122, v146
	v_mov_b32_e32 v123, v147
	v_add_f64 v[4:5], v[4:5], -v[138:139]
.LBB66_83:
	s_or_b32 exec_lo, exec_lo, s0
	v_lshl_add_u32 v138, v152, 4, v1
	s_barrier
	buffer_gl0_inv
	v_mov_b32_e32 v146, 4
	ds_write2_b64 v138, v[118:119], v[120:121] offset1:1
	s_waitcnt lgkmcnt(0)
	s_barrier
	buffer_gl0_inv
	ds_read2_b64 v[138:141], v1 offset0:8 offset1:9
	s_cmp_lt_i32 s18, 6
	s_cbranch_scc1 .LBB66_86
; %bb.84:
	v_mov_b32_e32 v146, 4
	v_add3_u32 v147, v148, 0, 0x50
	s_mov_b32 s1, 5
	s_inst_prefetch 0x1
	.p2align	6
.LBB66_85:                              ; =>This Inner Loop Header: Depth=1
	s_waitcnt lgkmcnt(0)
	v_cmp_gt_f64_e32 vcc_lo, 0, v[140:141]
	v_cmp_gt_f64_e64 s0, 0, v[138:139]
	ds_read2_b64 v[153:156], v147 offset1:1
	v_xor_b32_e32 v158, 0x80000000, v139
	v_xor_b32_e32 v160, 0x80000000, v141
	v_mov_b32_e32 v157, v138
	v_mov_b32_e32 v159, v140
	v_add_nc_u32_e32 v147, 16, v147
	s_waitcnt lgkmcnt(0)
	v_xor_b32_e32 v162, 0x80000000, v156
	v_cndmask_b32_e64 v158, v139, v158, s0
	v_cndmask_b32_e32 v160, v141, v160, vcc_lo
	v_cmp_gt_f64_e32 vcc_lo, 0, v[155:156]
	v_cmp_gt_f64_e64 s0, 0, v[153:154]
	v_mov_b32_e32 v161, v155
	v_add_f64 v[157:158], v[157:158], v[159:160]
	v_xor_b32_e32 v160, 0x80000000, v154
	v_mov_b32_e32 v159, v153
	v_cndmask_b32_e32 v162, v156, v162, vcc_lo
	v_cndmask_b32_e64 v160, v154, v160, s0
	v_add_f64 v[159:160], v[159:160], v[161:162]
	v_cmp_lt_f64_e32 vcc_lo, v[157:158], v[159:160]
	v_cndmask_b32_e32 v139, v139, v154, vcc_lo
	v_cndmask_b32_e32 v138, v138, v153, vcc_lo
	;; [unrolled: 1-line block ×4, first 2 shown]
	v_cndmask_b32_e64 v146, v146, s1, vcc_lo
	s_add_i32 s1, s1, 1
	s_cmp_lg_u32 s18, s1
	s_cbranch_scc1 .LBB66_85
.LBB66_86:
	s_inst_prefetch 0x2
	s_waitcnt lgkmcnt(0)
	v_cmp_eq_f64_e32 vcc_lo, 0, v[138:139]
	v_cmp_eq_f64_e64 s0, 0, v[140:141]
	s_and_b32 s0, vcc_lo, s0
	s_and_saveexec_b32 s1, s0
	s_xor_b32 s0, exec_lo, s1
; %bb.87:
	v_cmp_ne_u32_e32 vcc_lo, 0, v151
	v_cndmask_b32_e32 v151, 5, v151, vcc_lo
; %bb.88:
	s_andn2_saveexec_b32 s0, s0
	s_cbranch_execz .LBB66_94
; %bb.89:
	v_cmp_ngt_f64_e64 s1, |v[138:139]|, |v[140:141]|
	s_and_saveexec_b32 s2, s1
	s_xor_b32 s1, exec_lo, s2
	s_cbranch_execz .LBB66_91
; %bb.90:
	v_div_scale_f64 v[153:154], null, v[140:141], v[140:141], v[138:139]
	v_div_scale_f64 v[159:160], vcc_lo, v[138:139], v[140:141], v[138:139]
	v_rcp_f64_e32 v[155:156], v[153:154]
	v_fma_f64 v[157:158], -v[153:154], v[155:156], 1.0
	v_fma_f64 v[155:156], v[155:156], v[157:158], v[155:156]
	v_fma_f64 v[157:158], -v[153:154], v[155:156], 1.0
	v_fma_f64 v[155:156], v[155:156], v[157:158], v[155:156]
	v_mul_f64 v[157:158], v[159:160], v[155:156]
	v_fma_f64 v[153:154], -v[153:154], v[157:158], v[159:160]
	v_div_fmas_f64 v[153:154], v[153:154], v[155:156], v[157:158]
	v_div_fixup_f64 v[153:154], v[153:154], v[140:141], v[138:139]
	v_fma_f64 v[138:139], v[138:139], v[153:154], v[140:141]
	v_div_scale_f64 v[140:141], null, v[138:139], v[138:139], 1.0
	v_rcp_f64_e32 v[155:156], v[140:141]
	v_fma_f64 v[157:158], -v[140:141], v[155:156], 1.0
	v_fma_f64 v[155:156], v[155:156], v[157:158], v[155:156]
	v_fma_f64 v[157:158], -v[140:141], v[155:156], 1.0
	v_fma_f64 v[155:156], v[155:156], v[157:158], v[155:156]
	v_div_scale_f64 v[157:158], vcc_lo, 1.0, v[138:139], 1.0
	v_mul_f64 v[159:160], v[157:158], v[155:156]
	v_fma_f64 v[140:141], -v[140:141], v[159:160], v[157:158]
	v_div_fmas_f64 v[140:141], v[140:141], v[155:156], v[159:160]
	v_div_fixup_f64 v[140:141], v[140:141], v[138:139], 1.0
	v_mul_f64 v[138:139], v[153:154], v[140:141]
	v_xor_b32_e32 v141, 0x80000000, v141
.LBB66_91:
	s_andn2_saveexec_b32 s1, s1
	s_cbranch_execz .LBB66_93
; %bb.92:
	v_div_scale_f64 v[153:154], null, v[138:139], v[138:139], v[140:141]
	v_div_scale_f64 v[159:160], vcc_lo, v[140:141], v[138:139], v[140:141]
	v_rcp_f64_e32 v[155:156], v[153:154]
	v_fma_f64 v[157:158], -v[153:154], v[155:156], 1.0
	v_fma_f64 v[155:156], v[155:156], v[157:158], v[155:156]
	v_fma_f64 v[157:158], -v[153:154], v[155:156], 1.0
	v_fma_f64 v[155:156], v[155:156], v[157:158], v[155:156]
	v_mul_f64 v[157:158], v[159:160], v[155:156]
	v_fma_f64 v[153:154], -v[153:154], v[157:158], v[159:160]
	v_div_fmas_f64 v[153:154], v[153:154], v[155:156], v[157:158]
	v_div_fixup_f64 v[153:154], v[153:154], v[138:139], v[140:141]
	v_fma_f64 v[138:139], v[140:141], v[153:154], v[138:139]
	v_div_scale_f64 v[140:141], null, v[138:139], v[138:139], 1.0
	v_rcp_f64_e32 v[155:156], v[140:141]
	v_fma_f64 v[157:158], -v[140:141], v[155:156], 1.0
	v_fma_f64 v[155:156], v[155:156], v[157:158], v[155:156]
	v_fma_f64 v[157:158], -v[140:141], v[155:156], 1.0
	v_fma_f64 v[155:156], v[155:156], v[157:158], v[155:156]
	v_div_scale_f64 v[157:158], vcc_lo, 1.0, v[138:139], 1.0
	v_mul_f64 v[159:160], v[157:158], v[155:156]
	v_fma_f64 v[140:141], -v[140:141], v[159:160], v[157:158]
	v_div_fmas_f64 v[140:141], v[140:141], v[155:156], v[159:160]
	v_div_fixup_f64 v[138:139], v[140:141], v[138:139], 1.0
	v_mul_f64 v[140:141], v[153:154], -v[138:139]
.LBB66_93:
	s_or_b32 exec_lo, exec_lo, s1
.LBB66_94:
	s_or_b32 exec_lo, exec_lo, s0
	s_mov_b32 s0, exec_lo
	v_cmpx_ne_u32_e64 v152, v146
	s_xor_b32 s0, exec_lo, s0
	s_cbranch_execz .LBB66_100
; %bb.95:
	s_mov_b32 s1, exec_lo
	v_cmpx_eq_u32_e32 4, v152
	s_cbranch_execz .LBB66_99
; %bb.96:
	v_cmp_ne_u32_e32 vcc_lo, 4, v146
	s_xor_b32 s2, s16, -1
	s_and_b32 s3, s2, vcc_lo
	s_and_saveexec_b32 s2, s3
	s_cbranch_execz .LBB66_98
; %bb.97:
	v_ashrrev_i32_e32 v147, 31, v146
	v_lshlrev_b64 v[152:153], 2, v[146:147]
	v_add_co_u32 v152, vcc_lo, v144, v152
	v_add_co_ci_u32_e64 v153, null, v145, v153, vcc_lo
	s_clause 0x1
	global_load_dword v0, v[152:153], off
	global_load_dword v147, v[144:145], off offset:16
	s_waitcnt vmcnt(1)
	global_store_dword v[144:145], v0, off offset:16
	s_waitcnt vmcnt(0)
	global_store_dword v[152:153], v147, off
.LBB66_98:
	s_or_b32 exec_lo, exec_lo, s2
	v_mov_b32_e32 v152, v146
	v_mov_b32_e32 v0, v146
.LBB66_99:
	s_or_b32 exec_lo, exec_lo, s1
.LBB66_100:
	s_andn2_saveexec_b32 s0, s0
	s_cbranch_execz .LBB66_102
; %bb.101:
	v_mov_b32_e32 v152, 4
	ds_write2_b64 v1, v[114:115], v[116:117] offset0:10 offset1:11
	ds_write2_b64 v1, v[110:111], v[112:113] offset0:12 offset1:13
	;; [unrolled: 1-line block ×29, first 2 shown]
.LBB66_102:
	s_or_b32 exec_lo, exec_lo, s0
	s_mov_b32 s0, exec_lo
	s_waitcnt lgkmcnt(0)
	s_waitcnt_vscnt null, 0x0
	s_barrier
	buffer_gl0_inv
	v_cmpx_lt_i32_e32 4, v152
	s_cbranch_execz .LBB66_104
; %bb.103:
	v_mul_f64 v[146:147], v[140:141], v[120:121]
	v_mul_f64 v[120:121], v[138:139], v[120:121]
	v_fma_f64 v[146:147], v[138:139], v[118:119], -v[146:147]
	v_fma_f64 v[120:121], v[140:141], v[118:119], v[120:121]
	ds_read2_b64 v[138:141], v1 offset0:10 offset1:11
	s_waitcnt lgkmcnt(0)
	v_mul_f64 v[118:119], v[140:141], v[120:121]
	v_fma_f64 v[118:119], v[138:139], v[146:147], -v[118:119]
	v_mul_f64 v[138:139], v[138:139], v[120:121]
	v_add_f64 v[114:115], v[114:115], -v[118:119]
	v_fma_f64 v[138:139], v[140:141], v[146:147], v[138:139]
	v_add_f64 v[116:117], v[116:117], -v[138:139]
	ds_read2_b64 v[138:141], v1 offset0:12 offset1:13
	s_waitcnt lgkmcnt(0)
	v_mul_f64 v[118:119], v[140:141], v[120:121]
	v_fma_f64 v[118:119], v[138:139], v[146:147], -v[118:119]
	v_mul_f64 v[138:139], v[138:139], v[120:121]
	v_add_f64 v[110:111], v[110:111], -v[118:119]
	v_fma_f64 v[138:139], v[140:141], v[146:147], v[138:139]
	v_add_f64 v[112:113], v[112:113], -v[138:139]
	;; [unrolled: 8-line block ×28, first 2 shown]
	ds_read2_b64 v[138:141], v1 offset0:66 offset1:67
	s_waitcnt lgkmcnt(0)
	v_mul_f64 v[118:119], v[140:141], v[120:121]
	v_fma_f64 v[118:119], v[138:139], v[146:147], -v[118:119]
	v_mul_f64 v[138:139], v[138:139], v[120:121]
	v_add_f64 v[2:3], v[2:3], -v[118:119]
	v_fma_f64 v[138:139], v[140:141], v[146:147], v[138:139]
	v_mov_b32_e32 v118, v146
	v_mov_b32_e32 v119, v147
	v_add_f64 v[4:5], v[4:5], -v[138:139]
.LBB66_104:
	s_or_b32 exec_lo, exec_lo, s0
	v_lshl_add_u32 v138, v152, 4, v1
	s_barrier
	buffer_gl0_inv
	v_mov_b32_e32 v146, 5
	ds_write2_b64 v138, v[114:115], v[116:117] offset1:1
	s_waitcnt lgkmcnt(0)
	s_barrier
	buffer_gl0_inv
	ds_read2_b64 v[138:141], v1 offset0:10 offset1:11
	s_cmp_lt_i32 s18, 7
	s_cbranch_scc1 .LBB66_107
; %bb.105:
	v_add3_u32 v147, v148, 0, 0x60
	v_mov_b32_e32 v146, 5
	s_mov_b32 s1, 6
	s_inst_prefetch 0x1
	.p2align	6
.LBB66_106:                             ; =>This Inner Loop Header: Depth=1
	s_waitcnt lgkmcnt(0)
	v_cmp_gt_f64_e32 vcc_lo, 0, v[140:141]
	v_cmp_gt_f64_e64 s0, 0, v[138:139]
	ds_read2_b64 v[153:156], v147 offset1:1
	v_xor_b32_e32 v158, 0x80000000, v139
	v_xor_b32_e32 v160, 0x80000000, v141
	v_mov_b32_e32 v157, v138
	v_mov_b32_e32 v159, v140
	v_add_nc_u32_e32 v147, 16, v147
	s_waitcnt lgkmcnt(0)
	v_xor_b32_e32 v162, 0x80000000, v156
	v_cndmask_b32_e64 v158, v139, v158, s0
	v_cndmask_b32_e32 v160, v141, v160, vcc_lo
	v_cmp_gt_f64_e32 vcc_lo, 0, v[155:156]
	v_cmp_gt_f64_e64 s0, 0, v[153:154]
	v_mov_b32_e32 v161, v155
	v_add_f64 v[157:158], v[157:158], v[159:160]
	v_xor_b32_e32 v160, 0x80000000, v154
	v_mov_b32_e32 v159, v153
	v_cndmask_b32_e32 v162, v156, v162, vcc_lo
	v_cndmask_b32_e64 v160, v154, v160, s0
	v_add_f64 v[159:160], v[159:160], v[161:162]
	v_cmp_lt_f64_e32 vcc_lo, v[157:158], v[159:160]
	v_cndmask_b32_e32 v139, v139, v154, vcc_lo
	v_cndmask_b32_e32 v138, v138, v153, vcc_lo
	;; [unrolled: 1-line block ×4, first 2 shown]
	v_cndmask_b32_e64 v146, v146, s1, vcc_lo
	s_add_i32 s1, s1, 1
	s_cmp_lg_u32 s18, s1
	s_cbranch_scc1 .LBB66_106
.LBB66_107:
	s_inst_prefetch 0x2
	s_waitcnt lgkmcnt(0)
	v_cmp_eq_f64_e32 vcc_lo, 0, v[138:139]
	v_cmp_eq_f64_e64 s0, 0, v[140:141]
	s_and_b32 s0, vcc_lo, s0
	s_and_saveexec_b32 s1, s0
	s_xor_b32 s0, exec_lo, s1
; %bb.108:
	v_cmp_ne_u32_e32 vcc_lo, 0, v151
	v_cndmask_b32_e32 v151, 6, v151, vcc_lo
; %bb.109:
	s_andn2_saveexec_b32 s0, s0
	s_cbranch_execz .LBB66_115
; %bb.110:
	v_cmp_ngt_f64_e64 s1, |v[138:139]|, |v[140:141]|
	s_and_saveexec_b32 s2, s1
	s_xor_b32 s1, exec_lo, s2
	s_cbranch_execz .LBB66_112
; %bb.111:
	v_div_scale_f64 v[153:154], null, v[140:141], v[140:141], v[138:139]
	v_div_scale_f64 v[159:160], vcc_lo, v[138:139], v[140:141], v[138:139]
	v_rcp_f64_e32 v[155:156], v[153:154]
	v_fma_f64 v[157:158], -v[153:154], v[155:156], 1.0
	v_fma_f64 v[155:156], v[155:156], v[157:158], v[155:156]
	v_fma_f64 v[157:158], -v[153:154], v[155:156], 1.0
	v_fma_f64 v[155:156], v[155:156], v[157:158], v[155:156]
	v_mul_f64 v[157:158], v[159:160], v[155:156]
	v_fma_f64 v[153:154], -v[153:154], v[157:158], v[159:160]
	v_div_fmas_f64 v[153:154], v[153:154], v[155:156], v[157:158]
	v_div_fixup_f64 v[153:154], v[153:154], v[140:141], v[138:139]
	v_fma_f64 v[138:139], v[138:139], v[153:154], v[140:141]
	v_div_scale_f64 v[140:141], null, v[138:139], v[138:139], 1.0
	v_rcp_f64_e32 v[155:156], v[140:141]
	v_fma_f64 v[157:158], -v[140:141], v[155:156], 1.0
	v_fma_f64 v[155:156], v[155:156], v[157:158], v[155:156]
	v_fma_f64 v[157:158], -v[140:141], v[155:156], 1.0
	v_fma_f64 v[155:156], v[155:156], v[157:158], v[155:156]
	v_div_scale_f64 v[157:158], vcc_lo, 1.0, v[138:139], 1.0
	v_mul_f64 v[159:160], v[157:158], v[155:156]
	v_fma_f64 v[140:141], -v[140:141], v[159:160], v[157:158]
	v_div_fmas_f64 v[140:141], v[140:141], v[155:156], v[159:160]
	v_div_fixup_f64 v[140:141], v[140:141], v[138:139], 1.0
	v_mul_f64 v[138:139], v[153:154], v[140:141]
	v_xor_b32_e32 v141, 0x80000000, v141
.LBB66_112:
	s_andn2_saveexec_b32 s1, s1
	s_cbranch_execz .LBB66_114
; %bb.113:
	v_div_scale_f64 v[153:154], null, v[138:139], v[138:139], v[140:141]
	v_div_scale_f64 v[159:160], vcc_lo, v[140:141], v[138:139], v[140:141]
	v_rcp_f64_e32 v[155:156], v[153:154]
	v_fma_f64 v[157:158], -v[153:154], v[155:156], 1.0
	v_fma_f64 v[155:156], v[155:156], v[157:158], v[155:156]
	v_fma_f64 v[157:158], -v[153:154], v[155:156], 1.0
	v_fma_f64 v[155:156], v[155:156], v[157:158], v[155:156]
	v_mul_f64 v[157:158], v[159:160], v[155:156]
	v_fma_f64 v[153:154], -v[153:154], v[157:158], v[159:160]
	v_div_fmas_f64 v[153:154], v[153:154], v[155:156], v[157:158]
	v_div_fixup_f64 v[153:154], v[153:154], v[138:139], v[140:141]
	v_fma_f64 v[138:139], v[140:141], v[153:154], v[138:139]
	v_div_scale_f64 v[140:141], null, v[138:139], v[138:139], 1.0
	v_rcp_f64_e32 v[155:156], v[140:141]
	v_fma_f64 v[157:158], -v[140:141], v[155:156], 1.0
	v_fma_f64 v[155:156], v[155:156], v[157:158], v[155:156]
	v_fma_f64 v[157:158], -v[140:141], v[155:156], 1.0
	v_fma_f64 v[155:156], v[155:156], v[157:158], v[155:156]
	v_div_scale_f64 v[157:158], vcc_lo, 1.0, v[138:139], 1.0
	v_mul_f64 v[159:160], v[157:158], v[155:156]
	v_fma_f64 v[140:141], -v[140:141], v[159:160], v[157:158]
	v_div_fmas_f64 v[140:141], v[140:141], v[155:156], v[159:160]
	v_div_fixup_f64 v[138:139], v[140:141], v[138:139], 1.0
	v_mul_f64 v[140:141], v[153:154], -v[138:139]
.LBB66_114:
	s_or_b32 exec_lo, exec_lo, s1
.LBB66_115:
	s_or_b32 exec_lo, exec_lo, s0
	s_mov_b32 s0, exec_lo
	v_cmpx_ne_u32_e64 v152, v146
	s_xor_b32 s0, exec_lo, s0
	s_cbranch_execz .LBB66_121
; %bb.116:
	s_mov_b32 s1, exec_lo
	v_cmpx_eq_u32_e32 5, v152
	s_cbranch_execz .LBB66_120
; %bb.117:
	v_cmp_ne_u32_e32 vcc_lo, 5, v146
	s_xor_b32 s2, s16, -1
	s_and_b32 s3, s2, vcc_lo
	s_and_saveexec_b32 s2, s3
	s_cbranch_execz .LBB66_119
; %bb.118:
	v_ashrrev_i32_e32 v147, 31, v146
	v_lshlrev_b64 v[152:153], 2, v[146:147]
	v_add_co_u32 v152, vcc_lo, v144, v152
	v_add_co_ci_u32_e64 v153, null, v145, v153, vcc_lo
	s_clause 0x1
	global_load_dword v0, v[152:153], off
	global_load_dword v147, v[144:145], off offset:20
	s_waitcnt vmcnt(1)
	global_store_dword v[144:145], v0, off offset:20
	s_waitcnt vmcnt(0)
	global_store_dword v[152:153], v147, off
.LBB66_119:
	s_or_b32 exec_lo, exec_lo, s2
	v_mov_b32_e32 v152, v146
	v_mov_b32_e32 v0, v146
.LBB66_120:
	s_or_b32 exec_lo, exec_lo, s1
.LBB66_121:
	s_andn2_saveexec_b32 s0, s0
	s_cbranch_execz .LBB66_123
; %bb.122:
	v_mov_b32_e32 v152, 5
	ds_write2_b64 v1, v[110:111], v[112:113] offset0:12 offset1:13
	ds_write2_b64 v1, v[106:107], v[108:109] offset0:14 offset1:15
	;; [unrolled: 1-line block ×28, first 2 shown]
.LBB66_123:
	s_or_b32 exec_lo, exec_lo, s0
	s_mov_b32 s0, exec_lo
	s_waitcnt lgkmcnt(0)
	s_waitcnt_vscnt null, 0x0
	s_barrier
	buffer_gl0_inv
	v_cmpx_lt_i32_e32 5, v152
	s_cbranch_execz .LBB66_125
; %bb.124:
	v_mul_f64 v[146:147], v[140:141], v[116:117]
	v_mul_f64 v[116:117], v[138:139], v[116:117]
	v_fma_f64 v[146:147], v[138:139], v[114:115], -v[146:147]
	v_fma_f64 v[116:117], v[140:141], v[114:115], v[116:117]
	ds_read2_b64 v[138:141], v1 offset0:12 offset1:13
	s_waitcnt lgkmcnt(0)
	v_mul_f64 v[114:115], v[140:141], v[116:117]
	v_fma_f64 v[114:115], v[138:139], v[146:147], -v[114:115]
	v_mul_f64 v[138:139], v[138:139], v[116:117]
	v_add_f64 v[110:111], v[110:111], -v[114:115]
	v_fma_f64 v[138:139], v[140:141], v[146:147], v[138:139]
	v_add_f64 v[112:113], v[112:113], -v[138:139]
	ds_read2_b64 v[138:141], v1 offset0:14 offset1:15
	s_waitcnt lgkmcnt(0)
	v_mul_f64 v[114:115], v[140:141], v[116:117]
	v_fma_f64 v[114:115], v[138:139], v[146:147], -v[114:115]
	v_mul_f64 v[138:139], v[138:139], v[116:117]
	v_add_f64 v[106:107], v[106:107], -v[114:115]
	v_fma_f64 v[138:139], v[140:141], v[146:147], v[138:139]
	v_add_f64 v[108:109], v[108:109], -v[138:139]
	;; [unrolled: 8-line block ×27, first 2 shown]
	ds_read2_b64 v[138:141], v1 offset0:66 offset1:67
	s_waitcnt lgkmcnt(0)
	v_mul_f64 v[114:115], v[140:141], v[116:117]
	v_fma_f64 v[114:115], v[138:139], v[146:147], -v[114:115]
	v_mul_f64 v[138:139], v[138:139], v[116:117]
	v_add_f64 v[2:3], v[2:3], -v[114:115]
	v_fma_f64 v[138:139], v[140:141], v[146:147], v[138:139]
	v_mov_b32_e32 v114, v146
	v_mov_b32_e32 v115, v147
	v_add_f64 v[4:5], v[4:5], -v[138:139]
.LBB66_125:
	s_or_b32 exec_lo, exec_lo, s0
	v_lshl_add_u32 v138, v152, 4, v1
	s_barrier
	buffer_gl0_inv
	v_mov_b32_e32 v146, 6
	ds_write2_b64 v138, v[110:111], v[112:113] offset1:1
	s_waitcnt lgkmcnt(0)
	s_barrier
	buffer_gl0_inv
	ds_read2_b64 v[138:141], v1 offset0:12 offset1:13
	s_cmp_lt_i32 s18, 8
	s_cbranch_scc1 .LBB66_128
; %bb.126:
	v_add3_u32 v147, v148, 0, 0x70
	v_mov_b32_e32 v146, 6
	s_mov_b32 s1, 7
	s_inst_prefetch 0x1
	.p2align	6
.LBB66_127:                             ; =>This Inner Loop Header: Depth=1
	s_waitcnt lgkmcnt(0)
	v_cmp_gt_f64_e32 vcc_lo, 0, v[140:141]
	v_cmp_gt_f64_e64 s0, 0, v[138:139]
	ds_read2_b64 v[153:156], v147 offset1:1
	v_xor_b32_e32 v158, 0x80000000, v139
	v_xor_b32_e32 v160, 0x80000000, v141
	v_mov_b32_e32 v157, v138
	v_mov_b32_e32 v159, v140
	v_add_nc_u32_e32 v147, 16, v147
	s_waitcnt lgkmcnt(0)
	v_xor_b32_e32 v162, 0x80000000, v156
	v_cndmask_b32_e64 v158, v139, v158, s0
	v_cndmask_b32_e32 v160, v141, v160, vcc_lo
	v_cmp_gt_f64_e32 vcc_lo, 0, v[155:156]
	v_cmp_gt_f64_e64 s0, 0, v[153:154]
	v_mov_b32_e32 v161, v155
	v_add_f64 v[157:158], v[157:158], v[159:160]
	v_xor_b32_e32 v160, 0x80000000, v154
	v_mov_b32_e32 v159, v153
	v_cndmask_b32_e32 v162, v156, v162, vcc_lo
	v_cndmask_b32_e64 v160, v154, v160, s0
	v_add_f64 v[159:160], v[159:160], v[161:162]
	v_cmp_lt_f64_e32 vcc_lo, v[157:158], v[159:160]
	v_cndmask_b32_e32 v139, v139, v154, vcc_lo
	v_cndmask_b32_e32 v138, v138, v153, vcc_lo
	;; [unrolled: 1-line block ×4, first 2 shown]
	v_cndmask_b32_e64 v146, v146, s1, vcc_lo
	s_add_i32 s1, s1, 1
	s_cmp_lg_u32 s18, s1
	s_cbranch_scc1 .LBB66_127
.LBB66_128:
	s_inst_prefetch 0x2
	s_waitcnt lgkmcnt(0)
	v_cmp_eq_f64_e32 vcc_lo, 0, v[138:139]
	v_cmp_eq_f64_e64 s0, 0, v[140:141]
	s_and_b32 s0, vcc_lo, s0
	s_and_saveexec_b32 s1, s0
	s_xor_b32 s0, exec_lo, s1
; %bb.129:
	v_cmp_ne_u32_e32 vcc_lo, 0, v151
	v_cndmask_b32_e32 v151, 7, v151, vcc_lo
; %bb.130:
	s_andn2_saveexec_b32 s0, s0
	s_cbranch_execz .LBB66_136
; %bb.131:
	v_cmp_ngt_f64_e64 s1, |v[138:139]|, |v[140:141]|
	s_and_saveexec_b32 s2, s1
	s_xor_b32 s1, exec_lo, s2
	s_cbranch_execz .LBB66_133
; %bb.132:
	v_div_scale_f64 v[153:154], null, v[140:141], v[140:141], v[138:139]
	v_div_scale_f64 v[159:160], vcc_lo, v[138:139], v[140:141], v[138:139]
	v_rcp_f64_e32 v[155:156], v[153:154]
	v_fma_f64 v[157:158], -v[153:154], v[155:156], 1.0
	v_fma_f64 v[155:156], v[155:156], v[157:158], v[155:156]
	v_fma_f64 v[157:158], -v[153:154], v[155:156], 1.0
	v_fma_f64 v[155:156], v[155:156], v[157:158], v[155:156]
	v_mul_f64 v[157:158], v[159:160], v[155:156]
	v_fma_f64 v[153:154], -v[153:154], v[157:158], v[159:160]
	v_div_fmas_f64 v[153:154], v[153:154], v[155:156], v[157:158]
	v_div_fixup_f64 v[153:154], v[153:154], v[140:141], v[138:139]
	v_fma_f64 v[138:139], v[138:139], v[153:154], v[140:141]
	v_div_scale_f64 v[140:141], null, v[138:139], v[138:139], 1.0
	v_rcp_f64_e32 v[155:156], v[140:141]
	v_fma_f64 v[157:158], -v[140:141], v[155:156], 1.0
	v_fma_f64 v[155:156], v[155:156], v[157:158], v[155:156]
	v_fma_f64 v[157:158], -v[140:141], v[155:156], 1.0
	v_fma_f64 v[155:156], v[155:156], v[157:158], v[155:156]
	v_div_scale_f64 v[157:158], vcc_lo, 1.0, v[138:139], 1.0
	v_mul_f64 v[159:160], v[157:158], v[155:156]
	v_fma_f64 v[140:141], -v[140:141], v[159:160], v[157:158]
	v_div_fmas_f64 v[140:141], v[140:141], v[155:156], v[159:160]
	v_div_fixup_f64 v[140:141], v[140:141], v[138:139], 1.0
	v_mul_f64 v[138:139], v[153:154], v[140:141]
	v_xor_b32_e32 v141, 0x80000000, v141
.LBB66_133:
	s_andn2_saveexec_b32 s1, s1
	s_cbranch_execz .LBB66_135
; %bb.134:
	v_div_scale_f64 v[153:154], null, v[138:139], v[138:139], v[140:141]
	v_div_scale_f64 v[159:160], vcc_lo, v[140:141], v[138:139], v[140:141]
	v_rcp_f64_e32 v[155:156], v[153:154]
	v_fma_f64 v[157:158], -v[153:154], v[155:156], 1.0
	v_fma_f64 v[155:156], v[155:156], v[157:158], v[155:156]
	v_fma_f64 v[157:158], -v[153:154], v[155:156], 1.0
	v_fma_f64 v[155:156], v[155:156], v[157:158], v[155:156]
	v_mul_f64 v[157:158], v[159:160], v[155:156]
	v_fma_f64 v[153:154], -v[153:154], v[157:158], v[159:160]
	v_div_fmas_f64 v[153:154], v[153:154], v[155:156], v[157:158]
	v_div_fixup_f64 v[153:154], v[153:154], v[138:139], v[140:141]
	v_fma_f64 v[138:139], v[140:141], v[153:154], v[138:139]
	v_div_scale_f64 v[140:141], null, v[138:139], v[138:139], 1.0
	v_rcp_f64_e32 v[155:156], v[140:141]
	v_fma_f64 v[157:158], -v[140:141], v[155:156], 1.0
	v_fma_f64 v[155:156], v[155:156], v[157:158], v[155:156]
	v_fma_f64 v[157:158], -v[140:141], v[155:156], 1.0
	v_fma_f64 v[155:156], v[155:156], v[157:158], v[155:156]
	v_div_scale_f64 v[157:158], vcc_lo, 1.0, v[138:139], 1.0
	v_mul_f64 v[159:160], v[157:158], v[155:156]
	v_fma_f64 v[140:141], -v[140:141], v[159:160], v[157:158]
	v_div_fmas_f64 v[140:141], v[140:141], v[155:156], v[159:160]
	v_div_fixup_f64 v[138:139], v[140:141], v[138:139], 1.0
	v_mul_f64 v[140:141], v[153:154], -v[138:139]
.LBB66_135:
	s_or_b32 exec_lo, exec_lo, s1
.LBB66_136:
	s_or_b32 exec_lo, exec_lo, s0
	s_mov_b32 s0, exec_lo
	v_cmpx_ne_u32_e64 v152, v146
	s_xor_b32 s0, exec_lo, s0
	s_cbranch_execz .LBB66_142
; %bb.137:
	s_mov_b32 s1, exec_lo
	v_cmpx_eq_u32_e32 6, v152
	s_cbranch_execz .LBB66_141
; %bb.138:
	v_cmp_ne_u32_e32 vcc_lo, 6, v146
	s_xor_b32 s2, s16, -1
	s_and_b32 s3, s2, vcc_lo
	s_and_saveexec_b32 s2, s3
	s_cbranch_execz .LBB66_140
; %bb.139:
	v_ashrrev_i32_e32 v147, 31, v146
	v_lshlrev_b64 v[152:153], 2, v[146:147]
	v_add_co_u32 v152, vcc_lo, v144, v152
	v_add_co_ci_u32_e64 v153, null, v145, v153, vcc_lo
	s_clause 0x1
	global_load_dword v0, v[152:153], off
	global_load_dword v147, v[144:145], off offset:24
	s_waitcnt vmcnt(1)
	global_store_dword v[144:145], v0, off offset:24
	s_waitcnt vmcnt(0)
	global_store_dword v[152:153], v147, off
.LBB66_140:
	s_or_b32 exec_lo, exec_lo, s2
	v_mov_b32_e32 v152, v146
	v_mov_b32_e32 v0, v146
.LBB66_141:
	s_or_b32 exec_lo, exec_lo, s1
.LBB66_142:
	s_andn2_saveexec_b32 s0, s0
	s_cbranch_execz .LBB66_144
; %bb.143:
	v_mov_b32_e32 v152, 6
	ds_write2_b64 v1, v[106:107], v[108:109] offset0:14 offset1:15
	ds_write2_b64 v1, v[102:103], v[104:105] offset0:16 offset1:17
	ds_write2_b64 v1, v[98:99], v[100:101] offset0:18 offset1:19
	ds_write2_b64 v1, v[94:95], v[96:97] offset0:20 offset1:21
	ds_write2_b64 v1, v[90:91], v[92:93] offset0:22 offset1:23
	ds_write2_b64 v1, v[86:87], v[88:89] offset0:24 offset1:25
	ds_write2_b64 v1, v[82:83], v[84:85] offset0:26 offset1:27
	ds_write2_b64 v1, v[78:79], v[80:81] offset0:28 offset1:29
	ds_write2_b64 v1, v[74:75], v[76:77] offset0:30 offset1:31
	ds_write2_b64 v1, v[70:71], v[72:73] offset0:32 offset1:33
	ds_write2_b64 v1, v[66:67], v[68:69] offset0:34 offset1:35
	ds_write2_b64 v1, v[62:63], v[64:65] offset0:36 offset1:37
	ds_write2_b64 v1, v[58:59], v[60:61] offset0:38 offset1:39
	ds_write2_b64 v1, v[54:55], v[56:57] offset0:40 offset1:41
	ds_write2_b64 v1, v[50:51], v[52:53] offset0:42 offset1:43
	ds_write2_b64 v1, v[46:47], v[48:49] offset0:44 offset1:45
	ds_write2_b64 v1, v[42:43], v[44:45] offset0:46 offset1:47
	ds_write2_b64 v1, v[38:39], v[40:41] offset0:48 offset1:49
	ds_write2_b64 v1, v[34:35], v[36:37] offset0:50 offset1:51
	ds_write2_b64 v1, v[30:31], v[32:33] offset0:52 offset1:53
	ds_write2_b64 v1, v[26:27], v[28:29] offset0:54 offset1:55
	ds_write2_b64 v1, v[22:23], v[24:25] offset0:56 offset1:57
	ds_write2_b64 v1, v[18:19], v[20:21] offset0:58 offset1:59
	ds_write2_b64 v1, v[14:15], v[16:17] offset0:60 offset1:61
	ds_write2_b64 v1, v[10:11], v[12:13] offset0:62 offset1:63
	ds_write2_b64 v1, v[6:7], v[8:9] offset0:64 offset1:65
	ds_write2_b64 v1, v[2:3], v[4:5] offset0:66 offset1:67
.LBB66_144:
	s_or_b32 exec_lo, exec_lo, s0
	s_mov_b32 s0, exec_lo
	s_waitcnt lgkmcnt(0)
	s_waitcnt_vscnt null, 0x0
	s_barrier
	buffer_gl0_inv
	v_cmpx_lt_i32_e32 6, v152
	s_cbranch_execz .LBB66_146
; %bb.145:
	v_mul_f64 v[146:147], v[140:141], v[112:113]
	v_mul_f64 v[112:113], v[138:139], v[112:113]
	v_fma_f64 v[146:147], v[138:139], v[110:111], -v[146:147]
	v_fma_f64 v[112:113], v[140:141], v[110:111], v[112:113]
	ds_read2_b64 v[138:141], v1 offset0:14 offset1:15
	s_waitcnt lgkmcnt(0)
	v_mul_f64 v[110:111], v[140:141], v[112:113]
	v_fma_f64 v[110:111], v[138:139], v[146:147], -v[110:111]
	v_mul_f64 v[138:139], v[138:139], v[112:113]
	v_add_f64 v[106:107], v[106:107], -v[110:111]
	v_fma_f64 v[138:139], v[140:141], v[146:147], v[138:139]
	v_add_f64 v[108:109], v[108:109], -v[138:139]
	ds_read2_b64 v[138:141], v1 offset0:16 offset1:17
	s_waitcnt lgkmcnt(0)
	v_mul_f64 v[110:111], v[140:141], v[112:113]
	v_fma_f64 v[110:111], v[138:139], v[146:147], -v[110:111]
	v_mul_f64 v[138:139], v[138:139], v[112:113]
	v_add_f64 v[102:103], v[102:103], -v[110:111]
	v_fma_f64 v[138:139], v[140:141], v[146:147], v[138:139]
	v_add_f64 v[104:105], v[104:105], -v[138:139]
	;; [unrolled: 8-line block ×26, first 2 shown]
	ds_read2_b64 v[138:141], v1 offset0:66 offset1:67
	s_waitcnt lgkmcnt(0)
	v_mul_f64 v[110:111], v[140:141], v[112:113]
	v_fma_f64 v[110:111], v[138:139], v[146:147], -v[110:111]
	v_mul_f64 v[138:139], v[138:139], v[112:113]
	v_add_f64 v[2:3], v[2:3], -v[110:111]
	v_fma_f64 v[138:139], v[140:141], v[146:147], v[138:139]
	v_mov_b32_e32 v110, v146
	v_mov_b32_e32 v111, v147
	v_add_f64 v[4:5], v[4:5], -v[138:139]
.LBB66_146:
	s_or_b32 exec_lo, exec_lo, s0
	v_lshl_add_u32 v138, v152, 4, v1
	s_barrier
	buffer_gl0_inv
	v_mov_b32_e32 v146, 7
	ds_write2_b64 v138, v[106:107], v[108:109] offset1:1
	s_waitcnt lgkmcnt(0)
	s_barrier
	buffer_gl0_inv
	ds_read2_b64 v[138:141], v1 offset0:14 offset1:15
	s_cmp_lt_i32 s18, 9
	s_cbranch_scc1 .LBB66_149
; %bb.147:
	v_add3_u32 v147, v148, 0, 0x80
	v_mov_b32_e32 v146, 7
	s_mov_b32 s1, 8
	s_inst_prefetch 0x1
	.p2align	6
.LBB66_148:                             ; =>This Inner Loop Header: Depth=1
	s_waitcnt lgkmcnt(0)
	v_cmp_gt_f64_e32 vcc_lo, 0, v[140:141]
	v_cmp_gt_f64_e64 s0, 0, v[138:139]
	ds_read2_b64 v[153:156], v147 offset1:1
	v_xor_b32_e32 v158, 0x80000000, v139
	v_xor_b32_e32 v160, 0x80000000, v141
	v_mov_b32_e32 v157, v138
	v_mov_b32_e32 v159, v140
	v_add_nc_u32_e32 v147, 16, v147
	s_waitcnt lgkmcnt(0)
	v_xor_b32_e32 v162, 0x80000000, v156
	v_cndmask_b32_e64 v158, v139, v158, s0
	v_cndmask_b32_e32 v160, v141, v160, vcc_lo
	v_cmp_gt_f64_e32 vcc_lo, 0, v[155:156]
	v_cmp_gt_f64_e64 s0, 0, v[153:154]
	v_mov_b32_e32 v161, v155
	v_add_f64 v[157:158], v[157:158], v[159:160]
	v_xor_b32_e32 v160, 0x80000000, v154
	v_mov_b32_e32 v159, v153
	v_cndmask_b32_e32 v162, v156, v162, vcc_lo
	v_cndmask_b32_e64 v160, v154, v160, s0
	v_add_f64 v[159:160], v[159:160], v[161:162]
	v_cmp_lt_f64_e32 vcc_lo, v[157:158], v[159:160]
	v_cndmask_b32_e32 v139, v139, v154, vcc_lo
	v_cndmask_b32_e32 v138, v138, v153, vcc_lo
	;; [unrolled: 1-line block ×4, first 2 shown]
	v_cndmask_b32_e64 v146, v146, s1, vcc_lo
	s_add_i32 s1, s1, 1
	s_cmp_lg_u32 s18, s1
	s_cbranch_scc1 .LBB66_148
.LBB66_149:
	s_inst_prefetch 0x2
	s_waitcnt lgkmcnt(0)
	v_cmp_eq_f64_e32 vcc_lo, 0, v[138:139]
	v_cmp_eq_f64_e64 s0, 0, v[140:141]
	s_and_b32 s0, vcc_lo, s0
	s_and_saveexec_b32 s1, s0
	s_xor_b32 s0, exec_lo, s1
; %bb.150:
	v_cmp_ne_u32_e32 vcc_lo, 0, v151
	v_cndmask_b32_e32 v151, 8, v151, vcc_lo
; %bb.151:
	s_andn2_saveexec_b32 s0, s0
	s_cbranch_execz .LBB66_157
; %bb.152:
	v_cmp_ngt_f64_e64 s1, |v[138:139]|, |v[140:141]|
	s_and_saveexec_b32 s2, s1
	s_xor_b32 s1, exec_lo, s2
	s_cbranch_execz .LBB66_154
; %bb.153:
	v_div_scale_f64 v[153:154], null, v[140:141], v[140:141], v[138:139]
	v_div_scale_f64 v[159:160], vcc_lo, v[138:139], v[140:141], v[138:139]
	v_rcp_f64_e32 v[155:156], v[153:154]
	v_fma_f64 v[157:158], -v[153:154], v[155:156], 1.0
	v_fma_f64 v[155:156], v[155:156], v[157:158], v[155:156]
	v_fma_f64 v[157:158], -v[153:154], v[155:156], 1.0
	v_fma_f64 v[155:156], v[155:156], v[157:158], v[155:156]
	v_mul_f64 v[157:158], v[159:160], v[155:156]
	v_fma_f64 v[153:154], -v[153:154], v[157:158], v[159:160]
	v_div_fmas_f64 v[153:154], v[153:154], v[155:156], v[157:158]
	v_div_fixup_f64 v[153:154], v[153:154], v[140:141], v[138:139]
	v_fma_f64 v[138:139], v[138:139], v[153:154], v[140:141]
	v_div_scale_f64 v[140:141], null, v[138:139], v[138:139], 1.0
	v_rcp_f64_e32 v[155:156], v[140:141]
	v_fma_f64 v[157:158], -v[140:141], v[155:156], 1.0
	v_fma_f64 v[155:156], v[155:156], v[157:158], v[155:156]
	v_fma_f64 v[157:158], -v[140:141], v[155:156], 1.0
	v_fma_f64 v[155:156], v[155:156], v[157:158], v[155:156]
	v_div_scale_f64 v[157:158], vcc_lo, 1.0, v[138:139], 1.0
	v_mul_f64 v[159:160], v[157:158], v[155:156]
	v_fma_f64 v[140:141], -v[140:141], v[159:160], v[157:158]
	v_div_fmas_f64 v[140:141], v[140:141], v[155:156], v[159:160]
	v_div_fixup_f64 v[140:141], v[140:141], v[138:139], 1.0
	v_mul_f64 v[138:139], v[153:154], v[140:141]
	v_xor_b32_e32 v141, 0x80000000, v141
.LBB66_154:
	s_andn2_saveexec_b32 s1, s1
	s_cbranch_execz .LBB66_156
; %bb.155:
	v_div_scale_f64 v[153:154], null, v[138:139], v[138:139], v[140:141]
	v_div_scale_f64 v[159:160], vcc_lo, v[140:141], v[138:139], v[140:141]
	v_rcp_f64_e32 v[155:156], v[153:154]
	v_fma_f64 v[157:158], -v[153:154], v[155:156], 1.0
	v_fma_f64 v[155:156], v[155:156], v[157:158], v[155:156]
	v_fma_f64 v[157:158], -v[153:154], v[155:156], 1.0
	v_fma_f64 v[155:156], v[155:156], v[157:158], v[155:156]
	v_mul_f64 v[157:158], v[159:160], v[155:156]
	v_fma_f64 v[153:154], -v[153:154], v[157:158], v[159:160]
	v_div_fmas_f64 v[153:154], v[153:154], v[155:156], v[157:158]
	v_div_fixup_f64 v[153:154], v[153:154], v[138:139], v[140:141]
	v_fma_f64 v[138:139], v[140:141], v[153:154], v[138:139]
	v_div_scale_f64 v[140:141], null, v[138:139], v[138:139], 1.0
	v_rcp_f64_e32 v[155:156], v[140:141]
	v_fma_f64 v[157:158], -v[140:141], v[155:156], 1.0
	v_fma_f64 v[155:156], v[155:156], v[157:158], v[155:156]
	v_fma_f64 v[157:158], -v[140:141], v[155:156], 1.0
	v_fma_f64 v[155:156], v[155:156], v[157:158], v[155:156]
	v_div_scale_f64 v[157:158], vcc_lo, 1.0, v[138:139], 1.0
	v_mul_f64 v[159:160], v[157:158], v[155:156]
	v_fma_f64 v[140:141], -v[140:141], v[159:160], v[157:158]
	v_div_fmas_f64 v[140:141], v[140:141], v[155:156], v[159:160]
	v_div_fixup_f64 v[138:139], v[140:141], v[138:139], 1.0
	v_mul_f64 v[140:141], v[153:154], -v[138:139]
.LBB66_156:
	s_or_b32 exec_lo, exec_lo, s1
.LBB66_157:
	s_or_b32 exec_lo, exec_lo, s0
	s_mov_b32 s0, exec_lo
	v_cmpx_ne_u32_e64 v152, v146
	s_xor_b32 s0, exec_lo, s0
	s_cbranch_execz .LBB66_163
; %bb.158:
	s_mov_b32 s1, exec_lo
	v_cmpx_eq_u32_e32 7, v152
	s_cbranch_execz .LBB66_162
; %bb.159:
	v_cmp_ne_u32_e32 vcc_lo, 7, v146
	s_xor_b32 s2, s16, -1
	s_and_b32 s3, s2, vcc_lo
	s_and_saveexec_b32 s2, s3
	s_cbranch_execz .LBB66_161
; %bb.160:
	v_ashrrev_i32_e32 v147, 31, v146
	v_lshlrev_b64 v[152:153], 2, v[146:147]
	v_add_co_u32 v152, vcc_lo, v144, v152
	v_add_co_ci_u32_e64 v153, null, v145, v153, vcc_lo
	s_clause 0x1
	global_load_dword v0, v[152:153], off
	global_load_dword v147, v[144:145], off offset:28
	s_waitcnt vmcnt(1)
	global_store_dword v[144:145], v0, off offset:28
	s_waitcnt vmcnt(0)
	global_store_dword v[152:153], v147, off
.LBB66_161:
	s_or_b32 exec_lo, exec_lo, s2
	v_mov_b32_e32 v152, v146
	v_mov_b32_e32 v0, v146
.LBB66_162:
	s_or_b32 exec_lo, exec_lo, s1
.LBB66_163:
	s_andn2_saveexec_b32 s0, s0
	s_cbranch_execz .LBB66_165
; %bb.164:
	v_mov_b32_e32 v152, 7
	ds_write2_b64 v1, v[102:103], v[104:105] offset0:16 offset1:17
	ds_write2_b64 v1, v[98:99], v[100:101] offset0:18 offset1:19
	;; [unrolled: 1-line block ×26, first 2 shown]
.LBB66_165:
	s_or_b32 exec_lo, exec_lo, s0
	s_mov_b32 s0, exec_lo
	s_waitcnt lgkmcnt(0)
	s_waitcnt_vscnt null, 0x0
	s_barrier
	buffer_gl0_inv
	v_cmpx_lt_i32_e32 7, v152
	s_cbranch_execz .LBB66_167
; %bb.166:
	v_mul_f64 v[146:147], v[140:141], v[108:109]
	v_mul_f64 v[108:109], v[138:139], v[108:109]
	v_fma_f64 v[146:147], v[138:139], v[106:107], -v[146:147]
	v_fma_f64 v[108:109], v[140:141], v[106:107], v[108:109]
	ds_read2_b64 v[138:141], v1 offset0:16 offset1:17
	s_waitcnt lgkmcnt(0)
	v_mul_f64 v[106:107], v[140:141], v[108:109]
	v_fma_f64 v[106:107], v[138:139], v[146:147], -v[106:107]
	v_mul_f64 v[138:139], v[138:139], v[108:109]
	v_add_f64 v[102:103], v[102:103], -v[106:107]
	v_fma_f64 v[138:139], v[140:141], v[146:147], v[138:139]
	v_add_f64 v[104:105], v[104:105], -v[138:139]
	ds_read2_b64 v[138:141], v1 offset0:18 offset1:19
	s_waitcnt lgkmcnt(0)
	v_mul_f64 v[106:107], v[140:141], v[108:109]
	v_fma_f64 v[106:107], v[138:139], v[146:147], -v[106:107]
	v_mul_f64 v[138:139], v[138:139], v[108:109]
	v_add_f64 v[98:99], v[98:99], -v[106:107]
	v_fma_f64 v[138:139], v[140:141], v[146:147], v[138:139]
	v_add_f64 v[100:101], v[100:101], -v[138:139]
	;; [unrolled: 8-line block ×25, first 2 shown]
	ds_read2_b64 v[138:141], v1 offset0:66 offset1:67
	s_waitcnt lgkmcnt(0)
	v_mul_f64 v[106:107], v[140:141], v[108:109]
	v_fma_f64 v[106:107], v[138:139], v[146:147], -v[106:107]
	v_mul_f64 v[138:139], v[138:139], v[108:109]
	v_add_f64 v[2:3], v[2:3], -v[106:107]
	v_fma_f64 v[138:139], v[140:141], v[146:147], v[138:139]
	v_mov_b32_e32 v106, v146
	v_mov_b32_e32 v107, v147
	v_add_f64 v[4:5], v[4:5], -v[138:139]
.LBB66_167:
	s_or_b32 exec_lo, exec_lo, s0
	v_lshl_add_u32 v138, v152, 4, v1
	s_barrier
	buffer_gl0_inv
	v_mov_b32_e32 v146, 8
	ds_write2_b64 v138, v[102:103], v[104:105] offset1:1
	s_waitcnt lgkmcnt(0)
	s_barrier
	buffer_gl0_inv
	ds_read2_b64 v[138:141], v1 offset0:16 offset1:17
	s_cmp_lt_i32 s18, 10
	s_cbranch_scc1 .LBB66_170
; %bb.168:
	v_add3_u32 v147, v148, 0, 0x90
	v_mov_b32_e32 v146, 8
	s_mov_b32 s1, 9
	s_inst_prefetch 0x1
	.p2align	6
.LBB66_169:                             ; =>This Inner Loop Header: Depth=1
	s_waitcnt lgkmcnt(0)
	v_cmp_gt_f64_e32 vcc_lo, 0, v[140:141]
	v_cmp_gt_f64_e64 s0, 0, v[138:139]
	ds_read2_b64 v[153:156], v147 offset1:1
	v_xor_b32_e32 v158, 0x80000000, v139
	v_xor_b32_e32 v160, 0x80000000, v141
	v_mov_b32_e32 v157, v138
	v_mov_b32_e32 v159, v140
	v_add_nc_u32_e32 v147, 16, v147
	s_waitcnt lgkmcnt(0)
	v_xor_b32_e32 v162, 0x80000000, v156
	v_cndmask_b32_e64 v158, v139, v158, s0
	v_cndmask_b32_e32 v160, v141, v160, vcc_lo
	v_cmp_gt_f64_e32 vcc_lo, 0, v[155:156]
	v_cmp_gt_f64_e64 s0, 0, v[153:154]
	v_mov_b32_e32 v161, v155
	v_add_f64 v[157:158], v[157:158], v[159:160]
	v_xor_b32_e32 v160, 0x80000000, v154
	v_mov_b32_e32 v159, v153
	v_cndmask_b32_e32 v162, v156, v162, vcc_lo
	v_cndmask_b32_e64 v160, v154, v160, s0
	v_add_f64 v[159:160], v[159:160], v[161:162]
	v_cmp_lt_f64_e32 vcc_lo, v[157:158], v[159:160]
	v_cndmask_b32_e32 v139, v139, v154, vcc_lo
	v_cndmask_b32_e32 v138, v138, v153, vcc_lo
	;; [unrolled: 1-line block ×4, first 2 shown]
	v_cndmask_b32_e64 v146, v146, s1, vcc_lo
	s_add_i32 s1, s1, 1
	s_cmp_lg_u32 s18, s1
	s_cbranch_scc1 .LBB66_169
.LBB66_170:
	s_inst_prefetch 0x2
	s_waitcnt lgkmcnt(0)
	v_cmp_eq_f64_e32 vcc_lo, 0, v[138:139]
	v_cmp_eq_f64_e64 s0, 0, v[140:141]
	s_and_b32 s0, vcc_lo, s0
	s_and_saveexec_b32 s1, s0
	s_xor_b32 s0, exec_lo, s1
; %bb.171:
	v_cmp_ne_u32_e32 vcc_lo, 0, v151
	v_cndmask_b32_e32 v151, 9, v151, vcc_lo
; %bb.172:
	s_andn2_saveexec_b32 s0, s0
	s_cbranch_execz .LBB66_178
; %bb.173:
	v_cmp_ngt_f64_e64 s1, |v[138:139]|, |v[140:141]|
	s_and_saveexec_b32 s2, s1
	s_xor_b32 s1, exec_lo, s2
	s_cbranch_execz .LBB66_175
; %bb.174:
	v_div_scale_f64 v[153:154], null, v[140:141], v[140:141], v[138:139]
	v_div_scale_f64 v[159:160], vcc_lo, v[138:139], v[140:141], v[138:139]
	v_rcp_f64_e32 v[155:156], v[153:154]
	v_fma_f64 v[157:158], -v[153:154], v[155:156], 1.0
	v_fma_f64 v[155:156], v[155:156], v[157:158], v[155:156]
	v_fma_f64 v[157:158], -v[153:154], v[155:156], 1.0
	v_fma_f64 v[155:156], v[155:156], v[157:158], v[155:156]
	v_mul_f64 v[157:158], v[159:160], v[155:156]
	v_fma_f64 v[153:154], -v[153:154], v[157:158], v[159:160]
	v_div_fmas_f64 v[153:154], v[153:154], v[155:156], v[157:158]
	v_div_fixup_f64 v[153:154], v[153:154], v[140:141], v[138:139]
	v_fma_f64 v[138:139], v[138:139], v[153:154], v[140:141]
	v_div_scale_f64 v[140:141], null, v[138:139], v[138:139], 1.0
	v_rcp_f64_e32 v[155:156], v[140:141]
	v_fma_f64 v[157:158], -v[140:141], v[155:156], 1.0
	v_fma_f64 v[155:156], v[155:156], v[157:158], v[155:156]
	v_fma_f64 v[157:158], -v[140:141], v[155:156], 1.0
	v_fma_f64 v[155:156], v[155:156], v[157:158], v[155:156]
	v_div_scale_f64 v[157:158], vcc_lo, 1.0, v[138:139], 1.0
	v_mul_f64 v[159:160], v[157:158], v[155:156]
	v_fma_f64 v[140:141], -v[140:141], v[159:160], v[157:158]
	v_div_fmas_f64 v[140:141], v[140:141], v[155:156], v[159:160]
	v_div_fixup_f64 v[140:141], v[140:141], v[138:139], 1.0
	v_mul_f64 v[138:139], v[153:154], v[140:141]
	v_xor_b32_e32 v141, 0x80000000, v141
.LBB66_175:
	s_andn2_saveexec_b32 s1, s1
	s_cbranch_execz .LBB66_177
; %bb.176:
	v_div_scale_f64 v[153:154], null, v[138:139], v[138:139], v[140:141]
	v_div_scale_f64 v[159:160], vcc_lo, v[140:141], v[138:139], v[140:141]
	v_rcp_f64_e32 v[155:156], v[153:154]
	v_fma_f64 v[157:158], -v[153:154], v[155:156], 1.0
	v_fma_f64 v[155:156], v[155:156], v[157:158], v[155:156]
	v_fma_f64 v[157:158], -v[153:154], v[155:156], 1.0
	v_fma_f64 v[155:156], v[155:156], v[157:158], v[155:156]
	v_mul_f64 v[157:158], v[159:160], v[155:156]
	v_fma_f64 v[153:154], -v[153:154], v[157:158], v[159:160]
	v_div_fmas_f64 v[153:154], v[153:154], v[155:156], v[157:158]
	v_div_fixup_f64 v[153:154], v[153:154], v[138:139], v[140:141]
	v_fma_f64 v[138:139], v[140:141], v[153:154], v[138:139]
	v_div_scale_f64 v[140:141], null, v[138:139], v[138:139], 1.0
	v_rcp_f64_e32 v[155:156], v[140:141]
	v_fma_f64 v[157:158], -v[140:141], v[155:156], 1.0
	v_fma_f64 v[155:156], v[155:156], v[157:158], v[155:156]
	v_fma_f64 v[157:158], -v[140:141], v[155:156], 1.0
	v_fma_f64 v[155:156], v[155:156], v[157:158], v[155:156]
	v_div_scale_f64 v[157:158], vcc_lo, 1.0, v[138:139], 1.0
	v_mul_f64 v[159:160], v[157:158], v[155:156]
	v_fma_f64 v[140:141], -v[140:141], v[159:160], v[157:158]
	v_div_fmas_f64 v[140:141], v[140:141], v[155:156], v[159:160]
	v_div_fixup_f64 v[138:139], v[140:141], v[138:139], 1.0
	v_mul_f64 v[140:141], v[153:154], -v[138:139]
.LBB66_177:
	s_or_b32 exec_lo, exec_lo, s1
.LBB66_178:
	s_or_b32 exec_lo, exec_lo, s0
	s_mov_b32 s0, exec_lo
	v_cmpx_ne_u32_e64 v152, v146
	s_xor_b32 s0, exec_lo, s0
	s_cbranch_execz .LBB66_184
; %bb.179:
	s_mov_b32 s1, exec_lo
	v_cmpx_eq_u32_e32 8, v152
	s_cbranch_execz .LBB66_183
; %bb.180:
	v_cmp_ne_u32_e32 vcc_lo, 8, v146
	s_xor_b32 s2, s16, -1
	s_and_b32 s3, s2, vcc_lo
	s_and_saveexec_b32 s2, s3
	s_cbranch_execz .LBB66_182
; %bb.181:
	v_ashrrev_i32_e32 v147, 31, v146
	v_lshlrev_b64 v[152:153], 2, v[146:147]
	v_add_co_u32 v152, vcc_lo, v144, v152
	v_add_co_ci_u32_e64 v153, null, v145, v153, vcc_lo
	s_clause 0x1
	global_load_dword v0, v[152:153], off
	global_load_dword v147, v[144:145], off offset:32
	s_waitcnt vmcnt(1)
	global_store_dword v[144:145], v0, off offset:32
	s_waitcnt vmcnt(0)
	global_store_dword v[152:153], v147, off
.LBB66_182:
	s_or_b32 exec_lo, exec_lo, s2
	v_mov_b32_e32 v152, v146
	v_mov_b32_e32 v0, v146
.LBB66_183:
	s_or_b32 exec_lo, exec_lo, s1
.LBB66_184:
	s_andn2_saveexec_b32 s0, s0
	s_cbranch_execz .LBB66_186
; %bb.185:
	v_mov_b32_e32 v152, 8
	ds_write2_b64 v1, v[98:99], v[100:101] offset0:18 offset1:19
	ds_write2_b64 v1, v[94:95], v[96:97] offset0:20 offset1:21
	;; [unrolled: 1-line block ×25, first 2 shown]
.LBB66_186:
	s_or_b32 exec_lo, exec_lo, s0
	s_mov_b32 s0, exec_lo
	s_waitcnt lgkmcnt(0)
	s_waitcnt_vscnt null, 0x0
	s_barrier
	buffer_gl0_inv
	v_cmpx_lt_i32_e32 8, v152
	s_cbranch_execz .LBB66_188
; %bb.187:
	v_mul_f64 v[146:147], v[140:141], v[104:105]
	v_mul_f64 v[104:105], v[138:139], v[104:105]
	v_fma_f64 v[146:147], v[138:139], v[102:103], -v[146:147]
	v_fma_f64 v[104:105], v[140:141], v[102:103], v[104:105]
	ds_read2_b64 v[138:141], v1 offset0:18 offset1:19
	s_waitcnt lgkmcnt(0)
	v_mul_f64 v[102:103], v[140:141], v[104:105]
	v_fma_f64 v[102:103], v[138:139], v[146:147], -v[102:103]
	v_mul_f64 v[138:139], v[138:139], v[104:105]
	v_add_f64 v[98:99], v[98:99], -v[102:103]
	v_fma_f64 v[138:139], v[140:141], v[146:147], v[138:139]
	v_add_f64 v[100:101], v[100:101], -v[138:139]
	ds_read2_b64 v[138:141], v1 offset0:20 offset1:21
	s_waitcnt lgkmcnt(0)
	v_mul_f64 v[102:103], v[140:141], v[104:105]
	v_fma_f64 v[102:103], v[138:139], v[146:147], -v[102:103]
	v_mul_f64 v[138:139], v[138:139], v[104:105]
	v_add_f64 v[94:95], v[94:95], -v[102:103]
	v_fma_f64 v[138:139], v[140:141], v[146:147], v[138:139]
	v_add_f64 v[96:97], v[96:97], -v[138:139]
	;; [unrolled: 8-line block ×24, first 2 shown]
	ds_read2_b64 v[138:141], v1 offset0:66 offset1:67
	s_waitcnt lgkmcnt(0)
	v_mul_f64 v[102:103], v[140:141], v[104:105]
	v_fma_f64 v[102:103], v[138:139], v[146:147], -v[102:103]
	v_mul_f64 v[138:139], v[138:139], v[104:105]
	v_add_f64 v[2:3], v[2:3], -v[102:103]
	v_fma_f64 v[138:139], v[140:141], v[146:147], v[138:139]
	v_mov_b32_e32 v102, v146
	v_mov_b32_e32 v103, v147
	v_add_f64 v[4:5], v[4:5], -v[138:139]
.LBB66_188:
	s_or_b32 exec_lo, exec_lo, s0
	v_lshl_add_u32 v138, v152, 4, v1
	s_barrier
	buffer_gl0_inv
	v_mov_b32_e32 v146, 9
	ds_write2_b64 v138, v[98:99], v[100:101] offset1:1
	s_waitcnt lgkmcnt(0)
	s_barrier
	buffer_gl0_inv
	ds_read2_b64 v[138:141], v1 offset0:18 offset1:19
	s_cmp_lt_i32 s18, 11
	s_cbranch_scc1 .LBB66_191
; %bb.189:
	v_add3_u32 v147, v148, 0, 0xa0
	v_mov_b32_e32 v146, 9
	s_mov_b32 s1, 10
	s_inst_prefetch 0x1
	.p2align	6
.LBB66_190:                             ; =>This Inner Loop Header: Depth=1
	s_waitcnt lgkmcnt(0)
	v_cmp_gt_f64_e32 vcc_lo, 0, v[140:141]
	v_cmp_gt_f64_e64 s0, 0, v[138:139]
	ds_read2_b64 v[153:156], v147 offset1:1
	v_xor_b32_e32 v158, 0x80000000, v139
	v_xor_b32_e32 v160, 0x80000000, v141
	v_mov_b32_e32 v157, v138
	v_mov_b32_e32 v159, v140
	v_add_nc_u32_e32 v147, 16, v147
	s_waitcnt lgkmcnt(0)
	v_xor_b32_e32 v162, 0x80000000, v156
	v_cndmask_b32_e64 v158, v139, v158, s0
	v_cndmask_b32_e32 v160, v141, v160, vcc_lo
	v_cmp_gt_f64_e32 vcc_lo, 0, v[155:156]
	v_cmp_gt_f64_e64 s0, 0, v[153:154]
	v_mov_b32_e32 v161, v155
	v_add_f64 v[157:158], v[157:158], v[159:160]
	v_xor_b32_e32 v160, 0x80000000, v154
	v_mov_b32_e32 v159, v153
	v_cndmask_b32_e32 v162, v156, v162, vcc_lo
	v_cndmask_b32_e64 v160, v154, v160, s0
	v_add_f64 v[159:160], v[159:160], v[161:162]
	v_cmp_lt_f64_e32 vcc_lo, v[157:158], v[159:160]
	v_cndmask_b32_e32 v139, v139, v154, vcc_lo
	v_cndmask_b32_e32 v138, v138, v153, vcc_lo
	;; [unrolled: 1-line block ×4, first 2 shown]
	v_cndmask_b32_e64 v146, v146, s1, vcc_lo
	s_add_i32 s1, s1, 1
	s_cmp_lg_u32 s18, s1
	s_cbranch_scc1 .LBB66_190
.LBB66_191:
	s_inst_prefetch 0x2
	s_waitcnt lgkmcnt(0)
	v_cmp_eq_f64_e32 vcc_lo, 0, v[138:139]
	v_cmp_eq_f64_e64 s0, 0, v[140:141]
	s_and_b32 s0, vcc_lo, s0
	s_and_saveexec_b32 s1, s0
	s_xor_b32 s0, exec_lo, s1
; %bb.192:
	v_cmp_ne_u32_e32 vcc_lo, 0, v151
	v_cndmask_b32_e32 v151, 10, v151, vcc_lo
; %bb.193:
	s_andn2_saveexec_b32 s0, s0
	s_cbranch_execz .LBB66_199
; %bb.194:
	v_cmp_ngt_f64_e64 s1, |v[138:139]|, |v[140:141]|
	s_and_saveexec_b32 s2, s1
	s_xor_b32 s1, exec_lo, s2
	s_cbranch_execz .LBB66_196
; %bb.195:
	v_div_scale_f64 v[153:154], null, v[140:141], v[140:141], v[138:139]
	v_div_scale_f64 v[159:160], vcc_lo, v[138:139], v[140:141], v[138:139]
	v_rcp_f64_e32 v[155:156], v[153:154]
	v_fma_f64 v[157:158], -v[153:154], v[155:156], 1.0
	v_fma_f64 v[155:156], v[155:156], v[157:158], v[155:156]
	v_fma_f64 v[157:158], -v[153:154], v[155:156], 1.0
	v_fma_f64 v[155:156], v[155:156], v[157:158], v[155:156]
	v_mul_f64 v[157:158], v[159:160], v[155:156]
	v_fma_f64 v[153:154], -v[153:154], v[157:158], v[159:160]
	v_div_fmas_f64 v[153:154], v[153:154], v[155:156], v[157:158]
	v_div_fixup_f64 v[153:154], v[153:154], v[140:141], v[138:139]
	v_fma_f64 v[138:139], v[138:139], v[153:154], v[140:141]
	v_div_scale_f64 v[140:141], null, v[138:139], v[138:139], 1.0
	v_rcp_f64_e32 v[155:156], v[140:141]
	v_fma_f64 v[157:158], -v[140:141], v[155:156], 1.0
	v_fma_f64 v[155:156], v[155:156], v[157:158], v[155:156]
	v_fma_f64 v[157:158], -v[140:141], v[155:156], 1.0
	v_fma_f64 v[155:156], v[155:156], v[157:158], v[155:156]
	v_div_scale_f64 v[157:158], vcc_lo, 1.0, v[138:139], 1.0
	v_mul_f64 v[159:160], v[157:158], v[155:156]
	v_fma_f64 v[140:141], -v[140:141], v[159:160], v[157:158]
	v_div_fmas_f64 v[140:141], v[140:141], v[155:156], v[159:160]
	v_div_fixup_f64 v[140:141], v[140:141], v[138:139], 1.0
	v_mul_f64 v[138:139], v[153:154], v[140:141]
	v_xor_b32_e32 v141, 0x80000000, v141
.LBB66_196:
	s_andn2_saveexec_b32 s1, s1
	s_cbranch_execz .LBB66_198
; %bb.197:
	v_div_scale_f64 v[153:154], null, v[138:139], v[138:139], v[140:141]
	v_div_scale_f64 v[159:160], vcc_lo, v[140:141], v[138:139], v[140:141]
	v_rcp_f64_e32 v[155:156], v[153:154]
	v_fma_f64 v[157:158], -v[153:154], v[155:156], 1.0
	v_fma_f64 v[155:156], v[155:156], v[157:158], v[155:156]
	v_fma_f64 v[157:158], -v[153:154], v[155:156], 1.0
	v_fma_f64 v[155:156], v[155:156], v[157:158], v[155:156]
	v_mul_f64 v[157:158], v[159:160], v[155:156]
	v_fma_f64 v[153:154], -v[153:154], v[157:158], v[159:160]
	v_div_fmas_f64 v[153:154], v[153:154], v[155:156], v[157:158]
	v_div_fixup_f64 v[153:154], v[153:154], v[138:139], v[140:141]
	v_fma_f64 v[138:139], v[140:141], v[153:154], v[138:139]
	v_div_scale_f64 v[140:141], null, v[138:139], v[138:139], 1.0
	v_rcp_f64_e32 v[155:156], v[140:141]
	v_fma_f64 v[157:158], -v[140:141], v[155:156], 1.0
	v_fma_f64 v[155:156], v[155:156], v[157:158], v[155:156]
	v_fma_f64 v[157:158], -v[140:141], v[155:156], 1.0
	v_fma_f64 v[155:156], v[155:156], v[157:158], v[155:156]
	v_div_scale_f64 v[157:158], vcc_lo, 1.0, v[138:139], 1.0
	v_mul_f64 v[159:160], v[157:158], v[155:156]
	v_fma_f64 v[140:141], -v[140:141], v[159:160], v[157:158]
	v_div_fmas_f64 v[140:141], v[140:141], v[155:156], v[159:160]
	v_div_fixup_f64 v[138:139], v[140:141], v[138:139], 1.0
	v_mul_f64 v[140:141], v[153:154], -v[138:139]
.LBB66_198:
	s_or_b32 exec_lo, exec_lo, s1
.LBB66_199:
	s_or_b32 exec_lo, exec_lo, s0
	s_mov_b32 s0, exec_lo
	v_cmpx_ne_u32_e64 v152, v146
	s_xor_b32 s0, exec_lo, s0
	s_cbranch_execz .LBB66_205
; %bb.200:
	s_mov_b32 s1, exec_lo
	v_cmpx_eq_u32_e32 9, v152
	s_cbranch_execz .LBB66_204
; %bb.201:
	v_cmp_ne_u32_e32 vcc_lo, 9, v146
	s_xor_b32 s2, s16, -1
	s_and_b32 s3, s2, vcc_lo
	s_and_saveexec_b32 s2, s3
	s_cbranch_execz .LBB66_203
; %bb.202:
	v_ashrrev_i32_e32 v147, 31, v146
	v_lshlrev_b64 v[152:153], 2, v[146:147]
	v_add_co_u32 v152, vcc_lo, v144, v152
	v_add_co_ci_u32_e64 v153, null, v145, v153, vcc_lo
	s_clause 0x1
	global_load_dword v0, v[152:153], off
	global_load_dword v147, v[144:145], off offset:36
	s_waitcnt vmcnt(1)
	global_store_dword v[144:145], v0, off offset:36
	s_waitcnt vmcnt(0)
	global_store_dword v[152:153], v147, off
.LBB66_203:
	s_or_b32 exec_lo, exec_lo, s2
	v_mov_b32_e32 v152, v146
	v_mov_b32_e32 v0, v146
.LBB66_204:
	s_or_b32 exec_lo, exec_lo, s1
.LBB66_205:
	s_andn2_saveexec_b32 s0, s0
	s_cbranch_execz .LBB66_207
; %bb.206:
	v_mov_b32_e32 v152, 9
	ds_write2_b64 v1, v[94:95], v[96:97] offset0:20 offset1:21
	ds_write2_b64 v1, v[90:91], v[92:93] offset0:22 offset1:23
	ds_write2_b64 v1, v[86:87], v[88:89] offset0:24 offset1:25
	ds_write2_b64 v1, v[82:83], v[84:85] offset0:26 offset1:27
	ds_write2_b64 v1, v[78:79], v[80:81] offset0:28 offset1:29
	ds_write2_b64 v1, v[74:75], v[76:77] offset0:30 offset1:31
	ds_write2_b64 v1, v[70:71], v[72:73] offset0:32 offset1:33
	ds_write2_b64 v1, v[66:67], v[68:69] offset0:34 offset1:35
	ds_write2_b64 v1, v[62:63], v[64:65] offset0:36 offset1:37
	ds_write2_b64 v1, v[58:59], v[60:61] offset0:38 offset1:39
	ds_write2_b64 v1, v[54:55], v[56:57] offset0:40 offset1:41
	ds_write2_b64 v1, v[50:51], v[52:53] offset0:42 offset1:43
	ds_write2_b64 v1, v[46:47], v[48:49] offset0:44 offset1:45
	ds_write2_b64 v1, v[42:43], v[44:45] offset0:46 offset1:47
	ds_write2_b64 v1, v[38:39], v[40:41] offset0:48 offset1:49
	ds_write2_b64 v1, v[34:35], v[36:37] offset0:50 offset1:51
	ds_write2_b64 v1, v[30:31], v[32:33] offset0:52 offset1:53
	ds_write2_b64 v1, v[26:27], v[28:29] offset0:54 offset1:55
	ds_write2_b64 v1, v[22:23], v[24:25] offset0:56 offset1:57
	ds_write2_b64 v1, v[18:19], v[20:21] offset0:58 offset1:59
	ds_write2_b64 v1, v[14:15], v[16:17] offset0:60 offset1:61
	ds_write2_b64 v1, v[10:11], v[12:13] offset0:62 offset1:63
	ds_write2_b64 v1, v[6:7], v[8:9] offset0:64 offset1:65
	ds_write2_b64 v1, v[2:3], v[4:5] offset0:66 offset1:67
.LBB66_207:
	s_or_b32 exec_lo, exec_lo, s0
	s_mov_b32 s0, exec_lo
	s_waitcnt lgkmcnt(0)
	s_waitcnt_vscnt null, 0x0
	s_barrier
	buffer_gl0_inv
	v_cmpx_lt_i32_e32 9, v152
	s_cbranch_execz .LBB66_209
; %bb.208:
	v_mul_f64 v[146:147], v[140:141], v[100:101]
	v_mul_f64 v[100:101], v[138:139], v[100:101]
	v_fma_f64 v[146:147], v[138:139], v[98:99], -v[146:147]
	v_fma_f64 v[100:101], v[140:141], v[98:99], v[100:101]
	ds_read2_b64 v[138:141], v1 offset0:20 offset1:21
	s_waitcnt lgkmcnt(0)
	v_mul_f64 v[98:99], v[140:141], v[100:101]
	v_fma_f64 v[98:99], v[138:139], v[146:147], -v[98:99]
	v_mul_f64 v[138:139], v[138:139], v[100:101]
	v_add_f64 v[94:95], v[94:95], -v[98:99]
	v_fma_f64 v[138:139], v[140:141], v[146:147], v[138:139]
	v_add_f64 v[96:97], v[96:97], -v[138:139]
	ds_read2_b64 v[138:141], v1 offset0:22 offset1:23
	s_waitcnt lgkmcnt(0)
	v_mul_f64 v[98:99], v[140:141], v[100:101]
	v_fma_f64 v[98:99], v[138:139], v[146:147], -v[98:99]
	v_mul_f64 v[138:139], v[138:139], v[100:101]
	v_add_f64 v[90:91], v[90:91], -v[98:99]
	v_fma_f64 v[138:139], v[140:141], v[146:147], v[138:139]
	v_add_f64 v[92:93], v[92:93], -v[138:139]
	;; [unrolled: 8-line block ×23, first 2 shown]
	ds_read2_b64 v[138:141], v1 offset0:66 offset1:67
	s_waitcnt lgkmcnt(0)
	v_mul_f64 v[98:99], v[140:141], v[100:101]
	v_fma_f64 v[98:99], v[138:139], v[146:147], -v[98:99]
	v_mul_f64 v[138:139], v[138:139], v[100:101]
	v_add_f64 v[2:3], v[2:3], -v[98:99]
	v_fma_f64 v[138:139], v[140:141], v[146:147], v[138:139]
	v_mov_b32_e32 v98, v146
	v_mov_b32_e32 v99, v147
	v_add_f64 v[4:5], v[4:5], -v[138:139]
.LBB66_209:
	s_or_b32 exec_lo, exec_lo, s0
	v_lshl_add_u32 v138, v152, 4, v1
	s_barrier
	buffer_gl0_inv
	v_mov_b32_e32 v146, 10
	ds_write2_b64 v138, v[94:95], v[96:97] offset1:1
	s_waitcnt lgkmcnt(0)
	s_barrier
	buffer_gl0_inv
	ds_read2_b64 v[138:141], v1 offset0:20 offset1:21
	s_cmp_lt_i32 s18, 12
	s_cbranch_scc1 .LBB66_212
; %bb.210:
	v_add3_u32 v147, v148, 0, 0xb0
	v_mov_b32_e32 v146, 10
	s_mov_b32 s1, 11
	s_inst_prefetch 0x1
	.p2align	6
.LBB66_211:                             ; =>This Inner Loop Header: Depth=1
	s_waitcnt lgkmcnt(0)
	v_cmp_gt_f64_e32 vcc_lo, 0, v[140:141]
	v_cmp_gt_f64_e64 s0, 0, v[138:139]
	ds_read2_b64 v[153:156], v147 offset1:1
	v_xor_b32_e32 v158, 0x80000000, v139
	v_xor_b32_e32 v160, 0x80000000, v141
	v_mov_b32_e32 v157, v138
	v_mov_b32_e32 v159, v140
	v_add_nc_u32_e32 v147, 16, v147
	s_waitcnt lgkmcnt(0)
	v_xor_b32_e32 v162, 0x80000000, v156
	v_cndmask_b32_e64 v158, v139, v158, s0
	v_cndmask_b32_e32 v160, v141, v160, vcc_lo
	v_cmp_gt_f64_e32 vcc_lo, 0, v[155:156]
	v_cmp_gt_f64_e64 s0, 0, v[153:154]
	v_mov_b32_e32 v161, v155
	v_add_f64 v[157:158], v[157:158], v[159:160]
	v_xor_b32_e32 v160, 0x80000000, v154
	v_mov_b32_e32 v159, v153
	v_cndmask_b32_e32 v162, v156, v162, vcc_lo
	v_cndmask_b32_e64 v160, v154, v160, s0
	v_add_f64 v[159:160], v[159:160], v[161:162]
	v_cmp_lt_f64_e32 vcc_lo, v[157:158], v[159:160]
	v_cndmask_b32_e32 v139, v139, v154, vcc_lo
	v_cndmask_b32_e32 v138, v138, v153, vcc_lo
	;; [unrolled: 1-line block ×4, first 2 shown]
	v_cndmask_b32_e64 v146, v146, s1, vcc_lo
	s_add_i32 s1, s1, 1
	s_cmp_lg_u32 s18, s1
	s_cbranch_scc1 .LBB66_211
.LBB66_212:
	s_inst_prefetch 0x2
	s_waitcnt lgkmcnt(0)
	v_cmp_eq_f64_e32 vcc_lo, 0, v[138:139]
	v_cmp_eq_f64_e64 s0, 0, v[140:141]
	s_and_b32 s0, vcc_lo, s0
	s_and_saveexec_b32 s1, s0
	s_xor_b32 s0, exec_lo, s1
; %bb.213:
	v_cmp_ne_u32_e32 vcc_lo, 0, v151
	v_cndmask_b32_e32 v151, 11, v151, vcc_lo
; %bb.214:
	s_andn2_saveexec_b32 s0, s0
	s_cbranch_execz .LBB66_220
; %bb.215:
	v_cmp_ngt_f64_e64 s1, |v[138:139]|, |v[140:141]|
	s_and_saveexec_b32 s2, s1
	s_xor_b32 s1, exec_lo, s2
	s_cbranch_execz .LBB66_217
; %bb.216:
	v_div_scale_f64 v[153:154], null, v[140:141], v[140:141], v[138:139]
	v_div_scale_f64 v[159:160], vcc_lo, v[138:139], v[140:141], v[138:139]
	v_rcp_f64_e32 v[155:156], v[153:154]
	v_fma_f64 v[157:158], -v[153:154], v[155:156], 1.0
	v_fma_f64 v[155:156], v[155:156], v[157:158], v[155:156]
	v_fma_f64 v[157:158], -v[153:154], v[155:156], 1.0
	v_fma_f64 v[155:156], v[155:156], v[157:158], v[155:156]
	v_mul_f64 v[157:158], v[159:160], v[155:156]
	v_fma_f64 v[153:154], -v[153:154], v[157:158], v[159:160]
	v_div_fmas_f64 v[153:154], v[153:154], v[155:156], v[157:158]
	v_div_fixup_f64 v[153:154], v[153:154], v[140:141], v[138:139]
	v_fma_f64 v[138:139], v[138:139], v[153:154], v[140:141]
	v_div_scale_f64 v[140:141], null, v[138:139], v[138:139], 1.0
	v_rcp_f64_e32 v[155:156], v[140:141]
	v_fma_f64 v[157:158], -v[140:141], v[155:156], 1.0
	v_fma_f64 v[155:156], v[155:156], v[157:158], v[155:156]
	v_fma_f64 v[157:158], -v[140:141], v[155:156], 1.0
	v_fma_f64 v[155:156], v[155:156], v[157:158], v[155:156]
	v_div_scale_f64 v[157:158], vcc_lo, 1.0, v[138:139], 1.0
	v_mul_f64 v[159:160], v[157:158], v[155:156]
	v_fma_f64 v[140:141], -v[140:141], v[159:160], v[157:158]
	v_div_fmas_f64 v[140:141], v[140:141], v[155:156], v[159:160]
	v_div_fixup_f64 v[140:141], v[140:141], v[138:139], 1.0
	v_mul_f64 v[138:139], v[153:154], v[140:141]
	v_xor_b32_e32 v141, 0x80000000, v141
.LBB66_217:
	s_andn2_saveexec_b32 s1, s1
	s_cbranch_execz .LBB66_219
; %bb.218:
	v_div_scale_f64 v[153:154], null, v[138:139], v[138:139], v[140:141]
	v_div_scale_f64 v[159:160], vcc_lo, v[140:141], v[138:139], v[140:141]
	v_rcp_f64_e32 v[155:156], v[153:154]
	v_fma_f64 v[157:158], -v[153:154], v[155:156], 1.0
	v_fma_f64 v[155:156], v[155:156], v[157:158], v[155:156]
	v_fma_f64 v[157:158], -v[153:154], v[155:156], 1.0
	v_fma_f64 v[155:156], v[155:156], v[157:158], v[155:156]
	v_mul_f64 v[157:158], v[159:160], v[155:156]
	v_fma_f64 v[153:154], -v[153:154], v[157:158], v[159:160]
	v_div_fmas_f64 v[153:154], v[153:154], v[155:156], v[157:158]
	v_div_fixup_f64 v[153:154], v[153:154], v[138:139], v[140:141]
	v_fma_f64 v[138:139], v[140:141], v[153:154], v[138:139]
	v_div_scale_f64 v[140:141], null, v[138:139], v[138:139], 1.0
	v_rcp_f64_e32 v[155:156], v[140:141]
	v_fma_f64 v[157:158], -v[140:141], v[155:156], 1.0
	v_fma_f64 v[155:156], v[155:156], v[157:158], v[155:156]
	v_fma_f64 v[157:158], -v[140:141], v[155:156], 1.0
	v_fma_f64 v[155:156], v[155:156], v[157:158], v[155:156]
	v_div_scale_f64 v[157:158], vcc_lo, 1.0, v[138:139], 1.0
	v_mul_f64 v[159:160], v[157:158], v[155:156]
	v_fma_f64 v[140:141], -v[140:141], v[159:160], v[157:158]
	v_div_fmas_f64 v[140:141], v[140:141], v[155:156], v[159:160]
	v_div_fixup_f64 v[138:139], v[140:141], v[138:139], 1.0
	v_mul_f64 v[140:141], v[153:154], -v[138:139]
.LBB66_219:
	s_or_b32 exec_lo, exec_lo, s1
.LBB66_220:
	s_or_b32 exec_lo, exec_lo, s0
	s_mov_b32 s0, exec_lo
	v_cmpx_ne_u32_e64 v152, v146
	s_xor_b32 s0, exec_lo, s0
	s_cbranch_execz .LBB66_226
; %bb.221:
	s_mov_b32 s1, exec_lo
	v_cmpx_eq_u32_e32 10, v152
	s_cbranch_execz .LBB66_225
; %bb.222:
	v_cmp_ne_u32_e32 vcc_lo, 10, v146
	s_xor_b32 s2, s16, -1
	s_and_b32 s3, s2, vcc_lo
	s_and_saveexec_b32 s2, s3
	s_cbranch_execz .LBB66_224
; %bb.223:
	v_ashrrev_i32_e32 v147, 31, v146
	v_lshlrev_b64 v[152:153], 2, v[146:147]
	v_add_co_u32 v152, vcc_lo, v144, v152
	v_add_co_ci_u32_e64 v153, null, v145, v153, vcc_lo
	s_clause 0x1
	global_load_dword v0, v[152:153], off
	global_load_dword v147, v[144:145], off offset:40
	s_waitcnt vmcnt(1)
	global_store_dword v[144:145], v0, off offset:40
	s_waitcnt vmcnt(0)
	global_store_dword v[152:153], v147, off
.LBB66_224:
	s_or_b32 exec_lo, exec_lo, s2
	v_mov_b32_e32 v152, v146
	v_mov_b32_e32 v0, v146
.LBB66_225:
	s_or_b32 exec_lo, exec_lo, s1
.LBB66_226:
	s_andn2_saveexec_b32 s0, s0
	s_cbranch_execz .LBB66_228
; %bb.227:
	v_mov_b32_e32 v152, 10
	ds_write2_b64 v1, v[90:91], v[92:93] offset0:22 offset1:23
	ds_write2_b64 v1, v[86:87], v[88:89] offset0:24 offset1:25
	;; [unrolled: 1-line block ×23, first 2 shown]
.LBB66_228:
	s_or_b32 exec_lo, exec_lo, s0
	s_mov_b32 s0, exec_lo
	s_waitcnt lgkmcnt(0)
	s_waitcnt_vscnt null, 0x0
	s_barrier
	buffer_gl0_inv
	v_cmpx_lt_i32_e32 10, v152
	s_cbranch_execz .LBB66_230
; %bb.229:
	v_mul_f64 v[146:147], v[140:141], v[96:97]
	v_mul_f64 v[96:97], v[138:139], v[96:97]
	v_fma_f64 v[146:147], v[138:139], v[94:95], -v[146:147]
	v_fma_f64 v[96:97], v[140:141], v[94:95], v[96:97]
	ds_read2_b64 v[138:141], v1 offset0:22 offset1:23
	s_waitcnt lgkmcnt(0)
	v_mul_f64 v[94:95], v[140:141], v[96:97]
	v_fma_f64 v[94:95], v[138:139], v[146:147], -v[94:95]
	v_mul_f64 v[138:139], v[138:139], v[96:97]
	v_add_f64 v[90:91], v[90:91], -v[94:95]
	v_fma_f64 v[138:139], v[140:141], v[146:147], v[138:139]
	v_add_f64 v[92:93], v[92:93], -v[138:139]
	ds_read2_b64 v[138:141], v1 offset0:24 offset1:25
	s_waitcnt lgkmcnt(0)
	v_mul_f64 v[94:95], v[140:141], v[96:97]
	v_fma_f64 v[94:95], v[138:139], v[146:147], -v[94:95]
	v_mul_f64 v[138:139], v[138:139], v[96:97]
	v_add_f64 v[86:87], v[86:87], -v[94:95]
	v_fma_f64 v[138:139], v[140:141], v[146:147], v[138:139]
	v_add_f64 v[88:89], v[88:89], -v[138:139]
	ds_read2_b64 v[138:141], v1 offset0:26 offset1:27
	s_waitcnt lgkmcnt(0)
	v_mul_f64 v[94:95], v[140:141], v[96:97]
	v_fma_f64 v[94:95], v[138:139], v[146:147], -v[94:95]
	v_mul_f64 v[138:139], v[138:139], v[96:97]
	v_add_f64 v[82:83], v[82:83], -v[94:95]
	v_fma_f64 v[138:139], v[140:141], v[146:147], v[138:139]
	v_add_f64 v[84:85], v[84:85], -v[138:139]
	ds_read2_b64 v[138:141], v1 offset0:28 offset1:29
	s_waitcnt lgkmcnt(0)
	v_mul_f64 v[94:95], v[140:141], v[96:97]
	v_fma_f64 v[94:95], v[138:139], v[146:147], -v[94:95]
	v_mul_f64 v[138:139], v[138:139], v[96:97]
	v_add_f64 v[78:79], v[78:79], -v[94:95]
	v_fma_f64 v[138:139], v[140:141], v[146:147], v[138:139]
	v_add_f64 v[80:81], v[80:81], -v[138:139]
	ds_read2_b64 v[138:141], v1 offset0:30 offset1:31
	s_waitcnt lgkmcnt(0)
	v_mul_f64 v[94:95], v[140:141], v[96:97]
	v_fma_f64 v[94:95], v[138:139], v[146:147], -v[94:95]
	v_mul_f64 v[138:139], v[138:139], v[96:97]
	v_add_f64 v[74:75], v[74:75], -v[94:95]
	v_fma_f64 v[138:139], v[140:141], v[146:147], v[138:139]
	v_add_f64 v[76:77], v[76:77], -v[138:139]
	ds_read2_b64 v[138:141], v1 offset0:32 offset1:33
	s_waitcnt lgkmcnt(0)
	v_mul_f64 v[94:95], v[140:141], v[96:97]
	v_fma_f64 v[94:95], v[138:139], v[146:147], -v[94:95]
	v_mul_f64 v[138:139], v[138:139], v[96:97]
	v_add_f64 v[70:71], v[70:71], -v[94:95]
	v_fma_f64 v[138:139], v[140:141], v[146:147], v[138:139]
	v_add_f64 v[72:73], v[72:73], -v[138:139]
	ds_read2_b64 v[138:141], v1 offset0:34 offset1:35
	s_waitcnt lgkmcnt(0)
	v_mul_f64 v[94:95], v[140:141], v[96:97]
	v_fma_f64 v[94:95], v[138:139], v[146:147], -v[94:95]
	v_mul_f64 v[138:139], v[138:139], v[96:97]
	v_add_f64 v[66:67], v[66:67], -v[94:95]
	v_fma_f64 v[138:139], v[140:141], v[146:147], v[138:139]
	v_add_f64 v[68:69], v[68:69], -v[138:139]
	ds_read2_b64 v[138:141], v1 offset0:36 offset1:37
	s_waitcnt lgkmcnt(0)
	v_mul_f64 v[94:95], v[140:141], v[96:97]
	v_fma_f64 v[94:95], v[138:139], v[146:147], -v[94:95]
	v_mul_f64 v[138:139], v[138:139], v[96:97]
	v_add_f64 v[62:63], v[62:63], -v[94:95]
	v_fma_f64 v[138:139], v[140:141], v[146:147], v[138:139]
	v_add_f64 v[64:65], v[64:65], -v[138:139]
	ds_read2_b64 v[138:141], v1 offset0:38 offset1:39
	s_waitcnt lgkmcnt(0)
	v_mul_f64 v[94:95], v[140:141], v[96:97]
	v_fma_f64 v[94:95], v[138:139], v[146:147], -v[94:95]
	v_mul_f64 v[138:139], v[138:139], v[96:97]
	v_add_f64 v[58:59], v[58:59], -v[94:95]
	v_fma_f64 v[138:139], v[140:141], v[146:147], v[138:139]
	v_add_f64 v[60:61], v[60:61], -v[138:139]
	ds_read2_b64 v[138:141], v1 offset0:40 offset1:41
	s_waitcnt lgkmcnt(0)
	v_mul_f64 v[94:95], v[140:141], v[96:97]
	v_fma_f64 v[94:95], v[138:139], v[146:147], -v[94:95]
	v_mul_f64 v[138:139], v[138:139], v[96:97]
	v_add_f64 v[54:55], v[54:55], -v[94:95]
	v_fma_f64 v[138:139], v[140:141], v[146:147], v[138:139]
	v_add_f64 v[56:57], v[56:57], -v[138:139]
	ds_read2_b64 v[138:141], v1 offset0:42 offset1:43
	s_waitcnt lgkmcnt(0)
	v_mul_f64 v[94:95], v[140:141], v[96:97]
	v_fma_f64 v[94:95], v[138:139], v[146:147], -v[94:95]
	v_mul_f64 v[138:139], v[138:139], v[96:97]
	v_add_f64 v[50:51], v[50:51], -v[94:95]
	v_fma_f64 v[138:139], v[140:141], v[146:147], v[138:139]
	v_add_f64 v[52:53], v[52:53], -v[138:139]
	ds_read2_b64 v[138:141], v1 offset0:44 offset1:45
	s_waitcnt lgkmcnt(0)
	v_mul_f64 v[94:95], v[140:141], v[96:97]
	v_fma_f64 v[94:95], v[138:139], v[146:147], -v[94:95]
	v_mul_f64 v[138:139], v[138:139], v[96:97]
	v_add_f64 v[46:47], v[46:47], -v[94:95]
	v_fma_f64 v[138:139], v[140:141], v[146:147], v[138:139]
	v_add_f64 v[48:49], v[48:49], -v[138:139]
	ds_read2_b64 v[138:141], v1 offset0:46 offset1:47
	s_waitcnt lgkmcnt(0)
	v_mul_f64 v[94:95], v[140:141], v[96:97]
	v_fma_f64 v[94:95], v[138:139], v[146:147], -v[94:95]
	v_mul_f64 v[138:139], v[138:139], v[96:97]
	v_add_f64 v[42:43], v[42:43], -v[94:95]
	v_fma_f64 v[138:139], v[140:141], v[146:147], v[138:139]
	v_add_f64 v[44:45], v[44:45], -v[138:139]
	ds_read2_b64 v[138:141], v1 offset0:48 offset1:49
	s_waitcnt lgkmcnt(0)
	v_mul_f64 v[94:95], v[140:141], v[96:97]
	v_fma_f64 v[94:95], v[138:139], v[146:147], -v[94:95]
	v_mul_f64 v[138:139], v[138:139], v[96:97]
	v_add_f64 v[38:39], v[38:39], -v[94:95]
	v_fma_f64 v[138:139], v[140:141], v[146:147], v[138:139]
	v_add_f64 v[40:41], v[40:41], -v[138:139]
	ds_read2_b64 v[138:141], v1 offset0:50 offset1:51
	s_waitcnt lgkmcnt(0)
	v_mul_f64 v[94:95], v[140:141], v[96:97]
	v_fma_f64 v[94:95], v[138:139], v[146:147], -v[94:95]
	v_mul_f64 v[138:139], v[138:139], v[96:97]
	v_add_f64 v[34:35], v[34:35], -v[94:95]
	v_fma_f64 v[138:139], v[140:141], v[146:147], v[138:139]
	v_add_f64 v[36:37], v[36:37], -v[138:139]
	ds_read2_b64 v[138:141], v1 offset0:52 offset1:53
	s_waitcnt lgkmcnt(0)
	v_mul_f64 v[94:95], v[140:141], v[96:97]
	v_fma_f64 v[94:95], v[138:139], v[146:147], -v[94:95]
	v_mul_f64 v[138:139], v[138:139], v[96:97]
	v_add_f64 v[30:31], v[30:31], -v[94:95]
	v_fma_f64 v[138:139], v[140:141], v[146:147], v[138:139]
	v_add_f64 v[32:33], v[32:33], -v[138:139]
	ds_read2_b64 v[138:141], v1 offset0:54 offset1:55
	s_waitcnt lgkmcnt(0)
	v_mul_f64 v[94:95], v[140:141], v[96:97]
	v_fma_f64 v[94:95], v[138:139], v[146:147], -v[94:95]
	v_mul_f64 v[138:139], v[138:139], v[96:97]
	v_add_f64 v[26:27], v[26:27], -v[94:95]
	v_fma_f64 v[138:139], v[140:141], v[146:147], v[138:139]
	v_add_f64 v[28:29], v[28:29], -v[138:139]
	ds_read2_b64 v[138:141], v1 offset0:56 offset1:57
	s_waitcnt lgkmcnt(0)
	v_mul_f64 v[94:95], v[140:141], v[96:97]
	v_fma_f64 v[94:95], v[138:139], v[146:147], -v[94:95]
	v_mul_f64 v[138:139], v[138:139], v[96:97]
	v_add_f64 v[22:23], v[22:23], -v[94:95]
	v_fma_f64 v[138:139], v[140:141], v[146:147], v[138:139]
	v_add_f64 v[24:25], v[24:25], -v[138:139]
	ds_read2_b64 v[138:141], v1 offset0:58 offset1:59
	s_waitcnt lgkmcnt(0)
	v_mul_f64 v[94:95], v[140:141], v[96:97]
	v_fma_f64 v[94:95], v[138:139], v[146:147], -v[94:95]
	v_mul_f64 v[138:139], v[138:139], v[96:97]
	v_add_f64 v[18:19], v[18:19], -v[94:95]
	v_fma_f64 v[138:139], v[140:141], v[146:147], v[138:139]
	v_add_f64 v[20:21], v[20:21], -v[138:139]
	ds_read2_b64 v[138:141], v1 offset0:60 offset1:61
	s_waitcnt lgkmcnt(0)
	v_mul_f64 v[94:95], v[140:141], v[96:97]
	v_fma_f64 v[94:95], v[138:139], v[146:147], -v[94:95]
	v_mul_f64 v[138:139], v[138:139], v[96:97]
	v_add_f64 v[14:15], v[14:15], -v[94:95]
	v_fma_f64 v[138:139], v[140:141], v[146:147], v[138:139]
	v_add_f64 v[16:17], v[16:17], -v[138:139]
	ds_read2_b64 v[138:141], v1 offset0:62 offset1:63
	s_waitcnt lgkmcnt(0)
	v_mul_f64 v[94:95], v[140:141], v[96:97]
	v_fma_f64 v[94:95], v[138:139], v[146:147], -v[94:95]
	v_mul_f64 v[138:139], v[138:139], v[96:97]
	v_add_f64 v[10:11], v[10:11], -v[94:95]
	v_fma_f64 v[138:139], v[140:141], v[146:147], v[138:139]
	v_add_f64 v[12:13], v[12:13], -v[138:139]
	ds_read2_b64 v[138:141], v1 offset0:64 offset1:65
	s_waitcnt lgkmcnt(0)
	v_mul_f64 v[94:95], v[140:141], v[96:97]
	v_fma_f64 v[94:95], v[138:139], v[146:147], -v[94:95]
	v_mul_f64 v[138:139], v[138:139], v[96:97]
	v_add_f64 v[6:7], v[6:7], -v[94:95]
	v_fma_f64 v[138:139], v[140:141], v[146:147], v[138:139]
	v_add_f64 v[8:9], v[8:9], -v[138:139]
	ds_read2_b64 v[138:141], v1 offset0:66 offset1:67
	s_waitcnt lgkmcnt(0)
	v_mul_f64 v[94:95], v[140:141], v[96:97]
	v_fma_f64 v[94:95], v[138:139], v[146:147], -v[94:95]
	v_mul_f64 v[138:139], v[138:139], v[96:97]
	v_add_f64 v[2:3], v[2:3], -v[94:95]
	v_fma_f64 v[138:139], v[140:141], v[146:147], v[138:139]
	v_mov_b32_e32 v94, v146
	v_mov_b32_e32 v95, v147
	v_add_f64 v[4:5], v[4:5], -v[138:139]
.LBB66_230:
	s_or_b32 exec_lo, exec_lo, s0
	v_lshl_add_u32 v138, v152, 4, v1
	s_barrier
	buffer_gl0_inv
	v_mov_b32_e32 v146, 11
	ds_write2_b64 v138, v[90:91], v[92:93] offset1:1
	s_waitcnt lgkmcnt(0)
	s_barrier
	buffer_gl0_inv
	ds_read2_b64 v[138:141], v1 offset0:22 offset1:23
	s_cmp_lt_i32 s18, 13
	s_cbranch_scc1 .LBB66_233
; %bb.231:
	v_add3_u32 v147, v148, 0, 0xc0
	v_mov_b32_e32 v146, 11
	s_mov_b32 s1, 12
	s_inst_prefetch 0x1
	.p2align	6
.LBB66_232:                             ; =>This Inner Loop Header: Depth=1
	s_waitcnt lgkmcnt(0)
	v_cmp_gt_f64_e32 vcc_lo, 0, v[140:141]
	v_cmp_gt_f64_e64 s0, 0, v[138:139]
	ds_read2_b64 v[153:156], v147 offset1:1
	v_xor_b32_e32 v158, 0x80000000, v139
	v_xor_b32_e32 v160, 0x80000000, v141
	v_mov_b32_e32 v157, v138
	v_mov_b32_e32 v159, v140
	v_add_nc_u32_e32 v147, 16, v147
	s_waitcnt lgkmcnt(0)
	v_xor_b32_e32 v162, 0x80000000, v156
	v_cndmask_b32_e64 v158, v139, v158, s0
	v_cndmask_b32_e32 v160, v141, v160, vcc_lo
	v_cmp_gt_f64_e32 vcc_lo, 0, v[155:156]
	v_cmp_gt_f64_e64 s0, 0, v[153:154]
	v_mov_b32_e32 v161, v155
	v_add_f64 v[157:158], v[157:158], v[159:160]
	v_xor_b32_e32 v160, 0x80000000, v154
	v_mov_b32_e32 v159, v153
	v_cndmask_b32_e32 v162, v156, v162, vcc_lo
	v_cndmask_b32_e64 v160, v154, v160, s0
	v_add_f64 v[159:160], v[159:160], v[161:162]
	v_cmp_lt_f64_e32 vcc_lo, v[157:158], v[159:160]
	v_cndmask_b32_e32 v139, v139, v154, vcc_lo
	v_cndmask_b32_e32 v138, v138, v153, vcc_lo
	;; [unrolled: 1-line block ×4, first 2 shown]
	v_cndmask_b32_e64 v146, v146, s1, vcc_lo
	s_add_i32 s1, s1, 1
	s_cmp_lg_u32 s18, s1
	s_cbranch_scc1 .LBB66_232
.LBB66_233:
	s_inst_prefetch 0x2
	s_waitcnt lgkmcnt(0)
	v_cmp_eq_f64_e32 vcc_lo, 0, v[138:139]
	v_cmp_eq_f64_e64 s0, 0, v[140:141]
	s_and_b32 s0, vcc_lo, s0
	s_and_saveexec_b32 s1, s0
	s_xor_b32 s0, exec_lo, s1
; %bb.234:
	v_cmp_ne_u32_e32 vcc_lo, 0, v151
	v_cndmask_b32_e32 v151, 12, v151, vcc_lo
; %bb.235:
	s_andn2_saveexec_b32 s0, s0
	s_cbranch_execz .LBB66_241
; %bb.236:
	v_cmp_ngt_f64_e64 s1, |v[138:139]|, |v[140:141]|
	s_and_saveexec_b32 s2, s1
	s_xor_b32 s1, exec_lo, s2
	s_cbranch_execz .LBB66_238
; %bb.237:
	v_div_scale_f64 v[153:154], null, v[140:141], v[140:141], v[138:139]
	v_div_scale_f64 v[159:160], vcc_lo, v[138:139], v[140:141], v[138:139]
	v_rcp_f64_e32 v[155:156], v[153:154]
	v_fma_f64 v[157:158], -v[153:154], v[155:156], 1.0
	v_fma_f64 v[155:156], v[155:156], v[157:158], v[155:156]
	v_fma_f64 v[157:158], -v[153:154], v[155:156], 1.0
	v_fma_f64 v[155:156], v[155:156], v[157:158], v[155:156]
	v_mul_f64 v[157:158], v[159:160], v[155:156]
	v_fma_f64 v[153:154], -v[153:154], v[157:158], v[159:160]
	v_div_fmas_f64 v[153:154], v[153:154], v[155:156], v[157:158]
	v_div_fixup_f64 v[153:154], v[153:154], v[140:141], v[138:139]
	v_fma_f64 v[138:139], v[138:139], v[153:154], v[140:141]
	v_div_scale_f64 v[140:141], null, v[138:139], v[138:139], 1.0
	v_rcp_f64_e32 v[155:156], v[140:141]
	v_fma_f64 v[157:158], -v[140:141], v[155:156], 1.0
	v_fma_f64 v[155:156], v[155:156], v[157:158], v[155:156]
	v_fma_f64 v[157:158], -v[140:141], v[155:156], 1.0
	v_fma_f64 v[155:156], v[155:156], v[157:158], v[155:156]
	v_div_scale_f64 v[157:158], vcc_lo, 1.0, v[138:139], 1.0
	v_mul_f64 v[159:160], v[157:158], v[155:156]
	v_fma_f64 v[140:141], -v[140:141], v[159:160], v[157:158]
	v_div_fmas_f64 v[140:141], v[140:141], v[155:156], v[159:160]
	v_div_fixup_f64 v[140:141], v[140:141], v[138:139], 1.0
	v_mul_f64 v[138:139], v[153:154], v[140:141]
	v_xor_b32_e32 v141, 0x80000000, v141
.LBB66_238:
	s_andn2_saveexec_b32 s1, s1
	s_cbranch_execz .LBB66_240
; %bb.239:
	v_div_scale_f64 v[153:154], null, v[138:139], v[138:139], v[140:141]
	v_div_scale_f64 v[159:160], vcc_lo, v[140:141], v[138:139], v[140:141]
	v_rcp_f64_e32 v[155:156], v[153:154]
	v_fma_f64 v[157:158], -v[153:154], v[155:156], 1.0
	v_fma_f64 v[155:156], v[155:156], v[157:158], v[155:156]
	v_fma_f64 v[157:158], -v[153:154], v[155:156], 1.0
	v_fma_f64 v[155:156], v[155:156], v[157:158], v[155:156]
	v_mul_f64 v[157:158], v[159:160], v[155:156]
	v_fma_f64 v[153:154], -v[153:154], v[157:158], v[159:160]
	v_div_fmas_f64 v[153:154], v[153:154], v[155:156], v[157:158]
	v_div_fixup_f64 v[153:154], v[153:154], v[138:139], v[140:141]
	v_fma_f64 v[138:139], v[140:141], v[153:154], v[138:139]
	v_div_scale_f64 v[140:141], null, v[138:139], v[138:139], 1.0
	v_rcp_f64_e32 v[155:156], v[140:141]
	v_fma_f64 v[157:158], -v[140:141], v[155:156], 1.0
	v_fma_f64 v[155:156], v[155:156], v[157:158], v[155:156]
	v_fma_f64 v[157:158], -v[140:141], v[155:156], 1.0
	v_fma_f64 v[155:156], v[155:156], v[157:158], v[155:156]
	v_div_scale_f64 v[157:158], vcc_lo, 1.0, v[138:139], 1.0
	v_mul_f64 v[159:160], v[157:158], v[155:156]
	v_fma_f64 v[140:141], -v[140:141], v[159:160], v[157:158]
	v_div_fmas_f64 v[140:141], v[140:141], v[155:156], v[159:160]
	v_div_fixup_f64 v[138:139], v[140:141], v[138:139], 1.0
	v_mul_f64 v[140:141], v[153:154], -v[138:139]
.LBB66_240:
	s_or_b32 exec_lo, exec_lo, s1
.LBB66_241:
	s_or_b32 exec_lo, exec_lo, s0
	s_mov_b32 s0, exec_lo
	v_cmpx_ne_u32_e64 v152, v146
	s_xor_b32 s0, exec_lo, s0
	s_cbranch_execz .LBB66_247
; %bb.242:
	s_mov_b32 s1, exec_lo
	v_cmpx_eq_u32_e32 11, v152
	s_cbranch_execz .LBB66_246
; %bb.243:
	v_cmp_ne_u32_e32 vcc_lo, 11, v146
	s_xor_b32 s2, s16, -1
	s_and_b32 s3, s2, vcc_lo
	s_and_saveexec_b32 s2, s3
	s_cbranch_execz .LBB66_245
; %bb.244:
	v_ashrrev_i32_e32 v147, 31, v146
	v_lshlrev_b64 v[152:153], 2, v[146:147]
	v_add_co_u32 v152, vcc_lo, v144, v152
	v_add_co_ci_u32_e64 v153, null, v145, v153, vcc_lo
	s_clause 0x1
	global_load_dword v0, v[152:153], off
	global_load_dword v147, v[144:145], off offset:44
	s_waitcnt vmcnt(1)
	global_store_dword v[144:145], v0, off offset:44
	s_waitcnt vmcnt(0)
	global_store_dword v[152:153], v147, off
.LBB66_245:
	s_or_b32 exec_lo, exec_lo, s2
	v_mov_b32_e32 v152, v146
	v_mov_b32_e32 v0, v146
.LBB66_246:
	s_or_b32 exec_lo, exec_lo, s1
.LBB66_247:
	s_andn2_saveexec_b32 s0, s0
	s_cbranch_execz .LBB66_249
; %bb.248:
	v_mov_b32_e32 v152, 11
	ds_write2_b64 v1, v[86:87], v[88:89] offset0:24 offset1:25
	ds_write2_b64 v1, v[82:83], v[84:85] offset0:26 offset1:27
	;; [unrolled: 1-line block ×22, first 2 shown]
.LBB66_249:
	s_or_b32 exec_lo, exec_lo, s0
	s_mov_b32 s0, exec_lo
	s_waitcnt lgkmcnt(0)
	s_waitcnt_vscnt null, 0x0
	s_barrier
	buffer_gl0_inv
	v_cmpx_lt_i32_e32 11, v152
	s_cbranch_execz .LBB66_251
; %bb.250:
	v_mul_f64 v[146:147], v[140:141], v[92:93]
	v_mul_f64 v[92:93], v[138:139], v[92:93]
	v_fma_f64 v[146:147], v[138:139], v[90:91], -v[146:147]
	v_fma_f64 v[92:93], v[140:141], v[90:91], v[92:93]
	ds_read2_b64 v[138:141], v1 offset0:24 offset1:25
	s_waitcnt lgkmcnt(0)
	v_mul_f64 v[90:91], v[140:141], v[92:93]
	v_fma_f64 v[90:91], v[138:139], v[146:147], -v[90:91]
	v_mul_f64 v[138:139], v[138:139], v[92:93]
	v_add_f64 v[86:87], v[86:87], -v[90:91]
	v_fma_f64 v[138:139], v[140:141], v[146:147], v[138:139]
	v_add_f64 v[88:89], v[88:89], -v[138:139]
	ds_read2_b64 v[138:141], v1 offset0:26 offset1:27
	s_waitcnt lgkmcnt(0)
	v_mul_f64 v[90:91], v[140:141], v[92:93]
	v_fma_f64 v[90:91], v[138:139], v[146:147], -v[90:91]
	v_mul_f64 v[138:139], v[138:139], v[92:93]
	v_add_f64 v[82:83], v[82:83], -v[90:91]
	v_fma_f64 v[138:139], v[140:141], v[146:147], v[138:139]
	v_add_f64 v[84:85], v[84:85], -v[138:139]
	;; [unrolled: 8-line block ×21, first 2 shown]
	ds_read2_b64 v[138:141], v1 offset0:66 offset1:67
	s_waitcnt lgkmcnt(0)
	v_mul_f64 v[90:91], v[140:141], v[92:93]
	v_fma_f64 v[90:91], v[138:139], v[146:147], -v[90:91]
	v_mul_f64 v[138:139], v[138:139], v[92:93]
	v_add_f64 v[2:3], v[2:3], -v[90:91]
	v_fma_f64 v[138:139], v[140:141], v[146:147], v[138:139]
	v_mov_b32_e32 v90, v146
	v_mov_b32_e32 v91, v147
	v_add_f64 v[4:5], v[4:5], -v[138:139]
.LBB66_251:
	s_or_b32 exec_lo, exec_lo, s0
	v_lshl_add_u32 v138, v152, 4, v1
	s_barrier
	buffer_gl0_inv
	v_mov_b32_e32 v146, 12
	ds_write2_b64 v138, v[86:87], v[88:89] offset1:1
	s_waitcnt lgkmcnt(0)
	s_barrier
	buffer_gl0_inv
	ds_read2_b64 v[138:141], v1 offset0:24 offset1:25
	s_cmp_lt_i32 s18, 14
	s_cbranch_scc1 .LBB66_254
; %bb.252:
	v_add3_u32 v147, v148, 0, 0xd0
	v_mov_b32_e32 v146, 12
	s_mov_b32 s1, 13
	s_inst_prefetch 0x1
	.p2align	6
.LBB66_253:                             ; =>This Inner Loop Header: Depth=1
	s_waitcnt lgkmcnt(0)
	v_cmp_gt_f64_e32 vcc_lo, 0, v[140:141]
	v_cmp_gt_f64_e64 s0, 0, v[138:139]
	ds_read2_b64 v[153:156], v147 offset1:1
	v_xor_b32_e32 v158, 0x80000000, v139
	v_xor_b32_e32 v160, 0x80000000, v141
	v_mov_b32_e32 v157, v138
	v_mov_b32_e32 v159, v140
	v_add_nc_u32_e32 v147, 16, v147
	s_waitcnt lgkmcnt(0)
	v_xor_b32_e32 v162, 0x80000000, v156
	v_cndmask_b32_e64 v158, v139, v158, s0
	v_cndmask_b32_e32 v160, v141, v160, vcc_lo
	v_cmp_gt_f64_e32 vcc_lo, 0, v[155:156]
	v_cmp_gt_f64_e64 s0, 0, v[153:154]
	v_mov_b32_e32 v161, v155
	v_add_f64 v[157:158], v[157:158], v[159:160]
	v_xor_b32_e32 v160, 0x80000000, v154
	v_mov_b32_e32 v159, v153
	v_cndmask_b32_e32 v162, v156, v162, vcc_lo
	v_cndmask_b32_e64 v160, v154, v160, s0
	v_add_f64 v[159:160], v[159:160], v[161:162]
	v_cmp_lt_f64_e32 vcc_lo, v[157:158], v[159:160]
	v_cndmask_b32_e32 v139, v139, v154, vcc_lo
	v_cndmask_b32_e32 v138, v138, v153, vcc_lo
	;; [unrolled: 1-line block ×4, first 2 shown]
	v_cndmask_b32_e64 v146, v146, s1, vcc_lo
	s_add_i32 s1, s1, 1
	s_cmp_lg_u32 s18, s1
	s_cbranch_scc1 .LBB66_253
.LBB66_254:
	s_inst_prefetch 0x2
	s_waitcnt lgkmcnt(0)
	v_cmp_eq_f64_e32 vcc_lo, 0, v[138:139]
	v_cmp_eq_f64_e64 s0, 0, v[140:141]
	s_and_b32 s0, vcc_lo, s0
	s_and_saveexec_b32 s1, s0
	s_xor_b32 s0, exec_lo, s1
; %bb.255:
	v_cmp_ne_u32_e32 vcc_lo, 0, v151
	v_cndmask_b32_e32 v151, 13, v151, vcc_lo
; %bb.256:
	s_andn2_saveexec_b32 s0, s0
	s_cbranch_execz .LBB66_262
; %bb.257:
	v_cmp_ngt_f64_e64 s1, |v[138:139]|, |v[140:141]|
	s_and_saveexec_b32 s2, s1
	s_xor_b32 s1, exec_lo, s2
	s_cbranch_execz .LBB66_259
; %bb.258:
	v_div_scale_f64 v[153:154], null, v[140:141], v[140:141], v[138:139]
	v_div_scale_f64 v[159:160], vcc_lo, v[138:139], v[140:141], v[138:139]
	v_rcp_f64_e32 v[155:156], v[153:154]
	v_fma_f64 v[157:158], -v[153:154], v[155:156], 1.0
	v_fma_f64 v[155:156], v[155:156], v[157:158], v[155:156]
	v_fma_f64 v[157:158], -v[153:154], v[155:156], 1.0
	v_fma_f64 v[155:156], v[155:156], v[157:158], v[155:156]
	v_mul_f64 v[157:158], v[159:160], v[155:156]
	v_fma_f64 v[153:154], -v[153:154], v[157:158], v[159:160]
	v_div_fmas_f64 v[153:154], v[153:154], v[155:156], v[157:158]
	v_div_fixup_f64 v[153:154], v[153:154], v[140:141], v[138:139]
	v_fma_f64 v[138:139], v[138:139], v[153:154], v[140:141]
	v_div_scale_f64 v[140:141], null, v[138:139], v[138:139], 1.0
	v_rcp_f64_e32 v[155:156], v[140:141]
	v_fma_f64 v[157:158], -v[140:141], v[155:156], 1.0
	v_fma_f64 v[155:156], v[155:156], v[157:158], v[155:156]
	v_fma_f64 v[157:158], -v[140:141], v[155:156], 1.0
	v_fma_f64 v[155:156], v[155:156], v[157:158], v[155:156]
	v_div_scale_f64 v[157:158], vcc_lo, 1.0, v[138:139], 1.0
	v_mul_f64 v[159:160], v[157:158], v[155:156]
	v_fma_f64 v[140:141], -v[140:141], v[159:160], v[157:158]
	v_div_fmas_f64 v[140:141], v[140:141], v[155:156], v[159:160]
	v_div_fixup_f64 v[140:141], v[140:141], v[138:139], 1.0
	v_mul_f64 v[138:139], v[153:154], v[140:141]
	v_xor_b32_e32 v141, 0x80000000, v141
.LBB66_259:
	s_andn2_saveexec_b32 s1, s1
	s_cbranch_execz .LBB66_261
; %bb.260:
	v_div_scale_f64 v[153:154], null, v[138:139], v[138:139], v[140:141]
	v_div_scale_f64 v[159:160], vcc_lo, v[140:141], v[138:139], v[140:141]
	v_rcp_f64_e32 v[155:156], v[153:154]
	v_fma_f64 v[157:158], -v[153:154], v[155:156], 1.0
	v_fma_f64 v[155:156], v[155:156], v[157:158], v[155:156]
	v_fma_f64 v[157:158], -v[153:154], v[155:156], 1.0
	v_fma_f64 v[155:156], v[155:156], v[157:158], v[155:156]
	v_mul_f64 v[157:158], v[159:160], v[155:156]
	v_fma_f64 v[153:154], -v[153:154], v[157:158], v[159:160]
	v_div_fmas_f64 v[153:154], v[153:154], v[155:156], v[157:158]
	v_div_fixup_f64 v[153:154], v[153:154], v[138:139], v[140:141]
	v_fma_f64 v[138:139], v[140:141], v[153:154], v[138:139]
	v_div_scale_f64 v[140:141], null, v[138:139], v[138:139], 1.0
	v_rcp_f64_e32 v[155:156], v[140:141]
	v_fma_f64 v[157:158], -v[140:141], v[155:156], 1.0
	v_fma_f64 v[155:156], v[155:156], v[157:158], v[155:156]
	v_fma_f64 v[157:158], -v[140:141], v[155:156], 1.0
	v_fma_f64 v[155:156], v[155:156], v[157:158], v[155:156]
	v_div_scale_f64 v[157:158], vcc_lo, 1.0, v[138:139], 1.0
	v_mul_f64 v[159:160], v[157:158], v[155:156]
	v_fma_f64 v[140:141], -v[140:141], v[159:160], v[157:158]
	v_div_fmas_f64 v[140:141], v[140:141], v[155:156], v[159:160]
	v_div_fixup_f64 v[138:139], v[140:141], v[138:139], 1.0
	v_mul_f64 v[140:141], v[153:154], -v[138:139]
.LBB66_261:
	s_or_b32 exec_lo, exec_lo, s1
.LBB66_262:
	s_or_b32 exec_lo, exec_lo, s0
	s_mov_b32 s0, exec_lo
	v_cmpx_ne_u32_e64 v152, v146
	s_xor_b32 s0, exec_lo, s0
	s_cbranch_execz .LBB66_268
; %bb.263:
	s_mov_b32 s1, exec_lo
	v_cmpx_eq_u32_e32 12, v152
	s_cbranch_execz .LBB66_267
; %bb.264:
	v_cmp_ne_u32_e32 vcc_lo, 12, v146
	s_xor_b32 s2, s16, -1
	s_and_b32 s3, s2, vcc_lo
	s_and_saveexec_b32 s2, s3
	s_cbranch_execz .LBB66_266
; %bb.265:
	v_ashrrev_i32_e32 v147, 31, v146
	v_lshlrev_b64 v[152:153], 2, v[146:147]
	v_add_co_u32 v152, vcc_lo, v144, v152
	v_add_co_ci_u32_e64 v153, null, v145, v153, vcc_lo
	s_clause 0x1
	global_load_dword v0, v[152:153], off
	global_load_dword v147, v[144:145], off offset:48
	s_waitcnt vmcnt(1)
	global_store_dword v[144:145], v0, off offset:48
	s_waitcnt vmcnt(0)
	global_store_dword v[152:153], v147, off
.LBB66_266:
	s_or_b32 exec_lo, exec_lo, s2
	v_mov_b32_e32 v152, v146
	v_mov_b32_e32 v0, v146
.LBB66_267:
	s_or_b32 exec_lo, exec_lo, s1
.LBB66_268:
	s_andn2_saveexec_b32 s0, s0
	s_cbranch_execz .LBB66_270
; %bb.269:
	v_mov_b32_e32 v152, 12
	ds_write2_b64 v1, v[82:83], v[84:85] offset0:26 offset1:27
	ds_write2_b64 v1, v[78:79], v[80:81] offset0:28 offset1:29
	;; [unrolled: 1-line block ×21, first 2 shown]
.LBB66_270:
	s_or_b32 exec_lo, exec_lo, s0
	s_mov_b32 s0, exec_lo
	s_waitcnt lgkmcnt(0)
	s_waitcnt_vscnt null, 0x0
	s_barrier
	buffer_gl0_inv
	v_cmpx_lt_i32_e32 12, v152
	s_cbranch_execz .LBB66_272
; %bb.271:
	v_mul_f64 v[146:147], v[140:141], v[88:89]
	v_mul_f64 v[88:89], v[138:139], v[88:89]
	v_fma_f64 v[146:147], v[138:139], v[86:87], -v[146:147]
	v_fma_f64 v[88:89], v[140:141], v[86:87], v[88:89]
	ds_read2_b64 v[138:141], v1 offset0:26 offset1:27
	s_waitcnt lgkmcnt(0)
	v_mul_f64 v[86:87], v[140:141], v[88:89]
	v_fma_f64 v[86:87], v[138:139], v[146:147], -v[86:87]
	v_mul_f64 v[138:139], v[138:139], v[88:89]
	v_add_f64 v[82:83], v[82:83], -v[86:87]
	v_fma_f64 v[138:139], v[140:141], v[146:147], v[138:139]
	v_add_f64 v[84:85], v[84:85], -v[138:139]
	ds_read2_b64 v[138:141], v1 offset0:28 offset1:29
	s_waitcnt lgkmcnt(0)
	v_mul_f64 v[86:87], v[140:141], v[88:89]
	v_fma_f64 v[86:87], v[138:139], v[146:147], -v[86:87]
	v_mul_f64 v[138:139], v[138:139], v[88:89]
	v_add_f64 v[78:79], v[78:79], -v[86:87]
	v_fma_f64 v[138:139], v[140:141], v[146:147], v[138:139]
	v_add_f64 v[80:81], v[80:81], -v[138:139]
	;; [unrolled: 8-line block ×20, first 2 shown]
	ds_read2_b64 v[138:141], v1 offset0:66 offset1:67
	s_waitcnt lgkmcnt(0)
	v_mul_f64 v[86:87], v[140:141], v[88:89]
	v_fma_f64 v[86:87], v[138:139], v[146:147], -v[86:87]
	v_mul_f64 v[138:139], v[138:139], v[88:89]
	v_add_f64 v[2:3], v[2:3], -v[86:87]
	v_fma_f64 v[138:139], v[140:141], v[146:147], v[138:139]
	v_mov_b32_e32 v86, v146
	v_mov_b32_e32 v87, v147
	v_add_f64 v[4:5], v[4:5], -v[138:139]
.LBB66_272:
	s_or_b32 exec_lo, exec_lo, s0
	v_lshl_add_u32 v138, v152, 4, v1
	s_barrier
	buffer_gl0_inv
	v_mov_b32_e32 v146, 13
	ds_write2_b64 v138, v[82:83], v[84:85] offset1:1
	s_waitcnt lgkmcnt(0)
	s_barrier
	buffer_gl0_inv
	ds_read2_b64 v[138:141], v1 offset0:26 offset1:27
	s_cmp_lt_i32 s18, 15
	s_cbranch_scc1 .LBB66_275
; %bb.273:
	v_add3_u32 v147, v148, 0, 0xe0
	v_mov_b32_e32 v146, 13
	s_mov_b32 s1, 14
	s_inst_prefetch 0x1
	.p2align	6
.LBB66_274:                             ; =>This Inner Loop Header: Depth=1
	s_waitcnt lgkmcnt(0)
	v_cmp_gt_f64_e32 vcc_lo, 0, v[140:141]
	v_cmp_gt_f64_e64 s0, 0, v[138:139]
	ds_read2_b64 v[153:156], v147 offset1:1
	v_xor_b32_e32 v158, 0x80000000, v139
	v_xor_b32_e32 v160, 0x80000000, v141
	v_mov_b32_e32 v157, v138
	v_mov_b32_e32 v159, v140
	v_add_nc_u32_e32 v147, 16, v147
	s_waitcnt lgkmcnt(0)
	v_xor_b32_e32 v162, 0x80000000, v156
	v_cndmask_b32_e64 v158, v139, v158, s0
	v_cndmask_b32_e32 v160, v141, v160, vcc_lo
	v_cmp_gt_f64_e32 vcc_lo, 0, v[155:156]
	v_cmp_gt_f64_e64 s0, 0, v[153:154]
	v_mov_b32_e32 v161, v155
	v_add_f64 v[157:158], v[157:158], v[159:160]
	v_xor_b32_e32 v160, 0x80000000, v154
	v_mov_b32_e32 v159, v153
	v_cndmask_b32_e32 v162, v156, v162, vcc_lo
	v_cndmask_b32_e64 v160, v154, v160, s0
	v_add_f64 v[159:160], v[159:160], v[161:162]
	v_cmp_lt_f64_e32 vcc_lo, v[157:158], v[159:160]
	v_cndmask_b32_e32 v139, v139, v154, vcc_lo
	v_cndmask_b32_e32 v138, v138, v153, vcc_lo
	;; [unrolled: 1-line block ×4, first 2 shown]
	v_cndmask_b32_e64 v146, v146, s1, vcc_lo
	s_add_i32 s1, s1, 1
	s_cmp_lg_u32 s18, s1
	s_cbranch_scc1 .LBB66_274
.LBB66_275:
	s_inst_prefetch 0x2
	s_waitcnt lgkmcnt(0)
	v_cmp_eq_f64_e32 vcc_lo, 0, v[138:139]
	v_cmp_eq_f64_e64 s0, 0, v[140:141]
	s_and_b32 s0, vcc_lo, s0
	s_and_saveexec_b32 s1, s0
	s_xor_b32 s0, exec_lo, s1
; %bb.276:
	v_cmp_ne_u32_e32 vcc_lo, 0, v151
	v_cndmask_b32_e32 v151, 14, v151, vcc_lo
; %bb.277:
	s_andn2_saveexec_b32 s0, s0
	s_cbranch_execz .LBB66_283
; %bb.278:
	v_cmp_ngt_f64_e64 s1, |v[138:139]|, |v[140:141]|
	s_and_saveexec_b32 s2, s1
	s_xor_b32 s1, exec_lo, s2
	s_cbranch_execz .LBB66_280
; %bb.279:
	v_div_scale_f64 v[153:154], null, v[140:141], v[140:141], v[138:139]
	v_div_scale_f64 v[159:160], vcc_lo, v[138:139], v[140:141], v[138:139]
	v_rcp_f64_e32 v[155:156], v[153:154]
	v_fma_f64 v[157:158], -v[153:154], v[155:156], 1.0
	v_fma_f64 v[155:156], v[155:156], v[157:158], v[155:156]
	v_fma_f64 v[157:158], -v[153:154], v[155:156], 1.0
	v_fma_f64 v[155:156], v[155:156], v[157:158], v[155:156]
	v_mul_f64 v[157:158], v[159:160], v[155:156]
	v_fma_f64 v[153:154], -v[153:154], v[157:158], v[159:160]
	v_div_fmas_f64 v[153:154], v[153:154], v[155:156], v[157:158]
	v_div_fixup_f64 v[153:154], v[153:154], v[140:141], v[138:139]
	v_fma_f64 v[138:139], v[138:139], v[153:154], v[140:141]
	v_div_scale_f64 v[140:141], null, v[138:139], v[138:139], 1.0
	v_rcp_f64_e32 v[155:156], v[140:141]
	v_fma_f64 v[157:158], -v[140:141], v[155:156], 1.0
	v_fma_f64 v[155:156], v[155:156], v[157:158], v[155:156]
	v_fma_f64 v[157:158], -v[140:141], v[155:156], 1.0
	v_fma_f64 v[155:156], v[155:156], v[157:158], v[155:156]
	v_div_scale_f64 v[157:158], vcc_lo, 1.0, v[138:139], 1.0
	v_mul_f64 v[159:160], v[157:158], v[155:156]
	v_fma_f64 v[140:141], -v[140:141], v[159:160], v[157:158]
	v_div_fmas_f64 v[140:141], v[140:141], v[155:156], v[159:160]
	v_div_fixup_f64 v[140:141], v[140:141], v[138:139], 1.0
	v_mul_f64 v[138:139], v[153:154], v[140:141]
	v_xor_b32_e32 v141, 0x80000000, v141
.LBB66_280:
	s_andn2_saveexec_b32 s1, s1
	s_cbranch_execz .LBB66_282
; %bb.281:
	v_div_scale_f64 v[153:154], null, v[138:139], v[138:139], v[140:141]
	v_div_scale_f64 v[159:160], vcc_lo, v[140:141], v[138:139], v[140:141]
	v_rcp_f64_e32 v[155:156], v[153:154]
	v_fma_f64 v[157:158], -v[153:154], v[155:156], 1.0
	v_fma_f64 v[155:156], v[155:156], v[157:158], v[155:156]
	v_fma_f64 v[157:158], -v[153:154], v[155:156], 1.0
	v_fma_f64 v[155:156], v[155:156], v[157:158], v[155:156]
	v_mul_f64 v[157:158], v[159:160], v[155:156]
	v_fma_f64 v[153:154], -v[153:154], v[157:158], v[159:160]
	v_div_fmas_f64 v[153:154], v[153:154], v[155:156], v[157:158]
	v_div_fixup_f64 v[153:154], v[153:154], v[138:139], v[140:141]
	v_fma_f64 v[138:139], v[140:141], v[153:154], v[138:139]
	v_div_scale_f64 v[140:141], null, v[138:139], v[138:139], 1.0
	v_rcp_f64_e32 v[155:156], v[140:141]
	v_fma_f64 v[157:158], -v[140:141], v[155:156], 1.0
	v_fma_f64 v[155:156], v[155:156], v[157:158], v[155:156]
	v_fma_f64 v[157:158], -v[140:141], v[155:156], 1.0
	v_fma_f64 v[155:156], v[155:156], v[157:158], v[155:156]
	v_div_scale_f64 v[157:158], vcc_lo, 1.0, v[138:139], 1.0
	v_mul_f64 v[159:160], v[157:158], v[155:156]
	v_fma_f64 v[140:141], -v[140:141], v[159:160], v[157:158]
	v_div_fmas_f64 v[140:141], v[140:141], v[155:156], v[159:160]
	v_div_fixup_f64 v[138:139], v[140:141], v[138:139], 1.0
	v_mul_f64 v[140:141], v[153:154], -v[138:139]
.LBB66_282:
	s_or_b32 exec_lo, exec_lo, s1
.LBB66_283:
	s_or_b32 exec_lo, exec_lo, s0
	s_mov_b32 s0, exec_lo
	v_cmpx_ne_u32_e64 v152, v146
	s_xor_b32 s0, exec_lo, s0
	s_cbranch_execz .LBB66_289
; %bb.284:
	s_mov_b32 s1, exec_lo
	v_cmpx_eq_u32_e32 13, v152
	s_cbranch_execz .LBB66_288
; %bb.285:
	v_cmp_ne_u32_e32 vcc_lo, 13, v146
	s_xor_b32 s2, s16, -1
	s_and_b32 s3, s2, vcc_lo
	s_and_saveexec_b32 s2, s3
	s_cbranch_execz .LBB66_287
; %bb.286:
	v_ashrrev_i32_e32 v147, 31, v146
	v_lshlrev_b64 v[152:153], 2, v[146:147]
	v_add_co_u32 v152, vcc_lo, v144, v152
	v_add_co_ci_u32_e64 v153, null, v145, v153, vcc_lo
	s_clause 0x1
	global_load_dword v0, v[152:153], off
	global_load_dword v147, v[144:145], off offset:52
	s_waitcnt vmcnt(1)
	global_store_dword v[144:145], v0, off offset:52
	s_waitcnt vmcnt(0)
	global_store_dword v[152:153], v147, off
.LBB66_287:
	s_or_b32 exec_lo, exec_lo, s2
	v_mov_b32_e32 v152, v146
	v_mov_b32_e32 v0, v146
.LBB66_288:
	s_or_b32 exec_lo, exec_lo, s1
.LBB66_289:
	s_andn2_saveexec_b32 s0, s0
	s_cbranch_execz .LBB66_291
; %bb.290:
	v_mov_b32_e32 v152, 13
	ds_write2_b64 v1, v[78:79], v[80:81] offset0:28 offset1:29
	ds_write2_b64 v1, v[74:75], v[76:77] offset0:30 offset1:31
	;; [unrolled: 1-line block ×20, first 2 shown]
.LBB66_291:
	s_or_b32 exec_lo, exec_lo, s0
	s_mov_b32 s0, exec_lo
	s_waitcnt lgkmcnt(0)
	s_waitcnt_vscnt null, 0x0
	s_barrier
	buffer_gl0_inv
	v_cmpx_lt_i32_e32 13, v152
	s_cbranch_execz .LBB66_293
; %bb.292:
	v_mul_f64 v[146:147], v[140:141], v[84:85]
	v_mul_f64 v[84:85], v[138:139], v[84:85]
	v_fma_f64 v[146:147], v[138:139], v[82:83], -v[146:147]
	v_fma_f64 v[84:85], v[140:141], v[82:83], v[84:85]
	ds_read2_b64 v[138:141], v1 offset0:28 offset1:29
	s_waitcnt lgkmcnt(0)
	v_mul_f64 v[82:83], v[140:141], v[84:85]
	v_fma_f64 v[82:83], v[138:139], v[146:147], -v[82:83]
	v_mul_f64 v[138:139], v[138:139], v[84:85]
	v_add_f64 v[78:79], v[78:79], -v[82:83]
	v_fma_f64 v[138:139], v[140:141], v[146:147], v[138:139]
	v_add_f64 v[80:81], v[80:81], -v[138:139]
	ds_read2_b64 v[138:141], v1 offset0:30 offset1:31
	s_waitcnt lgkmcnt(0)
	v_mul_f64 v[82:83], v[140:141], v[84:85]
	v_fma_f64 v[82:83], v[138:139], v[146:147], -v[82:83]
	v_mul_f64 v[138:139], v[138:139], v[84:85]
	v_add_f64 v[74:75], v[74:75], -v[82:83]
	v_fma_f64 v[138:139], v[140:141], v[146:147], v[138:139]
	v_add_f64 v[76:77], v[76:77], -v[138:139]
	ds_read2_b64 v[138:141], v1 offset0:32 offset1:33
	s_waitcnt lgkmcnt(0)
	v_mul_f64 v[82:83], v[140:141], v[84:85]
	v_fma_f64 v[82:83], v[138:139], v[146:147], -v[82:83]
	v_mul_f64 v[138:139], v[138:139], v[84:85]
	v_add_f64 v[70:71], v[70:71], -v[82:83]
	v_fma_f64 v[138:139], v[140:141], v[146:147], v[138:139]
	v_add_f64 v[72:73], v[72:73], -v[138:139]
	ds_read2_b64 v[138:141], v1 offset0:34 offset1:35
	s_waitcnt lgkmcnt(0)
	v_mul_f64 v[82:83], v[140:141], v[84:85]
	v_fma_f64 v[82:83], v[138:139], v[146:147], -v[82:83]
	v_mul_f64 v[138:139], v[138:139], v[84:85]
	v_add_f64 v[66:67], v[66:67], -v[82:83]
	v_fma_f64 v[138:139], v[140:141], v[146:147], v[138:139]
	v_add_f64 v[68:69], v[68:69], -v[138:139]
	ds_read2_b64 v[138:141], v1 offset0:36 offset1:37
	s_waitcnt lgkmcnt(0)
	v_mul_f64 v[82:83], v[140:141], v[84:85]
	v_fma_f64 v[82:83], v[138:139], v[146:147], -v[82:83]
	v_mul_f64 v[138:139], v[138:139], v[84:85]
	v_add_f64 v[62:63], v[62:63], -v[82:83]
	v_fma_f64 v[138:139], v[140:141], v[146:147], v[138:139]
	v_add_f64 v[64:65], v[64:65], -v[138:139]
	ds_read2_b64 v[138:141], v1 offset0:38 offset1:39
	s_waitcnt lgkmcnt(0)
	v_mul_f64 v[82:83], v[140:141], v[84:85]
	v_fma_f64 v[82:83], v[138:139], v[146:147], -v[82:83]
	v_mul_f64 v[138:139], v[138:139], v[84:85]
	v_add_f64 v[58:59], v[58:59], -v[82:83]
	v_fma_f64 v[138:139], v[140:141], v[146:147], v[138:139]
	v_add_f64 v[60:61], v[60:61], -v[138:139]
	ds_read2_b64 v[138:141], v1 offset0:40 offset1:41
	s_waitcnt lgkmcnt(0)
	v_mul_f64 v[82:83], v[140:141], v[84:85]
	v_fma_f64 v[82:83], v[138:139], v[146:147], -v[82:83]
	v_mul_f64 v[138:139], v[138:139], v[84:85]
	v_add_f64 v[54:55], v[54:55], -v[82:83]
	v_fma_f64 v[138:139], v[140:141], v[146:147], v[138:139]
	v_add_f64 v[56:57], v[56:57], -v[138:139]
	ds_read2_b64 v[138:141], v1 offset0:42 offset1:43
	s_waitcnt lgkmcnt(0)
	v_mul_f64 v[82:83], v[140:141], v[84:85]
	v_fma_f64 v[82:83], v[138:139], v[146:147], -v[82:83]
	v_mul_f64 v[138:139], v[138:139], v[84:85]
	v_add_f64 v[50:51], v[50:51], -v[82:83]
	v_fma_f64 v[138:139], v[140:141], v[146:147], v[138:139]
	v_add_f64 v[52:53], v[52:53], -v[138:139]
	ds_read2_b64 v[138:141], v1 offset0:44 offset1:45
	s_waitcnt lgkmcnt(0)
	v_mul_f64 v[82:83], v[140:141], v[84:85]
	v_fma_f64 v[82:83], v[138:139], v[146:147], -v[82:83]
	v_mul_f64 v[138:139], v[138:139], v[84:85]
	v_add_f64 v[46:47], v[46:47], -v[82:83]
	v_fma_f64 v[138:139], v[140:141], v[146:147], v[138:139]
	v_add_f64 v[48:49], v[48:49], -v[138:139]
	ds_read2_b64 v[138:141], v1 offset0:46 offset1:47
	s_waitcnt lgkmcnt(0)
	v_mul_f64 v[82:83], v[140:141], v[84:85]
	v_fma_f64 v[82:83], v[138:139], v[146:147], -v[82:83]
	v_mul_f64 v[138:139], v[138:139], v[84:85]
	v_add_f64 v[42:43], v[42:43], -v[82:83]
	v_fma_f64 v[138:139], v[140:141], v[146:147], v[138:139]
	v_add_f64 v[44:45], v[44:45], -v[138:139]
	ds_read2_b64 v[138:141], v1 offset0:48 offset1:49
	s_waitcnt lgkmcnt(0)
	v_mul_f64 v[82:83], v[140:141], v[84:85]
	v_fma_f64 v[82:83], v[138:139], v[146:147], -v[82:83]
	v_mul_f64 v[138:139], v[138:139], v[84:85]
	v_add_f64 v[38:39], v[38:39], -v[82:83]
	v_fma_f64 v[138:139], v[140:141], v[146:147], v[138:139]
	v_add_f64 v[40:41], v[40:41], -v[138:139]
	ds_read2_b64 v[138:141], v1 offset0:50 offset1:51
	s_waitcnt lgkmcnt(0)
	v_mul_f64 v[82:83], v[140:141], v[84:85]
	v_fma_f64 v[82:83], v[138:139], v[146:147], -v[82:83]
	v_mul_f64 v[138:139], v[138:139], v[84:85]
	v_add_f64 v[34:35], v[34:35], -v[82:83]
	v_fma_f64 v[138:139], v[140:141], v[146:147], v[138:139]
	v_add_f64 v[36:37], v[36:37], -v[138:139]
	ds_read2_b64 v[138:141], v1 offset0:52 offset1:53
	s_waitcnt lgkmcnt(0)
	v_mul_f64 v[82:83], v[140:141], v[84:85]
	v_fma_f64 v[82:83], v[138:139], v[146:147], -v[82:83]
	v_mul_f64 v[138:139], v[138:139], v[84:85]
	v_add_f64 v[30:31], v[30:31], -v[82:83]
	v_fma_f64 v[138:139], v[140:141], v[146:147], v[138:139]
	v_add_f64 v[32:33], v[32:33], -v[138:139]
	ds_read2_b64 v[138:141], v1 offset0:54 offset1:55
	s_waitcnt lgkmcnt(0)
	v_mul_f64 v[82:83], v[140:141], v[84:85]
	v_fma_f64 v[82:83], v[138:139], v[146:147], -v[82:83]
	v_mul_f64 v[138:139], v[138:139], v[84:85]
	v_add_f64 v[26:27], v[26:27], -v[82:83]
	v_fma_f64 v[138:139], v[140:141], v[146:147], v[138:139]
	v_add_f64 v[28:29], v[28:29], -v[138:139]
	ds_read2_b64 v[138:141], v1 offset0:56 offset1:57
	s_waitcnt lgkmcnt(0)
	v_mul_f64 v[82:83], v[140:141], v[84:85]
	v_fma_f64 v[82:83], v[138:139], v[146:147], -v[82:83]
	v_mul_f64 v[138:139], v[138:139], v[84:85]
	v_add_f64 v[22:23], v[22:23], -v[82:83]
	v_fma_f64 v[138:139], v[140:141], v[146:147], v[138:139]
	v_add_f64 v[24:25], v[24:25], -v[138:139]
	ds_read2_b64 v[138:141], v1 offset0:58 offset1:59
	s_waitcnt lgkmcnt(0)
	v_mul_f64 v[82:83], v[140:141], v[84:85]
	v_fma_f64 v[82:83], v[138:139], v[146:147], -v[82:83]
	v_mul_f64 v[138:139], v[138:139], v[84:85]
	v_add_f64 v[18:19], v[18:19], -v[82:83]
	v_fma_f64 v[138:139], v[140:141], v[146:147], v[138:139]
	v_add_f64 v[20:21], v[20:21], -v[138:139]
	ds_read2_b64 v[138:141], v1 offset0:60 offset1:61
	s_waitcnt lgkmcnt(0)
	v_mul_f64 v[82:83], v[140:141], v[84:85]
	v_fma_f64 v[82:83], v[138:139], v[146:147], -v[82:83]
	v_mul_f64 v[138:139], v[138:139], v[84:85]
	v_add_f64 v[14:15], v[14:15], -v[82:83]
	v_fma_f64 v[138:139], v[140:141], v[146:147], v[138:139]
	v_add_f64 v[16:17], v[16:17], -v[138:139]
	ds_read2_b64 v[138:141], v1 offset0:62 offset1:63
	s_waitcnt lgkmcnt(0)
	v_mul_f64 v[82:83], v[140:141], v[84:85]
	v_fma_f64 v[82:83], v[138:139], v[146:147], -v[82:83]
	v_mul_f64 v[138:139], v[138:139], v[84:85]
	v_add_f64 v[10:11], v[10:11], -v[82:83]
	v_fma_f64 v[138:139], v[140:141], v[146:147], v[138:139]
	v_add_f64 v[12:13], v[12:13], -v[138:139]
	ds_read2_b64 v[138:141], v1 offset0:64 offset1:65
	s_waitcnt lgkmcnt(0)
	v_mul_f64 v[82:83], v[140:141], v[84:85]
	v_fma_f64 v[82:83], v[138:139], v[146:147], -v[82:83]
	v_mul_f64 v[138:139], v[138:139], v[84:85]
	v_add_f64 v[6:7], v[6:7], -v[82:83]
	v_fma_f64 v[138:139], v[140:141], v[146:147], v[138:139]
	v_add_f64 v[8:9], v[8:9], -v[138:139]
	ds_read2_b64 v[138:141], v1 offset0:66 offset1:67
	s_waitcnt lgkmcnt(0)
	v_mul_f64 v[82:83], v[140:141], v[84:85]
	v_fma_f64 v[82:83], v[138:139], v[146:147], -v[82:83]
	v_mul_f64 v[138:139], v[138:139], v[84:85]
	v_add_f64 v[2:3], v[2:3], -v[82:83]
	v_fma_f64 v[138:139], v[140:141], v[146:147], v[138:139]
	v_mov_b32_e32 v82, v146
	v_mov_b32_e32 v83, v147
	v_add_f64 v[4:5], v[4:5], -v[138:139]
.LBB66_293:
	s_or_b32 exec_lo, exec_lo, s0
	v_lshl_add_u32 v138, v152, 4, v1
	s_barrier
	buffer_gl0_inv
	v_mov_b32_e32 v146, 14
	ds_write2_b64 v138, v[78:79], v[80:81] offset1:1
	s_waitcnt lgkmcnt(0)
	s_barrier
	buffer_gl0_inv
	ds_read2_b64 v[138:141], v1 offset0:28 offset1:29
	s_cmp_lt_i32 s18, 16
	s_cbranch_scc1 .LBB66_296
; %bb.294:
	v_add3_u32 v147, v148, 0, 0xf0
	v_mov_b32_e32 v146, 14
	s_mov_b32 s1, 15
	s_inst_prefetch 0x1
	.p2align	6
.LBB66_295:                             ; =>This Inner Loop Header: Depth=1
	s_waitcnt lgkmcnt(0)
	v_cmp_gt_f64_e32 vcc_lo, 0, v[140:141]
	v_cmp_gt_f64_e64 s0, 0, v[138:139]
	ds_read2_b64 v[153:156], v147 offset1:1
	v_xor_b32_e32 v158, 0x80000000, v139
	v_xor_b32_e32 v160, 0x80000000, v141
	v_mov_b32_e32 v157, v138
	v_mov_b32_e32 v159, v140
	v_add_nc_u32_e32 v147, 16, v147
	s_waitcnt lgkmcnt(0)
	v_xor_b32_e32 v162, 0x80000000, v156
	v_cndmask_b32_e64 v158, v139, v158, s0
	v_cndmask_b32_e32 v160, v141, v160, vcc_lo
	v_cmp_gt_f64_e32 vcc_lo, 0, v[155:156]
	v_cmp_gt_f64_e64 s0, 0, v[153:154]
	v_mov_b32_e32 v161, v155
	v_add_f64 v[157:158], v[157:158], v[159:160]
	v_xor_b32_e32 v160, 0x80000000, v154
	v_mov_b32_e32 v159, v153
	v_cndmask_b32_e32 v162, v156, v162, vcc_lo
	v_cndmask_b32_e64 v160, v154, v160, s0
	v_add_f64 v[159:160], v[159:160], v[161:162]
	v_cmp_lt_f64_e32 vcc_lo, v[157:158], v[159:160]
	v_cndmask_b32_e32 v139, v139, v154, vcc_lo
	v_cndmask_b32_e32 v138, v138, v153, vcc_lo
	;; [unrolled: 1-line block ×4, first 2 shown]
	v_cndmask_b32_e64 v146, v146, s1, vcc_lo
	s_add_i32 s1, s1, 1
	s_cmp_lg_u32 s18, s1
	s_cbranch_scc1 .LBB66_295
.LBB66_296:
	s_inst_prefetch 0x2
	s_waitcnt lgkmcnt(0)
	v_cmp_eq_f64_e32 vcc_lo, 0, v[138:139]
	v_cmp_eq_f64_e64 s0, 0, v[140:141]
	s_and_b32 s0, vcc_lo, s0
	s_and_saveexec_b32 s1, s0
	s_xor_b32 s0, exec_lo, s1
; %bb.297:
	v_cmp_ne_u32_e32 vcc_lo, 0, v151
	v_cndmask_b32_e32 v151, 15, v151, vcc_lo
; %bb.298:
	s_andn2_saveexec_b32 s0, s0
	s_cbranch_execz .LBB66_304
; %bb.299:
	v_cmp_ngt_f64_e64 s1, |v[138:139]|, |v[140:141]|
	s_and_saveexec_b32 s2, s1
	s_xor_b32 s1, exec_lo, s2
	s_cbranch_execz .LBB66_301
; %bb.300:
	v_div_scale_f64 v[153:154], null, v[140:141], v[140:141], v[138:139]
	v_div_scale_f64 v[159:160], vcc_lo, v[138:139], v[140:141], v[138:139]
	v_rcp_f64_e32 v[155:156], v[153:154]
	v_fma_f64 v[157:158], -v[153:154], v[155:156], 1.0
	v_fma_f64 v[155:156], v[155:156], v[157:158], v[155:156]
	v_fma_f64 v[157:158], -v[153:154], v[155:156], 1.0
	v_fma_f64 v[155:156], v[155:156], v[157:158], v[155:156]
	v_mul_f64 v[157:158], v[159:160], v[155:156]
	v_fma_f64 v[153:154], -v[153:154], v[157:158], v[159:160]
	v_div_fmas_f64 v[153:154], v[153:154], v[155:156], v[157:158]
	v_div_fixup_f64 v[153:154], v[153:154], v[140:141], v[138:139]
	v_fma_f64 v[138:139], v[138:139], v[153:154], v[140:141]
	v_div_scale_f64 v[140:141], null, v[138:139], v[138:139], 1.0
	v_rcp_f64_e32 v[155:156], v[140:141]
	v_fma_f64 v[157:158], -v[140:141], v[155:156], 1.0
	v_fma_f64 v[155:156], v[155:156], v[157:158], v[155:156]
	v_fma_f64 v[157:158], -v[140:141], v[155:156], 1.0
	v_fma_f64 v[155:156], v[155:156], v[157:158], v[155:156]
	v_div_scale_f64 v[157:158], vcc_lo, 1.0, v[138:139], 1.0
	v_mul_f64 v[159:160], v[157:158], v[155:156]
	v_fma_f64 v[140:141], -v[140:141], v[159:160], v[157:158]
	v_div_fmas_f64 v[140:141], v[140:141], v[155:156], v[159:160]
	v_div_fixup_f64 v[140:141], v[140:141], v[138:139], 1.0
	v_mul_f64 v[138:139], v[153:154], v[140:141]
	v_xor_b32_e32 v141, 0x80000000, v141
.LBB66_301:
	s_andn2_saveexec_b32 s1, s1
	s_cbranch_execz .LBB66_303
; %bb.302:
	v_div_scale_f64 v[153:154], null, v[138:139], v[138:139], v[140:141]
	v_div_scale_f64 v[159:160], vcc_lo, v[140:141], v[138:139], v[140:141]
	v_rcp_f64_e32 v[155:156], v[153:154]
	v_fma_f64 v[157:158], -v[153:154], v[155:156], 1.0
	v_fma_f64 v[155:156], v[155:156], v[157:158], v[155:156]
	v_fma_f64 v[157:158], -v[153:154], v[155:156], 1.0
	v_fma_f64 v[155:156], v[155:156], v[157:158], v[155:156]
	v_mul_f64 v[157:158], v[159:160], v[155:156]
	v_fma_f64 v[153:154], -v[153:154], v[157:158], v[159:160]
	v_div_fmas_f64 v[153:154], v[153:154], v[155:156], v[157:158]
	v_div_fixup_f64 v[153:154], v[153:154], v[138:139], v[140:141]
	v_fma_f64 v[138:139], v[140:141], v[153:154], v[138:139]
	v_div_scale_f64 v[140:141], null, v[138:139], v[138:139], 1.0
	v_rcp_f64_e32 v[155:156], v[140:141]
	v_fma_f64 v[157:158], -v[140:141], v[155:156], 1.0
	v_fma_f64 v[155:156], v[155:156], v[157:158], v[155:156]
	v_fma_f64 v[157:158], -v[140:141], v[155:156], 1.0
	v_fma_f64 v[155:156], v[155:156], v[157:158], v[155:156]
	v_div_scale_f64 v[157:158], vcc_lo, 1.0, v[138:139], 1.0
	v_mul_f64 v[159:160], v[157:158], v[155:156]
	v_fma_f64 v[140:141], -v[140:141], v[159:160], v[157:158]
	v_div_fmas_f64 v[140:141], v[140:141], v[155:156], v[159:160]
	v_div_fixup_f64 v[138:139], v[140:141], v[138:139], 1.0
	v_mul_f64 v[140:141], v[153:154], -v[138:139]
.LBB66_303:
	s_or_b32 exec_lo, exec_lo, s1
.LBB66_304:
	s_or_b32 exec_lo, exec_lo, s0
	s_mov_b32 s0, exec_lo
	v_cmpx_ne_u32_e64 v152, v146
	s_xor_b32 s0, exec_lo, s0
	s_cbranch_execz .LBB66_310
; %bb.305:
	s_mov_b32 s1, exec_lo
	v_cmpx_eq_u32_e32 14, v152
	s_cbranch_execz .LBB66_309
; %bb.306:
	v_cmp_ne_u32_e32 vcc_lo, 14, v146
	s_xor_b32 s2, s16, -1
	s_and_b32 s3, s2, vcc_lo
	s_and_saveexec_b32 s2, s3
	s_cbranch_execz .LBB66_308
; %bb.307:
	v_ashrrev_i32_e32 v147, 31, v146
	v_lshlrev_b64 v[152:153], 2, v[146:147]
	v_add_co_u32 v152, vcc_lo, v144, v152
	v_add_co_ci_u32_e64 v153, null, v145, v153, vcc_lo
	s_clause 0x1
	global_load_dword v0, v[152:153], off
	global_load_dword v147, v[144:145], off offset:56
	s_waitcnt vmcnt(1)
	global_store_dword v[144:145], v0, off offset:56
	s_waitcnt vmcnt(0)
	global_store_dword v[152:153], v147, off
.LBB66_308:
	s_or_b32 exec_lo, exec_lo, s2
	v_mov_b32_e32 v152, v146
	v_mov_b32_e32 v0, v146
.LBB66_309:
	s_or_b32 exec_lo, exec_lo, s1
.LBB66_310:
	s_andn2_saveexec_b32 s0, s0
	s_cbranch_execz .LBB66_312
; %bb.311:
	v_mov_b32_e32 v152, 14
	ds_write2_b64 v1, v[74:75], v[76:77] offset0:30 offset1:31
	ds_write2_b64 v1, v[70:71], v[72:73] offset0:32 offset1:33
	ds_write2_b64 v1, v[66:67], v[68:69] offset0:34 offset1:35
	ds_write2_b64 v1, v[62:63], v[64:65] offset0:36 offset1:37
	ds_write2_b64 v1, v[58:59], v[60:61] offset0:38 offset1:39
	ds_write2_b64 v1, v[54:55], v[56:57] offset0:40 offset1:41
	ds_write2_b64 v1, v[50:51], v[52:53] offset0:42 offset1:43
	ds_write2_b64 v1, v[46:47], v[48:49] offset0:44 offset1:45
	ds_write2_b64 v1, v[42:43], v[44:45] offset0:46 offset1:47
	ds_write2_b64 v1, v[38:39], v[40:41] offset0:48 offset1:49
	ds_write2_b64 v1, v[34:35], v[36:37] offset0:50 offset1:51
	ds_write2_b64 v1, v[30:31], v[32:33] offset0:52 offset1:53
	ds_write2_b64 v1, v[26:27], v[28:29] offset0:54 offset1:55
	ds_write2_b64 v1, v[22:23], v[24:25] offset0:56 offset1:57
	ds_write2_b64 v1, v[18:19], v[20:21] offset0:58 offset1:59
	ds_write2_b64 v1, v[14:15], v[16:17] offset0:60 offset1:61
	ds_write2_b64 v1, v[10:11], v[12:13] offset0:62 offset1:63
	ds_write2_b64 v1, v[6:7], v[8:9] offset0:64 offset1:65
	ds_write2_b64 v1, v[2:3], v[4:5] offset0:66 offset1:67
.LBB66_312:
	s_or_b32 exec_lo, exec_lo, s0
	s_mov_b32 s0, exec_lo
	s_waitcnt lgkmcnt(0)
	s_waitcnt_vscnt null, 0x0
	s_barrier
	buffer_gl0_inv
	v_cmpx_lt_i32_e32 14, v152
	s_cbranch_execz .LBB66_314
; %bb.313:
	v_mul_f64 v[146:147], v[140:141], v[80:81]
	v_mul_f64 v[80:81], v[138:139], v[80:81]
	v_fma_f64 v[146:147], v[138:139], v[78:79], -v[146:147]
	v_fma_f64 v[80:81], v[140:141], v[78:79], v[80:81]
	ds_read2_b64 v[138:141], v1 offset0:30 offset1:31
	s_waitcnt lgkmcnt(0)
	v_mul_f64 v[78:79], v[140:141], v[80:81]
	v_fma_f64 v[78:79], v[138:139], v[146:147], -v[78:79]
	v_mul_f64 v[138:139], v[138:139], v[80:81]
	v_add_f64 v[74:75], v[74:75], -v[78:79]
	v_fma_f64 v[138:139], v[140:141], v[146:147], v[138:139]
	v_add_f64 v[76:77], v[76:77], -v[138:139]
	ds_read2_b64 v[138:141], v1 offset0:32 offset1:33
	s_waitcnt lgkmcnt(0)
	v_mul_f64 v[78:79], v[140:141], v[80:81]
	v_fma_f64 v[78:79], v[138:139], v[146:147], -v[78:79]
	v_mul_f64 v[138:139], v[138:139], v[80:81]
	v_add_f64 v[70:71], v[70:71], -v[78:79]
	v_fma_f64 v[138:139], v[140:141], v[146:147], v[138:139]
	v_add_f64 v[72:73], v[72:73], -v[138:139]
	;; [unrolled: 8-line block ×18, first 2 shown]
	ds_read2_b64 v[138:141], v1 offset0:66 offset1:67
	s_waitcnt lgkmcnt(0)
	v_mul_f64 v[78:79], v[140:141], v[80:81]
	v_fma_f64 v[78:79], v[138:139], v[146:147], -v[78:79]
	v_mul_f64 v[138:139], v[138:139], v[80:81]
	v_add_f64 v[2:3], v[2:3], -v[78:79]
	v_fma_f64 v[138:139], v[140:141], v[146:147], v[138:139]
	v_mov_b32_e32 v78, v146
	v_mov_b32_e32 v79, v147
	v_add_f64 v[4:5], v[4:5], -v[138:139]
.LBB66_314:
	s_or_b32 exec_lo, exec_lo, s0
	v_lshl_add_u32 v138, v152, 4, v1
	s_barrier
	buffer_gl0_inv
	v_mov_b32_e32 v146, 15
	ds_write2_b64 v138, v[74:75], v[76:77] offset1:1
	s_waitcnt lgkmcnt(0)
	s_barrier
	buffer_gl0_inv
	ds_read2_b64 v[138:141], v1 offset0:30 offset1:31
	s_cmp_lt_i32 s18, 17
	s_cbranch_scc1 .LBB66_317
; %bb.315:
	v_add3_u32 v147, v148, 0, 0x100
	v_mov_b32_e32 v146, 15
	s_mov_b32 s1, 16
	s_inst_prefetch 0x1
	.p2align	6
.LBB66_316:                             ; =>This Inner Loop Header: Depth=1
	s_waitcnt lgkmcnt(0)
	v_cmp_gt_f64_e32 vcc_lo, 0, v[140:141]
	v_cmp_gt_f64_e64 s0, 0, v[138:139]
	ds_read2_b64 v[153:156], v147 offset1:1
	v_xor_b32_e32 v158, 0x80000000, v139
	v_xor_b32_e32 v160, 0x80000000, v141
	v_mov_b32_e32 v157, v138
	v_mov_b32_e32 v159, v140
	v_add_nc_u32_e32 v147, 16, v147
	s_waitcnt lgkmcnt(0)
	v_xor_b32_e32 v162, 0x80000000, v156
	v_cndmask_b32_e64 v158, v139, v158, s0
	v_cndmask_b32_e32 v160, v141, v160, vcc_lo
	v_cmp_gt_f64_e32 vcc_lo, 0, v[155:156]
	v_cmp_gt_f64_e64 s0, 0, v[153:154]
	v_mov_b32_e32 v161, v155
	v_add_f64 v[157:158], v[157:158], v[159:160]
	v_xor_b32_e32 v160, 0x80000000, v154
	v_mov_b32_e32 v159, v153
	v_cndmask_b32_e32 v162, v156, v162, vcc_lo
	v_cndmask_b32_e64 v160, v154, v160, s0
	v_add_f64 v[159:160], v[159:160], v[161:162]
	v_cmp_lt_f64_e32 vcc_lo, v[157:158], v[159:160]
	v_cndmask_b32_e32 v139, v139, v154, vcc_lo
	v_cndmask_b32_e32 v138, v138, v153, vcc_lo
	;; [unrolled: 1-line block ×4, first 2 shown]
	v_cndmask_b32_e64 v146, v146, s1, vcc_lo
	s_add_i32 s1, s1, 1
	s_cmp_lg_u32 s18, s1
	s_cbranch_scc1 .LBB66_316
.LBB66_317:
	s_inst_prefetch 0x2
	s_waitcnt lgkmcnt(0)
	v_cmp_eq_f64_e32 vcc_lo, 0, v[138:139]
	v_cmp_eq_f64_e64 s0, 0, v[140:141]
	s_and_b32 s0, vcc_lo, s0
	s_and_saveexec_b32 s1, s0
	s_xor_b32 s0, exec_lo, s1
; %bb.318:
	v_cmp_ne_u32_e32 vcc_lo, 0, v151
	v_cndmask_b32_e32 v151, 16, v151, vcc_lo
; %bb.319:
	s_andn2_saveexec_b32 s0, s0
	s_cbranch_execz .LBB66_325
; %bb.320:
	v_cmp_ngt_f64_e64 s1, |v[138:139]|, |v[140:141]|
	s_and_saveexec_b32 s2, s1
	s_xor_b32 s1, exec_lo, s2
	s_cbranch_execz .LBB66_322
; %bb.321:
	v_div_scale_f64 v[153:154], null, v[140:141], v[140:141], v[138:139]
	v_div_scale_f64 v[159:160], vcc_lo, v[138:139], v[140:141], v[138:139]
	v_rcp_f64_e32 v[155:156], v[153:154]
	v_fma_f64 v[157:158], -v[153:154], v[155:156], 1.0
	v_fma_f64 v[155:156], v[155:156], v[157:158], v[155:156]
	v_fma_f64 v[157:158], -v[153:154], v[155:156], 1.0
	v_fma_f64 v[155:156], v[155:156], v[157:158], v[155:156]
	v_mul_f64 v[157:158], v[159:160], v[155:156]
	v_fma_f64 v[153:154], -v[153:154], v[157:158], v[159:160]
	v_div_fmas_f64 v[153:154], v[153:154], v[155:156], v[157:158]
	v_div_fixup_f64 v[153:154], v[153:154], v[140:141], v[138:139]
	v_fma_f64 v[138:139], v[138:139], v[153:154], v[140:141]
	v_div_scale_f64 v[140:141], null, v[138:139], v[138:139], 1.0
	v_rcp_f64_e32 v[155:156], v[140:141]
	v_fma_f64 v[157:158], -v[140:141], v[155:156], 1.0
	v_fma_f64 v[155:156], v[155:156], v[157:158], v[155:156]
	v_fma_f64 v[157:158], -v[140:141], v[155:156], 1.0
	v_fma_f64 v[155:156], v[155:156], v[157:158], v[155:156]
	v_div_scale_f64 v[157:158], vcc_lo, 1.0, v[138:139], 1.0
	v_mul_f64 v[159:160], v[157:158], v[155:156]
	v_fma_f64 v[140:141], -v[140:141], v[159:160], v[157:158]
	v_div_fmas_f64 v[140:141], v[140:141], v[155:156], v[159:160]
	v_div_fixup_f64 v[140:141], v[140:141], v[138:139], 1.0
	v_mul_f64 v[138:139], v[153:154], v[140:141]
	v_xor_b32_e32 v141, 0x80000000, v141
.LBB66_322:
	s_andn2_saveexec_b32 s1, s1
	s_cbranch_execz .LBB66_324
; %bb.323:
	v_div_scale_f64 v[153:154], null, v[138:139], v[138:139], v[140:141]
	v_div_scale_f64 v[159:160], vcc_lo, v[140:141], v[138:139], v[140:141]
	v_rcp_f64_e32 v[155:156], v[153:154]
	v_fma_f64 v[157:158], -v[153:154], v[155:156], 1.0
	v_fma_f64 v[155:156], v[155:156], v[157:158], v[155:156]
	v_fma_f64 v[157:158], -v[153:154], v[155:156], 1.0
	v_fma_f64 v[155:156], v[155:156], v[157:158], v[155:156]
	v_mul_f64 v[157:158], v[159:160], v[155:156]
	v_fma_f64 v[153:154], -v[153:154], v[157:158], v[159:160]
	v_div_fmas_f64 v[153:154], v[153:154], v[155:156], v[157:158]
	v_div_fixup_f64 v[153:154], v[153:154], v[138:139], v[140:141]
	v_fma_f64 v[138:139], v[140:141], v[153:154], v[138:139]
	v_div_scale_f64 v[140:141], null, v[138:139], v[138:139], 1.0
	v_rcp_f64_e32 v[155:156], v[140:141]
	v_fma_f64 v[157:158], -v[140:141], v[155:156], 1.0
	v_fma_f64 v[155:156], v[155:156], v[157:158], v[155:156]
	v_fma_f64 v[157:158], -v[140:141], v[155:156], 1.0
	v_fma_f64 v[155:156], v[155:156], v[157:158], v[155:156]
	v_div_scale_f64 v[157:158], vcc_lo, 1.0, v[138:139], 1.0
	v_mul_f64 v[159:160], v[157:158], v[155:156]
	v_fma_f64 v[140:141], -v[140:141], v[159:160], v[157:158]
	v_div_fmas_f64 v[140:141], v[140:141], v[155:156], v[159:160]
	v_div_fixup_f64 v[138:139], v[140:141], v[138:139], 1.0
	v_mul_f64 v[140:141], v[153:154], -v[138:139]
.LBB66_324:
	s_or_b32 exec_lo, exec_lo, s1
.LBB66_325:
	s_or_b32 exec_lo, exec_lo, s0
	s_mov_b32 s0, exec_lo
	v_cmpx_ne_u32_e64 v152, v146
	s_xor_b32 s0, exec_lo, s0
	s_cbranch_execz .LBB66_331
; %bb.326:
	s_mov_b32 s1, exec_lo
	v_cmpx_eq_u32_e32 15, v152
	s_cbranch_execz .LBB66_330
; %bb.327:
	v_cmp_ne_u32_e32 vcc_lo, 15, v146
	s_xor_b32 s2, s16, -1
	s_and_b32 s3, s2, vcc_lo
	s_and_saveexec_b32 s2, s3
	s_cbranch_execz .LBB66_329
; %bb.328:
	v_ashrrev_i32_e32 v147, 31, v146
	v_lshlrev_b64 v[152:153], 2, v[146:147]
	v_add_co_u32 v152, vcc_lo, v144, v152
	v_add_co_ci_u32_e64 v153, null, v145, v153, vcc_lo
	s_clause 0x1
	global_load_dword v0, v[152:153], off
	global_load_dword v147, v[144:145], off offset:60
	s_waitcnt vmcnt(1)
	global_store_dword v[144:145], v0, off offset:60
	s_waitcnt vmcnt(0)
	global_store_dword v[152:153], v147, off
.LBB66_329:
	s_or_b32 exec_lo, exec_lo, s2
	v_mov_b32_e32 v152, v146
	v_mov_b32_e32 v0, v146
.LBB66_330:
	s_or_b32 exec_lo, exec_lo, s1
.LBB66_331:
	s_andn2_saveexec_b32 s0, s0
	s_cbranch_execz .LBB66_333
; %bb.332:
	v_mov_b32_e32 v152, 15
	ds_write2_b64 v1, v[70:71], v[72:73] offset0:32 offset1:33
	ds_write2_b64 v1, v[66:67], v[68:69] offset0:34 offset1:35
	;; [unrolled: 1-line block ×18, first 2 shown]
.LBB66_333:
	s_or_b32 exec_lo, exec_lo, s0
	s_mov_b32 s0, exec_lo
	s_waitcnt lgkmcnt(0)
	s_waitcnt_vscnt null, 0x0
	s_barrier
	buffer_gl0_inv
	v_cmpx_lt_i32_e32 15, v152
	s_cbranch_execz .LBB66_335
; %bb.334:
	v_mul_f64 v[146:147], v[140:141], v[76:77]
	v_mul_f64 v[76:77], v[138:139], v[76:77]
	v_fma_f64 v[146:147], v[138:139], v[74:75], -v[146:147]
	v_fma_f64 v[76:77], v[140:141], v[74:75], v[76:77]
	ds_read2_b64 v[138:141], v1 offset0:32 offset1:33
	s_waitcnt lgkmcnt(0)
	v_mul_f64 v[74:75], v[140:141], v[76:77]
	v_fma_f64 v[74:75], v[138:139], v[146:147], -v[74:75]
	v_mul_f64 v[138:139], v[138:139], v[76:77]
	v_add_f64 v[70:71], v[70:71], -v[74:75]
	v_fma_f64 v[138:139], v[140:141], v[146:147], v[138:139]
	v_add_f64 v[72:73], v[72:73], -v[138:139]
	ds_read2_b64 v[138:141], v1 offset0:34 offset1:35
	s_waitcnt lgkmcnt(0)
	v_mul_f64 v[74:75], v[140:141], v[76:77]
	v_fma_f64 v[74:75], v[138:139], v[146:147], -v[74:75]
	v_mul_f64 v[138:139], v[138:139], v[76:77]
	v_add_f64 v[66:67], v[66:67], -v[74:75]
	v_fma_f64 v[138:139], v[140:141], v[146:147], v[138:139]
	v_add_f64 v[68:69], v[68:69], -v[138:139]
	;; [unrolled: 8-line block ×17, first 2 shown]
	ds_read2_b64 v[138:141], v1 offset0:66 offset1:67
	s_waitcnt lgkmcnt(0)
	v_mul_f64 v[74:75], v[140:141], v[76:77]
	v_fma_f64 v[74:75], v[138:139], v[146:147], -v[74:75]
	v_mul_f64 v[138:139], v[138:139], v[76:77]
	v_add_f64 v[2:3], v[2:3], -v[74:75]
	v_fma_f64 v[138:139], v[140:141], v[146:147], v[138:139]
	v_mov_b32_e32 v74, v146
	v_mov_b32_e32 v75, v147
	v_add_f64 v[4:5], v[4:5], -v[138:139]
.LBB66_335:
	s_or_b32 exec_lo, exec_lo, s0
	v_lshl_add_u32 v138, v152, 4, v1
	s_barrier
	buffer_gl0_inv
	v_mov_b32_e32 v146, 16
	ds_write2_b64 v138, v[70:71], v[72:73] offset1:1
	s_waitcnt lgkmcnt(0)
	s_barrier
	buffer_gl0_inv
	ds_read2_b64 v[138:141], v1 offset0:32 offset1:33
	s_cmp_lt_i32 s18, 18
	s_cbranch_scc1 .LBB66_338
; %bb.336:
	v_add3_u32 v147, v148, 0, 0x110
	v_mov_b32_e32 v146, 16
	s_mov_b32 s1, 17
	s_inst_prefetch 0x1
	.p2align	6
.LBB66_337:                             ; =>This Inner Loop Header: Depth=1
	s_waitcnt lgkmcnt(0)
	v_cmp_gt_f64_e32 vcc_lo, 0, v[140:141]
	v_cmp_gt_f64_e64 s0, 0, v[138:139]
	ds_read2_b64 v[153:156], v147 offset1:1
	v_xor_b32_e32 v158, 0x80000000, v139
	v_xor_b32_e32 v160, 0x80000000, v141
	v_mov_b32_e32 v157, v138
	v_mov_b32_e32 v159, v140
	v_add_nc_u32_e32 v147, 16, v147
	s_waitcnt lgkmcnt(0)
	v_xor_b32_e32 v162, 0x80000000, v156
	v_cndmask_b32_e64 v158, v139, v158, s0
	v_cndmask_b32_e32 v160, v141, v160, vcc_lo
	v_cmp_gt_f64_e32 vcc_lo, 0, v[155:156]
	v_cmp_gt_f64_e64 s0, 0, v[153:154]
	v_mov_b32_e32 v161, v155
	v_add_f64 v[157:158], v[157:158], v[159:160]
	v_xor_b32_e32 v160, 0x80000000, v154
	v_mov_b32_e32 v159, v153
	v_cndmask_b32_e32 v162, v156, v162, vcc_lo
	v_cndmask_b32_e64 v160, v154, v160, s0
	v_add_f64 v[159:160], v[159:160], v[161:162]
	v_cmp_lt_f64_e32 vcc_lo, v[157:158], v[159:160]
	v_cndmask_b32_e32 v139, v139, v154, vcc_lo
	v_cndmask_b32_e32 v138, v138, v153, vcc_lo
	;; [unrolled: 1-line block ×4, first 2 shown]
	v_cndmask_b32_e64 v146, v146, s1, vcc_lo
	s_add_i32 s1, s1, 1
	s_cmp_lg_u32 s18, s1
	s_cbranch_scc1 .LBB66_337
.LBB66_338:
	s_inst_prefetch 0x2
	s_waitcnt lgkmcnt(0)
	v_cmp_eq_f64_e32 vcc_lo, 0, v[138:139]
	v_cmp_eq_f64_e64 s0, 0, v[140:141]
	s_and_b32 s0, vcc_lo, s0
	s_and_saveexec_b32 s1, s0
	s_xor_b32 s0, exec_lo, s1
; %bb.339:
	v_cmp_ne_u32_e32 vcc_lo, 0, v151
	v_cndmask_b32_e32 v151, 17, v151, vcc_lo
; %bb.340:
	s_andn2_saveexec_b32 s0, s0
	s_cbranch_execz .LBB66_346
; %bb.341:
	v_cmp_ngt_f64_e64 s1, |v[138:139]|, |v[140:141]|
	s_and_saveexec_b32 s2, s1
	s_xor_b32 s1, exec_lo, s2
	s_cbranch_execz .LBB66_343
; %bb.342:
	v_div_scale_f64 v[153:154], null, v[140:141], v[140:141], v[138:139]
	v_div_scale_f64 v[159:160], vcc_lo, v[138:139], v[140:141], v[138:139]
	v_rcp_f64_e32 v[155:156], v[153:154]
	v_fma_f64 v[157:158], -v[153:154], v[155:156], 1.0
	v_fma_f64 v[155:156], v[155:156], v[157:158], v[155:156]
	v_fma_f64 v[157:158], -v[153:154], v[155:156], 1.0
	v_fma_f64 v[155:156], v[155:156], v[157:158], v[155:156]
	v_mul_f64 v[157:158], v[159:160], v[155:156]
	v_fma_f64 v[153:154], -v[153:154], v[157:158], v[159:160]
	v_div_fmas_f64 v[153:154], v[153:154], v[155:156], v[157:158]
	v_div_fixup_f64 v[153:154], v[153:154], v[140:141], v[138:139]
	v_fma_f64 v[138:139], v[138:139], v[153:154], v[140:141]
	v_div_scale_f64 v[140:141], null, v[138:139], v[138:139], 1.0
	v_rcp_f64_e32 v[155:156], v[140:141]
	v_fma_f64 v[157:158], -v[140:141], v[155:156], 1.0
	v_fma_f64 v[155:156], v[155:156], v[157:158], v[155:156]
	v_fma_f64 v[157:158], -v[140:141], v[155:156], 1.0
	v_fma_f64 v[155:156], v[155:156], v[157:158], v[155:156]
	v_div_scale_f64 v[157:158], vcc_lo, 1.0, v[138:139], 1.0
	v_mul_f64 v[159:160], v[157:158], v[155:156]
	v_fma_f64 v[140:141], -v[140:141], v[159:160], v[157:158]
	v_div_fmas_f64 v[140:141], v[140:141], v[155:156], v[159:160]
	v_div_fixup_f64 v[140:141], v[140:141], v[138:139], 1.0
	v_mul_f64 v[138:139], v[153:154], v[140:141]
	v_xor_b32_e32 v141, 0x80000000, v141
.LBB66_343:
	s_andn2_saveexec_b32 s1, s1
	s_cbranch_execz .LBB66_345
; %bb.344:
	v_div_scale_f64 v[153:154], null, v[138:139], v[138:139], v[140:141]
	v_div_scale_f64 v[159:160], vcc_lo, v[140:141], v[138:139], v[140:141]
	v_rcp_f64_e32 v[155:156], v[153:154]
	v_fma_f64 v[157:158], -v[153:154], v[155:156], 1.0
	v_fma_f64 v[155:156], v[155:156], v[157:158], v[155:156]
	v_fma_f64 v[157:158], -v[153:154], v[155:156], 1.0
	v_fma_f64 v[155:156], v[155:156], v[157:158], v[155:156]
	v_mul_f64 v[157:158], v[159:160], v[155:156]
	v_fma_f64 v[153:154], -v[153:154], v[157:158], v[159:160]
	v_div_fmas_f64 v[153:154], v[153:154], v[155:156], v[157:158]
	v_div_fixup_f64 v[153:154], v[153:154], v[138:139], v[140:141]
	v_fma_f64 v[138:139], v[140:141], v[153:154], v[138:139]
	v_div_scale_f64 v[140:141], null, v[138:139], v[138:139], 1.0
	v_rcp_f64_e32 v[155:156], v[140:141]
	v_fma_f64 v[157:158], -v[140:141], v[155:156], 1.0
	v_fma_f64 v[155:156], v[155:156], v[157:158], v[155:156]
	v_fma_f64 v[157:158], -v[140:141], v[155:156], 1.0
	v_fma_f64 v[155:156], v[155:156], v[157:158], v[155:156]
	v_div_scale_f64 v[157:158], vcc_lo, 1.0, v[138:139], 1.0
	v_mul_f64 v[159:160], v[157:158], v[155:156]
	v_fma_f64 v[140:141], -v[140:141], v[159:160], v[157:158]
	v_div_fmas_f64 v[140:141], v[140:141], v[155:156], v[159:160]
	v_div_fixup_f64 v[138:139], v[140:141], v[138:139], 1.0
	v_mul_f64 v[140:141], v[153:154], -v[138:139]
.LBB66_345:
	s_or_b32 exec_lo, exec_lo, s1
.LBB66_346:
	s_or_b32 exec_lo, exec_lo, s0
	s_mov_b32 s0, exec_lo
	v_cmpx_ne_u32_e64 v152, v146
	s_xor_b32 s0, exec_lo, s0
	s_cbranch_execz .LBB66_352
; %bb.347:
	s_mov_b32 s1, exec_lo
	v_cmpx_eq_u32_e32 16, v152
	s_cbranch_execz .LBB66_351
; %bb.348:
	v_cmp_ne_u32_e32 vcc_lo, 16, v146
	s_xor_b32 s2, s16, -1
	s_and_b32 s3, s2, vcc_lo
	s_and_saveexec_b32 s2, s3
	s_cbranch_execz .LBB66_350
; %bb.349:
	v_ashrrev_i32_e32 v147, 31, v146
	v_lshlrev_b64 v[152:153], 2, v[146:147]
	v_add_co_u32 v152, vcc_lo, v144, v152
	v_add_co_ci_u32_e64 v153, null, v145, v153, vcc_lo
	s_clause 0x1
	global_load_dword v0, v[152:153], off
	global_load_dword v147, v[144:145], off offset:64
	s_waitcnt vmcnt(1)
	global_store_dword v[144:145], v0, off offset:64
	s_waitcnt vmcnt(0)
	global_store_dword v[152:153], v147, off
.LBB66_350:
	s_or_b32 exec_lo, exec_lo, s2
	v_mov_b32_e32 v152, v146
	v_mov_b32_e32 v0, v146
.LBB66_351:
	s_or_b32 exec_lo, exec_lo, s1
.LBB66_352:
	s_andn2_saveexec_b32 s0, s0
	s_cbranch_execz .LBB66_354
; %bb.353:
	v_mov_b32_e32 v152, 16
	ds_write2_b64 v1, v[66:67], v[68:69] offset0:34 offset1:35
	ds_write2_b64 v1, v[62:63], v[64:65] offset0:36 offset1:37
	;; [unrolled: 1-line block ×17, first 2 shown]
.LBB66_354:
	s_or_b32 exec_lo, exec_lo, s0
	s_mov_b32 s0, exec_lo
	s_waitcnt lgkmcnt(0)
	s_waitcnt_vscnt null, 0x0
	s_barrier
	buffer_gl0_inv
	v_cmpx_lt_i32_e32 16, v152
	s_cbranch_execz .LBB66_356
; %bb.355:
	v_mul_f64 v[146:147], v[140:141], v[72:73]
	v_mul_f64 v[72:73], v[138:139], v[72:73]
	v_fma_f64 v[146:147], v[138:139], v[70:71], -v[146:147]
	v_fma_f64 v[72:73], v[140:141], v[70:71], v[72:73]
	ds_read2_b64 v[138:141], v1 offset0:34 offset1:35
	s_waitcnt lgkmcnt(0)
	v_mul_f64 v[70:71], v[140:141], v[72:73]
	v_fma_f64 v[70:71], v[138:139], v[146:147], -v[70:71]
	v_mul_f64 v[138:139], v[138:139], v[72:73]
	v_add_f64 v[66:67], v[66:67], -v[70:71]
	v_fma_f64 v[138:139], v[140:141], v[146:147], v[138:139]
	v_add_f64 v[68:69], v[68:69], -v[138:139]
	ds_read2_b64 v[138:141], v1 offset0:36 offset1:37
	s_waitcnt lgkmcnt(0)
	v_mul_f64 v[70:71], v[140:141], v[72:73]
	v_fma_f64 v[70:71], v[138:139], v[146:147], -v[70:71]
	v_mul_f64 v[138:139], v[138:139], v[72:73]
	v_add_f64 v[62:63], v[62:63], -v[70:71]
	v_fma_f64 v[138:139], v[140:141], v[146:147], v[138:139]
	v_add_f64 v[64:65], v[64:65], -v[138:139]
	;; [unrolled: 8-line block ×16, first 2 shown]
	ds_read2_b64 v[138:141], v1 offset0:66 offset1:67
	s_waitcnt lgkmcnt(0)
	v_mul_f64 v[70:71], v[140:141], v[72:73]
	v_fma_f64 v[70:71], v[138:139], v[146:147], -v[70:71]
	v_mul_f64 v[138:139], v[138:139], v[72:73]
	v_add_f64 v[2:3], v[2:3], -v[70:71]
	v_fma_f64 v[138:139], v[140:141], v[146:147], v[138:139]
	v_mov_b32_e32 v70, v146
	v_mov_b32_e32 v71, v147
	v_add_f64 v[4:5], v[4:5], -v[138:139]
.LBB66_356:
	s_or_b32 exec_lo, exec_lo, s0
	v_lshl_add_u32 v138, v152, 4, v1
	s_barrier
	buffer_gl0_inv
	v_mov_b32_e32 v146, 17
	ds_write2_b64 v138, v[66:67], v[68:69] offset1:1
	s_waitcnt lgkmcnt(0)
	s_barrier
	buffer_gl0_inv
	ds_read2_b64 v[138:141], v1 offset0:34 offset1:35
	s_cmp_lt_i32 s18, 19
	s_cbranch_scc1 .LBB66_359
; %bb.357:
	v_add3_u32 v147, v148, 0, 0x120
	v_mov_b32_e32 v146, 17
	s_mov_b32 s1, 18
	s_inst_prefetch 0x1
	.p2align	6
.LBB66_358:                             ; =>This Inner Loop Header: Depth=1
	s_waitcnt lgkmcnt(0)
	v_cmp_gt_f64_e32 vcc_lo, 0, v[140:141]
	v_cmp_gt_f64_e64 s0, 0, v[138:139]
	ds_read2_b64 v[153:156], v147 offset1:1
	v_xor_b32_e32 v158, 0x80000000, v139
	v_xor_b32_e32 v160, 0x80000000, v141
	v_mov_b32_e32 v157, v138
	v_mov_b32_e32 v159, v140
	v_add_nc_u32_e32 v147, 16, v147
	s_waitcnt lgkmcnt(0)
	v_xor_b32_e32 v162, 0x80000000, v156
	v_cndmask_b32_e64 v158, v139, v158, s0
	v_cndmask_b32_e32 v160, v141, v160, vcc_lo
	v_cmp_gt_f64_e32 vcc_lo, 0, v[155:156]
	v_cmp_gt_f64_e64 s0, 0, v[153:154]
	v_mov_b32_e32 v161, v155
	v_add_f64 v[157:158], v[157:158], v[159:160]
	v_xor_b32_e32 v160, 0x80000000, v154
	v_mov_b32_e32 v159, v153
	v_cndmask_b32_e32 v162, v156, v162, vcc_lo
	v_cndmask_b32_e64 v160, v154, v160, s0
	v_add_f64 v[159:160], v[159:160], v[161:162]
	v_cmp_lt_f64_e32 vcc_lo, v[157:158], v[159:160]
	v_cndmask_b32_e32 v139, v139, v154, vcc_lo
	v_cndmask_b32_e32 v138, v138, v153, vcc_lo
	;; [unrolled: 1-line block ×4, first 2 shown]
	v_cndmask_b32_e64 v146, v146, s1, vcc_lo
	s_add_i32 s1, s1, 1
	s_cmp_lg_u32 s18, s1
	s_cbranch_scc1 .LBB66_358
.LBB66_359:
	s_inst_prefetch 0x2
	s_waitcnt lgkmcnt(0)
	v_cmp_eq_f64_e32 vcc_lo, 0, v[138:139]
	v_cmp_eq_f64_e64 s0, 0, v[140:141]
	s_and_b32 s0, vcc_lo, s0
	s_and_saveexec_b32 s1, s0
	s_xor_b32 s0, exec_lo, s1
; %bb.360:
	v_cmp_ne_u32_e32 vcc_lo, 0, v151
	v_cndmask_b32_e32 v151, 18, v151, vcc_lo
; %bb.361:
	s_andn2_saveexec_b32 s0, s0
	s_cbranch_execz .LBB66_367
; %bb.362:
	v_cmp_ngt_f64_e64 s1, |v[138:139]|, |v[140:141]|
	s_and_saveexec_b32 s2, s1
	s_xor_b32 s1, exec_lo, s2
	s_cbranch_execz .LBB66_364
; %bb.363:
	v_div_scale_f64 v[153:154], null, v[140:141], v[140:141], v[138:139]
	v_div_scale_f64 v[159:160], vcc_lo, v[138:139], v[140:141], v[138:139]
	v_rcp_f64_e32 v[155:156], v[153:154]
	v_fma_f64 v[157:158], -v[153:154], v[155:156], 1.0
	v_fma_f64 v[155:156], v[155:156], v[157:158], v[155:156]
	v_fma_f64 v[157:158], -v[153:154], v[155:156], 1.0
	v_fma_f64 v[155:156], v[155:156], v[157:158], v[155:156]
	v_mul_f64 v[157:158], v[159:160], v[155:156]
	v_fma_f64 v[153:154], -v[153:154], v[157:158], v[159:160]
	v_div_fmas_f64 v[153:154], v[153:154], v[155:156], v[157:158]
	v_div_fixup_f64 v[153:154], v[153:154], v[140:141], v[138:139]
	v_fma_f64 v[138:139], v[138:139], v[153:154], v[140:141]
	v_div_scale_f64 v[140:141], null, v[138:139], v[138:139], 1.0
	v_rcp_f64_e32 v[155:156], v[140:141]
	v_fma_f64 v[157:158], -v[140:141], v[155:156], 1.0
	v_fma_f64 v[155:156], v[155:156], v[157:158], v[155:156]
	v_fma_f64 v[157:158], -v[140:141], v[155:156], 1.0
	v_fma_f64 v[155:156], v[155:156], v[157:158], v[155:156]
	v_div_scale_f64 v[157:158], vcc_lo, 1.0, v[138:139], 1.0
	v_mul_f64 v[159:160], v[157:158], v[155:156]
	v_fma_f64 v[140:141], -v[140:141], v[159:160], v[157:158]
	v_div_fmas_f64 v[140:141], v[140:141], v[155:156], v[159:160]
	v_div_fixup_f64 v[140:141], v[140:141], v[138:139], 1.0
	v_mul_f64 v[138:139], v[153:154], v[140:141]
	v_xor_b32_e32 v141, 0x80000000, v141
.LBB66_364:
	s_andn2_saveexec_b32 s1, s1
	s_cbranch_execz .LBB66_366
; %bb.365:
	v_div_scale_f64 v[153:154], null, v[138:139], v[138:139], v[140:141]
	v_div_scale_f64 v[159:160], vcc_lo, v[140:141], v[138:139], v[140:141]
	v_rcp_f64_e32 v[155:156], v[153:154]
	v_fma_f64 v[157:158], -v[153:154], v[155:156], 1.0
	v_fma_f64 v[155:156], v[155:156], v[157:158], v[155:156]
	v_fma_f64 v[157:158], -v[153:154], v[155:156], 1.0
	v_fma_f64 v[155:156], v[155:156], v[157:158], v[155:156]
	v_mul_f64 v[157:158], v[159:160], v[155:156]
	v_fma_f64 v[153:154], -v[153:154], v[157:158], v[159:160]
	v_div_fmas_f64 v[153:154], v[153:154], v[155:156], v[157:158]
	v_div_fixup_f64 v[153:154], v[153:154], v[138:139], v[140:141]
	v_fma_f64 v[138:139], v[140:141], v[153:154], v[138:139]
	v_div_scale_f64 v[140:141], null, v[138:139], v[138:139], 1.0
	v_rcp_f64_e32 v[155:156], v[140:141]
	v_fma_f64 v[157:158], -v[140:141], v[155:156], 1.0
	v_fma_f64 v[155:156], v[155:156], v[157:158], v[155:156]
	v_fma_f64 v[157:158], -v[140:141], v[155:156], 1.0
	v_fma_f64 v[155:156], v[155:156], v[157:158], v[155:156]
	v_div_scale_f64 v[157:158], vcc_lo, 1.0, v[138:139], 1.0
	v_mul_f64 v[159:160], v[157:158], v[155:156]
	v_fma_f64 v[140:141], -v[140:141], v[159:160], v[157:158]
	v_div_fmas_f64 v[140:141], v[140:141], v[155:156], v[159:160]
	v_div_fixup_f64 v[138:139], v[140:141], v[138:139], 1.0
	v_mul_f64 v[140:141], v[153:154], -v[138:139]
.LBB66_366:
	s_or_b32 exec_lo, exec_lo, s1
.LBB66_367:
	s_or_b32 exec_lo, exec_lo, s0
	s_mov_b32 s0, exec_lo
	v_cmpx_ne_u32_e64 v152, v146
	s_xor_b32 s0, exec_lo, s0
	s_cbranch_execz .LBB66_373
; %bb.368:
	s_mov_b32 s1, exec_lo
	v_cmpx_eq_u32_e32 17, v152
	s_cbranch_execz .LBB66_372
; %bb.369:
	v_cmp_ne_u32_e32 vcc_lo, 17, v146
	s_xor_b32 s2, s16, -1
	s_and_b32 s3, s2, vcc_lo
	s_and_saveexec_b32 s2, s3
	s_cbranch_execz .LBB66_371
; %bb.370:
	v_ashrrev_i32_e32 v147, 31, v146
	v_lshlrev_b64 v[152:153], 2, v[146:147]
	v_add_co_u32 v152, vcc_lo, v144, v152
	v_add_co_ci_u32_e64 v153, null, v145, v153, vcc_lo
	s_clause 0x1
	global_load_dword v0, v[152:153], off
	global_load_dword v147, v[144:145], off offset:68
	s_waitcnt vmcnt(1)
	global_store_dword v[144:145], v0, off offset:68
	s_waitcnt vmcnt(0)
	global_store_dword v[152:153], v147, off
.LBB66_371:
	s_or_b32 exec_lo, exec_lo, s2
	v_mov_b32_e32 v152, v146
	v_mov_b32_e32 v0, v146
.LBB66_372:
	s_or_b32 exec_lo, exec_lo, s1
.LBB66_373:
	s_andn2_saveexec_b32 s0, s0
	s_cbranch_execz .LBB66_375
; %bb.374:
	v_mov_b32_e32 v152, 17
	ds_write2_b64 v1, v[62:63], v[64:65] offset0:36 offset1:37
	ds_write2_b64 v1, v[58:59], v[60:61] offset0:38 offset1:39
	;; [unrolled: 1-line block ×16, first 2 shown]
.LBB66_375:
	s_or_b32 exec_lo, exec_lo, s0
	s_mov_b32 s0, exec_lo
	s_waitcnt lgkmcnt(0)
	s_waitcnt_vscnt null, 0x0
	s_barrier
	buffer_gl0_inv
	v_cmpx_lt_i32_e32 17, v152
	s_cbranch_execz .LBB66_377
; %bb.376:
	v_mul_f64 v[146:147], v[138:139], v[68:69]
	v_mul_f64 v[68:69], v[140:141], v[68:69]
	v_fma_f64 v[146:147], v[140:141], v[66:67], v[146:147]
	v_fma_f64 v[66:67], v[138:139], v[66:67], -v[68:69]
	ds_read2_b64 v[138:141], v1 offset0:36 offset1:37
	s_waitcnt lgkmcnt(0)
	v_mul_f64 v[68:69], v[140:141], v[146:147]
	v_fma_f64 v[68:69], v[138:139], v[66:67], -v[68:69]
	v_mul_f64 v[138:139], v[138:139], v[146:147]
	v_add_f64 v[62:63], v[62:63], -v[68:69]
	v_fma_f64 v[138:139], v[140:141], v[66:67], v[138:139]
	v_add_f64 v[64:65], v[64:65], -v[138:139]
	ds_read2_b64 v[138:141], v1 offset0:38 offset1:39
	s_waitcnt lgkmcnt(0)
	v_mul_f64 v[68:69], v[140:141], v[146:147]
	v_fma_f64 v[68:69], v[138:139], v[66:67], -v[68:69]
	v_mul_f64 v[138:139], v[138:139], v[146:147]
	v_add_f64 v[58:59], v[58:59], -v[68:69]
	v_fma_f64 v[138:139], v[140:141], v[66:67], v[138:139]
	v_add_f64 v[60:61], v[60:61], -v[138:139]
	;; [unrolled: 8-line block ×15, first 2 shown]
	ds_read2_b64 v[138:141], v1 offset0:66 offset1:67
	s_waitcnt lgkmcnt(0)
	v_mul_f64 v[68:69], v[140:141], v[146:147]
	v_fma_f64 v[68:69], v[138:139], v[66:67], -v[68:69]
	v_mul_f64 v[138:139], v[138:139], v[146:147]
	v_add_f64 v[2:3], v[2:3], -v[68:69]
	v_fma_f64 v[138:139], v[140:141], v[66:67], v[138:139]
	v_mov_b32_e32 v68, v146
	v_mov_b32_e32 v69, v147
	v_add_f64 v[4:5], v[4:5], -v[138:139]
.LBB66_377:
	s_or_b32 exec_lo, exec_lo, s0
	v_lshl_add_u32 v138, v152, 4, v1
	s_barrier
	buffer_gl0_inv
	v_mov_b32_e32 v146, 18
	ds_write2_b64 v138, v[62:63], v[64:65] offset1:1
	s_waitcnt lgkmcnt(0)
	s_barrier
	buffer_gl0_inv
	ds_read2_b64 v[138:141], v1 offset0:36 offset1:37
	s_cmp_lt_i32 s18, 20
	s_cbranch_scc1 .LBB66_380
; %bb.378:
	v_add3_u32 v147, v148, 0, 0x130
	v_mov_b32_e32 v146, 18
	s_mov_b32 s1, 19
	s_inst_prefetch 0x1
	.p2align	6
.LBB66_379:                             ; =>This Inner Loop Header: Depth=1
	s_waitcnt lgkmcnt(0)
	v_cmp_gt_f64_e32 vcc_lo, 0, v[140:141]
	v_cmp_gt_f64_e64 s0, 0, v[138:139]
	ds_read2_b64 v[153:156], v147 offset1:1
	v_xor_b32_e32 v158, 0x80000000, v139
	v_xor_b32_e32 v160, 0x80000000, v141
	v_mov_b32_e32 v157, v138
	v_mov_b32_e32 v159, v140
	v_add_nc_u32_e32 v147, 16, v147
	s_waitcnt lgkmcnt(0)
	v_xor_b32_e32 v162, 0x80000000, v156
	v_cndmask_b32_e64 v158, v139, v158, s0
	v_cndmask_b32_e32 v160, v141, v160, vcc_lo
	v_cmp_gt_f64_e32 vcc_lo, 0, v[155:156]
	v_cmp_gt_f64_e64 s0, 0, v[153:154]
	v_mov_b32_e32 v161, v155
	v_add_f64 v[157:158], v[157:158], v[159:160]
	v_xor_b32_e32 v160, 0x80000000, v154
	v_mov_b32_e32 v159, v153
	v_cndmask_b32_e32 v162, v156, v162, vcc_lo
	v_cndmask_b32_e64 v160, v154, v160, s0
	v_add_f64 v[159:160], v[159:160], v[161:162]
	v_cmp_lt_f64_e32 vcc_lo, v[157:158], v[159:160]
	v_cndmask_b32_e32 v139, v139, v154, vcc_lo
	v_cndmask_b32_e32 v138, v138, v153, vcc_lo
	v_cndmask_b32_e32 v141, v141, v156, vcc_lo
	v_cndmask_b32_e32 v140, v140, v155, vcc_lo
	v_cndmask_b32_e64 v146, v146, s1, vcc_lo
	s_add_i32 s1, s1, 1
	s_cmp_lg_u32 s18, s1
	s_cbranch_scc1 .LBB66_379
.LBB66_380:
	s_inst_prefetch 0x2
	s_waitcnt lgkmcnt(0)
	v_cmp_eq_f64_e32 vcc_lo, 0, v[138:139]
	v_cmp_eq_f64_e64 s0, 0, v[140:141]
	s_and_b32 s0, vcc_lo, s0
	s_and_saveexec_b32 s1, s0
	s_xor_b32 s0, exec_lo, s1
; %bb.381:
	v_cmp_ne_u32_e32 vcc_lo, 0, v151
	v_cndmask_b32_e32 v151, 19, v151, vcc_lo
; %bb.382:
	s_andn2_saveexec_b32 s0, s0
	s_cbranch_execz .LBB66_388
; %bb.383:
	v_cmp_ngt_f64_e64 s1, |v[138:139]|, |v[140:141]|
	s_and_saveexec_b32 s2, s1
	s_xor_b32 s1, exec_lo, s2
	s_cbranch_execz .LBB66_385
; %bb.384:
	v_div_scale_f64 v[153:154], null, v[140:141], v[140:141], v[138:139]
	v_div_scale_f64 v[159:160], vcc_lo, v[138:139], v[140:141], v[138:139]
	v_rcp_f64_e32 v[155:156], v[153:154]
	v_fma_f64 v[157:158], -v[153:154], v[155:156], 1.0
	v_fma_f64 v[155:156], v[155:156], v[157:158], v[155:156]
	v_fma_f64 v[157:158], -v[153:154], v[155:156], 1.0
	v_fma_f64 v[155:156], v[155:156], v[157:158], v[155:156]
	v_mul_f64 v[157:158], v[159:160], v[155:156]
	v_fma_f64 v[153:154], -v[153:154], v[157:158], v[159:160]
	v_div_fmas_f64 v[153:154], v[153:154], v[155:156], v[157:158]
	v_div_fixup_f64 v[153:154], v[153:154], v[140:141], v[138:139]
	v_fma_f64 v[138:139], v[138:139], v[153:154], v[140:141]
	v_div_scale_f64 v[140:141], null, v[138:139], v[138:139], 1.0
	v_rcp_f64_e32 v[155:156], v[140:141]
	v_fma_f64 v[157:158], -v[140:141], v[155:156], 1.0
	v_fma_f64 v[155:156], v[155:156], v[157:158], v[155:156]
	v_fma_f64 v[157:158], -v[140:141], v[155:156], 1.0
	v_fma_f64 v[155:156], v[155:156], v[157:158], v[155:156]
	v_div_scale_f64 v[157:158], vcc_lo, 1.0, v[138:139], 1.0
	v_mul_f64 v[159:160], v[157:158], v[155:156]
	v_fma_f64 v[140:141], -v[140:141], v[159:160], v[157:158]
	v_div_fmas_f64 v[140:141], v[140:141], v[155:156], v[159:160]
	v_div_fixup_f64 v[140:141], v[140:141], v[138:139], 1.0
	v_mul_f64 v[138:139], v[153:154], v[140:141]
	v_xor_b32_e32 v141, 0x80000000, v141
.LBB66_385:
	s_andn2_saveexec_b32 s1, s1
	s_cbranch_execz .LBB66_387
; %bb.386:
	v_div_scale_f64 v[153:154], null, v[138:139], v[138:139], v[140:141]
	v_div_scale_f64 v[159:160], vcc_lo, v[140:141], v[138:139], v[140:141]
	v_rcp_f64_e32 v[155:156], v[153:154]
	v_fma_f64 v[157:158], -v[153:154], v[155:156], 1.0
	v_fma_f64 v[155:156], v[155:156], v[157:158], v[155:156]
	v_fma_f64 v[157:158], -v[153:154], v[155:156], 1.0
	v_fma_f64 v[155:156], v[155:156], v[157:158], v[155:156]
	v_mul_f64 v[157:158], v[159:160], v[155:156]
	v_fma_f64 v[153:154], -v[153:154], v[157:158], v[159:160]
	v_div_fmas_f64 v[153:154], v[153:154], v[155:156], v[157:158]
	v_div_fixup_f64 v[153:154], v[153:154], v[138:139], v[140:141]
	v_fma_f64 v[138:139], v[140:141], v[153:154], v[138:139]
	v_div_scale_f64 v[140:141], null, v[138:139], v[138:139], 1.0
	v_rcp_f64_e32 v[155:156], v[140:141]
	v_fma_f64 v[157:158], -v[140:141], v[155:156], 1.0
	v_fma_f64 v[155:156], v[155:156], v[157:158], v[155:156]
	v_fma_f64 v[157:158], -v[140:141], v[155:156], 1.0
	v_fma_f64 v[155:156], v[155:156], v[157:158], v[155:156]
	v_div_scale_f64 v[157:158], vcc_lo, 1.0, v[138:139], 1.0
	v_mul_f64 v[159:160], v[157:158], v[155:156]
	v_fma_f64 v[140:141], -v[140:141], v[159:160], v[157:158]
	v_div_fmas_f64 v[140:141], v[140:141], v[155:156], v[159:160]
	v_div_fixup_f64 v[138:139], v[140:141], v[138:139], 1.0
	v_mul_f64 v[140:141], v[153:154], -v[138:139]
.LBB66_387:
	s_or_b32 exec_lo, exec_lo, s1
.LBB66_388:
	s_or_b32 exec_lo, exec_lo, s0
	s_mov_b32 s0, exec_lo
	v_cmpx_ne_u32_e64 v152, v146
	s_xor_b32 s0, exec_lo, s0
	s_cbranch_execz .LBB66_394
; %bb.389:
	s_mov_b32 s1, exec_lo
	v_cmpx_eq_u32_e32 18, v152
	s_cbranch_execz .LBB66_393
; %bb.390:
	v_cmp_ne_u32_e32 vcc_lo, 18, v146
	s_xor_b32 s2, s16, -1
	s_and_b32 s3, s2, vcc_lo
	s_and_saveexec_b32 s2, s3
	s_cbranch_execz .LBB66_392
; %bb.391:
	v_ashrrev_i32_e32 v147, 31, v146
	v_lshlrev_b64 v[152:153], 2, v[146:147]
	v_add_co_u32 v152, vcc_lo, v144, v152
	v_add_co_ci_u32_e64 v153, null, v145, v153, vcc_lo
	s_clause 0x1
	global_load_dword v0, v[152:153], off
	global_load_dword v147, v[144:145], off offset:72
	s_waitcnt vmcnt(1)
	global_store_dword v[144:145], v0, off offset:72
	s_waitcnt vmcnt(0)
	global_store_dword v[152:153], v147, off
.LBB66_392:
	s_or_b32 exec_lo, exec_lo, s2
	v_mov_b32_e32 v152, v146
	v_mov_b32_e32 v0, v146
.LBB66_393:
	s_or_b32 exec_lo, exec_lo, s1
.LBB66_394:
	s_andn2_saveexec_b32 s0, s0
	s_cbranch_execz .LBB66_396
; %bb.395:
	v_mov_b32_e32 v152, 18
	ds_write2_b64 v1, v[58:59], v[60:61] offset0:38 offset1:39
	ds_write2_b64 v1, v[54:55], v[56:57] offset0:40 offset1:41
	;; [unrolled: 1-line block ×15, first 2 shown]
.LBB66_396:
	s_or_b32 exec_lo, exec_lo, s0
	s_mov_b32 s0, exec_lo
	s_waitcnt lgkmcnt(0)
	s_waitcnt_vscnt null, 0x0
	s_barrier
	buffer_gl0_inv
	v_cmpx_lt_i32_e32 18, v152
	s_cbranch_execz .LBB66_398
; %bb.397:
	v_mul_f64 v[146:147], v[138:139], v[64:65]
	v_mul_f64 v[64:65], v[140:141], v[64:65]
	v_fma_f64 v[146:147], v[140:141], v[62:63], v[146:147]
	v_fma_f64 v[62:63], v[138:139], v[62:63], -v[64:65]
	ds_read2_b64 v[138:141], v1 offset0:38 offset1:39
	s_waitcnt lgkmcnt(0)
	v_mul_f64 v[64:65], v[140:141], v[146:147]
	v_fma_f64 v[64:65], v[138:139], v[62:63], -v[64:65]
	v_mul_f64 v[138:139], v[138:139], v[146:147]
	v_add_f64 v[58:59], v[58:59], -v[64:65]
	v_fma_f64 v[138:139], v[140:141], v[62:63], v[138:139]
	v_add_f64 v[60:61], v[60:61], -v[138:139]
	ds_read2_b64 v[138:141], v1 offset0:40 offset1:41
	s_waitcnt lgkmcnt(0)
	v_mul_f64 v[64:65], v[140:141], v[146:147]
	v_fma_f64 v[64:65], v[138:139], v[62:63], -v[64:65]
	v_mul_f64 v[138:139], v[138:139], v[146:147]
	v_add_f64 v[54:55], v[54:55], -v[64:65]
	v_fma_f64 v[138:139], v[140:141], v[62:63], v[138:139]
	v_add_f64 v[56:57], v[56:57], -v[138:139]
	;; [unrolled: 8-line block ×14, first 2 shown]
	ds_read2_b64 v[138:141], v1 offset0:66 offset1:67
	s_waitcnt lgkmcnt(0)
	v_mul_f64 v[64:65], v[140:141], v[146:147]
	v_fma_f64 v[64:65], v[138:139], v[62:63], -v[64:65]
	v_mul_f64 v[138:139], v[138:139], v[146:147]
	v_add_f64 v[2:3], v[2:3], -v[64:65]
	v_fma_f64 v[138:139], v[140:141], v[62:63], v[138:139]
	v_mov_b32_e32 v64, v146
	v_mov_b32_e32 v65, v147
	v_add_f64 v[4:5], v[4:5], -v[138:139]
.LBB66_398:
	s_or_b32 exec_lo, exec_lo, s0
	v_lshl_add_u32 v138, v152, 4, v1
	s_barrier
	buffer_gl0_inv
	v_mov_b32_e32 v146, 19
	ds_write2_b64 v138, v[58:59], v[60:61] offset1:1
	s_waitcnt lgkmcnt(0)
	s_barrier
	buffer_gl0_inv
	ds_read2_b64 v[138:141], v1 offset0:38 offset1:39
	s_cmp_lt_i32 s18, 21
	s_cbranch_scc1 .LBB66_401
; %bb.399:
	v_add3_u32 v147, v148, 0, 0x140
	v_mov_b32_e32 v146, 19
	s_mov_b32 s1, 20
	s_inst_prefetch 0x1
	.p2align	6
.LBB66_400:                             ; =>This Inner Loop Header: Depth=1
	s_waitcnt lgkmcnt(0)
	v_cmp_gt_f64_e32 vcc_lo, 0, v[140:141]
	v_cmp_gt_f64_e64 s0, 0, v[138:139]
	ds_read2_b64 v[153:156], v147 offset1:1
	v_xor_b32_e32 v158, 0x80000000, v139
	v_xor_b32_e32 v160, 0x80000000, v141
	v_mov_b32_e32 v157, v138
	v_mov_b32_e32 v159, v140
	v_add_nc_u32_e32 v147, 16, v147
	s_waitcnt lgkmcnt(0)
	v_xor_b32_e32 v162, 0x80000000, v156
	v_cndmask_b32_e64 v158, v139, v158, s0
	v_cndmask_b32_e32 v160, v141, v160, vcc_lo
	v_cmp_gt_f64_e32 vcc_lo, 0, v[155:156]
	v_cmp_gt_f64_e64 s0, 0, v[153:154]
	v_mov_b32_e32 v161, v155
	v_add_f64 v[157:158], v[157:158], v[159:160]
	v_xor_b32_e32 v160, 0x80000000, v154
	v_mov_b32_e32 v159, v153
	v_cndmask_b32_e32 v162, v156, v162, vcc_lo
	v_cndmask_b32_e64 v160, v154, v160, s0
	v_add_f64 v[159:160], v[159:160], v[161:162]
	v_cmp_lt_f64_e32 vcc_lo, v[157:158], v[159:160]
	v_cndmask_b32_e32 v139, v139, v154, vcc_lo
	v_cndmask_b32_e32 v138, v138, v153, vcc_lo
	;; [unrolled: 1-line block ×4, first 2 shown]
	v_cndmask_b32_e64 v146, v146, s1, vcc_lo
	s_add_i32 s1, s1, 1
	s_cmp_lg_u32 s18, s1
	s_cbranch_scc1 .LBB66_400
.LBB66_401:
	s_inst_prefetch 0x2
	s_waitcnt lgkmcnt(0)
	v_cmp_eq_f64_e32 vcc_lo, 0, v[138:139]
	v_cmp_eq_f64_e64 s0, 0, v[140:141]
	s_and_b32 s0, vcc_lo, s0
	s_and_saveexec_b32 s1, s0
	s_xor_b32 s0, exec_lo, s1
; %bb.402:
	v_cmp_ne_u32_e32 vcc_lo, 0, v151
	v_cndmask_b32_e32 v151, 20, v151, vcc_lo
; %bb.403:
	s_andn2_saveexec_b32 s0, s0
	s_cbranch_execz .LBB66_409
; %bb.404:
	v_cmp_ngt_f64_e64 s1, |v[138:139]|, |v[140:141]|
	s_and_saveexec_b32 s2, s1
	s_xor_b32 s1, exec_lo, s2
	s_cbranch_execz .LBB66_406
; %bb.405:
	v_div_scale_f64 v[153:154], null, v[140:141], v[140:141], v[138:139]
	v_div_scale_f64 v[159:160], vcc_lo, v[138:139], v[140:141], v[138:139]
	v_rcp_f64_e32 v[155:156], v[153:154]
	v_fma_f64 v[157:158], -v[153:154], v[155:156], 1.0
	v_fma_f64 v[155:156], v[155:156], v[157:158], v[155:156]
	v_fma_f64 v[157:158], -v[153:154], v[155:156], 1.0
	v_fma_f64 v[155:156], v[155:156], v[157:158], v[155:156]
	v_mul_f64 v[157:158], v[159:160], v[155:156]
	v_fma_f64 v[153:154], -v[153:154], v[157:158], v[159:160]
	v_div_fmas_f64 v[153:154], v[153:154], v[155:156], v[157:158]
	v_div_fixup_f64 v[153:154], v[153:154], v[140:141], v[138:139]
	v_fma_f64 v[138:139], v[138:139], v[153:154], v[140:141]
	v_div_scale_f64 v[140:141], null, v[138:139], v[138:139], 1.0
	v_rcp_f64_e32 v[155:156], v[140:141]
	v_fma_f64 v[157:158], -v[140:141], v[155:156], 1.0
	v_fma_f64 v[155:156], v[155:156], v[157:158], v[155:156]
	v_fma_f64 v[157:158], -v[140:141], v[155:156], 1.0
	v_fma_f64 v[155:156], v[155:156], v[157:158], v[155:156]
	v_div_scale_f64 v[157:158], vcc_lo, 1.0, v[138:139], 1.0
	v_mul_f64 v[159:160], v[157:158], v[155:156]
	v_fma_f64 v[140:141], -v[140:141], v[159:160], v[157:158]
	v_div_fmas_f64 v[140:141], v[140:141], v[155:156], v[159:160]
	v_div_fixup_f64 v[140:141], v[140:141], v[138:139], 1.0
	v_mul_f64 v[138:139], v[153:154], v[140:141]
	v_xor_b32_e32 v141, 0x80000000, v141
.LBB66_406:
	s_andn2_saveexec_b32 s1, s1
	s_cbranch_execz .LBB66_408
; %bb.407:
	v_div_scale_f64 v[153:154], null, v[138:139], v[138:139], v[140:141]
	v_div_scale_f64 v[159:160], vcc_lo, v[140:141], v[138:139], v[140:141]
	v_rcp_f64_e32 v[155:156], v[153:154]
	v_fma_f64 v[157:158], -v[153:154], v[155:156], 1.0
	v_fma_f64 v[155:156], v[155:156], v[157:158], v[155:156]
	v_fma_f64 v[157:158], -v[153:154], v[155:156], 1.0
	v_fma_f64 v[155:156], v[155:156], v[157:158], v[155:156]
	v_mul_f64 v[157:158], v[159:160], v[155:156]
	v_fma_f64 v[153:154], -v[153:154], v[157:158], v[159:160]
	v_div_fmas_f64 v[153:154], v[153:154], v[155:156], v[157:158]
	v_div_fixup_f64 v[153:154], v[153:154], v[138:139], v[140:141]
	v_fma_f64 v[138:139], v[140:141], v[153:154], v[138:139]
	v_div_scale_f64 v[140:141], null, v[138:139], v[138:139], 1.0
	v_rcp_f64_e32 v[155:156], v[140:141]
	v_fma_f64 v[157:158], -v[140:141], v[155:156], 1.0
	v_fma_f64 v[155:156], v[155:156], v[157:158], v[155:156]
	v_fma_f64 v[157:158], -v[140:141], v[155:156], 1.0
	v_fma_f64 v[155:156], v[155:156], v[157:158], v[155:156]
	v_div_scale_f64 v[157:158], vcc_lo, 1.0, v[138:139], 1.0
	v_mul_f64 v[159:160], v[157:158], v[155:156]
	v_fma_f64 v[140:141], -v[140:141], v[159:160], v[157:158]
	v_div_fmas_f64 v[140:141], v[140:141], v[155:156], v[159:160]
	v_div_fixup_f64 v[138:139], v[140:141], v[138:139], 1.0
	v_mul_f64 v[140:141], v[153:154], -v[138:139]
.LBB66_408:
	s_or_b32 exec_lo, exec_lo, s1
.LBB66_409:
	s_or_b32 exec_lo, exec_lo, s0
	s_mov_b32 s0, exec_lo
	v_cmpx_ne_u32_e64 v152, v146
	s_xor_b32 s0, exec_lo, s0
	s_cbranch_execz .LBB66_415
; %bb.410:
	s_mov_b32 s1, exec_lo
	v_cmpx_eq_u32_e32 19, v152
	s_cbranch_execz .LBB66_414
; %bb.411:
	v_cmp_ne_u32_e32 vcc_lo, 19, v146
	s_xor_b32 s2, s16, -1
	s_and_b32 s3, s2, vcc_lo
	s_and_saveexec_b32 s2, s3
	s_cbranch_execz .LBB66_413
; %bb.412:
	v_ashrrev_i32_e32 v147, 31, v146
	v_lshlrev_b64 v[152:153], 2, v[146:147]
	v_add_co_u32 v152, vcc_lo, v144, v152
	v_add_co_ci_u32_e64 v153, null, v145, v153, vcc_lo
	s_clause 0x1
	global_load_dword v0, v[152:153], off
	global_load_dword v147, v[144:145], off offset:76
	s_waitcnt vmcnt(1)
	global_store_dword v[144:145], v0, off offset:76
	s_waitcnt vmcnt(0)
	global_store_dword v[152:153], v147, off
.LBB66_413:
	s_or_b32 exec_lo, exec_lo, s2
	v_mov_b32_e32 v152, v146
	v_mov_b32_e32 v0, v146
.LBB66_414:
	s_or_b32 exec_lo, exec_lo, s1
.LBB66_415:
	s_andn2_saveexec_b32 s0, s0
	s_cbranch_execz .LBB66_417
; %bb.416:
	v_mov_b32_e32 v152, 19
	ds_write2_b64 v1, v[54:55], v[56:57] offset0:40 offset1:41
	ds_write2_b64 v1, v[50:51], v[52:53] offset0:42 offset1:43
	;; [unrolled: 1-line block ×14, first 2 shown]
.LBB66_417:
	s_or_b32 exec_lo, exec_lo, s0
	s_mov_b32 s0, exec_lo
	s_waitcnt lgkmcnt(0)
	s_waitcnt_vscnt null, 0x0
	s_barrier
	buffer_gl0_inv
	v_cmpx_lt_i32_e32 19, v152
	s_cbranch_execz .LBB66_419
; %bb.418:
	v_mul_f64 v[146:147], v[138:139], v[60:61]
	v_mul_f64 v[60:61], v[140:141], v[60:61]
	v_fma_f64 v[146:147], v[140:141], v[58:59], v[146:147]
	v_fma_f64 v[58:59], v[138:139], v[58:59], -v[60:61]
	ds_read2_b64 v[138:141], v1 offset0:40 offset1:41
	s_waitcnt lgkmcnt(0)
	v_mul_f64 v[60:61], v[140:141], v[146:147]
	v_fma_f64 v[60:61], v[138:139], v[58:59], -v[60:61]
	v_mul_f64 v[138:139], v[138:139], v[146:147]
	v_add_f64 v[54:55], v[54:55], -v[60:61]
	v_fma_f64 v[138:139], v[140:141], v[58:59], v[138:139]
	v_add_f64 v[56:57], v[56:57], -v[138:139]
	ds_read2_b64 v[138:141], v1 offset0:42 offset1:43
	s_waitcnt lgkmcnt(0)
	v_mul_f64 v[60:61], v[140:141], v[146:147]
	v_fma_f64 v[60:61], v[138:139], v[58:59], -v[60:61]
	v_mul_f64 v[138:139], v[138:139], v[146:147]
	v_add_f64 v[50:51], v[50:51], -v[60:61]
	v_fma_f64 v[138:139], v[140:141], v[58:59], v[138:139]
	v_add_f64 v[52:53], v[52:53], -v[138:139]
	ds_read2_b64 v[138:141], v1 offset0:44 offset1:45
	s_waitcnt lgkmcnt(0)
	v_mul_f64 v[60:61], v[140:141], v[146:147]
	v_fma_f64 v[60:61], v[138:139], v[58:59], -v[60:61]
	v_mul_f64 v[138:139], v[138:139], v[146:147]
	v_add_f64 v[46:47], v[46:47], -v[60:61]
	v_fma_f64 v[138:139], v[140:141], v[58:59], v[138:139]
	v_add_f64 v[48:49], v[48:49], -v[138:139]
	ds_read2_b64 v[138:141], v1 offset0:46 offset1:47
	s_waitcnt lgkmcnt(0)
	v_mul_f64 v[60:61], v[140:141], v[146:147]
	v_fma_f64 v[60:61], v[138:139], v[58:59], -v[60:61]
	v_mul_f64 v[138:139], v[138:139], v[146:147]
	v_add_f64 v[42:43], v[42:43], -v[60:61]
	v_fma_f64 v[138:139], v[140:141], v[58:59], v[138:139]
	v_add_f64 v[44:45], v[44:45], -v[138:139]
	ds_read2_b64 v[138:141], v1 offset0:48 offset1:49
	s_waitcnt lgkmcnt(0)
	v_mul_f64 v[60:61], v[140:141], v[146:147]
	v_fma_f64 v[60:61], v[138:139], v[58:59], -v[60:61]
	v_mul_f64 v[138:139], v[138:139], v[146:147]
	v_add_f64 v[38:39], v[38:39], -v[60:61]
	v_fma_f64 v[138:139], v[140:141], v[58:59], v[138:139]
	v_add_f64 v[40:41], v[40:41], -v[138:139]
	ds_read2_b64 v[138:141], v1 offset0:50 offset1:51
	s_waitcnt lgkmcnt(0)
	v_mul_f64 v[60:61], v[140:141], v[146:147]
	v_fma_f64 v[60:61], v[138:139], v[58:59], -v[60:61]
	v_mul_f64 v[138:139], v[138:139], v[146:147]
	v_add_f64 v[34:35], v[34:35], -v[60:61]
	v_fma_f64 v[138:139], v[140:141], v[58:59], v[138:139]
	v_add_f64 v[36:37], v[36:37], -v[138:139]
	ds_read2_b64 v[138:141], v1 offset0:52 offset1:53
	s_waitcnt lgkmcnt(0)
	v_mul_f64 v[60:61], v[140:141], v[146:147]
	v_fma_f64 v[60:61], v[138:139], v[58:59], -v[60:61]
	v_mul_f64 v[138:139], v[138:139], v[146:147]
	v_add_f64 v[30:31], v[30:31], -v[60:61]
	v_fma_f64 v[138:139], v[140:141], v[58:59], v[138:139]
	v_add_f64 v[32:33], v[32:33], -v[138:139]
	ds_read2_b64 v[138:141], v1 offset0:54 offset1:55
	s_waitcnt lgkmcnt(0)
	v_mul_f64 v[60:61], v[140:141], v[146:147]
	v_fma_f64 v[60:61], v[138:139], v[58:59], -v[60:61]
	v_mul_f64 v[138:139], v[138:139], v[146:147]
	v_add_f64 v[26:27], v[26:27], -v[60:61]
	v_fma_f64 v[138:139], v[140:141], v[58:59], v[138:139]
	v_add_f64 v[28:29], v[28:29], -v[138:139]
	ds_read2_b64 v[138:141], v1 offset0:56 offset1:57
	s_waitcnt lgkmcnt(0)
	v_mul_f64 v[60:61], v[140:141], v[146:147]
	v_fma_f64 v[60:61], v[138:139], v[58:59], -v[60:61]
	v_mul_f64 v[138:139], v[138:139], v[146:147]
	v_add_f64 v[22:23], v[22:23], -v[60:61]
	v_fma_f64 v[138:139], v[140:141], v[58:59], v[138:139]
	v_add_f64 v[24:25], v[24:25], -v[138:139]
	ds_read2_b64 v[138:141], v1 offset0:58 offset1:59
	s_waitcnt lgkmcnt(0)
	v_mul_f64 v[60:61], v[140:141], v[146:147]
	v_fma_f64 v[60:61], v[138:139], v[58:59], -v[60:61]
	v_mul_f64 v[138:139], v[138:139], v[146:147]
	v_add_f64 v[18:19], v[18:19], -v[60:61]
	v_fma_f64 v[138:139], v[140:141], v[58:59], v[138:139]
	v_add_f64 v[20:21], v[20:21], -v[138:139]
	ds_read2_b64 v[138:141], v1 offset0:60 offset1:61
	s_waitcnt lgkmcnt(0)
	v_mul_f64 v[60:61], v[140:141], v[146:147]
	v_fma_f64 v[60:61], v[138:139], v[58:59], -v[60:61]
	v_mul_f64 v[138:139], v[138:139], v[146:147]
	v_add_f64 v[14:15], v[14:15], -v[60:61]
	v_fma_f64 v[138:139], v[140:141], v[58:59], v[138:139]
	v_add_f64 v[16:17], v[16:17], -v[138:139]
	ds_read2_b64 v[138:141], v1 offset0:62 offset1:63
	s_waitcnt lgkmcnt(0)
	v_mul_f64 v[60:61], v[140:141], v[146:147]
	v_fma_f64 v[60:61], v[138:139], v[58:59], -v[60:61]
	v_mul_f64 v[138:139], v[138:139], v[146:147]
	v_add_f64 v[10:11], v[10:11], -v[60:61]
	v_fma_f64 v[138:139], v[140:141], v[58:59], v[138:139]
	v_add_f64 v[12:13], v[12:13], -v[138:139]
	ds_read2_b64 v[138:141], v1 offset0:64 offset1:65
	s_waitcnt lgkmcnt(0)
	v_mul_f64 v[60:61], v[140:141], v[146:147]
	v_fma_f64 v[60:61], v[138:139], v[58:59], -v[60:61]
	v_mul_f64 v[138:139], v[138:139], v[146:147]
	v_add_f64 v[6:7], v[6:7], -v[60:61]
	v_fma_f64 v[138:139], v[140:141], v[58:59], v[138:139]
	v_add_f64 v[8:9], v[8:9], -v[138:139]
	ds_read2_b64 v[138:141], v1 offset0:66 offset1:67
	s_waitcnt lgkmcnt(0)
	v_mul_f64 v[60:61], v[140:141], v[146:147]
	v_fma_f64 v[60:61], v[138:139], v[58:59], -v[60:61]
	v_mul_f64 v[138:139], v[138:139], v[146:147]
	v_add_f64 v[2:3], v[2:3], -v[60:61]
	v_fma_f64 v[138:139], v[140:141], v[58:59], v[138:139]
	v_mov_b32_e32 v60, v146
	v_mov_b32_e32 v61, v147
	v_add_f64 v[4:5], v[4:5], -v[138:139]
.LBB66_419:
	s_or_b32 exec_lo, exec_lo, s0
	v_lshl_add_u32 v138, v152, 4, v1
	s_barrier
	buffer_gl0_inv
	v_mov_b32_e32 v146, 20
	ds_write2_b64 v138, v[54:55], v[56:57] offset1:1
	s_waitcnt lgkmcnt(0)
	s_barrier
	buffer_gl0_inv
	ds_read2_b64 v[138:141], v1 offset0:40 offset1:41
	s_cmp_lt_i32 s18, 22
	s_cbranch_scc1 .LBB66_422
; %bb.420:
	v_add3_u32 v147, v148, 0, 0x150
	v_mov_b32_e32 v146, 20
	s_mov_b32 s1, 21
	s_inst_prefetch 0x1
	.p2align	6
.LBB66_421:                             ; =>This Inner Loop Header: Depth=1
	s_waitcnt lgkmcnt(0)
	v_cmp_gt_f64_e32 vcc_lo, 0, v[140:141]
	v_cmp_gt_f64_e64 s0, 0, v[138:139]
	ds_read2_b64 v[153:156], v147 offset1:1
	v_xor_b32_e32 v158, 0x80000000, v139
	v_xor_b32_e32 v160, 0x80000000, v141
	v_mov_b32_e32 v157, v138
	v_mov_b32_e32 v159, v140
	v_add_nc_u32_e32 v147, 16, v147
	s_waitcnt lgkmcnt(0)
	v_xor_b32_e32 v162, 0x80000000, v156
	v_cndmask_b32_e64 v158, v139, v158, s0
	v_cndmask_b32_e32 v160, v141, v160, vcc_lo
	v_cmp_gt_f64_e32 vcc_lo, 0, v[155:156]
	v_cmp_gt_f64_e64 s0, 0, v[153:154]
	v_mov_b32_e32 v161, v155
	v_add_f64 v[157:158], v[157:158], v[159:160]
	v_xor_b32_e32 v160, 0x80000000, v154
	v_mov_b32_e32 v159, v153
	v_cndmask_b32_e32 v162, v156, v162, vcc_lo
	v_cndmask_b32_e64 v160, v154, v160, s0
	v_add_f64 v[159:160], v[159:160], v[161:162]
	v_cmp_lt_f64_e32 vcc_lo, v[157:158], v[159:160]
	v_cndmask_b32_e32 v139, v139, v154, vcc_lo
	v_cndmask_b32_e32 v138, v138, v153, vcc_lo
	;; [unrolled: 1-line block ×4, first 2 shown]
	v_cndmask_b32_e64 v146, v146, s1, vcc_lo
	s_add_i32 s1, s1, 1
	s_cmp_lg_u32 s18, s1
	s_cbranch_scc1 .LBB66_421
.LBB66_422:
	s_inst_prefetch 0x2
	s_waitcnt lgkmcnt(0)
	v_cmp_eq_f64_e32 vcc_lo, 0, v[138:139]
	v_cmp_eq_f64_e64 s0, 0, v[140:141]
	s_and_b32 s0, vcc_lo, s0
	s_and_saveexec_b32 s1, s0
	s_xor_b32 s0, exec_lo, s1
; %bb.423:
	v_cmp_ne_u32_e32 vcc_lo, 0, v151
	v_cndmask_b32_e32 v151, 21, v151, vcc_lo
; %bb.424:
	s_andn2_saveexec_b32 s0, s0
	s_cbranch_execz .LBB66_430
; %bb.425:
	v_cmp_ngt_f64_e64 s1, |v[138:139]|, |v[140:141]|
	s_and_saveexec_b32 s2, s1
	s_xor_b32 s1, exec_lo, s2
	s_cbranch_execz .LBB66_427
; %bb.426:
	v_div_scale_f64 v[153:154], null, v[140:141], v[140:141], v[138:139]
	v_div_scale_f64 v[159:160], vcc_lo, v[138:139], v[140:141], v[138:139]
	v_rcp_f64_e32 v[155:156], v[153:154]
	v_fma_f64 v[157:158], -v[153:154], v[155:156], 1.0
	v_fma_f64 v[155:156], v[155:156], v[157:158], v[155:156]
	v_fma_f64 v[157:158], -v[153:154], v[155:156], 1.0
	v_fma_f64 v[155:156], v[155:156], v[157:158], v[155:156]
	v_mul_f64 v[157:158], v[159:160], v[155:156]
	v_fma_f64 v[153:154], -v[153:154], v[157:158], v[159:160]
	v_div_fmas_f64 v[153:154], v[153:154], v[155:156], v[157:158]
	v_div_fixup_f64 v[153:154], v[153:154], v[140:141], v[138:139]
	v_fma_f64 v[138:139], v[138:139], v[153:154], v[140:141]
	v_div_scale_f64 v[140:141], null, v[138:139], v[138:139], 1.0
	v_rcp_f64_e32 v[155:156], v[140:141]
	v_fma_f64 v[157:158], -v[140:141], v[155:156], 1.0
	v_fma_f64 v[155:156], v[155:156], v[157:158], v[155:156]
	v_fma_f64 v[157:158], -v[140:141], v[155:156], 1.0
	v_fma_f64 v[155:156], v[155:156], v[157:158], v[155:156]
	v_div_scale_f64 v[157:158], vcc_lo, 1.0, v[138:139], 1.0
	v_mul_f64 v[159:160], v[157:158], v[155:156]
	v_fma_f64 v[140:141], -v[140:141], v[159:160], v[157:158]
	v_div_fmas_f64 v[140:141], v[140:141], v[155:156], v[159:160]
	v_div_fixup_f64 v[140:141], v[140:141], v[138:139], 1.0
	v_mul_f64 v[138:139], v[153:154], v[140:141]
	v_xor_b32_e32 v141, 0x80000000, v141
.LBB66_427:
	s_andn2_saveexec_b32 s1, s1
	s_cbranch_execz .LBB66_429
; %bb.428:
	v_div_scale_f64 v[153:154], null, v[138:139], v[138:139], v[140:141]
	v_div_scale_f64 v[159:160], vcc_lo, v[140:141], v[138:139], v[140:141]
	v_rcp_f64_e32 v[155:156], v[153:154]
	v_fma_f64 v[157:158], -v[153:154], v[155:156], 1.0
	v_fma_f64 v[155:156], v[155:156], v[157:158], v[155:156]
	v_fma_f64 v[157:158], -v[153:154], v[155:156], 1.0
	v_fma_f64 v[155:156], v[155:156], v[157:158], v[155:156]
	v_mul_f64 v[157:158], v[159:160], v[155:156]
	v_fma_f64 v[153:154], -v[153:154], v[157:158], v[159:160]
	v_div_fmas_f64 v[153:154], v[153:154], v[155:156], v[157:158]
	v_div_fixup_f64 v[153:154], v[153:154], v[138:139], v[140:141]
	v_fma_f64 v[138:139], v[140:141], v[153:154], v[138:139]
	v_div_scale_f64 v[140:141], null, v[138:139], v[138:139], 1.0
	v_rcp_f64_e32 v[155:156], v[140:141]
	v_fma_f64 v[157:158], -v[140:141], v[155:156], 1.0
	v_fma_f64 v[155:156], v[155:156], v[157:158], v[155:156]
	v_fma_f64 v[157:158], -v[140:141], v[155:156], 1.0
	v_fma_f64 v[155:156], v[155:156], v[157:158], v[155:156]
	v_div_scale_f64 v[157:158], vcc_lo, 1.0, v[138:139], 1.0
	v_mul_f64 v[159:160], v[157:158], v[155:156]
	v_fma_f64 v[140:141], -v[140:141], v[159:160], v[157:158]
	v_div_fmas_f64 v[140:141], v[140:141], v[155:156], v[159:160]
	v_div_fixup_f64 v[138:139], v[140:141], v[138:139], 1.0
	v_mul_f64 v[140:141], v[153:154], -v[138:139]
.LBB66_429:
	s_or_b32 exec_lo, exec_lo, s1
.LBB66_430:
	s_or_b32 exec_lo, exec_lo, s0
	s_mov_b32 s0, exec_lo
	v_cmpx_ne_u32_e64 v152, v146
	s_xor_b32 s0, exec_lo, s0
	s_cbranch_execz .LBB66_436
; %bb.431:
	s_mov_b32 s1, exec_lo
	v_cmpx_eq_u32_e32 20, v152
	s_cbranch_execz .LBB66_435
; %bb.432:
	v_cmp_ne_u32_e32 vcc_lo, 20, v146
	s_xor_b32 s2, s16, -1
	s_and_b32 s3, s2, vcc_lo
	s_and_saveexec_b32 s2, s3
	s_cbranch_execz .LBB66_434
; %bb.433:
	v_ashrrev_i32_e32 v147, 31, v146
	v_lshlrev_b64 v[152:153], 2, v[146:147]
	v_add_co_u32 v152, vcc_lo, v144, v152
	v_add_co_ci_u32_e64 v153, null, v145, v153, vcc_lo
	s_clause 0x1
	global_load_dword v0, v[152:153], off
	global_load_dword v147, v[144:145], off offset:80
	s_waitcnt vmcnt(1)
	global_store_dword v[144:145], v0, off offset:80
	s_waitcnt vmcnt(0)
	global_store_dword v[152:153], v147, off
.LBB66_434:
	s_or_b32 exec_lo, exec_lo, s2
	v_mov_b32_e32 v152, v146
	v_mov_b32_e32 v0, v146
.LBB66_435:
	s_or_b32 exec_lo, exec_lo, s1
.LBB66_436:
	s_andn2_saveexec_b32 s0, s0
	s_cbranch_execz .LBB66_438
; %bb.437:
	v_mov_b32_e32 v152, 20
	ds_write2_b64 v1, v[50:51], v[52:53] offset0:42 offset1:43
	ds_write2_b64 v1, v[46:47], v[48:49] offset0:44 offset1:45
	ds_write2_b64 v1, v[42:43], v[44:45] offset0:46 offset1:47
	ds_write2_b64 v1, v[38:39], v[40:41] offset0:48 offset1:49
	ds_write2_b64 v1, v[34:35], v[36:37] offset0:50 offset1:51
	ds_write2_b64 v1, v[30:31], v[32:33] offset0:52 offset1:53
	ds_write2_b64 v1, v[26:27], v[28:29] offset0:54 offset1:55
	ds_write2_b64 v1, v[22:23], v[24:25] offset0:56 offset1:57
	ds_write2_b64 v1, v[18:19], v[20:21] offset0:58 offset1:59
	ds_write2_b64 v1, v[14:15], v[16:17] offset0:60 offset1:61
	ds_write2_b64 v1, v[10:11], v[12:13] offset0:62 offset1:63
	ds_write2_b64 v1, v[6:7], v[8:9] offset0:64 offset1:65
	ds_write2_b64 v1, v[2:3], v[4:5] offset0:66 offset1:67
.LBB66_438:
	s_or_b32 exec_lo, exec_lo, s0
	s_mov_b32 s0, exec_lo
	s_waitcnt lgkmcnt(0)
	s_waitcnt_vscnt null, 0x0
	s_barrier
	buffer_gl0_inv
	v_cmpx_lt_i32_e32 20, v152
	s_cbranch_execz .LBB66_440
; %bb.439:
	v_mul_f64 v[146:147], v[138:139], v[56:57]
	v_mul_f64 v[56:57], v[140:141], v[56:57]
	v_fma_f64 v[146:147], v[140:141], v[54:55], v[146:147]
	v_fma_f64 v[54:55], v[138:139], v[54:55], -v[56:57]
	ds_read2_b64 v[138:141], v1 offset0:42 offset1:43
	s_waitcnt lgkmcnt(0)
	v_mul_f64 v[56:57], v[140:141], v[146:147]
	v_fma_f64 v[56:57], v[138:139], v[54:55], -v[56:57]
	v_mul_f64 v[138:139], v[138:139], v[146:147]
	v_add_f64 v[50:51], v[50:51], -v[56:57]
	v_fma_f64 v[138:139], v[140:141], v[54:55], v[138:139]
	v_add_f64 v[52:53], v[52:53], -v[138:139]
	ds_read2_b64 v[138:141], v1 offset0:44 offset1:45
	s_waitcnt lgkmcnt(0)
	v_mul_f64 v[56:57], v[140:141], v[146:147]
	v_fma_f64 v[56:57], v[138:139], v[54:55], -v[56:57]
	v_mul_f64 v[138:139], v[138:139], v[146:147]
	v_add_f64 v[46:47], v[46:47], -v[56:57]
	v_fma_f64 v[138:139], v[140:141], v[54:55], v[138:139]
	v_add_f64 v[48:49], v[48:49], -v[138:139]
	;; [unrolled: 8-line block ×12, first 2 shown]
	ds_read2_b64 v[138:141], v1 offset0:66 offset1:67
	s_waitcnt lgkmcnt(0)
	v_mul_f64 v[56:57], v[140:141], v[146:147]
	v_fma_f64 v[56:57], v[138:139], v[54:55], -v[56:57]
	v_mul_f64 v[138:139], v[138:139], v[146:147]
	v_add_f64 v[2:3], v[2:3], -v[56:57]
	v_fma_f64 v[138:139], v[140:141], v[54:55], v[138:139]
	v_mov_b32_e32 v56, v146
	v_mov_b32_e32 v57, v147
	v_add_f64 v[4:5], v[4:5], -v[138:139]
.LBB66_440:
	s_or_b32 exec_lo, exec_lo, s0
	v_lshl_add_u32 v138, v152, 4, v1
	s_barrier
	buffer_gl0_inv
	v_mov_b32_e32 v146, 21
	ds_write2_b64 v138, v[50:51], v[52:53] offset1:1
	s_waitcnt lgkmcnt(0)
	s_barrier
	buffer_gl0_inv
	ds_read2_b64 v[138:141], v1 offset0:42 offset1:43
	s_cmp_lt_i32 s18, 23
	s_cbranch_scc1 .LBB66_443
; %bb.441:
	v_add3_u32 v147, v148, 0, 0x160
	v_mov_b32_e32 v146, 21
	s_mov_b32 s1, 22
	s_inst_prefetch 0x1
	.p2align	6
.LBB66_442:                             ; =>This Inner Loop Header: Depth=1
	s_waitcnt lgkmcnt(0)
	v_cmp_gt_f64_e32 vcc_lo, 0, v[140:141]
	v_cmp_gt_f64_e64 s0, 0, v[138:139]
	ds_read2_b64 v[153:156], v147 offset1:1
	v_xor_b32_e32 v158, 0x80000000, v139
	v_xor_b32_e32 v160, 0x80000000, v141
	v_mov_b32_e32 v157, v138
	v_mov_b32_e32 v159, v140
	v_add_nc_u32_e32 v147, 16, v147
	s_waitcnt lgkmcnt(0)
	v_xor_b32_e32 v162, 0x80000000, v156
	v_cndmask_b32_e64 v158, v139, v158, s0
	v_cndmask_b32_e32 v160, v141, v160, vcc_lo
	v_cmp_gt_f64_e32 vcc_lo, 0, v[155:156]
	v_cmp_gt_f64_e64 s0, 0, v[153:154]
	v_mov_b32_e32 v161, v155
	v_add_f64 v[157:158], v[157:158], v[159:160]
	v_xor_b32_e32 v160, 0x80000000, v154
	v_mov_b32_e32 v159, v153
	v_cndmask_b32_e32 v162, v156, v162, vcc_lo
	v_cndmask_b32_e64 v160, v154, v160, s0
	v_add_f64 v[159:160], v[159:160], v[161:162]
	v_cmp_lt_f64_e32 vcc_lo, v[157:158], v[159:160]
	v_cndmask_b32_e32 v139, v139, v154, vcc_lo
	v_cndmask_b32_e32 v138, v138, v153, vcc_lo
	;; [unrolled: 1-line block ×4, first 2 shown]
	v_cndmask_b32_e64 v146, v146, s1, vcc_lo
	s_add_i32 s1, s1, 1
	s_cmp_lg_u32 s18, s1
	s_cbranch_scc1 .LBB66_442
.LBB66_443:
	s_inst_prefetch 0x2
	s_waitcnt lgkmcnt(0)
	v_cmp_eq_f64_e32 vcc_lo, 0, v[138:139]
	v_cmp_eq_f64_e64 s0, 0, v[140:141]
	s_and_b32 s0, vcc_lo, s0
	s_and_saveexec_b32 s1, s0
	s_xor_b32 s0, exec_lo, s1
; %bb.444:
	v_cmp_ne_u32_e32 vcc_lo, 0, v151
	v_cndmask_b32_e32 v151, 22, v151, vcc_lo
; %bb.445:
	s_andn2_saveexec_b32 s0, s0
	s_cbranch_execz .LBB66_451
; %bb.446:
	v_cmp_ngt_f64_e64 s1, |v[138:139]|, |v[140:141]|
	s_and_saveexec_b32 s2, s1
	s_xor_b32 s1, exec_lo, s2
	s_cbranch_execz .LBB66_448
; %bb.447:
	v_div_scale_f64 v[153:154], null, v[140:141], v[140:141], v[138:139]
	v_div_scale_f64 v[159:160], vcc_lo, v[138:139], v[140:141], v[138:139]
	v_rcp_f64_e32 v[155:156], v[153:154]
	v_fma_f64 v[157:158], -v[153:154], v[155:156], 1.0
	v_fma_f64 v[155:156], v[155:156], v[157:158], v[155:156]
	v_fma_f64 v[157:158], -v[153:154], v[155:156], 1.0
	v_fma_f64 v[155:156], v[155:156], v[157:158], v[155:156]
	v_mul_f64 v[157:158], v[159:160], v[155:156]
	v_fma_f64 v[153:154], -v[153:154], v[157:158], v[159:160]
	v_div_fmas_f64 v[153:154], v[153:154], v[155:156], v[157:158]
	v_div_fixup_f64 v[153:154], v[153:154], v[140:141], v[138:139]
	v_fma_f64 v[138:139], v[138:139], v[153:154], v[140:141]
	v_div_scale_f64 v[140:141], null, v[138:139], v[138:139], 1.0
	v_rcp_f64_e32 v[155:156], v[140:141]
	v_fma_f64 v[157:158], -v[140:141], v[155:156], 1.0
	v_fma_f64 v[155:156], v[155:156], v[157:158], v[155:156]
	v_fma_f64 v[157:158], -v[140:141], v[155:156], 1.0
	v_fma_f64 v[155:156], v[155:156], v[157:158], v[155:156]
	v_div_scale_f64 v[157:158], vcc_lo, 1.0, v[138:139], 1.0
	v_mul_f64 v[159:160], v[157:158], v[155:156]
	v_fma_f64 v[140:141], -v[140:141], v[159:160], v[157:158]
	v_div_fmas_f64 v[140:141], v[140:141], v[155:156], v[159:160]
	v_div_fixup_f64 v[140:141], v[140:141], v[138:139], 1.0
	v_mul_f64 v[138:139], v[153:154], v[140:141]
	v_xor_b32_e32 v141, 0x80000000, v141
.LBB66_448:
	s_andn2_saveexec_b32 s1, s1
	s_cbranch_execz .LBB66_450
; %bb.449:
	v_div_scale_f64 v[153:154], null, v[138:139], v[138:139], v[140:141]
	v_div_scale_f64 v[159:160], vcc_lo, v[140:141], v[138:139], v[140:141]
	v_rcp_f64_e32 v[155:156], v[153:154]
	v_fma_f64 v[157:158], -v[153:154], v[155:156], 1.0
	v_fma_f64 v[155:156], v[155:156], v[157:158], v[155:156]
	v_fma_f64 v[157:158], -v[153:154], v[155:156], 1.0
	v_fma_f64 v[155:156], v[155:156], v[157:158], v[155:156]
	v_mul_f64 v[157:158], v[159:160], v[155:156]
	v_fma_f64 v[153:154], -v[153:154], v[157:158], v[159:160]
	v_div_fmas_f64 v[153:154], v[153:154], v[155:156], v[157:158]
	v_div_fixup_f64 v[153:154], v[153:154], v[138:139], v[140:141]
	v_fma_f64 v[138:139], v[140:141], v[153:154], v[138:139]
	v_div_scale_f64 v[140:141], null, v[138:139], v[138:139], 1.0
	v_rcp_f64_e32 v[155:156], v[140:141]
	v_fma_f64 v[157:158], -v[140:141], v[155:156], 1.0
	v_fma_f64 v[155:156], v[155:156], v[157:158], v[155:156]
	v_fma_f64 v[157:158], -v[140:141], v[155:156], 1.0
	v_fma_f64 v[155:156], v[155:156], v[157:158], v[155:156]
	v_div_scale_f64 v[157:158], vcc_lo, 1.0, v[138:139], 1.0
	v_mul_f64 v[159:160], v[157:158], v[155:156]
	v_fma_f64 v[140:141], -v[140:141], v[159:160], v[157:158]
	v_div_fmas_f64 v[140:141], v[140:141], v[155:156], v[159:160]
	v_div_fixup_f64 v[138:139], v[140:141], v[138:139], 1.0
	v_mul_f64 v[140:141], v[153:154], -v[138:139]
.LBB66_450:
	s_or_b32 exec_lo, exec_lo, s1
.LBB66_451:
	s_or_b32 exec_lo, exec_lo, s0
	s_mov_b32 s0, exec_lo
	v_cmpx_ne_u32_e64 v152, v146
	s_xor_b32 s0, exec_lo, s0
	s_cbranch_execz .LBB66_457
; %bb.452:
	s_mov_b32 s1, exec_lo
	v_cmpx_eq_u32_e32 21, v152
	s_cbranch_execz .LBB66_456
; %bb.453:
	v_cmp_ne_u32_e32 vcc_lo, 21, v146
	s_xor_b32 s2, s16, -1
	s_and_b32 s3, s2, vcc_lo
	s_and_saveexec_b32 s2, s3
	s_cbranch_execz .LBB66_455
; %bb.454:
	v_ashrrev_i32_e32 v147, 31, v146
	v_lshlrev_b64 v[152:153], 2, v[146:147]
	v_add_co_u32 v152, vcc_lo, v144, v152
	v_add_co_ci_u32_e64 v153, null, v145, v153, vcc_lo
	s_clause 0x1
	global_load_dword v0, v[152:153], off
	global_load_dword v147, v[144:145], off offset:84
	s_waitcnt vmcnt(1)
	global_store_dword v[144:145], v0, off offset:84
	s_waitcnt vmcnt(0)
	global_store_dword v[152:153], v147, off
.LBB66_455:
	s_or_b32 exec_lo, exec_lo, s2
	v_mov_b32_e32 v152, v146
	v_mov_b32_e32 v0, v146
.LBB66_456:
	s_or_b32 exec_lo, exec_lo, s1
.LBB66_457:
	s_andn2_saveexec_b32 s0, s0
	s_cbranch_execz .LBB66_459
; %bb.458:
	v_mov_b32_e32 v152, 21
	ds_write2_b64 v1, v[46:47], v[48:49] offset0:44 offset1:45
	ds_write2_b64 v1, v[42:43], v[44:45] offset0:46 offset1:47
	;; [unrolled: 1-line block ×12, first 2 shown]
.LBB66_459:
	s_or_b32 exec_lo, exec_lo, s0
	s_mov_b32 s0, exec_lo
	s_waitcnt lgkmcnt(0)
	s_waitcnt_vscnt null, 0x0
	s_barrier
	buffer_gl0_inv
	v_cmpx_lt_i32_e32 21, v152
	s_cbranch_execz .LBB66_461
; %bb.460:
	v_mul_f64 v[146:147], v[138:139], v[52:53]
	v_mul_f64 v[52:53], v[140:141], v[52:53]
	v_fma_f64 v[146:147], v[140:141], v[50:51], v[146:147]
	v_fma_f64 v[50:51], v[138:139], v[50:51], -v[52:53]
	ds_read2_b64 v[138:141], v1 offset0:44 offset1:45
	s_waitcnt lgkmcnt(0)
	v_mul_f64 v[52:53], v[140:141], v[146:147]
	v_fma_f64 v[52:53], v[138:139], v[50:51], -v[52:53]
	v_mul_f64 v[138:139], v[138:139], v[146:147]
	v_add_f64 v[46:47], v[46:47], -v[52:53]
	v_fma_f64 v[138:139], v[140:141], v[50:51], v[138:139]
	v_add_f64 v[48:49], v[48:49], -v[138:139]
	ds_read2_b64 v[138:141], v1 offset0:46 offset1:47
	s_waitcnt lgkmcnt(0)
	v_mul_f64 v[52:53], v[140:141], v[146:147]
	v_fma_f64 v[52:53], v[138:139], v[50:51], -v[52:53]
	v_mul_f64 v[138:139], v[138:139], v[146:147]
	v_add_f64 v[42:43], v[42:43], -v[52:53]
	v_fma_f64 v[138:139], v[140:141], v[50:51], v[138:139]
	v_add_f64 v[44:45], v[44:45], -v[138:139]
	;; [unrolled: 8-line block ×11, first 2 shown]
	ds_read2_b64 v[138:141], v1 offset0:66 offset1:67
	s_waitcnt lgkmcnt(0)
	v_mul_f64 v[52:53], v[140:141], v[146:147]
	v_fma_f64 v[52:53], v[138:139], v[50:51], -v[52:53]
	v_mul_f64 v[138:139], v[138:139], v[146:147]
	v_add_f64 v[2:3], v[2:3], -v[52:53]
	v_fma_f64 v[138:139], v[140:141], v[50:51], v[138:139]
	v_mov_b32_e32 v52, v146
	v_mov_b32_e32 v53, v147
	v_add_f64 v[4:5], v[4:5], -v[138:139]
.LBB66_461:
	s_or_b32 exec_lo, exec_lo, s0
	v_lshl_add_u32 v138, v152, 4, v1
	s_barrier
	buffer_gl0_inv
	v_mov_b32_e32 v146, 22
	ds_write2_b64 v138, v[46:47], v[48:49] offset1:1
	s_waitcnt lgkmcnt(0)
	s_barrier
	buffer_gl0_inv
	ds_read2_b64 v[138:141], v1 offset0:44 offset1:45
	s_cmp_lt_i32 s18, 24
	s_cbranch_scc1 .LBB66_464
; %bb.462:
	v_add3_u32 v147, v148, 0, 0x170
	v_mov_b32_e32 v146, 22
	s_mov_b32 s1, 23
	s_inst_prefetch 0x1
	.p2align	6
.LBB66_463:                             ; =>This Inner Loop Header: Depth=1
	s_waitcnt lgkmcnt(0)
	v_cmp_gt_f64_e32 vcc_lo, 0, v[140:141]
	v_cmp_gt_f64_e64 s0, 0, v[138:139]
	ds_read2_b64 v[153:156], v147 offset1:1
	v_xor_b32_e32 v158, 0x80000000, v139
	v_xor_b32_e32 v160, 0x80000000, v141
	v_mov_b32_e32 v157, v138
	v_mov_b32_e32 v159, v140
	v_add_nc_u32_e32 v147, 16, v147
	s_waitcnt lgkmcnt(0)
	v_xor_b32_e32 v162, 0x80000000, v156
	v_cndmask_b32_e64 v158, v139, v158, s0
	v_cndmask_b32_e32 v160, v141, v160, vcc_lo
	v_cmp_gt_f64_e32 vcc_lo, 0, v[155:156]
	v_cmp_gt_f64_e64 s0, 0, v[153:154]
	v_mov_b32_e32 v161, v155
	v_add_f64 v[157:158], v[157:158], v[159:160]
	v_xor_b32_e32 v160, 0x80000000, v154
	v_mov_b32_e32 v159, v153
	v_cndmask_b32_e32 v162, v156, v162, vcc_lo
	v_cndmask_b32_e64 v160, v154, v160, s0
	v_add_f64 v[159:160], v[159:160], v[161:162]
	v_cmp_lt_f64_e32 vcc_lo, v[157:158], v[159:160]
	v_cndmask_b32_e32 v139, v139, v154, vcc_lo
	v_cndmask_b32_e32 v138, v138, v153, vcc_lo
	;; [unrolled: 1-line block ×4, first 2 shown]
	v_cndmask_b32_e64 v146, v146, s1, vcc_lo
	s_add_i32 s1, s1, 1
	s_cmp_lg_u32 s18, s1
	s_cbranch_scc1 .LBB66_463
.LBB66_464:
	s_inst_prefetch 0x2
	s_waitcnt lgkmcnt(0)
	v_cmp_eq_f64_e32 vcc_lo, 0, v[138:139]
	v_cmp_eq_f64_e64 s0, 0, v[140:141]
	s_and_b32 s0, vcc_lo, s0
	s_and_saveexec_b32 s1, s0
	s_xor_b32 s0, exec_lo, s1
; %bb.465:
	v_cmp_ne_u32_e32 vcc_lo, 0, v151
	v_cndmask_b32_e32 v151, 23, v151, vcc_lo
; %bb.466:
	s_andn2_saveexec_b32 s0, s0
	s_cbranch_execz .LBB66_472
; %bb.467:
	v_cmp_ngt_f64_e64 s1, |v[138:139]|, |v[140:141]|
	s_and_saveexec_b32 s2, s1
	s_xor_b32 s1, exec_lo, s2
	s_cbranch_execz .LBB66_469
; %bb.468:
	v_div_scale_f64 v[153:154], null, v[140:141], v[140:141], v[138:139]
	v_div_scale_f64 v[159:160], vcc_lo, v[138:139], v[140:141], v[138:139]
	v_rcp_f64_e32 v[155:156], v[153:154]
	v_fma_f64 v[157:158], -v[153:154], v[155:156], 1.0
	v_fma_f64 v[155:156], v[155:156], v[157:158], v[155:156]
	v_fma_f64 v[157:158], -v[153:154], v[155:156], 1.0
	v_fma_f64 v[155:156], v[155:156], v[157:158], v[155:156]
	v_mul_f64 v[157:158], v[159:160], v[155:156]
	v_fma_f64 v[153:154], -v[153:154], v[157:158], v[159:160]
	v_div_fmas_f64 v[153:154], v[153:154], v[155:156], v[157:158]
	v_div_fixup_f64 v[153:154], v[153:154], v[140:141], v[138:139]
	v_fma_f64 v[138:139], v[138:139], v[153:154], v[140:141]
	v_div_scale_f64 v[140:141], null, v[138:139], v[138:139], 1.0
	v_rcp_f64_e32 v[155:156], v[140:141]
	v_fma_f64 v[157:158], -v[140:141], v[155:156], 1.0
	v_fma_f64 v[155:156], v[155:156], v[157:158], v[155:156]
	v_fma_f64 v[157:158], -v[140:141], v[155:156], 1.0
	v_fma_f64 v[155:156], v[155:156], v[157:158], v[155:156]
	v_div_scale_f64 v[157:158], vcc_lo, 1.0, v[138:139], 1.0
	v_mul_f64 v[159:160], v[157:158], v[155:156]
	v_fma_f64 v[140:141], -v[140:141], v[159:160], v[157:158]
	v_div_fmas_f64 v[140:141], v[140:141], v[155:156], v[159:160]
	v_div_fixup_f64 v[140:141], v[140:141], v[138:139], 1.0
	v_mul_f64 v[138:139], v[153:154], v[140:141]
	v_xor_b32_e32 v141, 0x80000000, v141
.LBB66_469:
	s_andn2_saveexec_b32 s1, s1
	s_cbranch_execz .LBB66_471
; %bb.470:
	v_div_scale_f64 v[153:154], null, v[138:139], v[138:139], v[140:141]
	v_div_scale_f64 v[159:160], vcc_lo, v[140:141], v[138:139], v[140:141]
	v_rcp_f64_e32 v[155:156], v[153:154]
	v_fma_f64 v[157:158], -v[153:154], v[155:156], 1.0
	v_fma_f64 v[155:156], v[155:156], v[157:158], v[155:156]
	v_fma_f64 v[157:158], -v[153:154], v[155:156], 1.0
	v_fma_f64 v[155:156], v[155:156], v[157:158], v[155:156]
	v_mul_f64 v[157:158], v[159:160], v[155:156]
	v_fma_f64 v[153:154], -v[153:154], v[157:158], v[159:160]
	v_div_fmas_f64 v[153:154], v[153:154], v[155:156], v[157:158]
	v_div_fixup_f64 v[153:154], v[153:154], v[138:139], v[140:141]
	v_fma_f64 v[138:139], v[140:141], v[153:154], v[138:139]
	v_div_scale_f64 v[140:141], null, v[138:139], v[138:139], 1.0
	v_rcp_f64_e32 v[155:156], v[140:141]
	v_fma_f64 v[157:158], -v[140:141], v[155:156], 1.0
	v_fma_f64 v[155:156], v[155:156], v[157:158], v[155:156]
	v_fma_f64 v[157:158], -v[140:141], v[155:156], 1.0
	v_fma_f64 v[155:156], v[155:156], v[157:158], v[155:156]
	v_div_scale_f64 v[157:158], vcc_lo, 1.0, v[138:139], 1.0
	v_mul_f64 v[159:160], v[157:158], v[155:156]
	v_fma_f64 v[140:141], -v[140:141], v[159:160], v[157:158]
	v_div_fmas_f64 v[140:141], v[140:141], v[155:156], v[159:160]
	v_div_fixup_f64 v[138:139], v[140:141], v[138:139], 1.0
	v_mul_f64 v[140:141], v[153:154], -v[138:139]
.LBB66_471:
	s_or_b32 exec_lo, exec_lo, s1
.LBB66_472:
	s_or_b32 exec_lo, exec_lo, s0
	s_mov_b32 s0, exec_lo
	v_cmpx_ne_u32_e64 v152, v146
	s_xor_b32 s0, exec_lo, s0
	s_cbranch_execz .LBB66_478
; %bb.473:
	s_mov_b32 s1, exec_lo
	v_cmpx_eq_u32_e32 22, v152
	s_cbranch_execz .LBB66_477
; %bb.474:
	v_cmp_ne_u32_e32 vcc_lo, 22, v146
	s_xor_b32 s2, s16, -1
	s_and_b32 s3, s2, vcc_lo
	s_and_saveexec_b32 s2, s3
	s_cbranch_execz .LBB66_476
; %bb.475:
	v_ashrrev_i32_e32 v147, 31, v146
	v_lshlrev_b64 v[152:153], 2, v[146:147]
	v_add_co_u32 v152, vcc_lo, v144, v152
	v_add_co_ci_u32_e64 v153, null, v145, v153, vcc_lo
	s_clause 0x1
	global_load_dword v0, v[152:153], off
	global_load_dword v147, v[144:145], off offset:88
	s_waitcnt vmcnt(1)
	global_store_dword v[144:145], v0, off offset:88
	s_waitcnt vmcnt(0)
	global_store_dword v[152:153], v147, off
.LBB66_476:
	s_or_b32 exec_lo, exec_lo, s2
	v_mov_b32_e32 v152, v146
	v_mov_b32_e32 v0, v146
.LBB66_477:
	s_or_b32 exec_lo, exec_lo, s1
.LBB66_478:
	s_andn2_saveexec_b32 s0, s0
	s_cbranch_execz .LBB66_480
; %bb.479:
	v_mov_b32_e32 v152, 22
	ds_write2_b64 v1, v[42:43], v[44:45] offset0:46 offset1:47
	ds_write2_b64 v1, v[38:39], v[40:41] offset0:48 offset1:49
	ds_write2_b64 v1, v[34:35], v[36:37] offset0:50 offset1:51
	ds_write2_b64 v1, v[30:31], v[32:33] offset0:52 offset1:53
	ds_write2_b64 v1, v[26:27], v[28:29] offset0:54 offset1:55
	ds_write2_b64 v1, v[22:23], v[24:25] offset0:56 offset1:57
	ds_write2_b64 v1, v[18:19], v[20:21] offset0:58 offset1:59
	ds_write2_b64 v1, v[14:15], v[16:17] offset0:60 offset1:61
	ds_write2_b64 v1, v[10:11], v[12:13] offset0:62 offset1:63
	ds_write2_b64 v1, v[6:7], v[8:9] offset0:64 offset1:65
	ds_write2_b64 v1, v[2:3], v[4:5] offset0:66 offset1:67
.LBB66_480:
	s_or_b32 exec_lo, exec_lo, s0
	s_mov_b32 s0, exec_lo
	s_waitcnt lgkmcnt(0)
	s_waitcnt_vscnt null, 0x0
	s_barrier
	buffer_gl0_inv
	v_cmpx_lt_i32_e32 22, v152
	s_cbranch_execz .LBB66_482
; %bb.481:
	v_mul_f64 v[146:147], v[138:139], v[48:49]
	v_mul_f64 v[48:49], v[140:141], v[48:49]
	v_fma_f64 v[146:147], v[140:141], v[46:47], v[146:147]
	v_fma_f64 v[46:47], v[138:139], v[46:47], -v[48:49]
	ds_read2_b64 v[138:141], v1 offset0:46 offset1:47
	s_waitcnt lgkmcnt(0)
	v_mul_f64 v[48:49], v[140:141], v[146:147]
	v_fma_f64 v[48:49], v[138:139], v[46:47], -v[48:49]
	v_mul_f64 v[138:139], v[138:139], v[146:147]
	v_add_f64 v[42:43], v[42:43], -v[48:49]
	v_fma_f64 v[138:139], v[140:141], v[46:47], v[138:139]
	v_add_f64 v[44:45], v[44:45], -v[138:139]
	ds_read2_b64 v[138:141], v1 offset0:48 offset1:49
	s_waitcnt lgkmcnt(0)
	v_mul_f64 v[48:49], v[140:141], v[146:147]
	v_fma_f64 v[48:49], v[138:139], v[46:47], -v[48:49]
	v_mul_f64 v[138:139], v[138:139], v[146:147]
	v_add_f64 v[38:39], v[38:39], -v[48:49]
	v_fma_f64 v[138:139], v[140:141], v[46:47], v[138:139]
	v_add_f64 v[40:41], v[40:41], -v[138:139]
	;; [unrolled: 8-line block ×10, first 2 shown]
	ds_read2_b64 v[138:141], v1 offset0:66 offset1:67
	s_waitcnt lgkmcnt(0)
	v_mul_f64 v[48:49], v[140:141], v[146:147]
	v_fma_f64 v[48:49], v[138:139], v[46:47], -v[48:49]
	v_mul_f64 v[138:139], v[138:139], v[146:147]
	v_add_f64 v[2:3], v[2:3], -v[48:49]
	v_fma_f64 v[138:139], v[140:141], v[46:47], v[138:139]
	v_mov_b32_e32 v48, v146
	v_mov_b32_e32 v49, v147
	v_add_f64 v[4:5], v[4:5], -v[138:139]
.LBB66_482:
	s_or_b32 exec_lo, exec_lo, s0
	v_lshl_add_u32 v138, v152, 4, v1
	s_barrier
	buffer_gl0_inv
	v_mov_b32_e32 v146, 23
	ds_write2_b64 v138, v[42:43], v[44:45] offset1:1
	s_waitcnt lgkmcnt(0)
	s_barrier
	buffer_gl0_inv
	ds_read2_b64 v[138:141], v1 offset0:46 offset1:47
	s_cmp_lt_i32 s18, 25
	s_cbranch_scc1 .LBB66_485
; %bb.483:
	v_add3_u32 v147, v148, 0, 0x180
	v_mov_b32_e32 v146, 23
	s_mov_b32 s1, 24
	s_inst_prefetch 0x1
	.p2align	6
.LBB66_484:                             ; =>This Inner Loop Header: Depth=1
	s_waitcnt lgkmcnt(0)
	v_cmp_gt_f64_e32 vcc_lo, 0, v[140:141]
	v_cmp_gt_f64_e64 s0, 0, v[138:139]
	ds_read2_b64 v[153:156], v147 offset1:1
	v_xor_b32_e32 v158, 0x80000000, v139
	v_xor_b32_e32 v160, 0x80000000, v141
	v_mov_b32_e32 v157, v138
	v_mov_b32_e32 v159, v140
	v_add_nc_u32_e32 v147, 16, v147
	s_waitcnt lgkmcnt(0)
	v_xor_b32_e32 v162, 0x80000000, v156
	v_cndmask_b32_e64 v158, v139, v158, s0
	v_cndmask_b32_e32 v160, v141, v160, vcc_lo
	v_cmp_gt_f64_e32 vcc_lo, 0, v[155:156]
	v_cmp_gt_f64_e64 s0, 0, v[153:154]
	v_mov_b32_e32 v161, v155
	v_add_f64 v[157:158], v[157:158], v[159:160]
	v_xor_b32_e32 v160, 0x80000000, v154
	v_mov_b32_e32 v159, v153
	v_cndmask_b32_e32 v162, v156, v162, vcc_lo
	v_cndmask_b32_e64 v160, v154, v160, s0
	v_add_f64 v[159:160], v[159:160], v[161:162]
	v_cmp_lt_f64_e32 vcc_lo, v[157:158], v[159:160]
	v_cndmask_b32_e32 v139, v139, v154, vcc_lo
	v_cndmask_b32_e32 v138, v138, v153, vcc_lo
	;; [unrolled: 1-line block ×4, first 2 shown]
	v_cndmask_b32_e64 v146, v146, s1, vcc_lo
	s_add_i32 s1, s1, 1
	s_cmp_lg_u32 s18, s1
	s_cbranch_scc1 .LBB66_484
.LBB66_485:
	s_inst_prefetch 0x2
	s_waitcnt lgkmcnt(0)
	v_cmp_eq_f64_e32 vcc_lo, 0, v[138:139]
	v_cmp_eq_f64_e64 s0, 0, v[140:141]
	s_and_b32 s0, vcc_lo, s0
	s_and_saveexec_b32 s1, s0
	s_xor_b32 s0, exec_lo, s1
; %bb.486:
	v_cmp_ne_u32_e32 vcc_lo, 0, v151
	v_cndmask_b32_e32 v151, 24, v151, vcc_lo
; %bb.487:
	s_andn2_saveexec_b32 s0, s0
	s_cbranch_execz .LBB66_493
; %bb.488:
	v_cmp_ngt_f64_e64 s1, |v[138:139]|, |v[140:141]|
	s_and_saveexec_b32 s2, s1
	s_xor_b32 s1, exec_lo, s2
	s_cbranch_execz .LBB66_490
; %bb.489:
	v_div_scale_f64 v[153:154], null, v[140:141], v[140:141], v[138:139]
	v_div_scale_f64 v[159:160], vcc_lo, v[138:139], v[140:141], v[138:139]
	v_rcp_f64_e32 v[155:156], v[153:154]
	v_fma_f64 v[157:158], -v[153:154], v[155:156], 1.0
	v_fma_f64 v[155:156], v[155:156], v[157:158], v[155:156]
	v_fma_f64 v[157:158], -v[153:154], v[155:156], 1.0
	v_fma_f64 v[155:156], v[155:156], v[157:158], v[155:156]
	v_mul_f64 v[157:158], v[159:160], v[155:156]
	v_fma_f64 v[153:154], -v[153:154], v[157:158], v[159:160]
	v_div_fmas_f64 v[153:154], v[153:154], v[155:156], v[157:158]
	v_div_fixup_f64 v[153:154], v[153:154], v[140:141], v[138:139]
	v_fma_f64 v[138:139], v[138:139], v[153:154], v[140:141]
	v_div_scale_f64 v[140:141], null, v[138:139], v[138:139], 1.0
	v_rcp_f64_e32 v[155:156], v[140:141]
	v_fma_f64 v[157:158], -v[140:141], v[155:156], 1.0
	v_fma_f64 v[155:156], v[155:156], v[157:158], v[155:156]
	v_fma_f64 v[157:158], -v[140:141], v[155:156], 1.0
	v_fma_f64 v[155:156], v[155:156], v[157:158], v[155:156]
	v_div_scale_f64 v[157:158], vcc_lo, 1.0, v[138:139], 1.0
	v_mul_f64 v[159:160], v[157:158], v[155:156]
	v_fma_f64 v[140:141], -v[140:141], v[159:160], v[157:158]
	v_div_fmas_f64 v[140:141], v[140:141], v[155:156], v[159:160]
	v_div_fixup_f64 v[140:141], v[140:141], v[138:139], 1.0
	v_mul_f64 v[138:139], v[153:154], v[140:141]
	v_xor_b32_e32 v141, 0x80000000, v141
.LBB66_490:
	s_andn2_saveexec_b32 s1, s1
	s_cbranch_execz .LBB66_492
; %bb.491:
	v_div_scale_f64 v[153:154], null, v[138:139], v[138:139], v[140:141]
	v_div_scale_f64 v[159:160], vcc_lo, v[140:141], v[138:139], v[140:141]
	v_rcp_f64_e32 v[155:156], v[153:154]
	v_fma_f64 v[157:158], -v[153:154], v[155:156], 1.0
	v_fma_f64 v[155:156], v[155:156], v[157:158], v[155:156]
	v_fma_f64 v[157:158], -v[153:154], v[155:156], 1.0
	v_fma_f64 v[155:156], v[155:156], v[157:158], v[155:156]
	v_mul_f64 v[157:158], v[159:160], v[155:156]
	v_fma_f64 v[153:154], -v[153:154], v[157:158], v[159:160]
	v_div_fmas_f64 v[153:154], v[153:154], v[155:156], v[157:158]
	v_div_fixup_f64 v[153:154], v[153:154], v[138:139], v[140:141]
	v_fma_f64 v[138:139], v[140:141], v[153:154], v[138:139]
	v_div_scale_f64 v[140:141], null, v[138:139], v[138:139], 1.0
	v_rcp_f64_e32 v[155:156], v[140:141]
	v_fma_f64 v[157:158], -v[140:141], v[155:156], 1.0
	v_fma_f64 v[155:156], v[155:156], v[157:158], v[155:156]
	v_fma_f64 v[157:158], -v[140:141], v[155:156], 1.0
	v_fma_f64 v[155:156], v[155:156], v[157:158], v[155:156]
	v_div_scale_f64 v[157:158], vcc_lo, 1.0, v[138:139], 1.0
	v_mul_f64 v[159:160], v[157:158], v[155:156]
	v_fma_f64 v[140:141], -v[140:141], v[159:160], v[157:158]
	v_div_fmas_f64 v[140:141], v[140:141], v[155:156], v[159:160]
	v_div_fixup_f64 v[138:139], v[140:141], v[138:139], 1.0
	v_mul_f64 v[140:141], v[153:154], -v[138:139]
.LBB66_492:
	s_or_b32 exec_lo, exec_lo, s1
.LBB66_493:
	s_or_b32 exec_lo, exec_lo, s0
	s_mov_b32 s0, exec_lo
	v_cmpx_ne_u32_e64 v152, v146
	s_xor_b32 s0, exec_lo, s0
	s_cbranch_execz .LBB66_499
; %bb.494:
	s_mov_b32 s1, exec_lo
	v_cmpx_eq_u32_e32 23, v152
	s_cbranch_execz .LBB66_498
; %bb.495:
	v_cmp_ne_u32_e32 vcc_lo, 23, v146
	s_xor_b32 s2, s16, -1
	s_and_b32 s3, s2, vcc_lo
	s_and_saveexec_b32 s2, s3
	s_cbranch_execz .LBB66_497
; %bb.496:
	v_ashrrev_i32_e32 v147, 31, v146
	v_lshlrev_b64 v[152:153], 2, v[146:147]
	v_add_co_u32 v152, vcc_lo, v144, v152
	v_add_co_ci_u32_e64 v153, null, v145, v153, vcc_lo
	s_clause 0x1
	global_load_dword v0, v[152:153], off
	global_load_dword v147, v[144:145], off offset:92
	s_waitcnt vmcnt(1)
	global_store_dword v[144:145], v0, off offset:92
	s_waitcnt vmcnt(0)
	global_store_dword v[152:153], v147, off
.LBB66_497:
	s_or_b32 exec_lo, exec_lo, s2
	v_mov_b32_e32 v152, v146
	v_mov_b32_e32 v0, v146
.LBB66_498:
	s_or_b32 exec_lo, exec_lo, s1
.LBB66_499:
	s_andn2_saveexec_b32 s0, s0
	s_cbranch_execz .LBB66_501
; %bb.500:
	v_mov_b32_e32 v152, 23
	ds_write2_b64 v1, v[38:39], v[40:41] offset0:48 offset1:49
	ds_write2_b64 v1, v[34:35], v[36:37] offset0:50 offset1:51
	;; [unrolled: 1-line block ×10, first 2 shown]
.LBB66_501:
	s_or_b32 exec_lo, exec_lo, s0
	s_mov_b32 s0, exec_lo
	s_waitcnt lgkmcnt(0)
	s_waitcnt_vscnt null, 0x0
	s_barrier
	buffer_gl0_inv
	v_cmpx_lt_i32_e32 23, v152
	s_cbranch_execz .LBB66_503
; %bb.502:
	v_mul_f64 v[146:147], v[138:139], v[44:45]
	v_mul_f64 v[44:45], v[140:141], v[44:45]
	v_fma_f64 v[146:147], v[140:141], v[42:43], v[146:147]
	v_fma_f64 v[42:43], v[138:139], v[42:43], -v[44:45]
	ds_read2_b64 v[138:141], v1 offset0:48 offset1:49
	s_waitcnt lgkmcnt(0)
	v_mul_f64 v[44:45], v[140:141], v[146:147]
	v_fma_f64 v[44:45], v[138:139], v[42:43], -v[44:45]
	v_mul_f64 v[138:139], v[138:139], v[146:147]
	v_add_f64 v[38:39], v[38:39], -v[44:45]
	v_fma_f64 v[138:139], v[140:141], v[42:43], v[138:139]
	v_add_f64 v[40:41], v[40:41], -v[138:139]
	ds_read2_b64 v[138:141], v1 offset0:50 offset1:51
	s_waitcnt lgkmcnt(0)
	v_mul_f64 v[44:45], v[140:141], v[146:147]
	v_fma_f64 v[44:45], v[138:139], v[42:43], -v[44:45]
	v_mul_f64 v[138:139], v[138:139], v[146:147]
	v_add_f64 v[34:35], v[34:35], -v[44:45]
	v_fma_f64 v[138:139], v[140:141], v[42:43], v[138:139]
	v_add_f64 v[36:37], v[36:37], -v[138:139]
	;; [unrolled: 8-line block ×9, first 2 shown]
	ds_read2_b64 v[138:141], v1 offset0:66 offset1:67
	s_waitcnt lgkmcnt(0)
	v_mul_f64 v[44:45], v[140:141], v[146:147]
	v_fma_f64 v[44:45], v[138:139], v[42:43], -v[44:45]
	v_mul_f64 v[138:139], v[138:139], v[146:147]
	v_add_f64 v[2:3], v[2:3], -v[44:45]
	v_fma_f64 v[138:139], v[140:141], v[42:43], v[138:139]
	v_mov_b32_e32 v44, v146
	v_mov_b32_e32 v45, v147
	v_add_f64 v[4:5], v[4:5], -v[138:139]
.LBB66_503:
	s_or_b32 exec_lo, exec_lo, s0
	v_lshl_add_u32 v138, v152, 4, v1
	s_barrier
	buffer_gl0_inv
	v_mov_b32_e32 v146, 24
	ds_write2_b64 v138, v[38:39], v[40:41] offset1:1
	s_waitcnt lgkmcnt(0)
	s_barrier
	buffer_gl0_inv
	ds_read2_b64 v[138:141], v1 offset0:48 offset1:49
	s_cmp_lt_i32 s18, 26
	s_cbranch_scc1 .LBB66_506
; %bb.504:
	v_add3_u32 v147, v148, 0, 0x190
	v_mov_b32_e32 v146, 24
	s_mov_b32 s1, 25
	s_inst_prefetch 0x1
	.p2align	6
.LBB66_505:                             ; =>This Inner Loop Header: Depth=1
	s_waitcnt lgkmcnt(0)
	v_cmp_gt_f64_e32 vcc_lo, 0, v[140:141]
	v_cmp_gt_f64_e64 s0, 0, v[138:139]
	ds_read2_b64 v[153:156], v147 offset1:1
	v_xor_b32_e32 v158, 0x80000000, v139
	v_xor_b32_e32 v160, 0x80000000, v141
	v_mov_b32_e32 v157, v138
	v_mov_b32_e32 v159, v140
	v_add_nc_u32_e32 v147, 16, v147
	s_waitcnt lgkmcnt(0)
	v_xor_b32_e32 v162, 0x80000000, v156
	v_cndmask_b32_e64 v158, v139, v158, s0
	v_cndmask_b32_e32 v160, v141, v160, vcc_lo
	v_cmp_gt_f64_e32 vcc_lo, 0, v[155:156]
	v_cmp_gt_f64_e64 s0, 0, v[153:154]
	v_mov_b32_e32 v161, v155
	v_add_f64 v[157:158], v[157:158], v[159:160]
	v_xor_b32_e32 v160, 0x80000000, v154
	v_mov_b32_e32 v159, v153
	v_cndmask_b32_e32 v162, v156, v162, vcc_lo
	v_cndmask_b32_e64 v160, v154, v160, s0
	v_add_f64 v[159:160], v[159:160], v[161:162]
	v_cmp_lt_f64_e32 vcc_lo, v[157:158], v[159:160]
	v_cndmask_b32_e32 v139, v139, v154, vcc_lo
	v_cndmask_b32_e32 v138, v138, v153, vcc_lo
	;; [unrolled: 1-line block ×4, first 2 shown]
	v_cndmask_b32_e64 v146, v146, s1, vcc_lo
	s_add_i32 s1, s1, 1
	s_cmp_lg_u32 s18, s1
	s_cbranch_scc1 .LBB66_505
.LBB66_506:
	s_inst_prefetch 0x2
	s_waitcnt lgkmcnt(0)
	v_cmp_eq_f64_e32 vcc_lo, 0, v[138:139]
	v_cmp_eq_f64_e64 s0, 0, v[140:141]
	s_and_b32 s0, vcc_lo, s0
	s_and_saveexec_b32 s1, s0
	s_xor_b32 s0, exec_lo, s1
; %bb.507:
	v_cmp_ne_u32_e32 vcc_lo, 0, v151
	v_cndmask_b32_e32 v151, 25, v151, vcc_lo
; %bb.508:
	s_andn2_saveexec_b32 s0, s0
	s_cbranch_execz .LBB66_514
; %bb.509:
	v_cmp_ngt_f64_e64 s1, |v[138:139]|, |v[140:141]|
	s_and_saveexec_b32 s2, s1
	s_xor_b32 s1, exec_lo, s2
	s_cbranch_execz .LBB66_511
; %bb.510:
	v_div_scale_f64 v[153:154], null, v[140:141], v[140:141], v[138:139]
	v_div_scale_f64 v[159:160], vcc_lo, v[138:139], v[140:141], v[138:139]
	v_rcp_f64_e32 v[155:156], v[153:154]
	v_fma_f64 v[157:158], -v[153:154], v[155:156], 1.0
	v_fma_f64 v[155:156], v[155:156], v[157:158], v[155:156]
	v_fma_f64 v[157:158], -v[153:154], v[155:156], 1.0
	v_fma_f64 v[155:156], v[155:156], v[157:158], v[155:156]
	v_mul_f64 v[157:158], v[159:160], v[155:156]
	v_fma_f64 v[153:154], -v[153:154], v[157:158], v[159:160]
	v_div_fmas_f64 v[153:154], v[153:154], v[155:156], v[157:158]
	v_div_fixup_f64 v[153:154], v[153:154], v[140:141], v[138:139]
	v_fma_f64 v[138:139], v[138:139], v[153:154], v[140:141]
	v_div_scale_f64 v[140:141], null, v[138:139], v[138:139], 1.0
	v_rcp_f64_e32 v[155:156], v[140:141]
	v_fma_f64 v[157:158], -v[140:141], v[155:156], 1.0
	v_fma_f64 v[155:156], v[155:156], v[157:158], v[155:156]
	v_fma_f64 v[157:158], -v[140:141], v[155:156], 1.0
	v_fma_f64 v[155:156], v[155:156], v[157:158], v[155:156]
	v_div_scale_f64 v[157:158], vcc_lo, 1.0, v[138:139], 1.0
	v_mul_f64 v[159:160], v[157:158], v[155:156]
	v_fma_f64 v[140:141], -v[140:141], v[159:160], v[157:158]
	v_div_fmas_f64 v[140:141], v[140:141], v[155:156], v[159:160]
	v_div_fixup_f64 v[140:141], v[140:141], v[138:139], 1.0
	v_mul_f64 v[138:139], v[153:154], v[140:141]
	v_xor_b32_e32 v141, 0x80000000, v141
.LBB66_511:
	s_andn2_saveexec_b32 s1, s1
	s_cbranch_execz .LBB66_513
; %bb.512:
	v_div_scale_f64 v[153:154], null, v[138:139], v[138:139], v[140:141]
	v_div_scale_f64 v[159:160], vcc_lo, v[140:141], v[138:139], v[140:141]
	v_rcp_f64_e32 v[155:156], v[153:154]
	v_fma_f64 v[157:158], -v[153:154], v[155:156], 1.0
	v_fma_f64 v[155:156], v[155:156], v[157:158], v[155:156]
	v_fma_f64 v[157:158], -v[153:154], v[155:156], 1.0
	v_fma_f64 v[155:156], v[155:156], v[157:158], v[155:156]
	v_mul_f64 v[157:158], v[159:160], v[155:156]
	v_fma_f64 v[153:154], -v[153:154], v[157:158], v[159:160]
	v_div_fmas_f64 v[153:154], v[153:154], v[155:156], v[157:158]
	v_div_fixup_f64 v[153:154], v[153:154], v[138:139], v[140:141]
	v_fma_f64 v[138:139], v[140:141], v[153:154], v[138:139]
	v_div_scale_f64 v[140:141], null, v[138:139], v[138:139], 1.0
	v_rcp_f64_e32 v[155:156], v[140:141]
	v_fma_f64 v[157:158], -v[140:141], v[155:156], 1.0
	v_fma_f64 v[155:156], v[155:156], v[157:158], v[155:156]
	v_fma_f64 v[157:158], -v[140:141], v[155:156], 1.0
	v_fma_f64 v[155:156], v[155:156], v[157:158], v[155:156]
	v_div_scale_f64 v[157:158], vcc_lo, 1.0, v[138:139], 1.0
	v_mul_f64 v[159:160], v[157:158], v[155:156]
	v_fma_f64 v[140:141], -v[140:141], v[159:160], v[157:158]
	v_div_fmas_f64 v[140:141], v[140:141], v[155:156], v[159:160]
	v_div_fixup_f64 v[138:139], v[140:141], v[138:139], 1.0
	v_mul_f64 v[140:141], v[153:154], -v[138:139]
.LBB66_513:
	s_or_b32 exec_lo, exec_lo, s1
.LBB66_514:
	s_or_b32 exec_lo, exec_lo, s0
	s_mov_b32 s0, exec_lo
	v_cmpx_ne_u32_e64 v152, v146
	s_xor_b32 s0, exec_lo, s0
	s_cbranch_execz .LBB66_520
; %bb.515:
	s_mov_b32 s1, exec_lo
	v_cmpx_eq_u32_e32 24, v152
	s_cbranch_execz .LBB66_519
; %bb.516:
	v_cmp_ne_u32_e32 vcc_lo, 24, v146
	s_xor_b32 s2, s16, -1
	s_and_b32 s3, s2, vcc_lo
	s_and_saveexec_b32 s2, s3
	s_cbranch_execz .LBB66_518
; %bb.517:
	v_ashrrev_i32_e32 v147, 31, v146
	v_lshlrev_b64 v[152:153], 2, v[146:147]
	v_add_co_u32 v152, vcc_lo, v144, v152
	v_add_co_ci_u32_e64 v153, null, v145, v153, vcc_lo
	s_clause 0x1
	global_load_dword v0, v[152:153], off
	global_load_dword v147, v[144:145], off offset:96
	s_waitcnt vmcnt(1)
	global_store_dword v[144:145], v0, off offset:96
	s_waitcnt vmcnt(0)
	global_store_dword v[152:153], v147, off
.LBB66_518:
	s_or_b32 exec_lo, exec_lo, s2
	v_mov_b32_e32 v152, v146
	v_mov_b32_e32 v0, v146
.LBB66_519:
	s_or_b32 exec_lo, exec_lo, s1
.LBB66_520:
	s_andn2_saveexec_b32 s0, s0
	s_cbranch_execz .LBB66_522
; %bb.521:
	v_mov_b32_e32 v152, 24
	ds_write2_b64 v1, v[34:35], v[36:37] offset0:50 offset1:51
	ds_write2_b64 v1, v[30:31], v[32:33] offset0:52 offset1:53
	;; [unrolled: 1-line block ×9, first 2 shown]
.LBB66_522:
	s_or_b32 exec_lo, exec_lo, s0
	s_mov_b32 s0, exec_lo
	s_waitcnt lgkmcnt(0)
	s_waitcnt_vscnt null, 0x0
	s_barrier
	buffer_gl0_inv
	v_cmpx_lt_i32_e32 24, v152
	s_cbranch_execz .LBB66_524
; %bb.523:
	v_mul_f64 v[146:147], v[138:139], v[40:41]
	v_mul_f64 v[40:41], v[140:141], v[40:41]
	v_fma_f64 v[146:147], v[140:141], v[38:39], v[146:147]
	v_fma_f64 v[38:39], v[138:139], v[38:39], -v[40:41]
	ds_read2_b64 v[138:141], v1 offset0:50 offset1:51
	s_waitcnt lgkmcnt(0)
	v_mul_f64 v[40:41], v[140:141], v[146:147]
	v_fma_f64 v[40:41], v[138:139], v[38:39], -v[40:41]
	v_mul_f64 v[138:139], v[138:139], v[146:147]
	v_add_f64 v[34:35], v[34:35], -v[40:41]
	v_fma_f64 v[138:139], v[140:141], v[38:39], v[138:139]
	v_add_f64 v[36:37], v[36:37], -v[138:139]
	ds_read2_b64 v[138:141], v1 offset0:52 offset1:53
	s_waitcnt lgkmcnt(0)
	v_mul_f64 v[40:41], v[140:141], v[146:147]
	v_fma_f64 v[40:41], v[138:139], v[38:39], -v[40:41]
	v_mul_f64 v[138:139], v[138:139], v[146:147]
	v_add_f64 v[30:31], v[30:31], -v[40:41]
	v_fma_f64 v[138:139], v[140:141], v[38:39], v[138:139]
	v_add_f64 v[32:33], v[32:33], -v[138:139]
	;; [unrolled: 8-line block ×8, first 2 shown]
	ds_read2_b64 v[138:141], v1 offset0:66 offset1:67
	s_waitcnt lgkmcnt(0)
	v_mul_f64 v[40:41], v[140:141], v[146:147]
	v_fma_f64 v[40:41], v[138:139], v[38:39], -v[40:41]
	v_mul_f64 v[138:139], v[138:139], v[146:147]
	v_add_f64 v[2:3], v[2:3], -v[40:41]
	v_fma_f64 v[138:139], v[140:141], v[38:39], v[138:139]
	v_mov_b32_e32 v40, v146
	v_mov_b32_e32 v41, v147
	v_add_f64 v[4:5], v[4:5], -v[138:139]
.LBB66_524:
	s_or_b32 exec_lo, exec_lo, s0
	v_lshl_add_u32 v138, v152, 4, v1
	s_barrier
	buffer_gl0_inv
	v_mov_b32_e32 v146, 25
	ds_write2_b64 v138, v[34:35], v[36:37] offset1:1
	s_waitcnt lgkmcnt(0)
	s_barrier
	buffer_gl0_inv
	ds_read2_b64 v[138:141], v1 offset0:50 offset1:51
	s_cmp_lt_i32 s18, 27
	s_cbranch_scc1 .LBB66_527
; %bb.525:
	v_add3_u32 v147, v148, 0, 0x1a0
	v_mov_b32_e32 v146, 25
	s_mov_b32 s1, 26
	s_inst_prefetch 0x1
	.p2align	6
.LBB66_526:                             ; =>This Inner Loop Header: Depth=1
	s_waitcnt lgkmcnt(0)
	v_cmp_gt_f64_e32 vcc_lo, 0, v[140:141]
	v_cmp_gt_f64_e64 s0, 0, v[138:139]
	ds_read2_b64 v[153:156], v147 offset1:1
	v_xor_b32_e32 v158, 0x80000000, v139
	v_xor_b32_e32 v160, 0x80000000, v141
	v_mov_b32_e32 v157, v138
	v_mov_b32_e32 v159, v140
	v_add_nc_u32_e32 v147, 16, v147
	s_waitcnt lgkmcnt(0)
	v_xor_b32_e32 v162, 0x80000000, v156
	v_cndmask_b32_e64 v158, v139, v158, s0
	v_cndmask_b32_e32 v160, v141, v160, vcc_lo
	v_cmp_gt_f64_e32 vcc_lo, 0, v[155:156]
	v_cmp_gt_f64_e64 s0, 0, v[153:154]
	v_mov_b32_e32 v161, v155
	v_add_f64 v[157:158], v[157:158], v[159:160]
	v_xor_b32_e32 v160, 0x80000000, v154
	v_mov_b32_e32 v159, v153
	v_cndmask_b32_e32 v162, v156, v162, vcc_lo
	v_cndmask_b32_e64 v160, v154, v160, s0
	v_add_f64 v[159:160], v[159:160], v[161:162]
	v_cmp_lt_f64_e32 vcc_lo, v[157:158], v[159:160]
	v_cndmask_b32_e32 v139, v139, v154, vcc_lo
	v_cndmask_b32_e32 v138, v138, v153, vcc_lo
	;; [unrolled: 1-line block ×4, first 2 shown]
	v_cndmask_b32_e64 v146, v146, s1, vcc_lo
	s_add_i32 s1, s1, 1
	s_cmp_lg_u32 s18, s1
	s_cbranch_scc1 .LBB66_526
.LBB66_527:
	s_inst_prefetch 0x2
	s_waitcnt lgkmcnt(0)
	v_cmp_eq_f64_e32 vcc_lo, 0, v[138:139]
	v_cmp_eq_f64_e64 s0, 0, v[140:141]
	s_and_b32 s0, vcc_lo, s0
	s_and_saveexec_b32 s1, s0
	s_xor_b32 s0, exec_lo, s1
; %bb.528:
	v_cmp_ne_u32_e32 vcc_lo, 0, v151
	v_cndmask_b32_e32 v151, 26, v151, vcc_lo
; %bb.529:
	s_andn2_saveexec_b32 s0, s0
	s_cbranch_execz .LBB66_535
; %bb.530:
	v_cmp_ngt_f64_e64 s1, |v[138:139]|, |v[140:141]|
	s_and_saveexec_b32 s2, s1
	s_xor_b32 s1, exec_lo, s2
	s_cbranch_execz .LBB66_532
; %bb.531:
	v_div_scale_f64 v[153:154], null, v[140:141], v[140:141], v[138:139]
	v_div_scale_f64 v[159:160], vcc_lo, v[138:139], v[140:141], v[138:139]
	v_rcp_f64_e32 v[155:156], v[153:154]
	v_fma_f64 v[157:158], -v[153:154], v[155:156], 1.0
	v_fma_f64 v[155:156], v[155:156], v[157:158], v[155:156]
	v_fma_f64 v[157:158], -v[153:154], v[155:156], 1.0
	v_fma_f64 v[155:156], v[155:156], v[157:158], v[155:156]
	v_mul_f64 v[157:158], v[159:160], v[155:156]
	v_fma_f64 v[153:154], -v[153:154], v[157:158], v[159:160]
	v_div_fmas_f64 v[153:154], v[153:154], v[155:156], v[157:158]
	v_div_fixup_f64 v[153:154], v[153:154], v[140:141], v[138:139]
	v_fma_f64 v[138:139], v[138:139], v[153:154], v[140:141]
	v_div_scale_f64 v[140:141], null, v[138:139], v[138:139], 1.0
	v_rcp_f64_e32 v[155:156], v[140:141]
	v_fma_f64 v[157:158], -v[140:141], v[155:156], 1.0
	v_fma_f64 v[155:156], v[155:156], v[157:158], v[155:156]
	v_fma_f64 v[157:158], -v[140:141], v[155:156], 1.0
	v_fma_f64 v[155:156], v[155:156], v[157:158], v[155:156]
	v_div_scale_f64 v[157:158], vcc_lo, 1.0, v[138:139], 1.0
	v_mul_f64 v[159:160], v[157:158], v[155:156]
	v_fma_f64 v[140:141], -v[140:141], v[159:160], v[157:158]
	v_div_fmas_f64 v[140:141], v[140:141], v[155:156], v[159:160]
	v_div_fixup_f64 v[140:141], v[140:141], v[138:139], 1.0
	v_mul_f64 v[138:139], v[153:154], v[140:141]
	v_xor_b32_e32 v141, 0x80000000, v141
.LBB66_532:
	s_andn2_saveexec_b32 s1, s1
	s_cbranch_execz .LBB66_534
; %bb.533:
	v_div_scale_f64 v[153:154], null, v[138:139], v[138:139], v[140:141]
	v_div_scale_f64 v[159:160], vcc_lo, v[140:141], v[138:139], v[140:141]
	v_rcp_f64_e32 v[155:156], v[153:154]
	v_fma_f64 v[157:158], -v[153:154], v[155:156], 1.0
	v_fma_f64 v[155:156], v[155:156], v[157:158], v[155:156]
	v_fma_f64 v[157:158], -v[153:154], v[155:156], 1.0
	v_fma_f64 v[155:156], v[155:156], v[157:158], v[155:156]
	v_mul_f64 v[157:158], v[159:160], v[155:156]
	v_fma_f64 v[153:154], -v[153:154], v[157:158], v[159:160]
	v_div_fmas_f64 v[153:154], v[153:154], v[155:156], v[157:158]
	v_div_fixup_f64 v[153:154], v[153:154], v[138:139], v[140:141]
	v_fma_f64 v[138:139], v[140:141], v[153:154], v[138:139]
	v_div_scale_f64 v[140:141], null, v[138:139], v[138:139], 1.0
	v_rcp_f64_e32 v[155:156], v[140:141]
	v_fma_f64 v[157:158], -v[140:141], v[155:156], 1.0
	v_fma_f64 v[155:156], v[155:156], v[157:158], v[155:156]
	v_fma_f64 v[157:158], -v[140:141], v[155:156], 1.0
	v_fma_f64 v[155:156], v[155:156], v[157:158], v[155:156]
	v_div_scale_f64 v[157:158], vcc_lo, 1.0, v[138:139], 1.0
	v_mul_f64 v[159:160], v[157:158], v[155:156]
	v_fma_f64 v[140:141], -v[140:141], v[159:160], v[157:158]
	v_div_fmas_f64 v[140:141], v[140:141], v[155:156], v[159:160]
	v_div_fixup_f64 v[138:139], v[140:141], v[138:139], 1.0
	v_mul_f64 v[140:141], v[153:154], -v[138:139]
.LBB66_534:
	s_or_b32 exec_lo, exec_lo, s1
.LBB66_535:
	s_or_b32 exec_lo, exec_lo, s0
	s_mov_b32 s0, exec_lo
	v_cmpx_ne_u32_e64 v152, v146
	s_xor_b32 s0, exec_lo, s0
	s_cbranch_execz .LBB66_541
; %bb.536:
	s_mov_b32 s1, exec_lo
	v_cmpx_eq_u32_e32 25, v152
	s_cbranch_execz .LBB66_540
; %bb.537:
	v_cmp_ne_u32_e32 vcc_lo, 25, v146
	s_xor_b32 s2, s16, -1
	s_and_b32 s3, s2, vcc_lo
	s_and_saveexec_b32 s2, s3
	s_cbranch_execz .LBB66_539
; %bb.538:
	v_ashrrev_i32_e32 v147, 31, v146
	v_lshlrev_b64 v[152:153], 2, v[146:147]
	v_add_co_u32 v152, vcc_lo, v144, v152
	v_add_co_ci_u32_e64 v153, null, v145, v153, vcc_lo
	s_clause 0x1
	global_load_dword v0, v[152:153], off
	global_load_dword v147, v[144:145], off offset:100
	s_waitcnt vmcnt(1)
	global_store_dword v[144:145], v0, off offset:100
	s_waitcnt vmcnt(0)
	global_store_dword v[152:153], v147, off
.LBB66_539:
	s_or_b32 exec_lo, exec_lo, s2
	v_mov_b32_e32 v152, v146
	v_mov_b32_e32 v0, v146
.LBB66_540:
	s_or_b32 exec_lo, exec_lo, s1
.LBB66_541:
	s_andn2_saveexec_b32 s0, s0
	s_cbranch_execz .LBB66_543
; %bb.542:
	v_mov_b32_e32 v152, 25
	ds_write2_b64 v1, v[30:31], v[32:33] offset0:52 offset1:53
	ds_write2_b64 v1, v[26:27], v[28:29] offset0:54 offset1:55
	;; [unrolled: 1-line block ×8, first 2 shown]
.LBB66_543:
	s_or_b32 exec_lo, exec_lo, s0
	s_mov_b32 s0, exec_lo
	s_waitcnt lgkmcnt(0)
	s_waitcnt_vscnt null, 0x0
	s_barrier
	buffer_gl0_inv
	v_cmpx_lt_i32_e32 25, v152
	s_cbranch_execz .LBB66_545
; %bb.544:
	v_mul_f64 v[146:147], v[138:139], v[36:37]
	v_mul_f64 v[36:37], v[140:141], v[36:37]
	v_fma_f64 v[146:147], v[140:141], v[34:35], v[146:147]
	v_fma_f64 v[34:35], v[138:139], v[34:35], -v[36:37]
	ds_read2_b64 v[138:141], v1 offset0:52 offset1:53
	s_waitcnt lgkmcnt(0)
	v_mul_f64 v[36:37], v[140:141], v[146:147]
	v_fma_f64 v[36:37], v[138:139], v[34:35], -v[36:37]
	v_mul_f64 v[138:139], v[138:139], v[146:147]
	v_add_f64 v[30:31], v[30:31], -v[36:37]
	v_fma_f64 v[138:139], v[140:141], v[34:35], v[138:139]
	v_add_f64 v[32:33], v[32:33], -v[138:139]
	ds_read2_b64 v[138:141], v1 offset0:54 offset1:55
	s_waitcnt lgkmcnt(0)
	v_mul_f64 v[36:37], v[140:141], v[146:147]
	v_fma_f64 v[36:37], v[138:139], v[34:35], -v[36:37]
	v_mul_f64 v[138:139], v[138:139], v[146:147]
	v_add_f64 v[26:27], v[26:27], -v[36:37]
	v_fma_f64 v[138:139], v[140:141], v[34:35], v[138:139]
	v_add_f64 v[28:29], v[28:29], -v[138:139]
	;; [unrolled: 8-line block ×7, first 2 shown]
	ds_read2_b64 v[138:141], v1 offset0:66 offset1:67
	s_waitcnt lgkmcnt(0)
	v_mul_f64 v[36:37], v[140:141], v[146:147]
	v_fma_f64 v[36:37], v[138:139], v[34:35], -v[36:37]
	v_mul_f64 v[138:139], v[138:139], v[146:147]
	v_add_f64 v[2:3], v[2:3], -v[36:37]
	v_fma_f64 v[138:139], v[140:141], v[34:35], v[138:139]
	v_mov_b32_e32 v36, v146
	v_mov_b32_e32 v37, v147
	v_add_f64 v[4:5], v[4:5], -v[138:139]
.LBB66_545:
	s_or_b32 exec_lo, exec_lo, s0
	v_lshl_add_u32 v138, v152, 4, v1
	s_barrier
	buffer_gl0_inv
	v_mov_b32_e32 v146, 26
	ds_write2_b64 v138, v[30:31], v[32:33] offset1:1
	s_waitcnt lgkmcnt(0)
	s_barrier
	buffer_gl0_inv
	ds_read2_b64 v[138:141], v1 offset0:52 offset1:53
	s_cmp_lt_i32 s18, 28
	s_cbranch_scc1 .LBB66_548
; %bb.546:
	v_add3_u32 v147, v148, 0, 0x1b0
	v_mov_b32_e32 v146, 26
	s_mov_b32 s1, 27
	s_inst_prefetch 0x1
	.p2align	6
.LBB66_547:                             ; =>This Inner Loop Header: Depth=1
	s_waitcnt lgkmcnt(0)
	v_cmp_gt_f64_e32 vcc_lo, 0, v[140:141]
	v_cmp_gt_f64_e64 s0, 0, v[138:139]
	ds_read2_b64 v[153:156], v147 offset1:1
	v_xor_b32_e32 v158, 0x80000000, v139
	v_xor_b32_e32 v160, 0x80000000, v141
	v_mov_b32_e32 v157, v138
	v_mov_b32_e32 v159, v140
	v_add_nc_u32_e32 v147, 16, v147
	s_waitcnt lgkmcnt(0)
	v_xor_b32_e32 v162, 0x80000000, v156
	v_cndmask_b32_e64 v158, v139, v158, s0
	v_cndmask_b32_e32 v160, v141, v160, vcc_lo
	v_cmp_gt_f64_e32 vcc_lo, 0, v[155:156]
	v_cmp_gt_f64_e64 s0, 0, v[153:154]
	v_mov_b32_e32 v161, v155
	v_add_f64 v[157:158], v[157:158], v[159:160]
	v_xor_b32_e32 v160, 0x80000000, v154
	v_mov_b32_e32 v159, v153
	v_cndmask_b32_e32 v162, v156, v162, vcc_lo
	v_cndmask_b32_e64 v160, v154, v160, s0
	v_add_f64 v[159:160], v[159:160], v[161:162]
	v_cmp_lt_f64_e32 vcc_lo, v[157:158], v[159:160]
	v_cndmask_b32_e32 v139, v139, v154, vcc_lo
	v_cndmask_b32_e32 v138, v138, v153, vcc_lo
	;; [unrolled: 1-line block ×4, first 2 shown]
	v_cndmask_b32_e64 v146, v146, s1, vcc_lo
	s_add_i32 s1, s1, 1
	s_cmp_lg_u32 s18, s1
	s_cbranch_scc1 .LBB66_547
.LBB66_548:
	s_inst_prefetch 0x2
	s_waitcnt lgkmcnt(0)
	v_cmp_eq_f64_e32 vcc_lo, 0, v[138:139]
	v_cmp_eq_f64_e64 s0, 0, v[140:141]
	s_and_b32 s0, vcc_lo, s0
	s_and_saveexec_b32 s1, s0
	s_xor_b32 s0, exec_lo, s1
; %bb.549:
	v_cmp_ne_u32_e32 vcc_lo, 0, v151
	v_cndmask_b32_e32 v151, 27, v151, vcc_lo
; %bb.550:
	s_andn2_saveexec_b32 s0, s0
	s_cbranch_execz .LBB66_556
; %bb.551:
	v_cmp_ngt_f64_e64 s1, |v[138:139]|, |v[140:141]|
	s_and_saveexec_b32 s2, s1
	s_xor_b32 s1, exec_lo, s2
	s_cbranch_execz .LBB66_553
; %bb.552:
	v_div_scale_f64 v[153:154], null, v[140:141], v[140:141], v[138:139]
	v_div_scale_f64 v[159:160], vcc_lo, v[138:139], v[140:141], v[138:139]
	v_rcp_f64_e32 v[155:156], v[153:154]
	v_fma_f64 v[157:158], -v[153:154], v[155:156], 1.0
	v_fma_f64 v[155:156], v[155:156], v[157:158], v[155:156]
	v_fma_f64 v[157:158], -v[153:154], v[155:156], 1.0
	v_fma_f64 v[155:156], v[155:156], v[157:158], v[155:156]
	v_mul_f64 v[157:158], v[159:160], v[155:156]
	v_fma_f64 v[153:154], -v[153:154], v[157:158], v[159:160]
	v_div_fmas_f64 v[153:154], v[153:154], v[155:156], v[157:158]
	v_div_fixup_f64 v[153:154], v[153:154], v[140:141], v[138:139]
	v_fma_f64 v[138:139], v[138:139], v[153:154], v[140:141]
	v_div_scale_f64 v[140:141], null, v[138:139], v[138:139], 1.0
	v_rcp_f64_e32 v[155:156], v[140:141]
	v_fma_f64 v[157:158], -v[140:141], v[155:156], 1.0
	v_fma_f64 v[155:156], v[155:156], v[157:158], v[155:156]
	v_fma_f64 v[157:158], -v[140:141], v[155:156], 1.0
	v_fma_f64 v[155:156], v[155:156], v[157:158], v[155:156]
	v_div_scale_f64 v[157:158], vcc_lo, 1.0, v[138:139], 1.0
	v_mul_f64 v[159:160], v[157:158], v[155:156]
	v_fma_f64 v[140:141], -v[140:141], v[159:160], v[157:158]
	v_div_fmas_f64 v[140:141], v[140:141], v[155:156], v[159:160]
	v_div_fixup_f64 v[140:141], v[140:141], v[138:139], 1.0
	v_mul_f64 v[138:139], v[153:154], v[140:141]
	v_xor_b32_e32 v141, 0x80000000, v141
.LBB66_553:
	s_andn2_saveexec_b32 s1, s1
	s_cbranch_execz .LBB66_555
; %bb.554:
	v_div_scale_f64 v[153:154], null, v[138:139], v[138:139], v[140:141]
	v_div_scale_f64 v[159:160], vcc_lo, v[140:141], v[138:139], v[140:141]
	v_rcp_f64_e32 v[155:156], v[153:154]
	v_fma_f64 v[157:158], -v[153:154], v[155:156], 1.0
	v_fma_f64 v[155:156], v[155:156], v[157:158], v[155:156]
	v_fma_f64 v[157:158], -v[153:154], v[155:156], 1.0
	v_fma_f64 v[155:156], v[155:156], v[157:158], v[155:156]
	v_mul_f64 v[157:158], v[159:160], v[155:156]
	v_fma_f64 v[153:154], -v[153:154], v[157:158], v[159:160]
	v_div_fmas_f64 v[153:154], v[153:154], v[155:156], v[157:158]
	v_div_fixup_f64 v[153:154], v[153:154], v[138:139], v[140:141]
	v_fma_f64 v[138:139], v[140:141], v[153:154], v[138:139]
	v_div_scale_f64 v[140:141], null, v[138:139], v[138:139], 1.0
	v_rcp_f64_e32 v[155:156], v[140:141]
	v_fma_f64 v[157:158], -v[140:141], v[155:156], 1.0
	v_fma_f64 v[155:156], v[155:156], v[157:158], v[155:156]
	v_fma_f64 v[157:158], -v[140:141], v[155:156], 1.0
	v_fma_f64 v[155:156], v[155:156], v[157:158], v[155:156]
	v_div_scale_f64 v[157:158], vcc_lo, 1.0, v[138:139], 1.0
	v_mul_f64 v[159:160], v[157:158], v[155:156]
	v_fma_f64 v[140:141], -v[140:141], v[159:160], v[157:158]
	v_div_fmas_f64 v[140:141], v[140:141], v[155:156], v[159:160]
	v_div_fixup_f64 v[138:139], v[140:141], v[138:139], 1.0
	v_mul_f64 v[140:141], v[153:154], -v[138:139]
.LBB66_555:
	s_or_b32 exec_lo, exec_lo, s1
.LBB66_556:
	s_or_b32 exec_lo, exec_lo, s0
	s_mov_b32 s0, exec_lo
	v_cmpx_ne_u32_e64 v152, v146
	s_xor_b32 s0, exec_lo, s0
	s_cbranch_execz .LBB66_562
; %bb.557:
	s_mov_b32 s1, exec_lo
	v_cmpx_eq_u32_e32 26, v152
	s_cbranch_execz .LBB66_561
; %bb.558:
	v_cmp_ne_u32_e32 vcc_lo, 26, v146
	s_xor_b32 s2, s16, -1
	s_and_b32 s3, s2, vcc_lo
	s_and_saveexec_b32 s2, s3
	s_cbranch_execz .LBB66_560
; %bb.559:
	v_ashrrev_i32_e32 v147, 31, v146
	v_lshlrev_b64 v[152:153], 2, v[146:147]
	v_add_co_u32 v152, vcc_lo, v144, v152
	v_add_co_ci_u32_e64 v153, null, v145, v153, vcc_lo
	s_clause 0x1
	global_load_dword v0, v[152:153], off
	global_load_dword v147, v[144:145], off offset:104
	s_waitcnt vmcnt(1)
	global_store_dword v[144:145], v0, off offset:104
	s_waitcnt vmcnt(0)
	global_store_dword v[152:153], v147, off
.LBB66_560:
	s_or_b32 exec_lo, exec_lo, s2
	v_mov_b32_e32 v152, v146
	v_mov_b32_e32 v0, v146
.LBB66_561:
	s_or_b32 exec_lo, exec_lo, s1
.LBB66_562:
	s_andn2_saveexec_b32 s0, s0
	s_cbranch_execz .LBB66_564
; %bb.563:
	v_mov_b32_e32 v152, 26
	ds_write2_b64 v1, v[26:27], v[28:29] offset0:54 offset1:55
	ds_write2_b64 v1, v[22:23], v[24:25] offset0:56 offset1:57
	;; [unrolled: 1-line block ×7, first 2 shown]
.LBB66_564:
	s_or_b32 exec_lo, exec_lo, s0
	s_mov_b32 s0, exec_lo
	s_waitcnt lgkmcnt(0)
	s_waitcnt_vscnt null, 0x0
	s_barrier
	buffer_gl0_inv
	v_cmpx_lt_i32_e32 26, v152
	s_cbranch_execz .LBB66_566
; %bb.565:
	v_mul_f64 v[146:147], v[138:139], v[32:33]
	v_mul_f64 v[32:33], v[140:141], v[32:33]
	v_fma_f64 v[146:147], v[140:141], v[30:31], v[146:147]
	v_fma_f64 v[30:31], v[138:139], v[30:31], -v[32:33]
	ds_read2_b64 v[138:141], v1 offset0:54 offset1:55
	s_waitcnt lgkmcnt(0)
	v_mul_f64 v[32:33], v[140:141], v[146:147]
	v_fma_f64 v[32:33], v[138:139], v[30:31], -v[32:33]
	v_mul_f64 v[138:139], v[138:139], v[146:147]
	v_add_f64 v[26:27], v[26:27], -v[32:33]
	v_fma_f64 v[138:139], v[140:141], v[30:31], v[138:139]
	v_add_f64 v[28:29], v[28:29], -v[138:139]
	ds_read2_b64 v[138:141], v1 offset0:56 offset1:57
	s_waitcnt lgkmcnt(0)
	v_mul_f64 v[32:33], v[140:141], v[146:147]
	v_fma_f64 v[32:33], v[138:139], v[30:31], -v[32:33]
	v_mul_f64 v[138:139], v[138:139], v[146:147]
	v_add_f64 v[22:23], v[22:23], -v[32:33]
	v_fma_f64 v[138:139], v[140:141], v[30:31], v[138:139]
	v_add_f64 v[24:25], v[24:25], -v[138:139]
	;; [unrolled: 8-line block ×6, first 2 shown]
	ds_read2_b64 v[138:141], v1 offset0:66 offset1:67
	s_waitcnt lgkmcnt(0)
	v_mul_f64 v[32:33], v[140:141], v[146:147]
	v_fma_f64 v[32:33], v[138:139], v[30:31], -v[32:33]
	v_mul_f64 v[138:139], v[138:139], v[146:147]
	v_add_f64 v[2:3], v[2:3], -v[32:33]
	v_fma_f64 v[138:139], v[140:141], v[30:31], v[138:139]
	v_mov_b32_e32 v32, v146
	v_mov_b32_e32 v33, v147
	v_add_f64 v[4:5], v[4:5], -v[138:139]
.LBB66_566:
	s_or_b32 exec_lo, exec_lo, s0
	v_lshl_add_u32 v138, v152, 4, v1
	s_barrier
	buffer_gl0_inv
	v_mov_b32_e32 v146, 27
	ds_write2_b64 v138, v[26:27], v[28:29] offset1:1
	s_waitcnt lgkmcnt(0)
	s_barrier
	buffer_gl0_inv
	ds_read2_b64 v[138:141], v1 offset0:54 offset1:55
	s_cmp_lt_i32 s18, 29
	s_cbranch_scc1 .LBB66_569
; %bb.567:
	v_add3_u32 v147, v148, 0, 0x1c0
	v_mov_b32_e32 v146, 27
	s_mov_b32 s1, 28
	s_inst_prefetch 0x1
	.p2align	6
.LBB66_568:                             ; =>This Inner Loop Header: Depth=1
	s_waitcnt lgkmcnt(0)
	v_cmp_gt_f64_e32 vcc_lo, 0, v[140:141]
	v_cmp_gt_f64_e64 s0, 0, v[138:139]
	ds_read2_b64 v[153:156], v147 offset1:1
	v_xor_b32_e32 v158, 0x80000000, v139
	v_xor_b32_e32 v160, 0x80000000, v141
	v_mov_b32_e32 v157, v138
	v_mov_b32_e32 v159, v140
	v_add_nc_u32_e32 v147, 16, v147
	s_waitcnt lgkmcnt(0)
	v_xor_b32_e32 v162, 0x80000000, v156
	v_cndmask_b32_e64 v158, v139, v158, s0
	v_cndmask_b32_e32 v160, v141, v160, vcc_lo
	v_cmp_gt_f64_e32 vcc_lo, 0, v[155:156]
	v_cmp_gt_f64_e64 s0, 0, v[153:154]
	v_mov_b32_e32 v161, v155
	v_add_f64 v[157:158], v[157:158], v[159:160]
	v_xor_b32_e32 v160, 0x80000000, v154
	v_mov_b32_e32 v159, v153
	v_cndmask_b32_e32 v162, v156, v162, vcc_lo
	v_cndmask_b32_e64 v160, v154, v160, s0
	v_add_f64 v[159:160], v[159:160], v[161:162]
	v_cmp_lt_f64_e32 vcc_lo, v[157:158], v[159:160]
	v_cndmask_b32_e32 v139, v139, v154, vcc_lo
	v_cndmask_b32_e32 v138, v138, v153, vcc_lo
	;; [unrolled: 1-line block ×4, first 2 shown]
	v_cndmask_b32_e64 v146, v146, s1, vcc_lo
	s_add_i32 s1, s1, 1
	s_cmp_lg_u32 s18, s1
	s_cbranch_scc1 .LBB66_568
.LBB66_569:
	s_inst_prefetch 0x2
	s_waitcnt lgkmcnt(0)
	v_cmp_eq_f64_e32 vcc_lo, 0, v[138:139]
	v_cmp_eq_f64_e64 s0, 0, v[140:141]
	s_and_b32 s0, vcc_lo, s0
	s_and_saveexec_b32 s1, s0
	s_xor_b32 s0, exec_lo, s1
; %bb.570:
	v_cmp_ne_u32_e32 vcc_lo, 0, v151
	v_cndmask_b32_e32 v151, 28, v151, vcc_lo
; %bb.571:
	s_andn2_saveexec_b32 s0, s0
	s_cbranch_execz .LBB66_577
; %bb.572:
	v_cmp_ngt_f64_e64 s1, |v[138:139]|, |v[140:141]|
	s_and_saveexec_b32 s2, s1
	s_xor_b32 s1, exec_lo, s2
	s_cbranch_execz .LBB66_574
; %bb.573:
	v_div_scale_f64 v[153:154], null, v[140:141], v[140:141], v[138:139]
	v_div_scale_f64 v[159:160], vcc_lo, v[138:139], v[140:141], v[138:139]
	v_rcp_f64_e32 v[155:156], v[153:154]
	v_fma_f64 v[157:158], -v[153:154], v[155:156], 1.0
	v_fma_f64 v[155:156], v[155:156], v[157:158], v[155:156]
	v_fma_f64 v[157:158], -v[153:154], v[155:156], 1.0
	v_fma_f64 v[155:156], v[155:156], v[157:158], v[155:156]
	v_mul_f64 v[157:158], v[159:160], v[155:156]
	v_fma_f64 v[153:154], -v[153:154], v[157:158], v[159:160]
	v_div_fmas_f64 v[153:154], v[153:154], v[155:156], v[157:158]
	v_div_fixup_f64 v[153:154], v[153:154], v[140:141], v[138:139]
	v_fma_f64 v[138:139], v[138:139], v[153:154], v[140:141]
	v_div_scale_f64 v[140:141], null, v[138:139], v[138:139], 1.0
	v_rcp_f64_e32 v[155:156], v[140:141]
	v_fma_f64 v[157:158], -v[140:141], v[155:156], 1.0
	v_fma_f64 v[155:156], v[155:156], v[157:158], v[155:156]
	v_fma_f64 v[157:158], -v[140:141], v[155:156], 1.0
	v_fma_f64 v[155:156], v[155:156], v[157:158], v[155:156]
	v_div_scale_f64 v[157:158], vcc_lo, 1.0, v[138:139], 1.0
	v_mul_f64 v[159:160], v[157:158], v[155:156]
	v_fma_f64 v[140:141], -v[140:141], v[159:160], v[157:158]
	v_div_fmas_f64 v[140:141], v[140:141], v[155:156], v[159:160]
	v_div_fixup_f64 v[140:141], v[140:141], v[138:139], 1.0
	v_mul_f64 v[138:139], v[153:154], v[140:141]
	v_xor_b32_e32 v141, 0x80000000, v141
.LBB66_574:
	s_andn2_saveexec_b32 s1, s1
	s_cbranch_execz .LBB66_576
; %bb.575:
	v_div_scale_f64 v[153:154], null, v[138:139], v[138:139], v[140:141]
	v_div_scale_f64 v[159:160], vcc_lo, v[140:141], v[138:139], v[140:141]
	v_rcp_f64_e32 v[155:156], v[153:154]
	v_fma_f64 v[157:158], -v[153:154], v[155:156], 1.0
	v_fma_f64 v[155:156], v[155:156], v[157:158], v[155:156]
	v_fma_f64 v[157:158], -v[153:154], v[155:156], 1.0
	v_fma_f64 v[155:156], v[155:156], v[157:158], v[155:156]
	v_mul_f64 v[157:158], v[159:160], v[155:156]
	v_fma_f64 v[153:154], -v[153:154], v[157:158], v[159:160]
	v_div_fmas_f64 v[153:154], v[153:154], v[155:156], v[157:158]
	v_div_fixup_f64 v[153:154], v[153:154], v[138:139], v[140:141]
	v_fma_f64 v[138:139], v[140:141], v[153:154], v[138:139]
	v_div_scale_f64 v[140:141], null, v[138:139], v[138:139], 1.0
	v_rcp_f64_e32 v[155:156], v[140:141]
	v_fma_f64 v[157:158], -v[140:141], v[155:156], 1.0
	v_fma_f64 v[155:156], v[155:156], v[157:158], v[155:156]
	v_fma_f64 v[157:158], -v[140:141], v[155:156], 1.0
	v_fma_f64 v[155:156], v[155:156], v[157:158], v[155:156]
	v_div_scale_f64 v[157:158], vcc_lo, 1.0, v[138:139], 1.0
	v_mul_f64 v[159:160], v[157:158], v[155:156]
	v_fma_f64 v[140:141], -v[140:141], v[159:160], v[157:158]
	v_div_fmas_f64 v[140:141], v[140:141], v[155:156], v[159:160]
	v_div_fixup_f64 v[138:139], v[140:141], v[138:139], 1.0
	v_mul_f64 v[140:141], v[153:154], -v[138:139]
.LBB66_576:
	s_or_b32 exec_lo, exec_lo, s1
.LBB66_577:
	s_or_b32 exec_lo, exec_lo, s0
	s_mov_b32 s0, exec_lo
	v_cmpx_ne_u32_e64 v152, v146
	s_xor_b32 s0, exec_lo, s0
	s_cbranch_execz .LBB66_583
; %bb.578:
	s_mov_b32 s1, exec_lo
	v_cmpx_eq_u32_e32 27, v152
	s_cbranch_execz .LBB66_582
; %bb.579:
	v_cmp_ne_u32_e32 vcc_lo, 27, v146
	s_xor_b32 s2, s16, -1
	s_and_b32 s3, s2, vcc_lo
	s_and_saveexec_b32 s2, s3
	s_cbranch_execz .LBB66_581
; %bb.580:
	v_ashrrev_i32_e32 v147, 31, v146
	v_lshlrev_b64 v[152:153], 2, v[146:147]
	v_add_co_u32 v152, vcc_lo, v144, v152
	v_add_co_ci_u32_e64 v153, null, v145, v153, vcc_lo
	s_clause 0x1
	global_load_dword v0, v[152:153], off
	global_load_dword v147, v[144:145], off offset:108
	s_waitcnt vmcnt(1)
	global_store_dword v[144:145], v0, off offset:108
	s_waitcnt vmcnt(0)
	global_store_dword v[152:153], v147, off
.LBB66_581:
	s_or_b32 exec_lo, exec_lo, s2
	v_mov_b32_e32 v152, v146
	v_mov_b32_e32 v0, v146
.LBB66_582:
	s_or_b32 exec_lo, exec_lo, s1
.LBB66_583:
	s_andn2_saveexec_b32 s0, s0
	s_cbranch_execz .LBB66_585
; %bb.584:
	v_mov_b32_e32 v152, 27
	ds_write2_b64 v1, v[22:23], v[24:25] offset0:56 offset1:57
	ds_write2_b64 v1, v[18:19], v[20:21] offset0:58 offset1:59
	;; [unrolled: 1-line block ×6, first 2 shown]
.LBB66_585:
	s_or_b32 exec_lo, exec_lo, s0
	s_mov_b32 s0, exec_lo
	s_waitcnt lgkmcnt(0)
	s_waitcnt_vscnt null, 0x0
	s_barrier
	buffer_gl0_inv
	v_cmpx_lt_i32_e32 27, v152
	s_cbranch_execz .LBB66_587
; %bb.586:
	v_mul_f64 v[146:147], v[138:139], v[28:29]
	v_mul_f64 v[28:29], v[140:141], v[28:29]
	v_fma_f64 v[146:147], v[140:141], v[26:27], v[146:147]
	v_fma_f64 v[26:27], v[138:139], v[26:27], -v[28:29]
	ds_read2_b64 v[138:141], v1 offset0:56 offset1:57
	s_waitcnt lgkmcnt(0)
	v_mul_f64 v[28:29], v[140:141], v[146:147]
	v_fma_f64 v[28:29], v[138:139], v[26:27], -v[28:29]
	v_mul_f64 v[138:139], v[138:139], v[146:147]
	v_add_f64 v[22:23], v[22:23], -v[28:29]
	v_fma_f64 v[138:139], v[140:141], v[26:27], v[138:139]
	v_add_f64 v[24:25], v[24:25], -v[138:139]
	ds_read2_b64 v[138:141], v1 offset0:58 offset1:59
	s_waitcnt lgkmcnt(0)
	v_mul_f64 v[28:29], v[140:141], v[146:147]
	v_fma_f64 v[28:29], v[138:139], v[26:27], -v[28:29]
	v_mul_f64 v[138:139], v[138:139], v[146:147]
	v_add_f64 v[18:19], v[18:19], -v[28:29]
	v_fma_f64 v[138:139], v[140:141], v[26:27], v[138:139]
	v_add_f64 v[20:21], v[20:21], -v[138:139]
	;; [unrolled: 8-line block ×5, first 2 shown]
	ds_read2_b64 v[138:141], v1 offset0:66 offset1:67
	s_waitcnt lgkmcnt(0)
	v_mul_f64 v[28:29], v[140:141], v[146:147]
	v_fma_f64 v[28:29], v[138:139], v[26:27], -v[28:29]
	v_mul_f64 v[138:139], v[138:139], v[146:147]
	v_add_f64 v[2:3], v[2:3], -v[28:29]
	v_fma_f64 v[138:139], v[140:141], v[26:27], v[138:139]
	v_mov_b32_e32 v28, v146
	v_mov_b32_e32 v29, v147
	v_add_f64 v[4:5], v[4:5], -v[138:139]
.LBB66_587:
	s_or_b32 exec_lo, exec_lo, s0
	v_lshl_add_u32 v138, v152, 4, v1
	s_barrier
	buffer_gl0_inv
	v_mov_b32_e32 v146, 28
	ds_write2_b64 v138, v[22:23], v[24:25] offset1:1
	s_waitcnt lgkmcnt(0)
	s_barrier
	buffer_gl0_inv
	ds_read2_b64 v[138:141], v1 offset0:56 offset1:57
	s_cmp_lt_i32 s18, 30
	s_cbranch_scc1 .LBB66_590
; %bb.588:
	v_add3_u32 v147, v148, 0, 0x1d0
	v_mov_b32_e32 v146, 28
	s_mov_b32 s1, 29
	s_inst_prefetch 0x1
	.p2align	6
.LBB66_589:                             ; =>This Inner Loop Header: Depth=1
	s_waitcnt lgkmcnt(0)
	v_cmp_gt_f64_e32 vcc_lo, 0, v[140:141]
	v_cmp_gt_f64_e64 s0, 0, v[138:139]
	ds_read2_b64 v[153:156], v147 offset1:1
	v_xor_b32_e32 v158, 0x80000000, v139
	v_xor_b32_e32 v160, 0x80000000, v141
	v_mov_b32_e32 v157, v138
	v_mov_b32_e32 v159, v140
	v_add_nc_u32_e32 v147, 16, v147
	s_waitcnt lgkmcnt(0)
	v_xor_b32_e32 v162, 0x80000000, v156
	v_cndmask_b32_e64 v158, v139, v158, s0
	v_cndmask_b32_e32 v160, v141, v160, vcc_lo
	v_cmp_gt_f64_e32 vcc_lo, 0, v[155:156]
	v_cmp_gt_f64_e64 s0, 0, v[153:154]
	v_mov_b32_e32 v161, v155
	v_add_f64 v[157:158], v[157:158], v[159:160]
	v_xor_b32_e32 v160, 0x80000000, v154
	v_mov_b32_e32 v159, v153
	v_cndmask_b32_e32 v162, v156, v162, vcc_lo
	v_cndmask_b32_e64 v160, v154, v160, s0
	v_add_f64 v[159:160], v[159:160], v[161:162]
	v_cmp_lt_f64_e32 vcc_lo, v[157:158], v[159:160]
	v_cndmask_b32_e32 v139, v139, v154, vcc_lo
	v_cndmask_b32_e32 v138, v138, v153, vcc_lo
	;; [unrolled: 1-line block ×4, first 2 shown]
	v_cndmask_b32_e64 v146, v146, s1, vcc_lo
	s_add_i32 s1, s1, 1
	s_cmp_lg_u32 s18, s1
	s_cbranch_scc1 .LBB66_589
.LBB66_590:
	s_inst_prefetch 0x2
	s_waitcnt lgkmcnt(0)
	v_cmp_eq_f64_e32 vcc_lo, 0, v[138:139]
	v_cmp_eq_f64_e64 s0, 0, v[140:141]
	s_and_b32 s0, vcc_lo, s0
	s_and_saveexec_b32 s1, s0
	s_xor_b32 s0, exec_lo, s1
; %bb.591:
	v_cmp_ne_u32_e32 vcc_lo, 0, v151
	v_cndmask_b32_e32 v151, 29, v151, vcc_lo
; %bb.592:
	s_andn2_saveexec_b32 s0, s0
	s_cbranch_execz .LBB66_598
; %bb.593:
	v_cmp_ngt_f64_e64 s1, |v[138:139]|, |v[140:141]|
	s_and_saveexec_b32 s2, s1
	s_xor_b32 s1, exec_lo, s2
	s_cbranch_execz .LBB66_595
; %bb.594:
	v_div_scale_f64 v[153:154], null, v[140:141], v[140:141], v[138:139]
	v_div_scale_f64 v[159:160], vcc_lo, v[138:139], v[140:141], v[138:139]
	v_rcp_f64_e32 v[155:156], v[153:154]
	v_fma_f64 v[157:158], -v[153:154], v[155:156], 1.0
	v_fma_f64 v[155:156], v[155:156], v[157:158], v[155:156]
	v_fma_f64 v[157:158], -v[153:154], v[155:156], 1.0
	v_fma_f64 v[155:156], v[155:156], v[157:158], v[155:156]
	v_mul_f64 v[157:158], v[159:160], v[155:156]
	v_fma_f64 v[153:154], -v[153:154], v[157:158], v[159:160]
	v_div_fmas_f64 v[153:154], v[153:154], v[155:156], v[157:158]
	v_div_fixup_f64 v[153:154], v[153:154], v[140:141], v[138:139]
	v_fma_f64 v[138:139], v[138:139], v[153:154], v[140:141]
	v_div_scale_f64 v[140:141], null, v[138:139], v[138:139], 1.0
	v_rcp_f64_e32 v[155:156], v[140:141]
	v_fma_f64 v[157:158], -v[140:141], v[155:156], 1.0
	v_fma_f64 v[155:156], v[155:156], v[157:158], v[155:156]
	v_fma_f64 v[157:158], -v[140:141], v[155:156], 1.0
	v_fma_f64 v[155:156], v[155:156], v[157:158], v[155:156]
	v_div_scale_f64 v[157:158], vcc_lo, 1.0, v[138:139], 1.0
	v_mul_f64 v[159:160], v[157:158], v[155:156]
	v_fma_f64 v[140:141], -v[140:141], v[159:160], v[157:158]
	v_div_fmas_f64 v[140:141], v[140:141], v[155:156], v[159:160]
	v_div_fixup_f64 v[140:141], v[140:141], v[138:139], 1.0
	v_mul_f64 v[138:139], v[153:154], v[140:141]
	v_xor_b32_e32 v141, 0x80000000, v141
.LBB66_595:
	s_andn2_saveexec_b32 s1, s1
	s_cbranch_execz .LBB66_597
; %bb.596:
	v_div_scale_f64 v[153:154], null, v[138:139], v[138:139], v[140:141]
	v_div_scale_f64 v[159:160], vcc_lo, v[140:141], v[138:139], v[140:141]
	v_rcp_f64_e32 v[155:156], v[153:154]
	v_fma_f64 v[157:158], -v[153:154], v[155:156], 1.0
	v_fma_f64 v[155:156], v[155:156], v[157:158], v[155:156]
	v_fma_f64 v[157:158], -v[153:154], v[155:156], 1.0
	v_fma_f64 v[155:156], v[155:156], v[157:158], v[155:156]
	v_mul_f64 v[157:158], v[159:160], v[155:156]
	v_fma_f64 v[153:154], -v[153:154], v[157:158], v[159:160]
	v_div_fmas_f64 v[153:154], v[153:154], v[155:156], v[157:158]
	v_div_fixup_f64 v[153:154], v[153:154], v[138:139], v[140:141]
	v_fma_f64 v[138:139], v[140:141], v[153:154], v[138:139]
	v_div_scale_f64 v[140:141], null, v[138:139], v[138:139], 1.0
	v_rcp_f64_e32 v[155:156], v[140:141]
	v_fma_f64 v[157:158], -v[140:141], v[155:156], 1.0
	v_fma_f64 v[155:156], v[155:156], v[157:158], v[155:156]
	v_fma_f64 v[157:158], -v[140:141], v[155:156], 1.0
	v_fma_f64 v[155:156], v[155:156], v[157:158], v[155:156]
	v_div_scale_f64 v[157:158], vcc_lo, 1.0, v[138:139], 1.0
	v_mul_f64 v[159:160], v[157:158], v[155:156]
	v_fma_f64 v[140:141], -v[140:141], v[159:160], v[157:158]
	v_div_fmas_f64 v[140:141], v[140:141], v[155:156], v[159:160]
	v_div_fixup_f64 v[138:139], v[140:141], v[138:139], 1.0
	v_mul_f64 v[140:141], v[153:154], -v[138:139]
.LBB66_597:
	s_or_b32 exec_lo, exec_lo, s1
.LBB66_598:
	s_or_b32 exec_lo, exec_lo, s0
	s_mov_b32 s0, exec_lo
	v_cmpx_ne_u32_e64 v152, v146
	s_xor_b32 s0, exec_lo, s0
	s_cbranch_execz .LBB66_604
; %bb.599:
	s_mov_b32 s1, exec_lo
	v_cmpx_eq_u32_e32 28, v152
	s_cbranch_execz .LBB66_603
; %bb.600:
	v_cmp_ne_u32_e32 vcc_lo, 28, v146
	s_xor_b32 s2, s16, -1
	s_and_b32 s3, s2, vcc_lo
	s_and_saveexec_b32 s2, s3
	s_cbranch_execz .LBB66_602
; %bb.601:
	v_ashrrev_i32_e32 v147, 31, v146
	v_lshlrev_b64 v[152:153], 2, v[146:147]
	v_add_co_u32 v152, vcc_lo, v144, v152
	v_add_co_ci_u32_e64 v153, null, v145, v153, vcc_lo
	s_clause 0x1
	global_load_dword v0, v[152:153], off
	global_load_dword v147, v[144:145], off offset:112
	s_waitcnt vmcnt(1)
	global_store_dword v[144:145], v0, off offset:112
	s_waitcnt vmcnt(0)
	global_store_dword v[152:153], v147, off
.LBB66_602:
	s_or_b32 exec_lo, exec_lo, s2
	v_mov_b32_e32 v152, v146
	v_mov_b32_e32 v0, v146
.LBB66_603:
	s_or_b32 exec_lo, exec_lo, s1
.LBB66_604:
	s_andn2_saveexec_b32 s0, s0
	s_cbranch_execz .LBB66_606
; %bb.605:
	v_mov_b32_e32 v152, 28
	ds_write2_b64 v1, v[18:19], v[20:21] offset0:58 offset1:59
	ds_write2_b64 v1, v[14:15], v[16:17] offset0:60 offset1:61
	;; [unrolled: 1-line block ×5, first 2 shown]
.LBB66_606:
	s_or_b32 exec_lo, exec_lo, s0
	s_mov_b32 s0, exec_lo
	s_waitcnt lgkmcnt(0)
	s_waitcnt_vscnt null, 0x0
	s_barrier
	buffer_gl0_inv
	v_cmpx_lt_i32_e32 28, v152
	s_cbranch_execz .LBB66_608
; %bb.607:
	v_mul_f64 v[146:147], v[138:139], v[24:25]
	v_mul_f64 v[24:25], v[140:141], v[24:25]
	ds_read2_b64 v[153:156], v1 offset0:58 offset1:59
	ds_read2_b64 v[157:160], v1 offset0:60 offset1:61
	;; [unrolled: 1-line block ×5, first 2 shown]
	v_fma_f64 v[140:141], v[140:141], v[22:23], v[146:147]
	v_fma_f64 v[22:23], v[138:139], v[22:23], -v[24:25]
	s_waitcnt lgkmcnt(4)
	v_mul_f64 v[24:25], v[155:156], v[140:141]
	v_mul_f64 v[138:139], v[153:154], v[140:141]
	s_waitcnt lgkmcnt(3)
	v_mul_f64 v[146:147], v[159:160], v[140:141]
	v_mul_f64 v[173:174], v[157:158], v[140:141]
	;; [unrolled: 3-line block ×5, first 2 shown]
	v_fma_f64 v[24:25], v[153:154], v[22:23], -v[24:25]
	v_fma_f64 v[138:139], v[155:156], v[22:23], v[138:139]
	v_fma_f64 v[146:147], v[157:158], v[22:23], -v[146:147]
	v_fma_f64 v[153:154], v[159:160], v[22:23], v[173:174]
	v_fma_f64 v[155:156], v[161:162], v[22:23], -v[175:176]
	v_fma_f64 v[157:158], v[163:164], v[22:23], v[177:178]
	v_fma_f64 v[159:160], v[165:166], v[22:23], -v[179:180]
	v_fma_f64 v[161:162], v[167:168], v[22:23], v[181:182]
	v_fma_f64 v[163:164], v[169:170], v[22:23], -v[183:184]
	v_fma_f64 v[165:166], v[171:172], v[22:23], v[185:186]
	v_add_f64 v[18:19], v[18:19], -v[24:25]
	v_add_f64 v[20:21], v[20:21], -v[138:139]
	;; [unrolled: 1-line block ×10, first 2 shown]
	v_mov_b32_e32 v24, v140
	v_mov_b32_e32 v25, v141
.LBB66_608:
	s_or_b32 exec_lo, exec_lo, s0
	v_lshl_add_u32 v138, v152, 4, v1
	s_barrier
	buffer_gl0_inv
	v_mov_b32_e32 v146, 29
	ds_write2_b64 v138, v[18:19], v[20:21] offset1:1
	s_waitcnt lgkmcnt(0)
	s_barrier
	buffer_gl0_inv
	ds_read2_b64 v[138:141], v1 offset0:58 offset1:59
	s_cmp_lt_i32 s18, 31
	s_cbranch_scc1 .LBB66_611
; %bb.609:
	v_add3_u32 v147, v148, 0, 0x1e0
	v_mov_b32_e32 v146, 29
	s_mov_b32 s1, 30
	s_inst_prefetch 0x1
	.p2align	6
.LBB66_610:                             ; =>This Inner Loop Header: Depth=1
	s_waitcnt lgkmcnt(0)
	v_cmp_gt_f64_e32 vcc_lo, 0, v[140:141]
	v_cmp_gt_f64_e64 s0, 0, v[138:139]
	ds_read2_b64 v[153:156], v147 offset1:1
	v_xor_b32_e32 v158, 0x80000000, v139
	v_xor_b32_e32 v160, 0x80000000, v141
	v_mov_b32_e32 v157, v138
	v_mov_b32_e32 v159, v140
	v_add_nc_u32_e32 v147, 16, v147
	s_waitcnt lgkmcnt(0)
	v_xor_b32_e32 v162, 0x80000000, v156
	v_cndmask_b32_e64 v158, v139, v158, s0
	v_cndmask_b32_e32 v160, v141, v160, vcc_lo
	v_cmp_gt_f64_e32 vcc_lo, 0, v[155:156]
	v_cmp_gt_f64_e64 s0, 0, v[153:154]
	v_mov_b32_e32 v161, v155
	v_add_f64 v[157:158], v[157:158], v[159:160]
	v_xor_b32_e32 v160, 0x80000000, v154
	v_mov_b32_e32 v159, v153
	v_cndmask_b32_e32 v162, v156, v162, vcc_lo
	v_cndmask_b32_e64 v160, v154, v160, s0
	v_add_f64 v[159:160], v[159:160], v[161:162]
	v_cmp_lt_f64_e32 vcc_lo, v[157:158], v[159:160]
	v_cndmask_b32_e32 v139, v139, v154, vcc_lo
	v_cndmask_b32_e32 v138, v138, v153, vcc_lo
	;; [unrolled: 1-line block ×4, first 2 shown]
	v_cndmask_b32_e64 v146, v146, s1, vcc_lo
	s_add_i32 s1, s1, 1
	s_cmp_lg_u32 s18, s1
	s_cbranch_scc1 .LBB66_610
.LBB66_611:
	s_inst_prefetch 0x2
	s_waitcnt lgkmcnt(0)
	v_cmp_eq_f64_e32 vcc_lo, 0, v[138:139]
	v_cmp_eq_f64_e64 s0, 0, v[140:141]
	s_and_b32 s0, vcc_lo, s0
	s_and_saveexec_b32 s1, s0
	s_xor_b32 s0, exec_lo, s1
; %bb.612:
	v_cmp_ne_u32_e32 vcc_lo, 0, v151
	v_cndmask_b32_e32 v151, 30, v151, vcc_lo
; %bb.613:
	s_andn2_saveexec_b32 s0, s0
	s_cbranch_execz .LBB66_619
; %bb.614:
	v_cmp_ngt_f64_e64 s1, |v[138:139]|, |v[140:141]|
	s_and_saveexec_b32 s2, s1
	s_xor_b32 s1, exec_lo, s2
	s_cbranch_execz .LBB66_616
; %bb.615:
	v_div_scale_f64 v[153:154], null, v[140:141], v[140:141], v[138:139]
	v_div_scale_f64 v[159:160], vcc_lo, v[138:139], v[140:141], v[138:139]
	v_rcp_f64_e32 v[155:156], v[153:154]
	v_fma_f64 v[157:158], -v[153:154], v[155:156], 1.0
	v_fma_f64 v[155:156], v[155:156], v[157:158], v[155:156]
	v_fma_f64 v[157:158], -v[153:154], v[155:156], 1.0
	v_fma_f64 v[155:156], v[155:156], v[157:158], v[155:156]
	v_mul_f64 v[157:158], v[159:160], v[155:156]
	v_fma_f64 v[153:154], -v[153:154], v[157:158], v[159:160]
	v_div_fmas_f64 v[153:154], v[153:154], v[155:156], v[157:158]
	v_div_fixup_f64 v[153:154], v[153:154], v[140:141], v[138:139]
	v_fma_f64 v[138:139], v[138:139], v[153:154], v[140:141]
	v_div_scale_f64 v[140:141], null, v[138:139], v[138:139], 1.0
	v_rcp_f64_e32 v[155:156], v[140:141]
	v_fma_f64 v[157:158], -v[140:141], v[155:156], 1.0
	v_fma_f64 v[155:156], v[155:156], v[157:158], v[155:156]
	v_fma_f64 v[157:158], -v[140:141], v[155:156], 1.0
	v_fma_f64 v[155:156], v[155:156], v[157:158], v[155:156]
	v_div_scale_f64 v[157:158], vcc_lo, 1.0, v[138:139], 1.0
	v_mul_f64 v[159:160], v[157:158], v[155:156]
	v_fma_f64 v[140:141], -v[140:141], v[159:160], v[157:158]
	v_div_fmas_f64 v[140:141], v[140:141], v[155:156], v[159:160]
	v_div_fixup_f64 v[140:141], v[140:141], v[138:139], 1.0
	v_mul_f64 v[138:139], v[153:154], v[140:141]
	v_xor_b32_e32 v141, 0x80000000, v141
.LBB66_616:
	s_andn2_saveexec_b32 s1, s1
	s_cbranch_execz .LBB66_618
; %bb.617:
	v_div_scale_f64 v[153:154], null, v[138:139], v[138:139], v[140:141]
	v_div_scale_f64 v[159:160], vcc_lo, v[140:141], v[138:139], v[140:141]
	v_rcp_f64_e32 v[155:156], v[153:154]
	v_fma_f64 v[157:158], -v[153:154], v[155:156], 1.0
	v_fma_f64 v[155:156], v[155:156], v[157:158], v[155:156]
	v_fma_f64 v[157:158], -v[153:154], v[155:156], 1.0
	v_fma_f64 v[155:156], v[155:156], v[157:158], v[155:156]
	v_mul_f64 v[157:158], v[159:160], v[155:156]
	v_fma_f64 v[153:154], -v[153:154], v[157:158], v[159:160]
	v_div_fmas_f64 v[153:154], v[153:154], v[155:156], v[157:158]
	v_div_fixup_f64 v[153:154], v[153:154], v[138:139], v[140:141]
	v_fma_f64 v[138:139], v[140:141], v[153:154], v[138:139]
	v_div_scale_f64 v[140:141], null, v[138:139], v[138:139], 1.0
	v_rcp_f64_e32 v[155:156], v[140:141]
	v_fma_f64 v[157:158], -v[140:141], v[155:156], 1.0
	v_fma_f64 v[155:156], v[155:156], v[157:158], v[155:156]
	v_fma_f64 v[157:158], -v[140:141], v[155:156], 1.0
	v_fma_f64 v[155:156], v[155:156], v[157:158], v[155:156]
	v_div_scale_f64 v[157:158], vcc_lo, 1.0, v[138:139], 1.0
	v_mul_f64 v[159:160], v[157:158], v[155:156]
	v_fma_f64 v[140:141], -v[140:141], v[159:160], v[157:158]
	v_div_fmas_f64 v[140:141], v[140:141], v[155:156], v[159:160]
	v_div_fixup_f64 v[138:139], v[140:141], v[138:139], 1.0
	v_mul_f64 v[140:141], v[153:154], -v[138:139]
.LBB66_618:
	s_or_b32 exec_lo, exec_lo, s1
.LBB66_619:
	s_or_b32 exec_lo, exec_lo, s0
	s_mov_b32 s0, exec_lo
	v_cmpx_ne_u32_e64 v152, v146
	s_xor_b32 s0, exec_lo, s0
	s_cbranch_execz .LBB66_625
; %bb.620:
	s_mov_b32 s1, exec_lo
	v_cmpx_eq_u32_e32 29, v152
	s_cbranch_execz .LBB66_624
; %bb.621:
	v_cmp_ne_u32_e32 vcc_lo, 29, v146
	s_xor_b32 s2, s16, -1
	s_and_b32 s3, s2, vcc_lo
	s_and_saveexec_b32 s2, s3
	s_cbranch_execz .LBB66_623
; %bb.622:
	v_ashrrev_i32_e32 v147, 31, v146
	v_lshlrev_b64 v[152:153], 2, v[146:147]
	v_add_co_u32 v152, vcc_lo, v144, v152
	v_add_co_ci_u32_e64 v153, null, v145, v153, vcc_lo
	s_clause 0x1
	global_load_dword v0, v[152:153], off
	global_load_dword v147, v[144:145], off offset:116
	s_waitcnt vmcnt(1)
	global_store_dword v[144:145], v0, off offset:116
	s_waitcnt vmcnt(0)
	global_store_dword v[152:153], v147, off
.LBB66_623:
	s_or_b32 exec_lo, exec_lo, s2
	v_mov_b32_e32 v152, v146
	v_mov_b32_e32 v0, v146
.LBB66_624:
	s_or_b32 exec_lo, exec_lo, s1
.LBB66_625:
	s_andn2_saveexec_b32 s0, s0
	s_cbranch_execz .LBB66_627
; %bb.626:
	v_mov_b32_e32 v152, 29
	ds_write2_b64 v1, v[14:15], v[16:17] offset0:60 offset1:61
	ds_write2_b64 v1, v[10:11], v[12:13] offset0:62 offset1:63
	;; [unrolled: 1-line block ×4, first 2 shown]
.LBB66_627:
	s_or_b32 exec_lo, exec_lo, s0
	s_mov_b32 s0, exec_lo
	s_waitcnt lgkmcnt(0)
	s_waitcnt_vscnt null, 0x0
	s_barrier
	buffer_gl0_inv
	v_cmpx_lt_i32_e32 29, v152
	s_cbranch_execz .LBB66_629
; %bb.628:
	v_mul_f64 v[146:147], v[138:139], v[20:21]
	v_mul_f64 v[20:21], v[140:141], v[20:21]
	ds_read2_b64 v[153:156], v1 offset0:60 offset1:61
	ds_read2_b64 v[157:160], v1 offset0:62 offset1:63
	ds_read2_b64 v[161:164], v1 offset0:64 offset1:65
	ds_read2_b64 v[165:168], v1 offset0:66 offset1:67
	v_fma_f64 v[140:141], v[140:141], v[18:19], v[146:147]
	v_fma_f64 v[18:19], v[138:139], v[18:19], -v[20:21]
	s_waitcnt lgkmcnt(3)
	v_mul_f64 v[20:21], v[155:156], v[140:141]
	v_mul_f64 v[138:139], v[153:154], v[140:141]
	s_waitcnt lgkmcnt(2)
	v_mul_f64 v[146:147], v[159:160], v[140:141]
	v_mul_f64 v[169:170], v[157:158], v[140:141]
	;; [unrolled: 3-line block ×4, first 2 shown]
	v_fma_f64 v[20:21], v[153:154], v[18:19], -v[20:21]
	v_fma_f64 v[138:139], v[155:156], v[18:19], v[138:139]
	v_fma_f64 v[146:147], v[157:158], v[18:19], -v[146:147]
	v_fma_f64 v[153:154], v[159:160], v[18:19], v[169:170]
	;; [unrolled: 2-line block ×4, first 2 shown]
	v_add_f64 v[14:15], v[14:15], -v[20:21]
	v_add_f64 v[16:17], v[16:17], -v[138:139]
	;; [unrolled: 1-line block ×8, first 2 shown]
	v_mov_b32_e32 v20, v140
	v_mov_b32_e32 v21, v141
.LBB66_629:
	s_or_b32 exec_lo, exec_lo, s0
	v_lshl_add_u32 v138, v152, 4, v1
	s_barrier
	buffer_gl0_inv
	v_mov_b32_e32 v146, 30
	ds_write2_b64 v138, v[14:15], v[16:17] offset1:1
	s_waitcnt lgkmcnt(0)
	s_barrier
	buffer_gl0_inv
	ds_read2_b64 v[138:141], v1 offset0:60 offset1:61
	s_cmp_lt_i32 s18, 32
	s_cbranch_scc1 .LBB66_632
; %bb.630:
	v_add3_u32 v147, v148, 0, 0x1f0
	v_mov_b32_e32 v146, 30
	s_mov_b32 s1, 31
	s_inst_prefetch 0x1
	.p2align	6
.LBB66_631:                             ; =>This Inner Loop Header: Depth=1
	s_waitcnt lgkmcnt(0)
	v_cmp_gt_f64_e32 vcc_lo, 0, v[140:141]
	v_cmp_gt_f64_e64 s0, 0, v[138:139]
	ds_read2_b64 v[153:156], v147 offset1:1
	v_xor_b32_e32 v158, 0x80000000, v139
	v_xor_b32_e32 v160, 0x80000000, v141
	v_mov_b32_e32 v157, v138
	v_mov_b32_e32 v159, v140
	v_add_nc_u32_e32 v147, 16, v147
	s_waitcnt lgkmcnt(0)
	v_xor_b32_e32 v162, 0x80000000, v156
	v_cndmask_b32_e64 v158, v139, v158, s0
	v_cndmask_b32_e32 v160, v141, v160, vcc_lo
	v_cmp_gt_f64_e32 vcc_lo, 0, v[155:156]
	v_cmp_gt_f64_e64 s0, 0, v[153:154]
	v_mov_b32_e32 v161, v155
	v_add_f64 v[157:158], v[157:158], v[159:160]
	v_xor_b32_e32 v160, 0x80000000, v154
	v_mov_b32_e32 v159, v153
	v_cndmask_b32_e32 v162, v156, v162, vcc_lo
	v_cndmask_b32_e64 v160, v154, v160, s0
	v_add_f64 v[159:160], v[159:160], v[161:162]
	v_cmp_lt_f64_e32 vcc_lo, v[157:158], v[159:160]
	v_cndmask_b32_e32 v139, v139, v154, vcc_lo
	v_cndmask_b32_e32 v138, v138, v153, vcc_lo
	;; [unrolled: 1-line block ×4, first 2 shown]
	v_cndmask_b32_e64 v146, v146, s1, vcc_lo
	s_add_i32 s1, s1, 1
	s_cmp_lg_u32 s18, s1
	s_cbranch_scc1 .LBB66_631
.LBB66_632:
	s_inst_prefetch 0x2
	s_waitcnt lgkmcnt(0)
	v_cmp_eq_f64_e32 vcc_lo, 0, v[138:139]
	v_cmp_eq_f64_e64 s0, 0, v[140:141]
	s_and_b32 s0, vcc_lo, s0
	s_and_saveexec_b32 s1, s0
	s_xor_b32 s0, exec_lo, s1
; %bb.633:
	v_cmp_ne_u32_e32 vcc_lo, 0, v151
	v_cndmask_b32_e32 v151, 31, v151, vcc_lo
; %bb.634:
	s_andn2_saveexec_b32 s0, s0
	s_cbranch_execz .LBB66_640
; %bb.635:
	v_cmp_ngt_f64_e64 s1, |v[138:139]|, |v[140:141]|
	s_and_saveexec_b32 s2, s1
	s_xor_b32 s1, exec_lo, s2
	s_cbranch_execz .LBB66_637
; %bb.636:
	v_div_scale_f64 v[153:154], null, v[140:141], v[140:141], v[138:139]
	v_div_scale_f64 v[159:160], vcc_lo, v[138:139], v[140:141], v[138:139]
	v_rcp_f64_e32 v[155:156], v[153:154]
	v_fma_f64 v[157:158], -v[153:154], v[155:156], 1.0
	v_fma_f64 v[155:156], v[155:156], v[157:158], v[155:156]
	v_fma_f64 v[157:158], -v[153:154], v[155:156], 1.0
	v_fma_f64 v[155:156], v[155:156], v[157:158], v[155:156]
	v_mul_f64 v[157:158], v[159:160], v[155:156]
	v_fma_f64 v[153:154], -v[153:154], v[157:158], v[159:160]
	v_div_fmas_f64 v[153:154], v[153:154], v[155:156], v[157:158]
	v_div_fixup_f64 v[153:154], v[153:154], v[140:141], v[138:139]
	v_fma_f64 v[138:139], v[138:139], v[153:154], v[140:141]
	v_div_scale_f64 v[140:141], null, v[138:139], v[138:139], 1.0
	v_rcp_f64_e32 v[155:156], v[140:141]
	v_fma_f64 v[157:158], -v[140:141], v[155:156], 1.0
	v_fma_f64 v[155:156], v[155:156], v[157:158], v[155:156]
	v_fma_f64 v[157:158], -v[140:141], v[155:156], 1.0
	v_fma_f64 v[155:156], v[155:156], v[157:158], v[155:156]
	v_div_scale_f64 v[157:158], vcc_lo, 1.0, v[138:139], 1.0
	v_mul_f64 v[159:160], v[157:158], v[155:156]
	v_fma_f64 v[140:141], -v[140:141], v[159:160], v[157:158]
	v_div_fmas_f64 v[140:141], v[140:141], v[155:156], v[159:160]
	v_div_fixup_f64 v[140:141], v[140:141], v[138:139], 1.0
	v_mul_f64 v[138:139], v[153:154], v[140:141]
	v_xor_b32_e32 v141, 0x80000000, v141
.LBB66_637:
	s_andn2_saveexec_b32 s1, s1
	s_cbranch_execz .LBB66_639
; %bb.638:
	v_div_scale_f64 v[153:154], null, v[138:139], v[138:139], v[140:141]
	v_div_scale_f64 v[159:160], vcc_lo, v[140:141], v[138:139], v[140:141]
	v_rcp_f64_e32 v[155:156], v[153:154]
	v_fma_f64 v[157:158], -v[153:154], v[155:156], 1.0
	v_fma_f64 v[155:156], v[155:156], v[157:158], v[155:156]
	v_fma_f64 v[157:158], -v[153:154], v[155:156], 1.0
	v_fma_f64 v[155:156], v[155:156], v[157:158], v[155:156]
	v_mul_f64 v[157:158], v[159:160], v[155:156]
	v_fma_f64 v[153:154], -v[153:154], v[157:158], v[159:160]
	v_div_fmas_f64 v[153:154], v[153:154], v[155:156], v[157:158]
	v_div_fixup_f64 v[153:154], v[153:154], v[138:139], v[140:141]
	v_fma_f64 v[138:139], v[140:141], v[153:154], v[138:139]
	v_div_scale_f64 v[140:141], null, v[138:139], v[138:139], 1.0
	v_rcp_f64_e32 v[155:156], v[140:141]
	v_fma_f64 v[157:158], -v[140:141], v[155:156], 1.0
	v_fma_f64 v[155:156], v[155:156], v[157:158], v[155:156]
	v_fma_f64 v[157:158], -v[140:141], v[155:156], 1.0
	v_fma_f64 v[155:156], v[155:156], v[157:158], v[155:156]
	v_div_scale_f64 v[157:158], vcc_lo, 1.0, v[138:139], 1.0
	v_mul_f64 v[159:160], v[157:158], v[155:156]
	v_fma_f64 v[140:141], -v[140:141], v[159:160], v[157:158]
	v_div_fmas_f64 v[140:141], v[140:141], v[155:156], v[159:160]
	v_div_fixup_f64 v[138:139], v[140:141], v[138:139], 1.0
	v_mul_f64 v[140:141], v[153:154], -v[138:139]
.LBB66_639:
	s_or_b32 exec_lo, exec_lo, s1
.LBB66_640:
	s_or_b32 exec_lo, exec_lo, s0
	s_mov_b32 s0, exec_lo
	v_cmpx_ne_u32_e64 v152, v146
	s_xor_b32 s0, exec_lo, s0
	s_cbranch_execz .LBB66_646
; %bb.641:
	s_mov_b32 s1, exec_lo
	v_cmpx_eq_u32_e32 30, v152
	s_cbranch_execz .LBB66_645
; %bb.642:
	v_cmp_ne_u32_e32 vcc_lo, 30, v146
	s_xor_b32 s2, s16, -1
	s_and_b32 s3, s2, vcc_lo
	s_and_saveexec_b32 s2, s3
	s_cbranch_execz .LBB66_644
; %bb.643:
	v_ashrrev_i32_e32 v147, 31, v146
	v_lshlrev_b64 v[152:153], 2, v[146:147]
	v_add_co_u32 v152, vcc_lo, v144, v152
	v_add_co_ci_u32_e64 v153, null, v145, v153, vcc_lo
	s_clause 0x1
	global_load_dword v0, v[152:153], off
	global_load_dword v147, v[144:145], off offset:120
	s_waitcnt vmcnt(1)
	global_store_dword v[144:145], v0, off offset:120
	s_waitcnt vmcnt(0)
	global_store_dword v[152:153], v147, off
.LBB66_644:
	s_or_b32 exec_lo, exec_lo, s2
	v_mov_b32_e32 v152, v146
	v_mov_b32_e32 v0, v146
.LBB66_645:
	s_or_b32 exec_lo, exec_lo, s1
.LBB66_646:
	s_andn2_saveexec_b32 s0, s0
	s_cbranch_execz .LBB66_648
; %bb.647:
	v_mov_b32_e32 v152, 30
	ds_write2_b64 v1, v[10:11], v[12:13] offset0:62 offset1:63
	ds_write2_b64 v1, v[6:7], v[8:9] offset0:64 offset1:65
	;; [unrolled: 1-line block ×3, first 2 shown]
.LBB66_648:
	s_or_b32 exec_lo, exec_lo, s0
	s_mov_b32 s0, exec_lo
	s_waitcnt lgkmcnt(0)
	s_waitcnt_vscnt null, 0x0
	s_barrier
	buffer_gl0_inv
	v_cmpx_lt_i32_e32 30, v152
	s_cbranch_execz .LBB66_650
; %bb.649:
	v_mul_f64 v[146:147], v[138:139], v[16:17]
	v_mul_f64 v[16:17], v[140:141], v[16:17]
	ds_read2_b64 v[153:156], v1 offset0:62 offset1:63
	ds_read2_b64 v[157:160], v1 offset0:64 offset1:65
	;; [unrolled: 1-line block ×3, first 2 shown]
	v_fma_f64 v[140:141], v[140:141], v[14:15], v[146:147]
	v_fma_f64 v[14:15], v[138:139], v[14:15], -v[16:17]
	s_waitcnt lgkmcnt(2)
	v_mul_f64 v[16:17], v[155:156], v[140:141]
	v_mul_f64 v[138:139], v[153:154], v[140:141]
	s_waitcnt lgkmcnt(1)
	v_mul_f64 v[146:147], v[159:160], v[140:141]
	v_mul_f64 v[165:166], v[157:158], v[140:141]
	;; [unrolled: 3-line block ×3, first 2 shown]
	v_fma_f64 v[16:17], v[153:154], v[14:15], -v[16:17]
	v_fma_f64 v[138:139], v[155:156], v[14:15], v[138:139]
	v_fma_f64 v[146:147], v[157:158], v[14:15], -v[146:147]
	v_fma_f64 v[153:154], v[159:160], v[14:15], v[165:166]
	;; [unrolled: 2-line block ×3, first 2 shown]
	v_add_f64 v[10:11], v[10:11], -v[16:17]
	v_add_f64 v[12:13], v[12:13], -v[138:139]
	;; [unrolled: 1-line block ×6, first 2 shown]
	v_mov_b32_e32 v16, v140
	v_mov_b32_e32 v17, v141
.LBB66_650:
	s_or_b32 exec_lo, exec_lo, s0
	v_lshl_add_u32 v138, v152, 4, v1
	s_barrier
	buffer_gl0_inv
	v_mov_b32_e32 v146, 31
	ds_write2_b64 v138, v[10:11], v[12:13] offset1:1
	s_waitcnt lgkmcnt(0)
	s_barrier
	buffer_gl0_inv
	ds_read2_b64 v[138:141], v1 offset0:62 offset1:63
	s_cmp_lt_i32 s18, 33
	s_cbranch_scc1 .LBB66_653
; %bb.651:
	v_add3_u32 v147, v148, 0, 0x200
	v_mov_b32_e32 v146, 31
	s_mov_b32 s1, 32
	s_inst_prefetch 0x1
	.p2align	6
.LBB66_652:                             ; =>This Inner Loop Header: Depth=1
	s_waitcnt lgkmcnt(0)
	v_cmp_gt_f64_e32 vcc_lo, 0, v[140:141]
	v_cmp_gt_f64_e64 s0, 0, v[138:139]
	ds_read2_b64 v[153:156], v147 offset1:1
	v_xor_b32_e32 v158, 0x80000000, v139
	v_xor_b32_e32 v160, 0x80000000, v141
	v_mov_b32_e32 v157, v138
	v_mov_b32_e32 v159, v140
	v_add_nc_u32_e32 v147, 16, v147
	s_waitcnt lgkmcnt(0)
	v_xor_b32_e32 v162, 0x80000000, v156
	v_cndmask_b32_e64 v158, v139, v158, s0
	v_cndmask_b32_e32 v160, v141, v160, vcc_lo
	v_cmp_gt_f64_e32 vcc_lo, 0, v[155:156]
	v_cmp_gt_f64_e64 s0, 0, v[153:154]
	v_mov_b32_e32 v161, v155
	v_add_f64 v[157:158], v[157:158], v[159:160]
	v_xor_b32_e32 v160, 0x80000000, v154
	v_mov_b32_e32 v159, v153
	v_cndmask_b32_e32 v162, v156, v162, vcc_lo
	v_cndmask_b32_e64 v160, v154, v160, s0
	v_add_f64 v[159:160], v[159:160], v[161:162]
	v_cmp_lt_f64_e32 vcc_lo, v[157:158], v[159:160]
	v_cndmask_b32_e32 v139, v139, v154, vcc_lo
	v_cndmask_b32_e32 v138, v138, v153, vcc_lo
	;; [unrolled: 1-line block ×4, first 2 shown]
	v_cndmask_b32_e64 v146, v146, s1, vcc_lo
	s_add_i32 s1, s1, 1
	s_cmp_lg_u32 s18, s1
	s_cbranch_scc1 .LBB66_652
.LBB66_653:
	s_inst_prefetch 0x2
	s_waitcnt lgkmcnt(0)
	v_cmp_eq_f64_e32 vcc_lo, 0, v[138:139]
	v_cmp_eq_f64_e64 s0, 0, v[140:141]
	s_and_b32 s0, vcc_lo, s0
	s_and_saveexec_b32 s1, s0
	s_xor_b32 s0, exec_lo, s1
; %bb.654:
	v_cmp_ne_u32_e32 vcc_lo, 0, v151
	v_cndmask_b32_e32 v151, 32, v151, vcc_lo
; %bb.655:
	s_andn2_saveexec_b32 s0, s0
	s_cbranch_execz .LBB66_661
; %bb.656:
	v_cmp_ngt_f64_e64 s1, |v[138:139]|, |v[140:141]|
	s_and_saveexec_b32 s2, s1
	s_xor_b32 s1, exec_lo, s2
	s_cbranch_execz .LBB66_658
; %bb.657:
	v_div_scale_f64 v[153:154], null, v[140:141], v[140:141], v[138:139]
	v_div_scale_f64 v[159:160], vcc_lo, v[138:139], v[140:141], v[138:139]
	v_rcp_f64_e32 v[155:156], v[153:154]
	v_fma_f64 v[157:158], -v[153:154], v[155:156], 1.0
	v_fma_f64 v[155:156], v[155:156], v[157:158], v[155:156]
	v_fma_f64 v[157:158], -v[153:154], v[155:156], 1.0
	v_fma_f64 v[155:156], v[155:156], v[157:158], v[155:156]
	v_mul_f64 v[157:158], v[159:160], v[155:156]
	v_fma_f64 v[153:154], -v[153:154], v[157:158], v[159:160]
	v_div_fmas_f64 v[153:154], v[153:154], v[155:156], v[157:158]
	v_div_fixup_f64 v[153:154], v[153:154], v[140:141], v[138:139]
	v_fma_f64 v[138:139], v[138:139], v[153:154], v[140:141]
	v_div_scale_f64 v[140:141], null, v[138:139], v[138:139], 1.0
	v_rcp_f64_e32 v[155:156], v[140:141]
	v_fma_f64 v[157:158], -v[140:141], v[155:156], 1.0
	v_fma_f64 v[155:156], v[155:156], v[157:158], v[155:156]
	v_fma_f64 v[157:158], -v[140:141], v[155:156], 1.0
	v_fma_f64 v[155:156], v[155:156], v[157:158], v[155:156]
	v_div_scale_f64 v[157:158], vcc_lo, 1.0, v[138:139], 1.0
	v_mul_f64 v[159:160], v[157:158], v[155:156]
	v_fma_f64 v[140:141], -v[140:141], v[159:160], v[157:158]
	v_div_fmas_f64 v[140:141], v[140:141], v[155:156], v[159:160]
	v_div_fixup_f64 v[140:141], v[140:141], v[138:139], 1.0
	v_mul_f64 v[138:139], v[153:154], v[140:141]
	v_xor_b32_e32 v141, 0x80000000, v141
.LBB66_658:
	s_andn2_saveexec_b32 s1, s1
	s_cbranch_execz .LBB66_660
; %bb.659:
	v_div_scale_f64 v[153:154], null, v[138:139], v[138:139], v[140:141]
	v_div_scale_f64 v[159:160], vcc_lo, v[140:141], v[138:139], v[140:141]
	v_rcp_f64_e32 v[155:156], v[153:154]
	v_fma_f64 v[157:158], -v[153:154], v[155:156], 1.0
	v_fma_f64 v[155:156], v[155:156], v[157:158], v[155:156]
	v_fma_f64 v[157:158], -v[153:154], v[155:156], 1.0
	v_fma_f64 v[155:156], v[155:156], v[157:158], v[155:156]
	v_mul_f64 v[157:158], v[159:160], v[155:156]
	v_fma_f64 v[153:154], -v[153:154], v[157:158], v[159:160]
	v_div_fmas_f64 v[153:154], v[153:154], v[155:156], v[157:158]
	v_div_fixup_f64 v[153:154], v[153:154], v[138:139], v[140:141]
	v_fma_f64 v[138:139], v[140:141], v[153:154], v[138:139]
	v_div_scale_f64 v[140:141], null, v[138:139], v[138:139], 1.0
	v_rcp_f64_e32 v[155:156], v[140:141]
	v_fma_f64 v[157:158], -v[140:141], v[155:156], 1.0
	v_fma_f64 v[155:156], v[155:156], v[157:158], v[155:156]
	v_fma_f64 v[157:158], -v[140:141], v[155:156], 1.0
	v_fma_f64 v[155:156], v[155:156], v[157:158], v[155:156]
	v_div_scale_f64 v[157:158], vcc_lo, 1.0, v[138:139], 1.0
	v_mul_f64 v[159:160], v[157:158], v[155:156]
	v_fma_f64 v[140:141], -v[140:141], v[159:160], v[157:158]
	v_div_fmas_f64 v[140:141], v[140:141], v[155:156], v[159:160]
	v_div_fixup_f64 v[138:139], v[140:141], v[138:139], 1.0
	v_mul_f64 v[140:141], v[153:154], -v[138:139]
.LBB66_660:
	s_or_b32 exec_lo, exec_lo, s1
.LBB66_661:
	s_or_b32 exec_lo, exec_lo, s0
	s_mov_b32 s0, exec_lo
	v_cmpx_ne_u32_e64 v152, v146
	s_xor_b32 s0, exec_lo, s0
	s_cbranch_execz .LBB66_667
; %bb.662:
	s_mov_b32 s1, exec_lo
	v_cmpx_eq_u32_e32 31, v152
	s_cbranch_execz .LBB66_666
; %bb.663:
	v_cmp_ne_u32_e32 vcc_lo, 31, v146
	s_xor_b32 s2, s16, -1
	s_and_b32 s3, s2, vcc_lo
	s_and_saveexec_b32 s2, s3
	s_cbranch_execz .LBB66_665
; %bb.664:
	v_ashrrev_i32_e32 v147, 31, v146
	v_lshlrev_b64 v[152:153], 2, v[146:147]
	v_add_co_u32 v152, vcc_lo, v144, v152
	v_add_co_ci_u32_e64 v153, null, v145, v153, vcc_lo
	s_clause 0x1
	global_load_dword v0, v[152:153], off
	global_load_dword v147, v[144:145], off offset:124
	s_waitcnt vmcnt(1)
	global_store_dword v[144:145], v0, off offset:124
	s_waitcnt vmcnt(0)
	global_store_dword v[152:153], v147, off
.LBB66_665:
	s_or_b32 exec_lo, exec_lo, s2
	v_mov_b32_e32 v152, v146
	v_mov_b32_e32 v0, v146
.LBB66_666:
	s_or_b32 exec_lo, exec_lo, s1
.LBB66_667:
	s_andn2_saveexec_b32 s0, s0
	s_cbranch_execz .LBB66_669
; %bb.668:
	v_mov_b32_e32 v152, 31
	ds_write2_b64 v1, v[6:7], v[8:9] offset0:64 offset1:65
	ds_write2_b64 v1, v[2:3], v[4:5] offset0:66 offset1:67
.LBB66_669:
	s_or_b32 exec_lo, exec_lo, s0
	s_mov_b32 s0, exec_lo
	s_waitcnt lgkmcnt(0)
	s_waitcnt_vscnt null, 0x0
	s_barrier
	buffer_gl0_inv
	v_cmpx_lt_i32_e32 31, v152
	s_cbranch_execz .LBB66_671
; %bb.670:
	v_mul_f64 v[146:147], v[138:139], v[12:13]
	v_mul_f64 v[12:13], v[140:141], v[12:13]
	ds_read2_b64 v[153:156], v1 offset0:64 offset1:65
	ds_read2_b64 v[157:160], v1 offset0:66 offset1:67
	v_fma_f64 v[140:141], v[140:141], v[10:11], v[146:147]
	v_fma_f64 v[10:11], v[138:139], v[10:11], -v[12:13]
	s_waitcnt lgkmcnt(1)
	v_mul_f64 v[12:13], v[155:156], v[140:141]
	v_mul_f64 v[138:139], v[153:154], v[140:141]
	s_waitcnt lgkmcnt(0)
	v_mul_f64 v[146:147], v[159:160], v[140:141]
	v_mul_f64 v[161:162], v[157:158], v[140:141]
	v_fma_f64 v[12:13], v[153:154], v[10:11], -v[12:13]
	v_fma_f64 v[138:139], v[155:156], v[10:11], v[138:139]
	v_fma_f64 v[146:147], v[157:158], v[10:11], -v[146:147]
	v_fma_f64 v[153:154], v[159:160], v[10:11], v[161:162]
	v_add_f64 v[6:7], v[6:7], -v[12:13]
	v_add_f64 v[8:9], v[8:9], -v[138:139]
	;; [unrolled: 1-line block ×4, first 2 shown]
	v_mov_b32_e32 v12, v140
	v_mov_b32_e32 v13, v141
.LBB66_671:
	s_or_b32 exec_lo, exec_lo, s0
	v_lshl_add_u32 v138, v152, 4, v1
	s_barrier
	buffer_gl0_inv
	v_mov_b32_e32 v146, 32
	ds_write2_b64 v138, v[6:7], v[8:9] offset1:1
	s_waitcnt lgkmcnt(0)
	s_barrier
	buffer_gl0_inv
	ds_read2_b64 v[138:141], v1 offset0:64 offset1:65
	s_cmp_lt_i32 s18, 34
	s_cbranch_scc1 .LBB66_674
; %bb.672:
	v_add3_u32 v147, v148, 0, 0x210
	v_mov_b32_e32 v146, 32
	s_mov_b32 s1, 33
	s_inst_prefetch 0x1
	.p2align	6
.LBB66_673:                             ; =>This Inner Loop Header: Depth=1
	s_waitcnt lgkmcnt(0)
	v_cmp_gt_f64_e32 vcc_lo, 0, v[140:141]
	v_cmp_gt_f64_e64 s0, 0, v[138:139]
	ds_read2_b64 v[153:156], v147 offset1:1
	v_xor_b32_e32 v158, 0x80000000, v139
	v_xor_b32_e32 v160, 0x80000000, v141
	v_mov_b32_e32 v157, v138
	v_mov_b32_e32 v159, v140
	v_add_nc_u32_e32 v147, 16, v147
	s_waitcnt lgkmcnt(0)
	v_xor_b32_e32 v162, 0x80000000, v156
	v_cndmask_b32_e64 v158, v139, v158, s0
	v_cndmask_b32_e32 v160, v141, v160, vcc_lo
	v_cmp_gt_f64_e32 vcc_lo, 0, v[155:156]
	v_cmp_gt_f64_e64 s0, 0, v[153:154]
	v_mov_b32_e32 v161, v155
	v_add_f64 v[157:158], v[157:158], v[159:160]
	v_xor_b32_e32 v160, 0x80000000, v154
	v_mov_b32_e32 v159, v153
	v_cndmask_b32_e32 v162, v156, v162, vcc_lo
	v_cndmask_b32_e64 v160, v154, v160, s0
	v_add_f64 v[159:160], v[159:160], v[161:162]
	v_cmp_lt_f64_e32 vcc_lo, v[157:158], v[159:160]
	v_cndmask_b32_e32 v139, v139, v154, vcc_lo
	v_cndmask_b32_e32 v138, v138, v153, vcc_lo
	;; [unrolled: 1-line block ×4, first 2 shown]
	v_cndmask_b32_e64 v146, v146, s1, vcc_lo
	s_add_i32 s1, s1, 1
	s_cmp_lg_u32 s18, s1
	s_cbranch_scc1 .LBB66_673
.LBB66_674:
	s_inst_prefetch 0x2
	s_waitcnt lgkmcnt(0)
	v_cmp_eq_f64_e32 vcc_lo, 0, v[138:139]
	v_cmp_eq_f64_e64 s0, 0, v[140:141]
	s_and_b32 s0, vcc_lo, s0
	s_and_saveexec_b32 s1, s0
	s_xor_b32 s0, exec_lo, s1
; %bb.675:
	v_cmp_ne_u32_e32 vcc_lo, 0, v151
	v_cndmask_b32_e32 v151, 33, v151, vcc_lo
; %bb.676:
	s_andn2_saveexec_b32 s0, s0
	s_cbranch_execz .LBB66_682
; %bb.677:
	v_cmp_ngt_f64_e64 s1, |v[138:139]|, |v[140:141]|
	s_and_saveexec_b32 s2, s1
	s_xor_b32 s1, exec_lo, s2
	s_cbranch_execz .LBB66_679
; %bb.678:
	v_div_scale_f64 v[153:154], null, v[140:141], v[140:141], v[138:139]
	v_div_scale_f64 v[159:160], vcc_lo, v[138:139], v[140:141], v[138:139]
	v_rcp_f64_e32 v[155:156], v[153:154]
	v_fma_f64 v[157:158], -v[153:154], v[155:156], 1.0
	v_fma_f64 v[155:156], v[155:156], v[157:158], v[155:156]
	v_fma_f64 v[157:158], -v[153:154], v[155:156], 1.0
	v_fma_f64 v[155:156], v[155:156], v[157:158], v[155:156]
	v_mul_f64 v[157:158], v[159:160], v[155:156]
	v_fma_f64 v[153:154], -v[153:154], v[157:158], v[159:160]
	v_div_fmas_f64 v[153:154], v[153:154], v[155:156], v[157:158]
	v_div_fixup_f64 v[153:154], v[153:154], v[140:141], v[138:139]
	v_fma_f64 v[138:139], v[138:139], v[153:154], v[140:141]
	v_div_scale_f64 v[140:141], null, v[138:139], v[138:139], 1.0
	v_rcp_f64_e32 v[155:156], v[140:141]
	v_fma_f64 v[157:158], -v[140:141], v[155:156], 1.0
	v_fma_f64 v[155:156], v[155:156], v[157:158], v[155:156]
	v_fma_f64 v[157:158], -v[140:141], v[155:156], 1.0
	v_fma_f64 v[155:156], v[155:156], v[157:158], v[155:156]
	v_div_scale_f64 v[157:158], vcc_lo, 1.0, v[138:139], 1.0
	v_mul_f64 v[159:160], v[157:158], v[155:156]
	v_fma_f64 v[140:141], -v[140:141], v[159:160], v[157:158]
	v_div_fmas_f64 v[140:141], v[140:141], v[155:156], v[159:160]
	v_div_fixup_f64 v[140:141], v[140:141], v[138:139], 1.0
	v_mul_f64 v[138:139], v[153:154], v[140:141]
	v_xor_b32_e32 v141, 0x80000000, v141
.LBB66_679:
	s_andn2_saveexec_b32 s1, s1
	s_cbranch_execz .LBB66_681
; %bb.680:
	v_div_scale_f64 v[153:154], null, v[138:139], v[138:139], v[140:141]
	v_div_scale_f64 v[159:160], vcc_lo, v[140:141], v[138:139], v[140:141]
	v_rcp_f64_e32 v[155:156], v[153:154]
	v_fma_f64 v[157:158], -v[153:154], v[155:156], 1.0
	v_fma_f64 v[155:156], v[155:156], v[157:158], v[155:156]
	v_fma_f64 v[157:158], -v[153:154], v[155:156], 1.0
	v_fma_f64 v[155:156], v[155:156], v[157:158], v[155:156]
	v_mul_f64 v[157:158], v[159:160], v[155:156]
	v_fma_f64 v[153:154], -v[153:154], v[157:158], v[159:160]
	v_div_fmas_f64 v[153:154], v[153:154], v[155:156], v[157:158]
	v_div_fixup_f64 v[153:154], v[153:154], v[138:139], v[140:141]
	v_fma_f64 v[138:139], v[140:141], v[153:154], v[138:139]
	v_div_scale_f64 v[140:141], null, v[138:139], v[138:139], 1.0
	v_rcp_f64_e32 v[155:156], v[140:141]
	v_fma_f64 v[157:158], -v[140:141], v[155:156], 1.0
	v_fma_f64 v[155:156], v[155:156], v[157:158], v[155:156]
	v_fma_f64 v[157:158], -v[140:141], v[155:156], 1.0
	v_fma_f64 v[155:156], v[155:156], v[157:158], v[155:156]
	v_div_scale_f64 v[157:158], vcc_lo, 1.0, v[138:139], 1.0
	v_mul_f64 v[159:160], v[157:158], v[155:156]
	v_fma_f64 v[140:141], -v[140:141], v[159:160], v[157:158]
	v_div_fmas_f64 v[140:141], v[140:141], v[155:156], v[159:160]
	v_div_fixup_f64 v[138:139], v[140:141], v[138:139], 1.0
	v_mul_f64 v[140:141], v[153:154], -v[138:139]
.LBB66_681:
	s_or_b32 exec_lo, exec_lo, s1
.LBB66_682:
	s_or_b32 exec_lo, exec_lo, s0
	s_mov_b32 s0, exec_lo
	v_cmpx_ne_u32_e64 v152, v146
	s_xor_b32 s0, exec_lo, s0
	s_cbranch_execz .LBB66_688
; %bb.683:
	s_mov_b32 s1, exec_lo
	v_cmpx_eq_u32_e32 32, v152
	s_cbranch_execz .LBB66_687
; %bb.684:
	v_cmp_ne_u32_e32 vcc_lo, 32, v146
	s_xor_b32 s2, s16, -1
	s_and_b32 s3, s2, vcc_lo
	s_and_saveexec_b32 s2, s3
	s_cbranch_execz .LBB66_686
; %bb.685:
	v_ashrrev_i32_e32 v147, 31, v146
	v_lshlrev_b64 v[152:153], 2, v[146:147]
	v_add_co_u32 v152, vcc_lo, v144, v152
	v_add_co_ci_u32_e64 v153, null, v145, v153, vcc_lo
	s_clause 0x1
	global_load_dword v0, v[152:153], off
	global_load_dword v147, v[144:145], off offset:128
	s_waitcnt vmcnt(1)
	global_store_dword v[144:145], v0, off offset:128
	s_waitcnt vmcnt(0)
	global_store_dword v[152:153], v147, off
.LBB66_686:
	s_or_b32 exec_lo, exec_lo, s2
	v_mov_b32_e32 v152, v146
	v_mov_b32_e32 v0, v146
.LBB66_687:
	s_or_b32 exec_lo, exec_lo, s1
.LBB66_688:
	s_andn2_saveexec_b32 s0, s0
; %bb.689:
	v_mov_b32_e32 v152, 32
	ds_write2_b64 v1, v[2:3], v[4:5] offset0:66 offset1:67
; %bb.690:
	s_or_b32 exec_lo, exec_lo, s0
	s_mov_b32 s0, exec_lo
	s_waitcnt lgkmcnt(0)
	s_waitcnt_vscnt null, 0x0
	s_barrier
	buffer_gl0_inv
	v_cmpx_lt_i32_e32 32, v152
	s_cbranch_execz .LBB66_692
; %bb.691:
	v_mul_f64 v[146:147], v[138:139], v[8:9]
	v_mul_f64 v[8:9], v[140:141], v[8:9]
	ds_read2_b64 v[153:156], v1 offset0:66 offset1:67
	v_fma_f64 v[140:141], v[140:141], v[6:7], v[146:147]
	v_fma_f64 v[6:7], v[138:139], v[6:7], -v[8:9]
	s_waitcnt lgkmcnt(0)
	v_mul_f64 v[8:9], v[155:156], v[140:141]
	v_mul_f64 v[138:139], v[153:154], v[140:141]
	v_fma_f64 v[8:9], v[153:154], v[6:7], -v[8:9]
	v_fma_f64 v[138:139], v[155:156], v[6:7], v[138:139]
	v_add_f64 v[2:3], v[2:3], -v[8:9]
	v_add_f64 v[4:5], v[4:5], -v[138:139]
	v_mov_b32_e32 v8, v140
	v_mov_b32_e32 v9, v141
.LBB66_692:
	s_or_b32 exec_lo, exec_lo, s0
	v_lshl_add_u32 v138, v152, 4, v1
	s_barrier
	buffer_gl0_inv
	v_mov_b32_e32 v146, 33
	ds_write2_b64 v138, v[2:3], v[4:5] offset1:1
	s_waitcnt lgkmcnt(0)
	s_barrier
	buffer_gl0_inv
	ds_read2_b64 v[138:141], v1 offset0:66 offset1:67
	s_cmp_lt_i32 s18, 35
	s_cbranch_scc1 .LBB66_695
; %bb.693:
	v_add3_u32 v1, v148, 0, 0x220
	v_mov_b32_e32 v146, 33
	s_mov_b32 s1, 34
	s_inst_prefetch 0x1
	.p2align	6
.LBB66_694:                             ; =>This Inner Loop Header: Depth=1
	s_waitcnt lgkmcnt(0)
	v_cmp_gt_f64_e32 vcc_lo, 0, v[140:141]
	v_cmp_gt_f64_e64 s0, 0, v[138:139]
	ds_read2_b64 v[153:156], v1 offset1:1
	v_xor_b32_e32 v148, 0x80000000, v139
	v_xor_b32_e32 v158, 0x80000000, v141
	v_mov_b32_e32 v147, v138
	v_mov_b32_e32 v157, v140
	v_add_nc_u32_e32 v1, 16, v1
	s_waitcnt lgkmcnt(0)
	v_xor_b32_e32 v160, 0x80000000, v156
	v_cndmask_b32_e64 v148, v139, v148, s0
	v_cndmask_b32_e32 v158, v141, v158, vcc_lo
	v_cmp_gt_f64_e32 vcc_lo, 0, v[155:156]
	v_cmp_gt_f64_e64 s0, 0, v[153:154]
	v_mov_b32_e32 v159, v155
	v_add_f64 v[147:148], v[147:148], v[157:158]
	v_xor_b32_e32 v158, 0x80000000, v154
	v_mov_b32_e32 v157, v153
	v_cndmask_b32_e32 v160, v156, v160, vcc_lo
	v_cndmask_b32_e64 v158, v154, v158, s0
	v_add_f64 v[157:158], v[157:158], v[159:160]
	v_cmp_lt_f64_e32 vcc_lo, v[147:148], v[157:158]
	v_cndmask_b32_e32 v139, v139, v154, vcc_lo
	v_cndmask_b32_e32 v138, v138, v153, vcc_lo
	;; [unrolled: 1-line block ×4, first 2 shown]
	v_cndmask_b32_e64 v146, v146, s1, vcc_lo
	s_add_i32 s1, s1, 1
	s_cmp_lg_u32 s18, s1
	s_cbranch_scc1 .LBB66_694
.LBB66_695:
	s_inst_prefetch 0x2
	s_waitcnt lgkmcnt(0)
	v_cmp_eq_f64_e32 vcc_lo, 0, v[138:139]
	v_cmp_eq_f64_e64 s0, 0, v[140:141]
	s_and_b32 s0, vcc_lo, s0
	s_and_saveexec_b32 s1, s0
	s_xor_b32 s0, exec_lo, s1
; %bb.696:
	v_cmp_ne_u32_e32 vcc_lo, 0, v151
	v_cndmask_b32_e32 v151, 34, v151, vcc_lo
; %bb.697:
	s_andn2_saveexec_b32 s0, s0
	s_cbranch_execz .LBB66_703
; %bb.698:
	v_cmp_ngt_f64_e64 s1, |v[138:139]|, |v[140:141]|
	s_and_saveexec_b32 s2, s1
	s_xor_b32 s1, exec_lo, s2
	s_cbranch_execz .LBB66_700
; %bb.699:
	v_div_scale_f64 v[147:148], null, v[140:141], v[140:141], v[138:139]
	v_div_scale_f64 v[157:158], vcc_lo, v[138:139], v[140:141], v[138:139]
	v_rcp_f64_e32 v[153:154], v[147:148]
	v_fma_f64 v[155:156], -v[147:148], v[153:154], 1.0
	v_fma_f64 v[153:154], v[153:154], v[155:156], v[153:154]
	v_fma_f64 v[155:156], -v[147:148], v[153:154], 1.0
	v_fma_f64 v[153:154], v[153:154], v[155:156], v[153:154]
	v_mul_f64 v[155:156], v[157:158], v[153:154]
	v_fma_f64 v[147:148], -v[147:148], v[155:156], v[157:158]
	v_div_fmas_f64 v[147:148], v[147:148], v[153:154], v[155:156]
	v_div_fixup_f64 v[147:148], v[147:148], v[140:141], v[138:139]
	v_fma_f64 v[138:139], v[138:139], v[147:148], v[140:141]
	v_div_scale_f64 v[140:141], null, v[138:139], v[138:139], 1.0
	v_rcp_f64_e32 v[153:154], v[140:141]
	v_fma_f64 v[155:156], -v[140:141], v[153:154], 1.0
	v_fma_f64 v[153:154], v[153:154], v[155:156], v[153:154]
	v_fma_f64 v[155:156], -v[140:141], v[153:154], 1.0
	v_fma_f64 v[153:154], v[153:154], v[155:156], v[153:154]
	v_div_scale_f64 v[155:156], vcc_lo, 1.0, v[138:139], 1.0
	v_mul_f64 v[157:158], v[155:156], v[153:154]
	v_fma_f64 v[140:141], -v[140:141], v[157:158], v[155:156]
	v_div_fmas_f64 v[140:141], v[140:141], v[153:154], v[157:158]
	v_div_fixup_f64 v[140:141], v[140:141], v[138:139], 1.0
	v_mul_f64 v[138:139], v[147:148], v[140:141]
	v_xor_b32_e32 v141, 0x80000000, v141
.LBB66_700:
	s_andn2_saveexec_b32 s1, s1
	s_cbranch_execz .LBB66_702
; %bb.701:
	v_div_scale_f64 v[147:148], null, v[138:139], v[138:139], v[140:141]
	v_div_scale_f64 v[157:158], vcc_lo, v[140:141], v[138:139], v[140:141]
	v_rcp_f64_e32 v[153:154], v[147:148]
	v_fma_f64 v[155:156], -v[147:148], v[153:154], 1.0
	v_fma_f64 v[153:154], v[153:154], v[155:156], v[153:154]
	v_fma_f64 v[155:156], -v[147:148], v[153:154], 1.0
	v_fma_f64 v[153:154], v[153:154], v[155:156], v[153:154]
	v_mul_f64 v[155:156], v[157:158], v[153:154]
	v_fma_f64 v[147:148], -v[147:148], v[155:156], v[157:158]
	v_div_fmas_f64 v[147:148], v[147:148], v[153:154], v[155:156]
	v_div_fixup_f64 v[147:148], v[147:148], v[138:139], v[140:141]
	v_fma_f64 v[138:139], v[140:141], v[147:148], v[138:139]
	v_div_scale_f64 v[140:141], null, v[138:139], v[138:139], 1.0
	v_rcp_f64_e32 v[153:154], v[140:141]
	v_fma_f64 v[155:156], -v[140:141], v[153:154], 1.0
	v_fma_f64 v[153:154], v[153:154], v[155:156], v[153:154]
	v_fma_f64 v[155:156], -v[140:141], v[153:154], 1.0
	v_fma_f64 v[153:154], v[153:154], v[155:156], v[153:154]
	v_div_scale_f64 v[155:156], vcc_lo, 1.0, v[138:139], 1.0
	v_mul_f64 v[157:158], v[155:156], v[153:154]
	v_fma_f64 v[140:141], -v[140:141], v[157:158], v[155:156]
	v_div_fmas_f64 v[140:141], v[140:141], v[153:154], v[157:158]
	v_div_fixup_f64 v[138:139], v[140:141], v[138:139], 1.0
	v_mul_f64 v[140:141], v[147:148], -v[138:139]
.LBB66_702:
	s_or_b32 exec_lo, exec_lo, s1
.LBB66_703:
	s_or_b32 exec_lo, exec_lo, s0
	v_mov_b32_e32 v147, 33
	s_mov_b32 s0, exec_lo
	v_cmpx_ne_u32_e64 v152, v146
	s_cbranch_execz .LBB66_709
; %bb.704:
	s_mov_b32 s1, exec_lo
	v_cmpx_eq_u32_e32 33, v152
	s_cbranch_execz .LBB66_708
; %bb.705:
	v_cmp_ne_u32_e32 vcc_lo, 33, v146
	s_xor_b32 s2, s16, -1
	s_and_b32 s3, s2, vcc_lo
	s_and_saveexec_b32 s2, s3
	s_cbranch_execz .LBB66_707
; %bb.706:
	v_ashrrev_i32_e32 v147, 31, v146
	v_lshlrev_b64 v[0:1], 2, v[146:147]
	v_add_co_u32 v0, vcc_lo, v144, v0
	v_add_co_ci_u32_e64 v1, null, v145, v1, vcc_lo
	s_clause 0x1
	global_load_dword v147, v[0:1], off
	global_load_dword v148, v[144:145], off offset:132
	s_waitcnt vmcnt(1)
	global_store_dword v[144:145], v147, off offset:132
	s_waitcnt vmcnt(0)
	global_store_dword v[0:1], v148, off
.LBB66_707:
	s_or_b32 exec_lo, exec_lo, s2
	v_mov_b32_e32 v152, v146
	v_mov_b32_e32 v0, v146
.LBB66_708:
	s_or_b32 exec_lo, exec_lo, s1
	v_mov_b32_e32 v147, v152
.LBB66_709:
	s_or_b32 exec_lo, exec_lo, s0
	s_mov_b32 s0, exec_lo
	s_waitcnt_vscnt null, 0x0
	s_barrier
	buffer_gl0_inv
	v_cmpx_lt_i32_e32 33, v147
	s_cbranch_execz .LBB66_711
; %bb.710:
	v_mul_f64 v[144:145], v[140:141], v[4:5]
	v_mul_f64 v[4:5], v[138:139], v[4:5]
	v_fma_f64 v[138:139], v[138:139], v[2:3], -v[144:145]
	v_fma_f64 v[4:5], v[140:141], v[2:3], v[4:5]
	v_mov_b32_e32 v2, v138
	v_mov_b32_e32 v3, v139
.LBB66_711:
	s_or_b32 exec_lo, exec_lo, s0
	v_ashrrev_i32_e32 v148, 31, v147
	s_mov_b32 s0, exec_lo
	s_barrier
	buffer_gl0_inv
	v_cmpx_gt_i32_e32 34, v147
	s_cbranch_execz .LBB66_713
; %bb.712:
	v_mul_lo_u32 v1, s15, v142
	v_mul_lo_u32 v140, s14, v143
	v_mad_u64_u32 v[138:139], null, s14, v142, 0
	s_lshl_b64 s[2:3], s[12:13], 2
	v_add3_u32 v0, v0, s17, 1
	v_add3_u32 v139, v139, v140, v1
	v_lshlrev_b64 v[138:139], 2, v[138:139]
	v_add_co_u32 v1, vcc_lo, s10, v138
	v_add_co_ci_u32_e64 v140, null, s11, v139, vcc_lo
	v_lshlrev_b64 v[138:139], 2, v[147:148]
	v_add_co_u32 v1, vcc_lo, v1, s2
	v_add_co_ci_u32_e64 v140, null, s3, v140, vcc_lo
	v_add_co_u32 v138, vcc_lo, v1, v138
	v_add_co_ci_u32_e64 v139, null, v140, v139, vcc_lo
	global_store_dword v[138:139], v0, off
.LBB66_713:
	s_or_b32 exec_lo, exec_lo, s0
	s_mov_b32 s1, exec_lo
	v_cmpx_eq_u32_e32 0, v147
	s_cbranch_execz .LBB66_716
; %bb.714:
	v_lshlrev_b64 v[0:1], 2, v[142:143]
	v_cmp_ne_u32_e64 s0, 0, v151
	v_add_co_u32 v0, vcc_lo, s4, v0
	v_add_co_ci_u32_e64 v1, null, s5, v1, vcc_lo
	global_load_dword v138, v[0:1], off
	s_waitcnt vmcnt(0)
	v_cmp_eq_u32_e32 vcc_lo, 0, v138
	s_and_b32 s0, vcc_lo, s0
	s_and_b32 exec_lo, exec_lo, s0
	s_cbranch_execz .LBB66_716
; %bb.715:
	v_add_nc_u32_e32 v138, s17, v151
	global_store_dword v[0:1], v138, off
.LBB66_716:
	s_or_b32 exec_lo, exec_lo, s1
	v_lshlrev_b64 v[138:139], 4, v[147:148]
	v_add3_u32 v0, s6, s6, v147
	v_add_nc_u32_e32 v140, s6, v0
	v_add_co_u32 v138, vcc_lo, v149, v138
	v_add_co_ci_u32_e64 v139, null, v150, v139, vcc_lo
	v_ashrrev_i32_e32 v1, 31, v0
	v_add_co_u32 v142, vcc_lo, v138, s8
	v_add_co_ci_u32_e64 v143, null, s9, v139, vcc_lo
	global_store_dwordx4 v[138:139], v[134:137], off
	v_ashrrev_i32_e32 v141, 31, v140
	v_lshlrev_b64 v[0:1], 4, v[0:1]
	global_store_dwordx4 v[142:143], v[130:133], off
	v_add_nc_u32_e32 v130, s6, v140
	v_lshlrev_b64 v[134:135], 4, v[140:141]
	v_add_co_u32 v0, vcc_lo, v149, v0
	v_add_nc_u32_e32 v132, s6, v130
	v_ashrrev_i32_e32 v131, 31, v130
	v_add_co_ci_u32_e64 v1, null, v150, v1, vcc_lo
	v_add_co_u32 v134, vcc_lo, v149, v134
	v_add_nc_u32_e32 v136, s6, v132
	v_ashrrev_i32_e32 v133, 31, v132
	v_add_co_ci_u32_e64 v135, null, v150, v135, vcc_lo
	v_lshlrev_b64 v[130:131], 4, v[130:131]
	v_ashrrev_i32_e32 v137, 31, v136
	global_store_dwordx4 v[0:1], v[126:129], off
	global_store_dwordx4 v[134:135], v[122:125], off
	v_lshlrev_b64 v[0:1], 4, v[132:133]
	v_add_nc_u32_e32 v126, s6, v136
	v_lshlrev_b64 v[124:125], 4, v[136:137]
	v_add_co_u32 v122, vcc_lo, v149, v130
	v_add_co_ci_u32_e64 v123, null, v150, v131, vcc_lo
	v_add_co_u32 v0, vcc_lo, v149, v0
	v_add_co_ci_u32_e64 v1, null, v150, v1, vcc_lo
	v_add_co_u32 v124, vcc_lo, v149, v124
	v_add_nc_u32_e32 v128, s6, v126
	v_add_co_ci_u32_e64 v125, null, v150, v125, vcc_lo
	v_ashrrev_i32_e32 v127, 31, v126
	global_store_dwordx4 v[122:123], v[118:121], off
	global_store_dwordx4 v[0:1], v[114:117], off
	global_store_dwordx4 v[124:125], v[110:113], off
	v_add_nc_u32_e32 v110, s6, v128
	v_ashrrev_i32_e32 v129, 31, v128
	v_lshlrev_b64 v[118:119], 4, v[126:127]
	v_add_nc_u32_e32 v114, s6, v110
	v_lshlrev_b64 v[0:1], 4, v[128:129]
	v_ashrrev_i32_e32 v111, 31, v110
	v_add_co_u32 v112, vcc_lo, v149, v118
	v_add_nc_u32_e32 v116, s6, v114
	v_add_co_ci_u32_e64 v113, null, v150, v119, vcc_lo
	v_add_co_u32 v0, vcc_lo, v149, v0
	v_ashrrev_i32_e32 v115, 31, v114
	v_add_co_ci_u32_e64 v1, null, v150, v1, vcc_lo
	v_ashrrev_i32_e32 v117, 31, v116
	v_lshlrev_b64 v[110:111], 4, v[110:111]
	global_store_dwordx4 v[112:113], v[106:109], off
	global_store_dwordx4 v[0:1], v[102:105], off
	v_lshlrev_b64 v[0:1], 4, v[114:115]
	v_add_nc_u32_e32 v106, s6, v116
	v_lshlrev_b64 v[104:105], 4, v[116:117]
	v_add_co_u32 v102, vcc_lo, v149, v110
	v_add_co_ci_u32_e64 v103, null, v150, v111, vcc_lo
	v_add_co_u32 v0, vcc_lo, v149, v0
	v_add_co_ci_u32_e64 v1, null, v150, v1, vcc_lo
	v_add_co_u32 v104, vcc_lo, v149, v104
	v_add_nc_u32_e32 v108, s6, v106
	v_add_co_ci_u32_e64 v105, null, v150, v105, vcc_lo
	v_ashrrev_i32_e32 v107, 31, v106
	global_store_dwordx4 v[102:103], v[98:101], off
	global_store_dwordx4 v[0:1], v[94:97], off
	global_store_dwordx4 v[104:105], v[90:93], off
	v_add_nc_u32_e32 v90, s6, v108
	v_ashrrev_i32_e32 v109, 31, v108
	v_lshlrev_b64 v[98:99], 4, v[106:107]
	v_add_nc_u32_e32 v94, s6, v90
	v_lshlrev_b64 v[0:1], 4, v[108:109]
	v_ashrrev_i32_e32 v91, 31, v90
	v_add_co_u32 v92, vcc_lo, v149, v98
	v_add_nc_u32_e32 v96, s6, v94
	v_add_co_ci_u32_e64 v93, null, v150, v99, vcc_lo
	v_add_co_u32 v0, vcc_lo, v149, v0
	v_ashrrev_i32_e32 v95, 31, v94
	v_add_co_ci_u32_e64 v1, null, v150, v1, vcc_lo
	v_ashrrev_i32_e32 v97, 31, v96
	v_lshlrev_b64 v[90:91], 4, v[90:91]
	;; [unrolled: 30-line block ×4, first 2 shown]
	global_store_dwordx4 v[52:53], v[46:49], off
	global_store_dwordx4 v[0:1], v[42:45], off
	v_lshlrev_b64 v[0:1], 4, v[54:55]
	v_add_nc_u32_e32 v46, s6, v56
	v_lshlrev_b64 v[44:45], 4, v[56:57]
	v_add_co_u32 v42, vcc_lo, v149, v50
	v_add_co_ci_u32_e64 v43, null, v150, v51, vcc_lo
	v_add_co_u32 v0, vcc_lo, v149, v0
	v_add_nc_u32_e32 v48, s6, v46
	v_add_co_ci_u32_e64 v1, null, v150, v1, vcc_lo
	v_add_co_u32 v44, vcc_lo, v149, v44
	v_ashrrev_i32_e32 v47, 31, v46
	v_add_co_ci_u32_e64 v45, null, v150, v45, vcc_lo
	v_ashrrev_i32_e32 v49, 31, v48
	global_store_dwordx4 v[42:43], v[38:41], off
	v_lshlrev_b64 v[38:39], 4, v[46:47]
	global_store_dwordx4 v[0:1], v[34:37], off
	global_store_dwordx4 v[44:45], v[30:33], off
	v_add_nc_u32_e32 v30, s6, v48
	v_lshlrev_b64 v[0:1], 4, v[48:49]
	v_add_co_u32 v32, vcc_lo, v149, v38
	v_add_nc_u32_e32 v34, s6, v30
	v_add_co_ci_u32_e64 v33, null, v150, v39, vcc_lo
	v_add_co_u32 v0, vcc_lo, v149, v0
	v_add_co_ci_u32_e64 v1, null, v150, v1, vcc_lo
	v_add_nc_u32_e32 v36, s6, v34
	v_ashrrev_i32_e32 v31, 31, v30
	global_store_dwordx4 v[32:33], v[26:29], off
	global_store_dwordx4 v[0:1], v[22:25], off
	v_ashrrev_i32_e32 v35, 31, v34
	v_add_nc_u32_e32 v22, s6, v36
	v_lshlrev_b64 v[26:27], 4, v[30:31]
	v_ashrrev_i32_e32 v37, 31, v36
	v_lshlrev_b64 v[0:1], 4, v[34:35]
	v_add_nc_u32_e32 v28, s6, v22
	v_ashrrev_i32_e32 v23, 31, v22
	v_add_co_u32 v24, vcc_lo, v149, v26
	v_add_co_ci_u32_e64 v25, null, v150, v27, vcc_lo
	v_ashrrev_i32_e32 v29, 31, v28
	v_lshlrev_b64 v[26:27], 4, v[36:37]
	v_lshlrev_b64 v[22:23], 4, v[22:23]
	v_add_co_u32 v0, vcc_lo, v149, v0
	v_lshlrev_b64 v[28:29], 4, v[28:29]
	v_add_co_ci_u32_e64 v1, null, v150, v1, vcc_lo
	v_add_co_u32 v26, vcc_lo, v149, v26
	v_add_co_ci_u32_e64 v27, null, v150, v27, vcc_lo
	v_add_co_u32 v22, vcc_lo, v149, v22
	;; [unrolled: 2-line block ×3, first 2 shown]
	v_add_co_ci_u32_e64 v29, null, v150, v29, vcc_lo
	global_store_dwordx4 v[24:25], v[18:21], off
	global_store_dwordx4 v[0:1], v[14:17], off
	;; [unrolled: 1-line block ×5, first 2 shown]
.LBB66_717:
	s_endpgm
	.section	.rodata,"a",@progbits
	.p2align	6, 0x0
	.amdhsa_kernel _ZN9rocsolver6v33100L18getf2_small_kernelILi34E19rocblas_complex_numIdEiiPS3_EEvT1_T3_lS5_lPS5_llPT2_S5_S5_S7_l
		.amdhsa_group_segment_fixed_size 0
		.amdhsa_private_segment_fixed_size 0
		.amdhsa_kernarg_size 352
		.amdhsa_user_sgpr_count 6
		.amdhsa_user_sgpr_private_segment_buffer 1
		.amdhsa_user_sgpr_dispatch_ptr 0
		.amdhsa_user_sgpr_queue_ptr 0
		.amdhsa_user_sgpr_kernarg_segment_ptr 1
		.amdhsa_user_sgpr_dispatch_id 0
		.amdhsa_user_sgpr_flat_scratch_init 0
		.amdhsa_user_sgpr_private_segment_size 0
		.amdhsa_wavefront_size32 1
		.amdhsa_uses_dynamic_stack 0
		.amdhsa_system_sgpr_private_segment_wavefront_offset 0
		.amdhsa_system_sgpr_workgroup_id_x 1
		.amdhsa_system_sgpr_workgroup_id_y 1
		.amdhsa_system_sgpr_workgroup_id_z 0
		.amdhsa_system_sgpr_workgroup_info 0
		.amdhsa_system_vgpr_workitem_id 1
		.amdhsa_next_free_vgpr 187
		.amdhsa_next_free_sgpr 19
		.amdhsa_reserve_vcc 1
		.amdhsa_reserve_flat_scratch 0
		.amdhsa_float_round_mode_32 0
		.amdhsa_float_round_mode_16_64 0
		.amdhsa_float_denorm_mode_32 3
		.amdhsa_float_denorm_mode_16_64 3
		.amdhsa_dx10_clamp 1
		.amdhsa_ieee_mode 1
		.amdhsa_fp16_overflow 0
		.amdhsa_workgroup_processor_mode 1
		.amdhsa_memory_ordered 1
		.amdhsa_forward_progress 1
		.amdhsa_shared_vgpr_count 0
		.amdhsa_exception_fp_ieee_invalid_op 0
		.amdhsa_exception_fp_denorm_src 0
		.amdhsa_exception_fp_ieee_div_zero 0
		.amdhsa_exception_fp_ieee_overflow 0
		.amdhsa_exception_fp_ieee_underflow 0
		.amdhsa_exception_fp_ieee_inexact 0
		.amdhsa_exception_int_div_zero 0
	.end_amdhsa_kernel
	.section	.text._ZN9rocsolver6v33100L18getf2_small_kernelILi34E19rocblas_complex_numIdEiiPS3_EEvT1_T3_lS5_lPS5_llPT2_S5_S5_S7_l,"axG",@progbits,_ZN9rocsolver6v33100L18getf2_small_kernelILi34E19rocblas_complex_numIdEiiPS3_EEvT1_T3_lS5_lPS5_llPT2_S5_S5_S7_l,comdat
.Lfunc_end66:
	.size	_ZN9rocsolver6v33100L18getf2_small_kernelILi34E19rocblas_complex_numIdEiiPS3_EEvT1_T3_lS5_lPS5_llPT2_S5_S5_S7_l, .Lfunc_end66-_ZN9rocsolver6v33100L18getf2_small_kernelILi34E19rocblas_complex_numIdEiiPS3_EEvT1_T3_lS5_lPS5_llPT2_S5_S5_S7_l
                                        ; -- End function
	.set _ZN9rocsolver6v33100L18getf2_small_kernelILi34E19rocblas_complex_numIdEiiPS3_EEvT1_T3_lS5_lPS5_llPT2_S5_S5_S7_l.num_vgpr, 187
	.set _ZN9rocsolver6v33100L18getf2_small_kernelILi34E19rocblas_complex_numIdEiiPS3_EEvT1_T3_lS5_lPS5_llPT2_S5_S5_S7_l.num_agpr, 0
	.set _ZN9rocsolver6v33100L18getf2_small_kernelILi34E19rocblas_complex_numIdEiiPS3_EEvT1_T3_lS5_lPS5_llPT2_S5_S5_S7_l.numbered_sgpr, 19
	.set _ZN9rocsolver6v33100L18getf2_small_kernelILi34E19rocblas_complex_numIdEiiPS3_EEvT1_T3_lS5_lPS5_llPT2_S5_S5_S7_l.num_named_barrier, 0
	.set _ZN9rocsolver6v33100L18getf2_small_kernelILi34E19rocblas_complex_numIdEiiPS3_EEvT1_T3_lS5_lPS5_llPT2_S5_S5_S7_l.private_seg_size, 0
	.set _ZN9rocsolver6v33100L18getf2_small_kernelILi34E19rocblas_complex_numIdEiiPS3_EEvT1_T3_lS5_lPS5_llPT2_S5_S5_S7_l.uses_vcc, 1
	.set _ZN9rocsolver6v33100L18getf2_small_kernelILi34E19rocblas_complex_numIdEiiPS3_EEvT1_T3_lS5_lPS5_llPT2_S5_S5_S7_l.uses_flat_scratch, 0
	.set _ZN9rocsolver6v33100L18getf2_small_kernelILi34E19rocblas_complex_numIdEiiPS3_EEvT1_T3_lS5_lPS5_llPT2_S5_S5_S7_l.has_dyn_sized_stack, 0
	.set _ZN9rocsolver6v33100L18getf2_small_kernelILi34E19rocblas_complex_numIdEiiPS3_EEvT1_T3_lS5_lPS5_llPT2_S5_S5_S7_l.has_recursion, 0
	.set _ZN9rocsolver6v33100L18getf2_small_kernelILi34E19rocblas_complex_numIdEiiPS3_EEvT1_T3_lS5_lPS5_llPT2_S5_S5_S7_l.has_indirect_call, 0
	.section	.AMDGPU.csdata,"",@progbits
; Kernel info:
; codeLenInByte = 74752
; TotalNumSgprs: 21
; NumVgprs: 187
; ScratchSize: 0
; MemoryBound: 0
; FloatMode: 240
; IeeeMode: 1
; LDSByteSize: 0 bytes/workgroup (compile time only)
; SGPRBlocks: 0
; VGPRBlocks: 23
; NumSGPRsForWavesPerEU: 21
; NumVGPRsForWavesPerEU: 187
; Occupancy: 5
; WaveLimiterHint : 0
; COMPUTE_PGM_RSRC2:SCRATCH_EN: 0
; COMPUTE_PGM_RSRC2:USER_SGPR: 6
; COMPUTE_PGM_RSRC2:TRAP_HANDLER: 0
; COMPUTE_PGM_RSRC2:TGID_X_EN: 1
; COMPUTE_PGM_RSRC2:TGID_Y_EN: 1
; COMPUTE_PGM_RSRC2:TGID_Z_EN: 0
; COMPUTE_PGM_RSRC2:TIDIG_COMP_CNT: 1
	.section	.text._ZN9rocsolver6v33100L23getf2_npvt_small_kernelILi34E19rocblas_complex_numIdEiiPS3_EEvT1_T3_lS5_lPT2_S5_S5_,"axG",@progbits,_ZN9rocsolver6v33100L23getf2_npvt_small_kernelILi34E19rocblas_complex_numIdEiiPS3_EEvT1_T3_lS5_lPT2_S5_S5_,comdat
	.globl	_ZN9rocsolver6v33100L23getf2_npvt_small_kernelILi34E19rocblas_complex_numIdEiiPS3_EEvT1_T3_lS5_lPT2_S5_S5_ ; -- Begin function _ZN9rocsolver6v33100L23getf2_npvt_small_kernelILi34E19rocblas_complex_numIdEiiPS3_EEvT1_T3_lS5_lPT2_S5_S5_
	.p2align	8
	.type	_ZN9rocsolver6v33100L23getf2_npvt_small_kernelILi34E19rocblas_complex_numIdEiiPS3_EEvT1_T3_lS5_lPT2_S5_S5_,@function
_ZN9rocsolver6v33100L23getf2_npvt_small_kernelILi34E19rocblas_complex_numIdEiiPS3_EEvT1_T3_lS5_lPT2_S5_S5_: ; @_ZN9rocsolver6v33100L23getf2_npvt_small_kernelILi34E19rocblas_complex_numIdEiiPS3_EEvT1_T3_lS5_lPT2_S5_S5_
; %bb.0:
	s_mov_b64 s[18:19], s[2:3]
	s_mov_b64 s[16:17], s[0:1]
	s_clause 0x1
	s_load_dword s0, s[4:5], 0x44
	s_load_dwordx2 s[12:13], s[4:5], 0x30
	s_add_u32 s16, s16, s8
	s_addc_u32 s17, s17, 0
	s_waitcnt lgkmcnt(0)
	s_lshr_b32 s14, s0, 16
	s_mov_b32 s0, exec_lo
	v_mad_u64_u32 v[211:212], null, s7, s14, v[1:2]
	v_cmpx_gt_i32_e64 s12, v211
	s_cbranch_execz .LBB67_311
; %bb.1:
	s_clause 0x2
	s_load_dwordx4 s[8:11], s[4:5], 0x20
	s_load_dword s6, s[4:5], 0x18
	s_load_dwordx4 s[0:3], s[4:5], 0x8
	v_ashrrev_i32_e32 v212, 31, v211
	v_lshlrev_b32_e32 v138, 4, v1
	s_mulk_i32 s14, 0x220
	v_mad_u32_u24 v160, 0x220, v1, 0
	v_add3_u32 v1, 0, s14, v138
	s_waitcnt lgkmcnt(0)
	v_mul_lo_u32 v5, s9, v211
	v_mul_lo_u32 v7, s8, v212
	v_mad_u64_u32 v[2:3], null, s8, v211, 0
	v_add3_u32 v4, s6, s6, v0
	s_lshl_b64 s[2:3], s[2:3], 4
	s_ashr_i32 s7, s6, 31
	v_add_nc_u32_e32 v6, s6, v4
	v_add3_u32 v3, v3, v7, v5
	v_ashrrev_i32_e32 v5, 31, v4
	v_add_nc_u32_e32 v8, s6, v6
	v_lshlrev_b64 v[2:3], 4, v[2:3]
	v_ashrrev_i32_e32 v7, 31, v6
	v_lshlrev_b64 v[4:5], 4, v[4:5]
	v_add_nc_u32_e32 v10, s6, v8
	v_ashrrev_i32_e32 v9, 31, v8
	v_add_co_u32 v2, vcc_lo, s0, v2
	v_add_co_ci_u32_e64 v3, null, s1, v3, vcc_lo
	v_add_nc_u32_e32 v12, s6, v10
	v_add_co_u32 v2, vcc_lo, v2, s2
	v_lshlrev_b64 v[6:7], 4, v[6:7]
	v_ashrrev_i32_e32 v11, 31, v10
	v_add_co_ci_u32_e64 v3, null, s3, v3, vcc_lo
	v_add_nc_u32_e32 v14, s6, v12
	v_lshlrev_b64 v[8:9], 4, v[8:9]
	v_ashrrev_i32_e32 v13, 31, v12
	v_add_co_u32 v171, vcc_lo, v2, v4
	v_lshlrev_b64 v[10:11], 4, v[10:11]
	v_add_co_ci_u32_e64 v172, null, v3, v5, vcc_lo
	v_add_co_u32 v166, vcc_lo, v2, v6
	v_add_nc_u32_e32 v6, s6, v14
	v_lshlrev_b64 v[4:5], 4, v[12:13]
	v_ashrrev_i32_e32 v15, 31, v14
	v_add_co_ci_u32_e64 v167, null, v3, v7, vcc_lo
	v_add_co_u32 v16, vcc_lo, v2, v8
	v_add_co_ci_u32_e64 v17, null, v3, v9, vcc_lo
	v_add_co_u32 v169, vcc_lo, v2, v10
	v_ashrrev_i32_e32 v7, 31, v6
	v_add_nc_u32_e32 v10, s6, v6
	v_lshlrev_b64 v[8:9], 4, v[14:15]
	v_add_co_ci_u32_e64 v170, null, v3, v11, vcc_lo
	v_add_co_u32 v175, vcc_lo, v2, v4
	v_add_co_ci_u32_e64 v176, null, v3, v5, vcc_lo
	v_lshlrev_b64 v[4:5], 4, v[6:7]
	v_ashrrev_i32_e32 v11, 31, v10
	v_add_nc_u32_e32 v6, s6, v10
	v_add_co_u32 v173, vcc_lo, v2, v8
	v_add_co_ci_u32_e64 v174, null, v3, v9, vcc_lo
	v_lshlrev_b64 v[8:9], 4, v[10:11]
	v_ashrrev_i32_e32 v7, 31, v6
	v_add_nc_u32_e32 v10, s6, v6
	;; [unrolled: 5-line block ×22, first 2 shown]
	v_add_co_u32 v213, vcc_lo, v2, v4
	v_add_co_ci_u32_e64 v214, null, v3, v5, vcc_lo
	v_lshlrev_b64 v[4:5], 4, v[6:7]
	v_add_nc_u32_e32 v6, s6, v10
	v_ashrrev_i32_e32 v11, 31, v10
	v_add_co_u32 v217, vcc_lo, v2, v8
	v_add_co_ci_u32_e64 v218, null, v3, v9, vcc_lo
	v_ashrrev_i32_e32 v7, 31, v6
	v_lshlrev_b64 v[8:9], 4, v[10:11]
	v_add_co_u32 v219, vcc_lo, v2, v4
	v_add_co_ci_u32_e64 v220, null, v3, v5, vcc_lo
	v_lshlrev_b64 v[4:5], 4, v[6:7]
	v_add_co_u32 v223, vcc_lo, v2, v8
	v_lshlrev_b32_e32 v8, 4, v0
	v_add_co_ci_u32_e64 v224, null, v3, v9, vcc_lo
	v_add_co_u32 v221, vcc_lo, v2, v4
	v_add_co_ci_u32_e64 v222, null, v3, v5, vcc_lo
	v_add_co_u32 v232, vcc_lo, v2, v8
	v_add_co_ci_u32_e64 v233, null, 0, v3, vcc_lo
	s_lshl_b64 s[0:1], s[6:7], 4
	v_add_nc_u32_e32 v6, s6, v6
	v_add_co_u32 v225, vcc_lo, v232, s0
	v_add_co_ci_u32_e64 v226, null, s1, v233, vcc_lo
	s_clause 0x3
	global_load_dwordx4 v[134:137], v[232:233], off
	global_load_dwordx4 v[130:133], v[225:226], off
	global_load_dwordx4 v[126:129], v[171:172], off
	global_load_dwordx4 v[122:125], v[166:167], off
	buffer_store_dword v16, off, s[16:19], 0 offset:128 ; 4-byte Folded Spill
	buffer_store_dword v17, off, s[16:19], 0 offset:132 ; 4-byte Folded Spill
	v_ashrrev_i32_e32 v7, 31, v6
	v_cmp_ne_u32_e64 s1, 0, v0
	v_cmp_eq_u32_e64 s0, 0, v0
	v_lshlrev_b64 v[4:5], 4, v[6:7]
	v_add_co_u32 v230, vcc_lo, v2, v4
	v_add_co_ci_u32_e64 v231, null, v3, v5, vcc_lo
	s_clause 0x1d
	global_load_dwordx4 v[118:121], v[16:17], off
	global_load_dwordx4 v[114:117], v[169:170], off
	global_load_dwordx4 v[110:113], v[175:176], off
	global_load_dwordx4 v[106:109], v[173:174], off
	global_load_dwordx4 v[102:105], v[158:159], off
	global_load_dwordx4 v[98:101], v[179:180], off
	global_load_dwordx4 v[94:97], v[177:178], off
	global_load_dwordx4 v[90:93], v[183:184], off
	global_load_dwordx4 v[86:89], v[181:182], off
	global_load_dwordx4 v[82:85], v[187:188], off
	global_load_dwordx4 v[78:81], v[185:186], off
	global_load_dwordx4 v[74:77], v[191:192], off
	global_load_dwordx4 v[70:73], v[189:190], off
	global_load_dwordx4 v[66:69], v[254:255], off
	global_load_dwordx4 v[62:65], v[195:196], off
	global_load_dwordx4 v[58:61], v[193:194], off
	global_load_dwordx4 v[54:57], v[199:200], off
	global_load_dwordx4 v[50:53], v[197:198], off
	global_load_dwordx4 v[46:49], v[203:204], off
	global_load_dwordx4 v[42:45], v[201:202], off
	global_load_dwordx4 v[38:41], v[207:208], off
	global_load_dwordx4 v[34:37], v[205:206], off
	global_load_dwordx4 v[30:33], v[209:210], off
	global_load_dwordx4 v[26:29], v[215:216], off
	global_load_dwordx4 v[22:25], v[213:214], off
	global_load_dwordx4 v[18:21], v[217:218], off
	global_load_dwordx4 v[14:17], v[219:220], off
	global_load_dwordx4 v[10:13], v[223:224], off
	global_load_dwordx4 v[6:9], v[221:222], off
	global_load_dwordx4 v[2:5], v[230:231], off
	s_and_saveexec_b32 s3, s0
	s_cbranch_execz .LBB67_8
; %bb.2:
	s_waitcnt vmcnt(33)
	ds_write2_b64 v1, v[134:135], v[136:137] offset1:1
	s_waitcnt vmcnt(32)
	ds_write2_b64 v160, v[130:131], v[132:133] offset0:2 offset1:3
	s_waitcnt vmcnt(31)
	ds_write2_b64 v160, v[126:127], v[128:129] offset0:4 offset1:5
	;; [unrolled: 2-line block ×33, first 2 shown]
	ds_read2_b64 v[138:141], v1 offset1:1
	s_waitcnt lgkmcnt(0)
	v_cmp_neq_f64_e32 vcc_lo, 0, v[138:139]
	v_cmp_neq_f64_e64 s2, 0, v[140:141]
	s_or_b32 s2, vcc_lo, s2
	s_and_b32 exec_lo, exec_lo, s2
	s_cbranch_execz .LBB67_8
; %bb.3:
	v_cmp_ngt_f64_e64 s2, |v[138:139]|, |v[140:141]|
                                        ; implicit-def: $vgpr142_vgpr143
	s_and_saveexec_b32 s4, s2
	s_xor_b32 s2, exec_lo, s4
                                        ; implicit-def: $vgpr144_vgpr145
	s_cbranch_execz .LBB67_5
; %bb.4:
	v_div_scale_f64 v[142:143], null, v[140:141], v[140:141], v[138:139]
	v_div_scale_f64 v[148:149], vcc_lo, v[138:139], v[140:141], v[138:139]
	v_rcp_f64_e32 v[144:145], v[142:143]
	v_fma_f64 v[146:147], -v[142:143], v[144:145], 1.0
	v_fma_f64 v[144:145], v[144:145], v[146:147], v[144:145]
	v_fma_f64 v[146:147], -v[142:143], v[144:145], 1.0
	v_fma_f64 v[144:145], v[144:145], v[146:147], v[144:145]
	v_mul_f64 v[146:147], v[148:149], v[144:145]
	v_fma_f64 v[142:143], -v[142:143], v[146:147], v[148:149]
	v_div_fmas_f64 v[142:143], v[142:143], v[144:145], v[146:147]
	v_div_fixup_f64 v[142:143], v[142:143], v[140:141], v[138:139]
	v_fma_f64 v[138:139], v[138:139], v[142:143], v[140:141]
	v_div_scale_f64 v[140:141], null, v[138:139], v[138:139], 1.0
	v_rcp_f64_e32 v[144:145], v[140:141]
	v_fma_f64 v[146:147], -v[140:141], v[144:145], 1.0
	v_fma_f64 v[144:145], v[144:145], v[146:147], v[144:145]
	v_fma_f64 v[146:147], -v[140:141], v[144:145], 1.0
	v_fma_f64 v[144:145], v[144:145], v[146:147], v[144:145]
	v_div_scale_f64 v[146:147], vcc_lo, 1.0, v[138:139], 1.0
	v_mul_f64 v[148:149], v[146:147], v[144:145]
	v_fma_f64 v[140:141], -v[140:141], v[148:149], v[146:147]
	v_div_fmas_f64 v[140:141], v[140:141], v[144:145], v[148:149]
	v_div_fixup_f64 v[144:145], v[140:141], v[138:139], 1.0
                                        ; implicit-def: $vgpr138_vgpr139
	v_mul_f64 v[142:143], v[142:143], v[144:145]
	v_xor_b32_e32 v145, 0x80000000, v145
.LBB67_5:
	s_andn2_saveexec_b32 s2, s2
	s_cbranch_execz .LBB67_7
; %bb.6:
	v_div_scale_f64 v[142:143], null, v[138:139], v[138:139], v[140:141]
	v_div_scale_f64 v[148:149], vcc_lo, v[140:141], v[138:139], v[140:141]
	v_rcp_f64_e32 v[144:145], v[142:143]
	v_fma_f64 v[146:147], -v[142:143], v[144:145], 1.0
	v_fma_f64 v[144:145], v[144:145], v[146:147], v[144:145]
	v_fma_f64 v[146:147], -v[142:143], v[144:145], 1.0
	v_fma_f64 v[144:145], v[144:145], v[146:147], v[144:145]
	v_mul_f64 v[146:147], v[148:149], v[144:145]
	v_fma_f64 v[142:143], -v[142:143], v[146:147], v[148:149]
	v_div_fmas_f64 v[142:143], v[142:143], v[144:145], v[146:147]
	v_div_fixup_f64 v[144:145], v[142:143], v[138:139], v[140:141]
	v_fma_f64 v[138:139], v[140:141], v[144:145], v[138:139]
	v_div_scale_f64 v[140:141], null, v[138:139], v[138:139], 1.0
	v_rcp_f64_e32 v[142:143], v[140:141]
	v_fma_f64 v[146:147], -v[140:141], v[142:143], 1.0
	v_fma_f64 v[142:143], v[142:143], v[146:147], v[142:143]
	v_fma_f64 v[146:147], -v[140:141], v[142:143], 1.0
	v_fma_f64 v[142:143], v[142:143], v[146:147], v[142:143]
	v_div_scale_f64 v[146:147], vcc_lo, 1.0, v[138:139], 1.0
	v_mul_f64 v[148:149], v[146:147], v[142:143]
	v_fma_f64 v[140:141], -v[140:141], v[148:149], v[146:147]
	v_div_fmas_f64 v[140:141], v[140:141], v[142:143], v[148:149]
	v_div_fixup_f64 v[142:143], v[140:141], v[138:139], 1.0
	v_mul_f64 v[144:145], v[144:145], -v[142:143]
.LBB67_7:
	s_or_b32 exec_lo, exec_lo, s2
	ds_write2_b64 v1, v[142:143], v[144:145] offset1:1
.LBB67_8:
	s_or_b32 exec_lo, exec_lo, s3
	s_waitcnt vmcnt(0) lgkmcnt(0)
	s_waitcnt_vscnt null, 0x0
	s_barrier
	buffer_gl0_inv
	ds_read2_b64 v[138:141], v1 offset1:1
	s_waitcnt lgkmcnt(0)
	buffer_store_dword v138, off, s[16:19], 0 ; 4-byte Folded Spill
	buffer_store_dword v139, off, s[16:19], 0 offset:4 ; 4-byte Folded Spill
	buffer_store_dword v140, off, s[16:19], 0 offset:8 ; 4-byte Folded Spill
	;; [unrolled: 1-line block ×3, first 2 shown]
	s_and_saveexec_b32 s2, s1
	s_cbranch_execz .LBB67_10
; %bb.9:
	s_clause 0x3
	buffer_load_dword v140, off, s[16:19], 0
	buffer_load_dword v141, off, s[16:19], 0 offset:4
	buffer_load_dword v142, off, s[16:19], 0 offset:8
	;; [unrolled: 1-line block ×3, first 2 shown]
	s_waitcnt vmcnt(0)
	v_mul_f64 v[138:139], v[142:143], v[136:137]
	v_mul_f64 v[136:137], v[140:141], v[136:137]
	v_fma_f64 v[138:139], v[140:141], v[134:135], -v[138:139]
	v_fma_f64 v[136:137], v[142:143], v[134:135], v[136:137]
	ds_read2_b64 v[140:143], v160 offset0:2 offset1:3
	s_waitcnt lgkmcnt(0)
	v_mul_f64 v[134:135], v[142:143], v[136:137]
	v_fma_f64 v[134:135], v[140:141], v[138:139], -v[134:135]
	v_mul_f64 v[140:141], v[140:141], v[136:137]
	v_add_f64 v[130:131], v[130:131], -v[134:135]
	v_fma_f64 v[140:141], v[142:143], v[138:139], v[140:141]
	v_add_f64 v[132:133], v[132:133], -v[140:141]
	ds_read2_b64 v[140:143], v160 offset0:4 offset1:5
	s_waitcnt lgkmcnt(0)
	v_mul_f64 v[134:135], v[142:143], v[136:137]
	v_fma_f64 v[134:135], v[140:141], v[138:139], -v[134:135]
	v_mul_f64 v[140:141], v[140:141], v[136:137]
	v_add_f64 v[126:127], v[126:127], -v[134:135]
	v_fma_f64 v[140:141], v[142:143], v[138:139], v[140:141]
	v_add_f64 v[128:129], v[128:129], -v[140:141]
	;; [unrolled: 8-line block ×32, first 2 shown]
	ds_read2_b64 v[140:143], v160 offset0:66 offset1:67
	s_waitcnt lgkmcnt(0)
	v_mul_f64 v[134:135], v[142:143], v[136:137]
	v_fma_f64 v[134:135], v[140:141], v[138:139], -v[134:135]
	v_mul_f64 v[140:141], v[140:141], v[136:137]
	v_add_f64 v[2:3], v[2:3], -v[134:135]
	v_fma_f64 v[140:141], v[142:143], v[138:139], v[140:141]
	v_mov_b32_e32 v134, v138
	v_mov_b32_e32 v135, v139
	v_add_f64 v[4:5], v[4:5], -v[140:141]
.LBB67_10:
	s_or_b32 exec_lo, exec_lo, s2
	s_mov_b32 s2, exec_lo
	s_waitcnt_vscnt null, 0x0
	s_barrier
	buffer_gl0_inv
	v_cmpx_eq_u32_e32 1, v0
	s_cbranch_execz .LBB67_17
; %bb.11:
	ds_write2_b64 v1, v[130:131], v[132:133] offset1:1
	ds_write2_b64 v160, v[126:127], v[128:129] offset0:4 offset1:5
	ds_write2_b64 v160, v[122:123], v[124:125] offset0:6 offset1:7
	;; [unrolled: 1-line block ×32, first 2 shown]
	ds_read2_b64 v[138:141], v1 offset1:1
	s_waitcnt lgkmcnt(0)
	v_cmp_neq_f64_e32 vcc_lo, 0, v[138:139]
	v_cmp_neq_f64_e64 s1, 0, v[140:141]
	s_or_b32 s1, vcc_lo, s1
	s_and_b32 exec_lo, exec_lo, s1
	s_cbranch_execz .LBB67_17
; %bb.12:
	v_cmp_ngt_f64_e64 s1, |v[138:139]|, |v[140:141]|
                                        ; implicit-def: $vgpr142_vgpr143
	s_and_saveexec_b32 s3, s1
	s_xor_b32 s1, exec_lo, s3
                                        ; implicit-def: $vgpr144_vgpr145
	s_cbranch_execz .LBB67_14
; %bb.13:
	v_div_scale_f64 v[142:143], null, v[140:141], v[140:141], v[138:139]
	v_div_scale_f64 v[148:149], vcc_lo, v[138:139], v[140:141], v[138:139]
	v_rcp_f64_e32 v[144:145], v[142:143]
	v_fma_f64 v[146:147], -v[142:143], v[144:145], 1.0
	v_fma_f64 v[144:145], v[144:145], v[146:147], v[144:145]
	v_fma_f64 v[146:147], -v[142:143], v[144:145], 1.0
	v_fma_f64 v[144:145], v[144:145], v[146:147], v[144:145]
	v_mul_f64 v[146:147], v[148:149], v[144:145]
	v_fma_f64 v[142:143], -v[142:143], v[146:147], v[148:149]
	v_div_fmas_f64 v[142:143], v[142:143], v[144:145], v[146:147]
	v_div_fixup_f64 v[142:143], v[142:143], v[140:141], v[138:139]
	v_fma_f64 v[138:139], v[138:139], v[142:143], v[140:141]
	v_div_scale_f64 v[140:141], null, v[138:139], v[138:139], 1.0
	v_rcp_f64_e32 v[144:145], v[140:141]
	v_fma_f64 v[146:147], -v[140:141], v[144:145], 1.0
	v_fma_f64 v[144:145], v[144:145], v[146:147], v[144:145]
	v_fma_f64 v[146:147], -v[140:141], v[144:145], 1.0
	v_fma_f64 v[144:145], v[144:145], v[146:147], v[144:145]
	v_div_scale_f64 v[146:147], vcc_lo, 1.0, v[138:139], 1.0
	v_mul_f64 v[148:149], v[146:147], v[144:145]
	v_fma_f64 v[140:141], -v[140:141], v[148:149], v[146:147]
	v_div_fmas_f64 v[140:141], v[140:141], v[144:145], v[148:149]
	v_div_fixup_f64 v[144:145], v[140:141], v[138:139], 1.0
                                        ; implicit-def: $vgpr138_vgpr139
	v_mul_f64 v[142:143], v[142:143], v[144:145]
	v_xor_b32_e32 v145, 0x80000000, v145
.LBB67_14:
	s_andn2_saveexec_b32 s1, s1
	s_cbranch_execz .LBB67_16
; %bb.15:
	v_div_scale_f64 v[142:143], null, v[138:139], v[138:139], v[140:141]
	v_div_scale_f64 v[148:149], vcc_lo, v[140:141], v[138:139], v[140:141]
	v_rcp_f64_e32 v[144:145], v[142:143]
	v_fma_f64 v[146:147], -v[142:143], v[144:145], 1.0
	v_fma_f64 v[144:145], v[144:145], v[146:147], v[144:145]
	v_fma_f64 v[146:147], -v[142:143], v[144:145], 1.0
	v_fma_f64 v[144:145], v[144:145], v[146:147], v[144:145]
	v_mul_f64 v[146:147], v[148:149], v[144:145]
	v_fma_f64 v[142:143], -v[142:143], v[146:147], v[148:149]
	v_div_fmas_f64 v[142:143], v[142:143], v[144:145], v[146:147]
	v_div_fixup_f64 v[144:145], v[142:143], v[138:139], v[140:141]
	v_fma_f64 v[138:139], v[140:141], v[144:145], v[138:139]
	v_div_scale_f64 v[140:141], null, v[138:139], v[138:139], 1.0
	v_rcp_f64_e32 v[142:143], v[140:141]
	v_fma_f64 v[146:147], -v[140:141], v[142:143], 1.0
	v_fma_f64 v[142:143], v[142:143], v[146:147], v[142:143]
	v_fma_f64 v[146:147], -v[140:141], v[142:143], 1.0
	v_fma_f64 v[142:143], v[142:143], v[146:147], v[142:143]
	v_div_scale_f64 v[146:147], vcc_lo, 1.0, v[138:139], 1.0
	v_mul_f64 v[148:149], v[146:147], v[142:143]
	v_fma_f64 v[140:141], -v[140:141], v[148:149], v[146:147]
	v_div_fmas_f64 v[140:141], v[140:141], v[142:143], v[148:149]
	v_div_fixup_f64 v[142:143], v[140:141], v[138:139], 1.0
	v_mul_f64 v[144:145], v[144:145], -v[142:143]
.LBB67_16:
	s_or_b32 exec_lo, exec_lo, s1
	ds_write2_b64 v1, v[142:143], v[144:145] offset1:1
.LBB67_17:
	s_or_b32 exec_lo, exec_lo, s2
	s_waitcnt lgkmcnt(0)
	s_barrier
	buffer_gl0_inv
	ds_read2_b64 v[138:141], v1 offset1:1
	s_mov_b32 s1, exec_lo
	s_waitcnt lgkmcnt(0)
	buffer_store_dword v138, off, s[16:19], 0 offset:16 ; 4-byte Folded Spill
	buffer_store_dword v139, off, s[16:19], 0 offset:20 ; 4-byte Folded Spill
	;; [unrolled: 1-line block ×4, first 2 shown]
	v_cmpx_lt_u32_e32 1, v0
	s_cbranch_execz .LBB67_19
; %bb.18:
	s_clause 0x3
	buffer_load_dword v140, off, s[16:19], 0 offset:16
	buffer_load_dword v141, off, s[16:19], 0 offset:20
	;; [unrolled: 1-line block ×4, first 2 shown]
	s_waitcnt vmcnt(0)
	v_mul_f64 v[138:139], v[142:143], v[132:133]
	v_mul_f64 v[132:133], v[140:141], v[132:133]
	v_fma_f64 v[138:139], v[140:141], v[130:131], -v[138:139]
	v_fma_f64 v[132:133], v[142:143], v[130:131], v[132:133]
	ds_read2_b64 v[140:143], v160 offset0:4 offset1:5
	s_waitcnt lgkmcnt(0)
	v_mul_f64 v[130:131], v[142:143], v[132:133]
	v_fma_f64 v[130:131], v[140:141], v[138:139], -v[130:131]
	v_mul_f64 v[140:141], v[140:141], v[132:133]
	v_add_f64 v[126:127], v[126:127], -v[130:131]
	v_fma_f64 v[140:141], v[142:143], v[138:139], v[140:141]
	v_add_f64 v[128:129], v[128:129], -v[140:141]
	ds_read2_b64 v[140:143], v160 offset0:6 offset1:7
	s_waitcnt lgkmcnt(0)
	v_mul_f64 v[130:131], v[142:143], v[132:133]
	v_fma_f64 v[130:131], v[140:141], v[138:139], -v[130:131]
	v_mul_f64 v[140:141], v[140:141], v[132:133]
	v_add_f64 v[122:123], v[122:123], -v[130:131]
	v_fma_f64 v[140:141], v[142:143], v[138:139], v[140:141]
	v_add_f64 v[124:125], v[124:125], -v[140:141]
	;; [unrolled: 8-line block ×31, first 2 shown]
	ds_read2_b64 v[140:143], v160 offset0:66 offset1:67
	s_waitcnt lgkmcnt(0)
	v_mul_f64 v[130:131], v[142:143], v[132:133]
	v_fma_f64 v[130:131], v[140:141], v[138:139], -v[130:131]
	v_mul_f64 v[140:141], v[140:141], v[132:133]
	v_add_f64 v[2:3], v[2:3], -v[130:131]
	v_fma_f64 v[140:141], v[142:143], v[138:139], v[140:141]
	v_mov_b32_e32 v130, v138
	v_mov_b32_e32 v131, v139
	v_add_f64 v[4:5], v[4:5], -v[140:141]
.LBB67_19:
	s_or_b32 exec_lo, exec_lo, s1
	s_mov_b32 s2, exec_lo
	s_waitcnt_vscnt null, 0x0
	s_barrier
	buffer_gl0_inv
	v_cmpx_eq_u32_e32 2, v0
	s_cbranch_execz .LBB67_26
; %bb.20:
	ds_write2_b64 v1, v[126:127], v[128:129] offset1:1
	ds_write2_b64 v160, v[122:123], v[124:125] offset0:6 offset1:7
	ds_write2_b64 v160, v[118:119], v[120:121] offset0:8 offset1:9
	;; [unrolled: 1-line block ×31, first 2 shown]
	ds_read2_b64 v[138:141], v1 offset1:1
	s_waitcnt lgkmcnt(0)
	v_cmp_neq_f64_e32 vcc_lo, 0, v[138:139]
	v_cmp_neq_f64_e64 s1, 0, v[140:141]
	s_or_b32 s1, vcc_lo, s1
	s_and_b32 exec_lo, exec_lo, s1
	s_cbranch_execz .LBB67_26
; %bb.21:
	v_cmp_ngt_f64_e64 s1, |v[138:139]|, |v[140:141]|
                                        ; implicit-def: $vgpr142_vgpr143
	s_and_saveexec_b32 s3, s1
	s_xor_b32 s1, exec_lo, s3
                                        ; implicit-def: $vgpr144_vgpr145
	s_cbranch_execz .LBB67_23
; %bb.22:
	v_div_scale_f64 v[142:143], null, v[140:141], v[140:141], v[138:139]
	v_div_scale_f64 v[148:149], vcc_lo, v[138:139], v[140:141], v[138:139]
	v_rcp_f64_e32 v[144:145], v[142:143]
	v_fma_f64 v[146:147], -v[142:143], v[144:145], 1.0
	v_fma_f64 v[144:145], v[144:145], v[146:147], v[144:145]
	v_fma_f64 v[146:147], -v[142:143], v[144:145], 1.0
	v_fma_f64 v[144:145], v[144:145], v[146:147], v[144:145]
	v_mul_f64 v[146:147], v[148:149], v[144:145]
	v_fma_f64 v[142:143], -v[142:143], v[146:147], v[148:149]
	v_div_fmas_f64 v[142:143], v[142:143], v[144:145], v[146:147]
	v_div_fixup_f64 v[142:143], v[142:143], v[140:141], v[138:139]
	v_fma_f64 v[138:139], v[138:139], v[142:143], v[140:141]
	v_div_scale_f64 v[140:141], null, v[138:139], v[138:139], 1.0
	v_rcp_f64_e32 v[144:145], v[140:141]
	v_fma_f64 v[146:147], -v[140:141], v[144:145], 1.0
	v_fma_f64 v[144:145], v[144:145], v[146:147], v[144:145]
	v_fma_f64 v[146:147], -v[140:141], v[144:145], 1.0
	v_fma_f64 v[144:145], v[144:145], v[146:147], v[144:145]
	v_div_scale_f64 v[146:147], vcc_lo, 1.0, v[138:139], 1.0
	v_mul_f64 v[148:149], v[146:147], v[144:145]
	v_fma_f64 v[140:141], -v[140:141], v[148:149], v[146:147]
	v_div_fmas_f64 v[140:141], v[140:141], v[144:145], v[148:149]
	v_div_fixup_f64 v[144:145], v[140:141], v[138:139], 1.0
                                        ; implicit-def: $vgpr138_vgpr139
	v_mul_f64 v[142:143], v[142:143], v[144:145]
	v_xor_b32_e32 v145, 0x80000000, v145
.LBB67_23:
	s_andn2_saveexec_b32 s1, s1
	s_cbranch_execz .LBB67_25
; %bb.24:
	v_div_scale_f64 v[142:143], null, v[138:139], v[138:139], v[140:141]
	v_div_scale_f64 v[148:149], vcc_lo, v[140:141], v[138:139], v[140:141]
	v_rcp_f64_e32 v[144:145], v[142:143]
	v_fma_f64 v[146:147], -v[142:143], v[144:145], 1.0
	v_fma_f64 v[144:145], v[144:145], v[146:147], v[144:145]
	v_fma_f64 v[146:147], -v[142:143], v[144:145], 1.0
	v_fma_f64 v[144:145], v[144:145], v[146:147], v[144:145]
	v_mul_f64 v[146:147], v[148:149], v[144:145]
	v_fma_f64 v[142:143], -v[142:143], v[146:147], v[148:149]
	v_div_fmas_f64 v[142:143], v[142:143], v[144:145], v[146:147]
	v_div_fixup_f64 v[144:145], v[142:143], v[138:139], v[140:141]
	v_fma_f64 v[138:139], v[140:141], v[144:145], v[138:139]
	v_div_scale_f64 v[140:141], null, v[138:139], v[138:139], 1.0
	v_rcp_f64_e32 v[142:143], v[140:141]
	v_fma_f64 v[146:147], -v[140:141], v[142:143], 1.0
	v_fma_f64 v[142:143], v[142:143], v[146:147], v[142:143]
	v_fma_f64 v[146:147], -v[140:141], v[142:143], 1.0
	v_fma_f64 v[142:143], v[142:143], v[146:147], v[142:143]
	v_div_scale_f64 v[146:147], vcc_lo, 1.0, v[138:139], 1.0
	v_mul_f64 v[148:149], v[146:147], v[142:143]
	v_fma_f64 v[140:141], -v[140:141], v[148:149], v[146:147]
	v_div_fmas_f64 v[140:141], v[140:141], v[142:143], v[148:149]
	v_div_fixup_f64 v[142:143], v[140:141], v[138:139], 1.0
	v_mul_f64 v[144:145], v[144:145], -v[142:143]
.LBB67_25:
	s_or_b32 exec_lo, exec_lo, s1
	ds_write2_b64 v1, v[142:143], v[144:145] offset1:1
.LBB67_26:
	s_or_b32 exec_lo, exec_lo, s2
	s_waitcnt lgkmcnt(0)
	s_barrier
	buffer_gl0_inv
	ds_read2_b64 v[138:141], v1 offset1:1
	s_mov_b32 s1, exec_lo
	s_waitcnt lgkmcnt(0)
	buffer_store_dword v138, off, s[16:19], 0 offset:32 ; 4-byte Folded Spill
	buffer_store_dword v139, off, s[16:19], 0 offset:36 ; 4-byte Folded Spill
	;; [unrolled: 1-line block ×4, first 2 shown]
	v_cmpx_lt_u32_e32 2, v0
	s_cbranch_execz .LBB67_28
; %bb.27:
	s_clause 0x3
	buffer_load_dword v140, off, s[16:19], 0 offset:32
	buffer_load_dword v141, off, s[16:19], 0 offset:36
	;; [unrolled: 1-line block ×4, first 2 shown]
	s_waitcnt vmcnt(0)
	v_mul_f64 v[138:139], v[142:143], v[128:129]
	v_mul_f64 v[128:129], v[140:141], v[128:129]
	v_fma_f64 v[138:139], v[140:141], v[126:127], -v[138:139]
	v_fma_f64 v[128:129], v[142:143], v[126:127], v[128:129]
	ds_read2_b64 v[140:143], v160 offset0:6 offset1:7
	s_waitcnt lgkmcnt(0)
	v_mul_f64 v[126:127], v[142:143], v[128:129]
	v_fma_f64 v[126:127], v[140:141], v[138:139], -v[126:127]
	v_mul_f64 v[140:141], v[140:141], v[128:129]
	v_add_f64 v[122:123], v[122:123], -v[126:127]
	v_fma_f64 v[140:141], v[142:143], v[138:139], v[140:141]
	v_add_f64 v[124:125], v[124:125], -v[140:141]
	ds_read2_b64 v[140:143], v160 offset0:8 offset1:9
	s_waitcnt lgkmcnt(0)
	v_mul_f64 v[126:127], v[142:143], v[128:129]
	v_fma_f64 v[126:127], v[140:141], v[138:139], -v[126:127]
	v_mul_f64 v[140:141], v[140:141], v[128:129]
	v_add_f64 v[118:119], v[118:119], -v[126:127]
	v_fma_f64 v[140:141], v[142:143], v[138:139], v[140:141]
	v_add_f64 v[120:121], v[120:121], -v[140:141]
	;; [unrolled: 8-line block ×30, first 2 shown]
	ds_read2_b64 v[140:143], v160 offset0:66 offset1:67
	s_waitcnt lgkmcnt(0)
	v_mul_f64 v[126:127], v[142:143], v[128:129]
	v_fma_f64 v[126:127], v[140:141], v[138:139], -v[126:127]
	v_mul_f64 v[140:141], v[140:141], v[128:129]
	v_add_f64 v[2:3], v[2:3], -v[126:127]
	v_fma_f64 v[140:141], v[142:143], v[138:139], v[140:141]
	v_mov_b32_e32 v126, v138
	v_mov_b32_e32 v127, v139
	v_add_f64 v[4:5], v[4:5], -v[140:141]
.LBB67_28:
	s_or_b32 exec_lo, exec_lo, s1
	s_mov_b32 s2, exec_lo
	s_waitcnt_vscnt null, 0x0
	s_barrier
	buffer_gl0_inv
	v_cmpx_eq_u32_e32 3, v0
	s_cbranch_execz .LBB67_35
; %bb.29:
	ds_write2_b64 v1, v[122:123], v[124:125] offset1:1
	ds_write2_b64 v160, v[118:119], v[120:121] offset0:8 offset1:9
	ds_write2_b64 v160, v[114:115], v[116:117] offset0:10 offset1:11
	;; [unrolled: 1-line block ×30, first 2 shown]
	ds_read2_b64 v[138:141], v1 offset1:1
	s_waitcnt lgkmcnt(0)
	v_cmp_neq_f64_e32 vcc_lo, 0, v[138:139]
	v_cmp_neq_f64_e64 s1, 0, v[140:141]
	s_or_b32 s1, vcc_lo, s1
	s_and_b32 exec_lo, exec_lo, s1
	s_cbranch_execz .LBB67_35
; %bb.30:
	v_cmp_ngt_f64_e64 s1, |v[138:139]|, |v[140:141]|
                                        ; implicit-def: $vgpr142_vgpr143
	s_and_saveexec_b32 s3, s1
	s_xor_b32 s1, exec_lo, s3
                                        ; implicit-def: $vgpr144_vgpr145
	s_cbranch_execz .LBB67_32
; %bb.31:
	v_div_scale_f64 v[142:143], null, v[140:141], v[140:141], v[138:139]
	v_div_scale_f64 v[148:149], vcc_lo, v[138:139], v[140:141], v[138:139]
	v_rcp_f64_e32 v[144:145], v[142:143]
	v_fma_f64 v[146:147], -v[142:143], v[144:145], 1.0
	v_fma_f64 v[144:145], v[144:145], v[146:147], v[144:145]
	v_fma_f64 v[146:147], -v[142:143], v[144:145], 1.0
	v_fma_f64 v[144:145], v[144:145], v[146:147], v[144:145]
	v_mul_f64 v[146:147], v[148:149], v[144:145]
	v_fma_f64 v[142:143], -v[142:143], v[146:147], v[148:149]
	v_div_fmas_f64 v[142:143], v[142:143], v[144:145], v[146:147]
	v_div_fixup_f64 v[142:143], v[142:143], v[140:141], v[138:139]
	v_fma_f64 v[138:139], v[138:139], v[142:143], v[140:141]
	v_div_scale_f64 v[140:141], null, v[138:139], v[138:139], 1.0
	v_rcp_f64_e32 v[144:145], v[140:141]
	v_fma_f64 v[146:147], -v[140:141], v[144:145], 1.0
	v_fma_f64 v[144:145], v[144:145], v[146:147], v[144:145]
	v_fma_f64 v[146:147], -v[140:141], v[144:145], 1.0
	v_fma_f64 v[144:145], v[144:145], v[146:147], v[144:145]
	v_div_scale_f64 v[146:147], vcc_lo, 1.0, v[138:139], 1.0
	v_mul_f64 v[148:149], v[146:147], v[144:145]
	v_fma_f64 v[140:141], -v[140:141], v[148:149], v[146:147]
	v_div_fmas_f64 v[140:141], v[140:141], v[144:145], v[148:149]
	v_div_fixup_f64 v[144:145], v[140:141], v[138:139], 1.0
                                        ; implicit-def: $vgpr138_vgpr139
	v_mul_f64 v[142:143], v[142:143], v[144:145]
	v_xor_b32_e32 v145, 0x80000000, v145
.LBB67_32:
	s_andn2_saveexec_b32 s1, s1
	s_cbranch_execz .LBB67_34
; %bb.33:
	v_div_scale_f64 v[142:143], null, v[138:139], v[138:139], v[140:141]
	v_div_scale_f64 v[148:149], vcc_lo, v[140:141], v[138:139], v[140:141]
	v_rcp_f64_e32 v[144:145], v[142:143]
	v_fma_f64 v[146:147], -v[142:143], v[144:145], 1.0
	v_fma_f64 v[144:145], v[144:145], v[146:147], v[144:145]
	v_fma_f64 v[146:147], -v[142:143], v[144:145], 1.0
	v_fma_f64 v[144:145], v[144:145], v[146:147], v[144:145]
	v_mul_f64 v[146:147], v[148:149], v[144:145]
	v_fma_f64 v[142:143], -v[142:143], v[146:147], v[148:149]
	v_div_fmas_f64 v[142:143], v[142:143], v[144:145], v[146:147]
	v_div_fixup_f64 v[144:145], v[142:143], v[138:139], v[140:141]
	v_fma_f64 v[138:139], v[140:141], v[144:145], v[138:139]
	v_div_scale_f64 v[140:141], null, v[138:139], v[138:139], 1.0
	v_rcp_f64_e32 v[142:143], v[140:141]
	v_fma_f64 v[146:147], -v[140:141], v[142:143], 1.0
	v_fma_f64 v[142:143], v[142:143], v[146:147], v[142:143]
	v_fma_f64 v[146:147], -v[140:141], v[142:143], 1.0
	v_fma_f64 v[142:143], v[142:143], v[146:147], v[142:143]
	v_div_scale_f64 v[146:147], vcc_lo, 1.0, v[138:139], 1.0
	v_mul_f64 v[148:149], v[146:147], v[142:143]
	v_fma_f64 v[140:141], -v[140:141], v[148:149], v[146:147]
	v_div_fmas_f64 v[140:141], v[140:141], v[142:143], v[148:149]
	v_div_fixup_f64 v[142:143], v[140:141], v[138:139], 1.0
	v_mul_f64 v[144:145], v[144:145], -v[142:143]
.LBB67_34:
	s_or_b32 exec_lo, exec_lo, s1
	ds_write2_b64 v1, v[142:143], v[144:145] offset1:1
.LBB67_35:
	s_or_b32 exec_lo, exec_lo, s2
	s_waitcnt lgkmcnt(0)
	s_barrier
	buffer_gl0_inv
	ds_read2_b64 v[138:141], v1 offset1:1
	s_mov_b32 s1, exec_lo
	s_waitcnt lgkmcnt(0)
	buffer_store_dword v138, off, s[16:19], 0 offset:48 ; 4-byte Folded Spill
	buffer_store_dword v139, off, s[16:19], 0 offset:52 ; 4-byte Folded Spill
	;; [unrolled: 1-line block ×4, first 2 shown]
	v_cmpx_lt_u32_e32 3, v0
	s_cbranch_execz .LBB67_37
; %bb.36:
	s_clause 0x3
	buffer_load_dword v140, off, s[16:19], 0 offset:48
	buffer_load_dword v141, off, s[16:19], 0 offset:52
	;; [unrolled: 1-line block ×4, first 2 shown]
	s_waitcnt vmcnt(0)
	v_mul_f64 v[138:139], v[142:143], v[124:125]
	v_mul_f64 v[124:125], v[140:141], v[124:125]
	v_fma_f64 v[138:139], v[140:141], v[122:123], -v[138:139]
	v_fma_f64 v[124:125], v[142:143], v[122:123], v[124:125]
	ds_read2_b64 v[140:143], v160 offset0:8 offset1:9
	s_waitcnt lgkmcnt(0)
	v_mul_f64 v[122:123], v[142:143], v[124:125]
	v_fma_f64 v[122:123], v[140:141], v[138:139], -v[122:123]
	v_mul_f64 v[140:141], v[140:141], v[124:125]
	v_add_f64 v[118:119], v[118:119], -v[122:123]
	v_fma_f64 v[140:141], v[142:143], v[138:139], v[140:141]
	v_add_f64 v[120:121], v[120:121], -v[140:141]
	ds_read2_b64 v[140:143], v160 offset0:10 offset1:11
	s_waitcnt lgkmcnt(0)
	v_mul_f64 v[122:123], v[142:143], v[124:125]
	v_fma_f64 v[122:123], v[140:141], v[138:139], -v[122:123]
	v_mul_f64 v[140:141], v[140:141], v[124:125]
	v_add_f64 v[114:115], v[114:115], -v[122:123]
	v_fma_f64 v[140:141], v[142:143], v[138:139], v[140:141]
	v_add_f64 v[116:117], v[116:117], -v[140:141]
	;; [unrolled: 8-line block ×29, first 2 shown]
	ds_read2_b64 v[140:143], v160 offset0:66 offset1:67
	s_waitcnt lgkmcnt(0)
	v_mul_f64 v[122:123], v[142:143], v[124:125]
	v_fma_f64 v[122:123], v[140:141], v[138:139], -v[122:123]
	v_mul_f64 v[140:141], v[140:141], v[124:125]
	v_add_f64 v[2:3], v[2:3], -v[122:123]
	v_fma_f64 v[140:141], v[142:143], v[138:139], v[140:141]
	v_mov_b32_e32 v122, v138
	v_mov_b32_e32 v123, v139
	v_add_f64 v[4:5], v[4:5], -v[140:141]
.LBB67_37:
	s_or_b32 exec_lo, exec_lo, s1
	s_mov_b32 s2, exec_lo
	s_waitcnt_vscnt null, 0x0
	s_barrier
	buffer_gl0_inv
	v_cmpx_eq_u32_e32 4, v0
	s_cbranch_execz .LBB67_44
; %bb.38:
	ds_write2_b64 v1, v[118:119], v[120:121] offset1:1
	ds_write2_b64 v160, v[114:115], v[116:117] offset0:10 offset1:11
	ds_write2_b64 v160, v[110:111], v[112:113] offset0:12 offset1:13
	;; [unrolled: 1-line block ×29, first 2 shown]
	ds_read2_b64 v[138:141], v1 offset1:1
	s_waitcnt lgkmcnt(0)
	v_cmp_neq_f64_e32 vcc_lo, 0, v[138:139]
	v_cmp_neq_f64_e64 s1, 0, v[140:141]
	s_or_b32 s1, vcc_lo, s1
	s_and_b32 exec_lo, exec_lo, s1
	s_cbranch_execz .LBB67_44
; %bb.39:
	v_cmp_ngt_f64_e64 s1, |v[138:139]|, |v[140:141]|
                                        ; implicit-def: $vgpr142_vgpr143
	s_and_saveexec_b32 s3, s1
	s_xor_b32 s1, exec_lo, s3
                                        ; implicit-def: $vgpr144_vgpr145
	s_cbranch_execz .LBB67_41
; %bb.40:
	v_div_scale_f64 v[142:143], null, v[140:141], v[140:141], v[138:139]
	v_div_scale_f64 v[148:149], vcc_lo, v[138:139], v[140:141], v[138:139]
	v_rcp_f64_e32 v[144:145], v[142:143]
	v_fma_f64 v[146:147], -v[142:143], v[144:145], 1.0
	v_fma_f64 v[144:145], v[144:145], v[146:147], v[144:145]
	v_fma_f64 v[146:147], -v[142:143], v[144:145], 1.0
	v_fma_f64 v[144:145], v[144:145], v[146:147], v[144:145]
	v_mul_f64 v[146:147], v[148:149], v[144:145]
	v_fma_f64 v[142:143], -v[142:143], v[146:147], v[148:149]
	v_div_fmas_f64 v[142:143], v[142:143], v[144:145], v[146:147]
	v_div_fixup_f64 v[142:143], v[142:143], v[140:141], v[138:139]
	v_fma_f64 v[138:139], v[138:139], v[142:143], v[140:141]
	v_div_scale_f64 v[140:141], null, v[138:139], v[138:139], 1.0
	v_rcp_f64_e32 v[144:145], v[140:141]
	v_fma_f64 v[146:147], -v[140:141], v[144:145], 1.0
	v_fma_f64 v[144:145], v[144:145], v[146:147], v[144:145]
	v_fma_f64 v[146:147], -v[140:141], v[144:145], 1.0
	v_fma_f64 v[144:145], v[144:145], v[146:147], v[144:145]
	v_div_scale_f64 v[146:147], vcc_lo, 1.0, v[138:139], 1.0
	v_mul_f64 v[148:149], v[146:147], v[144:145]
	v_fma_f64 v[140:141], -v[140:141], v[148:149], v[146:147]
	v_div_fmas_f64 v[140:141], v[140:141], v[144:145], v[148:149]
	v_div_fixup_f64 v[144:145], v[140:141], v[138:139], 1.0
                                        ; implicit-def: $vgpr138_vgpr139
	v_mul_f64 v[142:143], v[142:143], v[144:145]
	v_xor_b32_e32 v145, 0x80000000, v145
.LBB67_41:
	s_andn2_saveexec_b32 s1, s1
	s_cbranch_execz .LBB67_43
; %bb.42:
	v_div_scale_f64 v[142:143], null, v[138:139], v[138:139], v[140:141]
	v_div_scale_f64 v[148:149], vcc_lo, v[140:141], v[138:139], v[140:141]
	v_rcp_f64_e32 v[144:145], v[142:143]
	v_fma_f64 v[146:147], -v[142:143], v[144:145], 1.0
	v_fma_f64 v[144:145], v[144:145], v[146:147], v[144:145]
	v_fma_f64 v[146:147], -v[142:143], v[144:145], 1.0
	v_fma_f64 v[144:145], v[144:145], v[146:147], v[144:145]
	v_mul_f64 v[146:147], v[148:149], v[144:145]
	v_fma_f64 v[142:143], -v[142:143], v[146:147], v[148:149]
	v_div_fmas_f64 v[142:143], v[142:143], v[144:145], v[146:147]
	v_div_fixup_f64 v[144:145], v[142:143], v[138:139], v[140:141]
	v_fma_f64 v[138:139], v[140:141], v[144:145], v[138:139]
	v_div_scale_f64 v[140:141], null, v[138:139], v[138:139], 1.0
	v_rcp_f64_e32 v[142:143], v[140:141]
	v_fma_f64 v[146:147], -v[140:141], v[142:143], 1.0
	v_fma_f64 v[142:143], v[142:143], v[146:147], v[142:143]
	v_fma_f64 v[146:147], -v[140:141], v[142:143], 1.0
	v_fma_f64 v[142:143], v[142:143], v[146:147], v[142:143]
	v_div_scale_f64 v[146:147], vcc_lo, 1.0, v[138:139], 1.0
	v_mul_f64 v[148:149], v[146:147], v[142:143]
	v_fma_f64 v[140:141], -v[140:141], v[148:149], v[146:147]
	v_div_fmas_f64 v[140:141], v[140:141], v[142:143], v[148:149]
	v_div_fixup_f64 v[142:143], v[140:141], v[138:139], 1.0
	v_mul_f64 v[144:145], v[144:145], -v[142:143]
.LBB67_43:
	s_or_b32 exec_lo, exec_lo, s1
	ds_write2_b64 v1, v[142:143], v[144:145] offset1:1
.LBB67_44:
	s_or_b32 exec_lo, exec_lo, s2
	s_waitcnt lgkmcnt(0)
	s_barrier
	buffer_gl0_inv
	ds_read2_b64 v[138:141], v1 offset1:1
	s_mov_b32 s1, exec_lo
	s_waitcnt lgkmcnt(0)
	buffer_store_dword v138, off, s[16:19], 0 offset:64 ; 4-byte Folded Spill
	buffer_store_dword v139, off, s[16:19], 0 offset:68 ; 4-byte Folded Spill
	;; [unrolled: 1-line block ×4, first 2 shown]
	v_cmpx_lt_u32_e32 4, v0
	s_cbranch_execz .LBB67_46
; %bb.45:
	s_clause 0x3
	buffer_load_dword v140, off, s[16:19], 0 offset:64
	buffer_load_dword v141, off, s[16:19], 0 offset:68
	;; [unrolled: 1-line block ×4, first 2 shown]
	s_waitcnt vmcnt(0)
	v_mul_f64 v[138:139], v[142:143], v[120:121]
	v_mul_f64 v[120:121], v[140:141], v[120:121]
	v_fma_f64 v[138:139], v[140:141], v[118:119], -v[138:139]
	v_fma_f64 v[120:121], v[142:143], v[118:119], v[120:121]
	ds_read2_b64 v[140:143], v160 offset0:10 offset1:11
	s_waitcnt lgkmcnt(0)
	v_mul_f64 v[118:119], v[142:143], v[120:121]
	v_fma_f64 v[118:119], v[140:141], v[138:139], -v[118:119]
	v_mul_f64 v[140:141], v[140:141], v[120:121]
	v_add_f64 v[114:115], v[114:115], -v[118:119]
	v_fma_f64 v[140:141], v[142:143], v[138:139], v[140:141]
	v_add_f64 v[116:117], v[116:117], -v[140:141]
	ds_read2_b64 v[140:143], v160 offset0:12 offset1:13
	s_waitcnt lgkmcnt(0)
	v_mul_f64 v[118:119], v[142:143], v[120:121]
	v_fma_f64 v[118:119], v[140:141], v[138:139], -v[118:119]
	v_mul_f64 v[140:141], v[140:141], v[120:121]
	v_add_f64 v[110:111], v[110:111], -v[118:119]
	v_fma_f64 v[140:141], v[142:143], v[138:139], v[140:141]
	v_add_f64 v[112:113], v[112:113], -v[140:141]
	;; [unrolled: 8-line block ×28, first 2 shown]
	ds_read2_b64 v[140:143], v160 offset0:66 offset1:67
	s_waitcnt lgkmcnt(0)
	v_mul_f64 v[118:119], v[142:143], v[120:121]
	v_fma_f64 v[118:119], v[140:141], v[138:139], -v[118:119]
	v_mul_f64 v[140:141], v[140:141], v[120:121]
	v_add_f64 v[2:3], v[2:3], -v[118:119]
	v_fma_f64 v[140:141], v[142:143], v[138:139], v[140:141]
	v_mov_b32_e32 v118, v138
	v_mov_b32_e32 v119, v139
	v_add_f64 v[4:5], v[4:5], -v[140:141]
.LBB67_46:
	s_or_b32 exec_lo, exec_lo, s1
	s_mov_b32 s2, exec_lo
	s_waitcnt_vscnt null, 0x0
	s_barrier
	buffer_gl0_inv
	v_cmpx_eq_u32_e32 5, v0
	s_cbranch_execz .LBB67_53
; %bb.47:
	ds_write2_b64 v1, v[114:115], v[116:117] offset1:1
	ds_write2_b64 v160, v[110:111], v[112:113] offset0:12 offset1:13
	ds_write2_b64 v160, v[106:107], v[108:109] offset0:14 offset1:15
	;; [unrolled: 1-line block ×28, first 2 shown]
	ds_read2_b64 v[138:141], v1 offset1:1
	s_waitcnt lgkmcnt(0)
	v_cmp_neq_f64_e32 vcc_lo, 0, v[138:139]
	v_cmp_neq_f64_e64 s1, 0, v[140:141]
	s_or_b32 s1, vcc_lo, s1
	s_and_b32 exec_lo, exec_lo, s1
	s_cbranch_execz .LBB67_53
; %bb.48:
	v_cmp_ngt_f64_e64 s1, |v[138:139]|, |v[140:141]|
                                        ; implicit-def: $vgpr142_vgpr143
	s_and_saveexec_b32 s3, s1
	s_xor_b32 s1, exec_lo, s3
                                        ; implicit-def: $vgpr144_vgpr145
	s_cbranch_execz .LBB67_50
; %bb.49:
	v_div_scale_f64 v[142:143], null, v[140:141], v[140:141], v[138:139]
	v_div_scale_f64 v[148:149], vcc_lo, v[138:139], v[140:141], v[138:139]
	v_rcp_f64_e32 v[144:145], v[142:143]
	v_fma_f64 v[146:147], -v[142:143], v[144:145], 1.0
	v_fma_f64 v[144:145], v[144:145], v[146:147], v[144:145]
	v_fma_f64 v[146:147], -v[142:143], v[144:145], 1.0
	v_fma_f64 v[144:145], v[144:145], v[146:147], v[144:145]
	v_mul_f64 v[146:147], v[148:149], v[144:145]
	v_fma_f64 v[142:143], -v[142:143], v[146:147], v[148:149]
	v_div_fmas_f64 v[142:143], v[142:143], v[144:145], v[146:147]
	v_div_fixup_f64 v[142:143], v[142:143], v[140:141], v[138:139]
	v_fma_f64 v[138:139], v[138:139], v[142:143], v[140:141]
	v_div_scale_f64 v[140:141], null, v[138:139], v[138:139], 1.0
	v_rcp_f64_e32 v[144:145], v[140:141]
	v_fma_f64 v[146:147], -v[140:141], v[144:145], 1.0
	v_fma_f64 v[144:145], v[144:145], v[146:147], v[144:145]
	v_fma_f64 v[146:147], -v[140:141], v[144:145], 1.0
	v_fma_f64 v[144:145], v[144:145], v[146:147], v[144:145]
	v_div_scale_f64 v[146:147], vcc_lo, 1.0, v[138:139], 1.0
	v_mul_f64 v[148:149], v[146:147], v[144:145]
	v_fma_f64 v[140:141], -v[140:141], v[148:149], v[146:147]
	v_div_fmas_f64 v[140:141], v[140:141], v[144:145], v[148:149]
	v_div_fixup_f64 v[144:145], v[140:141], v[138:139], 1.0
                                        ; implicit-def: $vgpr138_vgpr139
	v_mul_f64 v[142:143], v[142:143], v[144:145]
	v_xor_b32_e32 v145, 0x80000000, v145
.LBB67_50:
	s_andn2_saveexec_b32 s1, s1
	s_cbranch_execz .LBB67_52
; %bb.51:
	v_div_scale_f64 v[142:143], null, v[138:139], v[138:139], v[140:141]
	v_div_scale_f64 v[148:149], vcc_lo, v[140:141], v[138:139], v[140:141]
	v_rcp_f64_e32 v[144:145], v[142:143]
	v_fma_f64 v[146:147], -v[142:143], v[144:145], 1.0
	v_fma_f64 v[144:145], v[144:145], v[146:147], v[144:145]
	v_fma_f64 v[146:147], -v[142:143], v[144:145], 1.0
	v_fma_f64 v[144:145], v[144:145], v[146:147], v[144:145]
	v_mul_f64 v[146:147], v[148:149], v[144:145]
	v_fma_f64 v[142:143], -v[142:143], v[146:147], v[148:149]
	v_div_fmas_f64 v[142:143], v[142:143], v[144:145], v[146:147]
	v_div_fixup_f64 v[144:145], v[142:143], v[138:139], v[140:141]
	v_fma_f64 v[138:139], v[140:141], v[144:145], v[138:139]
	v_div_scale_f64 v[140:141], null, v[138:139], v[138:139], 1.0
	v_rcp_f64_e32 v[142:143], v[140:141]
	v_fma_f64 v[146:147], -v[140:141], v[142:143], 1.0
	v_fma_f64 v[142:143], v[142:143], v[146:147], v[142:143]
	v_fma_f64 v[146:147], -v[140:141], v[142:143], 1.0
	v_fma_f64 v[142:143], v[142:143], v[146:147], v[142:143]
	v_div_scale_f64 v[146:147], vcc_lo, 1.0, v[138:139], 1.0
	v_mul_f64 v[148:149], v[146:147], v[142:143]
	v_fma_f64 v[140:141], -v[140:141], v[148:149], v[146:147]
	v_div_fmas_f64 v[140:141], v[140:141], v[142:143], v[148:149]
	v_div_fixup_f64 v[142:143], v[140:141], v[138:139], 1.0
	v_mul_f64 v[144:145], v[144:145], -v[142:143]
.LBB67_52:
	s_or_b32 exec_lo, exec_lo, s1
	ds_write2_b64 v1, v[142:143], v[144:145] offset1:1
.LBB67_53:
	s_or_b32 exec_lo, exec_lo, s2
	s_waitcnt lgkmcnt(0)
	s_barrier
	buffer_gl0_inv
	ds_read2_b64 v[138:141], v1 offset1:1
	s_mov_b32 s1, exec_lo
	s_waitcnt lgkmcnt(0)
	buffer_store_dword v138, off, s[16:19], 0 offset:80 ; 4-byte Folded Spill
	buffer_store_dword v139, off, s[16:19], 0 offset:84 ; 4-byte Folded Spill
	;; [unrolled: 1-line block ×4, first 2 shown]
	v_cmpx_lt_u32_e32 5, v0
	s_cbranch_execz .LBB67_55
; %bb.54:
	s_clause 0x3
	buffer_load_dword v140, off, s[16:19], 0 offset:80
	buffer_load_dword v141, off, s[16:19], 0 offset:84
	;; [unrolled: 1-line block ×4, first 2 shown]
	s_waitcnt vmcnt(0)
	v_mul_f64 v[138:139], v[142:143], v[116:117]
	v_mul_f64 v[116:117], v[140:141], v[116:117]
	v_fma_f64 v[138:139], v[140:141], v[114:115], -v[138:139]
	v_fma_f64 v[116:117], v[142:143], v[114:115], v[116:117]
	ds_read2_b64 v[140:143], v160 offset0:12 offset1:13
	s_waitcnt lgkmcnt(0)
	v_mul_f64 v[114:115], v[142:143], v[116:117]
	v_fma_f64 v[114:115], v[140:141], v[138:139], -v[114:115]
	v_mul_f64 v[140:141], v[140:141], v[116:117]
	v_add_f64 v[110:111], v[110:111], -v[114:115]
	v_fma_f64 v[140:141], v[142:143], v[138:139], v[140:141]
	v_add_f64 v[112:113], v[112:113], -v[140:141]
	ds_read2_b64 v[140:143], v160 offset0:14 offset1:15
	s_waitcnt lgkmcnt(0)
	v_mul_f64 v[114:115], v[142:143], v[116:117]
	v_fma_f64 v[114:115], v[140:141], v[138:139], -v[114:115]
	v_mul_f64 v[140:141], v[140:141], v[116:117]
	v_add_f64 v[106:107], v[106:107], -v[114:115]
	v_fma_f64 v[140:141], v[142:143], v[138:139], v[140:141]
	v_add_f64 v[108:109], v[108:109], -v[140:141]
	;; [unrolled: 8-line block ×27, first 2 shown]
	ds_read2_b64 v[140:143], v160 offset0:66 offset1:67
	s_waitcnt lgkmcnt(0)
	v_mul_f64 v[114:115], v[142:143], v[116:117]
	v_fma_f64 v[114:115], v[140:141], v[138:139], -v[114:115]
	v_mul_f64 v[140:141], v[140:141], v[116:117]
	v_add_f64 v[2:3], v[2:3], -v[114:115]
	v_fma_f64 v[140:141], v[142:143], v[138:139], v[140:141]
	v_mov_b32_e32 v114, v138
	v_mov_b32_e32 v115, v139
	v_add_f64 v[4:5], v[4:5], -v[140:141]
.LBB67_55:
	s_or_b32 exec_lo, exec_lo, s1
	s_mov_b32 s2, exec_lo
	s_waitcnt_vscnt null, 0x0
	s_barrier
	buffer_gl0_inv
	v_cmpx_eq_u32_e32 6, v0
	s_cbranch_execz .LBB67_62
; %bb.56:
	ds_write2_b64 v1, v[110:111], v[112:113] offset1:1
	ds_write2_b64 v160, v[106:107], v[108:109] offset0:14 offset1:15
	ds_write2_b64 v160, v[102:103], v[104:105] offset0:16 offset1:17
	;; [unrolled: 1-line block ×27, first 2 shown]
	ds_read2_b64 v[138:141], v1 offset1:1
	s_waitcnt lgkmcnt(0)
	v_cmp_neq_f64_e32 vcc_lo, 0, v[138:139]
	v_cmp_neq_f64_e64 s1, 0, v[140:141]
	s_or_b32 s1, vcc_lo, s1
	s_and_b32 exec_lo, exec_lo, s1
	s_cbranch_execz .LBB67_62
; %bb.57:
	v_cmp_ngt_f64_e64 s1, |v[138:139]|, |v[140:141]|
                                        ; implicit-def: $vgpr142_vgpr143
	s_and_saveexec_b32 s3, s1
	s_xor_b32 s1, exec_lo, s3
                                        ; implicit-def: $vgpr144_vgpr145
	s_cbranch_execz .LBB67_59
; %bb.58:
	v_div_scale_f64 v[142:143], null, v[140:141], v[140:141], v[138:139]
	v_div_scale_f64 v[148:149], vcc_lo, v[138:139], v[140:141], v[138:139]
	v_rcp_f64_e32 v[144:145], v[142:143]
	v_fma_f64 v[146:147], -v[142:143], v[144:145], 1.0
	v_fma_f64 v[144:145], v[144:145], v[146:147], v[144:145]
	v_fma_f64 v[146:147], -v[142:143], v[144:145], 1.0
	v_fma_f64 v[144:145], v[144:145], v[146:147], v[144:145]
	v_mul_f64 v[146:147], v[148:149], v[144:145]
	v_fma_f64 v[142:143], -v[142:143], v[146:147], v[148:149]
	v_div_fmas_f64 v[142:143], v[142:143], v[144:145], v[146:147]
	v_div_fixup_f64 v[142:143], v[142:143], v[140:141], v[138:139]
	v_fma_f64 v[138:139], v[138:139], v[142:143], v[140:141]
	v_div_scale_f64 v[140:141], null, v[138:139], v[138:139], 1.0
	v_rcp_f64_e32 v[144:145], v[140:141]
	v_fma_f64 v[146:147], -v[140:141], v[144:145], 1.0
	v_fma_f64 v[144:145], v[144:145], v[146:147], v[144:145]
	v_fma_f64 v[146:147], -v[140:141], v[144:145], 1.0
	v_fma_f64 v[144:145], v[144:145], v[146:147], v[144:145]
	v_div_scale_f64 v[146:147], vcc_lo, 1.0, v[138:139], 1.0
	v_mul_f64 v[148:149], v[146:147], v[144:145]
	v_fma_f64 v[140:141], -v[140:141], v[148:149], v[146:147]
	v_div_fmas_f64 v[140:141], v[140:141], v[144:145], v[148:149]
	v_div_fixup_f64 v[144:145], v[140:141], v[138:139], 1.0
                                        ; implicit-def: $vgpr138_vgpr139
	v_mul_f64 v[142:143], v[142:143], v[144:145]
	v_xor_b32_e32 v145, 0x80000000, v145
.LBB67_59:
	s_andn2_saveexec_b32 s1, s1
	s_cbranch_execz .LBB67_61
; %bb.60:
	v_div_scale_f64 v[142:143], null, v[138:139], v[138:139], v[140:141]
	v_div_scale_f64 v[148:149], vcc_lo, v[140:141], v[138:139], v[140:141]
	v_rcp_f64_e32 v[144:145], v[142:143]
	v_fma_f64 v[146:147], -v[142:143], v[144:145], 1.0
	v_fma_f64 v[144:145], v[144:145], v[146:147], v[144:145]
	v_fma_f64 v[146:147], -v[142:143], v[144:145], 1.0
	v_fma_f64 v[144:145], v[144:145], v[146:147], v[144:145]
	v_mul_f64 v[146:147], v[148:149], v[144:145]
	v_fma_f64 v[142:143], -v[142:143], v[146:147], v[148:149]
	v_div_fmas_f64 v[142:143], v[142:143], v[144:145], v[146:147]
	v_div_fixup_f64 v[144:145], v[142:143], v[138:139], v[140:141]
	v_fma_f64 v[138:139], v[140:141], v[144:145], v[138:139]
	v_div_scale_f64 v[140:141], null, v[138:139], v[138:139], 1.0
	v_rcp_f64_e32 v[142:143], v[140:141]
	v_fma_f64 v[146:147], -v[140:141], v[142:143], 1.0
	v_fma_f64 v[142:143], v[142:143], v[146:147], v[142:143]
	v_fma_f64 v[146:147], -v[140:141], v[142:143], 1.0
	v_fma_f64 v[142:143], v[142:143], v[146:147], v[142:143]
	v_div_scale_f64 v[146:147], vcc_lo, 1.0, v[138:139], 1.0
	v_mul_f64 v[148:149], v[146:147], v[142:143]
	v_fma_f64 v[140:141], -v[140:141], v[148:149], v[146:147]
	v_div_fmas_f64 v[140:141], v[140:141], v[142:143], v[148:149]
	v_div_fixup_f64 v[142:143], v[140:141], v[138:139], 1.0
	v_mul_f64 v[144:145], v[144:145], -v[142:143]
.LBB67_61:
	s_or_b32 exec_lo, exec_lo, s1
	ds_write2_b64 v1, v[142:143], v[144:145] offset1:1
.LBB67_62:
	s_or_b32 exec_lo, exec_lo, s2
	s_waitcnt lgkmcnt(0)
	s_barrier
	buffer_gl0_inv
	ds_read2_b64 v[138:141], v1 offset1:1
	s_mov_b32 s1, exec_lo
	s_waitcnt lgkmcnt(0)
	buffer_store_dword v138, off, s[16:19], 0 offset:96 ; 4-byte Folded Spill
	buffer_store_dword v139, off, s[16:19], 0 offset:100 ; 4-byte Folded Spill
	;; [unrolled: 1-line block ×4, first 2 shown]
	v_cmpx_lt_u32_e32 6, v0
	s_cbranch_execz .LBB67_64
; %bb.63:
	s_clause 0x3
	buffer_load_dword v140, off, s[16:19], 0 offset:96
	buffer_load_dword v141, off, s[16:19], 0 offset:100
	buffer_load_dword v142, off, s[16:19], 0 offset:104
	buffer_load_dword v143, off, s[16:19], 0 offset:108
	s_waitcnt vmcnt(0)
	v_mul_f64 v[138:139], v[142:143], v[112:113]
	v_mul_f64 v[112:113], v[140:141], v[112:113]
	v_fma_f64 v[138:139], v[140:141], v[110:111], -v[138:139]
	v_fma_f64 v[112:113], v[142:143], v[110:111], v[112:113]
	ds_read2_b64 v[140:143], v160 offset0:14 offset1:15
	s_waitcnt lgkmcnt(0)
	v_mul_f64 v[110:111], v[142:143], v[112:113]
	v_fma_f64 v[110:111], v[140:141], v[138:139], -v[110:111]
	v_mul_f64 v[140:141], v[140:141], v[112:113]
	v_add_f64 v[106:107], v[106:107], -v[110:111]
	v_fma_f64 v[140:141], v[142:143], v[138:139], v[140:141]
	v_add_f64 v[108:109], v[108:109], -v[140:141]
	ds_read2_b64 v[140:143], v160 offset0:16 offset1:17
	s_waitcnt lgkmcnt(0)
	v_mul_f64 v[110:111], v[142:143], v[112:113]
	v_fma_f64 v[110:111], v[140:141], v[138:139], -v[110:111]
	v_mul_f64 v[140:141], v[140:141], v[112:113]
	v_add_f64 v[102:103], v[102:103], -v[110:111]
	v_fma_f64 v[140:141], v[142:143], v[138:139], v[140:141]
	v_add_f64 v[104:105], v[104:105], -v[140:141]
	;; [unrolled: 8-line block ×26, first 2 shown]
	ds_read2_b64 v[140:143], v160 offset0:66 offset1:67
	s_waitcnt lgkmcnt(0)
	v_mul_f64 v[110:111], v[142:143], v[112:113]
	v_fma_f64 v[110:111], v[140:141], v[138:139], -v[110:111]
	v_mul_f64 v[140:141], v[140:141], v[112:113]
	v_add_f64 v[2:3], v[2:3], -v[110:111]
	v_fma_f64 v[140:141], v[142:143], v[138:139], v[140:141]
	v_mov_b32_e32 v110, v138
	v_mov_b32_e32 v111, v139
	v_add_f64 v[4:5], v[4:5], -v[140:141]
.LBB67_64:
	s_or_b32 exec_lo, exec_lo, s1
	s_mov_b32 s2, exec_lo
	s_waitcnt_vscnt null, 0x0
	s_barrier
	buffer_gl0_inv
	v_cmpx_eq_u32_e32 7, v0
	s_cbranch_execz .LBB67_71
; %bb.65:
	ds_write2_b64 v1, v[106:107], v[108:109] offset1:1
	ds_write2_b64 v160, v[102:103], v[104:105] offset0:16 offset1:17
	ds_write2_b64 v160, v[98:99], v[100:101] offset0:18 offset1:19
	;; [unrolled: 1-line block ×26, first 2 shown]
	ds_read2_b64 v[138:141], v1 offset1:1
	s_waitcnt lgkmcnt(0)
	v_cmp_neq_f64_e32 vcc_lo, 0, v[138:139]
	v_cmp_neq_f64_e64 s1, 0, v[140:141]
	s_or_b32 s1, vcc_lo, s1
	s_and_b32 exec_lo, exec_lo, s1
	s_cbranch_execz .LBB67_71
; %bb.66:
	v_cmp_ngt_f64_e64 s1, |v[138:139]|, |v[140:141]|
                                        ; implicit-def: $vgpr142_vgpr143
	s_and_saveexec_b32 s3, s1
	s_xor_b32 s1, exec_lo, s3
                                        ; implicit-def: $vgpr144_vgpr145
	s_cbranch_execz .LBB67_68
; %bb.67:
	v_div_scale_f64 v[142:143], null, v[140:141], v[140:141], v[138:139]
	v_div_scale_f64 v[148:149], vcc_lo, v[138:139], v[140:141], v[138:139]
	v_rcp_f64_e32 v[144:145], v[142:143]
	v_fma_f64 v[146:147], -v[142:143], v[144:145], 1.0
	v_fma_f64 v[144:145], v[144:145], v[146:147], v[144:145]
	v_fma_f64 v[146:147], -v[142:143], v[144:145], 1.0
	v_fma_f64 v[144:145], v[144:145], v[146:147], v[144:145]
	v_mul_f64 v[146:147], v[148:149], v[144:145]
	v_fma_f64 v[142:143], -v[142:143], v[146:147], v[148:149]
	v_div_fmas_f64 v[142:143], v[142:143], v[144:145], v[146:147]
	v_div_fixup_f64 v[142:143], v[142:143], v[140:141], v[138:139]
	v_fma_f64 v[138:139], v[138:139], v[142:143], v[140:141]
	v_div_scale_f64 v[140:141], null, v[138:139], v[138:139], 1.0
	v_rcp_f64_e32 v[144:145], v[140:141]
	v_fma_f64 v[146:147], -v[140:141], v[144:145], 1.0
	v_fma_f64 v[144:145], v[144:145], v[146:147], v[144:145]
	v_fma_f64 v[146:147], -v[140:141], v[144:145], 1.0
	v_fma_f64 v[144:145], v[144:145], v[146:147], v[144:145]
	v_div_scale_f64 v[146:147], vcc_lo, 1.0, v[138:139], 1.0
	v_mul_f64 v[148:149], v[146:147], v[144:145]
	v_fma_f64 v[140:141], -v[140:141], v[148:149], v[146:147]
	v_div_fmas_f64 v[140:141], v[140:141], v[144:145], v[148:149]
	v_div_fixup_f64 v[144:145], v[140:141], v[138:139], 1.0
                                        ; implicit-def: $vgpr138_vgpr139
	v_mul_f64 v[142:143], v[142:143], v[144:145]
	v_xor_b32_e32 v145, 0x80000000, v145
.LBB67_68:
	s_andn2_saveexec_b32 s1, s1
	s_cbranch_execz .LBB67_70
; %bb.69:
	v_div_scale_f64 v[142:143], null, v[138:139], v[138:139], v[140:141]
	v_div_scale_f64 v[148:149], vcc_lo, v[140:141], v[138:139], v[140:141]
	v_rcp_f64_e32 v[144:145], v[142:143]
	v_fma_f64 v[146:147], -v[142:143], v[144:145], 1.0
	v_fma_f64 v[144:145], v[144:145], v[146:147], v[144:145]
	v_fma_f64 v[146:147], -v[142:143], v[144:145], 1.0
	v_fma_f64 v[144:145], v[144:145], v[146:147], v[144:145]
	v_mul_f64 v[146:147], v[148:149], v[144:145]
	v_fma_f64 v[142:143], -v[142:143], v[146:147], v[148:149]
	v_div_fmas_f64 v[142:143], v[142:143], v[144:145], v[146:147]
	v_div_fixup_f64 v[144:145], v[142:143], v[138:139], v[140:141]
	v_fma_f64 v[138:139], v[140:141], v[144:145], v[138:139]
	v_div_scale_f64 v[140:141], null, v[138:139], v[138:139], 1.0
	v_rcp_f64_e32 v[142:143], v[140:141]
	v_fma_f64 v[146:147], -v[140:141], v[142:143], 1.0
	v_fma_f64 v[142:143], v[142:143], v[146:147], v[142:143]
	v_fma_f64 v[146:147], -v[140:141], v[142:143], 1.0
	v_fma_f64 v[142:143], v[142:143], v[146:147], v[142:143]
	v_div_scale_f64 v[146:147], vcc_lo, 1.0, v[138:139], 1.0
	v_mul_f64 v[148:149], v[146:147], v[142:143]
	v_fma_f64 v[140:141], -v[140:141], v[148:149], v[146:147]
	v_div_fmas_f64 v[140:141], v[140:141], v[142:143], v[148:149]
	v_div_fixup_f64 v[142:143], v[140:141], v[138:139], 1.0
	v_mul_f64 v[144:145], v[144:145], -v[142:143]
.LBB67_70:
	s_or_b32 exec_lo, exec_lo, s1
	ds_write2_b64 v1, v[142:143], v[144:145] offset1:1
.LBB67_71:
	s_or_b32 exec_lo, exec_lo, s2
	s_waitcnt lgkmcnt(0)
	s_barrier
	buffer_gl0_inv
	ds_read2_b64 v[138:141], v1 offset1:1
	s_mov_b32 s1, exec_lo
	s_waitcnt lgkmcnt(0)
	buffer_store_dword v138, off, s[16:19], 0 offset:112 ; 4-byte Folded Spill
	buffer_store_dword v139, off, s[16:19], 0 offset:116 ; 4-byte Folded Spill
	;; [unrolled: 1-line block ×4, first 2 shown]
	v_cmpx_lt_u32_e32 7, v0
	s_cbranch_execz .LBB67_73
; %bb.72:
	s_clause 0x3
	buffer_load_dword v140, off, s[16:19], 0 offset:112
	buffer_load_dword v141, off, s[16:19], 0 offset:116
	;; [unrolled: 1-line block ×4, first 2 shown]
	s_waitcnt vmcnt(0)
	v_mul_f64 v[138:139], v[142:143], v[108:109]
	v_mul_f64 v[108:109], v[140:141], v[108:109]
	v_fma_f64 v[138:139], v[140:141], v[106:107], -v[138:139]
	v_fma_f64 v[108:109], v[142:143], v[106:107], v[108:109]
	ds_read2_b64 v[140:143], v160 offset0:16 offset1:17
	s_waitcnt lgkmcnt(0)
	v_mul_f64 v[106:107], v[142:143], v[108:109]
	v_fma_f64 v[106:107], v[140:141], v[138:139], -v[106:107]
	v_mul_f64 v[140:141], v[140:141], v[108:109]
	v_add_f64 v[102:103], v[102:103], -v[106:107]
	v_fma_f64 v[140:141], v[142:143], v[138:139], v[140:141]
	v_add_f64 v[104:105], v[104:105], -v[140:141]
	ds_read2_b64 v[140:143], v160 offset0:18 offset1:19
	s_waitcnt lgkmcnt(0)
	v_mul_f64 v[106:107], v[142:143], v[108:109]
	v_fma_f64 v[106:107], v[140:141], v[138:139], -v[106:107]
	v_mul_f64 v[140:141], v[140:141], v[108:109]
	v_add_f64 v[98:99], v[98:99], -v[106:107]
	v_fma_f64 v[140:141], v[142:143], v[138:139], v[140:141]
	v_add_f64 v[100:101], v[100:101], -v[140:141]
	;; [unrolled: 8-line block ×25, first 2 shown]
	ds_read2_b64 v[140:143], v160 offset0:66 offset1:67
	s_waitcnt lgkmcnt(0)
	v_mul_f64 v[106:107], v[142:143], v[108:109]
	v_fma_f64 v[106:107], v[140:141], v[138:139], -v[106:107]
	v_mul_f64 v[140:141], v[140:141], v[108:109]
	v_add_f64 v[2:3], v[2:3], -v[106:107]
	v_fma_f64 v[140:141], v[142:143], v[138:139], v[140:141]
	v_mov_b32_e32 v106, v138
	v_mov_b32_e32 v107, v139
	v_add_f64 v[4:5], v[4:5], -v[140:141]
.LBB67_73:
	s_or_b32 exec_lo, exec_lo, s1
	s_mov_b32 s2, exec_lo
	s_waitcnt_vscnt null, 0x0
	s_barrier
	buffer_gl0_inv
	v_cmpx_eq_u32_e32 8, v0
	s_cbranch_execz .LBB67_80
; %bb.74:
	ds_write2_b64 v1, v[102:103], v[104:105] offset1:1
	ds_write2_b64 v160, v[98:99], v[100:101] offset0:18 offset1:19
	ds_write2_b64 v160, v[94:95], v[96:97] offset0:20 offset1:21
	;; [unrolled: 1-line block ×25, first 2 shown]
	ds_read2_b64 v[138:141], v1 offset1:1
	s_waitcnt lgkmcnt(0)
	v_cmp_neq_f64_e32 vcc_lo, 0, v[138:139]
	v_cmp_neq_f64_e64 s1, 0, v[140:141]
	s_or_b32 s1, vcc_lo, s1
	s_and_b32 exec_lo, exec_lo, s1
	s_cbranch_execz .LBB67_80
; %bb.75:
	v_cmp_ngt_f64_e64 s1, |v[138:139]|, |v[140:141]|
                                        ; implicit-def: $vgpr142_vgpr143
	s_and_saveexec_b32 s3, s1
	s_xor_b32 s1, exec_lo, s3
                                        ; implicit-def: $vgpr144_vgpr145
	s_cbranch_execz .LBB67_77
; %bb.76:
	v_div_scale_f64 v[142:143], null, v[140:141], v[140:141], v[138:139]
	v_div_scale_f64 v[148:149], vcc_lo, v[138:139], v[140:141], v[138:139]
	v_rcp_f64_e32 v[144:145], v[142:143]
	v_fma_f64 v[146:147], -v[142:143], v[144:145], 1.0
	v_fma_f64 v[144:145], v[144:145], v[146:147], v[144:145]
	v_fma_f64 v[146:147], -v[142:143], v[144:145], 1.0
	v_fma_f64 v[144:145], v[144:145], v[146:147], v[144:145]
	v_mul_f64 v[146:147], v[148:149], v[144:145]
	v_fma_f64 v[142:143], -v[142:143], v[146:147], v[148:149]
	v_div_fmas_f64 v[142:143], v[142:143], v[144:145], v[146:147]
	v_div_fixup_f64 v[142:143], v[142:143], v[140:141], v[138:139]
	v_fma_f64 v[138:139], v[138:139], v[142:143], v[140:141]
	v_div_scale_f64 v[140:141], null, v[138:139], v[138:139], 1.0
	v_rcp_f64_e32 v[144:145], v[140:141]
	v_fma_f64 v[146:147], -v[140:141], v[144:145], 1.0
	v_fma_f64 v[144:145], v[144:145], v[146:147], v[144:145]
	v_fma_f64 v[146:147], -v[140:141], v[144:145], 1.0
	v_fma_f64 v[144:145], v[144:145], v[146:147], v[144:145]
	v_div_scale_f64 v[146:147], vcc_lo, 1.0, v[138:139], 1.0
	v_mul_f64 v[148:149], v[146:147], v[144:145]
	v_fma_f64 v[140:141], -v[140:141], v[148:149], v[146:147]
	v_div_fmas_f64 v[140:141], v[140:141], v[144:145], v[148:149]
	v_div_fixup_f64 v[144:145], v[140:141], v[138:139], 1.0
                                        ; implicit-def: $vgpr138_vgpr139
	v_mul_f64 v[142:143], v[142:143], v[144:145]
	v_xor_b32_e32 v145, 0x80000000, v145
.LBB67_77:
	s_andn2_saveexec_b32 s1, s1
	s_cbranch_execz .LBB67_79
; %bb.78:
	v_div_scale_f64 v[142:143], null, v[138:139], v[138:139], v[140:141]
	v_div_scale_f64 v[148:149], vcc_lo, v[140:141], v[138:139], v[140:141]
	v_rcp_f64_e32 v[144:145], v[142:143]
	v_fma_f64 v[146:147], -v[142:143], v[144:145], 1.0
	v_fma_f64 v[144:145], v[144:145], v[146:147], v[144:145]
	v_fma_f64 v[146:147], -v[142:143], v[144:145], 1.0
	v_fma_f64 v[144:145], v[144:145], v[146:147], v[144:145]
	v_mul_f64 v[146:147], v[148:149], v[144:145]
	v_fma_f64 v[142:143], -v[142:143], v[146:147], v[148:149]
	v_div_fmas_f64 v[142:143], v[142:143], v[144:145], v[146:147]
	v_div_fixup_f64 v[144:145], v[142:143], v[138:139], v[140:141]
	v_fma_f64 v[138:139], v[140:141], v[144:145], v[138:139]
	v_div_scale_f64 v[140:141], null, v[138:139], v[138:139], 1.0
	v_rcp_f64_e32 v[142:143], v[140:141]
	v_fma_f64 v[146:147], -v[140:141], v[142:143], 1.0
	v_fma_f64 v[142:143], v[142:143], v[146:147], v[142:143]
	v_fma_f64 v[146:147], -v[140:141], v[142:143], 1.0
	v_fma_f64 v[142:143], v[142:143], v[146:147], v[142:143]
	v_div_scale_f64 v[146:147], vcc_lo, 1.0, v[138:139], 1.0
	v_mul_f64 v[148:149], v[146:147], v[142:143]
	v_fma_f64 v[140:141], -v[140:141], v[148:149], v[146:147]
	v_div_fmas_f64 v[140:141], v[140:141], v[142:143], v[148:149]
	v_div_fixup_f64 v[142:143], v[140:141], v[138:139], 1.0
	v_mul_f64 v[144:145], v[144:145], -v[142:143]
.LBB67_79:
	s_or_b32 exec_lo, exec_lo, s1
	ds_write2_b64 v1, v[142:143], v[144:145] offset1:1
.LBB67_80:
	s_or_b32 exec_lo, exec_lo, s2
	s_waitcnt lgkmcnt(0)
	s_barrier
	buffer_gl0_inv
	ds_read2_b64 v[138:141], v1 offset1:1
	s_mov_b32 s1, exec_lo
	s_waitcnt lgkmcnt(0)
	buffer_store_dword v138, off, s[16:19], 0 offset:136 ; 4-byte Folded Spill
	buffer_store_dword v139, off, s[16:19], 0 offset:140 ; 4-byte Folded Spill
	;; [unrolled: 1-line block ×4, first 2 shown]
	v_cmpx_lt_u32_e32 8, v0
	s_cbranch_execz .LBB67_82
; %bb.81:
	s_clause 0x3
	buffer_load_dword v140, off, s[16:19], 0 offset:136
	buffer_load_dword v141, off, s[16:19], 0 offset:140
	;; [unrolled: 1-line block ×4, first 2 shown]
	s_waitcnt vmcnt(0)
	v_mul_f64 v[138:139], v[142:143], v[104:105]
	v_mul_f64 v[104:105], v[140:141], v[104:105]
	v_fma_f64 v[138:139], v[140:141], v[102:103], -v[138:139]
	v_fma_f64 v[104:105], v[142:143], v[102:103], v[104:105]
	ds_read2_b64 v[140:143], v160 offset0:18 offset1:19
	s_waitcnt lgkmcnt(0)
	v_mul_f64 v[102:103], v[142:143], v[104:105]
	v_fma_f64 v[102:103], v[140:141], v[138:139], -v[102:103]
	v_mul_f64 v[140:141], v[140:141], v[104:105]
	v_add_f64 v[98:99], v[98:99], -v[102:103]
	v_fma_f64 v[140:141], v[142:143], v[138:139], v[140:141]
	v_add_f64 v[100:101], v[100:101], -v[140:141]
	ds_read2_b64 v[140:143], v160 offset0:20 offset1:21
	s_waitcnt lgkmcnt(0)
	v_mul_f64 v[102:103], v[142:143], v[104:105]
	v_fma_f64 v[102:103], v[140:141], v[138:139], -v[102:103]
	v_mul_f64 v[140:141], v[140:141], v[104:105]
	v_add_f64 v[94:95], v[94:95], -v[102:103]
	v_fma_f64 v[140:141], v[142:143], v[138:139], v[140:141]
	v_add_f64 v[96:97], v[96:97], -v[140:141]
	;; [unrolled: 8-line block ×24, first 2 shown]
	ds_read2_b64 v[140:143], v160 offset0:66 offset1:67
	s_waitcnt lgkmcnt(0)
	v_mul_f64 v[102:103], v[142:143], v[104:105]
	v_fma_f64 v[102:103], v[140:141], v[138:139], -v[102:103]
	v_mul_f64 v[140:141], v[140:141], v[104:105]
	v_add_f64 v[2:3], v[2:3], -v[102:103]
	v_fma_f64 v[140:141], v[142:143], v[138:139], v[140:141]
	v_mov_b32_e32 v102, v138
	v_mov_b32_e32 v103, v139
	v_add_f64 v[4:5], v[4:5], -v[140:141]
.LBB67_82:
	s_or_b32 exec_lo, exec_lo, s1
	s_mov_b32 s2, exec_lo
	s_waitcnt_vscnt null, 0x0
	s_barrier
	buffer_gl0_inv
	v_cmpx_eq_u32_e32 9, v0
	s_cbranch_execz .LBB67_89
; %bb.83:
	ds_write2_b64 v1, v[98:99], v[100:101] offset1:1
	ds_write2_b64 v160, v[94:95], v[96:97] offset0:20 offset1:21
	ds_write2_b64 v160, v[90:91], v[92:93] offset0:22 offset1:23
	;; [unrolled: 1-line block ×24, first 2 shown]
	ds_read2_b64 v[138:141], v1 offset1:1
	s_waitcnt lgkmcnt(0)
	v_cmp_neq_f64_e32 vcc_lo, 0, v[138:139]
	v_cmp_neq_f64_e64 s1, 0, v[140:141]
	s_or_b32 s1, vcc_lo, s1
	s_and_b32 exec_lo, exec_lo, s1
	s_cbranch_execz .LBB67_89
; %bb.84:
	v_cmp_ngt_f64_e64 s1, |v[138:139]|, |v[140:141]|
                                        ; implicit-def: $vgpr142_vgpr143
	s_and_saveexec_b32 s3, s1
	s_xor_b32 s1, exec_lo, s3
                                        ; implicit-def: $vgpr144_vgpr145
	s_cbranch_execz .LBB67_86
; %bb.85:
	v_div_scale_f64 v[142:143], null, v[140:141], v[140:141], v[138:139]
	v_div_scale_f64 v[148:149], vcc_lo, v[138:139], v[140:141], v[138:139]
	v_rcp_f64_e32 v[144:145], v[142:143]
	v_fma_f64 v[146:147], -v[142:143], v[144:145], 1.0
	v_fma_f64 v[144:145], v[144:145], v[146:147], v[144:145]
	v_fma_f64 v[146:147], -v[142:143], v[144:145], 1.0
	v_fma_f64 v[144:145], v[144:145], v[146:147], v[144:145]
	v_mul_f64 v[146:147], v[148:149], v[144:145]
	v_fma_f64 v[142:143], -v[142:143], v[146:147], v[148:149]
	v_div_fmas_f64 v[142:143], v[142:143], v[144:145], v[146:147]
	v_div_fixup_f64 v[142:143], v[142:143], v[140:141], v[138:139]
	v_fma_f64 v[138:139], v[138:139], v[142:143], v[140:141]
	v_div_scale_f64 v[140:141], null, v[138:139], v[138:139], 1.0
	v_rcp_f64_e32 v[144:145], v[140:141]
	v_fma_f64 v[146:147], -v[140:141], v[144:145], 1.0
	v_fma_f64 v[144:145], v[144:145], v[146:147], v[144:145]
	v_fma_f64 v[146:147], -v[140:141], v[144:145], 1.0
	v_fma_f64 v[144:145], v[144:145], v[146:147], v[144:145]
	v_div_scale_f64 v[146:147], vcc_lo, 1.0, v[138:139], 1.0
	v_mul_f64 v[148:149], v[146:147], v[144:145]
	v_fma_f64 v[140:141], -v[140:141], v[148:149], v[146:147]
	v_div_fmas_f64 v[140:141], v[140:141], v[144:145], v[148:149]
	v_div_fixup_f64 v[144:145], v[140:141], v[138:139], 1.0
                                        ; implicit-def: $vgpr138_vgpr139
	v_mul_f64 v[142:143], v[142:143], v[144:145]
	v_xor_b32_e32 v145, 0x80000000, v145
.LBB67_86:
	s_andn2_saveexec_b32 s1, s1
	s_cbranch_execz .LBB67_88
; %bb.87:
	v_div_scale_f64 v[142:143], null, v[138:139], v[138:139], v[140:141]
	v_div_scale_f64 v[148:149], vcc_lo, v[140:141], v[138:139], v[140:141]
	v_rcp_f64_e32 v[144:145], v[142:143]
	v_fma_f64 v[146:147], -v[142:143], v[144:145], 1.0
	v_fma_f64 v[144:145], v[144:145], v[146:147], v[144:145]
	v_fma_f64 v[146:147], -v[142:143], v[144:145], 1.0
	v_fma_f64 v[144:145], v[144:145], v[146:147], v[144:145]
	v_mul_f64 v[146:147], v[148:149], v[144:145]
	v_fma_f64 v[142:143], -v[142:143], v[146:147], v[148:149]
	v_div_fmas_f64 v[142:143], v[142:143], v[144:145], v[146:147]
	v_div_fixup_f64 v[144:145], v[142:143], v[138:139], v[140:141]
	v_fma_f64 v[138:139], v[140:141], v[144:145], v[138:139]
	v_div_scale_f64 v[140:141], null, v[138:139], v[138:139], 1.0
	v_rcp_f64_e32 v[142:143], v[140:141]
	v_fma_f64 v[146:147], -v[140:141], v[142:143], 1.0
	v_fma_f64 v[142:143], v[142:143], v[146:147], v[142:143]
	v_fma_f64 v[146:147], -v[140:141], v[142:143], 1.0
	v_fma_f64 v[142:143], v[142:143], v[146:147], v[142:143]
	v_div_scale_f64 v[146:147], vcc_lo, 1.0, v[138:139], 1.0
	v_mul_f64 v[148:149], v[146:147], v[142:143]
	v_fma_f64 v[140:141], -v[140:141], v[148:149], v[146:147]
	v_div_fmas_f64 v[140:141], v[140:141], v[142:143], v[148:149]
	v_div_fixup_f64 v[142:143], v[140:141], v[138:139], 1.0
	v_mul_f64 v[144:145], v[144:145], -v[142:143]
.LBB67_88:
	s_or_b32 exec_lo, exec_lo, s1
	ds_write2_b64 v1, v[142:143], v[144:145] offset1:1
.LBB67_89:
	s_or_b32 exec_lo, exec_lo, s2
	s_waitcnt lgkmcnt(0)
	s_barrier
	buffer_gl0_inv
	ds_read2_b64 v[138:141], v1 offset1:1
	s_mov_b32 s1, exec_lo
	s_waitcnt lgkmcnt(0)
	buffer_store_dword v138, off, s[16:19], 0 offset:152 ; 4-byte Folded Spill
	buffer_store_dword v139, off, s[16:19], 0 offset:156 ; 4-byte Folded Spill
	;; [unrolled: 1-line block ×4, first 2 shown]
	v_cmpx_lt_u32_e32 9, v0
	s_cbranch_execz .LBB67_91
; %bb.90:
	s_clause 0x3
	buffer_load_dword v140, off, s[16:19], 0 offset:152
	buffer_load_dword v141, off, s[16:19], 0 offset:156
	;; [unrolled: 1-line block ×4, first 2 shown]
	s_waitcnt vmcnt(0)
	v_mul_f64 v[138:139], v[142:143], v[100:101]
	v_mul_f64 v[100:101], v[140:141], v[100:101]
	v_fma_f64 v[138:139], v[140:141], v[98:99], -v[138:139]
	v_fma_f64 v[100:101], v[142:143], v[98:99], v[100:101]
	ds_read2_b64 v[140:143], v160 offset0:20 offset1:21
	s_waitcnt lgkmcnt(0)
	v_mul_f64 v[98:99], v[142:143], v[100:101]
	v_fma_f64 v[98:99], v[140:141], v[138:139], -v[98:99]
	v_mul_f64 v[140:141], v[140:141], v[100:101]
	v_add_f64 v[94:95], v[94:95], -v[98:99]
	v_fma_f64 v[140:141], v[142:143], v[138:139], v[140:141]
	v_add_f64 v[96:97], v[96:97], -v[140:141]
	ds_read2_b64 v[140:143], v160 offset0:22 offset1:23
	s_waitcnt lgkmcnt(0)
	v_mul_f64 v[98:99], v[142:143], v[100:101]
	v_fma_f64 v[98:99], v[140:141], v[138:139], -v[98:99]
	v_mul_f64 v[140:141], v[140:141], v[100:101]
	v_add_f64 v[90:91], v[90:91], -v[98:99]
	v_fma_f64 v[140:141], v[142:143], v[138:139], v[140:141]
	v_add_f64 v[92:93], v[92:93], -v[140:141]
	;; [unrolled: 8-line block ×23, first 2 shown]
	ds_read2_b64 v[140:143], v160 offset0:66 offset1:67
	s_waitcnt lgkmcnt(0)
	v_mul_f64 v[98:99], v[142:143], v[100:101]
	v_fma_f64 v[98:99], v[140:141], v[138:139], -v[98:99]
	v_mul_f64 v[140:141], v[140:141], v[100:101]
	v_add_f64 v[2:3], v[2:3], -v[98:99]
	v_fma_f64 v[140:141], v[142:143], v[138:139], v[140:141]
	v_mov_b32_e32 v98, v138
	v_mov_b32_e32 v99, v139
	v_add_f64 v[4:5], v[4:5], -v[140:141]
.LBB67_91:
	s_or_b32 exec_lo, exec_lo, s1
	s_mov_b32 s2, exec_lo
	s_waitcnt_vscnt null, 0x0
	s_barrier
	buffer_gl0_inv
	v_cmpx_eq_u32_e32 10, v0
	s_cbranch_execz .LBB67_98
; %bb.92:
	ds_write2_b64 v1, v[94:95], v[96:97] offset1:1
	ds_write2_b64 v160, v[90:91], v[92:93] offset0:22 offset1:23
	ds_write2_b64 v160, v[86:87], v[88:89] offset0:24 offset1:25
	;; [unrolled: 1-line block ×23, first 2 shown]
	ds_read2_b64 v[138:141], v1 offset1:1
	s_waitcnt lgkmcnt(0)
	v_cmp_neq_f64_e32 vcc_lo, 0, v[138:139]
	v_cmp_neq_f64_e64 s1, 0, v[140:141]
	s_or_b32 s1, vcc_lo, s1
	s_and_b32 exec_lo, exec_lo, s1
	s_cbranch_execz .LBB67_98
; %bb.93:
	v_cmp_ngt_f64_e64 s1, |v[138:139]|, |v[140:141]|
                                        ; implicit-def: $vgpr142_vgpr143
	s_and_saveexec_b32 s3, s1
	s_xor_b32 s1, exec_lo, s3
                                        ; implicit-def: $vgpr144_vgpr145
	s_cbranch_execz .LBB67_95
; %bb.94:
	v_div_scale_f64 v[142:143], null, v[140:141], v[140:141], v[138:139]
	v_div_scale_f64 v[148:149], vcc_lo, v[138:139], v[140:141], v[138:139]
	v_rcp_f64_e32 v[144:145], v[142:143]
	v_fma_f64 v[146:147], -v[142:143], v[144:145], 1.0
	v_fma_f64 v[144:145], v[144:145], v[146:147], v[144:145]
	v_fma_f64 v[146:147], -v[142:143], v[144:145], 1.0
	v_fma_f64 v[144:145], v[144:145], v[146:147], v[144:145]
	v_mul_f64 v[146:147], v[148:149], v[144:145]
	v_fma_f64 v[142:143], -v[142:143], v[146:147], v[148:149]
	v_div_fmas_f64 v[142:143], v[142:143], v[144:145], v[146:147]
	v_div_fixup_f64 v[142:143], v[142:143], v[140:141], v[138:139]
	v_fma_f64 v[138:139], v[138:139], v[142:143], v[140:141]
	v_div_scale_f64 v[140:141], null, v[138:139], v[138:139], 1.0
	v_rcp_f64_e32 v[144:145], v[140:141]
	v_fma_f64 v[146:147], -v[140:141], v[144:145], 1.0
	v_fma_f64 v[144:145], v[144:145], v[146:147], v[144:145]
	v_fma_f64 v[146:147], -v[140:141], v[144:145], 1.0
	v_fma_f64 v[144:145], v[144:145], v[146:147], v[144:145]
	v_div_scale_f64 v[146:147], vcc_lo, 1.0, v[138:139], 1.0
	v_mul_f64 v[148:149], v[146:147], v[144:145]
	v_fma_f64 v[140:141], -v[140:141], v[148:149], v[146:147]
	v_div_fmas_f64 v[140:141], v[140:141], v[144:145], v[148:149]
	v_div_fixup_f64 v[144:145], v[140:141], v[138:139], 1.0
                                        ; implicit-def: $vgpr138_vgpr139
	v_mul_f64 v[142:143], v[142:143], v[144:145]
	v_xor_b32_e32 v145, 0x80000000, v145
.LBB67_95:
	s_andn2_saveexec_b32 s1, s1
	s_cbranch_execz .LBB67_97
; %bb.96:
	v_div_scale_f64 v[142:143], null, v[138:139], v[138:139], v[140:141]
	v_div_scale_f64 v[148:149], vcc_lo, v[140:141], v[138:139], v[140:141]
	v_rcp_f64_e32 v[144:145], v[142:143]
	v_fma_f64 v[146:147], -v[142:143], v[144:145], 1.0
	v_fma_f64 v[144:145], v[144:145], v[146:147], v[144:145]
	v_fma_f64 v[146:147], -v[142:143], v[144:145], 1.0
	v_fma_f64 v[144:145], v[144:145], v[146:147], v[144:145]
	v_mul_f64 v[146:147], v[148:149], v[144:145]
	v_fma_f64 v[142:143], -v[142:143], v[146:147], v[148:149]
	v_div_fmas_f64 v[142:143], v[142:143], v[144:145], v[146:147]
	v_div_fixup_f64 v[144:145], v[142:143], v[138:139], v[140:141]
	v_fma_f64 v[138:139], v[140:141], v[144:145], v[138:139]
	v_div_scale_f64 v[140:141], null, v[138:139], v[138:139], 1.0
	v_rcp_f64_e32 v[142:143], v[140:141]
	v_fma_f64 v[146:147], -v[140:141], v[142:143], 1.0
	v_fma_f64 v[142:143], v[142:143], v[146:147], v[142:143]
	v_fma_f64 v[146:147], -v[140:141], v[142:143], 1.0
	v_fma_f64 v[142:143], v[142:143], v[146:147], v[142:143]
	v_div_scale_f64 v[146:147], vcc_lo, 1.0, v[138:139], 1.0
	v_mul_f64 v[148:149], v[146:147], v[142:143]
	v_fma_f64 v[140:141], -v[140:141], v[148:149], v[146:147]
	v_div_fmas_f64 v[140:141], v[140:141], v[142:143], v[148:149]
	v_div_fixup_f64 v[142:143], v[140:141], v[138:139], 1.0
	v_mul_f64 v[144:145], v[144:145], -v[142:143]
.LBB67_97:
	s_or_b32 exec_lo, exec_lo, s1
	ds_write2_b64 v1, v[142:143], v[144:145] offset1:1
.LBB67_98:
	s_or_b32 exec_lo, exec_lo, s2
	s_waitcnt lgkmcnt(0)
	s_barrier
	buffer_gl0_inv
	ds_read2_b64 v[138:141], v1 offset1:1
	s_mov_b32 s1, exec_lo
	s_waitcnt lgkmcnt(0)
	buffer_store_dword v138, off, s[16:19], 0 offset:168 ; 4-byte Folded Spill
	buffer_store_dword v139, off, s[16:19], 0 offset:172 ; 4-byte Folded Spill
	buffer_store_dword v140, off, s[16:19], 0 offset:176 ; 4-byte Folded Spill
	buffer_store_dword v141, off, s[16:19], 0 offset:180 ; 4-byte Folded Spill
	v_cmpx_lt_u32_e32 10, v0
	s_cbranch_execz .LBB67_100
; %bb.99:
	s_clause 0x3
	buffer_load_dword v140, off, s[16:19], 0 offset:168
	buffer_load_dword v141, off, s[16:19], 0 offset:172
	;; [unrolled: 1-line block ×4, first 2 shown]
	s_waitcnt vmcnt(0)
	v_mul_f64 v[138:139], v[142:143], v[96:97]
	v_mul_f64 v[96:97], v[140:141], v[96:97]
	v_fma_f64 v[138:139], v[140:141], v[94:95], -v[138:139]
	v_fma_f64 v[96:97], v[142:143], v[94:95], v[96:97]
	ds_read2_b64 v[140:143], v160 offset0:22 offset1:23
	s_waitcnt lgkmcnt(0)
	v_mul_f64 v[94:95], v[142:143], v[96:97]
	v_fma_f64 v[94:95], v[140:141], v[138:139], -v[94:95]
	v_mul_f64 v[140:141], v[140:141], v[96:97]
	v_add_f64 v[90:91], v[90:91], -v[94:95]
	v_fma_f64 v[140:141], v[142:143], v[138:139], v[140:141]
	v_add_f64 v[92:93], v[92:93], -v[140:141]
	ds_read2_b64 v[140:143], v160 offset0:24 offset1:25
	s_waitcnt lgkmcnt(0)
	v_mul_f64 v[94:95], v[142:143], v[96:97]
	v_fma_f64 v[94:95], v[140:141], v[138:139], -v[94:95]
	v_mul_f64 v[140:141], v[140:141], v[96:97]
	v_add_f64 v[86:87], v[86:87], -v[94:95]
	v_fma_f64 v[140:141], v[142:143], v[138:139], v[140:141]
	v_add_f64 v[88:89], v[88:89], -v[140:141]
	;; [unrolled: 8-line block ×22, first 2 shown]
	ds_read2_b64 v[140:143], v160 offset0:66 offset1:67
	s_waitcnt lgkmcnt(0)
	v_mul_f64 v[94:95], v[142:143], v[96:97]
	v_fma_f64 v[94:95], v[140:141], v[138:139], -v[94:95]
	v_mul_f64 v[140:141], v[140:141], v[96:97]
	v_add_f64 v[2:3], v[2:3], -v[94:95]
	v_fma_f64 v[140:141], v[142:143], v[138:139], v[140:141]
	v_mov_b32_e32 v94, v138
	v_mov_b32_e32 v95, v139
	v_add_f64 v[4:5], v[4:5], -v[140:141]
.LBB67_100:
	s_or_b32 exec_lo, exec_lo, s1
	s_mov_b32 s2, exec_lo
	s_waitcnt_vscnt null, 0x0
	s_barrier
	buffer_gl0_inv
	v_cmpx_eq_u32_e32 11, v0
	s_cbranch_execz .LBB67_107
; %bb.101:
	ds_write2_b64 v1, v[90:91], v[92:93] offset1:1
	ds_write2_b64 v160, v[86:87], v[88:89] offset0:24 offset1:25
	ds_write2_b64 v160, v[82:83], v[84:85] offset0:26 offset1:27
	;; [unrolled: 1-line block ×22, first 2 shown]
	ds_read2_b64 v[138:141], v1 offset1:1
	s_waitcnt lgkmcnt(0)
	v_cmp_neq_f64_e32 vcc_lo, 0, v[138:139]
	v_cmp_neq_f64_e64 s1, 0, v[140:141]
	s_or_b32 s1, vcc_lo, s1
	s_and_b32 exec_lo, exec_lo, s1
	s_cbranch_execz .LBB67_107
; %bb.102:
	v_cmp_ngt_f64_e64 s1, |v[138:139]|, |v[140:141]|
                                        ; implicit-def: $vgpr142_vgpr143
	s_and_saveexec_b32 s3, s1
	s_xor_b32 s1, exec_lo, s3
                                        ; implicit-def: $vgpr144_vgpr145
	s_cbranch_execz .LBB67_104
; %bb.103:
	v_div_scale_f64 v[142:143], null, v[140:141], v[140:141], v[138:139]
	v_div_scale_f64 v[148:149], vcc_lo, v[138:139], v[140:141], v[138:139]
	v_rcp_f64_e32 v[144:145], v[142:143]
	v_fma_f64 v[146:147], -v[142:143], v[144:145], 1.0
	v_fma_f64 v[144:145], v[144:145], v[146:147], v[144:145]
	v_fma_f64 v[146:147], -v[142:143], v[144:145], 1.0
	v_fma_f64 v[144:145], v[144:145], v[146:147], v[144:145]
	v_mul_f64 v[146:147], v[148:149], v[144:145]
	v_fma_f64 v[142:143], -v[142:143], v[146:147], v[148:149]
	v_div_fmas_f64 v[142:143], v[142:143], v[144:145], v[146:147]
	v_div_fixup_f64 v[142:143], v[142:143], v[140:141], v[138:139]
	v_fma_f64 v[138:139], v[138:139], v[142:143], v[140:141]
	v_div_scale_f64 v[140:141], null, v[138:139], v[138:139], 1.0
	v_rcp_f64_e32 v[144:145], v[140:141]
	v_fma_f64 v[146:147], -v[140:141], v[144:145], 1.0
	v_fma_f64 v[144:145], v[144:145], v[146:147], v[144:145]
	v_fma_f64 v[146:147], -v[140:141], v[144:145], 1.0
	v_fma_f64 v[144:145], v[144:145], v[146:147], v[144:145]
	v_div_scale_f64 v[146:147], vcc_lo, 1.0, v[138:139], 1.0
	v_mul_f64 v[148:149], v[146:147], v[144:145]
	v_fma_f64 v[140:141], -v[140:141], v[148:149], v[146:147]
	v_div_fmas_f64 v[140:141], v[140:141], v[144:145], v[148:149]
	v_div_fixup_f64 v[144:145], v[140:141], v[138:139], 1.0
                                        ; implicit-def: $vgpr138_vgpr139
	v_mul_f64 v[142:143], v[142:143], v[144:145]
	v_xor_b32_e32 v145, 0x80000000, v145
.LBB67_104:
	s_andn2_saveexec_b32 s1, s1
	s_cbranch_execz .LBB67_106
; %bb.105:
	v_div_scale_f64 v[142:143], null, v[138:139], v[138:139], v[140:141]
	v_div_scale_f64 v[148:149], vcc_lo, v[140:141], v[138:139], v[140:141]
	v_rcp_f64_e32 v[144:145], v[142:143]
	v_fma_f64 v[146:147], -v[142:143], v[144:145], 1.0
	v_fma_f64 v[144:145], v[144:145], v[146:147], v[144:145]
	v_fma_f64 v[146:147], -v[142:143], v[144:145], 1.0
	v_fma_f64 v[144:145], v[144:145], v[146:147], v[144:145]
	v_mul_f64 v[146:147], v[148:149], v[144:145]
	v_fma_f64 v[142:143], -v[142:143], v[146:147], v[148:149]
	v_div_fmas_f64 v[142:143], v[142:143], v[144:145], v[146:147]
	v_div_fixup_f64 v[144:145], v[142:143], v[138:139], v[140:141]
	v_fma_f64 v[138:139], v[140:141], v[144:145], v[138:139]
	v_div_scale_f64 v[140:141], null, v[138:139], v[138:139], 1.0
	v_rcp_f64_e32 v[142:143], v[140:141]
	v_fma_f64 v[146:147], -v[140:141], v[142:143], 1.0
	v_fma_f64 v[142:143], v[142:143], v[146:147], v[142:143]
	v_fma_f64 v[146:147], -v[140:141], v[142:143], 1.0
	v_fma_f64 v[142:143], v[142:143], v[146:147], v[142:143]
	v_div_scale_f64 v[146:147], vcc_lo, 1.0, v[138:139], 1.0
	v_mul_f64 v[148:149], v[146:147], v[142:143]
	v_fma_f64 v[140:141], -v[140:141], v[148:149], v[146:147]
	v_div_fmas_f64 v[140:141], v[140:141], v[142:143], v[148:149]
	v_div_fixup_f64 v[142:143], v[140:141], v[138:139], 1.0
	v_mul_f64 v[144:145], v[144:145], -v[142:143]
.LBB67_106:
	s_or_b32 exec_lo, exec_lo, s1
	ds_write2_b64 v1, v[142:143], v[144:145] offset1:1
.LBB67_107:
	s_or_b32 exec_lo, exec_lo, s2
	s_waitcnt lgkmcnt(0)
	s_barrier
	buffer_gl0_inv
	ds_read2_b64 v[138:141], v1 offset1:1
	s_mov_b32 s1, exec_lo
	s_waitcnt lgkmcnt(0)
	buffer_store_dword v138, off, s[16:19], 0 offset:184 ; 4-byte Folded Spill
	buffer_store_dword v139, off, s[16:19], 0 offset:188 ; 4-byte Folded Spill
	;; [unrolled: 1-line block ×4, first 2 shown]
	v_cmpx_lt_u32_e32 11, v0
	s_cbranch_execz .LBB67_109
; %bb.108:
	s_clause 0x3
	buffer_load_dword v140, off, s[16:19], 0 offset:184
	buffer_load_dword v141, off, s[16:19], 0 offset:188
	;; [unrolled: 1-line block ×4, first 2 shown]
	s_waitcnt vmcnt(0)
	v_mul_f64 v[138:139], v[142:143], v[92:93]
	v_mul_f64 v[92:93], v[140:141], v[92:93]
	v_fma_f64 v[138:139], v[140:141], v[90:91], -v[138:139]
	v_fma_f64 v[92:93], v[142:143], v[90:91], v[92:93]
	ds_read2_b64 v[140:143], v160 offset0:24 offset1:25
	s_waitcnt lgkmcnt(0)
	v_mul_f64 v[90:91], v[142:143], v[92:93]
	v_fma_f64 v[90:91], v[140:141], v[138:139], -v[90:91]
	v_mul_f64 v[140:141], v[140:141], v[92:93]
	v_add_f64 v[86:87], v[86:87], -v[90:91]
	v_fma_f64 v[140:141], v[142:143], v[138:139], v[140:141]
	v_add_f64 v[88:89], v[88:89], -v[140:141]
	ds_read2_b64 v[140:143], v160 offset0:26 offset1:27
	s_waitcnt lgkmcnt(0)
	v_mul_f64 v[90:91], v[142:143], v[92:93]
	v_fma_f64 v[90:91], v[140:141], v[138:139], -v[90:91]
	v_mul_f64 v[140:141], v[140:141], v[92:93]
	v_add_f64 v[82:83], v[82:83], -v[90:91]
	v_fma_f64 v[140:141], v[142:143], v[138:139], v[140:141]
	v_add_f64 v[84:85], v[84:85], -v[140:141]
	;; [unrolled: 8-line block ×21, first 2 shown]
	ds_read2_b64 v[140:143], v160 offset0:66 offset1:67
	s_waitcnt lgkmcnt(0)
	v_mul_f64 v[90:91], v[142:143], v[92:93]
	v_fma_f64 v[90:91], v[140:141], v[138:139], -v[90:91]
	v_mul_f64 v[140:141], v[140:141], v[92:93]
	v_add_f64 v[2:3], v[2:3], -v[90:91]
	v_fma_f64 v[140:141], v[142:143], v[138:139], v[140:141]
	v_mov_b32_e32 v90, v138
	v_mov_b32_e32 v91, v139
	v_add_f64 v[4:5], v[4:5], -v[140:141]
.LBB67_109:
	s_or_b32 exec_lo, exec_lo, s1
	s_mov_b32 s2, exec_lo
	s_waitcnt_vscnt null, 0x0
	s_barrier
	buffer_gl0_inv
	v_cmpx_eq_u32_e32 12, v0
	s_cbranch_execz .LBB67_116
; %bb.110:
	ds_write2_b64 v1, v[86:87], v[88:89] offset1:1
	ds_write2_b64 v160, v[82:83], v[84:85] offset0:26 offset1:27
	ds_write2_b64 v160, v[78:79], v[80:81] offset0:28 offset1:29
	;; [unrolled: 1-line block ×21, first 2 shown]
	ds_read2_b64 v[138:141], v1 offset1:1
	s_waitcnt lgkmcnt(0)
	v_cmp_neq_f64_e32 vcc_lo, 0, v[138:139]
	v_cmp_neq_f64_e64 s1, 0, v[140:141]
	s_or_b32 s1, vcc_lo, s1
	s_and_b32 exec_lo, exec_lo, s1
	s_cbranch_execz .LBB67_116
; %bb.111:
	v_cmp_ngt_f64_e64 s1, |v[138:139]|, |v[140:141]|
                                        ; implicit-def: $vgpr142_vgpr143
	s_and_saveexec_b32 s3, s1
	s_xor_b32 s1, exec_lo, s3
                                        ; implicit-def: $vgpr144_vgpr145
	s_cbranch_execz .LBB67_113
; %bb.112:
	v_div_scale_f64 v[142:143], null, v[140:141], v[140:141], v[138:139]
	v_div_scale_f64 v[148:149], vcc_lo, v[138:139], v[140:141], v[138:139]
	v_rcp_f64_e32 v[144:145], v[142:143]
	v_fma_f64 v[146:147], -v[142:143], v[144:145], 1.0
	v_fma_f64 v[144:145], v[144:145], v[146:147], v[144:145]
	v_fma_f64 v[146:147], -v[142:143], v[144:145], 1.0
	v_fma_f64 v[144:145], v[144:145], v[146:147], v[144:145]
	v_mul_f64 v[146:147], v[148:149], v[144:145]
	v_fma_f64 v[142:143], -v[142:143], v[146:147], v[148:149]
	v_div_fmas_f64 v[142:143], v[142:143], v[144:145], v[146:147]
	v_div_fixup_f64 v[142:143], v[142:143], v[140:141], v[138:139]
	v_fma_f64 v[138:139], v[138:139], v[142:143], v[140:141]
	v_div_scale_f64 v[140:141], null, v[138:139], v[138:139], 1.0
	v_rcp_f64_e32 v[144:145], v[140:141]
	v_fma_f64 v[146:147], -v[140:141], v[144:145], 1.0
	v_fma_f64 v[144:145], v[144:145], v[146:147], v[144:145]
	v_fma_f64 v[146:147], -v[140:141], v[144:145], 1.0
	v_fma_f64 v[144:145], v[144:145], v[146:147], v[144:145]
	v_div_scale_f64 v[146:147], vcc_lo, 1.0, v[138:139], 1.0
	v_mul_f64 v[148:149], v[146:147], v[144:145]
	v_fma_f64 v[140:141], -v[140:141], v[148:149], v[146:147]
	v_div_fmas_f64 v[140:141], v[140:141], v[144:145], v[148:149]
	v_div_fixup_f64 v[144:145], v[140:141], v[138:139], 1.0
                                        ; implicit-def: $vgpr138_vgpr139
	v_mul_f64 v[142:143], v[142:143], v[144:145]
	v_xor_b32_e32 v145, 0x80000000, v145
.LBB67_113:
	s_andn2_saveexec_b32 s1, s1
	s_cbranch_execz .LBB67_115
; %bb.114:
	v_div_scale_f64 v[142:143], null, v[138:139], v[138:139], v[140:141]
	v_div_scale_f64 v[148:149], vcc_lo, v[140:141], v[138:139], v[140:141]
	v_rcp_f64_e32 v[144:145], v[142:143]
	v_fma_f64 v[146:147], -v[142:143], v[144:145], 1.0
	v_fma_f64 v[144:145], v[144:145], v[146:147], v[144:145]
	v_fma_f64 v[146:147], -v[142:143], v[144:145], 1.0
	v_fma_f64 v[144:145], v[144:145], v[146:147], v[144:145]
	v_mul_f64 v[146:147], v[148:149], v[144:145]
	v_fma_f64 v[142:143], -v[142:143], v[146:147], v[148:149]
	v_div_fmas_f64 v[142:143], v[142:143], v[144:145], v[146:147]
	v_div_fixup_f64 v[144:145], v[142:143], v[138:139], v[140:141]
	v_fma_f64 v[138:139], v[140:141], v[144:145], v[138:139]
	v_div_scale_f64 v[140:141], null, v[138:139], v[138:139], 1.0
	v_rcp_f64_e32 v[142:143], v[140:141]
	v_fma_f64 v[146:147], -v[140:141], v[142:143], 1.0
	v_fma_f64 v[142:143], v[142:143], v[146:147], v[142:143]
	v_fma_f64 v[146:147], -v[140:141], v[142:143], 1.0
	v_fma_f64 v[142:143], v[142:143], v[146:147], v[142:143]
	v_div_scale_f64 v[146:147], vcc_lo, 1.0, v[138:139], 1.0
	v_mul_f64 v[148:149], v[146:147], v[142:143]
	v_fma_f64 v[140:141], -v[140:141], v[148:149], v[146:147]
	v_div_fmas_f64 v[140:141], v[140:141], v[142:143], v[148:149]
	v_div_fixup_f64 v[142:143], v[140:141], v[138:139], 1.0
	v_mul_f64 v[144:145], v[144:145], -v[142:143]
.LBB67_115:
	s_or_b32 exec_lo, exec_lo, s1
	ds_write2_b64 v1, v[142:143], v[144:145] offset1:1
.LBB67_116:
	s_or_b32 exec_lo, exec_lo, s2
	s_waitcnt lgkmcnt(0)
	s_barrier
	buffer_gl0_inv
	ds_read2_b64 v[138:141], v1 offset1:1
	s_mov_b32 s1, exec_lo
	s_waitcnt lgkmcnt(0)
	buffer_store_dword v138, off, s[16:19], 0 offset:200 ; 4-byte Folded Spill
	buffer_store_dword v139, off, s[16:19], 0 offset:204 ; 4-byte Folded Spill
	;; [unrolled: 1-line block ×4, first 2 shown]
	v_cmpx_lt_u32_e32 12, v0
	s_cbranch_execz .LBB67_118
; %bb.117:
	s_clause 0x3
	buffer_load_dword v140, off, s[16:19], 0 offset:200
	buffer_load_dword v141, off, s[16:19], 0 offset:204
	buffer_load_dword v142, off, s[16:19], 0 offset:208
	buffer_load_dword v143, off, s[16:19], 0 offset:212
	s_waitcnt vmcnt(0)
	v_mul_f64 v[138:139], v[142:143], v[88:89]
	v_mul_f64 v[88:89], v[140:141], v[88:89]
	v_fma_f64 v[138:139], v[140:141], v[86:87], -v[138:139]
	v_fma_f64 v[88:89], v[142:143], v[86:87], v[88:89]
	ds_read2_b64 v[140:143], v160 offset0:26 offset1:27
	s_waitcnt lgkmcnt(0)
	v_mul_f64 v[86:87], v[142:143], v[88:89]
	v_fma_f64 v[86:87], v[140:141], v[138:139], -v[86:87]
	v_mul_f64 v[140:141], v[140:141], v[88:89]
	v_add_f64 v[82:83], v[82:83], -v[86:87]
	v_fma_f64 v[140:141], v[142:143], v[138:139], v[140:141]
	v_add_f64 v[84:85], v[84:85], -v[140:141]
	ds_read2_b64 v[140:143], v160 offset0:28 offset1:29
	s_waitcnt lgkmcnt(0)
	v_mul_f64 v[86:87], v[142:143], v[88:89]
	v_fma_f64 v[86:87], v[140:141], v[138:139], -v[86:87]
	v_mul_f64 v[140:141], v[140:141], v[88:89]
	v_add_f64 v[78:79], v[78:79], -v[86:87]
	v_fma_f64 v[140:141], v[142:143], v[138:139], v[140:141]
	v_add_f64 v[80:81], v[80:81], -v[140:141]
	;; [unrolled: 8-line block ×20, first 2 shown]
	ds_read2_b64 v[140:143], v160 offset0:66 offset1:67
	s_waitcnt lgkmcnt(0)
	v_mul_f64 v[86:87], v[142:143], v[88:89]
	v_fma_f64 v[86:87], v[140:141], v[138:139], -v[86:87]
	v_mul_f64 v[140:141], v[140:141], v[88:89]
	v_add_f64 v[2:3], v[2:3], -v[86:87]
	v_fma_f64 v[140:141], v[142:143], v[138:139], v[140:141]
	v_mov_b32_e32 v86, v138
	v_mov_b32_e32 v87, v139
	v_add_f64 v[4:5], v[4:5], -v[140:141]
.LBB67_118:
	s_or_b32 exec_lo, exec_lo, s1
	s_mov_b32 s2, exec_lo
	s_waitcnt_vscnt null, 0x0
	s_barrier
	buffer_gl0_inv
	v_cmpx_eq_u32_e32 13, v0
	s_cbranch_execz .LBB67_125
; %bb.119:
	ds_write2_b64 v1, v[82:83], v[84:85] offset1:1
	ds_write2_b64 v160, v[78:79], v[80:81] offset0:28 offset1:29
	ds_write2_b64 v160, v[74:75], v[76:77] offset0:30 offset1:31
	;; [unrolled: 1-line block ×20, first 2 shown]
	ds_read2_b64 v[138:141], v1 offset1:1
	s_waitcnt lgkmcnt(0)
	v_cmp_neq_f64_e32 vcc_lo, 0, v[138:139]
	v_cmp_neq_f64_e64 s1, 0, v[140:141]
	s_or_b32 s1, vcc_lo, s1
	s_and_b32 exec_lo, exec_lo, s1
	s_cbranch_execz .LBB67_125
; %bb.120:
	v_cmp_ngt_f64_e64 s1, |v[138:139]|, |v[140:141]|
                                        ; implicit-def: $vgpr142_vgpr143
	s_and_saveexec_b32 s3, s1
	s_xor_b32 s1, exec_lo, s3
                                        ; implicit-def: $vgpr144_vgpr145
	s_cbranch_execz .LBB67_122
; %bb.121:
	v_div_scale_f64 v[142:143], null, v[140:141], v[140:141], v[138:139]
	v_div_scale_f64 v[148:149], vcc_lo, v[138:139], v[140:141], v[138:139]
	v_rcp_f64_e32 v[144:145], v[142:143]
	v_fma_f64 v[146:147], -v[142:143], v[144:145], 1.0
	v_fma_f64 v[144:145], v[144:145], v[146:147], v[144:145]
	v_fma_f64 v[146:147], -v[142:143], v[144:145], 1.0
	v_fma_f64 v[144:145], v[144:145], v[146:147], v[144:145]
	v_mul_f64 v[146:147], v[148:149], v[144:145]
	v_fma_f64 v[142:143], -v[142:143], v[146:147], v[148:149]
	v_div_fmas_f64 v[142:143], v[142:143], v[144:145], v[146:147]
	v_div_fixup_f64 v[142:143], v[142:143], v[140:141], v[138:139]
	v_fma_f64 v[138:139], v[138:139], v[142:143], v[140:141]
	v_div_scale_f64 v[140:141], null, v[138:139], v[138:139], 1.0
	v_rcp_f64_e32 v[144:145], v[140:141]
	v_fma_f64 v[146:147], -v[140:141], v[144:145], 1.0
	v_fma_f64 v[144:145], v[144:145], v[146:147], v[144:145]
	v_fma_f64 v[146:147], -v[140:141], v[144:145], 1.0
	v_fma_f64 v[144:145], v[144:145], v[146:147], v[144:145]
	v_div_scale_f64 v[146:147], vcc_lo, 1.0, v[138:139], 1.0
	v_mul_f64 v[148:149], v[146:147], v[144:145]
	v_fma_f64 v[140:141], -v[140:141], v[148:149], v[146:147]
	v_div_fmas_f64 v[140:141], v[140:141], v[144:145], v[148:149]
	v_div_fixup_f64 v[144:145], v[140:141], v[138:139], 1.0
                                        ; implicit-def: $vgpr138_vgpr139
	v_mul_f64 v[142:143], v[142:143], v[144:145]
	v_xor_b32_e32 v145, 0x80000000, v145
.LBB67_122:
	s_andn2_saveexec_b32 s1, s1
	s_cbranch_execz .LBB67_124
; %bb.123:
	v_div_scale_f64 v[142:143], null, v[138:139], v[138:139], v[140:141]
	v_div_scale_f64 v[148:149], vcc_lo, v[140:141], v[138:139], v[140:141]
	v_rcp_f64_e32 v[144:145], v[142:143]
	v_fma_f64 v[146:147], -v[142:143], v[144:145], 1.0
	v_fma_f64 v[144:145], v[144:145], v[146:147], v[144:145]
	v_fma_f64 v[146:147], -v[142:143], v[144:145], 1.0
	v_fma_f64 v[144:145], v[144:145], v[146:147], v[144:145]
	v_mul_f64 v[146:147], v[148:149], v[144:145]
	v_fma_f64 v[142:143], -v[142:143], v[146:147], v[148:149]
	v_div_fmas_f64 v[142:143], v[142:143], v[144:145], v[146:147]
	v_div_fixup_f64 v[144:145], v[142:143], v[138:139], v[140:141]
	v_fma_f64 v[138:139], v[140:141], v[144:145], v[138:139]
	v_div_scale_f64 v[140:141], null, v[138:139], v[138:139], 1.0
	v_rcp_f64_e32 v[142:143], v[140:141]
	v_fma_f64 v[146:147], -v[140:141], v[142:143], 1.0
	v_fma_f64 v[142:143], v[142:143], v[146:147], v[142:143]
	v_fma_f64 v[146:147], -v[140:141], v[142:143], 1.0
	v_fma_f64 v[142:143], v[142:143], v[146:147], v[142:143]
	v_div_scale_f64 v[146:147], vcc_lo, 1.0, v[138:139], 1.0
	v_mul_f64 v[148:149], v[146:147], v[142:143]
	v_fma_f64 v[140:141], -v[140:141], v[148:149], v[146:147]
	v_div_fmas_f64 v[140:141], v[140:141], v[142:143], v[148:149]
	v_div_fixup_f64 v[142:143], v[140:141], v[138:139], 1.0
	v_mul_f64 v[144:145], v[144:145], -v[142:143]
.LBB67_124:
	s_or_b32 exec_lo, exec_lo, s1
	ds_write2_b64 v1, v[142:143], v[144:145] offset1:1
.LBB67_125:
	s_or_b32 exec_lo, exec_lo, s2
	s_waitcnt lgkmcnt(0)
	s_barrier
	buffer_gl0_inv
	ds_read2_b64 v[138:141], v1 offset1:1
	s_mov_b32 s1, exec_lo
	s_waitcnt lgkmcnt(0)
	buffer_store_dword v138, off, s[16:19], 0 offset:216 ; 4-byte Folded Spill
	buffer_store_dword v139, off, s[16:19], 0 offset:220 ; 4-byte Folded Spill
	;; [unrolled: 1-line block ×4, first 2 shown]
	v_cmpx_lt_u32_e32 13, v0
	s_cbranch_execz .LBB67_127
; %bb.126:
	s_clause 0x3
	buffer_load_dword v140, off, s[16:19], 0 offset:216
	buffer_load_dword v141, off, s[16:19], 0 offset:220
	;; [unrolled: 1-line block ×4, first 2 shown]
	s_waitcnt vmcnt(0)
	v_mul_f64 v[138:139], v[142:143], v[84:85]
	v_mul_f64 v[84:85], v[140:141], v[84:85]
	v_fma_f64 v[138:139], v[140:141], v[82:83], -v[138:139]
	v_fma_f64 v[84:85], v[142:143], v[82:83], v[84:85]
	ds_read2_b64 v[140:143], v160 offset0:28 offset1:29
	s_waitcnt lgkmcnt(0)
	v_mul_f64 v[82:83], v[142:143], v[84:85]
	v_fma_f64 v[82:83], v[140:141], v[138:139], -v[82:83]
	v_mul_f64 v[140:141], v[140:141], v[84:85]
	v_add_f64 v[78:79], v[78:79], -v[82:83]
	v_fma_f64 v[140:141], v[142:143], v[138:139], v[140:141]
	v_add_f64 v[80:81], v[80:81], -v[140:141]
	ds_read2_b64 v[140:143], v160 offset0:30 offset1:31
	s_waitcnt lgkmcnt(0)
	v_mul_f64 v[82:83], v[142:143], v[84:85]
	v_fma_f64 v[82:83], v[140:141], v[138:139], -v[82:83]
	v_mul_f64 v[140:141], v[140:141], v[84:85]
	v_add_f64 v[74:75], v[74:75], -v[82:83]
	v_fma_f64 v[140:141], v[142:143], v[138:139], v[140:141]
	v_add_f64 v[76:77], v[76:77], -v[140:141]
	;; [unrolled: 8-line block ×19, first 2 shown]
	ds_read2_b64 v[140:143], v160 offset0:66 offset1:67
	s_waitcnt lgkmcnt(0)
	v_mul_f64 v[82:83], v[142:143], v[84:85]
	v_fma_f64 v[82:83], v[140:141], v[138:139], -v[82:83]
	v_mul_f64 v[140:141], v[140:141], v[84:85]
	v_add_f64 v[2:3], v[2:3], -v[82:83]
	v_fma_f64 v[140:141], v[142:143], v[138:139], v[140:141]
	v_mov_b32_e32 v82, v138
	v_mov_b32_e32 v83, v139
	v_add_f64 v[4:5], v[4:5], -v[140:141]
.LBB67_127:
	s_or_b32 exec_lo, exec_lo, s1
	s_mov_b32 s2, exec_lo
	s_waitcnt_vscnt null, 0x0
	s_barrier
	buffer_gl0_inv
	v_cmpx_eq_u32_e32 14, v0
	s_cbranch_execz .LBB67_134
; %bb.128:
	ds_write2_b64 v1, v[78:79], v[80:81] offset1:1
	ds_write2_b64 v160, v[74:75], v[76:77] offset0:30 offset1:31
	ds_write2_b64 v160, v[70:71], v[72:73] offset0:32 offset1:33
	;; [unrolled: 1-line block ×19, first 2 shown]
	ds_read2_b64 v[138:141], v1 offset1:1
	s_waitcnt lgkmcnt(0)
	v_cmp_neq_f64_e32 vcc_lo, 0, v[138:139]
	v_cmp_neq_f64_e64 s1, 0, v[140:141]
	s_or_b32 s1, vcc_lo, s1
	s_and_b32 exec_lo, exec_lo, s1
	s_cbranch_execz .LBB67_134
; %bb.129:
	v_cmp_ngt_f64_e64 s1, |v[138:139]|, |v[140:141]|
                                        ; implicit-def: $vgpr142_vgpr143
	s_and_saveexec_b32 s3, s1
	s_xor_b32 s1, exec_lo, s3
                                        ; implicit-def: $vgpr144_vgpr145
	s_cbranch_execz .LBB67_131
; %bb.130:
	v_div_scale_f64 v[142:143], null, v[140:141], v[140:141], v[138:139]
	v_div_scale_f64 v[148:149], vcc_lo, v[138:139], v[140:141], v[138:139]
	v_rcp_f64_e32 v[144:145], v[142:143]
	v_fma_f64 v[146:147], -v[142:143], v[144:145], 1.0
	v_fma_f64 v[144:145], v[144:145], v[146:147], v[144:145]
	v_fma_f64 v[146:147], -v[142:143], v[144:145], 1.0
	v_fma_f64 v[144:145], v[144:145], v[146:147], v[144:145]
	v_mul_f64 v[146:147], v[148:149], v[144:145]
	v_fma_f64 v[142:143], -v[142:143], v[146:147], v[148:149]
	v_div_fmas_f64 v[142:143], v[142:143], v[144:145], v[146:147]
	v_div_fixup_f64 v[142:143], v[142:143], v[140:141], v[138:139]
	v_fma_f64 v[138:139], v[138:139], v[142:143], v[140:141]
	v_div_scale_f64 v[140:141], null, v[138:139], v[138:139], 1.0
	v_rcp_f64_e32 v[144:145], v[140:141]
	v_fma_f64 v[146:147], -v[140:141], v[144:145], 1.0
	v_fma_f64 v[144:145], v[144:145], v[146:147], v[144:145]
	v_fma_f64 v[146:147], -v[140:141], v[144:145], 1.0
	v_fma_f64 v[144:145], v[144:145], v[146:147], v[144:145]
	v_div_scale_f64 v[146:147], vcc_lo, 1.0, v[138:139], 1.0
	v_mul_f64 v[148:149], v[146:147], v[144:145]
	v_fma_f64 v[140:141], -v[140:141], v[148:149], v[146:147]
	v_div_fmas_f64 v[140:141], v[140:141], v[144:145], v[148:149]
	v_div_fixup_f64 v[144:145], v[140:141], v[138:139], 1.0
                                        ; implicit-def: $vgpr138_vgpr139
	v_mul_f64 v[142:143], v[142:143], v[144:145]
	v_xor_b32_e32 v145, 0x80000000, v145
.LBB67_131:
	s_andn2_saveexec_b32 s1, s1
	s_cbranch_execz .LBB67_133
; %bb.132:
	v_div_scale_f64 v[142:143], null, v[138:139], v[138:139], v[140:141]
	v_div_scale_f64 v[148:149], vcc_lo, v[140:141], v[138:139], v[140:141]
	v_rcp_f64_e32 v[144:145], v[142:143]
	v_fma_f64 v[146:147], -v[142:143], v[144:145], 1.0
	v_fma_f64 v[144:145], v[144:145], v[146:147], v[144:145]
	v_fma_f64 v[146:147], -v[142:143], v[144:145], 1.0
	v_fma_f64 v[144:145], v[144:145], v[146:147], v[144:145]
	v_mul_f64 v[146:147], v[148:149], v[144:145]
	v_fma_f64 v[142:143], -v[142:143], v[146:147], v[148:149]
	v_div_fmas_f64 v[142:143], v[142:143], v[144:145], v[146:147]
	v_div_fixup_f64 v[144:145], v[142:143], v[138:139], v[140:141]
	v_fma_f64 v[138:139], v[140:141], v[144:145], v[138:139]
	v_div_scale_f64 v[140:141], null, v[138:139], v[138:139], 1.0
	v_rcp_f64_e32 v[142:143], v[140:141]
	v_fma_f64 v[146:147], -v[140:141], v[142:143], 1.0
	v_fma_f64 v[142:143], v[142:143], v[146:147], v[142:143]
	v_fma_f64 v[146:147], -v[140:141], v[142:143], 1.0
	v_fma_f64 v[142:143], v[142:143], v[146:147], v[142:143]
	v_div_scale_f64 v[146:147], vcc_lo, 1.0, v[138:139], 1.0
	v_mul_f64 v[148:149], v[146:147], v[142:143]
	v_fma_f64 v[140:141], -v[140:141], v[148:149], v[146:147]
	v_div_fmas_f64 v[140:141], v[140:141], v[142:143], v[148:149]
	v_div_fixup_f64 v[142:143], v[140:141], v[138:139], 1.0
	v_mul_f64 v[144:145], v[144:145], -v[142:143]
.LBB67_133:
	s_or_b32 exec_lo, exec_lo, s1
	ds_write2_b64 v1, v[142:143], v[144:145] offset1:1
.LBB67_134:
	s_or_b32 exec_lo, exec_lo, s2
	s_waitcnt lgkmcnt(0)
	s_barrier
	buffer_gl0_inv
	ds_read2_b64 v[138:141], v1 offset1:1
	s_mov_b32 s1, exec_lo
	s_waitcnt lgkmcnt(0)
	buffer_store_dword v138, off, s[16:19], 0 offset:232 ; 4-byte Folded Spill
	buffer_store_dword v139, off, s[16:19], 0 offset:236 ; 4-byte Folded Spill
	buffer_store_dword v140, off, s[16:19], 0 offset:240 ; 4-byte Folded Spill
	buffer_store_dword v141, off, s[16:19], 0 offset:244 ; 4-byte Folded Spill
	v_cmpx_lt_u32_e32 14, v0
	s_cbranch_execz .LBB67_136
; %bb.135:
	s_clause 0x3
	buffer_load_dword v140, off, s[16:19], 0 offset:232
	buffer_load_dword v141, off, s[16:19], 0 offset:236
	;; [unrolled: 1-line block ×4, first 2 shown]
	s_waitcnt vmcnt(0)
	v_mul_f64 v[138:139], v[142:143], v[80:81]
	v_mul_f64 v[80:81], v[140:141], v[80:81]
	v_fma_f64 v[138:139], v[140:141], v[78:79], -v[138:139]
	v_fma_f64 v[80:81], v[142:143], v[78:79], v[80:81]
	ds_read2_b64 v[140:143], v160 offset0:30 offset1:31
	s_waitcnt lgkmcnt(0)
	v_mul_f64 v[78:79], v[142:143], v[80:81]
	v_fma_f64 v[78:79], v[140:141], v[138:139], -v[78:79]
	v_mul_f64 v[140:141], v[140:141], v[80:81]
	v_add_f64 v[74:75], v[74:75], -v[78:79]
	v_fma_f64 v[140:141], v[142:143], v[138:139], v[140:141]
	v_add_f64 v[76:77], v[76:77], -v[140:141]
	ds_read2_b64 v[140:143], v160 offset0:32 offset1:33
	s_waitcnt lgkmcnt(0)
	v_mul_f64 v[78:79], v[142:143], v[80:81]
	v_fma_f64 v[78:79], v[140:141], v[138:139], -v[78:79]
	v_mul_f64 v[140:141], v[140:141], v[80:81]
	v_add_f64 v[70:71], v[70:71], -v[78:79]
	v_fma_f64 v[140:141], v[142:143], v[138:139], v[140:141]
	v_add_f64 v[72:73], v[72:73], -v[140:141]
	;; [unrolled: 8-line block ×18, first 2 shown]
	ds_read2_b64 v[140:143], v160 offset0:66 offset1:67
	s_waitcnt lgkmcnt(0)
	v_mul_f64 v[78:79], v[142:143], v[80:81]
	v_fma_f64 v[78:79], v[140:141], v[138:139], -v[78:79]
	v_mul_f64 v[140:141], v[140:141], v[80:81]
	v_add_f64 v[2:3], v[2:3], -v[78:79]
	v_fma_f64 v[140:141], v[142:143], v[138:139], v[140:141]
	v_mov_b32_e32 v78, v138
	v_mov_b32_e32 v79, v139
	v_add_f64 v[4:5], v[4:5], -v[140:141]
.LBB67_136:
	s_or_b32 exec_lo, exec_lo, s1
	s_mov_b32 s2, exec_lo
	s_waitcnt_vscnt null, 0x0
	s_barrier
	buffer_gl0_inv
	v_cmpx_eq_u32_e32 15, v0
	s_cbranch_execz .LBB67_143
; %bb.137:
	ds_write2_b64 v1, v[74:75], v[76:77] offset1:1
	ds_write2_b64 v160, v[70:71], v[72:73] offset0:32 offset1:33
	ds_write2_b64 v160, v[66:67], v[68:69] offset0:34 offset1:35
	;; [unrolled: 1-line block ×18, first 2 shown]
	ds_read2_b64 v[138:141], v1 offset1:1
	s_waitcnt lgkmcnt(0)
	v_cmp_neq_f64_e32 vcc_lo, 0, v[138:139]
	v_cmp_neq_f64_e64 s1, 0, v[140:141]
	s_or_b32 s1, vcc_lo, s1
	s_and_b32 exec_lo, exec_lo, s1
	s_cbranch_execz .LBB67_143
; %bb.138:
	v_cmp_ngt_f64_e64 s1, |v[138:139]|, |v[140:141]|
                                        ; implicit-def: $vgpr142_vgpr143
	s_and_saveexec_b32 s3, s1
	s_xor_b32 s1, exec_lo, s3
                                        ; implicit-def: $vgpr144_vgpr145
	s_cbranch_execz .LBB67_140
; %bb.139:
	v_div_scale_f64 v[142:143], null, v[140:141], v[140:141], v[138:139]
	v_div_scale_f64 v[148:149], vcc_lo, v[138:139], v[140:141], v[138:139]
	v_rcp_f64_e32 v[144:145], v[142:143]
	v_fma_f64 v[146:147], -v[142:143], v[144:145], 1.0
	v_fma_f64 v[144:145], v[144:145], v[146:147], v[144:145]
	v_fma_f64 v[146:147], -v[142:143], v[144:145], 1.0
	v_fma_f64 v[144:145], v[144:145], v[146:147], v[144:145]
	v_mul_f64 v[146:147], v[148:149], v[144:145]
	v_fma_f64 v[142:143], -v[142:143], v[146:147], v[148:149]
	v_div_fmas_f64 v[142:143], v[142:143], v[144:145], v[146:147]
	v_div_fixup_f64 v[142:143], v[142:143], v[140:141], v[138:139]
	v_fma_f64 v[138:139], v[138:139], v[142:143], v[140:141]
	v_div_scale_f64 v[140:141], null, v[138:139], v[138:139], 1.0
	v_rcp_f64_e32 v[144:145], v[140:141]
	v_fma_f64 v[146:147], -v[140:141], v[144:145], 1.0
	v_fma_f64 v[144:145], v[144:145], v[146:147], v[144:145]
	v_fma_f64 v[146:147], -v[140:141], v[144:145], 1.0
	v_fma_f64 v[144:145], v[144:145], v[146:147], v[144:145]
	v_div_scale_f64 v[146:147], vcc_lo, 1.0, v[138:139], 1.0
	v_mul_f64 v[148:149], v[146:147], v[144:145]
	v_fma_f64 v[140:141], -v[140:141], v[148:149], v[146:147]
	v_div_fmas_f64 v[140:141], v[140:141], v[144:145], v[148:149]
	v_div_fixup_f64 v[144:145], v[140:141], v[138:139], 1.0
                                        ; implicit-def: $vgpr138_vgpr139
	v_mul_f64 v[142:143], v[142:143], v[144:145]
	v_xor_b32_e32 v145, 0x80000000, v145
.LBB67_140:
	s_andn2_saveexec_b32 s1, s1
	s_cbranch_execz .LBB67_142
; %bb.141:
	v_div_scale_f64 v[142:143], null, v[138:139], v[138:139], v[140:141]
	v_div_scale_f64 v[148:149], vcc_lo, v[140:141], v[138:139], v[140:141]
	v_rcp_f64_e32 v[144:145], v[142:143]
	v_fma_f64 v[146:147], -v[142:143], v[144:145], 1.0
	v_fma_f64 v[144:145], v[144:145], v[146:147], v[144:145]
	v_fma_f64 v[146:147], -v[142:143], v[144:145], 1.0
	v_fma_f64 v[144:145], v[144:145], v[146:147], v[144:145]
	v_mul_f64 v[146:147], v[148:149], v[144:145]
	v_fma_f64 v[142:143], -v[142:143], v[146:147], v[148:149]
	v_div_fmas_f64 v[142:143], v[142:143], v[144:145], v[146:147]
	v_div_fixup_f64 v[144:145], v[142:143], v[138:139], v[140:141]
	v_fma_f64 v[138:139], v[140:141], v[144:145], v[138:139]
	v_div_scale_f64 v[140:141], null, v[138:139], v[138:139], 1.0
	v_rcp_f64_e32 v[142:143], v[140:141]
	v_fma_f64 v[146:147], -v[140:141], v[142:143], 1.0
	v_fma_f64 v[142:143], v[142:143], v[146:147], v[142:143]
	v_fma_f64 v[146:147], -v[140:141], v[142:143], 1.0
	v_fma_f64 v[142:143], v[142:143], v[146:147], v[142:143]
	v_div_scale_f64 v[146:147], vcc_lo, 1.0, v[138:139], 1.0
	v_mul_f64 v[148:149], v[146:147], v[142:143]
	v_fma_f64 v[140:141], -v[140:141], v[148:149], v[146:147]
	v_div_fmas_f64 v[140:141], v[140:141], v[142:143], v[148:149]
	v_div_fixup_f64 v[142:143], v[140:141], v[138:139], 1.0
	v_mul_f64 v[144:145], v[144:145], -v[142:143]
.LBB67_142:
	s_or_b32 exec_lo, exec_lo, s1
	ds_write2_b64 v1, v[142:143], v[144:145] offset1:1
.LBB67_143:
	s_or_b32 exec_lo, exec_lo, s2
	s_waitcnt lgkmcnt(0)
	s_barrier
	buffer_gl0_inv
	ds_read2_b64 v[138:141], v1 offset1:1
	s_mov_b32 s1, exec_lo
	s_waitcnt lgkmcnt(0)
	buffer_store_dword v138, off, s[16:19], 0 offset:248 ; 4-byte Folded Spill
	buffer_store_dword v139, off, s[16:19], 0 offset:252 ; 4-byte Folded Spill
	;; [unrolled: 1-line block ×4, first 2 shown]
	v_cmpx_lt_u32_e32 15, v0
	s_cbranch_execz .LBB67_145
; %bb.144:
	s_clause 0x3
	buffer_load_dword v140, off, s[16:19], 0 offset:248
	buffer_load_dword v141, off, s[16:19], 0 offset:252
	;; [unrolled: 1-line block ×4, first 2 shown]
	s_waitcnt vmcnt(0)
	v_mul_f64 v[138:139], v[142:143], v[76:77]
	v_mul_f64 v[76:77], v[140:141], v[76:77]
	v_fma_f64 v[138:139], v[140:141], v[74:75], -v[138:139]
	v_fma_f64 v[76:77], v[142:143], v[74:75], v[76:77]
	ds_read2_b64 v[140:143], v160 offset0:32 offset1:33
	s_waitcnt lgkmcnt(0)
	v_mul_f64 v[74:75], v[142:143], v[76:77]
	v_fma_f64 v[74:75], v[140:141], v[138:139], -v[74:75]
	v_mul_f64 v[140:141], v[140:141], v[76:77]
	v_add_f64 v[70:71], v[70:71], -v[74:75]
	v_fma_f64 v[140:141], v[142:143], v[138:139], v[140:141]
	v_add_f64 v[72:73], v[72:73], -v[140:141]
	ds_read2_b64 v[140:143], v160 offset0:34 offset1:35
	s_waitcnt lgkmcnt(0)
	v_mul_f64 v[74:75], v[142:143], v[76:77]
	v_fma_f64 v[74:75], v[140:141], v[138:139], -v[74:75]
	v_mul_f64 v[140:141], v[140:141], v[76:77]
	v_add_f64 v[66:67], v[66:67], -v[74:75]
	v_fma_f64 v[140:141], v[142:143], v[138:139], v[140:141]
	v_add_f64 v[68:69], v[68:69], -v[140:141]
	;; [unrolled: 8-line block ×17, first 2 shown]
	ds_read2_b64 v[140:143], v160 offset0:66 offset1:67
	s_waitcnt lgkmcnt(0)
	v_mul_f64 v[74:75], v[142:143], v[76:77]
	v_fma_f64 v[74:75], v[140:141], v[138:139], -v[74:75]
	v_mul_f64 v[140:141], v[140:141], v[76:77]
	v_add_f64 v[2:3], v[2:3], -v[74:75]
	v_fma_f64 v[140:141], v[142:143], v[138:139], v[140:141]
	v_mov_b32_e32 v74, v138
	v_mov_b32_e32 v75, v139
	v_add_f64 v[4:5], v[4:5], -v[140:141]
.LBB67_145:
	s_or_b32 exec_lo, exec_lo, s1
	s_mov_b32 s2, exec_lo
	s_waitcnt_vscnt null, 0x0
	s_barrier
	buffer_gl0_inv
	v_cmpx_eq_u32_e32 16, v0
	s_cbranch_execz .LBB67_152
; %bb.146:
	ds_write2_b64 v1, v[70:71], v[72:73] offset1:1
	ds_write2_b64 v160, v[66:67], v[68:69] offset0:34 offset1:35
	ds_write2_b64 v160, v[62:63], v[64:65] offset0:36 offset1:37
	;; [unrolled: 1-line block ×17, first 2 shown]
	ds_read2_b64 v[138:141], v1 offset1:1
	s_waitcnt lgkmcnt(0)
	v_cmp_neq_f64_e32 vcc_lo, 0, v[138:139]
	v_cmp_neq_f64_e64 s1, 0, v[140:141]
	s_or_b32 s1, vcc_lo, s1
	s_and_b32 exec_lo, exec_lo, s1
	s_cbranch_execz .LBB67_152
; %bb.147:
	v_cmp_ngt_f64_e64 s1, |v[138:139]|, |v[140:141]|
                                        ; implicit-def: $vgpr142_vgpr143
	s_and_saveexec_b32 s3, s1
	s_xor_b32 s1, exec_lo, s3
                                        ; implicit-def: $vgpr144_vgpr145
	s_cbranch_execz .LBB67_149
; %bb.148:
	v_div_scale_f64 v[142:143], null, v[140:141], v[140:141], v[138:139]
	v_div_scale_f64 v[148:149], vcc_lo, v[138:139], v[140:141], v[138:139]
	v_rcp_f64_e32 v[144:145], v[142:143]
	v_fma_f64 v[146:147], -v[142:143], v[144:145], 1.0
	v_fma_f64 v[144:145], v[144:145], v[146:147], v[144:145]
	v_fma_f64 v[146:147], -v[142:143], v[144:145], 1.0
	v_fma_f64 v[144:145], v[144:145], v[146:147], v[144:145]
	v_mul_f64 v[146:147], v[148:149], v[144:145]
	v_fma_f64 v[142:143], -v[142:143], v[146:147], v[148:149]
	v_div_fmas_f64 v[142:143], v[142:143], v[144:145], v[146:147]
	v_div_fixup_f64 v[142:143], v[142:143], v[140:141], v[138:139]
	v_fma_f64 v[138:139], v[138:139], v[142:143], v[140:141]
	v_div_scale_f64 v[140:141], null, v[138:139], v[138:139], 1.0
	v_rcp_f64_e32 v[144:145], v[140:141]
	v_fma_f64 v[146:147], -v[140:141], v[144:145], 1.0
	v_fma_f64 v[144:145], v[144:145], v[146:147], v[144:145]
	v_fma_f64 v[146:147], -v[140:141], v[144:145], 1.0
	v_fma_f64 v[144:145], v[144:145], v[146:147], v[144:145]
	v_div_scale_f64 v[146:147], vcc_lo, 1.0, v[138:139], 1.0
	v_mul_f64 v[148:149], v[146:147], v[144:145]
	v_fma_f64 v[140:141], -v[140:141], v[148:149], v[146:147]
	v_div_fmas_f64 v[140:141], v[140:141], v[144:145], v[148:149]
	v_div_fixup_f64 v[144:145], v[140:141], v[138:139], 1.0
                                        ; implicit-def: $vgpr138_vgpr139
	v_mul_f64 v[142:143], v[142:143], v[144:145]
	v_xor_b32_e32 v145, 0x80000000, v145
.LBB67_149:
	s_andn2_saveexec_b32 s1, s1
	s_cbranch_execz .LBB67_151
; %bb.150:
	v_div_scale_f64 v[142:143], null, v[138:139], v[138:139], v[140:141]
	v_div_scale_f64 v[148:149], vcc_lo, v[140:141], v[138:139], v[140:141]
	v_rcp_f64_e32 v[144:145], v[142:143]
	v_fma_f64 v[146:147], -v[142:143], v[144:145], 1.0
	v_fma_f64 v[144:145], v[144:145], v[146:147], v[144:145]
	v_fma_f64 v[146:147], -v[142:143], v[144:145], 1.0
	v_fma_f64 v[144:145], v[144:145], v[146:147], v[144:145]
	v_mul_f64 v[146:147], v[148:149], v[144:145]
	v_fma_f64 v[142:143], -v[142:143], v[146:147], v[148:149]
	v_div_fmas_f64 v[142:143], v[142:143], v[144:145], v[146:147]
	v_div_fixup_f64 v[144:145], v[142:143], v[138:139], v[140:141]
	v_fma_f64 v[138:139], v[140:141], v[144:145], v[138:139]
	v_div_scale_f64 v[140:141], null, v[138:139], v[138:139], 1.0
	v_rcp_f64_e32 v[142:143], v[140:141]
	v_fma_f64 v[146:147], -v[140:141], v[142:143], 1.0
	v_fma_f64 v[142:143], v[142:143], v[146:147], v[142:143]
	v_fma_f64 v[146:147], -v[140:141], v[142:143], 1.0
	v_fma_f64 v[142:143], v[142:143], v[146:147], v[142:143]
	v_div_scale_f64 v[146:147], vcc_lo, 1.0, v[138:139], 1.0
	v_mul_f64 v[148:149], v[146:147], v[142:143]
	v_fma_f64 v[140:141], -v[140:141], v[148:149], v[146:147]
	v_div_fmas_f64 v[140:141], v[140:141], v[142:143], v[148:149]
	v_div_fixup_f64 v[142:143], v[140:141], v[138:139], 1.0
	v_mul_f64 v[144:145], v[144:145], -v[142:143]
.LBB67_151:
	s_or_b32 exec_lo, exec_lo, s1
	ds_write2_b64 v1, v[142:143], v[144:145] offset1:1
.LBB67_152:
	s_or_b32 exec_lo, exec_lo, s2
	s_waitcnt lgkmcnt(0)
	s_barrier
	buffer_gl0_inv
	ds_read2_b64 v[138:141], v1 offset1:1
	s_mov_b32 s1, exec_lo
	s_waitcnt lgkmcnt(0)
	buffer_store_dword v138, off, s[16:19], 0 offset:264 ; 4-byte Folded Spill
	buffer_store_dword v139, off, s[16:19], 0 offset:268 ; 4-byte Folded Spill
	;; [unrolled: 1-line block ×4, first 2 shown]
	v_cmpx_lt_u32_e32 16, v0
	s_cbranch_execz .LBB67_154
; %bb.153:
	s_clause 0x3
	buffer_load_dword v140, off, s[16:19], 0 offset:264
	buffer_load_dword v141, off, s[16:19], 0 offset:268
	;; [unrolled: 1-line block ×4, first 2 shown]
	s_waitcnt vmcnt(0)
	v_mul_f64 v[138:139], v[142:143], v[72:73]
	v_mul_f64 v[72:73], v[140:141], v[72:73]
	v_fma_f64 v[138:139], v[140:141], v[70:71], -v[138:139]
	v_fma_f64 v[72:73], v[142:143], v[70:71], v[72:73]
	ds_read2_b64 v[140:143], v160 offset0:34 offset1:35
	s_waitcnt lgkmcnt(0)
	v_mul_f64 v[70:71], v[142:143], v[72:73]
	v_fma_f64 v[70:71], v[140:141], v[138:139], -v[70:71]
	v_mul_f64 v[140:141], v[140:141], v[72:73]
	v_add_f64 v[66:67], v[66:67], -v[70:71]
	v_fma_f64 v[140:141], v[142:143], v[138:139], v[140:141]
	v_add_f64 v[68:69], v[68:69], -v[140:141]
	ds_read2_b64 v[140:143], v160 offset0:36 offset1:37
	s_waitcnt lgkmcnt(0)
	v_mul_f64 v[70:71], v[142:143], v[72:73]
	v_fma_f64 v[70:71], v[140:141], v[138:139], -v[70:71]
	v_mul_f64 v[140:141], v[140:141], v[72:73]
	v_add_f64 v[62:63], v[62:63], -v[70:71]
	v_fma_f64 v[140:141], v[142:143], v[138:139], v[140:141]
	v_add_f64 v[64:65], v[64:65], -v[140:141]
	;; [unrolled: 8-line block ×16, first 2 shown]
	ds_read2_b64 v[140:143], v160 offset0:66 offset1:67
	s_waitcnt lgkmcnt(0)
	v_mul_f64 v[70:71], v[142:143], v[72:73]
	v_fma_f64 v[70:71], v[140:141], v[138:139], -v[70:71]
	v_mul_f64 v[140:141], v[140:141], v[72:73]
	v_add_f64 v[2:3], v[2:3], -v[70:71]
	v_fma_f64 v[140:141], v[142:143], v[138:139], v[140:141]
	v_mov_b32_e32 v70, v138
	v_mov_b32_e32 v71, v139
	v_add_f64 v[4:5], v[4:5], -v[140:141]
.LBB67_154:
	s_or_b32 exec_lo, exec_lo, s1
	s_mov_b32 s2, exec_lo
	s_waitcnt_vscnt null, 0x0
	s_barrier
	buffer_gl0_inv
	v_cmpx_eq_u32_e32 17, v0
	s_cbranch_execz .LBB67_161
; %bb.155:
	ds_write2_b64 v1, v[66:67], v[68:69] offset1:1
	ds_write2_b64 v160, v[62:63], v[64:65] offset0:36 offset1:37
	ds_write2_b64 v160, v[58:59], v[60:61] offset0:38 offset1:39
	;; [unrolled: 1-line block ×16, first 2 shown]
	ds_read2_b64 v[138:141], v1 offset1:1
	s_waitcnt lgkmcnt(0)
	v_cmp_neq_f64_e32 vcc_lo, 0, v[138:139]
	v_cmp_neq_f64_e64 s1, 0, v[140:141]
	s_or_b32 s1, vcc_lo, s1
	s_and_b32 exec_lo, exec_lo, s1
	s_cbranch_execz .LBB67_161
; %bb.156:
	v_cmp_ngt_f64_e64 s1, |v[138:139]|, |v[140:141]|
                                        ; implicit-def: $vgpr142_vgpr143
	s_and_saveexec_b32 s3, s1
	s_xor_b32 s1, exec_lo, s3
                                        ; implicit-def: $vgpr144_vgpr145
	s_cbranch_execz .LBB67_158
; %bb.157:
	v_div_scale_f64 v[142:143], null, v[140:141], v[140:141], v[138:139]
	v_div_scale_f64 v[148:149], vcc_lo, v[138:139], v[140:141], v[138:139]
	v_rcp_f64_e32 v[144:145], v[142:143]
	v_fma_f64 v[146:147], -v[142:143], v[144:145], 1.0
	v_fma_f64 v[144:145], v[144:145], v[146:147], v[144:145]
	v_fma_f64 v[146:147], -v[142:143], v[144:145], 1.0
	v_fma_f64 v[144:145], v[144:145], v[146:147], v[144:145]
	v_mul_f64 v[146:147], v[148:149], v[144:145]
	v_fma_f64 v[142:143], -v[142:143], v[146:147], v[148:149]
	v_div_fmas_f64 v[142:143], v[142:143], v[144:145], v[146:147]
	v_div_fixup_f64 v[142:143], v[142:143], v[140:141], v[138:139]
	v_fma_f64 v[138:139], v[138:139], v[142:143], v[140:141]
	v_div_scale_f64 v[140:141], null, v[138:139], v[138:139], 1.0
	v_rcp_f64_e32 v[144:145], v[140:141]
	v_fma_f64 v[146:147], -v[140:141], v[144:145], 1.0
	v_fma_f64 v[144:145], v[144:145], v[146:147], v[144:145]
	v_fma_f64 v[146:147], -v[140:141], v[144:145], 1.0
	v_fma_f64 v[144:145], v[144:145], v[146:147], v[144:145]
	v_div_scale_f64 v[146:147], vcc_lo, 1.0, v[138:139], 1.0
	v_mul_f64 v[148:149], v[146:147], v[144:145]
	v_fma_f64 v[140:141], -v[140:141], v[148:149], v[146:147]
	v_div_fmas_f64 v[140:141], v[140:141], v[144:145], v[148:149]
	v_div_fixup_f64 v[144:145], v[140:141], v[138:139], 1.0
                                        ; implicit-def: $vgpr138_vgpr139
	v_mul_f64 v[142:143], v[142:143], v[144:145]
	v_xor_b32_e32 v145, 0x80000000, v145
.LBB67_158:
	s_andn2_saveexec_b32 s1, s1
	s_cbranch_execz .LBB67_160
; %bb.159:
	v_div_scale_f64 v[142:143], null, v[138:139], v[138:139], v[140:141]
	v_div_scale_f64 v[148:149], vcc_lo, v[140:141], v[138:139], v[140:141]
	v_rcp_f64_e32 v[144:145], v[142:143]
	v_fma_f64 v[146:147], -v[142:143], v[144:145], 1.0
	v_fma_f64 v[144:145], v[144:145], v[146:147], v[144:145]
	v_fma_f64 v[146:147], -v[142:143], v[144:145], 1.0
	v_fma_f64 v[144:145], v[144:145], v[146:147], v[144:145]
	v_mul_f64 v[146:147], v[148:149], v[144:145]
	v_fma_f64 v[142:143], -v[142:143], v[146:147], v[148:149]
	v_div_fmas_f64 v[142:143], v[142:143], v[144:145], v[146:147]
	v_div_fixup_f64 v[144:145], v[142:143], v[138:139], v[140:141]
	v_fma_f64 v[138:139], v[140:141], v[144:145], v[138:139]
	v_div_scale_f64 v[140:141], null, v[138:139], v[138:139], 1.0
	v_rcp_f64_e32 v[142:143], v[140:141]
	v_fma_f64 v[146:147], -v[140:141], v[142:143], 1.0
	v_fma_f64 v[142:143], v[142:143], v[146:147], v[142:143]
	v_fma_f64 v[146:147], -v[140:141], v[142:143], 1.0
	v_fma_f64 v[142:143], v[142:143], v[146:147], v[142:143]
	v_div_scale_f64 v[146:147], vcc_lo, 1.0, v[138:139], 1.0
	v_mul_f64 v[148:149], v[146:147], v[142:143]
	v_fma_f64 v[140:141], -v[140:141], v[148:149], v[146:147]
	v_div_fmas_f64 v[140:141], v[140:141], v[142:143], v[148:149]
	v_div_fixup_f64 v[142:143], v[140:141], v[138:139], 1.0
	v_mul_f64 v[144:145], v[144:145], -v[142:143]
.LBB67_160:
	s_or_b32 exec_lo, exec_lo, s1
	ds_write2_b64 v1, v[142:143], v[144:145] offset1:1
.LBB67_161:
	s_or_b32 exec_lo, exec_lo, s2
	s_waitcnt lgkmcnt(0)
	s_barrier
	buffer_gl0_inv
	ds_read2_b64 v[138:141], v1 offset1:1
	s_mov_b32 s1, exec_lo
	s_waitcnt lgkmcnt(0)
	buffer_store_dword v138, off, s[16:19], 0 offset:280 ; 4-byte Folded Spill
	buffer_store_dword v139, off, s[16:19], 0 offset:284 ; 4-byte Folded Spill
	;; [unrolled: 1-line block ×4, first 2 shown]
	v_cmpx_lt_u32_e32 17, v0
	s_cbranch_execz .LBB67_163
; %bb.162:
	s_clause 0x3
	buffer_load_dword v140, off, s[16:19], 0 offset:280
	buffer_load_dword v141, off, s[16:19], 0 offset:284
	;; [unrolled: 1-line block ×4, first 2 shown]
	s_waitcnt vmcnt(2)
	v_mul_f64 v[138:139], v[140:141], v[68:69]
	s_waitcnt vmcnt(0)
	v_mul_f64 v[68:69], v[142:143], v[68:69]
	v_fma_f64 v[138:139], v[142:143], v[66:67], v[138:139]
	v_fma_f64 v[66:67], v[140:141], v[66:67], -v[68:69]
	ds_read2_b64 v[140:143], v160 offset0:36 offset1:37
	s_waitcnt lgkmcnt(0)
	v_mul_f64 v[68:69], v[142:143], v[138:139]
	v_fma_f64 v[68:69], v[140:141], v[66:67], -v[68:69]
	v_mul_f64 v[140:141], v[140:141], v[138:139]
	v_add_f64 v[62:63], v[62:63], -v[68:69]
	v_fma_f64 v[140:141], v[142:143], v[66:67], v[140:141]
	v_add_f64 v[64:65], v[64:65], -v[140:141]
	ds_read2_b64 v[140:143], v160 offset0:38 offset1:39
	s_waitcnt lgkmcnt(0)
	v_mul_f64 v[68:69], v[142:143], v[138:139]
	v_fma_f64 v[68:69], v[140:141], v[66:67], -v[68:69]
	v_mul_f64 v[140:141], v[140:141], v[138:139]
	v_add_f64 v[58:59], v[58:59], -v[68:69]
	v_fma_f64 v[140:141], v[142:143], v[66:67], v[140:141]
	v_add_f64 v[60:61], v[60:61], -v[140:141]
	;; [unrolled: 8-line block ×15, first 2 shown]
	ds_read2_b64 v[140:143], v160 offset0:66 offset1:67
	s_waitcnt lgkmcnt(0)
	v_mul_f64 v[68:69], v[142:143], v[138:139]
	v_fma_f64 v[68:69], v[140:141], v[66:67], -v[68:69]
	v_mul_f64 v[140:141], v[140:141], v[138:139]
	v_add_f64 v[2:3], v[2:3], -v[68:69]
	v_fma_f64 v[140:141], v[142:143], v[66:67], v[140:141]
	v_mov_b32_e32 v68, v138
	v_mov_b32_e32 v69, v139
	v_add_f64 v[4:5], v[4:5], -v[140:141]
.LBB67_163:
	s_or_b32 exec_lo, exec_lo, s1
	s_mov_b32 s2, exec_lo
	s_waitcnt_vscnt null, 0x0
	s_barrier
	buffer_gl0_inv
	v_cmpx_eq_u32_e32 18, v0
	s_cbranch_execz .LBB67_170
; %bb.164:
	ds_write2_b64 v1, v[62:63], v[64:65] offset1:1
	ds_write2_b64 v160, v[58:59], v[60:61] offset0:38 offset1:39
	ds_write2_b64 v160, v[54:55], v[56:57] offset0:40 offset1:41
	;; [unrolled: 1-line block ×15, first 2 shown]
	ds_read2_b64 v[138:141], v1 offset1:1
	s_waitcnt lgkmcnt(0)
	v_cmp_neq_f64_e32 vcc_lo, 0, v[138:139]
	v_cmp_neq_f64_e64 s1, 0, v[140:141]
	s_or_b32 s1, vcc_lo, s1
	s_and_b32 exec_lo, exec_lo, s1
	s_cbranch_execz .LBB67_170
; %bb.165:
	v_cmp_ngt_f64_e64 s1, |v[138:139]|, |v[140:141]|
                                        ; implicit-def: $vgpr142_vgpr143
	s_and_saveexec_b32 s3, s1
	s_xor_b32 s1, exec_lo, s3
                                        ; implicit-def: $vgpr144_vgpr145
	s_cbranch_execz .LBB67_167
; %bb.166:
	v_div_scale_f64 v[142:143], null, v[140:141], v[140:141], v[138:139]
	v_div_scale_f64 v[148:149], vcc_lo, v[138:139], v[140:141], v[138:139]
	v_rcp_f64_e32 v[144:145], v[142:143]
	v_fma_f64 v[146:147], -v[142:143], v[144:145], 1.0
	v_fma_f64 v[144:145], v[144:145], v[146:147], v[144:145]
	v_fma_f64 v[146:147], -v[142:143], v[144:145], 1.0
	v_fma_f64 v[144:145], v[144:145], v[146:147], v[144:145]
	v_mul_f64 v[146:147], v[148:149], v[144:145]
	v_fma_f64 v[142:143], -v[142:143], v[146:147], v[148:149]
	v_div_fmas_f64 v[142:143], v[142:143], v[144:145], v[146:147]
	v_div_fixup_f64 v[142:143], v[142:143], v[140:141], v[138:139]
	v_fma_f64 v[138:139], v[138:139], v[142:143], v[140:141]
	v_div_scale_f64 v[140:141], null, v[138:139], v[138:139], 1.0
	v_rcp_f64_e32 v[144:145], v[140:141]
	v_fma_f64 v[146:147], -v[140:141], v[144:145], 1.0
	v_fma_f64 v[144:145], v[144:145], v[146:147], v[144:145]
	v_fma_f64 v[146:147], -v[140:141], v[144:145], 1.0
	v_fma_f64 v[144:145], v[144:145], v[146:147], v[144:145]
	v_div_scale_f64 v[146:147], vcc_lo, 1.0, v[138:139], 1.0
	v_mul_f64 v[148:149], v[146:147], v[144:145]
	v_fma_f64 v[140:141], -v[140:141], v[148:149], v[146:147]
	v_div_fmas_f64 v[140:141], v[140:141], v[144:145], v[148:149]
	v_div_fixup_f64 v[144:145], v[140:141], v[138:139], 1.0
                                        ; implicit-def: $vgpr138_vgpr139
	v_mul_f64 v[142:143], v[142:143], v[144:145]
	v_xor_b32_e32 v145, 0x80000000, v145
.LBB67_167:
	s_andn2_saveexec_b32 s1, s1
	s_cbranch_execz .LBB67_169
; %bb.168:
	v_div_scale_f64 v[142:143], null, v[138:139], v[138:139], v[140:141]
	v_div_scale_f64 v[148:149], vcc_lo, v[140:141], v[138:139], v[140:141]
	v_rcp_f64_e32 v[144:145], v[142:143]
	v_fma_f64 v[146:147], -v[142:143], v[144:145], 1.0
	v_fma_f64 v[144:145], v[144:145], v[146:147], v[144:145]
	v_fma_f64 v[146:147], -v[142:143], v[144:145], 1.0
	v_fma_f64 v[144:145], v[144:145], v[146:147], v[144:145]
	v_mul_f64 v[146:147], v[148:149], v[144:145]
	v_fma_f64 v[142:143], -v[142:143], v[146:147], v[148:149]
	v_div_fmas_f64 v[142:143], v[142:143], v[144:145], v[146:147]
	v_div_fixup_f64 v[144:145], v[142:143], v[138:139], v[140:141]
	v_fma_f64 v[138:139], v[140:141], v[144:145], v[138:139]
	v_div_scale_f64 v[140:141], null, v[138:139], v[138:139], 1.0
	v_rcp_f64_e32 v[142:143], v[140:141]
	v_fma_f64 v[146:147], -v[140:141], v[142:143], 1.0
	v_fma_f64 v[142:143], v[142:143], v[146:147], v[142:143]
	v_fma_f64 v[146:147], -v[140:141], v[142:143], 1.0
	v_fma_f64 v[142:143], v[142:143], v[146:147], v[142:143]
	v_div_scale_f64 v[146:147], vcc_lo, 1.0, v[138:139], 1.0
	v_mul_f64 v[148:149], v[146:147], v[142:143]
	v_fma_f64 v[140:141], -v[140:141], v[148:149], v[146:147]
	v_div_fmas_f64 v[140:141], v[140:141], v[142:143], v[148:149]
	v_div_fixup_f64 v[142:143], v[140:141], v[138:139], 1.0
	v_mul_f64 v[144:145], v[144:145], -v[142:143]
.LBB67_169:
	s_or_b32 exec_lo, exec_lo, s1
	ds_write2_b64 v1, v[142:143], v[144:145] offset1:1
.LBB67_170:
	s_or_b32 exec_lo, exec_lo, s2
	s_waitcnt lgkmcnt(0)
	s_barrier
	buffer_gl0_inv
	ds_read2_b64 v[138:141], v1 offset1:1
	s_mov_b32 s1, exec_lo
	s_waitcnt lgkmcnt(0)
	buffer_store_dword v138, off, s[16:19], 0 offset:296 ; 4-byte Folded Spill
	buffer_store_dword v139, off, s[16:19], 0 offset:300 ; 4-byte Folded Spill
	;; [unrolled: 1-line block ×4, first 2 shown]
	v_cmpx_lt_u32_e32 18, v0
	s_cbranch_execz .LBB67_172
; %bb.171:
	s_clause 0x3
	buffer_load_dword v140, off, s[16:19], 0 offset:296
	buffer_load_dword v141, off, s[16:19], 0 offset:300
	buffer_load_dword v142, off, s[16:19], 0 offset:304
	buffer_load_dword v143, off, s[16:19], 0 offset:308
	s_waitcnt vmcnt(2)
	v_mul_f64 v[138:139], v[140:141], v[64:65]
	s_waitcnt vmcnt(0)
	v_mul_f64 v[64:65], v[142:143], v[64:65]
	v_fma_f64 v[138:139], v[142:143], v[62:63], v[138:139]
	v_fma_f64 v[62:63], v[140:141], v[62:63], -v[64:65]
	ds_read2_b64 v[140:143], v160 offset0:38 offset1:39
	s_waitcnt lgkmcnt(0)
	v_mul_f64 v[64:65], v[142:143], v[138:139]
	v_fma_f64 v[64:65], v[140:141], v[62:63], -v[64:65]
	v_mul_f64 v[140:141], v[140:141], v[138:139]
	v_add_f64 v[58:59], v[58:59], -v[64:65]
	v_fma_f64 v[140:141], v[142:143], v[62:63], v[140:141]
	v_add_f64 v[60:61], v[60:61], -v[140:141]
	ds_read2_b64 v[140:143], v160 offset0:40 offset1:41
	s_waitcnt lgkmcnt(0)
	v_mul_f64 v[64:65], v[142:143], v[138:139]
	v_fma_f64 v[64:65], v[140:141], v[62:63], -v[64:65]
	v_mul_f64 v[140:141], v[140:141], v[138:139]
	v_add_f64 v[54:55], v[54:55], -v[64:65]
	v_fma_f64 v[140:141], v[142:143], v[62:63], v[140:141]
	v_add_f64 v[56:57], v[56:57], -v[140:141]
	;; [unrolled: 8-line block ×14, first 2 shown]
	ds_read2_b64 v[140:143], v160 offset0:66 offset1:67
	s_waitcnt lgkmcnt(0)
	v_mul_f64 v[64:65], v[142:143], v[138:139]
	v_fma_f64 v[64:65], v[140:141], v[62:63], -v[64:65]
	v_mul_f64 v[140:141], v[140:141], v[138:139]
	v_add_f64 v[2:3], v[2:3], -v[64:65]
	v_fma_f64 v[140:141], v[142:143], v[62:63], v[140:141]
	v_mov_b32_e32 v64, v138
	v_mov_b32_e32 v65, v139
	v_add_f64 v[4:5], v[4:5], -v[140:141]
.LBB67_172:
	s_or_b32 exec_lo, exec_lo, s1
	s_mov_b32 s2, exec_lo
	s_waitcnt_vscnt null, 0x0
	s_barrier
	buffer_gl0_inv
	v_cmpx_eq_u32_e32 19, v0
	s_cbranch_execz .LBB67_179
; %bb.173:
	ds_write2_b64 v1, v[58:59], v[60:61] offset1:1
	ds_write2_b64 v160, v[54:55], v[56:57] offset0:40 offset1:41
	ds_write2_b64 v160, v[50:51], v[52:53] offset0:42 offset1:43
	;; [unrolled: 1-line block ×14, first 2 shown]
	ds_read2_b64 v[138:141], v1 offset1:1
	s_waitcnt lgkmcnt(0)
	v_cmp_neq_f64_e32 vcc_lo, 0, v[138:139]
	v_cmp_neq_f64_e64 s1, 0, v[140:141]
	s_or_b32 s1, vcc_lo, s1
	s_and_b32 exec_lo, exec_lo, s1
	s_cbranch_execz .LBB67_179
; %bb.174:
	v_cmp_ngt_f64_e64 s1, |v[138:139]|, |v[140:141]|
                                        ; implicit-def: $vgpr142_vgpr143
	s_and_saveexec_b32 s3, s1
	s_xor_b32 s1, exec_lo, s3
                                        ; implicit-def: $vgpr144_vgpr145
	s_cbranch_execz .LBB67_176
; %bb.175:
	v_div_scale_f64 v[142:143], null, v[140:141], v[140:141], v[138:139]
	v_div_scale_f64 v[148:149], vcc_lo, v[138:139], v[140:141], v[138:139]
	v_rcp_f64_e32 v[144:145], v[142:143]
	v_fma_f64 v[146:147], -v[142:143], v[144:145], 1.0
	v_fma_f64 v[144:145], v[144:145], v[146:147], v[144:145]
	v_fma_f64 v[146:147], -v[142:143], v[144:145], 1.0
	v_fma_f64 v[144:145], v[144:145], v[146:147], v[144:145]
	v_mul_f64 v[146:147], v[148:149], v[144:145]
	v_fma_f64 v[142:143], -v[142:143], v[146:147], v[148:149]
	v_div_fmas_f64 v[142:143], v[142:143], v[144:145], v[146:147]
	v_div_fixup_f64 v[142:143], v[142:143], v[140:141], v[138:139]
	v_fma_f64 v[138:139], v[138:139], v[142:143], v[140:141]
	v_div_scale_f64 v[140:141], null, v[138:139], v[138:139], 1.0
	v_rcp_f64_e32 v[144:145], v[140:141]
	v_fma_f64 v[146:147], -v[140:141], v[144:145], 1.0
	v_fma_f64 v[144:145], v[144:145], v[146:147], v[144:145]
	v_fma_f64 v[146:147], -v[140:141], v[144:145], 1.0
	v_fma_f64 v[144:145], v[144:145], v[146:147], v[144:145]
	v_div_scale_f64 v[146:147], vcc_lo, 1.0, v[138:139], 1.0
	v_mul_f64 v[148:149], v[146:147], v[144:145]
	v_fma_f64 v[140:141], -v[140:141], v[148:149], v[146:147]
	v_div_fmas_f64 v[140:141], v[140:141], v[144:145], v[148:149]
	v_div_fixup_f64 v[144:145], v[140:141], v[138:139], 1.0
                                        ; implicit-def: $vgpr138_vgpr139
	v_mul_f64 v[142:143], v[142:143], v[144:145]
	v_xor_b32_e32 v145, 0x80000000, v145
.LBB67_176:
	s_andn2_saveexec_b32 s1, s1
	s_cbranch_execz .LBB67_178
; %bb.177:
	v_div_scale_f64 v[142:143], null, v[138:139], v[138:139], v[140:141]
	v_div_scale_f64 v[148:149], vcc_lo, v[140:141], v[138:139], v[140:141]
	v_rcp_f64_e32 v[144:145], v[142:143]
	v_fma_f64 v[146:147], -v[142:143], v[144:145], 1.0
	v_fma_f64 v[144:145], v[144:145], v[146:147], v[144:145]
	v_fma_f64 v[146:147], -v[142:143], v[144:145], 1.0
	v_fma_f64 v[144:145], v[144:145], v[146:147], v[144:145]
	v_mul_f64 v[146:147], v[148:149], v[144:145]
	v_fma_f64 v[142:143], -v[142:143], v[146:147], v[148:149]
	v_div_fmas_f64 v[142:143], v[142:143], v[144:145], v[146:147]
	v_div_fixup_f64 v[144:145], v[142:143], v[138:139], v[140:141]
	v_fma_f64 v[138:139], v[140:141], v[144:145], v[138:139]
	v_div_scale_f64 v[140:141], null, v[138:139], v[138:139], 1.0
	v_rcp_f64_e32 v[142:143], v[140:141]
	v_fma_f64 v[146:147], -v[140:141], v[142:143], 1.0
	v_fma_f64 v[142:143], v[142:143], v[146:147], v[142:143]
	v_fma_f64 v[146:147], -v[140:141], v[142:143], 1.0
	v_fma_f64 v[142:143], v[142:143], v[146:147], v[142:143]
	v_div_scale_f64 v[146:147], vcc_lo, 1.0, v[138:139], 1.0
	v_mul_f64 v[148:149], v[146:147], v[142:143]
	v_fma_f64 v[140:141], -v[140:141], v[148:149], v[146:147]
	v_div_fmas_f64 v[140:141], v[140:141], v[142:143], v[148:149]
	v_div_fixup_f64 v[142:143], v[140:141], v[138:139], 1.0
	v_mul_f64 v[144:145], v[144:145], -v[142:143]
.LBB67_178:
	s_or_b32 exec_lo, exec_lo, s1
	ds_write2_b64 v1, v[142:143], v[144:145] offset1:1
.LBB67_179:
	s_or_b32 exec_lo, exec_lo, s2
	s_waitcnt lgkmcnt(0)
	s_barrier
	buffer_gl0_inv
	ds_read2_b64 v[138:141], v1 offset1:1
	s_mov_b32 s1, exec_lo
	s_waitcnt lgkmcnt(0)
	buffer_store_dword v138, off, s[16:19], 0 offset:312 ; 4-byte Folded Spill
	buffer_store_dword v139, off, s[16:19], 0 offset:316 ; 4-byte Folded Spill
	;; [unrolled: 1-line block ×4, first 2 shown]
	v_cmpx_lt_u32_e32 19, v0
	s_cbranch_execz .LBB67_181
; %bb.180:
	s_clause 0x3
	buffer_load_dword v140, off, s[16:19], 0 offset:312
	buffer_load_dword v141, off, s[16:19], 0 offset:316
	;; [unrolled: 1-line block ×4, first 2 shown]
	s_waitcnt vmcnt(2)
	v_mul_f64 v[138:139], v[140:141], v[60:61]
	s_waitcnt vmcnt(0)
	v_mul_f64 v[60:61], v[142:143], v[60:61]
	v_fma_f64 v[138:139], v[142:143], v[58:59], v[138:139]
	v_fma_f64 v[58:59], v[140:141], v[58:59], -v[60:61]
	ds_read2_b64 v[140:143], v160 offset0:40 offset1:41
	s_waitcnt lgkmcnt(0)
	v_mul_f64 v[60:61], v[142:143], v[138:139]
	v_fma_f64 v[60:61], v[140:141], v[58:59], -v[60:61]
	v_mul_f64 v[140:141], v[140:141], v[138:139]
	v_add_f64 v[54:55], v[54:55], -v[60:61]
	v_fma_f64 v[140:141], v[142:143], v[58:59], v[140:141]
	v_add_f64 v[56:57], v[56:57], -v[140:141]
	ds_read2_b64 v[140:143], v160 offset0:42 offset1:43
	s_waitcnt lgkmcnt(0)
	v_mul_f64 v[60:61], v[142:143], v[138:139]
	v_fma_f64 v[60:61], v[140:141], v[58:59], -v[60:61]
	v_mul_f64 v[140:141], v[140:141], v[138:139]
	v_add_f64 v[50:51], v[50:51], -v[60:61]
	v_fma_f64 v[140:141], v[142:143], v[58:59], v[140:141]
	v_add_f64 v[52:53], v[52:53], -v[140:141]
	;; [unrolled: 8-line block ×13, first 2 shown]
	ds_read2_b64 v[140:143], v160 offset0:66 offset1:67
	s_waitcnt lgkmcnt(0)
	v_mul_f64 v[60:61], v[142:143], v[138:139]
	v_fma_f64 v[60:61], v[140:141], v[58:59], -v[60:61]
	v_mul_f64 v[140:141], v[140:141], v[138:139]
	v_add_f64 v[2:3], v[2:3], -v[60:61]
	v_fma_f64 v[140:141], v[142:143], v[58:59], v[140:141]
	v_mov_b32_e32 v60, v138
	v_mov_b32_e32 v61, v139
	v_add_f64 v[4:5], v[4:5], -v[140:141]
.LBB67_181:
	s_or_b32 exec_lo, exec_lo, s1
	s_mov_b32 s2, exec_lo
	s_waitcnt_vscnt null, 0x0
	s_barrier
	buffer_gl0_inv
	v_cmpx_eq_u32_e32 20, v0
	s_cbranch_execz .LBB67_188
; %bb.182:
	ds_write2_b64 v1, v[54:55], v[56:57] offset1:1
	ds_write2_b64 v160, v[50:51], v[52:53] offset0:42 offset1:43
	ds_write2_b64 v160, v[46:47], v[48:49] offset0:44 offset1:45
	;; [unrolled: 1-line block ×13, first 2 shown]
	ds_read2_b64 v[138:141], v1 offset1:1
	s_waitcnt lgkmcnt(0)
	v_cmp_neq_f64_e32 vcc_lo, 0, v[138:139]
	v_cmp_neq_f64_e64 s1, 0, v[140:141]
	s_or_b32 s1, vcc_lo, s1
	s_and_b32 exec_lo, exec_lo, s1
	s_cbranch_execz .LBB67_188
; %bb.183:
	v_cmp_ngt_f64_e64 s1, |v[138:139]|, |v[140:141]|
                                        ; implicit-def: $vgpr142_vgpr143
	s_and_saveexec_b32 s3, s1
	s_xor_b32 s1, exec_lo, s3
                                        ; implicit-def: $vgpr144_vgpr145
	s_cbranch_execz .LBB67_185
; %bb.184:
	v_div_scale_f64 v[142:143], null, v[140:141], v[140:141], v[138:139]
	v_div_scale_f64 v[148:149], vcc_lo, v[138:139], v[140:141], v[138:139]
	v_rcp_f64_e32 v[144:145], v[142:143]
	v_fma_f64 v[146:147], -v[142:143], v[144:145], 1.0
	v_fma_f64 v[144:145], v[144:145], v[146:147], v[144:145]
	v_fma_f64 v[146:147], -v[142:143], v[144:145], 1.0
	v_fma_f64 v[144:145], v[144:145], v[146:147], v[144:145]
	v_mul_f64 v[146:147], v[148:149], v[144:145]
	v_fma_f64 v[142:143], -v[142:143], v[146:147], v[148:149]
	v_div_fmas_f64 v[142:143], v[142:143], v[144:145], v[146:147]
	v_div_fixup_f64 v[142:143], v[142:143], v[140:141], v[138:139]
	v_fma_f64 v[138:139], v[138:139], v[142:143], v[140:141]
	v_div_scale_f64 v[140:141], null, v[138:139], v[138:139], 1.0
	v_rcp_f64_e32 v[144:145], v[140:141]
	v_fma_f64 v[146:147], -v[140:141], v[144:145], 1.0
	v_fma_f64 v[144:145], v[144:145], v[146:147], v[144:145]
	v_fma_f64 v[146:147], -v[140:141], v[144:145], 1.0
	v_fma_f64 v[144:145], v[144:145], v[146:147], v[144:145]
	v_div_scale_f64 v[146:147], vcc_lo, 1.0, v[138:139], 1.0
	v_mul_f64 v[148:149], v[146:147], v[144:145]
	v_fma_f64 v[140:141], -v[140:141], v[148:149], v[146:147]
	v_div_fmas_f64 v[140:141], v[140:141], v[144:145], v[148:149]
	v_div_fixup_f64 v[144:145], v[140:141], v[138:139], 1.0
                                        ; implicit-def: $vgpr138_vgpr139
	v_mul_f64 v[142:143], v[142:143], v[144:145]
	v_xor_b32_e32 v145, 0x80000000, v145
.LBB67_185:
	s_andn2_saveexec_b32 s1, s1
	s_cbranch_execz .LBB67_187
; %bb.186:
	v_div_scale_f64 v[142:143], null, v[138:139], v[138:139], v[140:141]
	v_div_scale_f64 v[148:149], vcc_lo, v[140:141], v[138:139], v[140:141]
	v_rcp_f64_e32 v[144:145], v[142:143]
	v_fma_f64 v[146:147], -v[142:143], v[144:145], 1.0
	v_fma_f64 v[144:145], v[144:145], v[146:147], v[144:145]
	v_fma_f64 v[146:147], -v[142:143], v[144:145], 1.0
	v_fma_f64 v[144:145], v[144:145], v[146:147], v[144:145]
	v_mul_f64 v[146:147], v[148:149], v[144:145]
	v_fma_f64 v[142:143], -v[142:143], v[146:147], v[148:149]
	v_div_fmas_f64 v[142:143], v[142:143], v[144:145], v[146:147]
	v_div_fixup_f64 v[144:145], v[142:143], v[138:139], v[140:141]
	v_fma_f64 v[138:139], v[140:141], v[144:145], v[138:139]
	v_div_scale_f64 v[140:141], null, v[138:139], v[138:139], 1.0
	v_rcp_f64_e32 v[142:143], v[140:141]
	v_fma_f64 v[146:147], -v[140:141], v[142:143], 1.0
	v_fma_f64 v[142:143], v[142:143], v[146:147], v[142:143]
	v_fma_f64 v[146:147], -v[140:141], v[142:143], 1.0
	v_fma_f64 v[142:143], v[142:143], v[146:147], v[142:143]
	v_div_scale_f64 v[146:147], vcc_lo, 1.0, v[138:139], 1.0
	v_mul_f64 v[148:149], v[146:147], v[142:143]
	v_fma_f64 v[140:141], -v[140:141], v[148:149], v[146:147]
	v_div_fmas_f64 v[140:141], v[140:141], v[142:143], v[148:149]
	v_div_fixup_f64 v[142:143], v[140:141], v[138:139], 1.0
	v_mul_f64 v[144:145], v[144:145], -v[142:143]
.LBB67_187:
	s_or_b32 exec_lo, exec_lo, s1
	ds_write2_b64 v1, v[142:143], v[144:145] offset1:1
.LBB67_188:
	s_or_b32 exec_lo, exec_lo, s2
	s_waitcnt lgkmcnt(0)
	s_barrier
	buffer_gl0_inv
	ds_read2_b64 v[138:141], v1 offset1:1
	s_mov_b32 s1, exec_lo
	s_waitcnt lgkmcnt(0)
	buffer_store_dword v138, off, s[16:19], 0 offset:328 ; 4-byte Folded Spill
	buffer_store_dword v139, off, s[16:19], 0 offset:332 ; 4-byte Folded Spill
	;; [unrolled: 1-line block ×4, first 2 shown]
	v_cmpx_lt_u32_e32 20, v0
	s_cbranch_execz .LBB67_190
; %bb.189:
	s_clause 0x3
	buffer_load_dword v140, off, s[16:19], 0 offset:328
	buffer_load_dword v141, off, s[16:19], 0 offset:332
	;; [unrolled: 1-line block ×4, first 2 shown]
	s_waitcnt vmcnt(2)
	v_mul_f64 v[138:139], v[140:141], v[56:57]
	s_waitcnt vmcnt(0)
	v_mul_f64 v[56:57], v[142:143], v[56:57]
	v_fma_f64 v[138:139], v[142:143], v[54:55], v[138:139]
	v_fma_f64 v[54:55], v[140:141], v[54:55], -v[56:57]
	ds_read2_b64 v[140:143], v160 offset0:42 offset1:43
	s_waitcnt lgkmcnt(0)
	v_mul_f64 v[56:57], v[142:143], v[138:139]
	v_fma_f64 v[56:57], v[140:141], v[54:55], -v[56:57]
	v_mul_f64 v[140:141], v[140:141], v[138:139]
	v_add_f64 v[50:51], v[50:51], -v[56:57]
	v_fma_f64 v[140:141], v[142:143], v[54:55], v[140:141]
	v_add_f64 v[52:53], v[52:53], -v[140:141]
	ds_read2_b64 v[140:143], v160 offset0:44 offset1:45
	s_waitcnt lgkmcnt(0)
	v_mul_f64 v[56:57], v[142:143], v[138:139]
	v_fma_f64 v[56:57], v[140:141], v[54:55], -v[56:57]
	v_mul_f64 v[140:141], v[140:141], v[138:139]
	v_add_f64 v[46:47], v[46:47], -v[56:57]
	v_fma_f64 v[140:141], v[142:143], v[54:55], v[140:141]
	v_add_f64 v[48:49], v[48:49], -v[140:141]
	;; [unrolled: 8-line block ×12, first 2 shown]
	ds_read2_b64 v[140:143], v160 offset0:66 offset1:67
	s_waitcnt lgkmcnt(0)
	v_mul_f64 v[56:57], v[142:143], v[138:139]
	v_fma_f64 v[56:57], v[140:141], v[54:55], -v[56:57]
	v_mul_f64 v[140:141], v[140:141], v[138:139]
	v_add_f64 v[2:3], v[2:3], -v[56:57]
	v_fma_f64 v[140:141], v[142:143], v[54:55], v[140:141]
	v_mov_b32_e32 v56, v138
	v_mov_b32_e32 v57, v139
	v_add_f64 v[4:5], v[4:5], -v[140:141]
.LBB67_190:
	s_or_b32 exec_lo, exec_lo, s1
	s_mov_b32 s2, exec_lo
	s_waitcnt_vscnt null, 0x0
	s_barrier
	buffer_gl0_inv
	v_cmpx_eq_u32_e32 21, v0
	s_cbranch_execz .LBB67_197
; %bb.191:
	ds_write2_b64 v1, v[50:51], v[52:53] offset1:1
	ds_write2_b64 v160, v[46:47], v[48:49] offset0:44 offset1:45
	ds_write2_b64 v160, v[42:43], v[44:45] offset0:46 offset1:47
	;; [unrolled: 1-line block ×12, first 2 shown]
	ds_read2_b64 v[138:141], v1 offset1:1
	s_waitcnt lgkmcnt(0)
	v_cmp_neq_f64_e32 vcc_lo, 0, v[138:139]
	v_cmp_neq_f64_e64 s1, 0, v[140:141]
	s_or_b32 s1, vcc_lo, s1
	s_and_b32 exec_lo, exec_lo, s1
	s_cbranch_execz .LBB67_197
; %bb.192:
	v_cmp_ngt_f64_e64 s1, |v[138:139]|, |v[140:141]|
                                        ; implicit-def: $vgpr142_vgpr143
	s_and_saveexec_b32 s3, s1
	s_xor_b32 s1, exec_lo, s3
                                        ; implicit-def: $vgpr144_vgpr145
	s_cbranch_execz .LBB67_194
; %bb.193:
	v_div_scale_f64 v[142:143], null, v[140:141], v[140:141], v[138:139]
	v_div_scale_f64 v[148:149], vcc_lo, v[138:139], v[140:141], v[138:139]
	v_rcp_f64_e32 v[144:145], v[142:143]
	v_fma_f64 v[146:147], -v[142:143], v[144:145], 1.0
	v_fma_f64 v[144:145], v[144:145], v[146:147], v[144:145]
	v_fma_f64 v[146:147], -v[142:143], v[144:145], 1.0
	v_fma_f64 v[144:145], v[144:145], v[146:147], v[144:145]
	v_mul_f64 v[146:147], v[148:149], v[144:145]
	v_fma_f64 v[142:143], -v[142:143], v[146:147], v[148:149]
	v_div_fmas_f64 v[142:143], v[142:143], v[144:145], v[146:147]
	v_div_fixup_f64 v[142:143], v[142:143], v[140:141], v[138:139]
	v_fma_f64 v[138:139], v[138:139], v[142:143], v[140:141]
	v_div_scale_f64 v[140:141], null, v[138:139], v[138:139], 1.0
	v_rcp_f64_e32 v[144:145], v[140:141]
	v_fma_f64 v[146:147], -v[140:141], v[144:145], 1.0
	v_fma_f64 v[144:145], v[144:145], v[146:147], v[144:145]
	v_fma_f64 v[146:147], -v[140:141], v[144:145], 1.0
	v_fma_f64 v[144:145], v[144:145], v[146:147], v[144:145]
	v_div_scale_f64 v[146:147], vcc_lo, 1.0, v[138:139], 1.0
	v_mul_f64 v[148:149], v[146:147], v[144:145]
	v_fma_f64 v[140:141], -v[140:141], v[148:149], v[146:147]
	v_div_fmas_f64 v[140:141], v[140:141], v[144:145], v[148:149]
	v_div_fixup_f64 v[144:145], v[140:141], v[138:139], 1.0
                                        ; implicit-def: $vgpr138_vgpr139
	v_mul_f64 v[142:143], v[142:143], v[144:145]
	v_xor_b32_e32 v145, 0x80000000, v145
.LBB67_194:
	s_andn2_saveexec_b32 s1, s1
	s_cbranch_execz .LBB67_196
; %bb.195:
	v_div_scale_f64 v[142:143], null, v[138:139], v[138:139], v[140:141]
	v_div_scale_f64 v[148:149], vcc_lo, v[140:141], v[138:139], v[140:141]
	v_rcp_f64_e32 v[144:145], v[142:143]
	v_fma_f64 v[146:147], -v[142:143], v[144:145], 1.0
	v_fma_f64 v[144:145], v[144:145], v[146:147], v[144:145]
	v_fma_f64 v[146:147], -v[142:143], v[144:145], 1.0
	v_fma_f64 v[144:145], v[144:145], v[146:147], v[144:145]
	v_mul_f64 v[146:147], v[148:149], v[144:145]
	v_fma_f64 v[142:143], -v[142:143], v[146:147], v[148:149]
	v_div_fmas_f64 v[142:143], v[142:143], v[144:145], v[146:147]
	v_div_fixup_f64 v[144:145], v[142:143], v[138:139], v[140:141]
	v_fma_f64 v[138:139], v[140:141], v[144:145], v[138:139]
	v_div_scale_f64 v[140:141], null, v[138:139], v[138:139], 1.0
	v_rcp_f64_e32 v[142:143], v[140:141]
	v_fma_f64 v[146:147], -v[140:141], v[142:143], 1.0
	v_fma_f64 v[142:143], v[142:143], v[146:147], v[142:143]
	v_fma_f64 v[146:147], -v[140:141], v[142:143], 1.0
	v_fma_f64 v[142:143], v[142:143], v[146:147], v[142:143]
	v_div_scale_f64 v[146:147], vcc_lo, 1.0, v[138:139], 1.0
	v_mul_f64 v[148:149], v[146:147], v[142:143]
	v_fma_f64 v[140:141], -v[140:141], v[148:149], v[146:147]
	v_div_fmas_f64 v[140:141], v[140:141], v[142:143], v[148:149]
	v_div_fixup_f64 v[142:143], v[140:141], v[138:139], 1.0
	v_mul_f64 v[144:145], v[144:145], -v[142:143]
.LBB67_196:
	s_or_b32 exec_lo, exec_lo, s1
	ds_write2_b64 v1, v[142:143], v[144:145] offset1:1
.LBB67_197:
	s_or_b32 exec_lo, exec_lo, s2
	s_waitcnt lgkmcnt(0)
	s_barrier
	buffer_gl0_inv
	ds_read2_b64 v[138:141], v1 offset1:1
	s_mov_b32 s1, exec_lo
	s_waitcnt lgkmcnt(0)
	buffer_store_dword v138, off, s[16:19], 0 offset:344 ; 4-byte Folded Spill
	buffer_store_dword v139, off, s[16:19], 0 offset:348 ; 4-byte Folded Spill
	;; [unrolled: 1-line block ×4, first 2 shown]
	v_cmpx_lt_u32_e32 21, v0
	s_cbranch_execz .LBB67_199
; %bb.198:
	s_clause 0x3
	buffer_load_dword v144, off, s[16:19], 0 offset:344
	buffer_load_dword v145, off, s[16:19], 0 offset:348
	;; [unrolled: 1-line block ×4, first 2 shown]
	s_waitcnt vmcnt(2)
	v_mul_f64 v[138:139], v[144:145], v[52:53]
	s_waitcnt vmcnt(0)
	v_mul_f64 v[52:53], v[146:147], v[52:53]
	v_fma_f64 v[142:143], v[146:147], v[50:51], v[138:139]
	ds_read2_b64 v[138:141], v160 offset0:44 offset1:45
	v_fma_f64 v[50:51], v[144:145], v[50:51], -v[52:53]
	s_waitcnt lgkmcnt(0)
	v_mul_f64 v[52:53], v[140:141], v[142:143]
	v_fma_f64 v[52:53], v[138:139], v[50:51], -v[52:53]
	v_mul_f64 v[138:139], v[138:139], v[142:143]
	v_add_f64 v[46:47], v[46:47], -v[52:53]
	v_fma_f64 v[138:139], v[140:141], v[50:51], v[138:139]
	v_add_f64 v[48:49], v[48:49], -v[138:139]
	ds_read2_b64 v[138:141], v160 offset0:46 offset1:47
	s_waitcnt lgkmcnt(0)
	v_mul_f64 v[52:53], v[140:141], v[142:143]
	v_fma_f64 v[52:53], v[138:139], v[50:51], -v[52:53]
	v_mul_f64 v[138:139], v[138:139], v[142:143]
	v_add_f64 v[42:43], v[42:43], -v[52:53]
	v_fma_f64 v[138:139], v[140:141], v[50:51], v[138:139]
	v_add_f64 v[44:45], v[44:45], -v[138:139]
	ds_read2_b64 v[138:141], v160 offset0:48 offset1:49
	;; [unrolled: 8-line block ×11, first 2 shown]
	s_waitcnt lgkmcnt(0)
	v_mul_f64 v[52:53], v[140:141], v[142:143]
	v_fma_f64 v[52:53], v[138:139], v[50:51], -v[52:53]
	v_mul_f64 v[138:139], v[138:139], v[142:143]
	v_add_f64 v[2:3], v[2:3], -v[52:53]
	v_fma_f64 v[138:139], v[140:141], v[50:51], v[138:139]
	v_mov_b32_e32 v52, v142
	v_mov_b32_e32 v53, v143
	v_add_f64 v[4:5], v[4:5], -v[138:139]
.LBB67_199:
	s_or_b32 exec_lo, exec_lo, s1
	s_mov_b32 s2, exec_lo
	s_waitcnt_vscnt null, 0x0
	s_barrier
	buffer_gl0_inv
	v_cmpx_eq_u32_e32 22, v0
	s_cbranch_execz .LBB67_206
; %bb.200:
	ds_write2_b64 v1, v[46:47], v[48:49] offset1:1
	ds_write2_b64 v160, v[42:43], v[44:45] offset0:46 offset1:47
	ds_write2_b64 v160, v[38:39], v[40:41] offset0:48 offset1:49
	;; [unrolled: 1-line block ×11, first 2 shown]
	ds_read2_b64 v[138:141], v1 offset1:1
	s_waitcnt lgkmcnt(0)
	v_cmp_neq_f64_e32 vcc_lo, 0, v[138:139]
	v_cmp_neq_f64_e64 s1, 0, v[140:141]
	s_or_b32 s1, vcc_lo, s1
	s_and_b32 exec_lo, exec_lo, s1
	s_cbranch_execz .LBB67_206
; %bb.201:
	v_cmp_ngt_f64_e64 s1, |v[138:139]|, |v[140:141]|
                                        ; implicit-def: $vgpr142_vgpr143
	s_and_saveexec_b32 s3, s1
	s_xor_b32 s1, exec_lo, s3
                                        ; implicit-def: $vgpr144_vgpr145
	s_cbranch_execz .LBB67_203
; %bb.202:
	v_div_scale_f64 v[142:143], null, v[140:141], v[140:141], v[138:139]
	v_div_scale_f64 v[148:149], vcc_lo, v[138:139], v[140:141], v[138:139]
	v_rcp_f64_e32 v[144:145], v[142:143]
	v_fma_f64 v[146:147], -v[142:143], v[144:145], 1.0
	v_fma_f64 v[144:145], v[144:145], v[146:147], v[144:145]
	v_fma_f64 v[146:147], -v[142:143], v[144:145], 1.0
	v_fma_f64 v[144:145], v[144:145], v[146:147], v[144:145]
	v_mul_f64 v[146:147], v[148:149], v[144:145]
	v_fma_f64 v[142:143], -v[142:143], v[146:147], v[148:149]
	v_div_fmas_f64 v[142:143], v[142:143], v[144:145], v[146:147]
	v_div_fixup_f64 v[142:143], v[142:143], v[140:141], v[138:139]
	v_fma_f64 v[138:139], v[138:139], v[142:143], v[140:141]
	v_div_scale_f64 v[140:141], null, v[138:139], v[138:139], 1.0
	v_rcp_f64_e32 v[144:145], v[140:141]
	v_fma_f64 v[146:147], -v[140:141], v[144:145], 1.0
	v_fma_f64 v[144:145], v[144:145], v[146:147], v[144:145]
	v_fma_f64 v[146:147], -v[140:141], v[144:145], 1.0
	v_fma_f64 v[144:145], v[144:145], v[146:147], v[144:145]
	v_div_scale_f64 v[146:147], vcc_lo, 1.0, v[138:139], 1.0
	v_mul_f64 v[148:149], v[146:147], v[144:145]
	v_fma_f64 v[140:141], -v[140:141], v[148:149], v[146:147]
	v_div_fmas_f64 v[140:141], v[140:141], v[144:145], v[148:149]
	v_div_fixup_f64 v[144:145], v[140:141], v[138:139], 1.0
                                        ; implicit-def: $vgpr138_vgpr139
	v_mul_f64 v[142:143], v[142:143], v[144:145]
	v_xor_b32_e32 v145, 0x80000000, v145
.LBB67_203:
	s_andn2_saveexec_b32 s1, s1
	s_cbranch_execz .LBB67_205
; %bb.204:
	v_div_scale_f64 v[142:143], null, v[138:139], v[138:139], v[140:141]
	v_div_scale_f64 v[148:149], vcc_lo, v[140:141], v[138:139], v[140:141]
	v_rcp_f64_e32 v[144:145], v[142:143]
	v_fma_f64 v[146:147], -v[142:143], v[144:145], 1.0
	v_fma_f64 v[144:145], v[144:145], v[146:147], v[144:145]
	v_fma_f64 v[146:147], -v[142:143], v[144:145], 1.0
	v_fma_f64 v[144:145], v[144:145], v[146:147], v[144:145]
	v_mul_f64 v[146:147], v[148:149], v[144:145]
	v_fma_f64 v[142:143], -v[142:143], v[146:147], v[148:149]
	v_div_fmas_f64 v[142:143], v[142:143], v[144:145], v[146:147]
	v_div_fixup_f64 v[144:145], v[142:143], v[138:139], v[140:141]
	v_fma_f64 v[138:139], v[140:141], v[144:145], v[138:139]
	v_div_scale_f64 v[140:141], null, v[138:139], v[138:139], 1.0
	v_rcp_f64_e32 v[142:143], v[140:141]
	v_fma_f64 v[146:147], -v[140:141], v[142:143], 1.0
	v_fma_f64 v[142:143], v[142:143], v[146:147], v[142:143]
	v_fma_f64 v[146:147], -v[140:141], v[142:143], 1.0
	v_fma_f64 v[142:143], v[142:143], v[146:147], v[142:143]
	v_div_scale_f64 v[146:147], vcc_lo, 1.0, v[138:139], 1.0
	v_mul_f64 v[148:149], v[146:147], v[142:143]
	v_fma_f64 v[140:141], -v[140:141], v[148:149], v[146:147]
	v_div_fmas_f64 v[140:141], v[140:141], v[142:143], v[148:149]
	v_div_fixup_f64 v[142:143], v[140:141], v[138:139], 1.0
	v_mul_f64 v[144:145], v[144:145], -v[142:143]
.LBB67_205:
	s_or_b32 exec_lo, exec_lo, s1
	ds_write2_b64 v1, v[142:143], v[144:145] offset1:1
.LBB67_206:
	s_or_b32 exec_lo, exec_lo, s2
	s_waitcnt lgkmcnt(0)
	s_barrier
	buffer_gl0_inv
	ds_read2_b64 v[138:141], v1 offset1:1
	s_mov_b32 s1, exec_lo
	s_waitcnt lgkmcnt(0)
	buffer_store_dword v138, off, s[16:19], 0 offset:360 ; 4-byte Folded Spill
	buffer_store_dword v139, off, s[16:19], 0 offset:364 ; 4-byte Folded Spill
	;; [unrolled: 1-line block ×4, first 2 shown]
	v_cmpx_lt_u32_e32 22, v0
	s_cbranch_execz .LBB67_208
; %bb.207:
	s_clause 0x3
	buffer_load_dword v144, off, s[16:19], 0 offset:360
	buffer_load_dword v145, off, s[16:19], 0 offset:364
	;; [unrolled: 1-line block ×4, first 2 shown]
	s_waitcnt vmcnt(2)
	v_mul_f64 v[138:139], v[144:145], v[48:49]
	s_waitcnt vmcnt(0)
	v_mul_f64 v[48:49], v[146:147], v[48:49]
	v_fma_f64 v[142:143], v[146:147], v[46:47], v[138:139]
	ds_read2_b64 v[138:141], v160 offset0:46 offset1:47
	v_fma_f64 v[46:47], v[144:145], v[46:47], -v[48:49]
	s_waitcnt lgkmcnt(0)
	v_mul_f64 v[48:49], v[140:141], v[142:143]
	v_fma_f64 v[48:49], v[138:139], v[46:47], -v[48:49]
	v_mul_f64 v[138:139], v[138:139], v[142:143]
	v_add_f64 v[42:43], v[42:43], -v[48:49]
	v_fma_f64 v[138:139], v[140:141], v[46:47], v[138:139]
	v_add_f64 v[44:45], v[44:45], -v[138:139]
	ds_read2_b64 v[138:141], v160 offset0:48 offset1:49
	s_waitcnt lgkmcnt(0)
	v_mul_f64 v[48:49], v[140:141], v[142:143]
	v_fma_f64 v[48:49], v[138:139], v[46:47], -v[48:49]
	v_mul_f64 v[138:139], v[138:139], v[142:143]
	v_add_f64 v[38:39], v[38:39], -v[48:49]
	v_fma_f64 v[138:139], v[140:141], v[46:47], v[138:139]
	v_add_f64 v[40:41], v[40:41], -v[138:139]
	ds_read2_b64 v[138:141], v160 offset0:50 offset1:51
	;; [unrolled: 8-line block ×10, first 2 shown]
	s_waitcnt lgkmcnt(0)
	v_mul_f64 v[48:49], v[140:141], v[142:143]
	v_fma_f64 v[48:49], v[138:139], v[46:47], -v[48:49]
	v_mul_f64 v[138:139], v[138:139], v[142:143]
	v_add_f64 v[2:3], v[2:3], -v[48:49]
	v_fma_f64 v[138:139], v[140:141], v[46:47], v[138:139]
	v_mov_b32_e32 v48, v142
	v_mov_b32_e32 v49, v143
	v_add_f64 v[4:5], v[4:5], -v[138:139]
.LBB67_208:
	s_or_b32 exec_lo, exec_lo, s1
	s_mov_b32 s2, exec_lo
	s_waitcnt_vscnt null, 0x0
	s_barrier
	buffer_gl0_inv
	v_cmpx_eq_u32_e32 23, v0
	s_cbranch_execz .LBB67_215
; %bb.209:
	ds_write2_b64 v1, v[42:43], v[44:45] offset1:1
	ds_write2_b64 v160, v[38:39], v[40:41] offset0:48 offset1:49
	ds_write2_b64 v160, v[34:35], v[36:37] offset0:50 offset1:51
	;; [unrolled: 1-line block ×10, first 2 shown]
	ds_read2_b64 v[138:141], v1 offset1:1
	s_waitcnt lgkmcnt(0)
	v_cmp_neq_f64_e32 vcc_lo, 0, v[138:139]
	v_cmp_neq_f64_e64 s1, 0, v[140:141]
	s_or_b32 s1, vcc_lo, s1
	s_and_b32 exec_lo, exec_lo, s1
	s_cbranch_execz .LBB67_215
; %bb.210:
	v_cmp_ngt_f64_e64 s1, |v[138:139]|, |v[140:141]|
                                        ; implicit-def: $vgpr142_vgpr143
	s_and_saveexec_b32 s3, s1
	s_xor_b32 s1, exec_lo, s3
                                        ; implicit-def: $vgpr144_vgpr145
	s_cbranch_execz .LBB67_212
; %bb.211:
	v_div_scale_f64 v[142:143], null, v[140:141], v[140:141], v[138:139]
	v_div_scale_f64 v[148:149], vcc_lo, v[138:139], v[140:141], v[138:139]
	v_rcp_f64_e32 v[144:145], v[142:143]
	v_fma_f64 v[146:147], -v[142:143], v[144:145], 1.0
	v_fma_f64 v[144:145], v[144:145], v[146:147], v[144:145]
	v_fma_f64 v[146:147], -v[142:143], v[144:145], 1.0
	v_fma_f64 v[144:145], v[144:145], v[146:147], v[144:145]
	v_mul_f64 v[146:147], v[148:149], v[144:145]
	v_fma_f64 v[142:143], -v[142:143], v[146:147], v[148:149]
	v_div_fmas_f64 v[142:143], v[142:143], v[144:145], v[146:147]
	v_div_fixup_f64 v[142:143], v[142:143], v[140:141], v[138:139]
	v_fma_f64 v[138:139], v[138:139], v[142:143], v[140:141]
	v_div_scale_f64 v[140:141], null, v[138:139], v[138:139], 1.0
	v_rcp_f64_e32 v[144:145], v[140:141]
	v_fma_f64 v[146:147], -v[140:141], v[144:145], 1.0
	v_fma_f64 v[144:145], v[144:145], v[146:147], v[144:145]
	v_fma_f64 v[146:147], -v[140:141], v[144:145], 1.0
	v_fma_f64 v[144:145], v[144:145], v[146:147], v[144:145]
	v_div_scale_f64 v[146:147], vcc_lo, 1.0, v[138:139], 1.0
	v_mul_f64 v[148:149], v[146:147], v[144:145]
	v_fma_f64 v[140:141], -v[140:141], v[148:149], v[146:147]
	v_div_fmas_f64 v[140:141], v[140:141], v[144:145], v[148:149]
	v_div_fixup_f64 v[144:145], v[140:141], v[138:139], 1.0
                                        ; implicit-def: $vgpr138_vgpr139
	v_mul_f64 v[142:143], v[142:143], v[144:145]
	v_xor_b32_e32 v145, 0x80000000, v145
.LBB67_212:
	s_andn2_saveexec_b32 s1, s1
	s_cbranch_execz .LBB67_214
; %bb.213:
	v_div_scale_f64 v[142:143], null, v[138:139], v[138:139], v[140:141]
	v_div_scale_f64 v[148:149], vcc_lo, v[140:141], v[138:139], v[140:141]
	v_rcp_f64_e32 v[144:145], v[142:143]
	v_fma_f64 v[146:147], -v[142:143], v[144:145], 1.0
	v_fma_f64 v[144:145], v[144:145], v[146:147], v[144:145]
	v_fma_f64 v[146:147], -v[142:143], v[144:145], 1.0
	v_fma_f64 v[144:145], v[144:145], v[146:147], v[144:145]
	v_mul_f64 v[146:147], v[148:149], v[144:145]
	v_fma_f64 v[142:143], -v[142:143], v[146:147], v[148:149]
	v_div_fmas_f64 v[142:143], v[142:143], v[144:145], v[146:147]
	v_div_fixup_f64 v[144:145], v[142:143], v[138:139], v[140:141]
	v_fma_f64 v[138:139], v[140:141], v[144:145], v[138:139]
	v_div_scale_f64 v[140:141], null, v[138:139], v[138:139], 1.0
	v_rcp_f64_e32 v[142:143], v[140:141]
	v_fma_f64 v[146:147], -v[140:141], v[142:143], 1.0
	v_fma_f64 v[142:143], v[142:143], v[146:147], v[142:143]
	v_fma_f64 v[146:147], -v[140:141], v[142:143], 1.0
	v_fma_f64 v[142:143], v[142:143], v[146:147], v[142:143]
	v_div_scale_f64 v[146:147], vcc_lo, 1.0, v[138:139], 1.0
	v_mul_f64 v[148:149], v[146:147], v[142:143]
	v_fma_f64 v[140:141], -v[140:141], v[148:149], v[146:147]
	v_div_fmas_f64 v[140:141], v[140:141], v[142:143], v[148:149]
	v_div_fixup_f64 v[142:143], v[140:141], v[138:139], 1.0
	v_mul_f64 v[144:145], v[144:145], -v[142:143]
.LBB67_214:
	s_or_b32 exec_lo, exec_lo, s1
	ds_write2_b64 v1, v[142:143], v[144:145] offset1:1
.LBB67_215:
	s_or_b32 exec_lo, exec_lo, s2
	s_waitcnt lgkmcnt(0)
	s_barrier
	buffer_gl0_inv
	ds_read2_b64 v[138:141], v1 offset1:1
	s_mov_b32 s1, exec_lo
	s_waitcnt lgkmcnt(0)
	buffer_store_dword v138, off, s[16:19], 0 offset:376 ; 4-byte Folded Spill
	buffer_store_dword v139, off, s[16:19], 0 offset:380 ; 4-byte Folded Spill
	;; [unrolled: 1-line block ×4, first 2 shown]
	v_cmpx_lt_u32_e32 23, v0
	s_cbranch_execz .LBB67_217
; %bb.216:
	s_clause 0x3
	buffer_load_dword v144, off, s[16:19], 0 offset:376
	buffer_load_dword v145, off, s[16:19], 0 offset:380
	;; [unrolled: 1-line block ×4, first 2 shown]
	s_waitcnt vmcnt(2)
	v_mul_f64 v[138:139], v[144:145], v[44:45]
	s_waitcnt vmcnt(0)
	v_mul_f64 v[44:45], v[146:147], v[44:45]
	v_fma_f64 v[142:143], v[146:147], v[42:43], v[138:139]
	ds_read2_b64 v[138:141], v160 offset0:48 offset1:49
	v_fma_f64 v[42:43], v[144:145], v[42:43], -v[44:45]
	s_waitcnt lgkmcnt(0)
	v_mul_f64 v[44:45], v[140:141], v[142:143]
	v_fma_f64 v[44:45], v[138:139], v[42:43], -v[44:45]
	v_mul_f64 v[138:139], v[138:139], v[142:143]
	v_add_f64 v[38:39], v[38:39], -v[44:45]
	v_fma_f64 v[138:139], v[140:141], v[42:43], v[138:139]
	v_add_f64 v[40:41], v[40:41], -v[138:139]
	ds_read2_b64 v[138:141], v160 offset0:50 offset1:51
	s_waitcnt lgkmcnt(0)
	v_mul_f64 v[44:45], v[140:141], v[142:143]
	v_fma_f64 v[44:45], v[138:139], v[42:43], -v[44:45]
	v_mul_f64 v[138:139], v[138:139], v[142:143]
	v_add_f64 v[34:35], v[34:35], -v[44:45]
	v_fma_f64 v[138:139], v[140:141], v[42:43], v[138:139]
	v_add_f64 v[36:37], v[36:37], -v[138:139]
	ds_read2_b64 v[138:141], v160 offset0:52 offset1:53
	;; [unrolled: 8-line block ×9, first 2 shown]
	s_waitcnt lgkmcnt(0)
	v_mul_f64 v[44:45], v[140:141], v[142:143]
	v_fma_f64 v[44:45], v[138:139], v[42:43], -v[44:45]
	v_mul_f64 v[138:139], v[138:139], v[142:143]
	v_add_f64 v[2:3], v[2:3], -v[44:45]
	v_fma_f64 v[138:139], v[140:141], v[42:43], v[138:139]
	v_mov_b32_e32 v44, v142
	v_mov_b32_e32 v45, v143
	v_add_f64 v[4:5], v[4:5], -v[138:139]
.LBB67_217:
	s_or_b32 exec_lo, exec_lo, s1
	s_mov_b32 s2, exec_lo
	s_waitcnt_vscnt null, 0x0
	s_barrier
	buffer_gl0_inv
	v_cmpx_eq_u32_e32 24, v0
	s_cbranch_execz .LBB67_224
; %bb.218:
	ds_write2_b64 v1, v[38:39], v[40:41] offset1:1
	ds_write2_b64 v160, v[34:35], v[36:37] offset0:50 offset1:51
	ds_write2_b64 v160, v[30:31], v[32:33] offset0:52 offset1:53
	;; [unrolled: 1-line block ×9, first 2 shown]
	ds_read2_b64 v[138:141], v1 offset1:1
	s_waitcnt lgkmcnt(0)
	v_cmp_neq_f64_e32 vcc_lo, 0, v[138:139]
	v_cmp_neq_f64_e64 s1, 0, v[140:141]
	s_or_b32 s1, vcc_lo, s1
	s_and_b32 exec_lo, exec_lo, s1
	s_cbranch_execz .LBB67_224
; %bb.219:
	v_cmp_ngt_f64_e64 s1, |v[138:139]|, |v[140:141]|
                                        ; implicit-def: $vgpr142_vgpr143
	s_and_saveexec_b32 s3, s1
	s_xor_b32 s1, exec_lo, s3
                                        ; implicit-def: $vgpr144_vgpr145
	s_cbranch_execz .LBB67_221
; %bb.220:
	v_div_scale_f64 v[142:143], null, v[140:141], v[140:141], v[138:139]
	v_div_scale_f64 v[148:149], vcc_lo, v[138:139], v[140:141], v[138:139]
	v_rcp_f64_e32 v[144:145], v[142:143]
	v_fma_f64 v[146:147], -v[142:143], v[144:145], 1.0
	v_fma_f64 v[144:145], v[144:145], v[146:147], v[144:145]
	v_fma_f64 v[146:147], -v[142:143], v[144:145], 1.0
	v_fma_f64 v[144:145], v[144:145], v[146:147], v[144:145]
	v_mul_f64 v[146:147], v[148:149], v[144:145]
	v_fma_f64 v[142:143], -v[142:143], v[146:147], v[148:149]
	v_div_fmas_f64 v[142:143], v[142:143], v[144:145], v[146:147]
	v_div_fixup_f64 v[142:143], v[142:143], v[140:141], v[138:139]
	v_fma_f64 v[138:139], v[138:139], v[142:143], v[140:141]
	v_div_scale_f64 v[140:141], null, v[138:139], v[138:139], 1.0
	v_rcp_f64_e32 v[144:145], v[140:141]
	v_fma_f64 v[146:147], -v[140:141], v[144:145], 1.0
	v_fma_f64 v[144:145], v[144:145], v[146:147], v[144:145]
	v_fma_f64 v[146:147], -v[140:141], v[144:145], 1.0
	v_fma_f64 v[144:145], v[144:145], v[146:147], v[144:145]
	v_div_scale_f64 v[146:147], vcc_lo, 1.0, v[138:139], 1.0
	v_mul_f64 v[148:149], v[146:147], v[144:145]
	v_fma_f64 v[140:141], -v[140:141], v[148:149], v[146:147]
	v_div_fmas_f64 v[140:141], v[140:141], v[144:145], v[148:149]
	v_div_fixup_f64 v[144:145], v[140:141], v[138:139], 1.0
                                        ; implicit-def: $vgpr138_vgpr139
	v_mul_f64 v[142:143], v[142:143], v[144:145]
	v_xor_b32_e32 v145, 0x80000000, v145
.LBB67_221:
	s_andn2_saveexec_b32 s1, s1
	s_cbranch_execz .LBB67_223
; %bb.222:
	v_div_scale_f64 v[142:143], null, v[138:139], v[138:139], v[140:141]
	v_div_scale_f64 v[148:149], vcc_lo, v[140:141], v[138:139], v[140:141]
	v_rcp_f64_e32 v[144:145], v[142:143]
	v_fma_f64 v[146:147], -v[142:143], v[144:145], 1.0
	v_fma_f64 v[144:145], v[144:145], v[146:147], v[144:145]
	v_fma_f64 v[146:147], -v[142:143], v[144:145], 1.0
	v_fma_f64 v[144:145], v[144:145], v[146:147], v[144:145]
	v_mul_f64 v[146:147], v[148:149], v[144:145]
	v_fma_f64 v[142:143], -v[142:143], v[146:147], v[148:149]
	v_div_fmas_f64 v[142:143], v[142:143], v[144:145], v[146:147]
	v_div_fixup_f64 v[144:145], v[142:143], v[138:139], v[140:141]
	v_fma_f64 v[138:139], v[140:141], v[144:145], v[138:139]
	v_div_scale_f64 v[140:141], null, v[138:139], v[138:139], 1.0
	v_rcp_f64_e32 v[142:143], v[140:141]
	v_fma_f64 v[146:147], -v[140:141], v[142:143], 1.0
	v_fma_f64 v[142:143], v[142:143], v[146:147], v[142:143]
	v_fma_f64 v[146:147], -v[140:141], v[142:143], 1.0
	v_fma_f64 v[142:143], v[142:143], v[146:147], v[142:143]
	v_div_scale_f64 v[146:147], vcc_lo, 1.0, v[138:139], 1.0
	v_mul_f64 v[148:149], v[146:147], v[142:143]
	v_fma_f64 v[140:141], -v[140:141], v[148:149], v[146:147]
	v_div_fmas_f64 v[140:141], v[140:141], v[142:143], v[148:149]
	v_div_fixup_f64 v[142:143], v[140:141], v[138:139], 1.0
	v_mul_f64 v[144:145], v[144:145], -v[142:143]
.LBB67_223:
	s_or_b32 exec_lo, exec_lo, s1
	ds_write2_b64 v1, v[142:143], v[144:145] offset1:1
.LBB67_224:
	s_or_b32 exec_lo, exec_lo, s2
	s_waitcnt lgkmcnt(0)
	s_barrier
	buffer_gl0_inv
	ds_read2_b64 v[234:237], v1 offset1:1
	s_mov_b32 s1, exec_lo
	v_cmpx_lt_u32_e32 24, v0
	s_cbranch_execz .LBB67_226
; %bb.225:
	s_waitcnt lgkmcnt(0)
	v_mul_f64 v[138:139], v[234:235], v[40:41]
	v_mul_f64 v[40:41], v[236:237], v[40:41]
	v_fma_f64 v[142:143], v[236:237], v[38:39], v[138:139]
	ds_read2_b64 v[138:141], v160 offset0:50 offset1:51
	v_fma_f64 v[38:39], v[234:235], v[38:39], -v[40:41]
	s_waitcnt lgkmcnt(0)
	v_mul_f64 v[40:41], v[140:141], v[142:143]
	v_fma_f64 v[40:41], v[138:139], v[38:39], -v[40:41]
	v_mul_f64 v[138:139], v[138:139], v[142:143]
	v_add_f64 v[34:35], v[34:35], -v[40:41]
	v_fma_f64 v[138:139], v[140:141], v[38:39], v[138:139]
	v_add_f64 v[36:37], v[36:37], -v[138:139]
	ds_read2_b64 v[138:141], v160 offset0:52 offset1:53
	s_waitcnt lgkmcnt(0)
	v_mul_f64 v[40:41], v[140:141], v[142:143]
	v_fma_f64 v[40:41], v[138:139], v[38:39], -v[40:41]
	v_mul_f64 v[138:139], v[138:139], v[142:143]
	v_add_f64 v[30:31], v[30:31], -v[40:41]
	v_fma_f64 v[138:139], v[140:141], v[38:39], v[138:139]
	v_add_f64 v[32:33], v[32:33], -v[138:139]
	ds_read2_b64 v[138:141], v160 offset0:54 offset1:55
	;; [unrolled: 8-line block ×8, first 2 shown]
	s_waitcnt lgkmcnt(0)
	v_mul_f64 v[40:41], v[140:141], v[142:143]
	v_fma_f64 v[40:41], v[138:139], v[38:39], -v[40:41]
	v_mul_f64 v[138:139], v[138:139], v[142:143]
	v_add_f64 v[2:3], v[2:3], -v[40:41]
	v_fma_f64 v[138:139], v[140:141], v[38:39], v[138:139]
	v_mov_b32_e32 v40, v142
	v_mov_b32_e32 v41, v143
	v_add_f64 v[4:5], v[4:5], -v[138:139]
.LBB67_226:
	s_or_b32 exec_lo, exec_lo, s1
	s_mov_b32 s2, exec_lo
	s_waitcnt lgkmcnt(0)
	s_barrier
	buffer_gl0_inv
	v_cmpx_eq_u32_e32 25, v0
	s_cbranch_execz .LBB67_233
; %bb.227:
	ds_write2_b64 v1, v[34:35], v[36:37] offset1:1
	ds_write2_b64 v160, v[30:31], v[32:33] offset0:52 offset1:53
	ds_write2_b64 v160, v[26:27], v[28:29] offset0:54 offset1:55
	;; [unrolled: 1-line block ×8, first 2 shown]
	ds_read2_b64 v[138:141], v1 offset1:1
	s_waitcnt lgkmcnt(0)
	v_cmp_neq_f64_e32 vcc_lo, 0, v[138:139]
	v_cmp_neq_f64_e64 s1, 0, v[140:141]
	s_or_b32 s1, vcc_lo, s1
	s_and_b32 exec_lo, exec_lo, s1
	s_cbranch_execz .LBB67_233
; %bb.228:
	v_cmp_ngt_f64_e64 s1, |v[138:139]|, |v[140:141]|
                                        ; implicit-def: $vgpr142_vgpr143
	s_and_saveexec_b32 s3, s1
	s_xor_b32 s1, exec_lo, s3
                                        ; implicit-def: $vgpr144_vgpr145
	s_cbranch_execz .LBB67_230
; %bb.229:
	v_div_scale_f64 v[142:143], null, v[140:141], v[140:141], v[138:139]
	v_div_scale_f64 v[148:149], vcc_lo, v[138:139], v[140:141], v[138:139]
	v_rcp_f64_e32 v[144:145], v[142:143]
	v_fma_f64 v[146:147], -v[142:143], v[144:145], 1.0
	v_fma_f64 v[144:145], v[144:145], v[146:147], v[144:145]
	v_fma_f64 v[146:147], -v[142:143], v[144:145], 1.0
	v_fma_f64 v[144:145], v[144:145], v[146:147], v[144:145]
	v_mul_f64 v[146:147], v[148:149], v[144:145]
	v_fma_f64 v[142:143], -v[142:143], v[146:147], v[148:149]
	v_div_fmas_f64 v[142:143], v[142:143], v[144:145], v[146:147]
	v_div_fixup_f64 v[142:143], v[142:143], v[140:141], v[138:139]
	v_fma_f64 v[138:139], v[138:139], v[142:143], v[140:141]
	v_div_scale_f64 v[140:141], null, v[138:139], v[138:139], 1.0
	v_rcp_f64_e32 v[144:145], v[140:141]
	v_fma_f64 v[146:147], -v[140:141], v[144:145], 1.0
	v_fma_f64 v[144:145], v[144:145], v[146:147], v[144:145]
	v_fma_f64 v[146:147], -v[140:141], v[144:145], 1.0
	v_fma_f64 v[144:145], v[144:145], v[146:147], v[144:145]
	v_div_scale_f64 v[146:147], vcc_lo, 1.0, v[138:139], 1.0
	v_mul_f64 v[148:149], v[146:147], v[144:145]
	v_fma_f64 v[140:141], -v[140:141], v[148:149], v[146:147]
	v_div_fmas_f64 v[140:141], v[140:141], v[144:145], v[148:149]
	v_div_fixup_f64 v[144:145], v[140:141], v[138:139], 1.0
                                        ; implicit-def: $vgpr138_vgpr139
	v_mul_f64 v[142:143], v[142:143], v[144:145]
	v_xor_b32_e32 v145, 0x80000000, v145
.LBB67_230:
	s_andn2_saveexec_b32 s1, s1
	s_cbranch_execz .LBB67_232
; %bb.231:
	v_div_scale_f64 v[142:143], null, v[138:139], v[138:139], v[140:141]
	v_div_scale_f64 v[148:149], vcc_lo, v[140:141], v[138:139], v[140:141]
	v_rcp_f64_e32 v[144:145], v[142:143]
	v_fma_f64 v[146:147], -v[142:143], v[144:145], 1.0
	v_fma_f64 v[144:145], v[144:145], v[146:147], v[144:145]
	v_fma_f64 v[146:147], -v[142:143], v[144:145], 1.0
	v_fma_f64 v[144:145], v[144:145], v[146:147], v[144:145]
	v_mul_f64 v[146:147], v[148:149], v[144:145]
	v_fma_f64 v[142:143], -v[142:143], v[146:147], v[148:149]
	v_div_fmas_f64 v[142:143], v[142:143], v[144:145], v[146:147]
	v_div_fixup_f64 v[144:145], v[142:143], v[138:139], v[140:141]
	v_fma_f64 v[138:139], v[140:141], v[144:145], v[138:139]
	v_div_scale_f64 v[140:141], null, v[138:139], v[138:139], 1.0
	v_rcp_f64_e32 v[142:143], v[140:141]
	v_fma_f64 v[146:147], -v[140:141], v[142:143], 1.0
	v_fma_f64 v[142:143], v[142:143], v[146:147], v[142:143]
	v_fma_f64 v[146:147], -v[140:141], v[142:143], 1.0
	v_fma_f64 v[142:143], v[142:143], v[146:147], v[142:143]
	v_div_scale_f64 v[146:147], vcc_lo, 1.0, v[138:139], 1.0
	v_mul_f64 v[148:149], v[146:147], v[142:143]
	v_fma_f64 v[140:141], -v[140:141], v[148:149], v[146:147]
	v_div_fmas_f64 v[140:141], v[140:141], v[142:143], v[148:149]
	v_div_fixup_f64 v[142:143], v[140:141], v[138:139], 1.0
	v_mul_f64 v[144:145], v[144:145], -v[142:143]
.LBB67_232:
	s_or_b32 exec_lo, exec_lo, s1
	ds_write2_b64 v1, v[142:143], v[144:145] offset1:1
.LBB67_233:
	s_or_b32 exec_lo, exec_lo, s2
	s_waitcnt lgkmcnt(0)
	s_barrier
	buffer_gl0_inv
	ds_read2_b64 v[238:241], v1 offset1:1
	s_mov_b32 s1, exec_lo
	v_cmpx_lt_u32_e32 25, v0
	s_cbranch_execz .LBB67_235
; %bb.234:
	s_waitcnt lgkmcnt(0)
	v_mul_f64 v[138:139], v[238:239], v[36:37]
	v_mul_f64 v[36:37], v[240:241], v[36:37]
	v_fma_f64 v[142:143], v[240:241], v[34:35], v[138:139]
	ds_read2_b64 v[138:141], v160 offset0:52 offset1:53
	v_fma_f64 v[34:35], v[238:239], v[34:35], -v[36:37]
	s_waitcnt lgkmcnt(0)
	v_mul_f64 v[36:37], v[140:141], v[142:143]
	v_fma_f64 v[36:37], v[138:139], v[34:35], -v[36:37]
	v_mul_f64 v[138:139], v[138:139], v[142:143]
	v_add_f64 v[30:31], v[30:31], -v[36:37]
	v_fma_f64 v[138:139], v[140:141], v[34:35], v[138:139]
	v_add_f64 v[32:33], v[32:33], -v[138:139]
	ds_read2_b64 v[138:141], v160 offset0:54 offset1:55
	s_waitcnt lgkmcnt(0)
	v_mul_f64 v[36:37], v[140:141], v[142:143]
	v_fma_f64 v[36:37], v[138:139], v[34:35], -v[36:37]
	v_mul_f64 v[138:139], v[138:139], v[142:143]
	v_add_f64 v[26:27], v[26:27], -v[36:37]
	v_fma_f64 v[138:139], v[140:141], v[34:35], v[138:139]
	v_add_f64 v[28:29], v[28:29], -v[138:139]
	ds_read2_b64 v[138:141], v160 offset0:56 offset1:57
	;; [unrolled: 8-line block ×7, first 2 shown]
	s_waitcnt lgkmcnt(0)
	v_mul_f64 v[36:37], v[140:141], v[142:143]
	v_fma_f64 v[36:37], v[138:139], v[34:35], -v[36:37]
	v_mul_f64 v[138:139], v[138:139], v[142:143]
	v_add_f64 v[2:3], v[2:3], -v[36:37]
	v_fma_f64 v[138:139], v[140:141], v[34:35], v[138:139]
	v_mov_b32_e32 v36, v142
	v_mov_b32_e32 v37, v143
	v_add_f64 v[4:5], v[4:5], -v[138:139]
.LBB67_235:
	s_or_b32 exec_lo, exec_lo, s1
	s_mov_b32 s2, exec_lo
	s_waitcnt lgkmcnt(0)
	s_barrier
	buffer_gl0_inv
	v_cmpx_eq_u32_e32 26, v0
	s_cbranch_execz .LBB67_242
; %bb.236:
	ds_write2_b64 v1, v[30:31], v[32:33] offset1:1
	ds_write2_b64 v160, v[26:27], v[28:29] offset0:54 offset1:55
	ds_write2_b64 v160, v[22:23], v[24:25] offset0:56 offset1:57
	;; [unrolled: 1-line block ×7, first 2 shown]
	ds_read2_b64 v[138:141], v1 offset1:1
	s_waitcnt lgkmcnt(0)
	v_cmp_neq_f64_e32 vcc_lo, 0, v[138:139]
	v_cmp_neq_f64_e64 s1, 0, v[140:141]
	s_or_b32 s1, vcc_lo, s1
	s_and_b32 exec_lo, exec_lo, s1
	s_cbranch_execz .LBB67_242
; %bb.237:
	v_cmp_ngt_f64_e64 s1, |v[138:139]|, |v[140:141]|
                                        ; implicit-def: $vgpr142_vgpr143
	s_and_saveexec_b32 s3, s1
	s_xor_b32 s1, exec_lo, s3
                                        ; implicit-def: $vgpr144_vgpr145
	s_cbranch_execz .LBB67_239
; %bb.238:
	v_div_scale_f64 v[142:143], null, v[140:141], v[140:141], v[138:139]
	v_div_scale_f64 v[148:149], vcc_lo, v[138:139], v[140:141], v[138:139]
	v_rcp_f64_e32 v[144:145], v[142:143]
	v_fma_f64 v[146:147], -v[142:143], v[144:145], 1.0
	v_fma_f64 v[144:145], v[144:145], v[146:147], v[144:145]
	v_fma_f64 v[146:147], -v[142:143], v[144:145], 1.0
	v_fma_f64 v[144:145], v[144:145], v[146:147], v[144:145]
	v_mul_f64 v[146:147], v[148:149], v[144:145]
	v_fma_f64 v[142:143], -v[142:143], v[146:147], v[148:149]
	v_div_fmas_f64 v[142:143], v[142:143], v[144:145], v[146:147]
	v_div_fixup_f64 v[142:143], v[142:143], v[140:141], v[138:139]
	v_fma_f64 v[138:139], v[138:139], v[142:143], v[140:141]
	v_div_scale_f64 v[140:141], null, v[138:139], v[138:139], 1.0
	v_rcp_f64_e32 v[144:145], v[140:141]
	v_fma_f64 v[146:147], -v[140:141], v[144:145], 1.0
	v_fma_f64 v[144:145], v[144:145], v[146:147], v[144:145]
	v_fma_f64 v[146:147], -v[140:141], v[144:145], 1.0
	v_fma_f64 v[144:145], v[144:145], v[146:147], v[144:145]
	v_div_scale_f64 v[146:147], vcc_lo, 1.0, v[138:139], 1.0
	v_mul_f64 v[148:149], v[146:147], v[144:145]
	v_fma_f64 v[140:141], -v[140:141], v[148:149], v[146:147]
	v_div_fmas_f64 v[140:141], v[140:141], v[144:145], v[148:149]
	v_div_fixup_f64 v[144:145], v[140:141], v[138:139], 1.0
                                        ; implicit-def: $vgpr138_vgpr139
	v_mul_f64 v[142:143], v[142:143], v[144:145]
	v_xor_b32_e32 v145, 0x80000000, v145
.LBB67_239:
	s_andn2_saveexec_b32 s1, s1
	s_cbranch_execz .LBB67_241
; %bb.240:
	v_div_scale_f64 v[142:143], null, v[138:139], v[138:139], v[140:141]
	v_div_scale_f64 v[148:149], vcc_lo, v[140:141], v[138:139], v[140:141]
	v_rcp_f64_e32 v[144:145], v[142:143]
	v_fma_f64 v[146:147], -v[142:143], v[144:145], 1.0
	v_fma_f64 v[144:145], v[144:145], v[146:147], v[144:145]
	v_fma_f64 v[146:147], -v[142:143], v[144:145], 1.0
	v_fma_f64 v[144:145], v[144:145], v[146:147], v[144:145]
	v_mul_f64 v[146:147], v[148:149], v[144:145]
	v_fma_f64 v[142:143], -v[142:143], v[146:147], v[148:149]
	v_div_fmas_f64 v[142:143], v[142:143], v[144:145], v[146:147]
	v_div_fixup_f64 v[144:145], v[142:143], v[138:139], v[140:141]
	v_fma_f64 v[138:139], v[140:141], v[144:145], v[138:139]
	v_div_scale_f64 v[140:141], null, v[138:139], v[138:139], 1.0
	v_rcp_f64_e32 v[142:143], v[140:141]
	v_fma_f64 v[146:147], -v[140:141], v[142:143], 1.0
	v_fma_f64 v[142:143], v[142:143], v[146:147], v[142:143]
	v_fma_f64 v[146:147], -v[140:141], v[142:143], 1.0
	v_fma_f64 v[142:143], v[142:143], v[146:147], v[142:143]
	v_div_scale_f64 v[146:147], vcc_lo, 1.0, v[138:139], 1.0
	v_mul_f64 v[148:149], v[146:147], v[142:143]
	v_fma_f64 v[140:141], -v[140:141], v[148:149], v[146:147]
	v_div_fmas_f64 v[140:141], v[140:141], v[142:143], v[148:149]
	v_div_fixup_f64 v[142:143], v[140:141], v[138:139], 1.0
	v_mul_f64 v[144:145], v[144:145], -v[142:143]
.LBB67_241:
	s_or_b32 exec_lo, exec_lo, s1
	ds_write2_b64 v1, v[142:143], v[144:145] offset1:1
.LBB67_242:
	s_or_b32 exec_lo, exec_lo, s2
	s_waitcnt lgkmcnt(0)
	s_barrier
	buffer_gl0_inv
	ds_read2_b64 v[242:245], v1 offset1:1
	s_mov_b32 s1, exec_lo
	v_cmpx_lt_u32_e32 26, v0
	s_cbranch_execz .LBB67_244
; %bb.243:
	s_waitcnt lgkmcnt(0)
	v_mul_f64 v[138:139], v[242:243], v[32:33]
	v_mul_f64 v[32:33], v[244:245], v[32:33]
	v_fma_f64 v[142:143], v[244:245], v[30:31], v[138:139]
	ds_read2_b64 v[138:141], v160 offset0:54 offset1:55
	v_fma_f64 v[30:31], v[242:243], v[30:31], -v[32:33]
	s_waitcnt lgkmcnt(0)
	v_mul_f64 v[32:33], v[140:141], v[142:143]
	v_fma_f64 v[32:33], v[138:139], v[30:31], -v[32:33]
	v_mul_f64 v[138:139], v[138:139], v[142:143]
	v_add_f64 v[26:27], v[26:27], -v[32:33]
	v_fma_f64 v[138:139], v[140:141], v[30:31], v[138:139]
	v_add_f64 v[28:29], v[28:29], -v[138:139]
	ds_read2_b64 v[138:141], v160 offset0:56 offset1:57
	s_waitcnt lgkmcnt(0)
	v_mul_f64 v[32:33], v[140:141], v[142:143]
	v_fma_f64 v[32:33], v[138:139], v[30:31], -v[32:33]
	v_mul_f64 v[138:139], v[138:139], v[142:143]
	v_add_f64 v[22:23], v[22:23], -v[32:33]
	v_fma_f64 v[138:139], v[140:141], v[30:31], v[138:139]
	v_add_f64 v[24:25], v[24:25], -v[138:139]
	ds_read2_b64 v[138:141], v160 offset0:58 offset1:59
	;; [unrolled: 8-line block ×6, first 2 shown]
	s_waitcnt lgkmcnt(0)
	v_mul_f64 v[32:33], v[140:141], v[142:143]
	v_fma_f64 v[32:33], v[138:139], v[30:31], -v[32:33]
	v_mul_f64 v[138:139], v[138:139], v[142:143]
	v_add_f64 v[2:3], v[2:3], -v[32:33]
	v_fma_f64 v[138:139], v[140:141], v[30:31], v[138:139]
	v_mov_b32_e32 v32, v142
	v_mov_b32_e32 v33, v143
	v_add_f64 v[4:5], v[4:5], -v[138:139]
.LBB67_244:
	s_or_b32 exec_lo, exec_lo, s1
	s_mov_b32 s2, exec_lo
	s_waitcnt lgkmcnt(0)
	s_barrier
	buffer_gl0_inv
	v_cmpx_eq_u32_e32 27, v0
	s_cbranch_execz .LBB67_251
; %bb.245:
	ds_write2_b64 v1, v[26:27], v[28:29] offset1:1
	ds_write2_b64 v160, v[22:23], v[24:25] offset0:56 offset1:57
	ds_write2_b64 v160, v[18:19], v[20:21] offset0:58 offset1:59
	ds_write2_b64 v160, v[14:15], v[16:17] offset0:60 offset1:61
	ds_write2_b64 v160, v[10:11], v[12:13] offset0:62 offset1:63
	ds_write2_b64 v160, v[6:7], v[8:9] offset0:64 offset1:65
	ds_write2_b64 v160, v[2:3], v[4:5] offset0:66 offset1:67
	ds_read2_b64 v[138:141], v1 offset1:1
	s_waitcnt lgkmcnt(0)
	v_cmp_neq_f64_e32 vcc_lo, 0, v[138:139]
	v_cmp_neq_f64_e64 s1, 0, v[140:141]
	s_or_b32 s1, vcc_lo, s1
	s_and_b32 exec_lo, exec_lo, s1
	s_cbranch_execz .LBB67_251
; %bb.246:
	v_cmp_ngt_f64_e64 s1, |v[138:139]|, |v[140:141]|
                                        ; implicit-def: $vgpr142_vgpr143
	s_and_saveexec_b32 s3, s1
	s_xor_b32 s1, exec_lo, s3
                                        ; implicit-def: $vgpr144_vgpr145
	s_cbranch_execz .LBB67_248
; %bb.247:
	v_div_scale_f64 v[142:143], null, v[140:141], v[140:141], v[138:139]
	v_div_scale_f64 v[148:149], vcc_lo, v[138:139], v[140:141], v[138:139]
	v_rcp_f64_e32 v[144:145], v[142:143]
	v_fma_f64 v[146:147], -v[142:143], v[144:145], 1.0
	v_fma_f64 v[144:145], v[144:145], v[146:147], v[144:145]
	v_fma_f64 v[146:147], -v[142:143], v[144:145], 1.0
	v_fma_f64 v[144:145], v[144:145], v[146:147], v[144:145]
	v_mul_f64 v[146:147], v[148:149], v[144:145]
	v_fma_f64 v[142:143], -v[142:143], v[146:147], v[148:149]
	v_div_fmas_f64 v[142:143], v[142:143], v[144:145], v[146:147]
	v_div_fixup_f64 v[142:143], v[142:143], v[140:141], v[138:139]
	v_fma_f64 v[138:139], v[138:139], v[142:143], v[140:141]
	v_div_scale_f64 v[140:141], null, v[138:139], v[138:139], 1.0
	v_rcp_f64_e32 v[144:145], v[140:141]
	v_fma_f64 v[146:147], -v[140:141], v[144:145], 1.0
	v_fma_f64 v[144:145], v[144:145], v[146:147], v[144:145]
	v_fma_f64 v[146:147], -v[140:141], v[144:145], 1.0
	v_fma_f64 v[144:145], v[144:145], v[146:147], v[144:145]
	v_div_scale_f64 v[146:147], vcc_lo, 1.0, v[138:139], 1.0
	v_mul_f64 v[148:149], v[146:147], v[144:145]
	v_fma_f64 v[140:141], -v[140:141], v[148:149], v[146:147]
	v_div_fmas_f64 v[140:141], v[140:141], v[144:145], v[148:149]
	v_div_fixup_f64 v[144:145], v[140:141], v[138:139], 1.0
                                        ; implicit-def: $vgpr138_vgpr139
	v_mul_f64 v[142:143], v[142:143], v[144:145]
	v_xor_b32_e32 v145, 0x80000000, v145
.LBB67_248:
	s_andn2_saveexec_b32 s1, s1
	s_cbranch_execz .LBB67_250
; %bb.249:
	v_div_scale_f64 v[142:143], null, v[138:139], v[138:139], v[140:141]
	v_div_scale_f64 v[148:149], vcc_lo, v[140:141], v[138:139], v[140:141]
	v_rcp_f64_e32 v[144:145], v[142:143]
	v_fma_f64 v[146:147], -v[142:143], v[144:145], 1.0
	v_fma_f64 v[144:145], v[144:145], v[146:147], v[144:145]
	v_fma_f64 v[146:147], -v[142:143], v[144:145], 1.0
	v_fma_f64 v[144:145], v[144:145], v[146:147], v[144:145]
	v_mul_f64 v[146:147], v[148:149], v[144:145]
	v_fma_f64 v[142:143], -v[142:143], v[146:147], v[148:149]
	v_div_fmas_f64 v[142:143], v[142:143], v[144:145], v[146:147]
	v_div_fixup_f64 v[144:145], v[142:143], v[138:139], v[140:141]
	v_fma_f64 v[138:139], v[140:141], v[144:145], v[138:139]
	v_div_scale_f64 v[140:141], null, v[138:139], v[138:139], 1.0
	v_rcp_f64_e32 v[142:143], v[140:141]
	v_fma_f64 v[146:147], -v[140:141], v[142:143], 1.0
	v_fma_f64 v[142:143], v[142:143], v[146:147], v[142:143]
	v_fma_f64 v[146:147], -v[140:141], v[142:143], 1.0
	v_fma_f64 v[142:143], v[142:143], v[146:147], v[142:143]
	v_div_scale_f64 v[146:147], vcc_lo, 1.0, v[138:139], 1.0
	v_mul_f64 v[148:149], v[146:147], v[142:143]
	v_fma_f64 v[140:141], -v[140:141], v[148:149], v[146:147]
	v_div_fmas_f64 v[140:141], v[140:141], v[142:143], v[148:149]
	v_div_fixup_f64 v[142:143], v[140:141], v[138:139], 1.0
	v_mul_f64 v[144:145], v[144:145], -v[142:143]
.LBB67_250:
	s_or_b32 exec_lo, exec_lo, s1
	ds_write2_b64 v1, v[142:143], v[144:145] offset1:1
.LBB67_251:
	s_or_b32 exec_lo, exec_lo, s2
	s_waitcnt lgkmcnt(0)
	s_barrier
	buffer_gl0_inv
	ds_read2_b64 v[246:249], v1 offset1:1
	s_mov_b32 s1, exec_lo
	v_cmpx_lt_u32_e32 27, v0
	s_cbranch_execz .LBB67_253
; %bb.252:
	s_waitcnt lgkmcnt(0)
	v_mul_f64 v[138:139], v[246:247], v[28:29]
	v_mul_f64 v[28:29], v[248:249], v[28:29]
	v_fma_f64 v[142:143], v[248:249], v[26:27], v[138:139]
	ds_read2_b64 v[138:141], v160 offset0:56 offset1:57
	v_fma_f64 v[26:27], v[246:247], v[26:27], -v[28:29]
	s_waitcnt lgkmcnt(0)
	v_mul_f64 v[28:29], v[140:141], v[142:143]
	v_fma_f64 v[28:29], v[138:139], v[26:27], -v[28:29]
	v_mul_f64 v[138:139], v[138:139], v[142:143]
	v_add_f64 v[22:23], v[22:23], -v[28:29]
	v_fma_f64 v[138:139], v[140:141], v[26:27], v[138:139]
	v_add_f64 v[24:25], v[24:25], -v[138:139]
	ds_read2_b64 v[138:141], v160 offset0:58 offset1:59
	s_waitcnt lgkmcnt(0)
	v_mul_f64 v[28:29], v[140:141], v[142:143]
	v_fma_f64 v[28:29], v[138:139], v[26:27], -v[28:29]
	v_mul_f64 v[138:139], v[138:139], v[142:143]
	v_add_f64 v[18:19], v[18:19], -v[28:29]
	v_fma_f64 v[138:139], v[140:141], v[26:27], v[138:139]
	v_add_f64 v[20:21], v[20:21], -v[138:139]
	ds_read2_b64 v[138:141], v160 offset0:60 offset1:61
	;; [unrolled: 8-line block ×5, first 2 shown]
	s_waitcnt lgkmcnt(0)
	v_mul_f64 v[28:29], v[140:141], v[142:143]
	v_fma_f64 v[28:29], v[138:139], v[26:27], -v[28:29]
	v_mul_f64 v[138:139], v[138:139], v[142:143]
	v_add_f64 v[2:3], v[2:3], -v[28:29]
	v_fma_f64 v[138:139], v[140:141], v[26:27], v[138:139]
	v_mov_b32_e32 v28, v142
	v_mov_b32_e32 v29, v143
	v_add_f64 v[4:5], v[4:5], -v[138:139]
.LBB67_253:
	s_or_b32 exec_lo, exec_lo, s1
	s_mov_b32 s2, exec_lo
	s_waitcnt lgkmcnt(0)
	s_barrier
	buffer_gl0_inv
	v_cmpx_eq_u32_e32 28, v0
	s_cbranch_execz .LBB67_260
; %bb.254:
	ds_write2_b64 v1, v[22:23], v[24:25] offset1:1
	ds_write2_b64 v160, v[18:19], v[20:21] offset0:58 offset1:59
	ds_write2_b64 v160, v[14:15], v[16:17] offset0:60 offset1:61
	;; [unrolled: 1-line block ×5, first 2 shown]
	ds_read2_b64 v[138:141], v1 offset1:1
	s_waitcnt lgkmcnt(0)
	v_cmp_neq_f64_e32 vcc_lo, 0, v[138:139]
	v_cmp_neq_f64_e64 s1, 0, v[140:141]
	s_or_b32 s1, vcc_lo, s1
	s_and_b32 exec_lo, exec_lo, s1
	s_cbranch_execz .LBB67_260
; %bb.255:
	v_cmp_ngt_f64_e64 s1, |v[138:139]|, |v[140:141]|
                                        ; implicit-def: $vgpr142_vgpr143
	s_and_saveexec_b32 s3, s1
	s_xor_b32 s1, exec_lo, s3
                                        ; implicit-def: $vgpr144_vgpr145
	s_cbranch_execz .LBB67_257
; %bb.256:
	v_div_scale_f64 v[142:143], null, v[140:141], v[140:141], v[138:139]
	v_div_scale_f64 v[148:149], vcc_lo, v[138:139], v[140:141], v[138:139]
	v_rcp_f64_e32 v[144:145], v[142:143]
	v_fma_f64 v[146:147], -v[142:143], v[144:145], 1.0
	v_fma_f64 v[144:145], v[144:145], v[146:147], v[144:145]
	v_fma_f64 v[146:147], -v[142:143], v[144:145], 1.0
	v_fma_f64 v[144:145], v[144:145], v[146:147], v[144:145]
	v_mul_f64 v[146:147], v[148:149], v[144:145]
	v_fma_f64 v[142:143], -v[142:143], v[146:147], v[148:149]
	v_div_fmas_f64 v[142:143], v[142:143], v[144:145], v[146:147]
	v_div_fixup_f64 v[142:143], v[142:143], v[140:141], v[138:139]
	v_fma_f64 v[138:139], v[138:139], v[142:143], v[140:141]
	v_div_scale_f64 v[140:141], null, v[138:139], v[138:139], 1.0
	v_rcp_f64_e32 v[144:145], v[140:141]
	v_fma_f64 v[146:147], -v[140:141], v[144:145], 1.0
	v_fma_f64 v[144:145], v[144:145], v[146:147], v[144:145]
	v_fma_f64 v[146:147], -v[140:141], v[144:145], 1.0
	v_fma_f64 v[144:145], v[144:145], v[146:147], v[144:145]
	v_div_scale_f64 v[146:147], vcc_lo, 1.0, v[138:139], 1.0
	v_mul_f64 v[148:149], v[146:147], v[144:145]
	v_fma_f64 v[140:141], -v[140:141], v[148:149], v[146:147]
	v_div_fmas_f64 v[140:141], v[140:141], v[144:145], v[148:149]
	v_div_fixup_f64 v[144:145], v[140:141], v[138:139], 1.0
                                        ; implicit-def: $vgpr138_vgpr139
	v_mul_f64 v[142:143], v[142:143], v[144:145]
	v_xor_b32_e32 v145, 0x80000000, v145
.LBB67_257:
	s_andn2_saveexec_b32 s1, s1
	s_cbranch_execz .LBB67_259
; %bb.258:
	v_div_scale_f64 v[142:143], null, v[138:139], v[138:139], v[140:141]
	v_div_scale_f64 v[148:149], vcc_lo, v[140:141], v[138:139], v[140:141]
	v_rcp_f64_e32 v[144:145], v[142:143]
	v_fma_f64 v[146:147], -v[142:143], v[144:145], 1.0
	v_fma_f64 v[144:145], v[144:145], v[146:147], v[144:145]
	v_fma_f64 v[146:147], -v[142:143], v[144:145], 1.0
	v_fma_f64 v[144:145], v[144:145], v[146:147], v[144:145]
	v_mul_f64 v[146:147], v[148:149], v[144:145]
	v_fma_f64 v[142:143], -v[142:143], v[146:147], v[148:149]
	v_div_fmas_f64 v[142:143], v[142:143], v[144:145], v[146:147]
	v_div_fixup_f64 v[144:145], v[142:143], v[138:139], v[140:141]
	v_fma_f64 v[138:139], v[140:141], v[144:145], v[138:139]
	v_div_scale_f64 v[140:141], null, v[138:139], v[138:139], 1.0
	v_rcp_f64_e32 v[142:143], v[140:141]
	v_fma_f64 v[146:147], -v[140:141], v[142:143], 1.0
	v_fma_f64 v[142:143], v[142:143], v[146:147], v[142:143]
	v_fma_f64 v[146:147], -v[140:141], v[142:143], 1.0
	v_fma_f64 v[142:143], v[142:143], v[146:147], v[142:143]
	v_div_scale_f64 v[146:147], vcc_lo, 1.0, v[138:139], 1.0
	v_mul_f64 v[148:149], v[146:147], v[142:143]
	v_fma_f64 v[140:141], -v[140:141], v[148:149], v[146:147]
	v_div_fmas_f64 v[140:141], v[140:141], v[142:143], v[148:149]
	v_div_fixup_f64 v[142:143], v[140:141], v[138:139], 1.0
	v_mul_f64 v[144:145], v[144:145], -v[142:143]
.LBB67_259:
	s_or_b32 exec_lo, exec_lo, s1
	ds_write2_b64 v1, v[142:143], v[144:145] offset1:1
.LBB67_260:
	s_or_b32 exec_lo, exec_lo, s2
	s_waitcnt lgkmcnt(0)
	s_barrier
	buffer_gl0_inv
	ds_read2_b64 v[250:253], v1 offset1:1
	s_mov_b32 s1, exec_lo
	v_cmpx_lt_u32_e32 28, v0
	s_cbranch_execz .LBB67_262
; %bb.261:
	s_waitcnt lgkmcnt(0)
	v_mul_f64 v[138:139], v[250:251], v[24:25]
	v_mul_f64 v[24:25], v[252:253], v[24:25]
	v_fma_f64 v[142:143], v[252:253], v[22:23], v[138:139]
	ds_read2_b64 v[138:141], v160 offset0:58 offset1:59
	v_fma_f64 v[22:23], v[250:251], v[22:23], -v[24:25]
	s_waitcnt lgkmcnt(0)
	v_mul_f64 v[24:25], v[140:141], v[142:143]
	v_fma_f64 v[24:25], v[138:139], v[22:23], -v[24:25]
	v_mul_f64 v[138:139], v[138:139], v[142:143]
	v_add_f64 v[18:19], v[18:19], -v[24:25]
	v_fma_f64 v[138:139], v[140:141], v[22:23], v[138:139]
	v_add_f64 v[20:21], v[20:21], -v[138:139]
	ds_read2_b64 v[138:141], v160 offset0:60 offset1:61
	s_waitcnt lgkmcnt(0)
	v_mul_f64 v[24:25], v[140:141], v[142:143]
	v_fma_f64 v[24:25], v[138:139], v[22:23], -v[24:25]
	v_mul_f64 v[138:139], v[138:139], v[142:143]
	v_add_f64 v[14:15], v[14:15], -v[24:25]
	v_fma_f64 v[138:139], v[140:141], v[22:23], v[138:139]
	v_add_f64 v[16:17], v[16:17], -v[138:139]
	ds_read2_b64 v[138:141], v160 offset0:62 offset1:63
	;; [unrolled: 8-line block ×4, first 2 shown]
	s_waitcnt lgkmcnt(0)
	v_mul_f64 v[24:25], v[140:141], v[142:143]
	v_fma_f64 v[24:25], v[138:139], v[22:23], -v[24:25]
	v_mul_f64 v[138:139], v[138:139], v[142:143]
	v_add_f64 v[2:3], v[2:3], -v[24:25]
	v_fma_f64 v[138:139], v[140:141], v[22:23], v[138:139]
	v_mov_b32_e32 v24, v142
	v_mov_b32_e32 v25, v143
	v_add_f64 v[4:5], v[4:5], -v[138:139]
.LBB67_262:
	s_or_b32 exec_lo, exec_lo, s1
	s_mov_b32 s2, exec_lo
	s_waitcnt lgkmcnt(0)
	s_barrier
	buffer_gl0_inv
	v_cmpx_eq_u32_e32 29, v0
	s_cbranch_execz .LBB67_269
; %bb.263:
	ds_write2_b64 v1, v[18:19], v[20:21] offset1:1
	ds_write2_b64 v160, v[14:15], v[16:17] offset0:60 offset1:61
	ds_write2_b64 v160, v[10:11], v[12:13] offset0:62 offset1:63
	;; [unrolled: 1-line block ×4, first 2 shown]
	ds_read2_b64 v[138:141], v1 offset1:1
	s_waitcnt lgkmcnt(0)
	v_cmp_neq_f64_e32 vcc_lo, 0, v[138:139]
	v_cmp_neq_f64_e64 s1, 0, v[140:141]
	s_or_b32 s1, vcc_lo, s1
	s_and_b32 exec_lo, exec_lo, s1
	s_cbranch_execz .LBB67_269
; %bb.264:
	v_cmp_ngt_f64_e64 s1, |v[138:139]|, |v[140:141]|
                                        ; implicit-def: $vgpr142_vgpr143
	s_and_saveexec_b32 s3, s1
	s_xor_b32 s1, exec_lo, s3
                                        ; implicit-def: $vgpr144_vgpr145
	s_cbranch_execz .LBB67_266
; %bb.265:
	v_div_scale_f64 v[142:143], null, v[140:141], v[140:141], v[138:139]
	v_div_scale_f64 v[148:149], vcc_lo, v[138:139], v[140:141], v[138:139]
	v_rcp_f64_e32 v[144:145], v[142:143]
	v_fma_f64 v[146:147], -v[142:143], v[144:145], 1.0
	v_fma_f64 v[144:145], v[144:145], v[146:147], v[144:145]
	v_fma_f64 v[146:147], -v[142:143], v[144:145], 1.0
	v_fma_f64 v[144:145], v[144:145], v[146:147], v[144:145]
	v_mul_f64 v[146:147], v[148:149], v[144:145]
	v_fma_f64 v[142:143], -v[142:143], v[146:147], v[148:149]
	v_div_fmas_f64 v[142:143], v[142:143], v[144:145], v[146:147]
	v_div_fixup_f64 v[142:143], v[142:143], v[140:141], v[138:139]
	v_fma_f64 v[138:139], v[138:139], v[142:143], v[140:141]
	v_div_scale_f64 v[140:141], null, v[138:139], v[138:139], 1.0
	v_rcp_f64_e32 v[144:145], v[140:141]
	v_fma_f64 v[146:147], -v[140:141], v[144:145], 1.0
	v_fma_f64 v[144:145], v[144:145], v[146:147], v[144:145]
	v_fma_f64 v[146:147], -v[140:141], v[144:145], 1.0
	v_fma_f64 v[144:145], v[144:145], v[146:147], v[144:145]
	v_div_scale_f64 v[146:147], vcc_lo, 1.0, v[138:139], 1.0
	v_mul_f64 v[148:149], v[146:147], v[144:145]
	v_fma_f64 v[140:141], -v[140:141], v[148:149], v[146:147]
	v_div_fmas_f64 v[140:141], v[140:141], v[144:145], v[148:149]
	v_div_fixup_f64 v[144:145], v[140:141], v[138:139], 1.0
                                        ; implicit-def: $vgpr138_vgpr139
	v_mul_f64 v[142:143], v[142:143], v[144:145]
	v_xor_b32_e32 v145, 0x80000000, v145
.LBB67_266:
	s_andn2_saveexec_b32 s1, s1
	s_cbranch_execz .LBB67_268
; %bb.267:
	v_div_scale_f64 v[142:143], null, v[138:139], v[138:139], v[140:141]
	v_div_scale_f64 v[148:149], vcc_lo, v[140:141], v[138:139], v[140:141]
	v_rcp_f64_e32 v[144:145], v[142:143]
	v_fma_f64 v[146:147], -v[142:143], v[144:145], 1.0
	v_fma_f64 v[144:145], v[144:145], v[146:147], v[144:145]
	v_fma_f64 v[146:147], -v[142:143], v[144:145], 1.0
	v_fma_f64 v[144:145], v[144:145], v[146:147], v[144:145]
	v_mul_f64 v[146:147], v[148:149], v[144:145]
	v_fma_f64 v[142:143], -v[142:143], v[146:147], v[148:149]
	v_div_fmas_f64 v[142:143], v[142:143], v[144:145], v[146:147]
	v_div_fixup_f64 v[144:145], v[142:143], v[138:139], v[140:141]
	v_fma_f64 v[138:139], v[140:141], v[144:145], v[138:139]
	v_div_scale_f64 v[140:141], null, v[138:139], v[138:139], 1.0
	v_rcp_f64_e32 v[142:143], v[140:141]
	v_fma_f64 v[146:147], -v[140:141], v[142:143], 1.0
	v_fma_f64 v[142:143], v[142:143], v[146:147], v[142:143]
	v_fma_f64 v[146:147], -v[140:141], v[142:143], 1.0
	v_fma_f64 v[142:143], v[142:143], v[146:147], v[142:143]
	v_div_scale_f64 v[146:147], vcc_lo, 1.0, v[138:139], 1.0
	v_mul_f64 v[148:149], v[146:147], v[142:143]
	v_fma_f64 v[140:141], -v[140:141], v[148:149], v[146:147]
	v_div_fmas_f64 v[140:141], v[140:141], v[142:143], v[148:149]
	v_div_fixup_f64 v[142:143], v[140:141], v[138:139], 1.0
	v_mul_f64 v[144:145], v[144:145], -v[142:143]
.LBB67_268:
	s_or_b32 exec_lo, exec_lo, s1
	ds_write2_b64 v1, v[142:143], v[144:145] offset1:1
.LBB67_269:
	s_or_b32 exec_lo, exec_lo, s2
	s_waitcnt lgkmcnt(0)
	s_barrier
	buffer_gl0_inv
	ds_read2_b64 v[138:141], v1 offset1:1
	s_mov_b32 s1, exec_lo
	v_cmpx_lt_u32_e32 29, v0
	s_cbranch_execz .LBB67_271
; %bb.270:
	s_waitcnt lgkmcnt(0)
	v_mul_f64 v[142:143], v[138:139], v[20:21]
	v_mul_f64 v[20:21], v[140:141], v[20:21]
	v_fma_f64 v[146:147], v[140:141], v[18:19], v[142:143]
	ds_read2_b64 v[142:145], v160 offset0:60 offset1:61
	v_fma_f64 v[18:19], v[138:139], v[18:19], -v[20:21]
	s_waitcnt lgkmcnt(0)
	v_mul_f64 v[20:21], v[144:145], v[146:147]
	v_fma_f64 v[20:21], v[142:143], v[18:19], -v[20:21]
	v_mul_f64 v[142:143], v[142:143], v[146:147]
	v_add_f64 v[14:15], v[14:15], -v[20:21]
	v_fma_f64 v[142:143], v[144:145], v[18:19], v[142:143]
	v_add_f64 v[16:17], v[16:17], -v[142:143]
	ds_read2_b64 v[142:145], v160 offset0:62 offset1:63
	s_waitcnt lgkmcnt(0)
	v_mul_f64 v[20:21], v[144:145], v[146:147]
	v_fma_f64 v[20:21], v[142:143], v[18:19], -v[20:21]
	v_mul_f64 v[142:143], v[142:143], v[146:147]
	v_add_f64 v[10:11], v[10:11], -v[20:21]
	v_fma_f64 v[142:143], v[144:145], v[18:19], v[142:143]
	v_add_f64 v[12:13], v[12:13], -v[142:143]
	ds_read2_b64 v[142:145], v160 offset0:64 offset1:65
	;; [unrolled: 8-line block ×3, first 2 shown]
	s_waitcnt lgkmcnt(0)
	v_mul_f64 v[20:21], v[144:145], v[146:147]
	v_fma_f64 v[20:21], v[142:143], v[18:19], -v[20:21]
	v_mul_f64 v[142:143], v[142:143], v[146:147]
	v_add_f64 v[2:3], v[2:3], -v[20:21]
	v_fma_f64 v[142:143], v[144:145], v[18:19], v[142:143]
	v_mov_b32_e32 v20, v146
	v_mov_b32_e32 v21, v147
	v_add_f64 v[4:5], v[4:5], -v[142:143]
.LBB67_271:
	s_or_b32 exec_lo, exec_lo, s1
	s_mov_b32 s2, exec_lo
	s_waitcnt lgkmcnt(0)
	s_barrier
	buffer_gl0_inv
	v_cmpx_eq_u32_e32 30, v0
	s_cbranch_execz .LBB67_278
; %bb.272:
	ds_write2_b64 v1, v[14:15], v[16:17] offset1:1
	ds_write2_b64 v160, v[10:11], v[12:13] offset0:62 offset1:63
	ds_write2_b64 v160, v[6:7], v[8:9] offset0:64 offset1:65
	;; [unrolled: 1-line block ×3, first 2 shown]
	ds_read2_b64 v[142:145], v1 offset1:1
	s_waitcnt lgkmcnt(0)
	v_cmp_neq_f64_e32 vcc_lo, 0, v[142:143]
	v_cmp_neq_f64_e64 s1, 0, v[144:145]
	s_or_b32 s1, vcc_lo, s1
	s_and_b32 exec_lo, exec_lo, s1
	s_cbranch_execz .LBB67_278
; %bb.273:
	v_cmp_ngt_f64_e64 s1, |v[142:143]|, |v[144:145]|
                                        ; implicit-def: $vgpr146_vgpr147
	s_and_saveexec_b32 s3, s1
	s_xor_b32 s1, exec_lo, s3
                                        ; implicit-def: $vgpr148_vgpr149
	s_cbranch_execz .LBB67_275
; %bb.274:
	v_div_scale_f64 v[146:147], null, v[144:145], v[144:145], v[142:143]
	v_div_scale_f64 v[152:153], vcc_lo, v[142:143], v[144:145], v[142:143]
	v_rcp_f64_e32 v[148:149], v[146:147]
	v_fma_f64 v[150:151], -v[146:147], v[148:149], 1.0
	v_fma_f64 v[148:149], v[148:149], v[150:151], v[148:149]
	v_fma_f64 v[150:151], -v[146:147], v[148:149], 1.0
	v_fma_f64 v[148:149], v[148:149], v[150:151], v[148:149]
	v_mul_f64 v[150:151], v[152:153], v[148:149]
	v_fma_f64 v[146:147], -v[146:147], v[150:151], v[152:153]
	v_div_fmas_f64 v[146:147], v[146:147], v[148:149], v[150:151]
	v_div_fixup_f64 v[146:147], v[146:147], v[144:145], v[142:143]
	v_fma_f64 v[142:143], v[142:143], v[146:147], v[144:145]
	v_div_scale_f64 v[144:145], null, v[142:143], v[142:143], 1.0
	v_rcp_f64_e32 v[148:149], v[144:145]
	v_fma_f64 v[150:151], -v[144:145], v[148:149], 1.0
	v_fma_f64 v[148:149], v[148:149], v[150:151], v[148:149]
	v_fma_f64 v[150:151], -v[144:145], v[148:149], 1.0
	v_fma_f64 v[148:149], v[148:149], v[150:151], v[148:149]
	v_div_scale_f64 v[150:151], vcc_lo, 1.0, v[142:143], 1.0
	v_mul_f64 v[152:153], v[150:151], v[148:149]
	v_fma_f64 v[144:145], -v[144:145], v[152:153], v[150:151]
	v_div_fmas_f64 v[144:145], v[144:145], v[148:149], v[152:153]
	v_div_fixup_f64 v[148:149], v[144:145], v[142:143], 1.0
                                        ; implicit-def: $vgpr142_vgpr143
	v_mul_f64 v[146:147], v[146:147], v[148:149]
	v_xor_b32_e32 v149, 0x80000000, v149
.LBB67_275:
	s_andn2_saveexec_b32 s1, s1
	s_cbranch_execz .LBB67_277
; %bb.276:
	v_div_scale_f64 v[146:147], null, v[142:143], v[142:143], v[144:145]
	v_div_scale_f64 v[152:153], vcc_lo, v[144:145], v[142:143], v[144:145]
	v_rcp_f64_e32 v[148:149], v[146:147]
	v_fma_f64 v[150:151], -v[146:147], v[148:149], 1.0
	v_fma_f64 v[148:149], v[148:149], v[150:151], v[148:149]
	v_fma_f64 v[150:151], -v[146:147], v[148:149], 1.0
	v_fma_f64 v[148:149], v[148:149], v[150:151], v[148:149]
	v_mul_f64 v[150:151], v[152:153], v[148:149]
	v_fma_f64 v[146:147], -v[146:147], v[150:151], v[152:153]
	v_div_fmas_f64 v[146:147], v[146:147], v[148:149], v[150:151]
	v_div_fixup_f64 v[148:149], v[146:147], v[142:143], v[144:145]
	v_fma_f64 v[142:143], v[144:145], v[148:149], v[142:143]
	v_div_scale_f64 v[144:145], null, v[142:143], v[142:143], 1.0
	v_rcp_f64_e32 v[146:147], v[144:145]
	v_fma_f64 v[150:151], -v[144:145], v[146:147], 1.0
	v_fma_f64 v[146:147], v[146:147], v[150:151], v[146:147]
	v_fma_f64 v[150:151], -v[144:145], v[146:147], 1.0
	v_fma_f64 v[146:147], v[146:147], v[150:151], v[146:147]
	v_div_scale_f64 v[150:151], vcc_lo, 1.0, v[142:143], 1.0
	v_mul_f64 v[152:153], v[150:151], v[146:147]
	v_fma_f64 v[144:145], -v[144:145], v[152:153], v[150:151]
	v_div_fmas_f64 v[144:145], v[144:145], v[146:147], v[152:153]
	v_div_fixup_f64 v[146:147], v[144:145], v[142:143], 1.0
	v_mul_f64 v[148:149], v[148:149], -v[146:147]
.LBB67_277:
	s_or_b32 exec_lo, exec_lo, s1
	ds_write2_b64 v1, v[146:147], v[148:149] offset1:1
.LBB67_278:
	s_or_b32 exec_lo, exec_lo, s2
	s_waitcnt lgkmcnt(0)
	s_barrier
	buffer_gl0_inv
	ds_read2_b64 v[142:145], v1 offset1:1
	s_mov_b32 s1, exec_lo
	v_cmpx_lt_u32_e32 30, v0
	s_cbranch_execz .LBB67_280
; %bb.279:
	s_waitcnt lgkmcnt(0)
	v_mul_f64 v[146:147], v[142:143], v[16:17]
	v_mul_f64 v[16:17], v[144:145], v[16:17]
	v_fma_f64 v[150:151], v[144:145], v[14:15], v[146:147]
	ds_read2_b64 v[146:149], v160 offset0:62 offset1:63
	v_fma_f64 v[14:15], v[142:143], v[14:15], -v[16:17]
	s_waitcnt lgkmcnt(0)
	v_mul_f64 v[16:17], v[148:149], v[150:151]
	v_fma_f64 v[16:17], v[146:147], v[14:15], -v[16:17]
	v_mul_f64 v[146:147], v[146:147], v[150:151]
	v_add_f64 v[10:11], v[10:11], -v[16:17]
	v_fma_f64 v[146:147], v[148:149], v[14:15], v[146:147]
	v_add_f64 v[12:13], v[12:13], -v[146:147]
	ds_read2_b64 v[146:149], v160 offset0:64 offset1:65
	s_waitcnt lgkmcnt(0)
	v_mul_f64 v[16:17], v[148:149], v[150:151]
	v_fma_f64 v[16:17], v[146:147], v[14:15], -v[16:17]
	v_mul_f64 v[146:147], v[146:147], v[150:151]
	v_add_f64 v[6:7], v[6:7], -v[16:17]
	v_fma_f64 v[146:147], v[148:149], v[14:15], v[146:147]
	v_add_f64 v[8:9], v[8:9], -v[146:147]
	ds_read2_b64 v[146:149], v160 offset0:66 offset1:67
	s_waitcnt lgkmcnt(0)
	v_mul_f64 v[16:17], v[148:149], v[150:151]
	v_fma_f64 v[16:17], v[146:147], v[14:15], -v[16:17]
	v_mul_f64 v[146:147], v[146:147], v[150:151]
	v_add_f64 v[2:3], v[2:3], -v[16:17]
	v_fma_f64 v[146:147], v[148:149], v[14:15], v[146:147]
	v_mov_b32_e32 v16, v150
	v_mov_b32_e32 v17, v151
	v_add_f64 v[4:5], v[4:5], -v[146:147]
.LBB67_280:
	s_or_b32 exec_lo, exec_lo, s1
	s_mov_b32 s2, exec_lo
	s_waitcnt lgkmcnt(0)
	s_barrier
	buffer_gl0_inv
	v_cmpx_eq_u32_e32 31, v0
	s_cbranch_execz .LBB67_287
; %bb.281:
	ds_write2_b64 v1, v[10:11], v[12:13] offset1:1
	ds_write2_b64 v160, v[6:7], v[8:9] offset0:64 offset1:65
	ds_write2_b64 v160, v[2:3], v[4:5] offset0:66 offset1:67
	ds_read2_b64 v[146:149], v1 offset1:1
	s_waitcnt lgkmcnt(0)
	v_cmp_neq_f64_e32 vcc_lo, 0, v[146:147]
	v_cmp_neq_f64_e64 s1, 0, v[148:149]
	s_or_b32 s1, vcc_lo, s1
	s_and_b32 exec_lo, exec_lo, s1
	s_cbranch_execz .LBB67_287
; %bb.282:
	v_cmp_ngt_f64_e64 s1, |v[146:147]|, |v[148:149]|
                                        ; implicit-def: $vgpr150_vgpr151
	s_and_saveexec_b32 s3, s1
	s_xor_b32 s1, exec_lo, s3
                                        ; implicit-def: $vgpr152_vgpr153
	s_cbranch_execz .LBB67_284
; %bb.283:
	v_div_scale_f64 v[150:151], null, v[148:149], v[148:149], v[146:147]
	v_div_scale_f64 v[156:157], vcc_lo, v[146:147], v[148:149], v[146:147]
	v_rcp_f64_e32 v[152:153], v[150:151]
	v_fma_f64 v[154:155], -v[150:151], v[152:153], 1.0
	v_fma_f64 v[152:153], v[152:153], v[154:155], v[152:153]
	v_fma_f64 v[154:155], -v[150:151], v[152:153], 1.0
	v_fma_f64 v[152:153], v[152:153], v[154:155], v[152:153]
	v_mul_f64 v[154:155], v[156:157], v[152:153]
	v_fma_f64 v[150:151], -v[150:151], v[154:155], v[156:157]
	v_div_fmas_f64 v[150:151], v[150:151], v[152:153], v[154:155]
	v_div_fixup_f64 v[150:151], v[150:151], v[148:149], v[146:147]
	v_fma_f64 v[146:147], v[146:147], v[150:151], v[148:149]
	v_div_scale_f64 v[148:149], null, v[146:147], v[146:147], 1.0
	v_rcp_f64_e32 v[152:153], v[148:149]
	v_fma_f64 v[154:155], -v[148:149], v[152:153], 1.0
	v_fma_f64 v[152:153], v[152:153], v[154:155], v[152:153]
	v_fma_f64 v[154:155], -v[148:149], v[152:153], 1.0
	v_fma_f64 v[152:153], v[152:153], v[154:155], v[152:153]
	v_div_scale_f64 v[154:155], vcc_lo, 1.0, v[146:147], 1.0
	v_mul_f64 v[156:157], v[154:155], v[152:153]
	v_fma_f64 v[148:149], -v[148:149], v[156:157], v[154:155]
	v_div_fmas_f64 v[148:149], v[148:149], v[152:153], v[156:157]
	v_div_fixup_f64 v[152:153], v[148:149], v[146:147], 1.0
                                        ; implicit-def: $vgpr146_vgpr147
	v_mul_f64 v[150:151], v[150:151], v[152:153]
	v_xor_b32_e32 v153, 0x80000000, v153
.LBB67_284:
	s_andn2_saveexec_b32 s1, s1
	s_cbranch_execz .LBB67_286
; %bb.285:
	v_div_scale_f64 v[150:151], null, v[146:147], v[146:147], v[148:149]
	v_div_scale_f64 v[156:157], vcc_lo, v[148:149], v[146:147], v[148:149]
	v_rcp_f64_e32 v[152:153], v[150:151]
	v_fma_f64 v[154:155], -v[150:151], v[152:153], 1.0
	v_fma_f64 v[152:153], v[152:153], v[154:155], v[152:153]
	v_fma_f64 v[154:155], -v[150:151], v[152:153], 1.0
	v_fma_f64 v[152:153], v[152:153], v[154:155], v[152:153]
	v_mul_f64 v[154:155], v[156:157], v[152:153]
	v_fma_f64 v[150:151], -v[150:151], v[154:155], v[156:157]
	v_div_fmas_f64 v[150:151], v[150:151], v[152:153], v[154:155]
	v_div_fixup_f64 v[152:153], v[150:151], v[146:147], v[148:149]
	v_fma_f64 v[146:147], v[148:149], v[152:153], v[146:147]
	v_div_scale_f64 v[148:149], null, v[146:147], v[146:147], 1.0
	v_rcp_f64_e32 v[150:151], v[148:149]
	v_fma_f64 v[154:155], -v[148:149], v[150:151], 1.0
	v_fma_f64 v[150:151], v[150:151], v[154:155], v[150:151]
	v_fma_f64 v[154:155], -v[148:149], v[150:151], 1.0
	v_fma_f64 v[150:151], v[150:151], v[154:155], v[150:151]
	v_div_scale_f64 v[154:155], vcc_lo, 1.0, v[146:147], 1.0
	v_mul_f64 v[156:157], v[154:155], v[150:151]
	v_fma_f64 v[148:149], -v[148:149], v[156:157], v[154:155]
	v_div_fmas_f64 v[148:149], v[148:149], v[150:151], v[156:157]
	v_div_fixup_f64 v[150:151], v[148:149], v[146:147], 1.0
	v_mul_f64 v[152:153], v[152:153], -v[150:151]
.LBB67_286:
	s_or_b32 exec_lo, exec_lo, s1
	ds_write2_b64 v1, v[150:151], v[152:153] offset1:1
.LBB67_287:
	s_or_b32 exec_lo, exec_lo, s2
	s_waitcnt lgkmcnt(0)
	s_barrier
	buffer_gl0_inv
	ds_read2_b64 v[146:149], v1 offset1:1
	s_mov_b32 s1, exec_lo
	v_cmpx_lt_u32_e32 31, v0
	s_cbranch_execz .LBB67_289
; %bb.288:
	s_waitcnt lgkmcnt(0)
	v_mul_f64 v[150:151], v[146:147], v[12:13]
	v_mul_f64 v[12:13], v[148:149], v[12:13]
	v_fma_f64 v[154:155], v[148:149], v[10:11], v[150:151]
	ds_read2_b64 v[150:153], v160 offset0:64 offset1:65
	v_fma_f64 v[10:11], v[146:147], v[10:11], -v[12:13]
	s_waitcnt lgkmcnt(0)
	v_mul_f64 v[12:13], v[152:153], v[154:155]
	v_fma_f64 v[12:13], v[150:151], v[10:11], -v[12:13]
	v_mul_f64 v[150:151], v[150:151], v[154:155]
	v_add_f64 v[6:7], v[6:7], -v[12:13]
	v_fma_f64 v[150:151], v[152:153], v[10:11], v[150:151]
	v_add_f64 v[8:9], v[8:9], -v[150:151]
	ds_read2_b64 v[150:153], v160 offset0:66 offset1:67
	s_waitcnt lgkmcnt(0)
	v_mul_f64 v[12:13], v[152:153], v[154:155]
	v_fma_f64 v[12:13], v[150:151], v[10:11], -v[12:13]
	v_mul_f64 v[150:151], v[150:151], v[154:155]
	v_add_f64 v[2:3], v[2:3], -v[12:13]
	v_fma_f64 v[150:151], v[152:153], v[10:11], v[150:151]
	v_mov_b32_e32 v12, v154
	v_mov_b32_e32 v13, v155
	v_add_f64 v[4:5], v[4:5], -v[150:151]
.LBB67_289:
	s_or_b32 exec_lo, exec_lo, s1
	s_mov_b32 s2, exec_lo
	s_waitcnt lgkmcnt(0)
	s_barrier
	buffer_gl0_inv
	v_cmpx_eq_u32_e32 32, v0
	s_cbranch_execz .LBB67_296
; %bb.290:
	ds_write2_b64 v1, v[6:7], v[8:9] offset1:1
	ds_write2_b64 v160, v[2:3], v[4:5] offset0:66 offset1:67
	ds_read2_b64 v[150:153], v1 offset1:1
	s_waitcnt lgkmcnt(0)
	v_cmp_neq_f64_e32 vcc_lo, 0, v[150:151]
	v_cmp_neq_f64_e64 s1, 0, v[152:153]
	s_or_b32 s1, vcc_lo, s1
	s_and_b32 exec_lo, exec_lo, s1
	s_cbranch_execz .LBB67_296
; %bb.291:
	v_cmp_ngt_f64_e64 s1, |v[150:151]|, |v[152:153]|
                                        ; implicit-def: $vgpr154_vgpr155
	s_and_saveexec_b32 s3, s1
	s_xor_b32 s1, exec_lo, s3
                                        ; implicit-def: $vgpr156_vgpr157
	s_cbranch_execz .LBB67_293
; %bb.292:
	v_div_scale_f64 v[154:155], null, v[152:153], v[152:153], v[150:151]
	v_div_scale_f64 v[163:164], vcc_lo, v[150:151], v[152:153], v[150:151]
	v_rcp_f64_e32 v[156:157], v[154:155]
	v_fma_f64 v[161:162], -v[154:155], v[156:157], 1.0
	v_fma_f64 v[156:157], v[156:157], v[161:162], v[156:157]
	v_fma_f64 v[161:162], -v[154:155], v[156:157], 1.0
	v_fma_f64 v[156:157], v[156:157], v[161:162], v[156:157]
	v_mul_f64 v[161:162], v[163:164], v[156:157]
	v_fma_f64 v[154:155], -v[154:155], v[161:162], v[163:164]
	v_div_fmas_f64 v[154:155], v[154:155], v[156:157], v[161:162]
	v_div_fixup_f64 v[154:155], v[154:155], v[152:153], v[150:151]
	v_fma_f64 v[150:151], v[150:151], v[154:155], v[152:153]
	v_div_scale_f64 v[152:153], null, v[150:151], v[150:151], 1.0
	v_rcp_f64_e32 v[156:157], v[152:153]
	v_fma_f64 v[161:162], -v[152:153], v[156:157], 1.0
	v_fma_f64 v[156:157], v[156:157], v[161:162], v[156:157]
	v_fma_f64 v[161:162], -v[152:153], v[156:157], 1.0
	v_fma_f64 v[156:157], v[156:157], v[161:162], v[156:157]
	v_div_scale_f64 v[161:162], vcc_lo, 1.0, v[150:151], 1.0
	v_mul_f64 v[163:164], v[161:162], v[156:157]
	v_fma_f64 v[152:153], -v[152:153], v[163:164], v[161:162]
	v_div_fmas_f64 v[152:153], v[152:153], v[156:157], v[163:164]
	v_div_fixup_f64 v[156:157], v[152:153], v[150:151], 1.0
                                        ; implicit-def: $vgpr150_vgpr151
	v_mul_f64 v[154:155], v[154:155], v[156:157]
	v_xor_b32_e32 v157, 0x80000000, v157
.LBB67_293:
	s_andn2_saveexec_b32 s1, s1
	s_cbranch_execz .LBB67_295
; %bb.294:
	v_div_scale_f64 v[154:155], null, v[150:151], v[150:151], v[152:153]
	v_div_scale_f64 v[163:164], vcc_lo, v[152:153], v[150:151], v[152:153]
	v_rcp_f64_e32 v[156:157], v[154:155]
	v_fma_f64 v[161:162], -v[154:155], v[156:157], 1.0
	v_fma_f64 v[156:157], v[156:157], v[161:162], v[156:157]
	v_fma_f64 v[161:162], -v[154:155], v[156:157], 1.0
	v_fma_f64 v[156:157], v[156:157], v[161:162], v[156:157]
	v_mul_f64 v[161:162], v[163:164], v[156:157]
	v_fma_f64 v[154:155], -v[154:155], v[161:162], v[163:164]
	v_div_fmas_f64 v[154:155], v[154:155], v[156:157], v[161:162]
	v_div_fixup_f64 v[156:157], v[154:155], v[150:151], v[152:153]
	v_fma_f64 v[150:151], v[152:153], v[156:157], v[150:151]
	v_div_scale_f64 v[152:153], null, v[150:151], v[150:151], 1.0
	v_rcp_f64_e32 v[154:155], v[152:153]
	v_fma_f64 v[161:162], -v[152:153], v[154:155], 1.0
	v_fma_f64 v[154:155], v[154:155], v[161:162], v[154:155]
	v_fma_f64 v[161:162], -v[152:153], v[154:155], 1.0
	v_fma_f64 v[154:155], v[154:155], v[161:162], v[154:155]
	v_div_scale_f64 v[161:162], vcc_lo, 1.0, v[150:151], 1.0
	v_mul_f64 v[163:164], v[161:162], v[154:155]
	v_fma_f64 v[152:153], -v[152:153], v[163:164], v[161:162]
	v_div_fmas_f64 v[152:153], v[152:153], v[154:155], v[163:164]
	v_div_fixup_f64 v[154:155], v[152:153], v[150:151], 1.0
	v_mul_f64 v[156:157], v[156:157], -v[154:155]
.LBB67_295:
	s_or_b32 exec_lo, exec_lo, s1
	ds_write2_b64 v1, v[154:155], v[156:157] offset1:1
.LBB67_296:
	s_or_b32 exec_lo, exec_lo, s2
	s_waitcnt lgkmcnt(0)
	s_barrier
	buffer_gl0_inv
	ds_read2_b64 v[150:153], v1 offset1:1
	s_mov_b32 s1, exec_lo
	v_cmpx_lt_u32_e32 32, v0
	s_cbranch_execz .LBB67_298
; %bb.297:
	s_waitcnt lgkmcnt(0)
	v_mul_f64 v[154:155], v[150:151], v[8:9]
	v_mul_f64 v[8:9], v[152:153], v[8:9]
	v_fma_f64 v[161:162], v[152:153], v[6:7], v[154:155]
	ds_read2_b64 v[154:157], v160 offset0:66 offset1:67
	v_fma_f64 v[6:7], v[150:151], v[6:7], -v[8:9]
	s_waitcnt lgkmcnt(0)
	v_mul_f64 v[8:9], v[156:157], v[161:162]
	v_fma_f64 v[8:9], v[154:155], v[6:7], -v[8:9]
	v_mul_f64 v[154:155], v[154:155], v[161:162]
	v_add_f64 v[2:3], v[2:3], -v[8:9]
	v_fma_f64 v[154:155], v[156:157], v[6:7], v[154:155]
	v_mov_b32_e32 v8, v161
	v_mov_b32_e32 v9, v162
	v_add_f64 v[4:5], v[4:5], -v[154:155]
.LBB67_298:
	s_or_b32 exec_lo, exec_lo, s1
	s_mov_b32 s2, exec_lo
	s_waitcnt lgkmcnt(0)
	s_barrier
	buffer_gl0_inv
	v_cmpx_eq_u32_e32 33, v0
	s_cbranch_execz .LBB67_305
; %bb.299:
	v_cmp_neq_f64_e32 vcc_lo, 0, v[2:3]
	v_cmp_neq_f64_e64 s1, 0, v[4:5]
	ds_write2_b64 v1, v[2:3], v[4:5] offset1:1
	s_or_b32 s1, vcc_lo, s1
	s_and_b32 exec_lo, exec_lo, s1
	s_cbranch_execz .LBB67_305
; %bb.300:
	v_cmp_ngt_f64_e64 s1, |v[2:3]|, |v[4:5]|
                                        ; implicit-def: $vgpr154_vgpr155
	s_and_saveexec_b32 s3, s1
	s_xor_b32 s1, exec_lo, s3
                                        ; implicit-def: $vgpr156_vgpr157
	s_cbranch_execz .LBB67_302
; %bb.301:
	v_div_scale_f64 v[154:155], null, v[4:5], v[4:5], v[2:3]
	v_div_scale_f64 v[162:163], vcc_lo, v[2:3], v[4:5], v[2:3]
	v_mov_b32_e32 v229, v226
	v_mov_b32_e32 v228, v225
	;; [unrolled: 1-line block ×18, first 2 shown]
	v_rcp_f64_e32 v[156:157], v[154:155]
	v_mov_b32_e32 v211, v208
	v_mov_b32_e32 v210, v207
	;; [unrolled: 1-line block ×23, first 2 shown]
	v_fma_f64 v[160:161], -v[154:155], v[156:157], 1.0
	v_mov_b32_e32 v190, v187
	v_mov_b32_e32 v189, v186
	;; [unrolled: 1-line block ×21, first 2 shown]
	v_fma_f64 v[156:157], v[156:157], v[160:161], v[156:157]
	v_mov_b32_e32 v169, v167
	v_mov_b32_e32 v168, v166
	v_fma_f64 v[160:161], -v[154:155], v[156:157], 1.0
	v_fma_f64 v[156:157], v[156:157], v[160:161], v[156:157]
	v_mul_f64 v[160:161], v[162:163], v[156:157]
	v_fma_f64 v[154:155], -v[154:155], v[160:161], v[162:163]
	v_div_fmas_f64 v[154:155], v[154:155], v[156:157], v[160:161]
	v_div_fixup_f64 v[154:155], v[154:155], v[4:5], v[2:3]
	v_fma_f64 v[156:157], v[2:3], v[154:155], v[4:5]
	v_div_scale_f64 v[160:161], null, v[156:157], v[156:157], 1.0
	v_rcp_f64_e32 v[162:163], v[160:161]
	v_fma_f64 v[164:165], -v[160:161], v[162:163], 1.0
	v_fma_f64 v[162:163], v[162:163], v[164:165], v[162:163]
	v_fma_f64 v[164:165], -v[160:161], v[162:163], 1.0
	v_fma_f64 v[162:163], v[162:163], v[164:165], v[162:163]
	v_div_scale_f64 v[164:165], vcc_lo, 1.0, v[156:157], 1.0
	v_mul_f64 v[166:167], v[164:165], v[162:163]
	v_fma_f64 v[160:161], -v[160:161], v[166:167], v[164:165]
	v_div_fmas_f64 v[160:161], v[160:161], v[162:163], v[166:167]
	v_mov_b32_e32 v166, v168
	v_mov_b32_e32 v167, v169
	;; [unrolled: 1-line block ×21, first 2 shown]
	v_div_fixup_f64 v[156:157], v[160:161], v[156:157], 1.0
	v_mov_b32_e32 v186, v189
	v_mov_b32_e32 v187, v190
	;; [unrolled: 1-line block ×21, first 2 shown]
	v_mul_f64 v[154:155], v[154:155], v[156:157]
	v_mov_b32_e32 v205, v208
	v_mov_b32_e32 v206, v209
	;; [unrolled: 1-line block ×22, first 2 shown]
	v_xor_b32_e32 v157, 0x80000000, v157
.LBB67_302:
	s_andn2_saveexec_b32 s1, s1
	s_cbranch_execz .LBB67_304
; %bb.303:
	v_div_scale_f64 v[154:155], null, v[2:3], v[2:3], v[4:5]
	v_div_scale_f64 v[162:163], vcc_lo, v[4:5], v[2:3], v[4:5]
	v_mov_b32_e32 v229, v226
	v_mov_b32_e32 v228, v225
	;; [unrolled: 1-line block ×18, first 2 shown]
	v_rcp_f64_e32 v[156:157], v[154:155]
	v_mov_b32_e32 v211, v208
	v_mov_b32_e32 v210, v207
	;; [unrolled: 1-line block ×23, first 2 shown]
	v_fma_f64 v[160:161], -v[154:155], v[156:157], 1.0
	v_mov_b32_e32 v190, v187
	v_mov_b32_e32 v189, v186
	;; [unrolled: 1-line block ×21, first 2 shown]
	v_fma_f64 v[156:157], v[156:157], v[160:161], v[156:157]
	v_mov_b32_e32 v169, v167
	v_mov_b32_e32 v168, v166
	v_fma_f64 v[160:161], -v[154:155], v[156:157], 1.0
	v_fma_f64 v[156:157], v[156:157], v[160:161], v[156:157]
	v_mul_f64 v[160:161], v[162:163], v[156:157]
	v_fma_f64 v[154:155], -v[154:155], v[160:161], v[162:163]
	v_div_fmas_f64 v[154:155], v[154:155], v[156:157], v[160:161]
	v_div_fixup_f64 v[156:157], v[154:155], v[2:3], v[4:5]
	v_fma_f64 v[154:155], v[4:5], v[156:157], v[2:3]
	v_div_scale_f64 v[160:161], null, v[154:155], v[154:155], 1.0
	v_rcp_f64_e32 v[162:163], v[160:161]
	v_fma_f64 v[164:165], -v[160:161], v[162:163], 1.0
	v_fma_f64 v[162:163], v[162:163], v[164:165], v[162:163]
	v_fma_f64 v[164:165], -v[160:161], v[162:163], 1.0
	v_fma_f64 v[162:163], v[162:163], v[164:165], v[162:163]
	v_div_scale_f64 v[164:165], vcc_lo, 1.0, v[154:155], 1.0
	v_mul_f64 v[166:167], v[164:165], v[162:163]
	v_fma_f64 v[160:161], -v[160:161], v[166:167], v[164:165]
	v_div_fmas_f64 v[160:161], v[160:161], v[162:163], v[166:167]
	v_mov_b32_e32 v166, v168
	v_mov_b32_e32 v167, v169
	;; [unrolled: 1-line block ×21, first 2 shown]
	v_div_fixup_f64 v[154:155], v[160:161], v[154:155], 1.0
	v_mov_b32_e32 v186, v189
	v_mov_b32_e32 v187, v190
	;; [unrolled: 1-line block ×21, first 2 shown]
	v_mul_f64 v[156:157], v[156:157], -v[154:155]
	v_mov_b32_e32 v205, v208
	v_mov_b32_e32 v206, v209
	;; [unrolled: 1-line block ×22, first 2 shown]
.LBB67_304:
	s_or_b32 exec_lo, exec_lo, s1
	ds_write2_b64 v1, v[154:155], v[156:157] offset1:1
.LBB67_305:
	s_or_b32 exec_lo, exec_lo, s2
	s_waitcnt lgkmcnt(0)
	s_barrier
	buffer_gl0_inv
	ds_read2_b64 v[154:157], v1 offset1:1
	s_mov_b32 s1, exec_lo
	v_cmpx_lt_u32_e32 33, v0
	s_cbranch_execz .LBB67_307
; %bb.306:
	s_waitcnt lgkmcnt(0)
	v_mul_f64 v[0:1], v[156:157], v[4:5]
	v_mul_f64 v[4:5], v[154:155], v[4:5]
	v_fma_f64 v[0:1], v[154:155], v[2:3], -v[0:1]
	v_fma_f64 v[4:5], v[156:157], v[2:3], v[4:5]
	v_mov_b32_e32 v3, v1
	v_mov_b32_e32 v2, v0
.LBB67_307:
	s_or_b32 exec_lo, exec_lo, s1
	s_waitcnt lgkmcnt(0)
	s_barrier
	buffer_gl0_inv
	s_and_saveexec_b32 s7, s0
	s_cbranch_execz .LBB67_310
; %bb.308:
	s_clause 0x3
	buffer_load_dword v160, off, s[16:19], 0
	buffer_load_dword v161, off, s[16:19], 0 offset:4
	buffer_load_dword v162, off, s[16:19], 0 offset:8
	;; [unrolled: 1-line block ×3, first 2 shown]
	s_waitcnt vmcnt(2)
	v_cmp_eq_f64_e32 vcc_lo, 0, v[160:161]
	s_waitcnt vmcnt(0)
	v_cmp_eq_f64_e64 s0, 0, v[162:163]
	s_clause 0x3
	buffer_load_dword v160, off, s[16:19], 0 offset:16
	buffer_load_dword v161, off, s[16:19], 0 offset:20
	;; [unrolled: 1-line block ×4, first 2 shown]
	s_and_b32 s0, vcc_lo, s0
	v_cndmask_b32_e64 v0, 0, 1, s0
	s_waitcnt vmcnt(2)
	v_cmp_neq_f64_e64 s1, 0, v[160:161]
	s_waitcnt vmcnt(0)
	v_cmp_neq_f64_e64 s2, 0, v[162:163]
	s_clause 0x3
	buffer_load_dword v160, off, s[16:19], 0 offset:32
	buffer_load_dword v161, off, s[16:19], 0 offset:36
	;; [unrolled: 1-line block ×4, first 2 shown]
	s_or_b32 s1, s1, s2
	s_or_b32 vcc_lo, s1, s0
	v_cndmask_b32_e32 v0, 2, v0, vcc_lo
	v_cmp_eq_u32_e32 vcc_lo, 0, v0
	s_waitcnt vmcnt(2)
	v_cmp_eq_f64_e64 s3, 0, v[160:161]
	s_waitcnt vmcnt(0)
	v_cmp_eq_f64_e64 s4, 0, v[162:163]
	s_clause 0x3
	buffer_load_dword v160, off, s[16:19], 0 offset:48
	buffer_load_dword v161, off, s[16:19], 0 offset:52
	;; [unrolled: 1-line block ×4, first 2 shown]
	s_and_b32 s0, s3, s4
	s_and_b32 s0, s0, vcc_lo
	v_cndmask_b32_e64 v0, v0, 3, s0
	v_cmp_eq_u32_e64 s3, 0, v0
	s_waitcnt vmcnt(2)
	v_cmp_eq_f64_e64 s5, 0, v[160:161]
	s_waitcnt vmcnt(0)
	v_cmp_eq_f64_e64 s6, 0, v[162:163]
	s_clause 0x3
	buffer_load_dword v160, off, s[16:19], 0 offset:64
	buffer_load_dword v161, off, s[16:19], 0 offset:68
	;; [unrolled: 1-line block ×4, first 2 shown]
	s_and_b32 s4, s5, s6
	s_and_b32 s3, s4, s3
	s_waitcnt vmcnt(2)
	v_cmp_eq_f64_e64 s1, 0, v[160:161]
	s_waitcnt vmcnt(0)
	v_cmp_eq_f64_e64 s2, 0, v[162:163]
	s_clause 0x3
	buffer_load_dword v160, off, s[16:19], 0 offset:80
	buffer_load_dword v161, off, s[16:19], 0 offset:84
	;; [unrolled: 1-line block ×4, first 2 shown]
	s_and_b32 s5, s1, s2
	s_waitcnt vmcnt(2)
	v_cmp_eq_f64_e32 vcc_lo, 0, v[160:161]
	v_cndmask_b32_e64 v160, v0, 4, s3
	s_waitcnt vmcnt(0)
	v_cmp_eq_f64_e64 s0, 0, v[162:163]
	s_clause 0x3
	buffer_load_dword v161, off, s[16:19], 0 offset:96
	buffer_load_dword v162, off, s[16:19], 0 offset:100
	;; [unrolled: 1-line block ×4, first 2 shown]
	v_lshlrev_b64 v[0:1], 2, v[211:212]
	v_cmp_eq_u32_e64 s1, 0, v160
	v_add_co_u32 v0, s2, s10, v0
	v_add_co_ci_u32_e64 v1, null, s11, v1, s2
	s_and_b32 s1, s5, s1
	v_cndmask_b32_e64 v160, v160, 5, s1
	v_cmp_eq_u32_e64 s1, 0, v160
	s_and_b32 s0, vcc_lo, s0
	s_and_b32 s0, s0, s1
	v_cndmask_b32_e64 v160, v160, 6, s0
	v_cmp_eq_u32_e32 vcc_lo, 0, v160
	s_waitcnt vmcnt(2)
	v_cmp_eq_f64_e64 s3, 0, v[161:162]
	global_load_dword v161, v[0:1], off
	s_waitcnt vmcnt(1)
	v_cmp_eq_f64_e64 s4, 0, v[163:164]
	s_clause 0x3
	buffer_load_dword v162, off, s[16:19], 0 offset:112
	buffer_load_dword v163, off, s[16:19], 0 offset:116
	buffer_load_dword v164, off, s[16:19], 0 offset:120
	buffer_load_dword v165, off, s[16:19], 0 offset:124
	s_and_b32 s3, s3, s4
	s_and_b32 s3, s3, vcc_lo
	v_cndmask_b32_e64 v160, v160, 7, s3
	v_cmp_eq_u32_e32 vcc_lo, 0, v160
	s_waitcnt vmcnt(2)
	v_cmp_eq_f64_e64 s2, 0, v[162:163]
	s_waitcnt vmcnt(0)
	v_cmp_eq_f64_e64 s5, 0, v[164:165]
	s_clause 0x3
	buffer_load_dword v162, off, s[16:19], 0 offset:136
	buffer_load_dword v163, off, s[16:19], 0 offset:140
	buffer_load_dword v164, off, s[16:19], 0 offset:144
	buffer_load_dword v165, off, s[16:19], 0 offset:148
	s_and_b32 s2, s2, s5
	s_and_b32 s2, s2, vcc_lo
	v_cndmask_b32_e64 v160, v160, 8, s2
	v_cmp_eq_u32_e32 vcc_lo, 0, v160
	s_waitcnt vmcnt(2)
	v_cmp_eq_f64_e64 s0, 0, v[162:163]
	;; [unrolled: 13-line block ×15, first 2 shown]
	s_waitcnt vmcnt(0)
	v_cmp_eq_f64_e64 s4, 0, v[164:165]
	s_clause 0x3
	buffer_load_dword v162, off, s[16:19], 0 offset:360
	buffer_load_dword v163, off, s[16:19], 0 offset:364
	;; [unrolled: 1-line block ×4, first 2 shown]
	s_and_b32 s3, s3, s4
	v_cmp_eq_f64_e64 s4, 0, v[236:237]
	s_and_b32 s3, s3, vcc_lo
	v_cndmask_b32_e64 v160, v160, 22, s3
	v_cmp_eq_f64_e64 s3, 0, v[234:235]
	v_cmp_eq_u32_e32 vcc_lo, 0, v160
	s_and_b32 s3, s3, s4
	v_cmp_eq_f64_e64 s4, 0, v[248:249]
	s_waitcnt vmcnt(2)
	v_cmp_eq_f64_e64 s2, 0, v[162:163]
	s_waitcnt vmcnt(0)
	v_cmp_eq_f64_e64 s5, 0, v[164:165]
	s_clause 0x3
	buffer_load_dword v162, off, s[16:19], 0 offset:376
	buffer_load_dword v163, off, s[16:19], 0 offset:380
	;; [unrolled: 1-line block ×4, first 2 shown]
	s_and_b32 s2, s2, s5
	v_cmp_eq_f64_e64 s5, 0, v[240:241]
	s_and_b32 s2, s2, vcc_lo
	v_cndmask_b32_e64 v160, v160, 23, s2
	v_cmp_eq_f64_e64 s2, 0, v[238:239]
	v_cmp_eq_u32_e32 vcc_lo, 0, v160
	s_and_b32 s2, s2, s5
	v_cmp_eq_f64_e64 s5, 0, v[252:253]
	s_waitcnt vmcnt(2)
	v_cmp_eq_f64_e64 s0, 0, v[162:163]
	s_waitcnt vmcnt(0)
	v_cmp_eq_f64_e64 s1, 0, v[164:165]
	s_and_b32 s0, s0, s1
	v_cmp_eq_f64_e64 s1, 0, v[244:245]
	s_and_b32 s0, s0, vcc_lo
	v_cndmask_b32_e64 v160, v160, 24, s0
	v_cmp_eq_f64_e64 s0, 0, v[242:243]
	v_cmp_eq_u32_e32 vcc_lo, 0, v160
	s_and_b32 s3, s3, vcc_lo
	v_cndmask_b32_e64 v160, v160, 25, s3
	v_cmp_eq_f64_e64 s3, 0, v[246:247]
	v_cmp_eq_u32_e32 vcc_lo, 0, v160
	s_and_b32 s2, s2, vcc_lo
	s_and_b32 s0, s0, s1
	v_cndmask_b32_e64 v160, v160, 26, s2
	v_cmp_eq_f64_e64 s2, 0, v[250:251]
	v_cmp_eq_f64_e64 s1, 0, v[140:141]
	v_cmp_eq_u32_e32 vcc_lo, 0, v160
	s_and_b32 s0, s0, vcc_lo
	s_and_b32 s3, s3, s4
	v_cndmask_b32_e64 v160, v160, 27, s0
	v_cmp_eq_f64_e64 s0, 0, v[138:139]
	;; [unrolled: 6-line block ×6, first 2 shown]
	v_cmp_eq_u32_e32 vcc_lo, 0, v138
	s_and_b32 s2, s2, vcc_lo
	s_and_b32 s0, s0, s1
	v_cndmask_b32_e64 v138, v138, 32, s2
	v_cmp_eq_u32_e32 vcc_lo, 0, v138
	s_and_b32 s0, s0, vcc_lo
	v_cndmask_b32_e64 v138, v138, 33, s0
	s_and_b32 s0, s3, s4
	v_cmp_eq_u32_e32 vcc_lo, 0, v138
	s_and_b32 s0, s0, vcc_lo
	v_cmp_eq_u32_e32 vcc_lo, 0, v161
	v_cndmask_b32_e64 v138, v138, 34, s0
	v_cmp_ne_u32_e64 s0, 0, v138
	s_and_b32 s0, vcc_lo, s0
	s_and_b32 exec_lo, exec_lo, s0
	s_cbranch_execz .LBB67_310
; %bb.309:
	v_add_nc_u32_e32 v138, s13, v138
	global_store_dword v[0:1], v138, off
.LBB67_310:
	s_or_b32 exec_lo, exec_lo, s7
	global_store_dwordx4 v[232:233], v[134:137], off
	global_store_dwordx4 v[225:226], v[130:133], off
	;; [unrolled: 1-line block ×4, first 2 shown]
	s_clause 0x1
	buffer_load_dword v0, off, s[16:19], 0 offset:128
	buffer_load_dword v1, off, s[16:19], 0 offset:132
	s_waitcnt vmcnt(0)
	global_store_dwordx4 v[0:1], v[118:121], off
	global_store_dwordx4 v[169:170], v[114:117], off
	;; [unrolled: 1-line block ×30, first 2 shown]
.LBB67_311:
	s_endpgm
	.section	.rodata,"a",@progbits
	.p2align	6, 0x0
	.amdhsa_kernel _ZN9rocsolver6v33100L23getf2_npvt_small_kernelILi34E19rocblas_complex_numIdEiiPS3_EEvT1_T3_lS5_lPT2_S5_S5_
		.amdhsa_group_segment_fixed_size 0
		.amdhsa_private_segment_fixed_size 396
		.amdhsa_kernarg_size 312
		.amdhsa_user_sgpr_count 6
		.amdhsa_user_sgpr_private_segment_buffer 1
		.amdhsa_user_sgpr_dispatch_ptr 0
		.amdhsa_user_sgpr_queue_ptr 0
		.amdhsa_user_sgpr_kernarg_segment_ptr 1
		.amdhsa_user_sgpr_dispatch_id 0
		.amdhsa_user_sgpr_flat_scratch_init 0
		.amdhsa_user_sgpr_private_segment_size 0
		.amdhsa_wavefront_size32 1
		.amdhsa_uses_dynamic_stack 0
		.amdhsa_system_sgpr_private_segment_wavefront_offset 1
		.amdhsa_system_sgpr_workgroup_id_x 1
		.amdhsa_system_sgpr_workgroup_id_y 1
		.amdhsa_system_sgpr_workgroup_id_z 0
		.amdhsa_system_sgpr_workgroup_info 0
		.amdhsa_system_vgpr_workitem_id 1
		.amdhsa_next_free_vgpr 256
		.amdhsa_next_free_sgpr 20
		.amdhsa_reserve_vcc 1
		.amdhsa_reserve_flat_scratch 0
		.amdhsa_float_round_mode_32 0
		.amdhsa_float_round_mode_16_64 0
		.amdhsa_float_denorm_mode_32 3
		.amdhsa_float_denorm_mode_16_64 3
		.amdhsa_dx10_clamp 1
		.amdhsa_ieee_mode 1
		.amdhsa_fp16_overflow 0
		.amdhsa_workgroup_processor_mode 1
		.amdhsa_memory_ordered 1
		.amdhsa_forward_progress 1
		.amdhsa_shared_vgpr_count 0
		.amdhsa_exception_fp_ieee_invalid_op 0
		.amdhsa_exception_fp_denorm_src 0
		.amdhsa_exception_fp_ieee_div_zero 0
		.amdhsa_exception_fp_ieee_overflow 0
		.amdhsa_exception_fp_ieee_underflow 0
		.amdhsa_exception_fp_ieee_inexact 0
		.amdhsa_exception_int_div_zero 0
	.end_amdhsa_kernel
	.section	.text._ZN9rocsolver6v33100L23getf2_npvt_small_kernelILi34E19rocblas_complex_numIdEiiPS3_EEvT1_T3_lS5_lPT2_S5_S5_,"axG",@progbits,_ZN9rocsolver6v33100L23getf2_npvt_small_kernelILi34E19rocblas_complex_numIdEiiPS3_EEvT1_T3_lS5_lPT2_S5_S5_,comdat
.Lfunc_end67:
	.size	_ZN9rocsolver6v33100L23getf2_npvt_small_kernelILi34E19rocblas_complex_numIdEiiPS3_EEvT1_T3_lS5_lPT2_S5_S5_, .Lfunc_end67-_ZN9rocsolver6v33100L23getf2_npvt_small_kernelILi34E19rocblas_complex_numIdEiiPS3_EEvT1_T3_lS5_lPT2_S5_S5_
                                        ; -- End function
	.set _ZN9rocsolver6v33100L23getf2_npvt_small_kernelILi34E19rocblas_complex_numIdEiiPS3_EEvT1_T3_lS5_lPT2_S5_S5_.num_vgpr, 256
	.set _ZN9rocsolver6v33100L23getf2_npvt_small_kernelILi34E19rocblas_complex_numIdEiiPS3_EEvT1_T3_lS5_lPT2_S5_S5_.num_agpr, 0
	.set _ZN9rocsolver6v33100L23getf2_npvt_small_kernelILi34E19rocblas_complex_numIdEiiPS3_EEvT1_T3_lS5_lPT2_S5_S5_.numbered_sgpr, 20
	.set _ZN9rocsolver6v33100L23getf2_npvt_small_kernelILi34E19rocblas_complex_numIdEiiPS3_EEvT1_T3_lS5_lPT2_S5_S5_.num_named_barrier, 0
	.set _ZN9rocsolver6v33100L23getf2_npvt_small_kernelILi34E19rocblas_complex_numIdEiiPS3_EEvT1_T3_lS5_lPT2_S5_S5_.private_seg_size, 396
	.set _ZN9rocsolver6v33100L23getf2_npvt_small_kernelILi34E19rocblas_complex_numIdEiiPS3_EEvT1_T3_lS5_lPT2_S5_S5_.uses_vcc, 1
	.set _ZN9rocsolver6v33100L23getf2_npvt_small_kernelILi34E19rocblas_complex_numIdEiiPS3_EEvT1_T3_lS5_lPT2_S5_S5_.uses_flat_scratch, 0
	.set _ZN9rocsolver6v33100L23getf2_npvt_small_kernelILi34E19rocblas_complex_numIdEiiPS3_EEvT1_T3_lS5_lPT2_S5_S5_.has_dyn_sized_stack, 0
	.set _ZN9rocsolver6v33100L23getf2_npvt_small_kernelILi34E19rocblas_complex_numIdEiiPS3_EEvT1_T3_lS5_lPT2_S5_S5_.has_recursion, 0
	.set _ZN9rocsolver6v33100L23getf2_npvt_small_kernelILi34E19rocblas_complex_numIdEiiPS3_EEvT1_T3_lS5_lPT2_S5_S5_.has_indirect_call, 0
	.section	.AMDGPU.csdata,"",@progbits
; Kernel info:
; codeLenInByte = 64872
; TotalNumSgprs: 22
; NumVgprs: 256
; ScratchSize: 396
; MemoryBound: 1
; FloatMode: 240
; IeeeMode: 1
; LDSByteSize: 0 bytes/workgroup (compile time only)
; SGPRBlocks: 0
; VGPRBlocks: 31
; NumSGPRsForWavesPerEU: 22
; NumVGPRsForWavesPerEU: 256
; Occupancy: 4
; WaveLimiterHint : 0
; COMPUTE_PGM_RSRC2:SCRATCH_EN: 1
; COMPUTE_PGM_RSRC2:USER_SGPR: 6
; COMPUTE_PGM_RSRC2:TRAP_HANDLER: 0
; COMPUTE_PGM_RSRC2:TGID_X_EN: 1
; COMPUTE_PGM_RSRC2:TGID_Y_EN: 1
; COMPUTE_PGM_RSRC2:TGID_Z_EN: 0
; COMPUTE_PGM_RSRC2:TIDIG_COMP_CNT: 1
	.section	.text._ZN9rocsolver6v33100L18getf2_small_kernelILi35E19rocblas_complex_numIdEiiPS3_EEvT1_T3_lS5_lPS5_llPT2_S5_S5_S7_l,"axG",@progbits,_ZN9rocsolver6v33100L18getf2_small_kernelILi35E19rocblas_complex_numIdEiiPS3_EEvT1_T3_lS5_lPS5_llPT2_S5_S5_S7_l,comdat
	.globl	_ZN9rocsolver6v33100L18getf2_small_kernelILi35E19rocblas_complex_numIdEiiPS3_EEvT1_T3_lS5_lPS5_llPT2_S5_S5_S7_l ; -- Begin function _ZN9rocsolver6v33100L18getf2_small_kernelILi35E19rocblas_complex_numIdEiiPS3_EEvT1_T3_lS5_lPS5_llPT2_S5_S5_S7_l
	.p2align	8
	.type	_ZN9rocsolver6v33100L18getf2_small_kernelILi35E19rocblas_complex_numIdEiiPS3_EEvT1_T3_lS5_lPS5_llPT2_S5_S5_S7_l,@function
_ZN9rocsolver6v33100L18getf2_small_kernelILi35E19rocblas_complex_numIdEiiPS3_EEvT1_T3_lS5_lPS5_llPT2_S5_S5_S7_l: ; @_ZN9rocsolver6v33100L18getf2_small_kernelILi35E19rocblas_complex_numIdEiiPS3_EEvT1_T3_lS5_lPS5_llPT2_S5_S5_S7_l
; %bb.0:
	s_clause 0x1
	s_load_dword s0, s[4:5], 0x6c
	s_load_dwordx2 s[16:17], s[4:5], 0x48
	s_waitcnt lgkmcnt(0)
	s_lshr_b32 s0, s0, 16
	v_mad_u64_u32 v[146:147], null, s7, s0, v[1:2]
	s_mov_b32 s0, exec_lo
	v_cmpx_gt_i32_e64 s16, v146
	s_cbranch_execz .LBB68_738
; %bb.1:
	s_load_dwordx4 s[0:3], s[4:5], 0x50
	v_mov_b32_e32 v148, 0
	v_ashrrev_i32_e32 v147, 31, v146
	v_mov_b32_e32 v149, 0
	s_waitcnt lgkmcnt(0)
	s_cmp_eq_u64 s[0:1], 0
	s_cselect_b32 s16, -1, 0
	s_and_b32 vcc_lo, exec_lo, s16
	s_cbranch_vccnz .LBB68_3
; %bb.2:
	v_mul_lo_u32 v4, s3, v146
	v_mul_lo_u32 v5, s2, v147
	v_mad_u64_u32 v[2:3], null, s2, v146, 0
	v_add3_u32 v3, v3, v5, v4
	v_lshlrev_b64 v[2:3], 2, v[2:3]
	v_add_co_u32 v148, vcc_lo, s0, v2
	v_add_co_ci_u32_e64 v149, null, s1, v3, vcc_lo
.LBB68_3:
	s_clause 0x2
	s_load_dwordx8 s[8:15], s[4:5], 0x20
	s_load_dword s6, s[4:5], 0x18
	s_load_dwordx4 s[0:3], s[4:5], 0x8
	v_lshlrev_b32_e32 v152, 4, v0
	s_clause 0x1
	s_load_dword s18, s[4:5], 0x0
	s_load_dwordx2 s[4:5], s[4:5], 0x40
	s_waitcnt lgkmcnt(0)
	v_mul_lo_u32 v5, s9, v146
	v_mul_lo_u32 v7, s8, v147
	v_mad_u64_u32 v[2:3], null, s8, v146, 0
	v_add3_u32 v4, s6, s6, v0
	s_lshl_b64 s[2:3], s[2:3], 4
	s_ashr_i32 s7, s6, 31
	s_lshl_b64 s[8:9], s[6:7], 4
	v_add_nc_u32_e32 v6, s6, v4
	v_add3_u32 v3, v3, v7, v5
	v_ashrrev_i32_e32 v5, 31, v4
	v_add_nc_u32_e32 v8, s6, v6
	v_lshlrev_b64 v[2:3], 4, v[2:3]
	v_ashrrev_i32_e32 v7, 31, v6
	v_lshlrev_b64 v[4:5], 4, v[4:5]
	v_ashrrev_i32_e32 v9, 31, v8
	v_add_nc_u32_e32 v10, s6, v8
	v_add_co_u32 v12, vcc_lo, s0, v2
	v_add_co_ci_u32_e64 v13, null, s1, v3, vcc_lo
	v_lshlrev_b64 v[2:3], 4, v[8:9]
	v_add_nc_u32_e32 v8, s6, v10
	v_add_co_u32 v153, vcc_lo, v12, s2
	v_ashrrev_i32_e32 v11, 31, v10
	v_lshlrev_b64 v[6:7], 4, v[6:7]
	v_add_nc_u32_e32 v12, s6, v8
	v_add_co_ci_u32_e64 v154, null, s3, v13, vcc_lo
	v_ashrrev_i32_e32 v9, 31, v8
	v_lshlrev_b64 v[10:11], 4, v[10:11]
	v_add_nc_u32_e32 v14, s6, v12
	v_ashrrev_i32_e32 v13, 31, v12
	v_add_co_u32 v4, vcc_lo, v153, v4
	v_add_co_ci_u32_e64 v5, null, v154, v5, vcc_lo
	v_add_nc_u32_e32 v16, s6, v14
	v_ashrrev_i32_e32 v15, 31, v14
	v_add_co_u32 v6, vcc_lo, v153, v6
	v_lshlrev_b64 v[8:9], 4, v[8:9]
	v_add_nc_u32_e32 v18, s6, v16
	v_ashrrev_i32_e32 v17, 31, v16
	v_add_co_ci_u32_e64 v7, null, v154, v7, vcc_lo
	v_add_co_u32 v2, vcc_lo, v153, v2
	v_add_nc_u32_e32 v20, s6, v18
	v_lshlrev_b64 v[12:13], 4, v[12:13]
	v_ashrrev_i32_e32 v19, 31, v18
	v_add_co_ci_u32_e64 v3, null, v154, v3, vcc_lo
	v_add_nc_u32_e32 v22, s6, v20
	v_add_co_u32 v10, vcc_lo, v153, v10
	v_lshlrev_b64 v[14:15], 4, v[14:15]
	v_ashrrev_i32_e32 v21, 31, v20
	v_add_nc_u32_e32 v24, s6, v22
	v_add_co_ci_u32_e64 v11, null, v154, v11, vcc_lo
	v_add_co_u32 v8, vcc_lo, v153, v8
	v_add_nc_u32_e32 v26, s6, v24
	v_lshlrev_b64 v[16:17], 4, v[16:17]
	v_ashrrev_i32_e32 v23, 31, v22
	v_add_co_ci_u32_e64 v9, null, v154, v9, vcc_lo
	v_add_nc_u32_e32 v28, s6, v26
	v_add_co_u32 v12, vcc_lo, v153, v12
	v_lshlrev_b64 v[18:19], 4, v[18:19]
	v_ashrrev_i32_e32 v25, 31, v24
	v_add_nc_u32_e32 v30, s6, v28
	;; [unrolled: 11-line block ×4, first 2 shown]
	v_add_co_ci_u32_e64 v21, null, v154, v21, vcc_lo
	v_add_co_u32 v22, vcc_lo, v153, v22
	v_lshlrev_b64 v[28:29], 4, v[28:29]
	v_ashrrev_i32_e32 v35, 31, v34
	v_add_nc_u32_e32 v44, s6, v42
	v_add_co_ci_u32_e64 v23, null, v154, v23, vcc_lo
	v_add_co_u32 v24, vcc_lo, v153, v24
	v_lshlrev_b64 v[30:31], 4, v[30:31]
	v_ashrrev_i32_e32 v37, 31, v36
	v_add_co_ci_u32_e64 v25, null, v154, v25, vcc_lo
	v_add_co_u32 v26, vcc_lo, v153, v26
	v_lshlrev_b64 v[32:33], 4, v[32:33]
	v_ashrrev_i32_e32 v39, 31, v38
	v_add_co_ci_u32_e64 v27, null, v154, v27, vcc_lo
	v_add_co_u32 v28, vcc_lo, v153, v28
	v_lshlrev_b64 v[34:35], 4, v[34:35]
	v_add_nc_u32_e32 v46, s6, v44
	v_ashrrev_i32_e32 v41, 31, v40
	v_add_co_ci_u32_e64 v29, null, v154, v29, vcc_lo
	v_add_co_u32 v30, vcc_lo, v153, v30
	v_lshlrev_b64 v[36:37], 4, v[36:37]
	v_ashrrev_i32_e32 v43, 31, v42
	v_add_co_ci_u32_e64 v31, null, v154, v31, vcc_lo
	v_add_co_u32 v32, vcc_lo, v153, v32
	v_lshlrev_b64 v[38:39], 4, v[38:39]
	v_ashrrev_i32_e32 v45, 31, v44
	v_add_nc_u32_e32 v48, s6, v46
	v_add_co_ci_u32_e64 v33, null, v154, v33, vcc_lo
	v_add_co_u32 v34, vcc_lo, v153, v34
	v_lshlrev_b64 v[40:41], 4, v[40:41]
	v_ashrrev_i32_e32 v47, 31, v46
	v_add_co_ci_u32_e64 v35, null, v154, v35, vcc_lo
	v_add_co_u32 v36, vcc_lo, v153, v36
	v_lshlrev_b64 v[42:43], 4, v[42:43]
	v_add_co_ci_u32_e64 v37, null, v154, v37, vcc_lo
	v_add_co_u32 v38, vcc_lo, v153, v38
	v_lshlrev_b64 v[44:45], 4, v[44:45]
	v_add_nc_u32_e32 v50, s6, v48
	v_add_co_ci_u32_e64 v39, null, v154, v39, vcc_lo
	v_add_co_u32 v40, vcc_lo, v153, v40
	v_lshlrev_b64 v[46:47], 4, v[46:47]
	v_ashrrev_i32_e32 v49, 31, v48
	v_add_co_ci_u32_e64 v41, null, v154, v41, vcc_lo
	v_add_co_u32 v42, vcc_lo, v153, v42
	v_ashrrev_i32_e32 v51, 31, v50
	v_add_nc_u32_e32 v52, s6, v50
	v_add_co_ci_u32_e64 v43, null, v154, v43, vcc_lo
	v_add_co_u32 v44, vcc_lo, v153, v44
	v_lshlrev_b64 v[48:49], 4, v[48:49]
	v_add_co_ci_u32_e64 v45, null, v154, v45, vcc_lo
	v_add_co_u32 v142, vcc_lo, v153, v46
	v_add_co_ci_u32_e64 v143, null, v154, v47, vcc_lo
	v_lshlrev_b64 v[46:47], 4, v[50:51]
	v_ashrrev_i32_e32 v53, 31, v52
	v_add_nc_u32_e32 v50, s6, v52
	v_add_co_u32 v144, vcc_lo, v153, v48
	v_add_co_ci_u32_e64 v145, null, v154, v49, vcc_lo
	v_lshlrev_b64 v[48:49], 4, v[52:53]
	v_ashrrev_i32_e32 v51, 31, v50
	v_add_nc_u32_e32 v52, s6, v50
	;; [unrolled: 5-line block ×5, first 2 shown]
	v_add_co_u32 v159, vcc_lo, v153, v48
	v_add_co_ci_u32_e64 v160, null, v154, v49, vcc_lo
	v_lshlrev_b64 v[48:49], 4, v[52:53]
	v_add_nc_u32_e32 v52, s6, v50
	v_ashrrev_i32_e32 v51, 31, v50
	v_add_co_u32 v161, vcc_lo, v153, v46
	v_add_co_ci_u32_e64 v162, null, v154, v47, vcc_lo
	v_ashrrev_i32_e32 v53, 31, v52
	v_lshlrev_b64 v[46:47], 4, v[50:51]
	v_add_co_u32 v163, vcc_lo, v153, v48
	v_add_co_ci_u32_e64 v164, null, v154, v49, vcc_lo
	v_lshlrev_b64 v[48:49], 4, v[52:53]
	v_add_nc_u32_e32 v50, s6, v52
	v_add_co_u32 v165, vcc_lo, v153, v46
	v_add_co_ci_u32_e64 v166, null, v154, v47, vcc_lo
	v_ashrrev_i32_e32 v51, 31, v50
	v_add_co_u32 v167, vcc_lo, v153, v48
	v_add_co_ci_u32_e64 v168, null, v154, v49, vcc_lo
	v_add_co_u32 v48, vcc_lo, v153, v152
	v_add_co_ci_u32_e64 v49, null, 0, v154, vcc_lo
	v_lshlrev_b64 v[46:47], 4, v[50:51]
	v_add_co_u32 v50, vcc_lo, v48, s8
	v_add_co_ci_u32_e64 v51, null, s9, v49, vcc_lo
	s_max_i32 s0, s18, 35
	v_add_co_u32 v169, vcc_lo, v153, v46
	v_add_co_ci_u32_e64 v170, null, v154, v47, vcc_lo
	s_clause 0x22
	global_load_dwordx4 v[134:137], v[48:49], off
	global_load_dwordx4 v[130:133], v[50:51], off
	;; [unrolled: 1-line block ×35, first 2 shown]
	v_mul_lo_u32 v150, s0, v1
	s_cmp_lt_i32 s18, 2
	v_lshl_add_u32 v1, v150, 4, 0
	v_add_nc_u32_e32 v142, v1, v152
	v_lshlrev_b32_e32 v152, 4, v150
	v_mov_b32_e32 v150, 0
	s_waitcnt vmcnt(34)
	ds_write2_b64 v142, v[134:135], v[136:137] offset1:1
	s_waitcnt vmcnt(0) lgkmcnt(0)
	s_barrier
	buffer_gl0_inv
	ds_read2_b64 v[142:145], v1 offset1:1
	s_cbranch_scc1 .LBB68_6
; %bb.4:
	v_add3_u32 v151, v152, 0, 16
	v_mov_b32_e32 v150, 0
	s_mov_b32 s3, 1
	s_inst_prefetch 0x1
	.p2align	6
.LBB68_5:                               ; =>This Inner Loop Header: Depth=1
	ds_read2_b64 v[155:158], v151 offset1:1
	s_waitcnt lgkmcnt(1)
	v_cmp_gt_f64_e32 vcc_lo, 0, v[142:143]
	v_cmp_gt_f64_e64 s0, 0, v[144:145]
	v_xor_b32_e32 v160, 0x80000000, v143
	v_xor_b32_e32 v162, 0x80000000, v145
	v_mov_b32_e32 v159, v142
	v_mov_b32_e32 v161, v144
	v_add_nc_u32_e32 v151, 16, v151
	s_waitcnt lgkmcnt(0)
	v_cmp_gt_f64_e64 s1, 0, v[155:156]
	v_cmp_gt_f64_e64 s2, 0, v[157:158]
	v_xor_b32_e32 v164, 0x80000000, v156
	v_xor_b32_e32 v166, 0x80000000, v158
	v_mov_b32_e32 v163, v155
	v_mov_b32_e32 v165, v157
	v_cndmask_b32_e32 v160, v143, v160, vcc_lo
	v_cndmask_b32_e64 v162, v145, v162, s0
	v_add_f64 v[159:160], v[159:160], v[161:162]
	v_cndmask_b32_e64 v164, v156, v164, s1
	v_cndmask_b32_e64 v166, v158, v166, s2
	v_add_f64 v[161:162], v[163:164], v[165:166]
	v_cmp_lt_f64_e32 vcc_lo, v[159:160], v[161:162]
	v_cndmask_b32_e32 v143, v143, v156, vcc_lo
	v_cndmask_b32_e32 v142, v142, v155, vcc_lo
	;; [unrolled: 1-line block ×4, first 2 shown]
	v_cndmask_b32_e64 v150, v150, s3, vcc_lo
	s_add_i32 s3, s3, 1
	s_cmp_eq_u32 s18, s3
	s_cbranch_scc0 .LBB68_5
.LBB68_6:
	s_inst_prefetch 0x2
	s_waitcnt lgkmcnt(0)
	v_cmp_neq_f64_e32 vcc_lo, 0, v[142:143]
	v_cmp_neq_f64_e64 s0, 0, v[144:145]
	v_mov_b32_e32 v155, 1
	v_mov_b32_e32 v157, 1
	s_or_b32 s1, vcc_lo, s0
	s_and_saveexec_b32 s0, s1
	s_cbranch_execz .LBB68_12
; %bb.7:
	v_cmp_ngt_f64_e64 s1, |v[142:143]|, |v[144:145]|
	s_and_saveexec_b32 s2, s1
	s_xor_b32 s1, exec_lo, s2
	s_cbranch_execz .LBB68_9
; %bb.8:
	v_div_scale_f64 v[155:156], null, v[144:145], v[144:145], v[142:143]
	v_div_scale_f64 v[161:162], vcc_lo, v[142:143], v[144:145], v[142:143]
	v_rcp_f64_e32 v[157:158], v[155:156]
	v_fma_f64 v[159:160], -v[155:156], v[157:158], 1.0
	v_fma_f64 v[157:158], v[157:158], v[159:160], v[157:158]
	v_fma_f64 v[159:160], -v[155:156], v[157:158], 1.0
	v_fma_f64 v[157:158], v[157:158], v[159:160], v[157:158]
	v_mul_f64 v[159:160], v[161:162], v[157:158]
	v_fma_f64 v[155:156], -v[155:156], v[159:160], v[161:162]
	v_div_fmas_f64 v[155:156], v[155:156], v[157:158], v[159:160]
	v_div_fixup_f64 v[155:156], v[155:156], v[144:145], v[142:143]
	v_fma_f64 v[142:143], v[142:143], v[155:156], v[144:145]
	v_div_scale_f64 v[144:145], null, v[142:143], v[142:143], 1.0
	v_rcp_f64_e32 v[157:158], v[144:145]
	v_fma_f64 v[159:160], -v[144:145], v[157:158], 1.0
	v_fma_f64 v[157:158], v[157:158], v[159:160], v[157:158]
	v_fma_f64 v[159:160], -v[144:145], v[157:158], 1.0
	v_fma_f64 v[157:158], v[157:158], v[159:160], v[157:158]
	v_div_scale_f64 v[159:160], vcc_lo, 1.0, v[142:143], 1.0
	v_mul_f64 v[161:162], v[159:160], v[157:158]
	v_fma_f64 v[144:145], -v[144:145], v[161:162], v[159:160]
	v_div_fmas_f64 v[144:145], v[144:145], v[157:158], v[161:162]
	v_div_fixup_f64 v[144:145], v[144:145], v[142:143], 1.0
	v_mul_f64 v[142:143], v[155:156], v[144:145]
	v_xor_b32_e32 v145, 0x80000000, v145
.LBB68_9:
	s_andn2_saveexec_b32 s1, s1
	s_cbranch_execz .LBB68_11
; %bb.10:
	v_div_scale_f64 v[155:156], null, v[142:143], v[142:143], v[144:145]
	v_div_scale_f64 v[161:162], vcc_lo, v[144:145], v[142:143], v[144:145]
	v_rcp_f64_e32 v[157:158], v[155:156]
	v_fma_f64 v[159:160], -v[155:156], v[157:158], 1.0
	v_fma_f64 v[157:158], v[157:158], v[159:160], v[157:158]
	v_fma_f64 v[159:160], -v[155:156], v[157:158], 1.0
	v_fma_f64 v[157:158], v[157:158], v[159:160], v[157:158]
	v_mul_f64 v[159:160], v[161:162], v[157:158]
	v_fma_f64 v[155:156], -v[155:156], v[159:160], v[161:162]
	v_div_fmas_f64 v[155:156], v[155:156], v[157:158], v[159:160]
	v_div_fixup_f64 v[155:156], v[155:156], v[142:143], v[144:145]
	v_fma_f64 v[142:143], v[144:145], v[155:156], v[142:143]
	v_div_scale_f64 v[144:145], null, v[142:143], v[142:143], 1.0
	v_rcp_f64_e32 v[157:158], v[144:145]
	v_fma_f64 v[159:160], -v[144:145], v[157:158], 1.0
	v_fma_f64 v[157:158], v[157:158], v[159:160], v[157:158]
	v_fma_f64 v[159:160], -v[144:145], v[157:158], 1.0
	v_fma_f64 v[157:158], v[157:158], v[159:160], v[157:158]
	v_div_scale_f64 v[159:160], vcc_lo, 1.0, v[142:143], 1.0
	v_mul_f64 v[161:162], v[159:160], v[157:158]
	v_fma_f64 v[144:145], -v[144:145], v[161:162], v[159:160]
	v_div_fmas_f64 v[144:145], v[144:145], v[157:158], v[161:162]
	v_div_fixup_f64 v[142:143], v[144:145], v[142:143], 1.0
	v_mul_f64 v[144:145], v[155:156], -v[142:143]
.LBB68_11:
	s_or_b32 exec_lo, exec_lo, s1
	v_mov_b32_e32 v157, 0
	v_mov_b32_e32 v155, 2
.LBB68_12:
	s_or_b32 exec_lo, exec_lo, s0
	s_mov_b32 s0, exec_lo
	v_cmpx_ne_u32_e64 v0, v150
	s_xor_b32 s0, exec_lo, s0
	s_cbranch_execz .LBB68_18
; %bb.13:
	s_mov_b32 s1, exec_lo
	v_cmpx_eq_u32_e32 0, v0
	s_cbranch_execz .LBB68_17
; %bb.14:
	v_cmp_ne_u32_e32 vcc_lo, 0, v150
	s_xor_b32 s2, s16, -1
	s_and_b32 s3, s2, vcc_lo
	s_and_saveexec_b32 s2, s3
	s_cbranch_execz .LBB68_16
; %bb.15:
	v_ashrrev_i32_e32 v151, 31, v150
	v_lshlrev_b64 v[158:159], 2, v[150:151]
	v_add_co_u32 v158, vcc_lo, v148, v158
	v_add_co_ci_u32_e64 v159, null, v149, v159, vcc_lo
	s_clause 0x1
	global_load_dword v0, v[158:159], off
	global_load_dword v151, v[148:149], off
	s_waitcnt vmcnt(1)
	global_store_dword v[148:149], v0, off
	s_waitcnt vmcnt(0)
	global_store_dword v[158:159], v151, off
.LBB68_16:
	s_or_b32 exec_lo, exec_lo, s2
	v_mov_b32_e32 v0, v150
.LBB68_17:
	s_or_b32 exec_lo, exec_lo, s1
.LBB68_18:
	s_or_saveexec_b32 s0, s0
	v_mov_b32_e32 v156, v0
	s_xor_b32 exec_lo, exec_lo, s0
	s_cbranch_execz .LBB68_20
; %bb.19:
	v_mov_b32_e32 v156, 0
	ds_write2_b64 v1, v[130:131], v[132:133] offset0:2 offset1:3
	ds_write2_b64 v1, v[138:139], v[140:141] offset0:4 offset1:5
	;; [unrolled: 1-line block ×34, first 2 shown]
.LBB68_20:
	s_or_b32 exec_lo, exec_lo, s0
	s_mov_b32 s0, exec_lo
	s_waitcnt lgkmcnt(0)
	s_waitcnt_vscnt null, 0x0
	s_barrier
	buffer_gl0_inv
	v_cmpx_lt_i32_e32 0, v156
	s_cbranch_execz .LBB68_22
; %bb.21:
	v_mul_f64 v[150:151], v[144:145], v[136:137]
	v_mul_f64 v[136:137], v[142:143], v[136:137]
	v_fma_f64 v[150:151], v[142:143], v[134:135], -v[150:151]
	v_fma_f64 v[136:137], v[144:145], v[134:135], v[136:137]
	ds_read2_b64 v[142:145], v1 offset0:2 offset1:3
	s_waitcnt lgkmcnt(0)
	v_mul_f64 v[134:135], v[144:145], v[136:137]
	v_fma_f64 v[134:135], v[142:143], v[150:151], -v[134:135]
	v_mul_f64 v[142:143], v[142:143], v[136:137]
	v_add_f64 v[130:131], v[130:131], -v[134:135]
	v_fma_f64 v[142:143], v[144:145], v[150:151], v[142:143]
	v_add_f64 v[132:133], v[132:133], -v[142:143]
	ds_read2_b64 v[142:145], v1 offset0:4 offset1:5
	s_waitcnt lgkmcnt(0)
	v_mul_f64 v[134:135], v[144:145], v[136:137]
	v_fma_f64 v[134:135], v[142:143], v[150:151], -v[134:135]
	v_mul_f64 v[142:143], v[142:143], v[136:137]
	v_add_f64 v[138:139], v[138:139], -v[134:135]
	v_fma_f64 v[142:143], v[144:145], v[150:151], v[142:143]
	v_add_f64 v[140:141], v[140:141], -v[142:143]
	;; [unrolled: 8-line block ×33, first 2 shown]
	ds_read2_b64 v[142:145], v1 offset0:68 offset1:69
	s_waitcnt lgkmcnt(0)
	v_mul_f64 v[134:135], v[144:145], v[136:137]
	v_fma_f64 v[134:135], v[142:143], v[150:151], -v[134:135]
	v_mul_f64 v[142:143], v[142:143], v[136:137]
	v_add_f64 v[2:3], v[2:3], -v[134:135]
	v_fma_f64 v[142:143], v[144:145], v[150:151], v[142:143]
	v_mov_b32_e32 v134, v150
	v_mov_b32_e32 v135, v151
	v_add_f64 v[4:5], v[4:5], -v[142:143]
.LBB68_22:
	s_or_b32 exec_lo, exec_lo, s0
	v_lshl_add_u32 v142, v156, 4, v1
	s_barrier
	buffer_gl0_inv
	v_mov_b32_e32 v150, 1
	ds_write2_b64 v142, v[130:131], v[132:133] offset1:1
	s_waitcnt lgkmcnt(0)
	s_barrier
	buffer_gl0_inv
	ds_read2_b64 v[142:145], v1 offset0:2 offset1:3
	s_cmp_lt_i32 s18, 3
	s_cbranch_scc1 .LBB68_25
; %bb.23:
	v_add3_u32 v151, v152, 0, 32
	v_mov_b32_e32 v150, 1
	s_mov_b32 s1, 2
	s_inst_prefetch 0x1
	.p2align	6
.LBB68_24:                              ; =>This Inner Loop Header: Depth=1
	s_waitcnt lgkmcnt(0)
	v_cmp_gt_f64_e32 vcc_lo, 0, v[144:145]
	v_cmp_gt_f64_e64 s0, 0, v[142:143]
	ds_read2_b64 v[158:161], v151 offset1:1
	v_xor_b32_e32 v163, 0x80000000, v143
	v_xor_b32_e32 v165, 0x80000000, v145
	v_mov_b32_e32 v162, v142
	v_mov_b32_e32 v164, v144
	v_add_nc_u32_e32 v151, 16, v151
	s_waitcnt lgkmcnt(0)
	v_xor_b32_e32 v167, 0x80000000, v161
	v_cndmask_b32_e64 v163, v143, v163, s0
	v_cndmask_b32_e32 v165, v145, v165, vcc_lo
	v_cmp_gt_f64_e32 vcc_lo, 0, v[160:161]
	v_cmp_gt_f64_e64 s0, 0, v[158:159]
	v_mov_b32_e32 v166, v160
	v_add_f64 v[162:163], v[162:163], v[164:165]
	v_xor_b32_e32 v165, 0x80000000, v159
	v_mov_b32_e32 v164, v158
	v_cndmask_b32_e32 v167, v161, v167, vcc_lo
	v_cndmask_b32_e64 v165, v159, v165, s0
	v_add_f64 v[164:165], v[164:165], v[166:167]
	v_cmp_lt_f64_e32 vcc_lo, v[162:163], v[164:165]
	v_cndmask_b32_e32 v143, v143, v159, vcc_lo
	v_cndmask_b32_e32 v142, v142, v158, vcc_lo
	;; [unrolled: 1-line block ×4, first 2 shown]
	v_cndmask_b32_e64 v150, v150, s1, vcc_lo
	s_add_i32 s1, s1, 1
	s_cmp_lg_u32 s18, s1
	s_cbranch_scc1 .LBB68_24
.LBB68_25:
	s_inst_prefetch 0x2
	s_waitcnt lgkmcnt(0)
	v_cmp_neq_f64_e32 vcc_lo, 0, v[142:143]
	v_cmp_neq_f64_e64 s0, 0, v[144:145]
	s_or_b32 s1, vcc_lo, s0
	s_and_saveexec_b32 s0, s1
	s_cbranch_execz .LBB68_31
; %bb.26:
	v_cmp_ngt_f64_e64 s1, |v[142:143]|, |v[144:145]|
	s_and_saveexec_b32 s2, s1
	s_xor_b32 s1, exec_lo, s2
	s_cbranch_execz .LBB68_28
; %bb.27:
	v_div_scale_f64 v[158:159], null, v[144:145], v[144:145], v[142:143]
	v_div_scale_f64 v[164:165], vcc_lo, v[142:143], v[144:145], v[142:143]
	v_rcp_f64_e32 v[160:161], v[158:159]
	v_fma_f64 v[162:163], -v[158:159], v[160:161], 1.0
	v_fma_f64 v[160:161], v[160:161], v[162:163], v[160:161]
	v_fma_f64 v[162:163], -v[158:159], v[160:161], 1.0
	v_fma_f64 v[160:161], v[160:161], v[162:163], v[160:161]
	v_mul_f64 v[162:163], v[164:165], v[160:161]
	v_fma_f64 v[158:159], -v[158:159], v[162:163], v[164:165]
	v_div_fmas_f64 v[158:159], v[158:159], v[160:161], v[162:163]
	v_div_fixup_f64 v[158:159], v[158:159], v[144:145], v[142:143]
	v_fma_f64 v[142:143], v[142:143], v[158:159], v[144:145]
	v_div_scale_f64 v[144:145], null, v[142:143], v[142:143], 1.0
	v_rcp_f64_e32 v[160:161], v[144:145]
	v_fma_f64 v[162:163], -v[144:145], v[160:161], 1.0
	v_fma_f64 v[160:161], v[160:161], v[162:163], v[160:161]
	v_fma_f64 v[162:163], -v[144:145], v[160:161], 1.0
	v_fma_f64 v[160:161], v[160:161], v[162:163], v[160:161]
	v_div_scale_f64 v[162:163], vcc_lo, 1.0, v[142:143], 1.0
	v_mul_f64 v[164:165], v[162:163], v[160:161]
	v_fma_f64 v[144:145], -v[144:145], v[164:165], v[162:163]
	v_div_fmas_f64 v[144:145], v[144:145], v[160:161], v[164:165]
	v_div_fixup_f64 v[144:145], v[144:145], v[142:143], 1.0
	v_mul_f64 v[142:143], v[158:159], v[144:145]
	v_xor_b32_e32 v145, 0x80000000, v145
.LBB68_28:
	s_andn2_saveexec_b32 s1, s1
	s_cbranch_execz .LBB68_30
; %bb.29:
	v_div_scale_f64 v[158:159], null, v[142:143], v[142:143], v[144:145]
	v_div_scale_f64 v[164:165], vcc_lo, v[144:145], v[142:143], v[144:145]
	v_rcp_f64_e32 v[160:161], v[158:159]
	v_fma_f64 v[162:163], -v[158:159], v[160:161], 1.0
	v_fma_f64 v[160:161], v[160:161], v[162:163], v[160:161]
	v_fma_f64 v[162:163], -v[158:159], v[160:161], 1.0
	v_fma_f64 v[160:161], v[160:161], v[162:163], v[160:161]
	v_mul_f64 v[162:163], v[164:165], v[160:161]
	v_fma_f64 v[158:159], -v[158:159], v[162:163], v[164:165]
	v_div_fmas_f64 v[158:159], v[158:159], v[160:161], v[162:163]
	v_div_fixup_f64 v[158:159], v[158:159], v[142:143], v[144:145]
	v_fma_f64 v[142:143], v[144:145], v[158:159], v[142:143]
	v_div_scale_f64 v[144:145], null, v[142:143], v[142:143], 1.0
	v_rcp_f64_e32 v[160:161], v[144:145]
	v_fma_f64 v[162:163], -v[144:145], v[160:161], 1.0
	v_fma_f64 v[160:161], v[160:161], v[162:163], v[160:161]
	v_fma_f64 v[162:163], -v[144:145], v[160:161], 1.0
	v_fma_f64 v[160:161], v[160:161], v[162:163], v[160:161]
	v_div_scale_f64 v[162:163], vcc_lo, 1.0, v[142:143], 1.0
	v_mul_f64 v[164:165], v[162:163], v[160:161]
	v_fma_f64 v[144:145], -v[144:145], v[164:165], v[162:163]
	v_div_fmas_f64 v[144:145], v[144:145], v[160:161], v[164:165]
	v_div_fixup_f64 v[142:143], v[144:145], v[142:143], 1.0
	v_mul_f64 v[144:145], v[158:159], -v[142:143]
.LBB68_30:
	s_or_b32 exec_lo, exec_lo, s1
	v_mov_b32_e32 v155, v157
.LBB68_31:
	s_or_b32 exec_lo, exec_lo, s0
	s_mov_b32 s0, exec_lo
	v_cmpx_ne_u32_e64 v156, v150
	s_xor_b32 s0, exec_lo, s0
	s_cbranch_execz .LBB68_37
; %bb.32:
	s_mov_b32 s1, exec_lo
	v_cmpx_eq_u32_e32 1, v156
	s_cbranch_execz .LBB68_36
; %bb.33:
	v_cmp_ne_u32_e32 vcc_lo, 1, v150
	s_xor_b32 s2, s16, -1
	s_and_b32 s3, s2, vcc_lo
	s_and_saveexec_b32 s2, s3
	s_cbranch_execz .LBB68_35
; %bb.34:
	v_ashrrev_i32_e32 v151, 31, v150
	v_lshlrev_b64 v[156:157], 2, v[150:151]
	v_add_co_u32 v156, vcc_lo, v148, v156
	v_add_co_ci_u32_e64 v157, null, v149, v157, vcc_lo
	s_clause 0x1
	global_load_dword v0, v[156:157], off
	global_load_dword v151, v[148:149], off offset:4
	s_waitcnt vmcnt(1)
	global_store_dword v[148:149], v0, off offset:4
	s_waitcnt vmcnt(0)
	global_store_dword v[156:157], v151, off
.LBB68_35:
	s_or_b32 exec_lo, exec_lo, s2
	v_mov_b32_e32 v156, v150
	v_mov_b32_e32 v0, v150
.LBB68_36:
	s_or_b32 exec_lo, exec_lo, s1
.LBB68_37:
	s_andn2_saveexec_b32 s0, s0
	s_cbranch_execz .LBB68_39
; %bb.38:
	v_mov_b32_e32 v156, 1
	ds_write2_b64 v1, v[138:139], v[140:141] offset0:4 offset1:5
	ds_write2_b64 v1, v[126:127], v[128:129] offset0:6 offset1:7
	;; [unrolled: 1-line block ×33, first 2 shown]
.LBB68_39:
	s_or_b32 exec_lo, exec_lo, s0
	s_mov_b32 s0, exec_lo
	s_waitcnt lgkmcnt(0)
	s_waitcnt_vscnt null, 0x0
	s_barrier
	buffer_gl0_inv
	v_cmpx_lt_i32_e32 1, v156
	s_cbranch_execz .LBB68_41
; %bb.40:
	v_mul_f64 v[150:151], v[144:145], v[132:133]
	v_mul_f64 v[132:133], v[142:143], v[132:133]
	v_fma_f64 v[150:151], v[142:143], v[130:131], -v[150:151]
	v_fma_f64 v[132:133], v[144:145], v[130:131], v[132:133]
	ds_read2_b64 v[142:145], v1 offset0:4 offset1:5
	s_waitcnt lgkmcnt(0)
	v_mul_f64 v[130:131], v[144:145], v[132:133]
	v_fma_f64 v[130:131], v[142:143], v[150:151], -v[130:131]
	v_mul_f64 v[142:143], v[142:143], v[132:133]
	v_add_f64 v[138:139], v[138:139], -v[130:131]
	v_fma_f64 v[142:143], v[144:145], v[150:151], v[142:143]
	v_add_f64 v[140:141], v[140:141], -v[142:143]
	ds_read2_b64 v[142:145], v1 offset0:6 offset1:7
	s_waitcnt lgkmcnt(0)
	v_mul_f64 v[130:131], v[144:145], v[132:133]
	v_fma_f64 v[130:131], v[142:143], v[150:151], -v[130:131]
	v_mul_f64 v[142:143], v[142:143], v[132:133]
	v_add_f64 v[126:127], v[126:127], -v[130:131]
	v_fma_f64 v[142:143], v[144:145], v[150:151], v[142:143]
	v_add_f64 v[128:129], v[128:129], -v[142:143]
	;; [unrolled: 8-line block ×32, first 2 shown]
	ds_read2_b64 v[142:145], v1 offset0:68 offset1:69
	s_waitcnt lgkmcnt(0)
	v_mul_f64 v[130:131], v[144:145], v[132:133]
	v_fma_f64 v[130:131], v[142:143], v[150:151], -v[130:131]
	v_mul_f64 v[142:143], v[142:143], v[132:133]
	v_add_f64 v[2:3], v[2:3], -v[130:131]
	v_fma_f64 v[142:143], v[144:145], v[150:151], v[142:143]
	v_mov_b32_e32 v130, v150
	v_mov_b32_e32 v131, v151
	v_add_f64 v[4:5], v[4:5], -v[142:143]
.LBB68_41:
	s_or_b32 exec_lo, exec_lo, s0
	v_lshl_add_u32 v142, v156, 4, v1
	s_barrier
	buffer_gl0_inv
	v_mov_b32_e32 v150, 2
	ds_write2_b64 v142, v[138:139], v[140:141] offset1:1
	s_waitcnt lgkmcnt(0)
	s_barrier
	buffer_gl0_inv
	ds_read2_b64 v[142:145], v1 offset0:4 offset1:5
	s_cmp_lt_i32 s18, 4
	s_cbranch_scc1 .LBB68_44
; %bb.42:
	v_add3_u32 v151, v152, 0, 48
	v_mov_b32_e32 v150, 2
	s_mov_b32 s1, 3
	s_inst_prefetch 0x1
	.p2align	6
.LBB68_43:                              ; =>This Inner Loop Header: Depth=1
	s_waitcnt lgkmcnt(0)
	v_cmp_gt_f64_e32 vcc_lo, 0, v[144:145]
	v_cmp_gt_f64_e64 s0, 0, v[142:143]
	ds_read2_b64 v[157:160], v151 offset1:1
	v_xor_b32_e32 v162, 0x80000000, v143
	v_xor_b32_e32 v164, 0x80000000, v145
	v_mov_b32_e32 v161, v142
	v_mov_b32_e32 v163, v144
	v_add_nc_u32_e32 v151, 16, v151
	s_waitcnt lgkmcnt(0)
	v_xor_b32_e32 v166, 0x80000000, v160
	v_cndmask_b32_e64 v162, v143, v162, s0
	v_cndmask_b32_e32 v164, v145, v164, vcc_lo
	v_cmp_gt_f64_e32 vcc_lo, 0, v[159:160]
	v_cmp_gt_f64_e64 s0, 0, v[157:158]
	v_mov_b32_e32 v165, v159
	v_add_f64 v[161:162], v[161:162], v[163:164]
	v_xor_b32_e32 v164, 0x80000000, v158
	v_mov_b32_e32 v163, v157
	v_cndmask_b32_e32 v166, v160, v166, vcc_lo
	v_cndmask_b32_e64 v164, v158, v164, s0
	v_add_f64 v[163:164], v[163:164], v[165:166]
	v_cmp_lt_f64_e32 vcc_lo, v[161:162], v[163:164]
	v_cndmask_b32_e32 v143, v143, v158, vcc_lo
	v_cndmask_b32_e32 v142, v142, v157, vcc_lo
	;; [unrolled: 1-line block ×4, first 2 shown]
	v_cndmask_b32_e64 v150, v150, s1, vcc_lo
	s_add_i32 s1, s1, 1
	s_cmp_lg_u32 s18, s1
	s_cbranch_scc1 .LBB68_43
.LBB68_44:
	s_inst_prefetch 0x2
	s_waitcnt lgkmcnt(0)
	v_cmp_eq_f64_e32 vcc_lo, 0, v[142:143]
	v_cmp_eq_f64_e64 s0, 0, v[144:145]
	s_and_b32 s0, vcc_lo, s0
	s_and_saveexec_b32 s1, s0
	s_xor_b32 s0, exec_lo, s1
; %bb.45:
	v_cmp_ne_u32_e32 vcc_lo, 0, v155
	v_cndmask_b32_e32 v155, 3, v155, vcc_lo
; %bb.46:
	s_andn2_saveexec_b32 s0, s0
	s_cbranch_execz .LBB68_52
; %bb.47:
	v_cmp_ngt_f64_e64 s1, |v[142:143]|, |v[144:145]|
	s_and_saveexec_b32 s2, s1
	s_xor_b32 s1, exec_lo, s2
	s_cbranch_execz .LBB68_49
; %bb.48:
	v_div_scale_f64 v[157:158], null, v[144:145], v[144:145], v[142:143]
	v_div_scale_f64 v[163:164], vcc_lo, v[142:143], v[144:145], v[142:143]
	v_rcp_f64_e32 v[159:160], v[157:158]
	v_fma_f64 v[161:162], -v[157:158], v[159:160], 1.0
	v_fma_f64 v[159:160], v[159:160], v[161:162], v[159:160]
	v_fma_f64 v[161:162], -v[157:158], v[159:160], 1.0
	v_fma_f64 v[159:160], v[159:160], v[161:162], v[159:160]
	v_mul_f64 v[161:162], v[163:164], v[159:160]
	v_fma_f64 v[157:158], -v[157:158], v[161:162], v[163:164]
	v_div_fmas_f64 v[157:158], v[157:158], v[159:160], v[161:162]
	v_div_fixup_f64 v[157:158], v[157:158], v[144:145], v[142:143]
	v_fma_f64 v[142:143], v[142:143], v[157:158], v[144:145]
	v_div_scale_f64 v[144:145], null, v[142:143], v[142:143], 1.0
	v_rcp_f64_e32 v[159:160], v[144:145]
	v_fma_f64 v[161:162], -v[144:145], v[159:160], 1.0
	v_fma_f64 v[159:160], v[159:160], v[161:162], v[159:160]
	v_fma_f64 v[161:162], -v[144:145], v[159:160], 1.0
	v_fma_f64 v[159:160], v[159:160], v[161:162], v[159:160]
	v_div_scale_f64 v[161:162], vcc_lo, 1.0, v[142:143], 1.0
	v_mul_f64 v[163:164], v[161:162], v[159:160]
	v_fma_f64 v[144:145], -v[144:145], v[163:164], v[161:162]
	v_div_fmas_f64 v[144:145], v[144:145], v[159:160], v[163:164]
	v_div_fixup_f64 v[144:145], v[144:145], v[142:143], 1.0
	v_mul_f64 v[142:143], v[157:158], v[144:145]
	v_xor_b32_e32 v145, 0x80000000, v145
.LBB68_49:
	s_andn2_saveexec_b32 s1, s1
	s_cbranch_execz .LBB68_51
; %bb.50:
	v_div_scale_f64 v[157:158], null, v[142:143], v[142:143], v[144:145]
	v_div_scale_f64 v[163:164], vcc_lo, v[144:145], v[142:143], v[144:145]
	v_rcp_f64_e32 v[159:160], v[157:158]
	v_fma_f64 v[161:162], -v[157:158], v[159:160], 1.0
	v_fma_f64 v[159:160], v[159:160], v[161:162], v[159:160]
	v_fma_f64 v[161:162], -v[157:158], v[159:160], 1.0
	v_fma_f64 v[159:160], v[159:160], v[161:162], v[159:160]
	v_mul_f64 v[161:162], v[163:164], v[159:160]
	v_fma_f64 v[157:158], -v[157:158], v[161:162], v[163:164]
	v_div_fmas_f64 v[157:158], v[157:158], v[159:160], v[161:162]
	v_div_fixup_f64 v[157:158], v[157:158], v[142:143], v[144:145]
	v_fma_f64 v[142:143], v[144:145], v[157:158], v[142:143]
	v_div_scale_f64 v[144:145], null, v[142:143], v[142:143], 1.0
	v_rcp_f64_e32 v[159:160], v[144:145]
	v_fma_f64 v[161:162], -v[144:145], v[159:160], 1.0
	v_fma_f64 v[159:160], v[159:160], v[161:162], v[159:160]
	v_fma_f64 v[161:162], -v[144:145], v[159:160], 1.0
	v_fma_f64 v[159:160], v[159:160], v[161:162], v[159:160]
	v_div_scale_f64 v[161:162], vcc_lo, 1.0, v[142:143], 1.0
	v_mul_f64 v[163:164], v[161:162], v[159:160]
	v_fma_f64 v[144:145], -v[144:145], v[163:164], v[161:162]
	v_div_fmas_f64 v[144:145], v[144:145], v[159:160], v[163:164]
	v_div_fixup_f64 v[142:143], v[144:145], v[142:143], 1.0
	v_mul_f64 v[144:145], v[157:158], -v[142:143]
.LBB68_51:
	s_or_b32 exec_lo, exec_lo, s1
.LBB68_52:
	s_or_b32 exec_lo, exec_lo, s0
	s_mov_b32 s0, exec_lo
	v_cmpx_ne_u32_e64 v156, v150
	s_xor_b32 s0, exec_lo, s0
	s_cbranch_execz .LBB68_58
; %bb.53:
	s_mov_b32 s1, exec_lo
	v_cmpx_eq_u32_e32 2, v156
	s_cbranch_execz .LBB68_57
; %bb.54:
	v_cmp_ne_u32_e32 vcc_lo, 2, v150
	s_xor_b32 s2, s16, -1
	s_and_b32 s3, s2, vcc_lo
	s_and_saveexec_b32 s2, s3
	s_cbranch_execz .LBB68_56
; %bb.55:
	v_ashrrev_i32_e32 v151, 31, v150
	v_lshlrev_b64 v[156:157], 2, v[150:151]
	v_add_co_u32 v156, vcc_lo, v148, v156
	v_add_co_ci_u32_e64 v157, null, v149, v157, vcc_lo
	s_clause 0x1
	global_load_dword v0, v[156:157], off
	global_load_dword v151, v[148:149], off offset:8
	s_waitcnt vmcnt(1)
	global_store_dword v[148:149], v0, off offset:8
	s_waitcnt vmcnt(0)
	global_store_dword v[156:157], v151, off
.LBB68_56:
	s_or_b32 exec_lo, exec_lo, s2
	v_mov_b32_e32 v156, v150
	v_mov_b32_e32 v0, v150
.LBB68_57:
	s_or_b32 exec_lo, exec_lo, s1
.LBB68_58:
	s_andn2_saveexec_b32 s0, s0
	s_cbranch_execz .LBB68_60
; %bb.59:
	v_mov_b32_e32 v156, 2
	ds_write2_b64 v1, v[126:127], v[128:129] offset0:6 offset1:7
	ds_write2_b64 v1, v[122:123], v[124:125] offset0:8 offset1:9
	;; [unrolled: 1-line block ×32, first 2 shown]
.LBB68_60:
	s_or_b32 exec_lo, exec_lo, s0
	s_mov_b32 s0, exec_lo
	s_waitcnt lgkmcnt(0)
	s_waitcnt_vscnt null, 0x0
	s_barrier
	buffer_gl0_inv
	v_cmpx_lt_i32_e32 2, v156
	s_cbranch_execz .LBB68_62
; %bb.61:
	v_mul_f64 v[150:151], v[144:145], v[140:141]
	v_mul_f64 v[140:141], v[142:143], v[140:141]
	v_fma_f64 v[150:151], v[142:143], v[138:139], -v[150:151]
	v_fma_f64 v[140:141], v[144:145], v[138:139], v[140:141]
	ds_read2_b64 v[142:145], v1 offset0:6 offset1:7
	s_waitcnt lgkmcnt(0)
	v_mul_f64 v[138:139], v[144:145], v[140:141]
	v_fma_f64 v[138:139], v[142:143], v[150:151], -v[138:139]
	v_mul_f64 v[142:143], v[142:143], v[140:141]
	v_add_f64 v[126:127], v[126:127], -v[138:139]
	v_fma_f64 v[142:143], v[144:145], v[150:151], v[142:143]
	v_add_f64 v[128:129], v[128:129], -v[142:143]
	ds_read2_b64 v[142:145], v1 offset0:8 offset1:9
	s_waitcnt lgkmcnt(0)
	v_mul_f64 v[138:139], v[144:145], v[140:141]
	v_fma_f64 v[138:139], v[142:143], v[150:151], -v[138:139]
	v_mul_f64 v[142:143], v[142:143], v[140:141]
	v_add_f64 v[122:123], v[122:123], -v[138:139]
	v_fma_f64 v[142:143], v[144:145], v[150:151], v[142:143]
	v_add_f64 v[124:125], v[124:125], -v[142:143]
	;; [unrolled: 8-line block ×31, first 2 shown]
	ds_read2_b64 v[142:145], v1 offset0:68 offset1:69
	s_waitcnt lgkmcnt(0)
	v_mul_f64 v[138:139], v[144:145], v[140:141]
	v_fma_f64 v[138:139], v[142:143], v[150:151], -v[138:139]
	v_mul_f64 v[142:143], v[142:143], v[140:141]
	v_add_f64 v[2:3], v[2:3], -v[138:139]
	v_fma_f64 v[142:143], v[144:145], v[150:151], v[142:143]
	v_mov_b32_e32 v138, v150
	v_mov_b32_e32 v139, v151
	v_add_f64 v[4:5], v[4:5], -v[142:143]
.LBB68_62:
	s_or_b32 exec_lo, exec_lo, s0
	v_lshl_add_u32 v142, v156, 4, v1
	s_barrier
	buffer_gl0_inv
	v_mov_b32_e32 v150, 3
	ds_write2_b64 v142, v[126:127], v[128:129] offset1:1
	s_waitcnt lgkmcnt(0)
	s_barrier
	buffer_gl0_inv
	ds_read2_b64 v[142:145], v1 offset0:6 offset1:7
	s_cmp_lt_i32 s18, 5
	s_mov_b32 s1, 4
	s_cbranch_scc1 .LBB68_65
; %bb.63:
	v_add3_u32 v151, v152, 0, 64
	v_mov_b32_e32 v150, 3
	s_inst_prefetch 0x1
	.p2align	6
.LBB68_64:                              ; =>This Inner Loop Header: Depth=1
	s_waitcnt lgkmcnt(0)
	v_cmp_gt_f64_e32 vcc_lo, 0, v[144:145]
	v_cmp_gt_f64_e64 s0, 0, v[142:143]
	ds_read2_b64 v[157:160], v151 offset1:1
	v_xor_b32_e32 v162, 0x80000000, v143
	v_xor_b32_e32 v164, 0x80000000, v145
	v_mov_b32_e32 v161, v142
	v_mov_b32_e32 v163, v144
	v_add_nc_u32_e32 v151, 16, v151
	s_waitcnt lgkmcnt(0)
	v_xor_b32_e32 v166, 0x80000000, v160
	v_cndmask_b32_e64 v162, v143, v162, s0
	v_cndmask_b32_e32 v164, v145, v164, vcc_lo
	v_cmp_gt_f64_e32 vcc_lo, 0, v[159:160]
	v_cmp_gt_f64_e64 s0, 0, v[157:158]
	v_mov_b32_e32 v165, v159
	v_add_f64 v[161:162], v[161:162], v[163:164]
	v_xor_b32_e32 v164, 0x80000000, v158
	v_mov_b32_e32 v163, v157
	v_cndmask_b32_e32 v166, v160, v166, vcc_lo
	v_cndmask_b32_e64 v164, v158, v164, s0
	v_add_f64 v[163:164], v[163:164], v[165:166]
	v_cmp_lt_f64_e32 vcc_lo, v[161:162], v[163:164]
	v_cndmask_b32_e32 v143, v143, v158, vcc_lo
	v_cndmask_b32_e32 v142, v142, v157, vcc_lo
	;; [unrolled: 1-line block ×4, first 2 shown]
	v_cndmask_b32_e64 v150, v150, s1, vcc_lo
	s_add_i32 s1, s1, 1
	s_cmp_lg_u32 s18, s1
	s_cbranch_scc1 .LBB68_64
.LBB68_65:
	s_inst_prefetch 0x2
	s_waitcnt lgkmcnt(0)
	v_cmp_eq_f64_e32 vcc_lo, 0, v[142:143]
	v_cmp_eq_f64_e64 s0, 0, v[144:145]
	s_and_b32 s0, vcc_lo, s0
	s_and_saveexec_b32 s1, s0
	s_xor_b32 s0, exec_lo, s1
; %bb.66:
	v_cmp_ne_u32_e32 vcc_lo, 0, v155
	v_cndmask_b32_e32 v155, 4, v155, vcc_lo
; %bb.67:
	s_andn2_saveexec_b32 s0, s0
	s_cbranch_execz .LBB68_73
; %bb.68:
	v_cmp_ngt_f64_e64 s1, |v[142:143]|, |v[144:145]|
	s_and_saveexec_b32 s2, s1
	s_xor_b32 s1, exec_lo, s2
	s_cbranch_execz .LBB68_70
; %bb.69:
	v_div_scale_f64 v[157:158], null, v[144:145], v[144:145], v[142:143]
	v_div_scale_f64 v[163:164], vcc_lo, v[142:143], v[144:145], v[142:143]
	v_rcp_f64_e32 v[159:160], v[157:158]
	v_fma_f64 v[161:162], -v[157:158], v[159:160], 1.0
	v_fma_f64 v[159:160], v[159:160], v[161:162], v[159:160]
	v_fma_f64 v[161:162], -v[157:158], v[159:160], 1.0
	v_fma_f64 v[159:160], v[159:160], v[161:162], v[159:160]
	v_mul_f64 v[161:162], v[163:164], v[159:160]
	v_fma_f64 v[157:158], -v[157:158], v[161:162], v[163:164]
	v_div_fmas_f64 v[157:158], v[157:158], v[159:160], v[161:162]
	v_div_fixup_f64 v[157:158], v[157:158], v[144:145], v[142:143]
	v_fma_f64 v[142:143], v[142:143], v[157:158], v[144:145]
	v_div_scale_f64 v[144:145], null, v[142:143], v[142:143], 1.0
	v_rcp_f64_e32 v[159:160], v[144:145]
	v_fma_f64 v[161:162], -v[144:145], v[159:160], 1.0
	v_fma_f64 v[159:160], v[159:160], v[161:162], v[159:160]
	v_fma_f64 v[161:162], -v[144:145], v[159:160], 1.0
	v_fma_f64 v[159:160], v[159:160], v[161:162], v[159:160]
	v_div_scale_f64 v[161:162], vcc_lo, 1.0, v[142:143], 1.0
	v_mul_f64 v[163:164], v[161:162], v[159:160]
	v_fma_f64 v[144:145], -v[144:145], v[163:164], v[161:162]
	v_div_fmas_f64 v[144:145], v[144:145], v[159:160], v[163:164]
	v_div_fixup_f64 v[144:145], v[144:145], v[142:143], 1.0
	v_mul_f64 v[142:143], v[157:158], v[144:145]
	v_xor_b32_e32 v145, 0x80000000, v145
.LBB68_70:
	s_andn2_saveexec_b32 s1, s1
	s_cbranch_execz .LBB68_72
; %bb.71:
	v_div_scale_f64 v[157:158], null, v[142:143], v[142:143], v[144:145]
	v_div_scale_f64 v[163:164], vcc_lo, v[144:145], v[142:143], v[144:145]
	v_rcp_f64_e32 v[159:160], v[157:158]
	v_fma_f64 v[161:162], -v[157:158], v[159:160], 1.0
	v_fma_f64 v[159:160], v[159:160], v[161:162], v[159:160]
	v_fma_f64 v[161:162], -v[157:158], v[159:160], 1.0
	v_fma_f64 v[159:160], v[159:160], v[161:162], v[159:160]
	v_mul_f64 v[161:162], v[163:164], v[159:160]
	v_fma_f64 v[157:158], -v[157:158], v[161:162], v[163:164]
	v_div_fmas_f64 v[157:158], v[157:158], v[159:160], v[161:162]
	v_div_fixup_f64 v[157:158], v[157:158], v[142:143], v[144:145]
	v_fma_f64 v[142:143], v[144:145], v[157:158], v[142:143]
	v_div_scale_f64 v[144:145], null, v[142:143], v[142:143], 1.0
	v_rcp_f64_e32 v[159:160], v[144:145]
	v_fma_f64 v[161:162], -v[144:145], v[159:160], 1.0
	v_fma_f64 v[159:160], v[159:160], v[161:162], v[159:160]
	v_fma_f64 v[161:162], -v[144:145], v[159:160], 1.0
	v_fma_f64 v[159:160], v[159:160], v[161:162], v[159:160]
	v_div_scale_f64 v[161:162], vcc_lo, 1.0, v[142:143], 1.0
	v_mul_f64 v[163:164], v[161:162], v[159:160]
	v_fma_f64 v[144:145], -v[144:145], v[163:164], v[161:162]
	v_div_fmas_f64 v[144:145], v[144:145], v[159:160], v[163:164]
	v_div_fixup_f64 v[142:143], v[144:145], v[142:143], 1.0
	v_mul_f64 v[144:145], v[157:158], -v[142:143]
.LBB68_72:
	s_or_b32 exec_lo, exec_lo, s1
.LBB68_73:
	s_or_b32 exec_lo, exec_lo, s0
	s_mov_b32 s0, exec_lo
	v_cmpx_ne_u32_e64 v156, v150
	s_xor_b32 s0, exec_lo, s0
	s_cbranch_execz .LBB68_79
; %bb.74:
	s_mov_b32 s1, exec_lo
	v_cmpx_eq_u32_e32 3, v156
	s_cbranch_execz .LBB68_78
; %bb.75:
	v_cmp_ne_u32_e32 vcc_lo, 3, v150
	s_xor_b32 s2, s16, -1
	s_and_b32 s3, s2, vcc_lo
	s_and_saveexec_b32 s2, s3
	s_cbranch_execz .LBB68_77
; %bb.76:
	v_ashrrev_i32_e32 v151, 31, v150
	v_lshlrev_b64 v[156:157], 2, v[150:151]
	v_add_co_u32 v156, vcc_lo, v148, v156
	v_add_co_ci_u32_e64 v157, null, v149, v157, vcc_lo
	s_clause 0x1
	global_load_dword v0, v[156:157], off
	global_load_dword v151, v[148:149], off offset:12
	s_waitcnt vmcnt(1)
	global_store_dword v[148:149], v0, off offset:12
	s_waitcnt vmcnt(0)
	global_store_dword v[156:157], v151, off
.LBB68_77:
	s_or_b32 exec_lo, exec_lo, s2
	v_mov_b32_e32 v156, v150
	v_mov_b32_e32 v0, v150
.LBB68_78:
	s_or_b32 exec_lo, exec_lo, s1
.LBB68_79:
	s_andn2_saveexec_b32 s0, s0
	s_cbranch_execz .LBB68_81
; %bb.80:
	v_mov_b32_e32 v156, 3
	ds_write2_b64 v1, v[122:123], v[124:125] offset0:8 offset1:9
	ds_write2_b64 v1, v[118:119], v[120:121] offset0:10 offset1:11
	;; [unrolled: 1-line block ×31, first 2 shown]
.LBB68_81:
	s_or_b32 exec_lo, exec_lo, s0
	s_mov_b32 s0, exec_lo
	s_waitcnt lgkmcnt(0)
	s_waitcnt_vscnt null, 0x0
	s_barrier
	buffer_gl0_inv
	v_cmpx_lt_i32_e32 3, v156
	s_cbranch_execz .LBB68_83
; %bb.82:
	v_mul_f64 v[150:151], v[144:145], v[128:129]
	v_mul_f64 v[128:129], v[142:143], v[128:129]
	v_fma_f64 v[150:151], v[142:143], v[126:127], -v[150:151]
	v_fma_f64 v[128:129], v[144:145], v[126:127], v[128:129]
	ds_read2_b64 v[142:145], v1 offset0:8 offset1:9
	s_waitcnt lgkmcnt(0)
	v_mul_f64 v[126:127], v[144:145], v[128:129]
	v_fma_f64 v[126:127], v[142:143], v[150:151], -v[126:127]
	v_mul_f64 v[142:143], v[142:143], v[128:129]
	v_add_f64 v[122:123], v[122:123], -v[126:127]
	v_fma_f64 v[142:143], v[144:145], v[150:151], v[142:143]
	v_add_f64 v[124:125], v[124:125], -v[142:143]
	ds_read2_b64 v[142:145], v1 offset0:10 offset1:11
	s_waitcnt lgkmcnt(0)
	v_mul_f64 v[126:127], v[144:145], v[128:129]
	v_fma_f64 v[126:127], v[142:143], v[150:151], -v[126:127]
	v_mul_f64 v[142:143], v[142:143], v[128:129]
	v_add_f64 v[118:119], v[118:119], -v[126:127]
	v_fma_f64 v[142:143], v[144:145], v[150:151], v[142:143]
	v_add_f64 v[120:121], v[120:121], -v[142:143]
	;; [unrolled: 8-line block ×30, first 2 shown]
	ds_read2_b64 v[142:145], v1 offset0:68 offset1:69
	s_waitcnt lgkmcnt(0)
	v_mul_f64 v[126:127], v[144:145], v[128:129]
	v_fma_f64 v[126:127], v[142:143], v[150:151], -v[126:127]
	v_mul_f64 v[142:143], v[142:143], v[128:129]
	v_add_f64 v[2:3], v[2:3], -v[126:127]
	v_fma_f64 v[142:143], v[144:145], v[150:151], v[142:143]
	v_mov_b32_e32 v126, v150
	v_mov_b32_e32 v127, v151
	v_add_f64 v[4:5], v[4:5], -v[142:143]
.LBB68_83:
	s_or_b32 exec_lo, exec_lo, s0
	v_lshl_add_u32 v142, v156, 4, v1
	s_barrier
	buffer_gl0_inv
	v_mov_b32_e32 v150, 4
	ds_write2_b64 v142, v[122:123], v[124:125] offset1:1
	s_waitcnt lgkmcnt(0)
	s_barrier
	buffer_gl0_inv
	ds_read2_b64 v[142:145], v1 offset0:8 offset1:9
	s_cmp_lt_i32 s18, 6
	s_cbranch_scc1 .LBB68_86
; %bb.84:
	v_mov_b32_e32 v150, 4
	v_add3_u32 v151, v152, 0, 0x50
	s_mov_b32 s1, 5
	s_inst_prefetch 0x1
	.p2align	6
.LBB68_85:                              ; =>This Inner Loop Header: Depth=1
	s_waitcnt lgkmcnt(0)
	v_cmp_gt_f64_e32 vcc_lo, 0, v[144:145]
	v_cmp_gt_f64_e64 s0, 0, v[142:143]
	ds_read2_b64 v[157:160], v151 offset1:1
	v_xor_b32_e32 v162, 0x80000000, v143
	v_xor_b32_e32 v164, 0x80000000, v145
	v_mov_b32_e32 v161, v142
	v_mov_b32_e32 v163, v144
	v_add_nc_u32_e32 v151, 16, v151
	s_waitcnt lgkmcnt(0)
	v_xor_b32_e32 v166, 0x80000000, v160
	v_cndmask_b32_e64 v162, v143, v162, s0
	v_cndmask_b32_e32 v164, v145, v164, vcc_lo
	v_cmp_gt_f64_e32 vcc_lo, 0, v[159:160]
	v_cmp_gt_f64_e64 s0, 0, v[157:158]
	v_mov_b32_e32 v165, v159
	v_add_f64 v[161:162], v[161:162], v[163:164]
	v_xor_b32_e32 v164, 0x80000000, v158
	v_mov_b32_e32 v163, v157
	v_cndmask_b32_e32 v166, v160, v166, vcc_lo
	v_cndmask_b32_e64 v164, v158, v164, s0
	v_add_f64 v[163:164], v[163:164], v[165:166]
	v_cmp_lt_f64_e32 vcc_lo, v[161:162], v[163:164]
	v_cndmask_b32_e32 v143, v143, v158, vcc_lo
	v_cndmask_b32_e32 v142, v142, v157, vcc_lo
	;; [unrolled: 1-line block ×4, first 2 shown]
	v_cndmask_b32_e64 v150, v150, s1, vcc_lo
	s_add_i32 s1, s1, 1
	s_cmp_lg_u32 s18, s1
	s_cbranch_scc1 .LBB68_85
.LBB68_86:
	s_inst_prefetch 0x2
	s_waitcnt lgkmcnt(0)
	v_cmp_eq_f64_e32 vcc_lo, 0, v[142:143]
	v_cmp_eq_f64_e64 s0, 0, v[144:145]
	s_and_b32 s0, vcc_lo, s0
	s_and_saveexec_b32 s1, s0
	s_xor_b32 s0, exec_lo, s1
; %bb.87:
	v_cmp_ne_u32_e32 vcc_lo, 0, v155
	v_cndmask_b32_e32 v155, 5, v155, vcc_lo
; %bb.88:
	s_andn2_saveexec_b32 s0, s0
	s_cbranch_execz .LBB68_94
; %bb.89:
	v_cmp_ngt_f64_e64 s1, |v[142:143]|, |v[144:145]|
	s_and_saveexec_b32 s2, s1
	s_xor_b32 s1, exec_lo, s2
	s_cbranch_execz .LBB68_91
; %bb.90:
	v_div_scale_f64 v[157:158], null, v[144:145], v[144:145], v[142:143]
	v_div_scale_f64 v[163:164], vcc_lo, v[142:143], v[144:145], v[142:143]
	v_rcp_f64_e32 v[159:160], v[157:158]
	v_fma_f64 v[161:162], -v[157:158], v[159:160], 1.0
	v_fma_f64 v[159:160], v[159:160], v[161:162], v[159:160]
	v_fma_f64 v[161:162], -v[157:158], v[159:160], 1.0
	v_fma_f64 v[159:160], v[159:160], v[161:162], v[159:160]
	v_mul_f64 v[161:162], v[163:164], v[159:160]
	v_fma_f64 v[157:158], -v[157:158], v[161:162], v[163:164]
	v_div_fmas_f64 v[157:158], v[157:158], v[159:160], v[161:162]
	v_div_fixup_f64 v[157:158], v[157:158], v[144:145], v[142:143]
	v_fma_f64 v[142:143], v[142:143], v[157:158], v[144:145]
	v_div_scale_f64 v[144:145], null, v[142:143], v[142:143], 1.0
	v_rcp_f64_e32 v[159:160], v[144:145]
	v_fma_f64 v[161:162], -v[144:145], v[159:160], 1.0
	v_fma_f64 v[159:160], v[159:160], v[161:162], v[159:160]
	v_fma_f64 v[161:162], -v[144:145], v[159:160], 1.0
	v_fma_f64 v[159:160], v[159:160], v[161:162], v[159:160]
	v_div_scale_f64 v[161:162], vcc_lo, 1.0, v[142:143], 1.0
	v_mul_f64 v[163:164], v[161:162], v[159:160]
	v_fma_f64 v[144:145], -v[144:145], v[163:164], v[161:162]
	v_div_fmas_f64 v[144:145], v[144:145], v[159:160], v[163:164]
	v_div_fixup_f64 v[144:145], v[144:145], v[142:143], 1.0
	v_mul_f64 v[142:143], v[157:158], v[144:145]
	v_xor_b32_e32 v145, 0x80000000, v145
.LBB68_91:
	s_andn2_saveexec_b32 s1, s1
	s_cbranch_execz .LBB68_93
; %bb.92:
	v_div_scale_f64 v[157:158], null, v[142:143], v[142:143], v[144:145]
	v_div_scale_f64 v[163:164], vcc_lo, v[144:145], v[142:143], v[144:145]
	v_rcp_f64_e32 v[159:160], v[157:158]
	v_fma_f64 v[161:162], -v[157:158], v[159:160], 1.0
	v_fma_f64 v[159:160], v[159:160], v[161:162], v[159:160]
	v_fma_f64 v[161:162], -v[157:158], v[159:160], 1.0
	v_fma_f64 v[159:160], v[159:160], v[161:162], v[159:160]
	v_mul_f64 v[161:162], v[163:164], v[159:160]
	v_fma_f64 v[157:158], -v[157:158], v[161:162], v[163:164]
	v_div_fmas_f64 v[157:158], v[157:158], v[159:160], v[161:162]
	v_div_fixup_f64 v[157:158], v[157:158], v[142:143], v[144:145]
	v_fma_f64 v[142:143], v[144:145], v[157:158], v[142:143]
	v_div_scale_f64 v[144:145], null, v[142:143], v[142:143], 1.0
	v_rcp_f64_e32 v[159:160], v[144:145]
	v_fma_f64 v[161:162], -v[144:145], v[159:160], 1.0
	v_fma_f64 v[159:160], v[159:160], v[161:162], v[159:160]
	v_fma_f64 v[161:162], -v[144:145], v[159:160], 1.0
	v_fma_f64 v[159:160], v[159:160], v[161:162], v[159:160]
	v_div_scale_f64 v[161:162], vcc_lo, 1.0, v[142:143], 1.0
	v_mul_f64 v[163:164], v[161:162], v[159:160]
	v_fma_f64 v[144:145], -v[144:145], v[163:164], v[161:162]
	v_div_fmas_f64 v[144:145], v[144:145], v[159:160], v[163:164]
	v_div_fixup_f64 v[142:143], v[144:145], v[142:143], 1.0
	v_mul_f64 v[144:145], v[157:158], -v[142:143]
.LBB68_93:
	s_or_b32 exec_lo, exec_lo, s1
.LBB68_94:
	s_or_b32 exec_lo, exec_lo, s0
	s_mov_b32 s0, exec_lo
	v_cmpx_ne_u32_e64 v156, v150
	s_xor_b32 s0, exec_lo, s0
	s_cbranch_execz .LBB68_100
; %bb.95:
	s_mov_b32 s1, exec_lo
	v_cmpx_eq_u32_e32 4, v156
	s_cbranch_execz .LBB68_99
; %bb.96:
	v_cmp_ne_u32_e32 vcc_lo, 4, v150
	s_xor_b32 s2, s16, -1
	s_and_b32 s3, s2, vcc_lo
	s_and_saveexec_b32 s2, s3
	s_cbranch_execz .LBB68_98
; %bb.97:
	v_ashrrev_i32_e32 v151, 31, v150
	v_lshlrev_b64 v[156:157], 2, v[150:151]
	v_add_co_u32 v156, vcc_lo, v148, v156
	v_add_co_ci_u32_e64 v157, null, v149, v157, vcc_lo
	s_clause 0x1
	global_load_dword v0, v[156:157], off
	global_load_dword v151, v[148:149], off offset:16
	s_waitcnt vmcnt(1)
	global_store_dword v[148:149], v0, off offset:16
	s_waitcnt vmcnt(0)
	global_store_dword v[156:157], v151, off
.LBB68_98:
	s_or_b32 exec_lo, exec_lo, s2
	v_mov_b32_e32 v156, v150
	v_mov_b32_e32 v0, v150
.LBB68_99:
	s_or_b32 exec_lo, exec_lo, s1
.LBB68_100:
	s_andn2_saveexec_b32 s0, s0
	s_cbranch_execz .LBB68_102
; %bb.101:
	v_mov_b32_e32 v156, 4
	ds_write2_b64 v1, v[118:119], v[120:121] offset0:10 offset1:11
	ds_write2_b64 v1, v[114:115], v[116:117] offset0:12 offset1:13
	;; [unrolled: 1-line block ×30, first 2 shown]
.LBB68_102:
	s_or_b32 exec_lo, exec_lo, s0
	s_mov_b32 s0, exec_lo
	s_waitcnt lgkmcnt(0)
	s_waitcnt_vscnt null, 0x0
	s_barrier
	buffer_gl0_inv
	v_cmpx_lt_i32_e32 4, v156
	s_cbranch_execz .LBB68_104
; %bb.103:
	v_mul_f64 v[150:151], v[144:145], v[124:125]
	v_mul_f64 v[124:125], v[142:143], v[124:125]
	v_fma_f64 v[150:151], v[142:143], v[122:123], -v[150:151]
	v_fma_f64 v[124:125], v[144:145], v[122:123], v[124:125]
	ds_read2_b64 v[142:145], v1 offset0:10 offset1:11
	s_waitcnt lgkmcnt(0)
	v_mul_f64 v[122:123], v[144:145], v[124:125]
	v_fma_f64 v[122:123], v[142:143], v[150:151], -v[122:123]
	v_mul_f64 v[142:143], v[142:143], v[124:125]
	v_add_f64 v[118:119], v[118:119], -v[122:123]
	v_fma_f64 v[142:143], v[144:145], v[150:151], v[142:143]
	v_add_f64 v[120:121], v[120:121], -v[142:143]
	ds_read2_b64 v[142:145], v1 offset0:12 offset1:13
	s_waitcnt lgkmcnt(0)
	v_mul_f64 v[122:123], v[144:145], v[124:125]
	v_fma_f64 v[122:123], v[142:143], v[150:151], -v[122:123]
	v_mul_f64 v[142:143], v[142:143], v[124:125]
	v_add_f64 v[114:115], v[114:115], -v[122:123]
	v_fma_f64 v[142:143], v[144:145], v[150:151], v[142:143]
	v_add_f64 v[116:117], v[116:117], -v[142:143]
	;; [unrolled: 8-line block ×29, first 2 shown]
	ds_read2_b64 v[142:145], v1 offset0:68 offset1:69
	s_waitcnt lgkmcnt(0)
	v_mul_f64 v[122:123], v[144:145], v[124:125]
	v_fma_f64 v[122:123], v[142:143], v[150:151], -v[122:123]
	v_mul_f64 v[142:143], v[142:143], v[124:125]
	v_add_f64 v[2:3], v[2:3], -v[122:123]
	v_fma_f64 v[142:143], v[144:145], v[150:151], v[142:143]
	v_mov_b32_e32 v122, v150
	v_mov_b32_e32 v123, v151
	v_add_f64 v[4:5], v[4:5], -v[142:143]
.LBB68_104:
	s_or_b32 exec_lo, exec_lo, s0
	v_lshl_add_u32 v142, v156, 4, v1
	s_barrier
	buffer_gl0_inv
	v_mov_b32_e32 v150, 5
	ds_write2_b64 v142, v[118:119], v[120:121] offset1:1
	s_waitcnt lgkmcnt(0)
	s_barrier
	buffer_gl0_inv
	ds_read2_b64 v[142:145], v1 offset0:10 offset1:11
	s_cmp_lt_i32 s18, 7
	s_cbranch_scc1 .LBB68_107
; %bb.105:
	v_add3_u32 v151, v152, 0, 0x60
	v_mov_b32_e32 v150, 5
	s_mov_b32 s1, 6
	s_inst_prefetch 0x1
	.p2align	6
.LBB68_106:                             ; =>This Inner Loop Header: Depth=1
	s_waitcnt lgkmcnt(0)
	v_cmp_gt_f64_e32 vcc_lo, 0, v[144:145]
	v_cmp_gt_f64_e64 s0, 0, v[142:143]
	ds_read2_b64 v[157:160], v151 offset1:1
	v_xor_b32_e32 v162, 0x80000000, v143
	v_xor_b32_e32 v164, 0x80000000, v145
	v_mov_b32_e32 v161, v142
	v_mov_b32_e32 v163, v144
	v_add_nc_u32_e32 v151, 16, v151
	s_waitcnt lgkmcnt(0)
	v_xor_b32_e32 v166, 0x80000000, v160
	v_cndmask_b32_e64 v162, v143, v162, s0
	v_cndmask_b32_e32 v164, v145, v164, vcc_lo
	v_cmp_gt_f64_e32 vcc_lo, 0, v[159:160]
	v_cmp_gt_f64_e64 s0, 0, v[157:158]
	v_mov_b32_e32 v165, v159
	v_add_f64 v[161:162], v[161:162], v[163:164]
	v_xor_b32_e32 v164, 0x80000000, v158
	v_mov_b32_e32 v163, v157
	v_cndmask_b32_e32 v166, v160, v166, vcc_lo
	v_cndmask_b32_e64 v164, v158, v164, s0
	v_add_f64 v[163:164], v[163:164], v[165:166]
	v_cmp_lt_f64_e32 vcc_lo, v[161:162], v[163:164]
	v_cndmask_b32_e32 v143, v143, v158, vcc_lo
	v_cndmask_b32_e32 v142, v142, v157, vcc_lo
	v_cndmask_b32_e32 v145, v145, v160, vcc_lo
	v_cndmask_b32_e32 v144, v144, v159, vcc_lo
	v_cndmask_b32_e64 v150, v150, s1, vcc_lo
	s_add_i32 s1, s1, 1
	s_cmp_lg_u32 s18, s1
	s_cbranch_scc1 .LBB68_106
.LBB68_107:
	s_inst_prefetch 0x2
	s_waitcnt lgkmcnt(0)
	v_cmp_eq_f64_e32 vcc_lo, 0, v[142:143]
	v_cmp_eq_f64_e64 s0, 0, v[144:145]
	s_and_b32 s0, vcc_lo, s0
	s_and_saveexec_b32 s1, s0
	s_xor_b32 s0, exec_lo, s1
; %bb.108:
	v_cmp_ne_u32_e32 vcc_lo, 0, v155
	v_cndmask_b32_e32 v155, 6, v155, vcc_lo
; %bb.109:
	s_andn2_saveexec_b32 s0, s0
	s_cbranch_execz .LBB68_115
; %bb.110:
	v_cmp_ngt_f64_e64 s1, |v[142:143]|, |v[144:145]|
	s_and_saveexec_b32 s2, s1
	s_xor_b32 s1, exec_lo, s2
	s_cbranch_execz .LBB68_112
; %bb.111:
	v_div_scale_f64 v[157:158], null, v[144:145], v[144:145], v[142:143]
	v_div_scale_f64 v[163:164], vcc_lo, v[142:143], v[144:145], v[142:143]
	v_rcp_f64_e32 v[159:160], v[157:158]
	v_fma_f64 v[161:162], -v[157:158], v[159:160], 1.0
	v_fma_f64 v[159:160], v[159:160], v[161:162], v[159:160]
	v_fma_f64 v[161:162], -v[157:158], v[159:160], 1.0
	v_fma_f64 v[159:160], v[159:160], v[161:162], v[159:160]
	v_mul_f64 v[161:162], v[163:164], v[159:160]
	v_fma_f64 v[157:158], -v[157:158], v[161:162], v[163:164]
	v_div_fmas_f64 v[157:158], v[157:158], v[159:160], v[161:162]
	v_div_fixup_f64 v[157:158], v[157:158], v[144:145], v[142:143]
	v_fma_f64 v[142:143], v[142:143], v[157:158], v[144:145]
	v_div_scale_f64 v[144:145], null, v[142:143], v[142:143], 1.0
	v_rcp_f64_e32 v[159:160], v[144:145]
	v_fma_f64 v[161:162], -v[144:145], v[159:160], 1.0
	v_fma_f64 v[159:160], v[159:160], v[161:162], v[159:160]
	v_fma_f64 v[161:162], -v[144:145], v[159:160], 1.0
	v_fma_f64 v[159:160], v[159:160], v[161:162], v[159:160]
	v_div_scale_f64 v[161:162], vcc_lo, 1.0, v[142:143], 1.0
	v_mul_f64 v[163:164], v[161:162], v[159:160]
	v_fma_f64 v[144:145], -v[144:145], v[163:164], v[161:162]
	v_div_fmas_f64 v[144:145], v[144:145], v[159:160], v[163:164]
	v_div_fixup_f64 v[144:145], v[144:145], v[142:143], 1.0
	v_mul_f64 v[142:143], v[157:158], v[144:145]
	v_xor_b32_e32 v145, 0x80000000, v145
.LBB68_112:
	s_andn2_saveexec_b32 s1, s1
	s_cbranch_execz .LBB68_114
; %bb.113:
	v_div_scale_f64 v[157:158], null, v[142:143], v[142:143], v[144:145]
	v_div_scale_f64 v[163:164], vcc_lo, v[144:145], v[142:143], v[144:145]
	v_rcp_f64_e32 v[159:160], v[157:158]
	v_fma_f64 v[161:162], -v[157:158], v[159:160], 1.0
	v_fma_f64 v[159:160], v[159:160], v[161:162], v[159:160]
	v_fma_f64 v[161:162], -v[157:158], v[159:160], 1.0
	v_fma_f64 v[159:160], v[159:160], v[161:162], v[159:160]
	v_mul_f64 v[161:162], v[163:164], v[159:160]
	v_fma_f64 v[157:158], -v[157:158], v[161:162], v[163:164]
	v_div_fmas_f64 v[157:158], v[157:158], v[159:160], v[161:162]
	v_div_fixup_f64 v[157:158], v[157:158], v[142:143], v[144:145]
	v_fma_f64 v[142:143], v[144:145], v[157:158], v[142:143]
	v_div_scale_f64 v[144:145], null, v[142:143], v[142:143], 1.0
	v_rcp_f64_e32 v[159:160], v[144:145]
	v_fma_f64 v[161:162], -v[144:145], v[159:160], 1.0
	v_fma_f64 v[159:160], v[159:160], v[161:162], v[159:160]
	v_fma_f64 v[161:162], -v[144:145], v[159:160], 1.0
	v_fma_f64 v[159:160], v[159:160], v[161:162], v[159:160]
	v_div_scale_f64 v[161:162], vcc_lo, 1.0, v[142:143], 1.0
	v_mul_f64 v[163:164], v[161:162], v[159:160]
	v_fma_f64 v[144:145], -v[144:145], v[163:164], v[161:162]
	v_div_fmas_f64 v[144:145], v[144:145], v[159:160], v[163:164]
	v_div_fixup_f64 v[142:143], v[144:145], v[142:143], 1.0
	v_mul_f64 v[144:145], v[157:158], -v[142:143]
.LBB68_114:
	s_or_b32 exec_lo, exec_lo, s1
.LBB68_115:
	s_or_b32 exec_lo, exec_lo, s0
	s_mov_b32 s0, exec_lo
	v_cmpx_ne_u32_e64 v156, v150
	s_xor_b32 s0, exec_lo, s0
	s_cbranch_execz .LBB68_121
; %bb.116:
	s_mov_b32 s1, exec_lo
	v_cmpx_eq_u32_e32 5, v156
	s_cbranch_execz .LBB68_120
; %bb.117:
	v_cmp_ne_u32_e32 vcc_lo, 5, v150
	s_xor_b32 s2, s16, -1
	s_and_b32 s3, s2, vcc_lo
	s_and_saveexec_b32 s2, s3
	s_cbranch_execz .LBB68_119
; %bb.118:
	v_ashrrev_i32_e32 v151, 31, v150
	v_lshlrev_b64 v[156:157], 2, v[150:151]
	v_add_co_u32 v156, vcc_lo, v148, v156
	v_add_co_ci_u32_e64 v157, null, v149, v157, vcc_lo
	s_clause 0x1
	global_load_dword v0, v[156:157], off
	global_load_dword v151, v[148:149], off offset:20
	s_waitcnt vmcnt(1)
	global_store_dword v[148:149], v0, off offset:20
	s_waitcnt vmcnt(0)
	global_store_dword v[156:157], v151, off
.LBB68_119:
	s_or_b32 exec_lo, exec_lo, s2
	v_mov_b32_e32 v156, v150
	v_mov_b32_e32 v0, v150
.LBB68_120:
	s_or_b32 exec_lo, exec_lo, s1
.LBB68_121:
	s_andn2_saveexec_b32 s0, s0
	s_cbranch_execz .LBB68_123
; %bb.122:
	v_mov_b32_e32 v156, 5
	ds_write2_b64 v1, v[114:115], v[116:117] offset0:12 offset1:13
	ds_write2_b64 v1, v[110:111], v[112:113] offset0:14 offset1:15
	ds_write2_b64 v1, v[106:107], v[108:109] offset0:16 offset1:17
	ds_write2_b64 v1, v[102:103], v[104:105] offset0:18 offset1:19
	ds_write2_b64 v1, v[98:99], v[100:101] offset0:20 offset1:21
	ds_write2_b64 v1, v[94:95], v[96:97] offset0:22 offset1:23
	ds_write2_b64 v1, v[90:91], v[92:93] offset0:24 offset1:25
	ds_write2_b64 v1, v[86:87], v[88:89] offset0:26 offset1:27
	ds_write2_b64 v1, v[82:83], v[84:85] offset0:28 offset1:29
	ds_write2_b64 v1, v[78:79], v[80:81] offset0:30 offset1:31
	ds_write2_b64 v1, v[74:75], v[76:77] offset0:32 offset1:33
	ds_write2_b64 v1, v[70:71], v[72:73] offset0:34 offset1:35
	ds_write2_b64 v1, v[66:67], v[68:69] offset0:36 offset1:37
	ds_write2_b64 v1, v[62:63], v[64:65] offset0:38 offset1:39
	ds_write2_b64 v1, v[58:59], v[60:61] offset0:40 offset1:41
	ds_write2_b64 v1, v[54:55], v[56:57] offset0:42 offset1:43
	ds_write2_b64 v1, v[50:51], v[52:53] offset0:44 offset1:45
	ds_write2_b64 v1, v[46:47], v[48:49] offset0:46 offset1:47
	ds_write2_b64 v1, v[42:43], v[44:45] offset0:48 offset1:49
	ds_write2_b64 v1, v[38:39], v[40:41] offset0:50 offset1:51
	ds_write2_b64 v1, v[34:35], v[36:37] offset0:52 offset1:53
	ds_write2_b64 v1, v[30:31], v[32:33] offset0:54 offset1:55
	ds_write2_b64 v1, v[26:27], v[28:29] offset0:56 offset1:57
	ds_write2_b64 v1, v[22:23], v[24:25] offset0:58 offset1:59
	ds_write2_b64 v1, v[18:19], v[20:21] offset0:60 offset1:61
	ds_write2_b64 v1, v[14:15], v[16:17] offset0:62 offset1:63
	ds_write2_b64 v1, v[10:11], v[12:13] offset0:64 offset1:65
	ds_write2_b64 v1, v[6:7], v[8:9] offset0:66 offset1:67
	ds_write2_b64 v1, v[2:3], v[4:5] offset0:68 offset1:69
.LBB68_123:
	s_or_b32 exec_lo, exec_lo, s0
	s_mov_b32 s0, exec_lo
	s_waitcnt lgkmcnt(0)
	s_waitcnt_vscnt null, 0x0
	s_barrier
	buffer_gl0_inv
	v_cmpx_lt_i32_e32 5, v156
	s_cbranch_execz .LBB68_125
; %bb.124:
	v_mul_f64 v[150:151], v[144:145], v[120:121]
	v_mul_f64 v[120:121], v[142:143], v[120:121]
	v_fma_f64 v[150:151], v[142:143], v[118:119], -v[150:151]
	v_fma_f64 v[120:121], v[144:145], v[118:119], v[120:121]
	ds_read2_b64 v[142:145], v1 offset0:12 offset1:13
	s_waitcnt lgkmcnt(0)
	v_mul_f64 v[118:119], v[144:145], v[120:121]
	v_fma_f64 v[118:119], v[142:143], v[150:151], -v[118:119]
	v_mul_f64 v[142:143], v[142:143], v[120:121]
	v_add_f64 v[114:115], v[114:115], -v[118:119]
	v_fma_f64 v[142:143], v[144:145], v[150:151], v[142:143]
	v_add_f64 v[116:117], v[116:117], -v[142:143]
	ds_read2_b64 v[142:145], v1 offset0:14 offset1:15
	s_waitcnt lgkmcnt(0)
	v_mul_f64 v[118:119], v[144:145], v[120:121]
	v_fma_f64 v[118:119], v[142:143], v[150:151], -v[118:119]
	v_mul_f64 v[142:143], v[142:143], v[120:121]
	v_add_f64 v[110:111], v[110:111], -v[118:119]
	v_fma_f64 v[142:143], v[144:145], v[150:151], v[142:143]
	v_add_f64 v[112:113], v[112:113], -v[142:143]
	;; [unrolled: 8-line block ×28, first 2 shown]
	ds_read2_b64 v[142:145], v1 offset0:68 offset1:69
	s_waitcnt lgkmcnt(0)
	v_mul_f64 v[118:119], v[144:145], v[120:121]
	v_fma_f64 v[118:119], v[142:143], v[150:151], -v[118:119]
	v_mul_f64 v[142:143], v[142:143], v[120:121]
	v_add_f64 v[2:3], v[2:3], -v[118:119]
	v_fma_f64 v[142:143], v[144:145], v[150:151], v[142:143]
	v_mov_b32_e32 v118, v150
	v_mov_b32_e32 v119, v151
	v_add_f64 v[4:5], v[4:5], -v[142:143]
.LBB68_125:
	s_or_b32 exec_lo, exec_lo, s0
	v_lshl_add_u32 v142, v156, 4, v1
	s_barrier
	buffer_gl0_inv
	v_mov_b32_e32 v150, 6
	ds_write2_b64 v142, v[114:115], v[116:117] offset1:1
	s_waitcnt lgkmcnt(0)
	s_barrier
	buffer_gl0_inv
	ds_read2_b64 v[142:145], v1 offset0:12 offset1:13
	s_cmp_lt_i32 s18, 8
	s_cbranch_scc1 .LBB68_128
; %bb.126:
	v_add3_u32 v151, v152, 0, 0x70
	v_mov_b32_e32 v150, 6
	s_mov_b32 s1, 7
	s_inst_prefetch 0x1
	.p2align	6
.LBB68_127:                             ; =>This Inner Loop Header: Depth=1
	s_waitcnt lgkmcnt(0)
	v_cmp_gt_f64_e32 vcc_lo, 0, v[144:145]
	v_cmp_gt_f64_e64 s0, 0, v[142:143]
	ds_read2_b64 v[157:160], v151 offset1:1
	v_xor_b32_e32 v162, 0x80000000, v143
	v_xor_b32_e32 v164, 0x80000000, v145
	v_mov_b32_e32 v161, v142
	v_mov_b32_e32 v163, v144
	v_add_nc_u32_e32 v151, 16, v151
	s_waitcnt lgkmcnt(0)
	v_xor_b32_e32 v166, 0x80000000, v160
	v_cndmask_b32_e64 v162, v143, v162, s0
	v_cndmask_b32_e32 v164, v145, v164, vcc_lo
	v_cmp_gt_f64_e32 vcc_lo, 0, v[159:160]
	v_cmp_gt_f64_e64 s0, 0, v[157:158]
	v_mov_b32_e32 v165, v159
	v_add_f64 v[161:162], v[161:162], v[163:164]
	v_xor_b32_e32 v164, 0x80000000, v158
	v_mov_b32_e32 v163, v157
	v_cndmask_b32_e32 v166, v160, v166, vcc_lo
	v_cndmask_b32_e64 v164, v158, v164, s0
	v_add_f64 v[163:164], v[163:164], v[165:166]
	v_cmp_lt_f64_e32 vcc_lo, v[161:162], v[163:164]
	v_cndmask_b32_e32 v143, v143, v158, vcc_lo
	v_cndmask_b32_e32 v142, v142, v157, vcc_lo
	;; [unrolled: 1-line block ×4, first 2 shown]
	v_cndmask_b32_e64 v150, v150, s1, vcc_lo
	s_add_i32 s1, s1, 1
	s_cmp_lg_u32 s18, s1
	s_cbranch_scc1 .LBB68_127
.LBB68_128:
	s_inst_prefetch 0x2
	s_waitcnt lgkmcnt(0)
	v_cmp_eq_f64_e32 vcc_lo, 0, v[142:143]
	v_cmp_eq_f64_e64 s0, 0, v[144:145]
	s_and_b32 s0, vcc_lo, s0
	s_and_saveexec_b32 s1, s0
	s_xor_b32 s0, exec_lo, s1
; %bb.129:
	v_cmp_ne_u32_e32 vcc_lo, 0, v155
	v_cndmask_b32_e32 v155, 7, v155, vcc_lo
; %bb.130:
	s_andn2_saveexec_b32 s0, s0
	s_cbranch_execz .LBB68_136
; %bb.131:
	v_cmp_ngt_f64_e64 s1, |v[142:143]|, |v[144:145]|
	s_and_saveexec_b32 s2, s1
	s_xor_b32 s1, exec_lo, s2
	s_cbranch_execz .LBB68_133
; %bb.132:
	v_div_scale_f64 v[157:158], null, v[144:145], v[144:145], v[142:143]
	v_div_scale_f64 v[163:164], vcc_lo, v[142:143], v[144:145], v[142:143]
	v_rcp_f64_e32 v[159:160], v[157:158]
	v_fma_f64 v[161:162], -v[157:158], v[159:160], 1.0
	v_fma_f64 v[159:160], v[159:160], v[161:162], v[159:160]
	v_fma_f64 v[161:162], -v[157:158], v[159:160], 1.0
	v_fma_f64 v[159:160], v[159:160], v[161:162], v[159:160]
	v_mul_f64 v[161:162], v[163:164], v[159:160]
	v_fma_f64 v[157:158], -v[157:158], v[161:162], v[163:164]
	v_div_fmas_f64 v[157:158], v[157:158], v[159:160], v[161:162]
	v_div_fixup_f64 v[157:158], v[157:158], v[144:145], v[142:143]
	v_fma_f64 v[142:143], v[142:143], v[157:158], v[144:145]
	v_div_scale_f64 v[144:145], null, v[142:143], v[142:143], 1.0
	v_rcp_f64_e32 v[159:160], v[144:145]
	v_fma_f64 v[161:162], -v[144:145], v[159:160], 1.0
	v_fma_f64 v[159:160], v[159:160], v[161:162], v[159:160]
	v_fma_f64 v[161:162], -v[144:145], v[159:160], 1.0
	v_fma_f64 v[159:160], v[159:160], v[161:162], v[159:160]
	v_div_scale_f64 v[161:162], vcc_lo, 1.0, v[142:143], 1.0
	v_mul_f64 v[163:164], v[161:162], v[159:160]
	v_fma_f64 v[144:145], -v[144:145], v[163:164], v[161:162]
	v_div_fmas_f64 v[144:145], v[144:145], v[159:160], v[163:164]
	v_div_fixup_f64 v[144:145], v[144:145], v[142:143], 1.0
	v_mul_f64 v[142:143], v[157:158], v[144:145]
	v_xor_b32_e32 v145, 0x80000000, v145
.LBB68_133:
	s_andn2_saveexec_b32 s1, s1
	s_cbranch_execz .LBB68_135
; %bb.134:
	v_div_scale_f64 v[157:158], null, v[142:143], v[142:143], v[144:145]
	v_div_scale_f64 v[163:164], vcc_lo, v[144:145], v[142:143], v[144:145]
	v_rcp_f64_e32 v[159:160], v[157:158]
	v_fma_f64 v[161:162], -v[157:158], v[159:160], 1.0
	v_fma_f64 v[159:160], v[159:160], v[161:162], v[159:160]
	v_fma_f64 v[161:162], -v[157:158], v[159:160], 1.0
	v_fma_f64 v[159:160], v[159:160], v[161:162], v[159:160]
	v_mul_f64 v[161:162], v[163:164], v[159:160]
	v_fma_f64 v[157:158], -v[157:158], v[161:162], v[163:164]
	v_div_fmas_f64 v[157:158], v[157:158], v[159:160], v[161:162]
	v_div_fixup_f64 v[157:158], v[157:158], v[142:143], v[144:145]
	v_fma_f64 v[142:143], v[144:145], v[157:158], v[142:143]
	v_div_scale_f64 v[144:145], null, v[142:143], v[142:143], 1.0
	v_rcp_f64_e32 v[159:160], v[144:145]
	v_fma_f64 v[161:162], -v[144:145], v[159:160], 1.0
	v_fma_f64 v[159:160], v[159:160], v[161:162], v[159:160]
	v_fma_f64 v[161:162], -v[144:145], v[159:160], 1.0
	v_fma_f64 v[159:160], v[159:160], v[161:162], v[159:160]
	v_div_scale_f64 v[161:162], vcc_lo, 1.0, v[142:143], 1.0
	v_mul_f64 v[163:164], v[161:162], v[159:160]
	v_fma_f64 v[144:145], -v[144:145], v[163:164], v[161:162]
	v_div_fmas_f64 v[144:145], v[144:145], v[159:160], v[163:164]
	v_div_fixup_f64 v[142:143], v[144:145], v[142:143], 1.0
	v_mul_f64 v[144:145], v[157:158], -v[142:143]
.LBB68_135:
	s_or_b32 exec_lo, exec_lo, s1
.LBB68_136:
	s_or_b32 exec_lo, exec_lo, s0
	s_mov_b32 s0, exec_lo
	v_cmpx_ne_u32_e64 v156, v150
	s_xor_b32 s0, exec_lo, s0
	s_cbranch_execz .LBB68_142
; %bb.137:
	s_mov_b32 s1, exec_lo
	v_cmpx_eq_u32_e32 6, v156
	s_cbranch_execz .LBB68_141
; %bb.138:
	v_cmp_ne_u32_e32 vcc_lo, 6, v150
	s_xor_b32 s2, s16, -1
	s_and_b32 s3, s2, vcc_lo
	s_and_saveexec_b32 s2, s3
	s_cbranch_execz .LBB68_140
; %bb.139:
	v_ashrrev_i32_e32 v151, 31, v150
	v_lshlrev_b64 v[156:157], 2, v[150:151]
	v_add_co_u32 v156, vcc_lo, v148, v156
	v_add_co_ci_u32_e64 v157, null, v149, v157, vcc_lo
	s_clause 0x1
	global_load_dword v0, v[156:157], off
	global_load_dword v151, v[148:149], off offset:24
	s_waitcnt vmcnt(1)
	global_store_dword v[148:149], v0, off offset:24
	s_waitcnt vmcnt(0)
	global_store_dword v[156:157], v151, off
.LBB68_140:
	s_or_b32 exec_lo, exec_lo, s2
	v_mov_b32_e32 v156, v150
	v_mov_b32_e32 v0, v150
.LBB68_141:
	s_or_b32 exec_lo, exec_lo, s1
.LBB68_142:
	s_andn2_saveexec_b32 s0, s0
	s_cbranch_execz .LBB68_144
; %bb.143:
	v_mov_b32_e32 v156, 6
	ds_write2_b64 v1, v[110:111], v[112:113] offset0:14 offset1:15
	ds_write2_b64 v1, v[106:107], v[108:109] offset0:16 offset1:17
	;; [unrolled: 1-line block ×28, first 2 shown]
.LBB68_144:
	s_or_b32 exec_lo, exec_lo, s0
	s_mov_b32 s0, exec_lo
	s_waitcnt lgkmcnt(0)
	s_waitcnt_vscnt null, 0x0
	s_barrier
	buffer_gl0_inv
	v_cmpx_lt_i32_e32 6, v156
	s_cbranch_execz .LBB68_146
; %bb.145:
	v_mul_f64 v[150:151], v[144:145], v[116:117]
	v_mul_f64 v[116:117], v[142:143], v[116:117]
	v_fma_f64 v[150:151], v[142:143], v[114:115], -v[150:151]
	v_fma_f64 v[116:117], v[144:145], v[114:115], v[116:117]
	ds_read2_b64 v[142:145], v1 offset0:14 offset1:15
	s_waitcnt lgkmcnt(0)
	v_mul_f64 v[114:115], v[144:145], v[116:117]
	v_fma_f64 v[114:115], v[142:143], v[150:151], -v[114:115]
	v_mul_f64 v[142:143], v[142:143], v[116:117]
	v_add_f64 v[110:111], v[110:111], -v[114:115]
	v_fma_f64 v[142:143], v[144:145], v[150:151], v[142:143]
	v_add_f64 v[112:113], v[112:113], -v[142:143]
	ds_read2_b64 v[142:145], v1 offset0:16 offset1:17
	s_waitcnt lgkmcnt(0)
	v_mul_f64 v[114:115], v[144:145], v[116:117]
	v_fma_f64 v[114:115], v[142:143], v[150:151], -v[114:115]
	v_mul_f64 v[142:143], v[142:143], v[116:117]
	v_add_f64 v[106:107], v[106:107], -v[114:115]
	v_fma_f64 v[142:143], v[144:145], v[150:151], v[142:143]
	v_add_f64 v[108:109], v[108:109], -v[142:143]
	;; [unrolled: 8-line block ×27, first 2 shown]
	ds_read2_b64 v[142:145], v1 offset0:68 offset1:69
	s_waitcnt lgkmcnt(0)
	v_mul_f64 v[114:115], v[144:145], v[116:117]
	v_fma_f64 v[114:115], v[142:143], v[150:151], -v[114:115]
	v_mul_f64 v[142:143], v[142:143], v[116:117]
	v_add_f64 v[2:3], v[2:3], -v[114:115]
	v_fma_f64 v[142:143], v[144:145], v[150:151], v[142:143]
	v_mov_b32_e32 v114, v150
	v_mov_b32_e32 v115, v151
	v_add_f64 v[4:5], v[4:5], -v[142:143]
.LBB68_146:
	s_or_b32 exec_lo, exec_lo, s0
	v_lshl_add_u32 v142, v156, 4, v1
	s_barrier
	buffer_gl0_inv
	v_mov_b32_e32 v150, 7
	ds_write2_b64 v142, v[110:111], v[112:113] offset1:1
	s_waitcnt lgkmcnt(0)
	s_barrier
	buffer_gl0_inv
	ds_read2_b64 v[142:145], v1 offset0:14 offset1:15
	s_cmp_lt_i32 s18, 9
	s_cbranch_scc1 .LBB68_149
; %bb.147:
	v_add3_u32 v151, v152, 0, 0x80
	v_mov_b32_e32 v150, 7
	s_mov_b32 s1, 8
	s_inst_prefetch 0x1
	.p2align	6
.LBB68_148:                             ; =>This Inner Loop Header: Depth=1
	s_waitcnt lgkmcnt(0)
	v_cmp_gt_f64_e32 vcc_lo, 0, v[144:145]
	v_cmp_gt_f64_e64 s0, 0, v[142:143]
	ds_read2_b64 v[157:160], v151 offset1:1
	v_xor_b32_e32 v162, 0x80000000, v143
	v_xor_b32_e32 v164, 0x80000000, v145
	v_mov_b32_e32 v161, v142
	v_mov_b32_e32 v163, v144
	v_add_nc_u32_e32 v151, 16, v151
	s_waitcnt lgkmcnt(0)
	v_xor_b32_e32 v166, 0x80000000, v160
	v_cndmask_b32_e64 v162, v143, v162, s0
	v_cndmask_b32_e32 v164, v145, v164, vcc_lo
	v_cmp_gt_f64_e32 vcc_lo, 0, v[159:160]
	v_cmp_gt_f64_e64 s0, 0, v[157:158]
	v_mov_b32_e32 v165, v159
	v_add_f64 v[161:162], v[161:162], v[163:164]
	v_xor_b32_e32 v164, 0x80000000, v158
	v_mov_b32_e32 v163, v157
	v_cndmask_b32_e32 v166, v160, v166, vcc_lo
	v_cndmask_b32_e64 v164, v158, v164, s0
	v_add_f64 v[163:164], v[163:164], v[165:166]
	v_cmp_lt_f64_e32 vcc_lo, v[161:162], v[163:164]
	v_cndmask_b32_e32 v143, v143, v158, vcc_lo
	v_cndmask_b32_e32 v142, v142, v157, vcc_lo
	;; [unrolled: 1-line block ×4, first 2 shown]
	v_cndmask_b32_e64 v150, v150, s1, vcc_lo
	s_add_i32 s1, s1, 1
	s_cmp_lg_u32 s18, s1
	s_cbranch_scc1 .LBB68_148
.LBB68_149:
	s_inst_prefetch 0x2
	s_waitcnt lgkmcnt(0)
	v_cmp_eq_f64_e32 vcc_lo, 0, v[142:143]
	v_cmp_eq_f64_e64 s0, 0, v[144:145]
	s_and_b32 s0, vcc_lo, s0
	s_and_saveexec_b32 s1, s0
	s_xor_b32 s0, exec_lo, s1
; %bb.150:
	v_cmp_ne_u32_e32 vcc_lo, 0, v155
	v_cndmask_b32_e32 v155, 8, v155, vcc_lo
; %bb.151:
	s_andn2_saveexec_b32 s0, s0
	s_cbranch_execz .LBB68_157
; %bb.152:
	v_cmp_ngt_f64_e64 s1, |v[142:143]|, |v[144:145]|
	s_and_saveexec_b32 s2, s1
	s_xor_b32 s1, exec_lo, s2
	s_cbranch_execz .LBB68_154
; %bb.153:
	v_div_scale_f64 v[157:158], null, v[144:145], v[144:145], v[142:143]
	v_div_scale_f64 v[163:164], vcc_lo, v[142:143], v[144:145], v[142:143]
	v_rcp_f64_e32 v[159:160], v[157:158]
	v_fma_f64 v[161:162], -v[157:158], v[159:160], 1.0
	v_fma_f64 v[159:160], v[159:160], v[161:162], v[159:160]
	v_fma_f64 v[161:162], -v[157:158], v[159:160], 1.0
	v_fma_f64 v[159:160], v[159:160], v[161:162], v[159:160]
	v_mul_f64 v[161:162], v[163:164], v[159:160]
	v_fma_f64 v[157:158], -v[157:158], v[161:162], v[163:164]
	v_div_fmas_f64 v[157:158], v[157:158], v[159:160], v[161:162]
	v_div_fixup_f64 v[157:158], v[157:158], v[144:145], v[142:143]
	v_fma_f64 v[142:143], v[142:143], v[157:158], v[144:145]
	v_div_scale_f64 v[144:145], null, v[142:143], v[142:143], 1.0
	v_rcp_f64_e32 v[159:160], v[144:145]
	v_fma_f64 v[161:162], -v[144:145], v[159:160], 1.0
	v_fma_f64 v[159:160], v[159:160], v[161:162], v[159:160]
	v_fma_f64 v[161:162], -v[144:145], v[159:160], 1.0
	v_fma_f64 v[159:160], v[159:160], v[161:162], v[159:160]
	v_div_scale_f64 v[161:162], vcc_lo, 1.0, v[142:143], 1.0
	v_mul_f64 v[163:164], v[161:162], v[159:160]
	v_fma_f64 v[144:145], -v[144:145], v[163:164], v[161:162]
	v_div_fmas_f64 v[144:145], v[144:145], v[159:160], v[163:164]
	v_div_fixup_f64 v[144:145], v[144:145], v[142:143], 1.0
	v_mul_f64 v[142:143], v[157:158], v[144:145]
	v_xor_b32_e32 v145, 0x80000000, v145
.LBB68_154:
	s_andn2_saveexec_b32 s1, s1
	s_cbranch_execz .LBB68_156
; %bb.155:
	v_div_scale_f64 v[157:158], null, v[142:143], v[142:143], v[144:145]
	v_div_scale_f64 v[163:164], vcc_lo, v[144:145], v[142:143], v[144:145]
	v_rcp_f64_e32 v[159:160], v[157:158]
	v_fma_f64 v[161:162], -v[157:158], v[159:160], 1.0
	v_fma_f64 v[159:160], v[159:160], v[161:162], v[159:160]
	v_fma_f64 v[161:162], -v[157:158], v[159:160], 1.0
	v_fma_f64 v[159:160], v[159:160], v[161:162], v[159:160]
	v_mul_f64 v[161:162], v[163:164], v[159:160]
	v_fma_f64 v[157:158], -v[157:158], v[161:162], v[163:164]
	v_div_fmas_f64 v[157:158], v[157:158], v[159:160], v[161:162]
	v_div_fixup_f64 v[157:158], v[157:158], v[142:143], v[144:145]
	v_fma_f64 v[142:143], v[144:145], v[157:158], v[142:143]
	v_div_scale_f64 v[144:145], null, v[142:143], v[142:143], 1.0
	v_rcp_f64_e32 v[159:160], v[144:145]
	v_fma_f64 v[161:162], -v[144:145], v[159:160], 1.0
	v_fma_f64 v[159:160], v[159:160], v[161:162], v[159:160]
	v_fma_f64 v[161:162], -v[144:145], v[159:160], 1.0
	v_fma_f64 v[159:160], v[159:160], v[161:162], v[159:160]
	v_div_scale_f64 v[161:162], vcc_lo, 1.0, v[142:143], 1.0
	v_mul_f64 v[163:164], v[161:162], v[159:160]
	v_fma_f64 v[144:145], -v[144:145], v[163:164], v[161:162]
	v_div_fmas_f64 v[144:145], v[144:145], v[159:160], v[163:164]
	v_div_fixup_f64 v[142:143], v[144:145], v[142:143], 1.0
	v_mul_f64 v[144:145], v[157:158], -v[142:143]
.LBB68_156:
	s_or_b32 exec_lo, exec_lo, s1
.LBB68_157:
	s_or_b32 exec_lo, exec_lo, s0
	s_mov_b32 s0, exec_lo
	v_cmpx_ne_u32_e64 v156, v150
	s_xor_b32 s0, exec_lo, s0
	s_cbranch_execz .LBB68_163
; %bb.158:
	s_mov_b32 s1, exec_lo
	v_cmpx_eq_u32_e32 7, v156
	s_cbranch_execz .LBB68_162
; %bb.159:
	v_cmp_ne_u32_e32 vcc_lo, 7, v150
	s_xor_b32 s2, s16, -1
	s_and_b32 s3, s2, vcc_lo
	s_and_saveexec_b32 s2, s3
	s_cbranch_execz .LBB68_161
; %bb.160:
	v_ashrrev_i32_e32 v151, 31, v150
	v_lshlrev_b64 v[156:157], 2, v[150:151]
	v_add_co_u32 v156, vcc_lo, v148, v156
	v_add_co_ci_u32_e64 v157, null, v149, v157, vcc_lo
	s_clause 0x1
	global_load_dword v0, v[156:157], off
	global_load_dword v151, v[148:149], off offset:28
	s_waitcnt vmcnt(1)
	global_store_dword v[148:149], v0, off offset:28
	s_waitcnt vmcnt(0)
	global_store_dword v[156:157], v151, off
.LBB68_161:
	s_or_b32 exec_lo, exec_lo, s2
	v_mov_b32_e32 v156, v150
	v_mov_b32_e32 v0, v150
.LBB68_162:
	s_or_b32 exec_lo, exec_lo, s1
.LBB68_163:
	s_andn2_saveexec_b32 s0, s0
	s_cbranch_execz .LBB68_165
; %bb.164:
	v_mov_b32_e32 v156, 7
	ds_write2_b64 v1, v[106:107], v[108:109] offset0:16 offset1:17
	ds_write2_b64 v1, v[102:103], v[104:105] offset0:18 offset1:19
	;; [unrolled: 1-line block ×27, first 2 shown]
.LBB68_165:
	s_or_b32 exec_lo, exec_lo, s0
	s_mov_b32 s0, exec_lo
	s_waitcnt lgkmcnt(0)
	s_waitcnt_vscnt null, 0x0
	s_barrier
	buffer_gl0_inv
	v_cmpx_lt_i32_e32 7, v156
	s_cbranch_execz .LBB68_167
; %bb.166:
	v_mul_f64 v[150:151], v[144:145], v[112:113]
	v_mul_f64 v[112:113], v[142:143], v[112:113]
	v_fma_f64 v[150:151], v[142:143], v[110:111], -v[150:151]
	v_fma_f64 v[112:113], v[144:145], v[110:111], v[112:113]
	ds_read2_b64 v[142:145], v1 offset0:16 offset1:17
	s_waitcnt lgkmcnt(0)
	v_mul_f64 v[110:111], v[144:145], v[112:113]
	v_fma_f64 v[110:111], v[142:143], v[150:151], -v[110:111]
	v_mul_f64 v[142:143], v[142:143], v[112:113]
	v_add_f64 v[106:107], v[106:107], -v[110:111]
	v_fma_f64 v[142:143], v[144:145], v[150:151], v[142:143]
	v_add_f64 v[108:109], v[108:109], -v[142:143]
	ds_read2_b64 v[142:145], v1 offset0:18 offset1:19
	s_waitcnt lgkmcnt(0)
	v_mul_f64 v[110:111], v[144:145], v[112:113]
	v_fma_f64 v[110:111], v[142:143], v[150:151], -v[110:111]
	v_mul_f64 v[142:143], v[142:143], v[112:113]
	v_add_f64 v[102:103], v[102:103], -v[110:111]
	v_fma_f64 v[142:143], v[144:145], v[150:151], v[142:143]
	v_add_f64 v[104:105], v[104:105], -v[142:143]
	;; [unrolled: 8-line block ×26, first 2 shown]
	ds_read2_b64 v[142:145], v1 offset0:68 offset1:69
	s_waitcnt lgkmcnt(0)
	v_mul_f64 v[110:111], v[144:145], v[112:113]
	v_fma_f64 v[110:111], v[142:143], v[150:151], -v[110:111]
	v_mul_f64 v[142:143], v[142:143], v[112:113]
	v_add_f64 v[2:3], v[2:3], -v[110:111]
	v_fma_f64 v[142:143], v[144:145], v[150:151], v[142:143]
	v_mov_b32_e32 v110, v150
	v_mov_b32_e32 v111, v151
	v_add_f64 v[4:5], v[4:5], -v[142:143]
.LBB68_167:
	s_or_b32 exec_lo, exec_lo, s0
	v_lshl_add_u32 v142, v156, 4, v1
	s_barrier
	buffer_gl0_inv
	v_mov_b32_e32 v150, 8
	ds_write2_b64 v142, v[106:107], v[108:109] offset1:1
	s_waitcnt lgkmcnt(0)
	s_barrier
	buffer_gl0_inv
	ds_read2_b64 v[142:145], v1 offset0:16 offset1:17
	s_cmp_lt_i32 s18, 10
	s_cbranch_scc1 .LBB68_170
; %bb.168:
	v_add3_u32 v151, v152, 0, 0x90
	v_mov_b32_e32 v150, 8
	s_mov_b32 s1, 9
	s_inst_prefetch 0x1
	.p2align	6
.LBB68_169:                             ; =>This Inner Loop Header: Depth=1
	s_waitcnt lgkmcnt(0)
	v_cmp_gt_f64_e32 vcc_lo, 0, v[144:145]
	v_cmp_gt_f64_e64 s0, 0, v[142:143]
	ds_read2_b64 v[157:160], v151 offset1:1
	v_xor_b32_e32 v162, 0x80000000, v143
	v_xor_b32_e32 v164, 0x80000000, v145
	v_mov_b32_e32 v161, v142
	v_mov_b32_e32 v163, v144
	v_add_nc_u32_e32 v151, 16, v151
	s_waitcnt lgkmcnt(0)
	v_xor_b32_e32 v166, 0x80000000, v160
	v_cndmask_b32_e64 v162, v143, v162, s0
	v_cndmask_b32_e32 v164, v145, v164, vcc_lo
	v_cmp_gt_f64_e32 vcc_lo, 0, v[159:160]
	v_cmp_gt_f64_e64 s0, 0, v[157:158]
	v_mov_b32_e32 v165, v159
	v_add_f64 v[161:162], v[161:162], v[163:164]
	v_xor_b32_e32 v164, 0x80000000, v158
	v_mov_b32_e32 v163, v157
	v_cndmask_b32_e32 v166, v160, v166, vcc_lo
	v_cndmask_b32_e64 v164, v158, v164, s0
	v_add_f64 v[163:164], v[163:164], v[165:166]
	v_cmp_lt_f64_e32 vcc_lo, v[161:162], v[163:164]
	v_cndmask_b32_e32 v143, v143, v158, vcc_lo
	v_cndmask_b32_e32 v142, v142, v157, vcc_lo
	;; [unrolled: 1-line block ×4, first 2 shown]
	v_cndmask_b32_e64 v150, v150, s1, vcc_lo
	s_add_i32 s1, s1, 1
	s_cmp_lg_u32 s18, s1
	s_cbranch_scc1 .LBB68_169
.LBB68_170:
	s_inst_prefetch 0x2
	s_waitcnt lgkmcnt(0)
	v_cmp_eq_f64_e32 vcc_lo, 0, v[142:143]
	v_cmp_eq_f64_e64 s0, 0, v[144:145]
	s_and_b32 s0, vcc_lo, s0
	s_and_saveexec_b32 s1, s0
	s_xor_b32 s0, exec_lo, s1
; %bb.171:
	v_cmp_ne_u32_e32 vcc_lo, 0, v155
	v_cndmask_b32_e32 v155, 9, v155, vcc_lo
; %bb.172:
	s_andn2_saveexec_b32 s0, s0
	s_cbranch_execz .LBB68_178
; %bb.173:
	v_cmp_ngt_f64_e64 s1, |v[142:143]|, |v[144:145]|
	s_and_saveexec_b32 s2, s1
	s_xor_b32 s1, exec_lo, s2
	s_cbranch_execz .LBB68_175
; %bb.174:
	v_div_scale_f64 v[157:158], null, v[144:145], v[144:145], v[142:143]
	v_div_scale_f64 v[163:164], vcc_lo, v[142:143], v[144:145], v[142:143]
	v_rcp_f64_e32 v[159:160], v[157:158]
	v_fma_f64 v[161:162], -v[157:158], v[159:160], 1.0
	v_fma_f64 v[159:160], v[159:160], v[161:162], v[159:160]
	v_fma_f64 v[161:162], -v[157:158], v[159:160], 1.0
	v_fma_f64 v[159:160], v[159:160], v[161:162], v[159:160]
	v_mul_f64 v[161:162], v[163:164], v[159:160]
	v_fma_f64 v[157:158], -v[157:158], v[161:162], v[163:164]
	v_div_fmas_f64 v[157:158], v[157:158], v[159:160], v[161:162]
	v_div_fixup_f64 v[157:158], v[157:158], v[144:145], v[142:143]
	v_fma_f64 v[142:143], v[142:143], v[157:158], v[144:145]
	v_div_scale_f64 v[144:145], null, v[142:143], v[142:143], 1.0
	v_rcp_f64_e32 v[159:160], v[144:145]
	v_fma_f64 v[161:162], -v[144:145], v[159:160], 1.0
	v_fma_f64 v[159:160], v[159:160], v[161:162], v[159:160]
	v_fma_f64 v[161:162], -v[144:145], v[159:160], 1.0
	v_fma_f64 v[159:160], v[159:160], v[161:162], v[159:160]
	v_div_scale_f64 v[161:162], vcc_lo, 1.0, v[142:143], 1.0
	v_mul_f64 v[163:164], v[161:162], v[159:160]
	v_fma_f64 v[144:145], -v[144:145], v[163:164], v[161:162]
	v_div_fmas_f64 v[144:145], v[144:145], v[159:160], v[163:164]
	v_div_fixup_f64 v[144:145], v[144:145], v[142:143], 1.0
	v_mul_f64 v[142:143], v[157:158], v[144:145]
	v_xor_b32_e32 v145, 0x80000000, v145
.LBB68_175:
	s_andn2_saveexec_b32 s1, s1
	s_cbranch_execz .LBB68_177
; %bb.176:
	v_div_scale_f64 v[157:158], null, v[142:143], v[142:143], v[144:145]
	v_div_scale_f64 v[163:164], vcc_lo, v[144:145], v[142:143], v[144:145]
	v_rcp_f64_e32 v[159:160], v[157:158]
	v_fma_f64 v[161:162], -v[157:158], v[159:160], 1.0
	v_fma_f64 v[159:160], v[159:160], v[161:162], v[159:160]
	v_fma_f64 v[161:162], -v[157:158], v[159:160], 1.0
	v_fma_f64 v[159:160], v[159:160], v[161:162], v[159:160]
	v_mul_f64 v[161:162], v[163:164], v[159:160]
	v_fma_f64 v[157:158], -v[157:158], v[161:162], v[163:164]
	v_div_fmas_f64 v[157:158], v[157:158], v[159:160], v[161:162]
	v_div_fixup_f64 v[157:158], v[157:158], v[142:143], v[144:145]
	v_fma_f64 v[142:143], v[144:145], v[157:158], v[142:143]
	v_div_scale_f64 v[144:145], null, v[142:143], v[142:143], 1.0
	v_rcp_f64_e32 v[159:160], v[144:145]
	v_fma_f64 v[161:162], -v[144:145], v[159:160], 1.0
	v_fma_f64 v[159:160], v[159:160], v[161:162], v[159:160]
	v_fma_f64 v[161:162], -v[144:145], v[159:160], 1.0
	v_fma_f64 v[159:160], v[159:160], v[161:162], v[159:160]
	v_div_scale_f64 v[161:162], vcc_lo, 1.0, v[142:143], 1.0
	v_mul_f64 v[163:164], v[161:162], v[159:160]
	v_fma_f64 v[144:145], -v[144:145], v[163:164], v[161:162]
	v_div_fmas_f64 v[144:145], v[144:145], v[159:160], v[163:164]
	v_div_fixup_f64 v[142:143], v[144:145], v[142:143], 1.0
	v_mul_f64 v[144:145], v[157:158], -v[142:143]
.LBB68_177:
	s_or_b32 exec_lo, exec_lo, s1
.LBB68_178:
	s_or_b32 exec_lo, exec_lo, s0
	s_mov_b32 s0, exec_lo
	v_cmpx_ne_u32_e64 v156, v150
	s_xor_b32 s0, exec_lo, s0
	s_cbranch_execz .LBB68_184
; %bb.179:
	s_mov_b32 s1, exec_lo
	v_cmpx_eq_u32_e32 8, v156
	s_cbranch_execz .LBB68_183
; %bb.180:
	v_cmp_ne_u32_e32 vcc_lo, 8, v150
	s_xor_b32 s2, s16, -1
	s_and_b32 s3, s2, vcc_lo
	s_and_saveexec_b32 s2, s3
	s_cbranch_execz .LBB68_182
; %bb.181:
	v_ashrrev_i32_e32 v151, 31, v150
	v_lshlrev_b64 v[156:157], 2, v[150:151]
	v_add_co_u32 v156, vcc_lo, v148, v156
	v_add_co_ci_u32_e64 v157, null, v149, v157, vcc_lo
	s_clause 0x1
	global_load_dword v0, v[156:157], off
	global_load_dword v151, v[148:149], off offset:32
	s_waitcnt vmcnt(1)
	global_store_dword v[148:149], v0, off offset:32
	s_waitcnt vmcnt(0)
	global_store_dword v[156:157], v151, off
.LBB68_182:
	s_or_b32 exec_lo, exec_lo, s2
	v_mov_b32_e32 v156, v150
	v_mov_b32_e32 v0, v150
.LBB68_183:
	s_or_b32 exec_lo, exec_lo, s1
.LBB68_184:
	s_andn2_saveexec_b32 s0, s0
	s_cbranch_execz .LBB68_186
; %bb.185:
	v_mov_b32_e32 v156, 8
	ds_write2_b64 v1, v[102:103], v[104:105] offset0:18 offset1:19
	ds_write2_b64 v1, v[98:99], v[100:101] offset0:20 offset1:21
	;; [unrolled: 1-line block ×26, first 2 shown]
.LBB68_186:
	s_or_b32 exec_lo, exec_lo, s0
	s_mov_b32 s0, exec_lo
	s_waitcnt lgkmcnt(0)
	s_waitcnt_vscnt null, 0x0
	s_barrier
	buffer_gl0_inv
	v_cmpx_lt_i32_e32 8, v156
	s_cbranch_execz .LBB68_188
; %bb.187:
	v_mul_f64 v[150:151], v[144:145], v[108:109]
	v_mul_f64 v[108:109], v[142:143], v[108:109]
	v_fma_f64 v[150:151], v[142:143], v[106:107], -v[150:151]
	v_fma_f64 v[108:109], v[144:145], v[106:107], v[108:109]
	ds_read2_b64 v[142:145], v1 offset0:18 offset1:19
	s_waitcnt lgkmcnt(0)
	v_mul_f64 v[106:107], v[144:145], v[108:109]
	v_fma_f64 v[106:107], v[142:143], v[150:151], -v[106:107]
	v_mul_f64 v[142:143], v[142:143], v[108:109]
	v_add_f64 v[102:103], v[102:103], -v[106:107]
	v_fma_f64 v[142:143], v[144:145], v[150:151], v[142:143]
	v_add_f64 v[104:105], v[104:105], -v[142:143]
	ds_read2_b64 v[142:145], v1 offset0:20 offset1:21
	s_waitcnt lgkmcnt(0)
	v_mul_f64 v[106:107], v[144:145], v[108:109]
	v_fma_f64 v[106:107], v[142:143], v[150:151], -v[106:107]
	v_mul_f64 v[142:143], v[142:143], v[108:109]
	v_add_f64 v[98:99], v[98:99], -v[106:107]
	v_fma_f64 v[142:143], v[144:145], v[150:151], v[142:143]
	v_add_f64 v[100:101], v[100:101], -v[142:143]
	;; [unrolled: 8-line block ×25, first 2 shown]
	ds_read2_b64 v[142:145], v1 offset0:68 offset1:69
	s_waitcnt lgkmcnt(0)
	v_mul_f64 v[106:107], v[144:145], v[108:109]
	v_fma_f64 v[106:107], v[142:143], v[150:151], -v[106:107]
	v_mul_f64 v[142:143], v[142:143], v[108:109]
	v_add_f64 v[2:3], v[2:3], -v[106:107]
	v_fma_f64 v[142:143], v[144:145], v[150:151], v[142:143]
	v_mov_b32_e32 v106, v150
	v_mov_b32_e32 v107, v151
	v_add_f64 v[4:5], v[4:5], -v[142:143]
.LBB68_188:
	s_or_b32 exec_lo, exec_lo, s0
	v_lshl_add_u32 v142, v156, 4, v1
	s_barrier
	buffer_gl0_inv
	v_mov_b32_e32 v150, 9
	ds_write2_b64 v142, v[102:103], v[104:105] offset1:1
	s_waitcnt lgkmcnt(0)
	s_barrier
	buffer_gl0_inv
	ds_read2_b64 v[142:145], v1 offset0:18 offset1:19
	s_cmp_lt_i32 s18, 11
	s_cbranch_scc1 .LBB68_191
; %bb.189:
	v_add3_u32 v151, v152, 0, 0xa0
	v_mov_b32_e32 v150, 9
	s_mov_b32 s1, 10
	s_inst_prefetch 0x1
	.p2align	6
.LBB68_190:                             ; =>This Inner Loop Header: Depth=1
	s_waitcnt lgkmcnt(0)
	v_cmp_gt_f64_e32 vcc_lo, 0, v[144:145]
	v_cmp_gt_f64_e64 s0, 0, v[142:143]
	ds_read2_b64 v[157:160], v151 offset1:1
	v_xor_b32_e32 v162, 0x80000000, v143
	v_xor_b32_e32 v164, 0x80000000, v145
	v_mov_b32_e32 v161, v142
	v_mov_b32_e32 v163, v144
	v_add_nc_u32_e32 v151, 16, v151
	s_waitcnt lgkmcnt(0)
	v_xor_b32_e32 v166, 0x80000000, v160
	v_cndmask_b32_e64 v162, v143, v162, s0
	v_cndmask_b32_e32 v164, v145, v164, vcc_lo
	v_cmp_gt_f64_e32 vcc_lo, 0, v[159:160]
	v_cmp_gt_f64_e64 s0, 0, v[157:158]
	v_mov_b32_e32 v165, v159
	v_add_f64 v[161:162], v[161:162], v[163:164]
	v_xor_b32_e32 v164, 0x80000000, v158
	v_mov_b32_e32 v163, v157
	v_cndmask_b32_e32 v166, v160, v166, vcc_lo
	v_cndmask_b32_e64 v164, v158, v164, s0
	v_add_f64 v[163:164], v[163:164], v[165:166]
	v_cmp_lt_f64_e32 vcc_lo, v[161:162], v[163:164]
	v_cndmask_b32_e32 v143, v143, v158, vcc_lo
	v_cndmask_b32_e32 v142, v142, v157, vcc_lo
	;; [unrolled: 1-line block ×4, first 2 shown]
	v_cndmask_b32_e64 v150, v150, s1, vcc_lo
	s_add_i32 s1, s1, 1
	s_cmp_lg_u32 s18, s1
	s_cbranch_scc1 .LBB68_190
.LBB68_191:
	s_inst_prefetch 0x2
	s_waitcnt lgkmcnt(0)
	v_cmp_eq_f64_e32 vcc_lo, 0, v[142:143]
	v_cmp_eq_f64_e64 s0, 0, v[144:145]
	s_and_b32 s0, vcc_lo, s0
	s_and_saveexec_b32 s1, s0
	s_xor_b32 s0, exec_lo, s1
; %bb.192:
	v_cmp_ne_u32_e32 vcc_lo, 0, v155
	v_cndmask_b32_e32 v155, 10, v155, vcc_lo
; %bb.193:
	s_andn2_saveexec_b32 s0, s0
	s_cbranch_execz .LBB68_199
; %bb.194:
	v_cmp_ngt_f64_e64 s1, |v[142:143]|, |v[144:145]|
	s_and_saveexec_b32 s2, s1
	s_xor_b32 s1, exec_lo, s2
	s_cbranch_execz .LBB68_196
; %bb.195:
	v_div_scale_f64 v[157:158], null, v[144:145], v[144:145], v[142:143]
	v_div_scale_f64 v[163:164], vcc_lo, v[142:143], v[144:145], v[142:143]
	v_rcp_f64_e32 v[159:160], v[157:158]
	v_fma_f64 v[161:162], -v[157:158], v[159:160], 1.0
	v_fma_f64 v[159:160], v[159:160], v[161:162], v[159:160]
	v_fma_f64 v[161:162], -v[157:158], v[159:160], 1.0
	v_fma_f64 v[159:160], v[159:160], v[161:162], v[159:160]
	v_mul_f64 v[161:162], v[163:164], v[159:160]
	v_fma_f64 v[157:158], -v[157:158], v[161:162], v[163:164]
	v_div_fmas_f64 v[157:158], v[157:158], v[159:160], v[161:162]
	v_div_fixup_f64 v[157:158], v[157:158], v[144:145], v[142:143]
	v_fma_f64 v[142:143], v[142:143], v[157:158], v[144:145]
	v_div_scale_f64 v[144:145], null, v[142:143], v[142:143], 1.0
	v_rcp_f64_e32 v[159:160], v[144:145]
	v_fma_f64 v[161:162], -v[144:145], v[159:160], 1.0
	v_fma_f64 v[159:160], v[159:160], v[161:162], v[159:160]
	v_fma_f64 v[161:162], -v[144:145], v[159:160], 1.0
	v_fma_f64 v[159:160], v[159:160], v[161:162], v[159:160]
	v_div_scale_f64 v[161:162], vcc_lo, 1.0, v[142:143], 1.0
	v_mul_f64 v[163:164], v[161:162], v[159:160]
	v_fma_f64 v[144:145], -v[144:145], v[163:164], v[161:162]
	v_div_fmas_f64 v[144:145], v[144:145], v[159:160], v[163:164]
	v_div_fixup_f64 v[144:145], v[144:145], v[142:143], 1.0
	v_mul_f64 v[142:143], v[157:158], v[144:145]
	v_xor_b32_e32 v145, 0x80000000, v145
.LBB68_196:
	s_andn2_saveexec_b32 s1, s1
	s_cbranch_execz .LBB68_198
; %bb.197:
	v_div_scale_f64 v[157:158], null, v[142:143], v[142:143], v[144:145]
	v_div_scale_f64 v[163:164], vcc_lo, v[144:145], v[142:143], v[144:145]
	v_rcp_f64_e32 v[159:160], v[157:158]
	v_fma_f64 v[161:162], -v[157:158], v[159:160], 1.0
	v_fma_f64 v[159:160], v[159:160], v[161:162], v[159:160]
	v_fma_f64 v[161:162], -v[157:158], v[159:160], 1.0
	v_fma_f64 v[159:160], v[159:160], v[161:162], v[159:160]
	v_mul_f64 v[161:162], v[163:164], v[159:160]
	v_fma_f64 v[157:158], -v[157:158], v[161:162], v[163:164]
	v_div_fmas_f64 v[157:158], v[157:158], v[159:160], v[161:162]
	v_div_fixup_f64 v[157:158], v[157:158], v[142:143], v[144:145]
	v_fma_f64 v[142:143], v[144:145], v[157:158], v[142:143]
	v_div_scale_f64 v[144:145], null, v[142:143], v[142:143], 1.0
	v_rcp_f64_e32 v[159:160], v[144:145]
	v_fma_f64 v[161:162], -v[144:145], v[159:160], 1.0
	v_fma_f64 v[159:160], v[159:160], v[161:162], v[159:160]
	v_fma_f64 v[161:162], -v[144:145], v[159:160], 1.0
	v_fma_f64 v[159:160], v[159:160], v[161:162], v[159:160]
	v_div_scale_f64 v[161:162], vcc_lo, 1.0, v[142:143], 1.0
	v_mul_f64 v[163:164], v[161:162], v[159:160]
	v_fma_f64 v[144:145], -v[144:145], v[163:164], v[161:162]
	v_div_fmas_f64 v[144:145], v[144:145], v[159:160], v[163:164]
	v_div_fixup_f64 v[142:143], v[144:145], v[142:143], 1.0
	v_mul_f64 v[144:145], v[157:158], -v[142:143]
.LBB68_198:
	s_or_b32 exec_lo, exec_lo, s1
.LBB68_199:
	s_or_b32 exec_lo, exec_lo, s0
	s_mov_b32 s0, exec_lo
	v_cmpx_ne_u32_e64 v156, v150
	s_xor_b32 s0, exec_lo, s0
	s_cbranch_execz .LBB68_205
; %bb.200:
	s_mov_b32 s1, exec_lo
	v_cmpx_eq_u32_e32 9, v156
	s_cbranch_execz .LBB68_204
; %bb.201:
	v_cmp_ne_u32_e32 vcc_lo, 9, v150
	s_xor_b32 s2, s16, -1
	s_and_b32 s3, s2, vcc_lo
	s_and_saveexec_b32 s2, s3
	s_cbranch_execz .LBB68_203
; %bb.202:
	v_ashrrev_i32_e32 v151, 31, v150
	v_lshlrev_b64 v[156:157], 2, v[150:151]
	v_add_co_u32 v156, vcc_lo, v148, v156
	v_add_co_ci_u32_e64 v157, null, v149, v157, vcc_lo
	s_clause 0x1
	global_load_dword v0, v[156:157], off
	global_load_dword v151, v[148:149], off offset:36
	s_waitcnt vmcnt(1)
	global_store_dword v[148:149], v0, off offset:36
	s_waitcnt vmcnt(0)
	global_store_dword v[156:157], v151, off
.LBB68_203:
	s_or_b32 exec_lo, exec_lo, s2
	v_mov_b32_e32 v156, v150
	v_mov_b32_e32 v0, v150
.LBB68_204:
	s_or_b32 exec_lo, exec_lo, s1
.LBB68_205:
	s_andn2_saveexec_b32 s0, s0
	s_cbranch_execz .LBB68_207
; %bb.206:
	v_mov_b32_e32 v156, 9
	ds_write2_b64 v1, v[98:99], v[100:101] offset0:20 offset1:21
	ds_write2_b64 v1, v[94:95], v[96:97] offset0:22 offset1:23
	;; [unrolled: 1-line block ×25, first 2 shown]
.LBB68_207:
	s_or_b32 exec_lo, exec_lo, s0
	s_mov_b32 s0, exec_lo
	s_waitcnt lgkmcnt(0)
	s_waitcnt_vscnt null, 0x0
	s_barrier
	buffer_gl0_inv
	v_cmpx_lt_i32_e32 9, v156
	s_cbranch_execz .LBB68_209
; %bb.208:
	v_mul_f64 v[150:151], v[144:145], v[104:105]
	v_mul_f64 v[104:105], v[142:143], v[104:105]
	v_fma_f64 v[150:151], v[142:143], v[102:103], -v[150:151]
	v_fma_f64 v[104:105], v[144:145], v[102:103], v[104:105]
	ds_read2_b64 v[142:145], v1 offset0:20 offset1:21
	s_waitcnt lgkmcnt(0)
	v_mul_f64 v[102:103], v[144:145], v[104:105]
	v_fma_f64 v[102:103], v[142:143], v[150:151], -v[102:103]
	v_mul_f64 v[142:143], v[142:143], v[104:105]
	v_add_f64 v[98:99], v[98:99], -v[102:103]
	v_fma_f64 v[142:143], v[144:145], v[150:151], v[142:143]
	v_add_f64 v[100:101], v[100:101], -v[142:143]
	ds_read2_b64 v[142:145], v1 offset0:22 offset1:23
	s_waitcnt lgkmcnt(0)
	v_mul_f64 v[102:103], v[144:145], v[104:105]
	v_fma_f64 v[102:103], v[142:143], v[150:151], -v[102:103]
	v_mul_f64 v[142:143], v[142:143], v[104:105]
	v_add_f64 v[94:95], v[94:95], -v[102:103]
	v_fma_f64 v[142:143], v[144:145], v[150:151], v[142:143]
	v_add_f64 v[96:97], v[96:97], -v[142:143]
	;; [unrolled: 8-line block ×24, first 2 shown]
	ds_read2_b64 v[142:145], v1 offset0:68 offset1:69
	s_waitcnt lgkmcnt(0)
	v_mul_f64 v[102:103], v[144:145], v[104:105]
	v_fma_f64 v[102:103], v[142:143], v[150:151], -v[102:103]
	v_mul_f64 v[142:143], v[142:143], v[104:105]
	v_add_f64 v[2:3], v[2:3], -v[102:103]
	v_fma_f64 v[142:143], v[144:145], v[150:151], v[142:143]
	v_mov_b32_e32 v102, v150
	v_mov_b32_e32 v103, v151
	v_add_f64 v[4:5], v[4:5], -v[142:143]
.LBB68_209:
	s_or_b32 exec_lo, exec_lo, s0
	v_lshl_add_u32 v142, v156, 4, v1
	s_barrier
	buffer_gl0_inv
	v_mov_b32_e32 v150, 10
	ds_write2_b64 v142, v[98:99], v[100:101] offset1:1
	s_waitcnt lgkmcnt(0)
	s_barrier
	buffer_gl0_inv
	ds_read2_b64 v[142:145], v1 offset0:20 offset1:21
	s_cmp_lt_i32 s18, 12
	s_cbranch_scc1 .LBB68_212
; %bb.210:
	v_add3_u32 v151, v152, 0, 0xb0
	v_mov_b32_e32 v150, 10
	s_mov_b32 s1, 11
	s_inst_prefetch 0x1
	.p2align	6
.LBB68_211:                             ; =>This Inner Loop Header: Depth=1
	s_waitcnt lgkmcnt(0)
	v_cmp_gt_f64_e32 vcc_lo, 0, v[144:145]
	v_cmp_gt_f64_e64 s0, 0, v[142:143]
	ds_read2_b64 v[157:160], v151 offset1:1
	v_xor_b32_e32 v162, 0x80000000, v143
	v_xor_b32_e32 v164, 0x80000000, v145
	v_mov_b32_e32 v161, v142
	v_mov_b32_e32 v163, v144
	v_add_nc_u32_e32 v151, 16, v151
	s_waitcnt lgkmcnt(0)
	v_xor_b32_e32 v166, 0x80000000, v160
	v_cndmask_b32_e64 v162, v143, v162, s0
	v_cndmask_b32_e32 v164, v145, v164, vcc_lo
	v_cmp_gt_f64_e32 vcc_lo, 0, v[159:160]
	v_cmp_gt_f64_e64 s0, 0, v[157:158]
	v_mov_b32_e32 v165, v159
	v_add_f64 v[161:162], v[161:162], v[163:164]
	v_xor_b32_e32 v164, 0x80000000, v158
	v_mov_b32_e32 v163, v157
	v_cndmask_b32_e32 v166, v160, v166, vcc_lo
	v_cndmask_b32_e64 v164, v158, v164, s0
	v_add_f64 v[163:164], v[163:164], v[165:166]
	v_cmp_lt_f64_e32 vcc_lo, v[161:162], v[163:164]
	v_cndmask_b32_e32 v143, v143, v158, vcc_lo
	v_cndmask_b32_e32 v142, v142, v157, vcc_lo
	v_cndmask_b32_e32 v145, v145, v160, vcc_lo
	v_cndmask_b32_e32 v144, v144, v159, vcc_lo
	v_cndmask_b32_e64 v150, v150, s1, vcc_lo
	s_add_i32 s1, s1, 1
	s_cmp_lg_u32 s18, s1
	s_cbranch_scc1 .LBB68_211
.LBB68_212:
	s_inst_prefetch 0x2
	s_waitcnt lgkmcnt(0)
	v_cmp_eq_f64_e32 vcc_lo, 0, v[142:143]
	v_cmp_eq_f64_e64 s0, 0, v[144:145]
	s_and_b32 s0, vcc_lo, s0
	s_and_saveexec_b32 s1, s0
	s_xor_b32 s0, exec_lo, s1
; %bb.213:
	v_cmp_ne_u32_e32 vcc_lo, 0, v155
	v_cndmask_b32_e32 v155, 11, v155, vcc_lo
; %bb.214:
	s_andn2_saveexec_b32 s0, s0
	s_cbranch_execz .LBB68_220
; %bb.215:
	v_cmp_ngt_f64_e64 s1, |v[142:143]|, |v[144:145]|
	s_and_saveexec_b32 s2, s1
	s_xor_b32 s1, exec_lo, s2
	s_cbranch_execz .LBB68_217
; %bb.216:
	v_div_scale_f64 v[157:158], null, v[144:145], v[144:145], v[142:143]
	v_div_scale_f64 v[163:164], vcc_lo, v[142:143], v[144:145], v[142:143]
	v_rcp_f64_e32 v[159:160], v[157:158]
	v_fma_f64 v[161:162], -v[157:158], v[159:160], 1.0
	v_fma_f64 v[159:160], v[159:160], v[161:162], v[159:160]
	v_fma_f64 v[161:162], -v[157:158], v[159:160], 1.0
	v_fma_f64 v[159:160], v[159:160], v[161:162], v[159:160]
	v_mul_f64 v[161:162], v[163:164], v[159:160]
	v_fma_f64 v[157:158], -v[157:158], v[161:162], v[163:164]
	v_div_fmas_f64 v[157:158], v[157:158], v[159:160], v[161:162]
	v_div_fixup_f64 v[157:158], v[157:158], v[144:145], v[142:143]
	v_fma_f64 v[142:143], v[142:143], v[157:158], v[144:145]
	v_div_scale_f64 v[144:145], null, v[142:143], v[142:143], 1.0
	v_rcp_f64_e32 v[159:160], v[144:145]
	v_fma_f64 v[161:162], -v[144:145], v[159:160], 1.0
	v_fma_f64 v[159:160], v[159:160], v[161:162], v[159:160]
	v_fma_f64 v[161:162], -v[144:145], v[159:160], 1.0
	v_fma_f64 v[159:160], v[159:160], v[161:162], v[159:160]
	v_div_scale_f64 v[161:162], vcc_lo, 1.0, v[142:143], 1.0
	v_mul_f64 v[163:164], v[161:162], v[159:160]
	v_fma_f64 v[144:145], -v[144:145], v[163:164], v[161:162]
	v_div_fmas_f64 v[144:145], v[144:145], v[159:160], v[163:164]
	v_div_fixup_f64 v[144:145], v[144:145], v[142:143], 1.0
	v_mul_f64 v[142:143], v[157:158], v[144:145]
	v_xor_b32_e32 v145, 0x80000000, v145
.LBB68_217:
	s_andn2_saveexec_b32 s1, s1
	s_cbranch_execz .LBB68_219
; %bb.218:
	v_div_scale_f64 v[157:158], null, v[142:143], v[142:143], v[144:145]
	v_div_scale_f64 v[163:164], vcc_lo, v[144:145], v[142:143], v[144:145]
	v_rcp_f64_e32 v[159:160], v[157:158]
	v_fma_f64 v[161:162], -v[157:158], v[159:160], 1.0
	v_fma_f64 v[159:160], v[159:160], v[161:162], v[159:160]
	v_fma_f64 v[161:162], -v[157:158], v[159:160], 1.0
	v_fma_f64 v[159:160], v[159:160], v[161:162], v[159:160]
	v_mul_f64 v[161:162], v[163:164], v[159:160]
	v_fma_f64 v[157:158], -v[157:158], v[161:162], v[163:164]
	v_div_fmas_f64 v[157:158], v[157:158], v[159:160], v[161:162]
	v_div_fixup_f64 v[157:158], v[157:158], v[142:143], v[144:145]
	v_fma_f64 v[142:143], v[144:145], v[157:158], v[142:143]
	v_div_scale_f64 v[144:145], null, v[142:143], v[142:143], 1.0
	v_rcp_f64_e32 v[159:160], v[144:145]
	v_fma_f64 v[161:162], -v[144:145], v[159:160], 1.0
	v_fma_f64 v[159:160], v[159:160], v[161:162], v[159:160]
	v_fma_f64 v[161:162], -v[144:145], v[159:160], 1.0
	v_fma_f64 v[159:160], v[159:160], v[161:162], v[159:160]
	v_div_scale_f64 v[161:162], vcc_lo, 1.0, v[142:143], 1.0
	v_mul_f64 v[163:164], v[161:162], v[159:160]
	v_fma_f64 v[144:145], -v[144:145], v[163:164], v[161:162]
	v_div_fmas_f64 v[144:145], v[144:145], v[159:160], v[163:164]
	v_div_fixup_f64 v[142:143], v[144:145], v[142:143], 1.0
	v_mul_f64 v[144:145], v[157:158], -v[142:143]
.LBB68_219:
	s_or_b32 exec_lo, exec_lo, s1
.LBB68_220:
	s_or_b32 exec_lo, exec_lo, s0
	s_mov_b32 s0, exec_lo
	v_cmpx_ne_u32_e64 v156, v150
	s_xor_b32 s0, exec_lo, s0
	s_cbranch_execz .LBB68_226
; %bb.221:
	s_mov_b32 s1, exec_lo
	v_cmpx_eq_u32_e32 10, v156
	s_cbranch_execz .LBB68_225
; %bb.222:
	v_cmp_ne_u32_e32 vcc_lo, 10, v150
	s_xor_b32 s2, s16, -1
	s_and_b32 s3, s2, vcc_lo
	s_and_saveexec_b32 s2, s3
	s_cbranch_execz .LBB68_224
; %bb.223:
	v_ashrrev_i32_e32 v151, 31, v150
	v_lshlrev_b64 v[156:157], 2, v[150:151]
	v_add_co_u32 v156, vcc_lo, v148, v156
	v_add_co_ci_u32_e64 v157, null, v149, v157, vcc_lo
	s_clause 0x1
	global_load_dword v0, v[156:157], off
	global_load_dword v151, v[148:149], off offset:40
	s_waitcnt vmcnt(1)
	global_store_dword v[148:149], v0, off offset:40
	s_waitcnt vmcnt(0)
	global_store_dword v[156:157], v151, off
.LBB68_224:
	s_or_b32 exec_lo, exec_lo, s2
	v_mov_b32_e32 v156, v150
	v_mov_b32_e32 v0, v150
.LBB68_225:
	s_or_b32 exec_lo, exec_lo, s1
.LBB68_226:
	s_andn2_saveexec_b32 s0, s0
	s_cbranch_execz .LBB68_228
; %bb.227:
	v_mov_b32_e32 v156, 10
	ds_write2_b64 v1, v[94:95], v[96:97] offset0:22 offset1:23
	ds_write2_b64 v1, v[90:91], v[92:93] offset0:24 offset1:25
	;; [unrolled: 1-line block ×24, first 2 shown]
.LBB68_228:
	s_or_b32 exec_lo, exec_lo, s0
	s_mov_b32 s0, exec_lo
	s_waitcnt lgkmcnt(0)
	s_waitcnt_vscnt null, 0x0
	s_barrier
	buffer_gl0_inv
	v_cmpx_lt_i32_e32 10, v156
	s_cbranch_execz .LBB68_230
; %bb.229:
	v_mul_f64 v[150:151], v[144:145], v[100:101]
	v_mul_f64 v[100:101], v[142:143], v[100:101]
	v_fma_f64 v[150:151], v[142:143], v[98:99], -v[150:151]
	v_fma_f64 v[100:101], v[144:145], v[98:99], v[100:101]
	ds_read2_b64 v[142:145], v1 offset0:22 offset1:23
	s_waitcnt lgkmcnt(0)
	v_mul_f64 v[98:99], v[144:145], v[100:101]
	v_fma_f64 v[98:99], v[142:143], v[150:151], -v[98:99]
	v_mul_f64 v[142:143], v[142:143], v[100:101]
	v_add_f64 v[94:95], v[94:95], -v[98:99]
	v_fma_f64 v[142:143], v[144:145], v[150:151], v[142:143]
	v_add_f64 v[96:97], v[96:97], -v[142:143]
	ds_read2_b64 v[142:145], v1 offset0:24 offset1:25
	s_waitcnt lgkmcnt(0)
	v_mul_f64 v[98:99], v[144:145], v[100:101]
	v_fma_f64 v[98:99], v[142:143], v[150:151], -v[98:99]
	v_mul_f64 v[142:143], v[142:143], v[100:101]
	v_add_f64 v[90:91], v[90:91], -v[98:99]
	v_fma_f64 v[142:143], v[144:145], v[150:151], v[142:143]
	v_add_f64 v[92:93], v[92:93], -v[142:143]
	;; [unrolled: 8-line block ×23, first 2 shown]
	ds_read2_b64 v[142:145], v1 offset0:68 offset1:69
	s_waitcnt lgkmcnt(0)
	v_mul_f64 v[98:99], v[144:145], v[100:101]
	v_fma_f64 v[98:99], v[142:143], v[150:151], -v[98:99]
	v_mul_f64 v[142:143], v[142:143], v[100:101]
	v_add_f64 v[2:3], v[2:3], -v[98:99]
	v_fma_f64 v[142:143], v[144:145], v[150:151], v[142:143]
	v_mov_b32_e32 v98, v150
	v_mov_b32_e32 v99, v151
	v_add_f64 v[4:5], v[4:5], -v[142:143]
.LBB68_230:
	s_or_b32 exec_lo, exec_lo, s0
	v_lshl_add_u32 v142, v156, 4, v1
	s_barrier
	buffer_gl0_inv
	v_mov_b32_e32 v150, 11
	ds_write2_b64 v142, v[94:95], v[96:97] offset1:1
	s_waitcnt lgkmcnt(0)
	s_barrier
	buffer_gl0_inv
	ds_read2_b64 v[142:145], v1 offset0:22 offset1:23
	s_cmp_lt_i32 s18, 13
	s_cbranch_scc1 .LBB68_233
; %bb.231:
	v_add3_u32 v151, v152, 0, 0xc0
	v_mov_b32_e32 v150, 11
	s_mov_b32 s1, 12
	s_inst_prefetch 0x1
	.p2align	6
.LBB68_232:                             ; =>This Inner Loop Header: Depth=1
	s_waitcnt lgkmcnt(0)
	v_cmp_gt_f64_e32 vcc_lo, 0, v[144:145]
	v_cmp_gt_f64_e64 s0, 0, v[142:143]
	ds_read2_b64 v[157:160], v151 offset1:1
	v_xor_b32_e32 v162, 0x80000000, v143
	v_xor_b32_e32 v164, 0x80000000, v145
	v_mov_b32_e32 v161, v142
	v_mov_b32_e32 v163, v144
	v_add_nc_u32_e32 v151, 16, v151
	s_waitcnt lgkmcnt(0)
	v_xor_b32_e32 v166, 0x80000000, v160
	v_cndmask_b32_e64 v162, v143, v162, s0
	v_cndmask_b32_e32 v164, v145, v164, vcc_lo
	v_cmp_gt_f64_e32 vcc_lo, 0, v[159:160]
	v_cmp_gt_f64_e64 s0, 0, v[157:158]
	v_mov_b32_e32 v165, v159
	v_add_f64 v[161:162], v[161:162], v[163:164]
	v_xor_b32_e32 v164, 0x80000000, v158
	v_mov_b32_e32 v163, v157
	v_cndmask_b32_e32 v166, v160, v166, vcc_lo
	v_cndmask_b32_e64 v164, v158, v164, s0
	v_add_f64 v[163:164], v[163:164], v[165:166]
	v_cmp_lt_f64_e32 vcc_lo, v[161:162], v[163:164]
	v_cndmask_b32_e32 v143, v143, v158, vcc_lo
	v_cndmask_b32_e32 v142, v142, v157, vcc_lo
	;; [unrolled: 1-line block ×4, first 2 shown]
	v_cndmask_b32_e64 v150, v150, s1, vcc_lo
	s_add_i32 s1, s1, 1
	s_cmp_lg_u32 s18, s1
	s_cbranch_scc1 .LBB68_232
.LBB68_233:
	s_inst_prefetch 0x2
	s_waitcnt lgkmcnt(0)
	v_cmp_eq_f64_e32 vcc_lo, 0, v[142:143]
	v_cmp_eq_f64_e64 s0, 0, v[144:145]
	s_and_b32 s0, vcc_lo, s0
	s_and_saveexec_b32 s1, s0
	s_xor_b32 s0, exec_lo, s1
; %bb.234:
	v_cmp_ne_u32_e32 vcc_lo, 0, v155
	v_cndmask_b32_e32 v155, 12, v155, vcc_lo
; %bb.235:
	s_andn2_saveexec_b32 s0, s0
	s_cbranch_execz .LBB68_241
; %bb.236:
	v_cmp_ngt_f64_e64 s1, |v[142:143]|, |v[144:145]|
	s_and_saveexec_b32 s2, s1
	s_xor_b32 s1, exec_lo, s2
	s_cbranch_execz .LBB68_238
; %bb.237:
	v_div_scale_f64 v[157:158], null, v[144:145], v[144:145], v[142:143]
	v_div_scale_f64 v[163:164], vcc_lo, v[142:143], v[144:145], v[142:143]
	v_rcp_f64_e32 v[159:160], v[157:158]
	v_fma_f64 v[161:162], -v[157:158], v[159:160], 1.0
	v_fma_f64 v[159:160], v[159:160], v[161:162], v[159:160]
	v_fma_f64 v[161:162], -v[157:158], v[159:160], 1.0
	v_fma_f64 v[159:160], v[159:160], v[161:162], v[159:160]
	v_mul_f64 v[161:162], v[163:164], v[159:160]
	v_fma_f64 v[157:158], -v[157:158], v[161:162], v[163:164]
	v_div_fmas_f64 v[157:158], v[157:158], v[159:160], v[161:162]
	v_div_fixup_f64 v[157:158], v[157:158], v[144:145], v[142:143]
	v_fma_f64 v[142:143], v[142:143], v[157:158], v[144:145]
	v_div_scale_f64 v[144:145], null, v[142:143], v[142:143], 1.0
	v_rcp_f64_e32 v[159:160], v[144:145]
	v_fma_f64 v[161:162], -v[144:145], v[159:160], 1.0
	v_fma_f64 v[159:160], v[159:160], v[161:162], v[159:160]
	v_fma_f64 v[161:162], -v[144:145], v[159:160], 1.0
	v_fma_f64 v[159:160], v[159:160], v[161:162], v[159:160]
	v_div_scale_f64 v[161:162], vcc_lo, 1.0, v[142:143], 1.0
	v_mul_f64 v[163:164], v[161:162], v[159:160]
	v_fma_f64 v[144:145], -v[144:145], v[163:164], v[161:162]
	v_div_fmas_f64 v[144:145], v[144:145], v[159:160], v[163:164]
	v_div_fixup_f64 v[144:145], v[144:145], v[142:143], 1.0
	v_mul_f64 v[142:143], v[157:158], v[144:145]
	v_xor_b32_e32 v145, 0x80000000, v145
.LBB68_238:
	s_andn2_saveexec_b32 s1, s1
	s_cbranch_execz .LBB68_240
; %bb.239:
	v_div_scale_f64 v[157:158], null, v[142:143], v[142:143], v[144:145]
	v_div_scale_f64 v[163:164], vcc_lo, v[144:145], v[142:143], v[144:145]
	v_rcp_f64_e32 v[159:160], v[157:158]
	v_fma_f64 v[161:162], -v[157:158], v[159:160], 1.0
	v_fma_f64 v[159:160], v[159:160], v[161:162], v[159:160]
	v_fma_f64 v[161:162], -v[157:158], v[159:160], 1.0
	v_fma_f64 v[159:160], v[159:160], v[161:162], v[159:160]
	v_mul_f64 v[161:162], v[163:164], v[159:160]
	v_fma_f64 v[157:158], -v[157:158], v[161:162], v[163:164]
	v_div_fmas_f64 v[157:158], v[157:158], v[159:160], v[161:162]
	v_div_fixup_f64 v[157:158], v[157:158], v[142:143], v[144:145]
	v_fma_f64 v[142:143], v[144:145], v[157:158], v[142:143]
	v_div_scale_f64 v[144:145], null, v[142:143], v[142:143], 1.0
	v_rcp_f64_e32 v[159:160], v[144:145]
	v_fma_f64 v[161:162], -v[144:145], v[159:160], 1.0
	v_fma_f64 v[159:160], v[159:160], v[161:162], v[159:160]
	v_fma_f64 v[161:162], -v[144:145], v[159:160], 1.0
	v_fma_f64 v[159:160], v[159:160], v[161:162], v[159:160]
	v_div_scale_f64 v[161:162], vcc_lo, 1.0, v[142:143], 1.0
	v_mul_f64 v[163:164], v[161:162], v[159:160]
	v_fma_f64 v[144:145], -v[144:145], v[163:164], v[161:162]
	v_div_fmas_f64 v[144:145], v[144:145], v[159:160], v[163:164]
	v_div_fixup_f64 v[142:143], v[144:145], v[142:143], 1.0
	v_mul_f64 v[144:145], v[157:158], -v[142:143]
.LBB68_240:
	s_or_b32 exec_lo, exec_lo, s1
.LBB68_241:
	s_or_b32 exec_lo, exec_lo, s0
	s_mov_b32 s0, exec_lo
	v_cmpx_ne_u32_e64 v156, v150
	s_xor_b32 s0, exec_lo, s0
	s_cbranch_execz .LBB68_247
; %bb.242:
	s_mov_b32 s1, exec_lo
	v_cmpx_eq_u32_e32 11, v156
	s_cbranch_execz .LBB68_246
; %bb.243:
	v_cmp_ne_u32_e32 vcc_lo, 11, v150
	s_xor_b32 s2, s16, -1
	s_and_b32 s3, s2, vcc_lo
	s_and_saveexec_b32 s2, s3
	s_cbranch_execz .LBB68_245
; %bb.244:
	v_ashrrev_i32_e32 v151, 31, v150
	v_lshlrev_b64 v[156:157], 2, v[150:151]
	v_add_co_u32 v156, vcc_lo, v148, v156
	v_add_co_ci_u32_e64 v157, null, v149, v157, vcc_lo
	s_clause 0x1
	global_load_dword v0, v[156:157], off
	global_load_dword v151, v[148:149], off offset:44
	s_waitcnt vmcnt(1)
	global_store_dword v[148:149], v0, off offset:44
	s_waitcnt vmcnt(0)
	global_store_dword v[156:157], v151, off
.LBB68_245:
	s_or_b32 exec_lo, exec_lo, s2
	v_mov_b32_e32 v156, v150
	v_mov_b32_e32 v0, v150
.LBB68_246:
	s_or_b32 exec_lo, exec_lo, s1
.LBB68_247:
	s_andn2_saveexec_b32 s0, s0
	s_cbranch_execz .LBB68_249
; %bb.248:
	v_mov_b32_e32 v156, 11
	ds_write2_b64 v1, v[90:91], v[92:93] offset0:24 offset1:25
	ds_write2_b64 v1, v[86:87], v[88:89] offset0:26 offset1:27
	;; [unrolled: 1-line block ×23, first 2 shown]
.LBB68_249:
	s_or_b32 exec_lo, exec_lo, s0
	s_mov_b32 s0, exec_lo
	s_waitcnt lgkmcnt(0)
	s_waitcnt_vscnt null, 0x0
	s_barrier
	buffer_gl0_inv
	v_cmpx_lt_i32_e32 11, v156
	s_cbranch_execz .LBB68_251
; %bb.250:
	v_mul_f64 v[150:151], v[144:145], v[96:97]
	v_mul_f64 v[96:97], v[142:143], v[96:97]
	v_fma_f64 v[150:151], v[142:143], v[94:95], -v[150:151]
	v_fma_f64 v[96:97], v[144:145], v[94:95], v[96:97]
	ds_read2_b64 v[142:145], v1 offset0:24 offset1:25
	s_waitcnt lgkmcnt(0)
	v_mul_f64 v[94:95], v[144:145], v[96:97]
	v_fma_f64 v[94:95], v[142:143], v[150:151], -v[94:95]
	v_mul_f64 v[142:143], v[142:143], v[96:97]
	v_add_f64 v[90:91], v[90:91], -v[94:95]
	v_fma_f64 v[142:143], v[144:145], v[150:151], v[142:143]
	v_add_f64 v[92:93], v[92:93], -v[142:143]
	ds_read2_b64 v[142:145], v1 offset0:26 offset1:27
	s_waitcnt lgkmcnt(0)
	v_mul_f64 v[94:95], v[144:145], v[96:97]
	v_fma_f64 v[94:95], v[142:143], v[150:151], -v[94:95]
	v_mul_f64 v[142:143], v[142:143], v[96:97]
	v_add_f64 v[86:87], v[86:87], -v[94:95]
	v_fma_f64 v[142:143], v[144:145], v[150:151], v[142:143]
	v_add_f64 v[88:89], v[88:89], -v[142:143]
	;; [unrolled: 8-line block ×22, first 2 shown]
	ds_read2_b64 v[142:145], v1 offset0:68 offset1:69
	s_waitcnt lgkmcnt(0)
	v_mul_f64 v[94:95], v[144:145], v[96:97]
	v_fma_f64 v[94:95], v[142:143], v[150:151], -v[94:95]
	v_mul_f64 v[142:143], v[142:143], v[96:97]
	v_add_f64 v[2:3], v[2:3], -v[94:95]
	v_fma_f64 v[142:143], v[144:145], v[150:151], v[142:143]
	v_mov_b32_e32 v94, v150
	v_mov_b32_e32 v95, v151
	v_add_f64 v[4:5], v[4:5], -v[142:143]
.LBB68_251:
	s_or_b32 exec_lo, exec_lo, s0
	v_lshl_add_u32 v142, v156, 4, v1
	s_barrier
	buffer_gl0_inv
	v_mov_b32_e32 v150, 12
	ds_write2_b64 v142, v[90:91], v[92:93] offset1:1
	s_waitcnt lgkmcnt(0)
	s_barrier
	buffer_gl0_inv
	ds_read2_b64 v[142:145], v1 offset0:24 offset1:25
	s_cmp_lt_i32 s18, 14
	s_cbranch_scc1 .LBB68_254
; %bb.252:
	v_add3_u32 v151, v152, 0, 0xd0
	v_mov_b32_e32 v150, 12
	s_mov_b32 s1, 13
	s_inst_prefetch 0x1
	.p2align	6
.LBB68_253:                             ; =>This Inner Loop Header: Depth=1
	s_waitcnt lgkmcnt(0)
	v_cmp_gt_f64_e32 vcc_lo, 0, v[144:145]
	v_cmp_gt_f64_e64 s0, 0, v[142:143]
	ds_read2_b64 v[157:160], v151 offset1:1
	v_xor_b32_e32 v162, 0x80000000, v143
	v_xor_b32_e32 v164, 0x80000000, v145
	v_mov_b32_e32 v161, v142
	v_mov_b32_e32 v163, v144
	v_add_nc_u32_e32 v151, 16, v151
	s_waitcnt lgkmcnt(0)
	v_xor_b32_e32 v166, 0x80000000, v160
	v_cndmask_b32_e64 v162, v143, v162, s0
	v_cndmask_b32_e32 v164, v145, v164, vcc_lo
	v_cmp_gt_f64_e32 vcc_lo, 0, v[159:160]
	v_cmp_gt_f64_e64 s0, 0, v[157:158]
	v_mov_b32_e32 v165, v159
	v_add_f64 v[161:162], v[161:162], v[163:164]
	v_xor_b32_e32 v164, 0x80000000, v158
	v_mov_b32_e32 v163, v157
	v_cndmask_b32_e32 v166, v160, v166, vcc_lo
	v_cndmask_b32_e64 v164, v158, v164, s0
	v_add_f64 v[163:164], v[163:164], v[165:166]
	v_cmp_lt_f64_e32 vcc_lo, v[161:162], v[163:164]
	v_cndmask_b32_e32 v143, v143, v158, vcc_lo
	v_cndmask_b32_e32 v142, v142, v157, vcc_lo
	;; [unrolled: 1-line block ×4, first 2 shown]
	v_cndmask_b32_e64 v150, v150, s1, vcc_lo
	s_add_i32 s1, s1, 1
	s_cmp_lg_u32 s18, s1
	s_cbranch_scc1 .LBB68_253
.LBB68_254:
	s_inst_prefetch 0x2
	s_waitcnt lgkmcnt(0)
	v_cmp_eq_f64_e32 vcc_lo, 0, v[142:143]
	v_cmp_eq_f64_e64 s0, 0, v[144:145]
	s_and_b32 s0, vcc_lo, s0
	s_and_saveexec_b32 s1, s0
	s_xor_b32 s0, exec_lo, s1
; %bb.255:
	v_cmp_ne_u32_e32 vcc_lo, 0, v155
	v_cndmask_b32_e32 v155, 13, v155, vcc_lo
; %bb.256:
	s_andn2_saveexec_b32 s0, s0
	s_cbranch_execz .LBB68_262
; %bb.257:
	v_cmp_ngt_f64_e64 s1, |v[142:143]|, |v[144:145]|
	s_and_saveexec_b32 s2, s1
	s_xor_b32 s1, exec_lo, s2
	s_cbranch_execz .LBB68_259
; %bb.258:
	v_div_scale_f64 v[157:158], null, v[144:145], v[144:145], v[142:143]
	v_div_scale_f64 v[163:164], vcc_lo, v[142:143], v[144:145], v[142:143]
	v_rcp_f64_e32 v[159:160], v[157:158]
	v_fma_f64 v[161:162], -v[157:158], v[159:160], 1.0
	v_fma_f64 v[159:160], v[159:160], v[161:162], v[159:160]
	v_fma_f64 v[161:162], -v[157:158], v[159:160], 1.0
	v_fma_f64 v[159:160], v[159:160], v[161:162], v[159:160]
	v_mul_f64 v[161:162], v[163:164], v[159:160]
	v_fma_f64 v[157:158], -v[157:158], v[161:162], v[163:164]
	v_div_fmas_f64 v[157:158], v[157:158], v[159:160], v[161:162]
	v_div_fixup_f64 v[157:158], v[157:158], v[144:145], v[142:143]
	v_fma_f64 v[142:143], v[142:143], v[157:158], v[144:145]
	v_div_scale_f64 v[144:145], null, v[142:143], v[142:143], 1.0
	v_rcp_f64_e32 v[159:160], v[144:145]
	v_fma_f64 v[161:162], -v[144:145], v[159:160], 1.0
	v_fma_f64 v[159:160], v[159:160], v[161:162], v[159:160]
	v_fma_f64 v[161:162], -v[144:145], v[159:160], 1.0
	v_fma_f64 v[159:160], v[159:160], v[161:162], v[159:160]
	v_div_scale_f64 v[161:162], vcc_lo, 1.0, v[142:143], 1.0
	v_mul_f64 v[163:164], v[161:162], v[159:160]
	v_fma_f64 v[144:145], -v[144:145], v[163:164], v[161:162]
	v_div_fmas_f64 v[144:145], v[144:145], v[159:160], v[163:164]
	v_div_fixup_f64 v[144:145], v[144:145], v[142:143], 1.0
	v_mul_f64 v[142:143], v[157:158], v[144:145]
	v_xor_b32_e32 v145, 0x80000000, v145
.LBB68_259:
	s_andn2_saveexec_b32 s1, s1
	s_cbranch_execz .LBB68_261
; %bb.260:
	v_div_scale_f64 v[157:158], null, v[142:143], v[142:143], v[144:145]
	v_div_scale_f64 v[163:164], vcc_lo, v[144:145], v[142:143], v[144:145]
	v_rcp_f64_e32 v[159:160], v[157:158]
	v_fma_f64 v[161:162], -v[157:158], v[159:160], 1.0
	v_fma_f64 v[159:160], v[159:160], v[161:162], v[159:160]
	v_fma_f64 v[161:162], -v[157:158], v[159:160], 1.0
	v_fma_f64 v[159:160], v[159:160], v[161:162], v[159:160]
	v_mul_f64 v[161:162], v[163:164], v[159:160]
	v_fma_f64 v[157:158], -v[157:158], v[161:162], v[163:164]
	v_div_fmas_f64 v[157:158], v[157:158], v[159:160], v[161:162]
	v_div_fixup_f64 v[157:158], v[157:158], v[142:143], v[144:145]
	v_fma_f64 v[142:143], v[144:145], v[157:158], v[142:143]
	v_div_scale_f64 v[144:145], null, v[142:143], v[142:143], 1.0
	v_rcp_f64_e32 v[159:160], v[144:145]
	v_fma_f64 v[161:162], -v[144:145], v[159:160], 1.0
	v_fma_f64 v[159:160], v[159:160], v[161:162], v[159:160]
	v_fma_f64 v[161:162], -v[144:145], v[159:160], 1.0
	v_fma_f64 v[159:160], v[159:160], v[161:162], v[159:160]
	v_div_scale_f64 v[161:162], vcc_lo, 1.0, v[142:143], 1.0
	v_mul_f64 v[163:164], v[161:162], v[159:160]
	v_fma_f64 v[144:145], -v[144:145], v[163:164], v[161:162]
	v_div_fmas_f64 v[144:145], v[144:145], v[159:160], v[163:164]
	v_div_fixup_f64 v[142:143], v[144:145], v[142:143], 1.0
	v_mul_f64 v[144:145], v[157:158], -v[142:143]
.LBB68_261:
	s_or_b32 exec_lo, exec_lo, s1
.LBB68_262:
	s_or_b32 exec_lo, exec_lo, s0
	s_mov_b32 s0, exec_lo
	v_cmpx_ne_u32_e64 v156, v150
	s_xor_b32 s0, exec_lo, s0
	s_cbranch_execz .LBB68_268
; %bb.263:
	s_mov_b32 s1, exec_lo
	v_cmpx_eq_u32_e32 12, v156
	s_cbranch_execz .LBB68_267
; %bb.264:
	v_cmp_ne_u32_e32 vcc_lo, 12, v150
	s_xor_b32 s2, s16, -1
	s_and_b32 s3, s2, vcc_lo
	s_and_saveexec_b32 s2, s3
	s_cbranch_execz .LBB68_266
; %bb.265:
	v_ashrrev_i32_e32 v151, 31, v150
	v_lshlrev_b64 v[156:157], 2, v[150:151]
	v_add_co_u32 v156, vcc_lo, v148, v156
	v_add_co_ci_u32_e64 v157, null, v149, v157, vcc_lo
	s_clause 0x1
	global_load_dword v0, v[156:157], off
	global_load_dword v151, v[148:149], off offset:48
	s_waitcnt vmcnt(1)
	global_store_dword v[148:149], v0, off offset:48
	s_waitcnt vmcnt(0)
	global_store_dword v[156:157], v151, off
.LBB68_266:
	s_or_b32 exec_lo, exec_lo, s2
	v_mov_b32_e32 v156, v150
	v_mov_b32_e32 v0, v150
.LBB68_267:
	s_or_b32 exec_lo, exec_lo, s1
.LBB68_268:
	s_andn2_saveexec_b32 s0, s0
	s_cbranch_execz .LBB68_270
; %bb.269:
	v_mov_b32_e32 v156, 12
	ds_write2_b64 v1, v[86:87], v[88:89] offset0:26 offset1:27
	ds_write2_b64 v1, v[82:83], v[84:85] offset0:28 offset1:29
	;; [unrolled: 1-line block ×22, first 2 shown]
.LBB68_270:
	s_or_b32 exec_lo, exec_lo, s0
	s_mov_b32 s0, exec_lo
	s_waitcnt lgkmcnt(0)
	s_waitcnt_vscnt null, 0x0
	s_barrier
	buffer_gl0_inv
	v_cmpx_lt_i32_e32 12, v156
	s_cbranch_execz .LBB68_272
; %bb.271:
	v_mul_f64 v[150:151], v[144:145], v[92:93]
	v_mul_f64 v[92:93], v[142:143], v[92:93]
	v_fma_f64 v[150:151], v[142:143], v[90:91], -v[150:151]
	v_fma_f64 v[92:93], v[144:145], v[90:91], v[92:93]
	ds_read2_b64 v[142:145], v1 offset0:26 offset1:27
	s_waitcnt lgkmcnt(0)
	v_mul_f64 v[90:91], v[144:145], v[92:93]
	v_fma_f64 v[90:91], v[142:143], v[150:151], -v[90:91]
	v_mul_f64 v[142:143], v[142:143], v[92:93]
	v_add_f64 v[86:87], v[86:87], -v[90:91]
	v_fma_f64 v[142:143], v[144:145], v[150:151], v[142:143]
	v_add_f64 v[88:89], v[88:89], -v[142:143]
	ds_read2_b64 v[142:145], v1 offset0:28 offset1:29
	s_waitcnt lgkmcnt(0)
	v_mul_f64 v[90:91], v[144:145], v[92:93]
	v_fma_f64 v[90:91], v[142:143], v[150:151], -v[90:91]
	v_mul_f64 v[142:143], v[142:143], v[92:93]
	v_add_f64 v[82:83], v[82:83], -v[90:91]
	v_fma_f64 v[142:143], v[144:145], v[150:151], v[142:143]
	v_add_f64 v[84:85], v[84:85], -v[142:143]
	;; [unrolled: 8-line block ×21, first 2 shown]
	ds_read2_b64 v[142:145], v1 offset0:68 offset1:69
	s_waitcnt lgkmcnt(0)
	v_mul_f64 v[90:91], v[144:145], v[92:93]
	v_fma_f64 v[90:91], v[142:143], v[150:151], -v[90:91]
	v_mul_f64 v[142:143], v[142:143], v[92:93]
	v_add_f64 v[2:3], v[2:3], -v[90:91]
	v_fma_f64 v[142:143], v[144:145], v[150:151], v[142:143]
	v_mov_b32_e32 v90, v150
	v_mov_b32_e32 v91, v151
	v_add_f64 v[4:5], v[4:5], -v[142:143]
.LBB68_272:
	s_or_b32 exec_lo, exec_lo, s0
	v_lshl_add_u32 v142, v156, 4, v1
	s_barrier
	buffer_gl0_inv
	v_mov_b32_e32 v150, 13
	ds_write2_b64 v142, v[86:87], v[88:89] offset1:1
	s_waitcnt lgkmcnt(0)
	s_barrier
	buffer_gl0_inv
	ds_read2_b64 v[142:145], v1 offset0:26 offset1:27
	s_cmp_lt_i32 s18, 15
	s_cbranch_scc1 .LBB68_275
; %bb.273:
	v_add3_u32 v151, v152, 0, 0xe0
	v_mov_b32_e32 v150, 13
	s_mov_b32 s1, 14
	s_inst_prefetch 0x1
	.p2align	6
.LBB68_274:                             ; =>This Inner Loop Header: Depth=1
	s_waitcnt lgkmcnt(0)
	v_cmp_gt_f64_e32 vcc_lo, 0, v[144:145]
	v_cmp_gt_f64_e64 s0, 0, v[142:143]
	ds_read2_b64 v[157:160], v151 offset1:1
	v_xor_b32_e32 v162, 0x80000000, v143
	v_xor_b32_e32 v164, 0x80000000, v145
	v_mov_b32_e32 v161, v142
	v_mov_b32_e32 v163, v144
	v_add_nc_u32_e32 v151, 16, v151
	s_waitcnt lgkmcnt(0)
	v_xor_b32_e32 v166, 0x80000000, v160
	v_cndmask_b32_e64 v162, v143, v162, s0
	v_cndmask_b32_e32 v164, v145, v164, vcc_lo
	v_cmp_gt_f64_e32 vcc_lo, 0, v[159:160]
	v_cmp_gt_f64_e64 s0, 0, v[157:158]
	v_mov_b32_e32 v165, v159
	v_add_f64 v[161:162], v[161:162], v[163:164]
	v_xor_b32_e32 v164, 0x80000000, v158
	v_mov_b32_e32 v163, v157
	v_cndmask_b32_e32 v166, v160, v166, vcc_lo
	v_cndmask_b32_e64 v164, v158, v164, s0
	v_add_f64 v[163:164], v[163:164], v[165:166]
	v_cmp_lt_f64_e32 vcc_lo, v[161:162], v[163:164]
	v_cndmask_b32_e32 v143, v143, v158, vcc_lo
	v_cndmask_b32_e32 v142, v142, v157, vcc_lo
	v_cndmask_b32_e32 v145, v145, v160, vcc_lo
	v_cndmask_b32_e32 v144, v144, v159, vcc_lo
	v_cndmask_b32_e64 v150, v150, s1, vcc_lo
	s_add_i32 s1, s1, 1
	s_cmp_lg_u32 s18, s1
	s_cbranch_scc1 .LBB68_274
.LBB68_275:
	s_inst_prefetch 0x2
	s_waitcnt lgkmcnt(0)
	v_cmp_eq_f64_e32 vcc_lo, 0, v[142:143]
	v_cmp_eq_f64_e64 s0, 0, v[144:145]
	s_and_b32 s0, vcc_lo, s0
	s_and_saveexec_b32 s1, s0
	s_xor_b32 s0, exec_lo, s1
; %bb.276:
	v_cmp_ne_u32_e32 vcc_lo, 0, v155
	v_cndmask_b32_e32 v155, 14, v155, vcc_lo
; %bb.277:
	s_andn2_saveexec_b32 s0, s0
	s_cbranch_execz .LBB68_283
; %bb.278:
	v_cmp_ngt_f64_e64 s1, |v[142:143]|, |v[144:145]|
	s_and_saveexec_b32 s2, s1
	s_xor_b32 s1, exec_lo, s2
	s_cbranch_execz .LBB68_280
; %bb.279:
	v_div_scale_f64 v[157:158], null, v[144:145], v[144:145], v[142:143]
	v_div_scale_f64 v[163:164], vcc_lo, v[142:143], v[144:145], v[142:143]
	v_rcp_f64_e32 v[159:160], v[157:158]
	v_fma_f64 v[161:162], -v[157:158], v[159:160], 1.0
	v_fma_f64 v[159:160], v[159:160], v[161:162], v[159:160]
	v_fma_f64 v[161:162], -v[157:158], v[159:160], 1.0
	v_fma_f64 v[159:160], v[159:160], v[161:162], v[159:160]
	v_mul_f64 v[161:162], v[163:164], v[159:160]
	v_fma_f64 v[157:158], -v[157:158], v[161:162], v[163:164]
	v_div_fmas_f64 v[157:158], v[157:158], v[159:160], v[161:162]
	v_div_fixup_f64 v[157:158], v[157:158], v[144:145], v[142:143]
	v_fma_f64 v[142:143], v[142:143], v[157:158], v[144:145]
	v_div_scale_f64 v[144:145], null, v[142:143], v[142:143], 1.0
	v_rcp_f64_e32 v[159:160], v[144:145]
	v_fma_f64 v[161:162], -v[144:145], v[159:160], 1.0
	v_fma_f64 v[159:160], v[159:160], v[161:162], v[159:160]
	v_fma_f64 v[161:162], -v[144:145], v[159:160], 1.0
	v_fma_f64 v[159:160], v[159:160], v[161:162], v[159:160]
	v_div_scale_f64 v[161:162], vcc_lo, 1.0, v[142:143], 1.0
	v_mul_f64 v[163:164], v[161:162], v[159:160]
	v_fma_f64 v[144:145], -v[144:145], v[163:164], v[161:162]
	v_div_fmas_f64 v[144:145], v[144:145], v[159:160], v[163:164]
	v_div_fixup_f64 v[144:145], v[144:145], v[142:143], 1.0
	v_mul_f64 v[142:143], v[157:158], v[144:145]
	v_xor_b32_e32 v145, 0x80000000, v145
.LBB68_280:
	s_andn2_saveexec_b32 s1, s1
	s_cbranch_execz .LBB68_282
; %bb.281:
	v_div_scale_f64 v[157:158], null, v[142:143], v[142:143], v[144:145]
	v_div_scale_f64 v[163:164], vcc_lo, v[144:145], v[142:143], v[144:145]
	v_rcp_f64_e32 v[159:160], v[157:158]
	v_fma_f64 v[161:162], -v[157:158], v[159:160], 1.0
	v_fma_f64 v[159:160], v[159:160], v[161:162], v[159:160]
	v_fma_f64 v[161:162], -v[157:158], v[159:160], 1.0
	v_fma_f64 v[159:160], v[159:160], v[161:162], v[159:160]
	v_mul_f64 v[161:162], v[163:164], v[159:160]
	v_fma_f64 v[157:158], -v[157:158], v[161:162], v[163:164]
	v_div_fmas_f64 v[157:158], v[157:158], v[159:160], v[161:162]
	v_div_fixup_f64 v[157:158], v[157:158], v[142:143], v[144:145]
	v_fma_f64 v[142:143], v[144:145], v[157:158], v[142:143]
	v_div_scale_f64 v[144:145], null, v[142:143], v[142:143], 1.0
	v_rcp_f64_e32 v[159:160], v[144:145]
	v_fma_f64 v[161:162], -v[144:145], v[159:160], 1.0
	v_fma_f64 v[159:160], v[159:160], v[161:162], v[159:160]
	v_fma_f64 v[161:162], -v[144:145], v[159:160], 1.0
	v_fma_f64 v[159:160], v[159:160], v[161:162], v[159:160]
	v_div_scale_f64 v[161:162], vcc_lo, 1.0, v[142:143], 1.0
	v_mul_f64 v[163:164], v[161:162], v[159:160]
	v_fma_f64 v[144:145], -v[144:145], v[163:164], v[161:162]
	v_div_fmas_f64 v[144:145], v[144:145], v[159:160], v[163:164]
	v_div_fixup_f64 v[142:143], v[144:145], v[142:143], 1.0
	v_mul_f64 v[144:145], v[157:158], -v[142:143]
.LBB68_282:
	s_or_b32 exec_lo, exec_lo, s1
.LBB68_283:
	s_or_b32 exec_lo, exec_lo, s0
	s_mov_b32 s0, exec_lo
	v_cmpx_ne_u32_e64 v156, v150
	s_xor_b32 s0, exec_lo, s0
	s_cbranch_execz .LBB68_289
; %bb.284:
	s_mov_b32 s1, exec_lo
	v_cmpx_eq_u32_e32 13, v156
	s_cbranch_execz .LBB68_288
; %bb.285:
	v_cmp_ne_u32_e32 vcc_lo, 13, v150
	s_xor_b32 s2, s16, -1
	s_and_b32 s3, s2, vcc_lo
	s_and_saveexec_b32 s2, s3
	s_cbranch_execz .LBB68_287
; %bb.286:
	v_ashrrev_i32_e32 v151, 31, v150
	v_lshlrev_b64 v[156:157], 2, v[150:151]
	v_add_co_u32 v156, vcc_lo, v148, v156
	v_add_co_ci_u32_e64 v157, null, v149, v157, vcc_lo
	s_clause 0x1
	global_load_dword v0, v[156:157], off
	global_load_dword v151, v[148:149], off offset:52
	s_waitcnt vmcnt(1)
	global_store_dword v[148:149], v0, off offset:52
	s_waitcnt vmcnt(0)
	global_store_dword v[156:157], v151, off
.LBB68_287:
	s_or_b32 exec_lo, exec_lo, s2
	v_mov_b32_e32 v156, v150
	v_mov_b32_e32 v0, v150
.LBB68_288:
	s_or_b32 exec_lo, exec_lo, s1
.LBB68_289:
	s_andn2_saveexec_b32 s0, s0
	s_cbranch_execz .LBB68_291
; %bb.290:
	v_mov_b32_e32 v156, 13
	ds_write2_b64 v1, v[82:83], v[84:85] offset0:28 offset1:29
	ds_write2_b64 v1, v[78:79], v[80:81] offset0:30 offset1:31
	;; [unrolled: 1-line block ×21, first 2 shown]
.LBB68_291:
	s_or_b32 exec_lo, exec_lo, s0
	s_mov_b32 s0, exec_lo
	s_waitcnt lgkmcnt(0)
	s_waitcnt_vscnt null, 0x0
	s_barrier
	buffer_gl0_inv
	v_cmpx_lt_i32_e32 13, v156
	s_cbranch_execz .LBB68_293
; %bb.292:
	v_mul_f64 v[150:151], v[144:145], v[88:89]
	v_mul_f64 v[88:89], v[142:143], v[88:89]
	v_fma_f64 v[150:151], v[142:143], v[86:87], -v[150:151]
	v_fma_f64 v[88:89], v[144:145], v[86:87], v[88:89]
	ds_read2_b64 v[142:145], v1 offset0:28 offset1:29
	s_waitcnt lgkmcnt(0)
	v_mul_f64 v[86:87], v[144:145], v[88:89]
	v_fma_f64 v[86:87], v[142:143], v[150:151], -v[86:87]
	v_mul_f64 v[142:143], v[142:143], v[88:89]
	v_add_f64 v[82:83], v[82:83], -v[86:87]
	v_fma_f64 v[142:143], v[144:145], v[150:151], v[142:143]
	v_add_f64 v[84:85], v[84:85], -v[142:143]
	ds_read2_b64 v[142:145], v1 offset0:30 offset1:31
	s_waitcnt lgkmcnt(0)
	v_mul_f64 v[86:87], v[144:145], v[88:89]
	v_fma_f64 v[86:87], v[142:143], v[150:151], -v[86:87]
	v_mul_f64 v[142:143], v[142:143], v[88:89]
	v_add_f64 v[78:79], v[78:79], -v[86:87]
	v_fma_f64 v[142:143], v[144:145], v[150:151], v[142:143]
	v_add_f64 v[80:81], v[80:81], -v[142:143]
	;; [unrolled: 8-line block ×20, first 2 shown]
	ds_read2_b64 v[142:145], v1 offset0:68 offset1:69
	s_waitcnt lgkmcnt(0)
	v_mul_f64 v[86:87], v[144:145], v[88:89]
	v_fma_f64 v[86:87], v[142:143], v[150:151], -v[86:87]
	v_mul_f64 v[142:143], v[142:143], v[88:89]
	v_add_f64 v[2:3], v[2:3], -v[86:87]
	v_fma_f64 v[142:143], v[144:145], v[150:151], v[142:143]
	v_mov_b32_e32 v86, v150
	v_mov_b32_e32 v87, v151
	v_add_f64 v[4:5], v[4:5], -v[142:143]
.LBB68_293:
	s_or_b32 exec_lo, exec_lo, s0
	v_lshl_add_u32 v142, v156, 4, v1
	s_barrier
	buffer_gl0_inv
	v_mov_b32_e32 v150, 14
	ds_write2_b64 v142, v[82:83], v[84:85] offset1:1
	s_waitcnt lgkmcnt(0)
	s_barrier
	buffer_gl0_inv
	ds_read2_b64 v[142:145], v1 offset0:28 offset1:29
	s_cmp_lt_i32 s18, 16
	s_cbranch_scc1 .LBB68_296
; %bb.294:
	v_add3_u32 v151, v152, 0, 0xf0
	v_mov_b32_e32 v150, 14
	s_mov_b32 s1, 15
	s_inst_prefetch 0x1
	.p2align	6
.LBB68_295:                             ; =>This Inner Loop Header: Depth=1
	s_waitcnt lgkmcnt(0)
	v_cmp_gt_f64_e32 vcc_lo, 0, v[144:145]
	v_cmp_gt_f64_e64 s0, 0, v[142:143]
	ds_read2_b64 v[157:160], v151 offset1:1
	v_xor_b32_e32 v162, 0x80000000, v143
	v_xor_b32_e32 v164, 0x80000000, v145
	v_mov_b32_e32 v161, v142
	v_mov_b32_e32 v163, v144
	v_add_nc_u32_e32 v151, 16, v151
	s_waitcnt lgkmcnt(0)
	v_xor_b32_e32 v166, 0x80000000, v160
	v_cndmask_b32_e64 v162, v143, v162, s0
	v_cndmask_b32_e32 v164, v145, v164, vcc_lo
	v_cmp_gt_f64_e32 vcc_lo, 0, v[159:160]
	v_cmp_gt_f64_e64 s0, 0, v[157:158]
	v_mov_b32_e32 v165, v159
	v_add_f64 v[161:162], v[161:162], v[163:164]
	v_xor_b32_e32 v164, 0x80000000, v158
	v_mov_b32_e32 v163, v157
	v_cndmask_b32_e32 v166, v160, v166, vcc_lo
	v_cndmask_b32_e64 v164, v158, v164, s0
	v_add_f64 v[163:164], v[163:164], v[165:166]
	v_cmp_lt_f64_e32 vcc_lo, v[161:162], v[163:164]
	v_cndmask_b32_e32 v143, v143, v158, vcc_lo
	v_cndmask_b32_e32 v142, v142, v157, vcc_lo
	;; [unrolled: 1-line block ×4, first 2 shown]
	v_cndmask_b32_e64 v150, v150, s1, vcc_lo
	s_add_i32 s1, s1, 1
	s_cmp_lg_u32 s18, s1
	s_cbranch_scc1 .LBB68_295
.LBB68_296:
	s_inst_prefetch 0x2
	s_waitcnt lgkmcnt(0)
	v_cmp_eq_f64_e32 vcc_lo, 0, v[142:143]
	v_cmp_eq_f64_e64 s0, 0, v[144:145]
	s_and_b32 s0, vcc_lo, s0
	s_and_saveexec_b32 s1, s0
	s_xor_b32 s0, exec_lo, s1
; %bb.297:
	v_cmp_ne_u32_e32 vcc_lo, 0, v155
	v_cndmask_b32_e32 v155, 15, v155, vcc_lo
; %bb.298:
	s_andn2_saveexec_b32 s0, s0
	s_cbranch_execz .LBB68_304
; %bb.299:
	v_cmp_ngt_f64_e64 s1, |v[142:143]|, |v[144:145]|
	s_and_saveexec_b32 s2, s1
	s_xor_b32 s1, exec_lo, s2
	s_cbranch_execz .LBB68_301
; %bb.300:
	v_div_scale_f64 v[157:158], null, v[144:145], v[144:145], v[142:143]
	v_div_scale_f64 v[163:164], vcc_lo, v[142:143], v[144:145], v[142:143]
	v_rcp_f64_e32 v[159:160], v[157:158]
	v_fma_f64 v[161:162], -v[157:158], v[159:160], 1.0
	v_fma_f64 v[159:160], v[159:160], v[161:162], v[159:160]
	v_fma_f64 v[161:162], -v[157:158], v[159:160], 1.0
	v_fma_f64 v[159:160], v[159:160], v[161:162], v[159:160]
	v_mul_f64 v[161:162], v[163:164], v[159:160]
	v_fma_f64 v[157:158], -v[157:158], v[161:162], v[163:164]
	v_div_fmas_f64 v[157:158], v[157:158], v[159:160], v[161:162]
	v_div_fixup_f64 v[157:158], v[157:158], v[144:145], v[142:143]
	v_fma_f64 v[142:143], v[142:143], v[157:158], v[144:145]
	v_div_scale_f64 v[144:145], null, v[142:143], v[142:143], 1.0
	v_rcp_f64_e32 v[159:160], v[144:145]
	v_fma_f64 v[161:162], -v[144:145], v[159:160], 1.0
	v_fma_f64 v[159:160], v[159:160], v[161:162], v[159:160]
	v_fma_f64 v[161:162], -v[144:145], v[159:160], 1.0
	v_fma_f64 v[159:160], v[159:160], v[161:162], v[159:160]
	v_div_scale_f64 v[161:162], vcc_lo, 1.0, v[142:143], 1.0
	v_mul_f64 v[163:164], v[161:162], v[159:160]
	v_fma_f64 v[144:145], -v[144:145], v[163:164], v[161:162]
	v_div_fmas_f64 v[144:145], v[144:145], v[159:160], v[163:164]
	v_div_fixup_f64 v[144:145], v[144:145], v[142:143], 1.0
	v_mul_f64 v[142:143], v[157:158], v[144:145]
	v_xor_b32_e32 v145, 0x80000000, v145
.LBB68_301:
	s_andn2_saveexec_b32 s1, s1
	s_cbranch_execz .LBB68_303
; %bb.302:
	v_div_scale_f64 v[157:158], null, v[142:143], v[142:143], v[144:145]
	v_div_scale_f64 v[163:164], vcc_lo, v[144:145], v[142:143], v[144:145]
	v_rcp_f64_e32 v[159:160], v[157:158]
	v_fma_f64 v[161:162], -v[157:158], v[159:160], 1.0
	v_fma_f64 v[159:160], v[159:160], v[161:162], v[159:160]
	v_fma_f64 v[161:162], -v[157:158], v[159:160], 1.0
	v_fma_f64 v[159:160], v[159:160], v[161:162], v[159:160]
	v_mul_f64 v[161:162], v[163:164], v[159:160]
	v_fma_f64 v[157:158], -v[157:158], v[161:162], v[163:164]
	v_div_fmas_f64 v[157:158], v[157:158], v[159:160], v[161:162]
	v_div_fixup_f64 v[157:158], v[157:158], v[142:143], v[144:145]
	v_fma_f64 v[142:143], v[144:145], v[157:158], v[142:143]
	v_div_scale_f64 v[144:145], null, v[142:143], v[142:143], 1.0
	v_rcp_f64_e32 v[159:160], v[144:145]
	v_fma_f64 v[161:162], -v[144:145], v[159:160], 1.0
	v_fma_f64 v[159:160], v[159:160], v[161:162], v[159:160]
	v_fma_f64 v[161:162], -v[144:145], v[159:160], 1.0
	v_fma_f64 v[159:160], v[159:160], v[161:162], v[159:160]
	v_div_scale_f64 v[161:162], vcc_lo, 1.0, v[142:143], 1.0
	v_mul_f64 v[163:164], v[161:162], v[159:160]
	v_fma_f64 v[144:145], -v[144:145], v[163:164], v[161:162]
	v_div_fmas_f64 v[144:145], v[144:145], v[159:160], v[163:164]
	v_div_fixup_f64 v[142:143], v[144:145], v[142:143], 1.0
	v_mul_f64 v[144:145], v[157:158], -v[142:143]
.LBB68_303:
	s_or_b32 exec_lo, exec_lo, s1
.LBB68_304:
	s_or_b32 exec_lo, exec_lo, s0
	s_mov_b32 s0, exec_lo
	v_cmpx_ne_u32_e64 v156, v150
	s_xor_b32 s0, exec_lo, s0
	s_cbranch_execz .LBB68_310
; %bb.305:
	s_mov_b32 s1, exec_lo
	v_cmpx_eq_u32_e32 14, v156
	s_cbranch_execz .LBB68_309
; %bb.306:
	v_cmp_ne_u32_e32 vcc_lo, 14, v150
	s_xor_b32 s2, s16, -1
	s_and_b32 s3, s2, vcc_lo
	s_and_saveexec_b32 s2, s3
	s_cbranch_execz .LBB68_308
; %bb.307:
	v_ashrrev_i32_e32 v151, 31, v150
	v_lshlrev_b64 v[156:157], 2, v[150:151]
	v_add_co_u32 v156, vcc_lo, v148, v156
	v_add_co_ci_u32_e64 v157, null, v149, v157, vcc_lo
	s_clause 0x1
	global_load_dword v0, v[156:157], off
	global_load_dword v151, v[148:149], off offset:56
	s_waitcnt vmcnt(1)
	global_store_dword v[148:149], v0, off offset:56
	s_waitcnt vmcnt(0)
	global_store_dword v[156:157], v151, off
.LBB68_308:
	s_or_b32 exec_lo, exec_lo, s2
	v_mov_b32_e32 v156, v150
	v_mov_b32_e32 v0, v150
.LBB68_309:
	s_or_b32 exec_lo, exec_lo, s1
.LBB68_310:
	s_andn2_saveexec_b32 s0, s0
	s_cbranch_execz .LBB68_312
; %bb.311:
	v_mov_b32_e32 v156, 14
	ds_write2_b64 v1, v[78:79], v[80:81] offset0:30 offset1:31
	ds_write2_b64 v1, v[74:75], v[76:77] offset0:32 offset1:33
	;; [unrolled: 1-line block ×20, first 2 shown]
.LBB68_312:
	s_or_b32 exec_lo, exec_lo, s0
	s_mov_b32 s0, exec_lo
	s_waitcnt lgkmcnt(0)
	s_waitcnt_vscnt null, 0x0
	s_barrier
	buffer_gl0_inv
	v_cmpx_lt_i32_e32 14, v156
	s_cbranch_execz .LBB68_314
; %bb.313:
	v_mul_f64 v[150:151], v[144:145], v[84:85]
	v_mul_f64 v[84:85], v[142:143], v[84:85]
	v_fma_f64 v[150:151], v[142:143], v[82:83], -v[150:151]
	v_fma_f64 v[84:85], v[144:145], v[82:83], v[84:85]
	ds_read2_b64 v[142:145], v1 offset0:30 offset1:31
	s_waitcnt lgkmcnt(0)
	v_mul_f64 v[82:83], v[144:145], v[84:85]
	v_fma_f64 v[82:83], v[142:143], v[150:151], -v[82:83]
	v_mul_f64 v[142:143], v[142:143], v[84:85]
	v_add_f64 v[78:79], v[78:79], -v[82:83]
	v_fma_f64 v[142:143], v[144:145], v[150:151], v[142:143]
	v_add_f64 v[80:81], v[80:81], -v[142:143]
	ds_read2_b64 v[142:145], v1 offset0:32 offset1:33
	s_waitcnt lgkmcnt(0)
	v_mul_f64 v[82:83], v[144:145], v[84:85]
	v_fma_f64 v[82:83], v[142:143], v[150:151], -v[82:83]
	v_mul_f64 v[142:143], v[142:143], v[84:85]
	v_add_f64 v[74:75], v[74:75], -v[82:83]
	v_fma_f64 v[142:143], v[144:145], v[150:151], v[142:143]
	v_add_f64 v[76:77], v[76:77], -v[142:143]
	;; [unrolled: 8-line block ×19, first 2 shown]
	ds_read2_b64 v[142:145], v1 offset0:68 offset1:69
	s_waitcnt lgkmcnt(0)
	v_mul_f64 v[82:83], v[144:145], v[84:85]
	v_fma_f64 v[82:83], v[142:143], v[150:151], -v[82:83]
	v_mul_f64 v[142:143], v[142:143], v[84:85]
	v_add_f64 v[2:3], v[2:3], -v[82:83]
	v_fma_f64 v[142:143], v[144:145], v[150:151], v[142:143]
	v_mov_b32_e32 v82, v150
	v_mov_b32_e32 v83, v151
	v_add_f64 v[4:5], v[4:5], -v[142:143]
.LBB68_314:
	s_or_b32 exec_lo, exec_lo, s0
	v_lshl_add_u32 v142, v156, 4, v1
	s_barrier
	buffer_gl0_inv
	v_mov_b32_e32 v150, 15
	ds_write2_b64 v142, v[78:79], v[80:81] offset1:1
	s_waitcnt lgkmcnt(0)
	s_barrier
	buffer_gl0_inv
	ds_read2_b64 v[142:145], v1 offset0:30 offset1:31
	s_cmp_lt_i32 s18, 17
	s_cbranch_scc1 .LBB68_317
; %bb.315:
	v_add3_u32 v151, v152, 0, 0x100
	v_mov_b32_e32 v150, 15
	s_mov_b32 s1, 16
	s_inst_prefetch 0x1
	.p2align	6
.LBB68_316:                             ; =>This Inner Loop Header: Depth=1
	s_waitcnt lgkmcnt(0)
	v_cmp_gt_f64_e32 vcc_lo, 0, v[144:145]
	v_cmp_gt_f64_e64 s0, 0, v[142:143]
	ds_read2_b64 v[157:160], v151 offset1:1
	v_xor_b32_e32 v162, 0x80000000, v143
	v_xor_b32_e32 v164, 0x80000000, v145
	v_mov_b32_e32 v161, v142
	v_mov_b32_e32 v163, v144
	v_add_nc_u32_e32 v151, 16, v151
	s_waitcnt lgkmcnt(0)
	v_xor_b32_e32 v166, 0x80000000, v160
	v_cndmask_b32_e64 v162, v143, v162, s0
	v_cndmask_b32_e32 v164, v145, v164, vcc_lo
	v_cmp_gt_f64_e32 vcc_lo, 0, v[159:160]
	v_cmp_gt_f64_e64 s0, 0, v[157:158]
	v_mov_b32_e32 v165, v159
	v_add_f64 v[161:162], v[161:162], v[163:164]
	v_xor_b32_e32 v164, 0x80000000, v158
	v_mov_b32_e32 v163, v157
	v_cndmask_b32_e32 v166, v160, v166, vcc_lo
	v_cndmask_b32_e64 v164, v158, v164, s0
	v_add_f64 v[163:164], v[163:164], v[165:166]
	v_cmp_lt_f64_e32 vcc_lo, v[161:162], v[163:164]
	v_cndmask_b32_e32 v143, v143, v158, vcc_lo
	v_cndmask_b32_e32 v142, v142, v157, vcc_lo
	;; [unrolled: 1-line block ×4, first 2 shown]
	v_cndmask_b32_e64 v150, v150, s1, vcc_lo
	s_add_i32 s1, s1, 1
	s_cmp_lg_u32 s18, s1
	s_cbranch_scc1 .LBB68_316
.LBB68_317:
	s_inst_prefetch 0x2
	s_waitcnt lgkmcnt(0)
	v_cmp_eq_f64_e32 vcc_lo, 0, v[142:143]
	v_cmp_eq_f64_e64 s0, 0, v[144:145]
	s_and_b32 s0, vcc_lo, s0
	s_and_saveexec_b32 s1, s0
	s_xor_b32 s0, exec_lo, s1
; %bb.318:
	v_cmp_ne_u32_e32 vcc_lo, 0, v155
	v_cndmask_b32_e32 v155, 16, v155, vcc_lo
; %bb.319:
	s_andn2_saveexec_b32 s0, s0
	s_cbranch_execz .LBB68_325
; %bb.320:
	v_cmp_ngt_f64_e64 s1, |v[142:143]|, |v[144:145]|
	s_and_saveexec_b32 s2, s1
	s_xor_b32 s1, exec_lo, s2
	s_cbranch_execz .LBB68_322
; %bb.321:
	v_div_scale_f64 v[157:158], null, v[144:145], v[144:145], v[142:143]
	v_div_scale_f64 v[163:164], vcc_lo, v[142:143], v[144:145], v[142:143]
	v_rcp_f64_e32 v[159:160], v[157:158]
	v_fma_f64 v[161:162], -v[157:158], v[159:160], 1.0
	v_fma_f64 v[159:160], v[159:160], v[161:162], v[159:160]
	v_fma_f64 v[161:162], -v[157:158], v[159:160], 1.0
	v_fma_f64 v[159:160], v[159:160], v[161:162], v[159:160]
	v_mul_f64 v[161:162], v[163:164], v[159:160]
	v_fma_f64 v[157:158], -v[157:158], v[161:162], v[163:164]
	v_div_fmas_f64 v[157:158], v[157:158], v[159:160], v[161:162]
	v_div_fixup_f64 v[157:158], v[157:158], v[144:145], v[142:143]
	v_fma_f64 v[142:143], v[142:143], v[157:158], v[144:145]
	v_div_scale_f64 v[144:145], null, v[142:143], v[142:143], 1.0
	v_rcp_f64_e32 v[159:160], v[144:145]
	v_fma_f64 v[161:162], -v[144:145], v[159:160], 1.0
	v_fma_f64 v[159:160], v[159:160], v[161:162], v[159:160]
	v_fma_f64 v[161:162], -v[144:145], v[159:160], 1.0
	v_fma_f64 v[159:160], v[159:160], v[161:162], v[159:160]
	v_div_scale_f64 v[161:162], vcc_lo, 1.0, v[142:143], 1.0
	v_mul_f64 v[163:164], v[161:162], v[159:160]
	v_fma_f64 v[144:145], -v[144:145], v[163:164], v[161:162]
	v_div_fmas_f64 v[144:145], v[144:145], v[159:160], v[163:164]
	v_div_fixup_f64 v[144:145], v[144:145], v[142:143], 1.0
	v_mul_f64 v[142:143], v[157:158], v[144:145]
	v_xor_b32_e32 v145, 0x80000000, v145
.LBB68_322:
	s_andn2_saveexec_b32 s1, s1
	s_cbranch_execz .LBB68_324
; %bb.323:
	v_div_scale_f64 v[157:158], null, v[142:143], v[142:143], v[144:145]
	v_div_scale_f64 v[163:164], vcc_lo, v[144:145], v[142:143], v[144:145]
	v_rcp_f64_e32 v[159:160], v[157:158]
	v_fma_f64 v[161:162], -v[157:158], v[159:160], 1.0
	v_fma_f64 v[159:160], v[159:160], v[161:162], v[159:160]
	v_fma_f64 v[161:162], -v[157:158], v[159:160], 1.0
	v_fma_f64 v[159:160], v[159:160], v[161:162], v[159:160]
	v_mul_f64 v[161:162], v[163:164], v[159:160]
	v_fma_f64 v[157:158], -v[157:158], v[161:162], v[163:164]
	v_div_fmas_f64 v[157:158], v[157:158], v[159:160], v[161:162]
	v_div_fixup_f64 v[157:158], v[157:158], v[142:143], v[144:145]
	v_fma_f64 v[142:143], v[144:145], v[157:158], v[142:143]
	v_div_scale_f64 v[144:145], null, v[142:143], v[142:143], 1.0
	v_rcp_f64_e32 v[159:160], v[144:145]
	v_fma_f64 v[161:162], -v[144:145], v[159:160], 1.0
	v_fma_f64 v[159:160], v[159:160], v[161:162], v[159:160]
	v_fma_f64 v[161:162], -v[144:145], v[159:160], 1.0
	v_fma_f64 v[159:160], v[159:160], v[161:162], v[159:160]
	v_div_scale_f64 v[161:162], vcc_lo, 1.0, v[142:143], 1.0
	v_mul_f64 v[163:164], v[161:162], v[159:160]
	v_fma_f64 v[144:145], -v[144:145], v[163:164], v[161:162]
	v_div_fmas_f64 v[144:145], v[144:145], v[159:160], v[163:164]
	v_div_fixup_f64 v[142:143], v[144:145], v[142:143], 1.0
	v_mul_f64 v[144:145], v[157:158], -v[142:143]
.LBB68_324:
	s_or_b32 exec_lo, exec_lo, s1
.LBB68_325:
	s_or_b32 exec_lo, exec_lo, s0
	s_mov_b32 s0, exec_lo
	v_cmpx_ne_u32_e64 v156, v150
	s_xor_b32 s0, exec_lo, s0
	s_cbranch_execz .LBB68_331
; %bb.326:
	s_mov_b32 s1, exec_lo
	v_cmpx_eq_u32_e32 15, v156
	s_cbranch_execz .LBB68_330
; %bb.327:
	v_cmp_ne_u32_e32 vcc_lo, 15, v150
	s_xor_b32 s2, s16, -1
	s_and_b32 s3, s2, vcc_lo
	s_and_saveexec_b32 s2, s3
	s_cbranch_execz .LBB68_329
; %bb.328:
	v_ashrrev_i32_e32 v151, 31, v150
	v_lshlrev_b64 v[156:157], 2, v[150:151]
	v_add_co_u32 v156, vcc_lo, v148, v156
	v_add_co_ci_u32_e64 v157, null, v149, v157, vcc_lo
	s_clause 0x1
	global_load_dword v0, v[156:157], off
	global_load_dword v151, v[148:149], off offset:60
	s_waitcnt vmcnt(1)
	global_store_dword v[148:149], v0, off offset:60
	s_waitcnt vmcnt(0)
	global_store_dword v[156:157], v151, off
.LBB68_329:
	s_or_b32 exec_lo, exec_lo, s2
	v_mov_b32_e32 v156, v150
	v_mov_b32_e32 v0, v150
.LBB68_330:
	s_or_b32 exec_lo, exec_lo, s1
.LBB68_331:
	s_andn2_saveexec_b32 s0, s0
	s_cbranch_execz .LBB68_333
; %bb.332:
	v_mov_b32_e32 v156, 15
	ds_write2_b64 v1, v[74:75], v[76:77] offset0:32 offset1:33
	ds_write2_b64 v1, v[70:71], v[72:73] offset0:34 offset1:35
	;; [unrolled: 1-line block ×19, first 2 shown]
.LBB68_333:
	s_or_b32 exec_lo, exec_lo, s0
	s_mov_b32 s0, exec_lo
	s_waitcnt lgkmcnt(0)
	s_waitcnt_vscnt null, 0x0
	s_barrier
	buffer_gl0_inv
	v_cmpx_lt_i32_e32 15, v156
	s_cbranch_execz .LBB68_335
; %bb.334:
	v_mul_f64 v[150:151], v[144:145], v[80:81]
	v_mul_f64 v[80:81], v[142:143], v[80:81]
	v_fma_f64 v[150:151], v[142:143], v[78:79], -v[150:151]
	v_fma_f64 v[80:81], v[144:145], v[78:79], v[80:81]
	ds_read2_b64 v[142:145], v1 offset0:32 offset1:33
	s_waitcnt lgkmcnt(0)
	v_mul_f64 v[78:79], v[144:145], v[80:81]
	v_fma_f64 v[78:79], v[142:143], v[150:151], -v[78:79]
	v_mul_f64 v[142:143], v[142:143], v[80:81]
	v_add_f64 v[74:75], v[74:75], -v[78:79]
	v_fma_f64 v[142:143], v[144:145], v[150:151], v[142:143]
	v_add_f64 v[76:77], v[76:77], -v[142:143]
	ds_read2_b64 v[142:145], v1 offset0:34 offset1:35
	s_waitcnt lgkmcnt(0)
	v_mul_f64 v[78:79], v[144:145], v[80:81]
	v_fma_f64 v[78:79], v[142:143], v[150:151], -v[78:79]
	v_mul_f64 v[142:143], v[142:143], v[80:81]
	v_add_f64 v[70:71], v[70:71], -v[78:79]
	v_fma_f64 v[142:143], v[144:145], v[150:151], v[142:143]
	v_add_f64 v[72:73], v[72:73], -v[142:143]
	;; [unrolled: 8-line block ×18, first 2 shown]
	ds_read2_b64 v[142:145], v1 offset0:68 offset1:69
	s_waitcnt lgkmcnt(0)
	v_mul_f64 v[78:79], v[144:145], v[80:81]
	v_fma_f64 v[78:79], v[142:143], v[150:151], -v[78:79]
	v_mul_f64 v[142:143], v[142:143], v[80:81]
	v_add_f64 v[2:3], v[2:3], -v[78:79]
	v_fma_f64 v[142:143], v[144:145], v[150:151], v[142:143]
	v_mov_b32_e32 v78, v150
	v_mov_b32_e32 v79, v151
	v_add_f64 v[4:5], v[4:5], -v[142:143]
.LBB68_335:
	s_or_b32 exec_lo, exec_lo, s0
	v_lshl_add_u32 v142, v156, 4, v1
	s_barrier
	buffer_gl0_inv
	v_mov_b32_e32 v150, 16
	ds_write2_b64 v142, v[74:75], v[76:77] offset1:1
	s_waitcnt lgkmcnt(0)
	s_barrier
	buffer_gl0_inv
	ds_read2_b64 v[142:145], v1 offset0:32 offset1:33
	s_cmp_lt_i32 s18, 18
	s_cbranch_scc1 .LBB68_338
; %bb.336:
	v_add3_u32 v151, v152, 0, 0x110
	v_mov_b32_e32 v150, 16
	s_mov_b32 s1, 17
	s_inst_prefetch 0x1
	.p2align	6
.LBB68_337:                             ; =>This Inner Loop Header: Depth=1
	s_waitcnt lgkmcnt(0)
	v_cmp_gt_f64_e32 vcc_lo, 0, v[144:145]
	v_cmp_gt_f64_e64 s0, 0, v[142:143]
	ds_read2_b64 v[157:160], v151 offset1:1
	v_xor_b32_e32 v162, 0x80000000, v143
	v_xor_b32_e32 v164, 0x80000000, v145
	v_mov_b32_e32 v161, v142
	v_mov_b32_e32 v163, v144
	v_add_nc_u32_e32 v151, 16, v151
	s_waitcnt lgkmcnt(0)
	v_xor_b32_e32 v166, 0x80000000, v160
	v_cndmask_b32_e64 v162, v143, v162, s0
	v_cndmask_b32_e32 v164, v145, v164, vcc_lo
	v_cmp_gt_f64_e32 vcc_lo, 0, v[159:160]
	v_cmp_gt_f64_e64 s0, 0, v[157:158]
	v_mov_b32_e32 v165, v159
	v_add_f64 v[161:162], v[161:162], v[163:164]
	v_xor_b32_e32 v164, 0x80000000, v158
	v_mov_b32_e32 v163, v157
	v_cndmask_b32_e32 v166, v160, v166, vcc_lo
	v_cndmask_b32_e64 v164, v158, v164, s0
	v_add_f64 v[163:164], v[163:164], v[165:166]
	v_cmp_lt_f64_e32 vcc_lo, v[161:162], v[163:164]
	v_cndmask_b32_e32 v143, v143, v158, vcc_lo
	v_cndmask_b32_e32 v142, v142, v157, vcc_lo
	;; [unrolled: 1-line block ×4, first 2 shown]
	v_cndmask_b32_e64 v150, v150, s1, vcc_lo
	s_add_i32 s1, s1, 1
	s_cmp_lg_u32 s18, s1
	s_cbranch_scc1 .LBB68_337
.LBB68_338:
	s_inst_prefetch 0x2
	s_waitcnt lgkmcnt(0)
	v_cmp_eq_f64_e32 vcc_lo, 0, v[142:143]
	v_cmp_eq_f64_e64 s0, 0, v[144:145]
	s_and_b32 s0, vcc_lo, s0
	s_and_saveexec_b32 s1, s0
	s_xor_b32 s0, exec_lo, s1
; %bb.339:
	v_cmp_ne_u32_e32 vcc_lo, 0, v155
	v_cndmask_b32_e32 v155, 17, v155, vcc_lo
; %bb.340:
	s_andn2_saveexec_b32 s0, s0
	s_cbranch_execz .LBB68_346
; %bb.341:
	v_cmp_ngt_f64_e64 s1, |v[142:143]|, |v[144:145]|
	s_and_saveexec_b32 s2, s1
	s_xor_b32 s1, exec_lo, s2
	s_cbranch_execz .LBB68_343
; %bb.342:
	v_div_scale_f64 v[157:158], null, v[144:145], v[144:145], v[142:143]
	v_div_scale_f64 v[163:164], vcc_lo, v[142:143], v[144:145], v[142:143]
	v_rcp_f64_e32 v[159:160], v[157:158]
	v_fma_f64 v[161:162], -v[157:158], v[159:160], 1.0
	v_fma_f64 v[159:160], v[159:160], v[161:162], v[159:160]
	v_fma_f64 v[161:162], -v[157:158], v[159:160], 1.0
	v_fma_f64 v[159:160], v[159:160], v[161:162], v[159:160]
	v_mul_f64 v[161:162], v[163:164], v[159:160]
	v_fma_f64 v[157:158], -v[157:158], v[161:162], v[163:164]
	v_div_fmas_f64 v[157:158], v[157:158], v[159:160], v[161:162]
	v_div_fixup_f64 v[157:158], v[157:158], v[144:145], v[142:143]
	v_fma_f64 v[142:143], v[142:143], v[157:158], v[144:145]
	v_div_scale_f64 v[144:145], null, v[142:143], v[142:143], 1.0
	v_rcp_f64_e32 v[159:160], v[144:145]
	v_fma_f64 v[161:162], -v[144:145], v[159:160], 1.0
	v_fma_f64 v[159:160], v[159:160], v[161:162], v[159:160]
	v_fma_f64 v[161:162], -v[144:145], v[159:160], 1.0
	v_fma_f64 v[159:160], v[159:160], v[161:162], v[159:160]
	v_div_scale_f64 v[161:162], vcc_lo, 1.0, v[142:143], 1.0
	v_mul_f64 v[163:164], v[161:162], v[159:160]
	v_fma_f64 v[144:145], -v[144:145], v[163:164], v[161:162]
	v_div_fmas_f64 v[144:145], v[144:145], v[159:160], v[163:164]
	v_div_fixup_f64 v[144:145], v[144:145], v[142:143], 1.0
	v_mul_f64 v[142:143], v[157:158], v[144:145]
	v_xor_b32_e32 v145, 0x80000000, v145
.LBB68_343:
	s_andn2_saveexec_b32 s1, s1
	s_cbranch_execz .LBB68_345
; %bb.344:
	v_div_scale_f64 v[157:158], null, v[142:143], v[142:143], v[144:145]
	v_div_scale_f64 v[163:164], vcc_lo, v[144:145], v[142:143], v[144:145]
	v_rcp_f64_e32 v[159:160], v[157:158]
	v_fma_f64 v[161:162], -v[157:158], v[159:160], 1.0
	v_fma_f64 v[159:160], v[159:160], v[161:162], v[159:160]
	v_fma_f64 v[161:162], -v[157:158], v[159:160], 1.0
	v_fma_f64 v[159:160], v[159:160], v[161:162], v[159:160]
	v_mul_f64 v[161:162], v[163:164], v[159:160]
	v_fma_f64 v[157:158], -v[157:158], v[161:162], v[163:164]
	v_div_fmas_f64 v[157:158], v[157:158], v[159:160], v[161:162]
	v_div_fixup_f64 v[157:158], v[157:158], v[142:143], v[144:145]
	v_fma_f64 v[142:143], v[144:145], v[157:158], v[142:143]
	v_div_scale_f64 v[144:145], null, v[142:143], v[142:143], 1.0
	v_rcp_f64_e32 v[159:160], v[144:145]
	v_fma_f64 v[161:162], -v[144:145], v[159:160], 1.0
	v_fma_f64 v[159:160], v[159:160], v[161:162], v[159:160]
	v_fma_f64 v[161:162], -v[144:145], v[159:160], 1.0
	v_fma_f64 v[159:160], v[159:160], v[161:162], v[159:160]
	v_div_scale_f64 v[161:162], vcc_lo, 1.0, v[142:143], 1.0
	v_mul_f64 v[163:164], v[161:162], v[159:160]
	v_fma_f64 v[144:145], -v[144:145], v[163:164], v[161:162]
	v_div_fmas_f64 v[144:145], v[144:145], v[159:160], v[163:164]
	v_div_fixup_f64 v[142:143], v[144:145], v[142:143], 1.0
	v_mul_f64 v[144:145], v[157:158], -v[142:143]
.LBB68_345:
	s_or_b32 exec_lo, exec_lo, s1
.LBB68_346:
	s_or_b32 exec_lo, exec_lo, s0
	s_mov_b32 s0, exec_lo
	v_cmpx_ne_u32_e64 v156, v150
	s_xor_b32 s0, exec_lo, s0
	s_cbranch_execz .LBB68_352
; %bb.347:
	s_mov_b32 s1, exec_lo
	v_cmpx_eq_u32_e32 16, v156
	s_cbranch_execz .LBB68_351
; %bb.348:
	v_cmp_ne_u32_e32 vcc_lo, 16, v150
	s_xor_b32 s2, s16, -1
	s_and_b32 s3, s2, vcc_lo
	s_and_saveexec_b32 s2, s3
	s_cbranch_execz .LBB68_350
; %bb.349:
	v_ashrrev_i32_e32 v151, 31, v150
	v_lshlrev_b64 v[156:157], 2, v[150:151]
	v_add_co_u32 v156, vcc_lo, v148, v156
	v_add_co_ci_u32_e64 v157, null, v149, v157, vcc_lo
	s_clause 0x1
	global_load_dword v0, v[156:157], off
	global_load_dword v151, v[148:149], off offset:64
	s_waitcnt vmcnt(1)
	global_store_dword v[148:149], v0, off offset:64
	s_waitcnt vmcnt(0)
	global_store_dword v[156:157], v151, off
.LBB68_350:
	s_or_b32 exec_lo, exec_lo, s2
	v_mov_b32_e32 v156, v150
	v_mov_b32_e32 v0, v150
.LBB68_351:
	s_or_b32 exec_lo, exec_lo, s1
.LBB68_352:
	s_andn2_saveexec_b32 s0, s0
	s_cbranch_execz .LBB68_354
; %bb.353:
	v_mov_b32_e32 v156, 16
	ds_write2_b64 v1, v[70:71], v[72:73] offset0:34 offset1:35
	ds_write2_b64 v1, v[66:67], v[68:69] offset0:36 offset1:37
	;; [unrolled: 1-line block ×18, first 2 shown]
.LBB68_354:
	s_or_b32 exec_lo, exec_lo, s0
	s_mov_b32 s0, exec_lo
	s_waitcnt lgkmcnt(0)
	s_waitcnt_vscnt null, 0x0
	s_barrier
	buffer_gl0_inv
	v_cmpx_lt_i32_e32 16, v156
	s_cbranch_execz .LBB68_356
; %bb.355:
	v_mul_f64 v[150:151], v[144:145], v[76:77]
	v_mul_f64 v[76:77], v[142:143], v[76:77]
	v_fma_f64 v[150:151], v[142:143], v[74:75], -v[150:151]
	v_fma_f64 v[76:77], v[144:145], v[74:75], v[76:77]
	ds_read2_b64 v[142:145], v1 offset0:34 offset1:35
	s_waitcnt lgkmcnt(0)
	v_mul_f64 v[74:75], v[144:145], v[76:77]
	v_fma_f64 v[74:75], v[142:143], v[150:151], -v[74:75]
	v_mul_f64 v[142:143], v[142:143], v[76:77]
	v_add_f64 v[70:71], v[70:71], -v[74:75]
	v_fma_f64 v[142:143], v[144:145], v[150:151], v[142:143]
	v_add_f64 v[72:73], v[72:73], -v[142:143]
	ds_read2_b64 v[142:145], v1 offset0:36 offset1:37
	s_waitcnt lgkmcnt(0)
	v_mul_f64 v[74:75], v[144:145], v[76:77]
	v_fma_f64 v[74:75], v[142:143], v[150:151], -v[74:75]
	v_mul_f64 v[142:143], v[142:143], v[76:77]
	v_add_f64 v[66:67], v[66:67], -v[74:75]
	v_fma_f64 v[142:143], v[144:145], v[150:151], v[142:143]
	v_add_f64 v[68:69], v[68:69], -v[142:143]
	;; [unrolled: 8-line block ×17, first 2 shown]
	ds_read2_b64 v[142:145], v1 offset0:68 offset1:69
	s_waitcnt lgkmcnt(0)
	v_mul_f64 v[74:75], v[144:145], v[76:77]
	v_fma_f64 v[74:75], v[142:143], v[150:151], -v[74:75]
	v_mul_f64 v[142:143], v[142:143], v[76:77]
	v_add_f64 v[2:3], v[2:3], -v[74:75]
	v_fma_f64 v[142:143], v[144:145], v[150:151], v[142:143]
	v_mov_b32_e32 v74, v150
	v_mov_b32_e32 v75, v151
	v_add_f64 v[4:5], v[4:5], -v[142:143]
.LBB68_356:
	s_or_b32 exec_lo, exec_lo, s0
	v_lshl_add_u32 v142, v156, 4, v1
	s_barrier
	buffer_gl0_inv
	v_mov_b32_e32 v150, 17
	ds_write2_b64 v142, v[70:71], v[72:73] offset1:1
	s_waitcnt lgkmcnt(0)
	s_barrier
	buffer_gl0_inv
	ds_read2_b64 v[142:145], v1 offset0:34 offset1:35
	s_cmp_lt_i32 s18, 19
	s_cbranch_scc1 .LBB68_359
; %bb.357:
	v_add3_u32 v151, v152, 0, 0x120
	v_mov_b32_e32 v150, 17
	s_mov_b32 s1, 18
	s_inst_prefetch 0x1
	.p2align	6
.LBB68_358:                             ; =>This Inner Loop Header: Depth=1
	s_waitcnt lgkmcnt(0)
	v_cmp_gt_f64_e32 vcc_lo, 0, v[144:145]
	v_cmp_gt_f64_e64 s0, 0, v[142:143]
	ds_read2_b64 v[157:160], v151 offset1:1
	v_xor_b32_e32 v162, 0x80000000, v143
	v_xor_b32_e32 v164, 0x80000000, v145
	v_mov_b32_e32 v161, v142
	v_mov_b32_e32 v163, v144
	v_add_nc_u32_e32 v151, 16, v151
	s_waitcnt lgkmcnt(0)
	v_xor_b32_e32 v166, 0x80000000, v160
	v_cndmask_b32_e64 v162, v143, v162, s0
	v_cndmask_b32_e32 v164, v145, v164, vcc_lo
	v_cmp_gt_f64_e32 vcc_lo, 0, v[159:160]
	v_cmp_gt_f64_e64 s0, 0, v[157:158]
	v_mov_b32_e32 v165, v159
	v_add_f64 v[161:162], v[161:162], v[163:164]
	v_xor_b32_e32 v164, 0x80000000, v158
	v_mov_b32_e32 v163, v157
	v_cndmask_b32_e32 v166, v160, v166, vcc_lo
	v_cndmask_b32_e64 v164, v158, v164, s0
	v_add_f64 v[163:164], v[163:164], v[165:166]
	v_cmp_lt_f64_e32 vcc_lo, v[161:162], v[163:164]
	v_cndmask_b32_e32 v143, v143, v158, vcc_lo
	v_cndmask_b32_e32 v142, v142, v157, vcc_lo
	;; [unrolled: 1-line block ×4, first 2 shown]
	v_cndmask_b32_e64 v150, v150, s1, vcc_lo
	s_add_i32 s1, s1, 1
	s_cmp_lg_u32 s18, s1
	s_cbranch_scc1 .LBB68_358
.LBB68_359:
	s_inst_prefetch 0x2
	s_waitcnt lgkmcnt(0)
	v_cmp_eq_f64_e32 vcc_lo, 0, v[142:143]
	v_cmp_eq_f64_e64 s0, 0, v[144:145]
	s_and_b32 s0, vcc_lo, s0
	s_and_saveexec_b32 s1, s0
	s_xor_b32 s0, exec_lo, s1
; %bb.360:
	v_cmp_ne_u32_e32 vcc_lo, 0, v155
	v_cndmask_b32_e32 v155, 18, v155, vcc_lo
; %bb.361:
	s_andn2_saveexec_b32 s0, s0
	s_cbranch_execz .LBB68_367
; %bb.362:
	v_cmp_ngt_f64_e64 s1, |v[142:143]|, |v[144:145]|
	s_and_saveexec_b32 s2, s1
	s_xor_b32 s1, exec_lo, s2
	s_cbranch_execz .LBB68_364
; %bb.363:
	v_div_scale_f64 v[157:158], null, v[144:145], v[144:145], v[142:143]
	v_div_scale_f64 v[163:164], vcc_lo, v[142:143], v[144:145], v[142:143]
	v_rcp_f64_e32 v[159:160], v[157:158]
	v_fma_f64 v[161:162], -v[157:158], v[159:160], 1.0
	v_fma_f64 v[159:160], v[159:160], v[161:162], v[159:160]
	v_fma_f64 v[161:162], -v[157:158], v[159:160], 1.0
	v_fma_f64 v[159:160], v[159:160], v[161:162], v[159:160]
	v_mul_f64 v[161:162], v[163:164], v[159:160]
	v_fma_f64 v[157:158], -v[157:158], v[161:162], v[163:164]
	v_div_fmas_f64 v[157:158], v[157:158], v[159:160], v[161:162]
	v_div_fixup_f64 v[157:158], v[157:158], v[144:145], v[142:143]
	v_fma_f64 v[142:143], v[142:143], v[157:158], v[144:145]
	v_div_scale_f64 v[144:145], null, v[142:143], v[142:143], 1.0
	v_rcp_f64_e32 v[159:160], v[144:145]
	v_fma_f64 v[161:162], -v[144:145], v[159:160], 1.0
	v_fma_f64 v[159:160], v[159:160], v[161:162], v[159:160]
	v_fma_f64 v[161:162], -v[144:145], v[159:160], 1.0
	v_fma_f64 v[159:160], v[159:160], v[161:162], v[159:160]
	v_div_scale_f64 v[161:162], vcc_lo, 1.0, v[142:143], 1.0
	v_mul_f64 v[163:164], v[161:162], v[159:160]
	v_fma_f64 v[144:145], -v[144:145], v[163:164], v[161:162]
	v_div_fmas_f64 v[144:145], v[144:145], v[159:160], v[163:164]
	v_div_fixup_f64 v[144:145], v[144:145], v[142:143], 1.0
	v_mul_f64 v[142:143], v[157:158], v[144:145]
	v_xor_b32_e32 v145, 0x80000000, v145
.LBB68_364:
	s_andn2_saveexec_b32 s1, s1
	s_cbranch_execz .LBB68_366
; %bb.365:
	v_div_scale_f64 v[157:158], null, v[142:143], v[142:143], v[144:145]
	v_div_scale_f64 v[163:164], vcc_lo, v[144:145], v[142:143], v[144:145]
	v_rcp_f64_e32 v[159:160], v[157:158]
	v_fma_f64 v[161:162], -v[157:158], v[159:160], 1.0
	v_fma_f64 v[159:160], v[159:160], v[161:162], v[159:160]
	v_fma_f64 v[161:162], -v[157:158], v[159:160], 1.0
	v_fma_f64 v[159:160], v[159:160], v[161:162], v[159:160]
	v_mul_f64 v[161:162], v[163:164], v[159:160]
	v_fma_f64 v[157:158], -v[157:158], v[161:162], v[163:164]
	v_div_fmas_f64 v[157:158], v[157:158], v[159:160], v[161:162]
	v_div_fixup_f64 v[157:158], v[157:158], v[142:143], v[144:145]
	v_fma_f64 v[142:143], v[144:145], v[157:158], v[142:143]
	v_div_scale_f64 v[144:145], null, v[142:143], v[142:143], 1.0
	v_rcp_f64_e32 v[159:160], v[144:145]
	v_fma_f64 v[161:162], -v[144:145], v[159:160], 1.0
	v_fma_f64 v[159:160], v[159:160], v[161:162], v[159:160]
	v_fma_f64 v[161:162], -v[144:145], v[159:160], 1.0
	v_fma_f64 v[159:160], v[159:160], v[161:162], v[159:160]
	v_div_scale_f64 v[161:162], vcc_lo, 1.0, v[142:143], 1.0
	v_mul_f64 v[163:164], v[161:162], v[159:160]
	v_fma_f64 v[144:145], -v[144:145], v[163:164], v[161:162]
	v_div_fmas_f64 v[144:145], v[144:145], v[159:160], v[163:164]
	v_div_fixup_f64 v[142:143], v[144:145], v[142:143], 1.0
	v_mul_f64 v[144:145], v[157:158], -v[142:143]
.LBB68_366:
	s_or_b32 exec_lo, exec_lo, s1
.LBB68_367:
	s_or_b32 exec_lo, exec_lo, s0
	s_mov_b32 s0, exec_lo
	v_cmpx_ne_u32_e64 v156, v150
	s_xor_b32 s0, exec_lo, s0
	s_cbranch_execz .LBB68_373
; %bb.368:
	s_mov_b32 s1, exec_lo
	v_cmpx_eq_u32_e32 17, v156
	s_cbranch_execz .LBB68_372
; %bb.369:
	v_cmp_ne_u32_e32 vcc_lo, 17, v150
	s_xor_b32 s2, s16, -1
	s_and_b32 s3, s2, vcc_lo
	s_and_saveexec_b32 s2, s3
	s_cbranch_execz .LBB68_371
; %bb.370:
	v_ashrrev_i32_e32 v151, 31, v150
	v_lshlrev_b64 v[156:157], 2, v[150:151]
	v_add_co_u32 v156, vcc_lo, v148, v156
	v_add_co_ci_u32_e64 v157, null, v149, v157, vcc_lo
	s_clause 0x1
	global_load_dword v0, v[156:157], off
	global_load_dword v151, v[148:149], off offset:68
	s_waitcnt vmcnt(1)
	global_store_dword v[148:149], v0, off offset:68
	s_waitcnt vmcnt(0)
	global_store_dword v[156:157], v151, off
.LBB68_371:
	s_or_b32 exec_lo, exec_lo, s2
	v_mov_b32_e32 v156, v150
	v_mov_b32_e32 v0, v150
.LBB68_372:
	s_or_b32 exec_lo, exec_lo, s1
.LBB68_373:
	s_andn2_saveexec_b32 s0, s0
	s_cbranch_execz .LBB68_375
; %bb.374:
	v_mov_b32_e32 v156, 17
	ds_write2_b64 v1, v[66:67], v[68:69] offset0:36 offset1:37
	ds_write2_b64 v1, v[62:63], v[64:65] offset0:38 offset1:39
	;; [unrolled: 1-line block ×17, first 2 shown]
.LBB68_375:
	s_or_b32 exec_lo, exec_lo, s0
	s_mov_b32 s0, exec_lo
	s_waitcnt lgkmcnt(0)
	s_waitcnt_vscnt null, 0x0
	s_barrier
	buffer_gl0_inv
	v_cmpx_lt_i32_e32 17, v156
	s_cbranch_execz .LBB68_377
; %bb.376:
	v_mul_f64 v[150:151], v[144:145], v[72:73]
	v_mul_f64 v[72:73], v[142:143], v[72:73]
	v_fma_f64 v[150:151], v[142:143], v[70:71], -v[150:151]
	v_fma_f64 v[72:73], v[144:145], v[70:71], v[72:73]
	ds_read2_b64 v[142:145], v1 offset0:36 offset1:37
	s_waitcnt lgkmcnt(0)
	v_mul_f64 v[70:71], v[144:145], v[72:73]
	v_fma_f64 v[70:71], v[142:143], v[150:151], -v[70:71]
	v_mul_f64 v[142:143], v[142:143], v[72:73]
	v_add_f64 v[66:67], v[66:67], -v[70:71]
	v_fma_f64 v[142:143], v[144:145], v[150:151], v[142:143]
	v_add_f64 v[68:69], v[68:69], -v[142:143]
	ds_read2_b64 v[142:145], v1 offset0:38 offset1:39
	s_waitcnt lgkmcnt(0)
	v_mul_f64 v[70:71], v[144:145], v[72:73]
	v_fma_f64 v[70:71], v[142:143], v[150:151], -v[70:71]
	v_mul_f64 v[142:143], v[142:143], v[72:73]
	v_add_f64 v[62:63], v[62:63], -v[70:71]
	v_fma_f64 v[142:143], v[144:145], v[150:151], v[142:143]
	v_add_f64 v[64:65], v[64:65], -v[142:143]
	;; [unrolled: 8-line block ×16, first 2 shown]
	ds_read2_b64 v[142:145], v1 offset0:68 offset1:69
	s_waitcnt lgkmcnt(0)
	v_mul_f64 v[70:71], v[144:145], v[72:73]
	v_fma_f64 v[70:71], v[142:143], v[150:151], -v[70:71]
	v_mul_f64 v[142:143], v[142:143], v[72:73]
	v_add_f64 v[2:3], v[2:3], -v[70:71]
	v_fma_f64 v[142:143], v[144:145], v[150:151], v[142:143]
	v_mov_b32_e32 v70, v150
	v_mov_b32_e32 v71, v151
	v_add_f64 v[4:5], v[4:5], -v[142:143]
.LBB68_377:
	s_or_b32 exec_lo, exec_lo, s0
	v_lshl_add_u32 v142, v156, 4, v1
	s_barrier
	buffer_gl0_inv
	v_mov_b32_e32 v150, 18
	ds_write2_b64 v142, v[66:67], v[68:69] offset1:1
	s_waitcnt lgkmcnt(0)
	s_barrier
	buffer_gl0_inv
	ds_read2_b64 v[142:145], v1 offset0:36 offset1:37
	s_cmp_lt_i32 s18, 20
	s_cbranch_scc1 .LBB68_380
; %bb.378:
	v_add3_u32 v151, v152, 0, 0x130
	v_mov_b32_e32 v150, 18
	s_mov_b32 s1, 19
	s_inst_prefetch 0x1
	.p2align	6
.LBB68_379:                             ; =>This Inner Loop Header: Depth=1
	s_waitcnt lgkmcnt(0)
	v_cmp_gt_f64_e32 vcc_lo, 0, v[144:145]
	v_cmp_gt_f64_e64 s0, 0, v[142:143]
	ds_read2_b64 v[157:160], v151 offset1:1
	v_xor_b32_e32 v162, 0x80000000, v143
	v_xor_b32_e32 v164, 0x80000000, v145
	v_mov_b32_e32 v161, v142
	v_mov_b32_e32 v163, v144
	v_add_nc_u32_e32 v151, 16, v151
	s_waitcnt lgkmcnt(0)
	v_xor_b32_e32 v166, 0x80000000, v160
	v_cndmask_b32_e64 v162, v143, v162, s0
	v_cndmask_b32_e32 v164, v145, v164, vcc_lo
	v_cmp_gt_f64_e32 vcc_lo, 0, v[159:160]
	v_cmp_gt_f64_e64 s0, 0, v[157:158]
	v_mov_b32_e32 v165, v159
	v_add_f64 v[161:162], v[161:162], v[163:164]
	v_xor_b32_e32 v164, 0x80000000, v158
	v_mov_b32_e32 v163, v157
	v_cndmask_b32_e32 v166, v160, v166, vcc_lo
	v_cndmask_b32_e64 v164, v158, v164, s0
	v_add_f64 v[163:164], v[163:164], v[165:166]
	v_cmp_lt_f64_e32 vcc_lo, v[161:162], v[163:164]
	v_cndmask_b32_e32 v143, v143, v158, vcc_lo
	v_cndmask_b32_e32 v142, v142, v157, vcc_lo
	;; [unrolled: 1-line block ×4, first 2 shown]
	v_cndmask_b32_e64 v150, v150, s1, vcc_lo
	s_add_i32 s1, s1, 1
	s_cmp_lg_u32 s18, s1
	s_cbranch_scc1 .LBB68_379
.LBB68_380:
	s_inst_prefetch 0x2
	s_waitcnt lgkmcnt(0)
	v_cmp_eq_f64_e32 vcc_lo, 0, v[142:143]
	v_cmp_eq_f64_e64 s0, 0, v[144:145]
	s_and_b32 s0, vcc_lo, s0
	s_and_saveexec_b32 s1, s0
	s_xor_b32 s0, exec_lo, s1
; %bb.381:
	v_cmp_ne_u32_e32 vcc_lo, 0, v155
	v_cndmask_b32_e32 v155, 19, v155, vcc_lo
; %bb.382:
	s_andn2_saveexec_b32 s0, s0
	s_cbranch_execz .LBB68_388
; %bb.383:
	v_cmp_ngt_f64_e64 s1, |v[142:143]|, |v[144:145]|
	s_and_saveexec_b32 s2, s1
	s_xor_b32 s1, exec_lo, s2
	s_cbranch_execz .LBB68_385
; %bb.384:
	v_div_scale_f64 v[157:158], null, v[144:145], v[144:145], v[142:143]
	v_div_scale_f64 v[163:164], vcc_lo, v[142:143], v[144:145], v[142:143]
	v_rcp_f64_e32 v[159:160], v[157:158]
	v_fma_f64 v[161:162], -v[157:158], v[159:160], 1.0
	v_fma_f64 v[159:160], v[159:160], v[161:162], v[159:160]
	v_fma_f64 v[161:162], -v[157:158], v[159:160], 1.0
	v_fma_f64 v[159:160], v[159:160], v[161:162], v[159:160]
	v_mul_f64 v[161:162], v[163:164], v[159:160]
	v_fma_f64 v[157:158], -v[157:158], v[161:162], v[163:164]
	v_div_fmas_f64 v[157:158], v[157:158], v[159:160], v[161:162]
	v_div_fixup_f64 v[157:158], v[157:158], v[144:145], v[142:143]
	v_fma_f64 v[142:143], v[142:143], v[157:158], v[144:145]
	v_div_scale_f64 v[144:145], null, v[142:143], v[142:143], 1.0
	v_rcp_f64_e32 v[159:160], v[144:145]
	v_fma_f64 v[161:162], -v[144:145], v[159:160], 1.0
	v_fma_f64 v[159:160], v[159:160], v[161:162], v[159:160]
	v_fma_f64 v[161:162], -v[144:145], v[159:160], 1.0
	v_fma_f64 v[159:160], v[159:160], v[161:162], v[159:160]
	v_div_scale_f64 v[161:162], vcc_lo, 1.0, v[142:143], 1.0
	v_mul_f64 v[163:164], v[161:162], v[159:160]
	v_fma_f64 v[144:145], -v[144:145], v[163:164], v[161:162]
	v_div_fmas_f64 v[144:145], v[144:145], v[159:160], v[163:164]
	v_div_fixup_f64 v[144:145], v[144:145], v[142:143], 1.0
	v_mul_f64 v[142:143], v[157:158], v[144:145]
	v_xor_b32_e32 v145, 0x80000000, v145
.LBB68_385:
	s_andn2_saveexec_b32 s1, s1
	s_cbranch_execz .LBB68_387
; %bb.386:
	v_div_scale_f64 v[157:158], null, v[142:143], v[142:143], v[144:145]
	v_div_scale_f64 v[163:164], vcc_lo, v[144:145], v[142:143], v[144:145]
	v_rcp_f64_e32 v[159:160], v[157:158]
	v_fma_f64 v[161:162], -v[157:158], v[159:160], 1.0
	v_fma_f64 v[159:160], v[159:160], v[161:162], v[159:160]
	v_fma_f64 v[161:162], -v[157:158], v[159:160], 1.0
	v_fma_f64 v[159:160], v[159:160], v[161:162], v[159:160]
	v_mul_f64 v[161:162], v[163:164], v[159:160]
	v_fma_f64 v[157:158], -v[157:158], v[161:162], v[163:164]
	v_div_fmas_f64 v[157:158], v[157:158], v[159:160], v[161:162]
	v_div_fixup_f64 v[157:158], v[157:158], v[142:143], v[144:145]
	v_fma_f64 v[142:143], v[144:145], v[157:158], v[142:143]
	v_div_scale_f64 v[144:145], null, v[142:143], v[142:143], 1.0
	v_rcp_f64_e32 v[159:160], v[144:145]
	v_fma_f64 v[161:162], -v[144:145], v[159:160], 1.0
	v_fma_f64 v[159:160], v[159:160], v[161:162], v[159:160]
	v_fma_f64 v[161:162], -v[144:145], v[159:160], 1.0
	v_fma_f64 v[159:160], v[159:160], v[161:162], v[159:160]
	v_div_scale_f64 v[161:162], vcc_lo, 1.0, v[142:143], 1.0
	v_mul_f64 v[163:164], v[161:162], v[159:160]
	v_fma_f64 v[144:145], -v[144:145], v[163:164], v[161:162]
	v_div_fmas_f64 v[144:145], v[144:145], v[159:160], v[163:164]
	v_div_fixup_f64 v[142:143], v[144:145], v[142:143], 1.0
	v_mul_f64 v[144:145], v[157:158], -v[142:143]
.LBB68_387:
	s_or_b32 exec_lo, exec_lo, s1
.LBB68_388:
	s_or_b32 exec_lo, exec_lo, s0
	s_mov_b32 s0, exec_lo
	v_cmpx_ne_u32_e64 v156, v150
	s_xor_b32 s0, exec_lo, s0
	s_cbranch_execz .LBB68_394
; %bb.389:
	s_mov_b32 s1, exec_lo
	v_cmpx_eq_u32_e32 18, v156
	s_cbranch_execz .LBB68_393
; %bb.390:
	v_cmp_ne_u32_e32 vcc_lo, 18, v150
	s_xor_b32 s2, s16, -1
	s_and_b32 s3, s2, vcc_lo
	s_and_saveexec_b32 s2, s3
	s_cbranch_execz .LBB68_392
; %bb.391:
	v_ashrrev_i32_e32 v151, 31, v150
	v_lshlrev_b64 v[156:157], 2, v[150:151]
	v_add_co_u32 v156, vcc_lo, v148, v156
	v_add_co_ci_u32_e64 v157, null, v149, v157, vcc_lo
	s_clause 0x1
	global_load_dword v0, v[156:157], off
	global_load_dword v151, v[148:149], off offset:72
	s_waitcnt vmcnt(1)
	global_store_dword v[148:149], v0, off offset:72
	s_waitcnt vmcnt(0)
	global_store_dword v[156:157], v151, off
.LBB68_392:
	s_or_b32 exec_lo, exec_lo, s2
	v_mov_b32_e32 v156, v150
	v_mov_b32_e32 v0, v150
.LBB68_393:
	s_or_b32 exec_lo, exec_lo, s1
.LBB68_394:
	s_andn2_saveexec_b32 s0, s0
	s_cbranch_execz .LBB68_396
; %bb.395:
	v_mov_b32_e32 v156, 18
	ds_write2_b64 v1, v[62:63], v[64:65] offset0:38 offset1:39
	ds_write2_b64 v1, v[58:59], v[60:61] offset0:40 offset1:41
	;; [unrolled: 1-line block ×16, first 2 shown]
.LBB68_396:
	s_or_b32 exec_lo, exec_lo, s0
	s_mov_b32 s0, exec_lo
	s_waitcnt lgkmcnt(0)
	s_waitcnt_vscnt null, 0x0
	s_barrier
	buffer_gl0_inv
	v_cmpx_lt_i32_e32 18, v156
	s_cbranch_execz .LBB68_398
; %bb.397:
	v_mul_f64 v[150:151], v[142:143], v[68:69]
	v_mul_f64 v[68:69], v[144:145], v[68:69]
	v_fma_f64 v[150:151], v[144:145], v[66:67], v[150:151]
	v_fma_f64 v[66:67], v[142:143], v[66:67], -v[68:69]
	ds_read2_b64 v[142:145], v1 offset0:38 offset1:39
	s_waitcnt lgkmcnt(0)
	v_mul_f64 v[68:69], v[144:145], v[150:151]
	v_fma_f64 v[68:69], v[142:143], v[66:67], -v[68:69]
	v_mul_f64 v[142:143], v[142:143], v[150:151]
	v_add_f64 v[62:63], v[62:63], -v[68:69]
	v_fma_f64 v[142:143], v[144:145], v[66:67], v[142:143]
	v_add_f64 v[64:65], v[64:65], -v[142:143]
	ds_read2_b64 v[142:145], v1 offset0:40 offset1:41
	s_waitcnt lgkmcnt(0)
	v_mul_f64 v[68:69], v[144:145], v[150:151]
	v_fma_f64 v[68:69], v[142:143], v[66:67], -v[68:69]
	v_mul_f64 v[142:143], v[142:143], v[150:151]
	v_add_f64 v[58:59], v[58:59], -v[68:69]
	v_fma_f64 v[142:143], v[144:145], v[66:67], v[142:143]
	v_add_f64 v[60:61], v[60:61], -v[142:143]
	ds_read2_b64 v[142:145], v1 offset0:42 offset1:43
	s_waitcnt lgkmcnt(0)
	v_mul_f64 v[68:69], v[144:145], v[150:151]
	v_fma_f64 v[68:69], v[142:143], v[66:67], -v[68:69]
	v_mul_f64 v[142:143], v[142:143], v[150:151]
	v_add_f64 v[54:55], v[54:55], -v[68:69]
	v_fma_f64 v[142:143], v[144:145], v[66:67], v[142:143]
	v_add_f64 v[56:57], v[56:57], -v[142:143]
	ds_read2_b64 v[142:145], v1 offset0:44 offset1:45
	s_waitcnt lgkmcnt(0)
	v_mul_f64 v[68:69], v[144:145], v[150:151]
	v_fma_f64 v[68:69], v[142:143], v[66:67], -v[68:69]
	v_mul_f64 v[142:143], v[142:143], v[150:151]
	v_add_f64 v[50:51], v[50:51], -v[68:69]
	v_fma_f64 v[142:143], v[144:145], v[66:67], v[142:143]
	v_add_f64 v[52:53], v[52:53], -v[142:143]
	ds_read2_b64 v[142:145], v1 offset0:46 offset1:47
	s_waitcnt lgkmcnt(0)
	v_mul_f64 v[68:69], v[144:145], v[150:151]
	v_fma_f64 v[68:69], v[142:143], v[66:67], -v[68:69]
	v_mul_f64 v[142:143], v[142:143], v[150:151]
	v_add_f64 v[46:47], v[46:47], -v[68:69]
	v_fma_f64 v[142:143], v[144:145], v[66:67], v[142:143]
	v_add_f64 v[48:49], v[48:49], -v[142:143]
	ds_read2_b64 v[142:145], v1 offset0:48 offset1:49
	s_waitcnt lgkmcnt(0)
	v_mul_f64 v[68:69], v[144:145], v[150:151]
	v_fma_f64 v[68:69], v[142:143], v[66:67], -v[68:69]
	v_mul_f64 v[142:143], v[142:143], v[150:151]
	v_add_f64 v[42:43], v[42:43], -v[68:69]
	v_fma_f64 v[142:143], v[144:145], v[66:67], v[142:143]
	v_add_f64 v[44:45], v[44:45], -v[142:143]
	ds_read2_b64 v[142:145], v1 offset0:50 offset1:51
	s_waitcnt lgkmcnt(0)
	v_mul_f64 v[68:69], v[144:145], v[150:151]
	v_fma_f64 v[68:69], v[142:143], v[66:67], -v[68:69]
	v_mul_f64 v[142:143], v[142:143], v[150:151]
	v_add_f64 v[38:39], v[38:39], -v[68:69]
	v_fma_f64 v[142:143], v[144:145], v[66:67], v[142:143]
	v_add_f64 v[40:41], v[40:41], -v[142:143]
	ds_read2_b64 v[142:145], v1 offset0:52 offset1:53
	s_waitcnt lgkmcnt(0)
	v_mul_f64 v[68:69], v[144:145], v[150:151]
	v_fma_f64 v[68:69], v[142:143], v[66:67], -v[68:69]
	v_mul_f64 v[142:143], v[142:143], v[150:151]
	v_add_f64 v[34:35], v[34:35], -v[68:69]
	v_fma_f64 v[142:143], v[144:145], v[66:67], v[142:143]
	v_add_f64 v[36:37], v[36:37], -v[142:143]
	ds_read2_b64 v[142:145], v1 offset0:54 offset1:55
	s_waitcnt lgkmcnt(0)
	v_mul_f64 v[68:69], v[144:145], v[150:151]
	v_fma_f64 v[68:69], v[142:143], v[66:67], -v[68:69]
	v_mul_f64 v[142:143], v[142:143], v[150:151]
	v_add_f64 v[30:31], v[30:31], -v[68:69]
	v_fma_f64 v[142:143], v[144:145], v[66:67], v[142:143]
	v_add_f64 v[32:33], v[32:33], -v[142:143]
	ds_read2_b64 v[142:145], v1 offset0:56 offset1:57
	s_waitcnt lgkmcnt(0)
	v_mul_f64 v[68:69], v[144:145], v[150:151]
	v_fma_f64 v[68:69], v[142:143], v[66:67], -v[68:69]
	v_mul_f64 v[142:143], v[142:143], v[150:151]
	v_add_f64 v[26:27], v[26:27], -v[68:69]
	v_fma_f64 v[142:143], v[144:145], v[66:67], v[142:143]
	v_add_f64 v[28:29], v[28:29], -v[142:143]
	ds_read2_b64 v[142:145], v1 offset0:58 offset1:59
	s_waitcnt lgkmcnt(0)
	v_mul_f64 v[68:69], v[144:145], v[150:151]
	v_fma_f64 v[68:69], v[142:143], v[66:67], -v[68:69]
	v_mul_f64 v[142:143], v[142:143], v[150:151]
	v_add_f64 v[22:23], v[22:23], -v[68:69]
	v_fma_f64 v[142:143], v[144:145], v[66:67], v[142:143]
	v_add_f64 v[24:25], v[24:25], -v[142:143]
	ds_read2_b64 v[142:145], v1 offset0:60 offset1:61
	s_waitcnt lgkmcnt(0)
	v_mul_f64 v[68:69], v[144:145], v[150:151]
	v_fma_f64 v[68:69], v[142:143], v[66:67], -v[68:69]
	v_mul_f64 v[142:143], v[142:143], v[150:151]
	v_add_f64 v[18:19], v[18:19], -v[68:69]
	v_fma_f64 v[142:143], v[144:145], v[66:67], v[142:143]
	v_add_f64 v[20:21], v[20:21], -v[142:143]
	ds_read2_b64 v[142:145], v1 offset0:62 offset1:63
	s_waitcnt lgkmcnt(0)
	v_mul_f64 v[68:69], v[144:145], v[150:151]
	v_fma_f64 v[68:69], v[142:143], v[66:67], -v[68:69]
	v_mul_f64 v[142:143], v[142:143], v[150:151]
	v_add_f64 v[14:15], v[14:15], -v[68:69]
	v_fma_f64 v[142:143], v[144:145], v[66:67], v[142:143]
	v_add_f64 v[16:17], v[16:17], -v[142:143]
	ds_read2_b64 v[142:145], v1 offset0:64 offset1:65
	s_waitcnt lgkmcnt(0)
	v_mul_f64 v[68:69], v[144:145], v[150:151]
	v_fma_f64 v[68:69], v[142:143], v[66:67], -v[68:69]
	v_mul_f64 v[142:143], v[142:143], v[150:151]
	v_add_f64 v[10:11], v[10:11], -v[68:69]
	v_fma_f64 v[142:143], v[144:145], v[66:67], v[142:143]
	v_add_f64 v[12:13], v[12:13], -v[142:143]
	ds_read2_b64 v[142:145], v1 offset0:66 offset1:67
	s_waitcnt lgkmcnt(0)
	v_mul_f64 v[68:69], v[144:145], v[150:151]
	v_fma_f64 v[68:69], v[142:143], v[66:67], -v[68:69]
	v_mul_f64 v[142:143], v[142:143], v[150:151]
	v_add_f64 v[6:7], v[6:7], -v[68:69]
	v_fma_f64 v[142:143], v[144:145], v[66:67], v[142:143]
	v_add_f64 v[8:9], v[8:9], -v[142:143]
	ds_read2_b64 v[142:145], v1 offset0:68 offset1:69
	s_waitcnt lgkmcnt(0)
	v_mul_f64 v[68:69], v[144:145], v[150:151]
	v_fma_f64 v[68:69], v[142:143], v[66:67], -v[68:69]
	v_mul_f64 v[142:143], v[142:143], v[150:151]
	v_add_f64 v[2:3], v[2:3], -v[68:69]
	v_fma_f64 v[142:143], v[144:145], v[66:67], v[142:143]
	v_mov_b32_e32 v68, v150
	v_mov_b32_e32 v69, v151
	v_add_f64 v[4:5], v[4:5], -v[142:143]
.LBB68_398:
	s_or_b32 exec_lo, exec_lo, s0
	v_lshl_add_u32 v142, v156, 4, v1
	s_barrier
	buffer_gl0_inv
	v_mov_b32_e32 v150, 19
	ds_write2_b64 v142, v[62:63], v[64:65] offset1:1
	s_waitcnt lgkmcnt(0)
	s_barrier
	buffer_gl0_inv
	ds_read2_b64 v[142:145], v1 offset0:38 offset1:39
	s_cmp_lt_i32 s18, 21
	s_cbranch_scc1 .LBB68_401
; %bb.399:
	v_add3_u32 v151, v152, 0, 0x140
	v_mov_b32_e32 v150, 19
	s_mov_b32 s1, 20
	s_inst_prefetch 0x1
	.p2align	6
.LBB68_400:                             ; =>This Inner Loop Header: Depth=1
	s_waitcnt lgkmcnt(0)
	v_cmp_gt_f64_e32 vcc_lo, 0, v[144:145]
	v_cmp_gt_f64_e64 s0, 0, v[142:143]
	ds_read2_b64 v[157:160], v151 offset1:1
	v_xor_b32_e32 v162, 0x80000000, v143
	v_xor_b32_e32 v164, 0x80000000, v145
	v_mov_b32_e32 v161, v142
	v_mov_b32_e32 v163, v144
	v_add_nc_u32_e32 v151, 16, v151
	s_waitcnt lgkmcnt(0)
	v_xor_b32_e32 v166, 0x80000000, v160
	v_cndmask_b32_e64 v162, v143, v162, s0
	v_cndmask_b32_e32 v164, v145, v164, vcc_lo
	v_cmp_gt_f64_e32 vcc_lo, 0, v[159:160]
	v_cmp_gt_f64_e64 s0, 0, v[157:158]
	v_mov_b32_e32 v165, v159
	v_add_f64 v[161:162], v[161:162], v[163:164]
	v_xor_b32_e32 v164, 0x80000000, v158
	v_mov_b32_e32 v163, v157
	v_cndmask_b32_e32 v166, v160, v166, vcc_lo
	v_cndmask_b32_e64 v164, v158, v164, s0
	v_add_f64 v[163:164], v[163:164], v[165:166]
	v_cmp_lt_f64_e32 vcc_lo, v[161:162], v[163:164]
	v_cndmask_b32_e32 v143, v143, v158, vcc_lo
	v_cndmask_b32_e32 v142, v142, v157, vcc_lo
	;; [unrolled: 1-line block ×4, first 2 shown]
	v_cndmask_b32_e64 v150, v150, s1, vcc_lo
	s_add_i32 s1, s1, 1
	s_cmp_lg_u32 s18, s1
	s_cbranch_scc1 .LBB68_400
.LBB68_401:
	s_inst_prefetch 0x2
	s_waitcnt lgkmcnt(0)
	v_cmp_eq_f64_e32 vcc_lo, 0, v[142:143]
	v_cmp_eq_f64_e64 s0, 0, v[144:145]
	s_and_b32 s0, vcc_lo, s0
	s_and_saveexec_b32 s1, s0
	s_xor_b32 s0, exec_lo, s1
; %bb.402:
	v_cmp_ne_u32_e32 vcc_lo, 0, v155
	v_cndmask_b32_e32 v155, 20, v155, vcc_lo
; %bb.403:
	s_andn2_saveexec_b32 s0, s0
	s_cbranch_execz .LBB68_409
; %bb.404:
	v_cmp_ngt_f64_e64 s1, |v[142:143]|, |v[144:145]|
	s_and_saveexec_b32 s2, s1
	s_xor_b32 s1, exec_lo, s2
	s_cbranch_execz .LBB68_406
; %bb.405:
	v_div_scale_f64 v[157:158], null, v[144:145], v[144:145], v[142:143]
	v_div_scale_f64 v[163:164], vcc_lo, v[142:143], v[144:145], v[142:143]
	v_rcp_f64_e32 v[159:160], v[157:158]
	v_fma_f64 v[161:162], -v[157:158], v[159:160], 1.0
	v_fma_f64 v[159:160], v[159:160], v[161:162], v[159:160]
	v_fma_f64 v[161:162], -v[157:158], v[159:160], 1.0
	v_fma_f64 v[159:160], v[159:160], v[161:162], v[159:160]
	v_mul_f64 v[161:162], v[163:164], v[159:160]
	v_fma_f64 v[157:158], -v[157:158], v[161:162], v[163:164]
	v_div_fmas_f64 v[157:158], v[157:158], v[159:160], v[161:162]
	v_div_fixup_f64 v[157:158], v[157:158], v[144:145], v[142:143]
	v_fma_f64 v[142:143], v[142:143], v[157:158], v[144:145]
	v_div_scale_f64 v[144:145], null, v[142:143], v[142:143], 1.0
	v_rcp_f64_e32 v[159:160], v[144:145]
	v_fma_f64 v[161:162], -v[144:145], v[159:160], 1.0
	v_fma_f64 v[159:160], v[159:160], v[161:162], v[159:160]
	v_fma_f64 v[161:162], -v[144:145], v[159:160], 1.0
	v_fma_f64 v[159:160], v[159:160], v[161:162], v[159:160]
	v_div_scale_f64 v[161:162], vcc_lo, 1.0, v[142:143], 1.0
	v_mul_f64 v[163:164], v[161:162], v[159:160]
	v_fma_f64 v[144:145], -v[144:145], v[163:164], v[161:162]
	v_div_fmas_f64 v[144:145], v[144:145], v[159:160], v[163:164]
	v_div_fixup_f64 v[144:145], v[144:145], v[142:143], 1.0
	v_mul_f64 v[142:143], v[157:158], v[144:145]
	v_xor_b32_e32 v145, 0x80000000, v145
.LBB68_406:
	s_andn2_saveexec_b32 s1, s1
	s_cbranch_execz .LBB68_408
; %bb.407:
	v_div_scale_f64 v[157:158], null, v[142:143], v[142:143], v[144:145]
	v_div_scale_f64 v[163:164], vcc_lo, v[144:145], v[142:143], v[144:145]
	v_rcp_f64_e32 v[159:160], v[157:158]
	v_fma_f64 v[161:162], -v[157:158], v[159:160], 1.0
	v_fma_f64 v[159:160], v[159:160], v[161:162], v[159:160]
	v_fma_f64 v[161:162], -v[157:158], v[159:160], 1.0
	v_fma_f64 v[159:160], v[159:160], v[161:162], v[159:160]
	v_mul_f64 v[161:162], v[163:164], v[159:160]
	v_fma_f64 v[157:158], -v[157:158], v[161:162], v[163:164]
	v_div_fmas_f64 v[157:158], v[157:158], v[159:160], v[161:162]
	v_div_fixup_f64 v[157:158], v[157:158], v[142:143], v[144:145]
	v_fma_f64 v[142:143], v[144:145], v[157:158], v[142:143]
	v_div_scale_f64 v[144:145], null, v[142:143], v[142:143], 1.0
	v_rcp_f64_e32 v[159:160], v[144:145]
	v_fma_f64 v[161:162], -v[144:145], v[159:160], 1.0
	v_fma_f64 v[159:160], v[159:160], v[161:162], v[159:160]
	v_fma_f64 v[161:162], -v[144:145], v[159:160], 1.0
	v_fma_f64 v[159:160], v[159:160], v[161:162], v[159:160]
	v_div_scale_f64 v[161:162], vcc_lo, 1.0, v[142:143], 1.0
	v_mul_f64 v[163:164], v[161:162], v[159:160]
	v_fma_f64 v[144:145], -v[144:145], v[163:164], v[161:162]
	v_div_fmas_f64 v[144:145], v[144:145], v[159:160], v[163:164]
	v_div_fixup_f64 v[142:143], v[144:145], v[142:143], 1.0
	v_mul_f64 v[144:145], v[157:158], -v[142:143]
.LBB68_408:
	s_or_b32 exec_lo, exec_lo, s1
.LBB68_409:
	s_or_b32 exec_lo, exec_lo, s0
	s_mov_b32 s0, exec_lo
	v_cmpx_ne_u32_e64 v156, v150
	s_xor_b32 s0, exec_lo, s0
	s_cbranch_execz .LBB68_415
; %bb.410:
	s_mov_b32 s1, exec_lo
	v_cmpx_eq_u32_e32 19, v156
	s_cbranch_execz .LBB68_414
; %bb.411:
	v_cmp_ne_u32_e32 vcc_lo, 19, v150
	s_xor_b32 s2, s16, -1
	s_and_b32 s3, s2, vcc_lo
	s_and_saveexec_b32 s2, s3
	s_cbranch_execz .LBB68_413
; %bb.412:
	v_ashrrev_i32_e32 v151, 31, v150
	v_lshlrev_b64 v[156:157], 2, v[150:151]
	v_add_co_u32 v156, vcc_lo, v148, v156
	v_add_co_ci_u32_e64 v157, null, v149, v157, vcc_lo
	s_clause 0x1
	global_load_dword v0, v[156:157], off
	global_load_dword v151, v[148:149], off offset:76
	s_waitcnt vmcnt(1)
	global_store_dword v[148:149], v0, off offset:76
	s_waitcnt vmcnt(0)
	global_store_dword v[156:157], v151, off
.LBB68_413:
	s_or_b32 exec_lo, exec_lo, s2
	v_mov_b32_e32 v156, v150
	v_mov_b32_e32 v0, v150
.LBB68_414:
	s_or_b32 exec_lo, exec_lo, s1
.LBB68_415:
	s_andn2_saveexec_b32 s0, s0
	s_cbranch_execz .LBB68_417
; %bb.416:
	v_mov_b32_e32 v156, 19
	ds_write2_b64 v1, v[58:59], v[60:61] offset0:40 offset1:41
	ds_write2_b64 v1, v[54:55], v[56:57] offset0:42 offset1:43
	;; [unrolled: 1-line block ×15, first 2 shown]
.LBB68_417:
	s_or_b32 exec_lo, exec_lo, s0
	s_mov_b32 s0, exec_lo
	s_waitcnt lgkmcnt(0)
	s_waitcnt_vscnt null, 0x0
	s_barrier
	buffer_gl0_inv
	v_cmpx_lt_i32_e32 19, v156
	s_cbranch_execz .LBB68_419
; %bb.418:
	v_mul_f64 v[150:151], v[142:143], v[64:65]
	v_mul_f64 v[64:65], v[144:145], v[64:65]
	v_fma_f64 v[150:151], v[144:145], v[62:63], v[150:151]
	v_fma_f64 v[62:63], v[142:143], v[62:63], -v[64:65]
	ds_read2_b64 v[142:145], v1 offset0:40 offset1:41
	s_waitcnt lgkmcnt(0)
	v_mul_f64 v[64:65], v[144:145], v[150:151]
	v_fma_f64 v[64:65], v[142:143], v[62:63], -v[64:65]
	v_mul_f64 v[142:143], v[142:143], v[150:151]
	v_add_f64 v[58:59], v[58:59], -v[64:65]
	v_fma_f64 v[142:143], v[144:145], v[62:63], v[142:143]
	v_add_f64 v[60:61], v[60:61], -v[142:143]
	ds_read2_b64 v[142:145], v1 offset0:42 offset1:43
	s_waitcnt lgkmcnt(0)
	v_mul_f64 v[64:65], v[144:145], v[150:151]
	v_fma_f64 v[64:65], v[142:143], v[62:63], -v[64:65]
	v_mul_f64 v[142:143], v[142:143], v[150:151]
	v_add_f64 v[54:55], v[54:55], -v[64:65]
	v_fma_f64 v[142:143], v[144:145], v[62:63], v[142:143]
	v_add_f64 v[56:57], v[56:57], -v[142:143]
	;; [unrolled: 8-line block ×14, first 2 shown]
	ds_read2_b64 v[142:145], v1 offset0:68 offset1:69
	s_waitcnt lgkmcnt(0)
	v_mul_f64 v[64:65], v[144:145], v[150:151]
	v_fma_f64 v[64:65], v[142:143], v[62:63], -v[64:65]
	v_mul_f64 v[142:143], v[142:143], v[150:151]
	v_add_f64 v[2:3], v[2:3], -v[64:65]
	v_fma_f64 v[142:143], v[144:145], v[62:63], v[142:143]
	v_mov_b32_e32 v64, v150
	v_mov_b32_e32 v65, v151
	v_add_f64 v[4:5], v[4:5], -v[142:143]
.LBB68_419:
	s_or_b32 exec_lo, exec_lo, s0
	v_lshl_add_u32 v142, v156, 4, v1
	s_barrier
	buffer_gl0_inv
	v_mov_b32_e32 v150, 20
	ds_write2_b64 v142, v[58:59], v[60:61] offset1:1
	s_waitcnt lgkmcnt(0)
	s_barrier
	buffer_gl0_inv
	ds_read2_b64 v[142:145], v1 offset0:40 offset1:41
	s_cmp_lt_i32 s18, 22
	s_cbranch_scc1 .LBB68_422
; %bb.420:
	v_add3_u32 v151, v152, 0, 0x150
	v_mov_b32_e32 v150, 20
	s_mov_b32 s1, 21
	s_inst_prefetch 0x1
	.p2align	6
.LBB68_421:                             ; =>This Inner Loop Header: Depth=1
	s_waitcnt lgkmcnt(0)
	v_cmp_gt_f64_e32 vcc_lo, 0, v[144:145]
	v_cmp_gt_f64_e64 s0, 0, v[142:143]
	ds_read2_b64 v[157:160], v151 offset1:1
	v_xor_b32_e32 v162, 0x80000000, v143
	v_xor_b32_e32 v164, 0x80000000, v145
	v_mov_b32_e32 v161, v142
	v_mov_b32_e32 v163, v144
	v_add_nc_u32_e32 v151, 16, v151
	s_waitcnt lgkmcnt(0)
	v_xor_b32_e32 v166, 0x80000000, v160
	v_cndmask_b32_e64 v162, v143, v162, s0
	v_cndmask_b32_e32 v164, v145, v164, vcc_lo
	v_cmp_gt_f64_e32 vcc_lo, 0, v[159:160]
	v_cmp_gt_f64_e64 s0, 0, v[157:158]
	v_mov_b32_e32 v165, v159
	v_add_f64 v[161:162], v[161:162], v[163:164]
	v_xor_b32_e32 v164, 0x80000000, v158
	v_mov_b32_e32 v163, v157
	v_cndmask_b32_e32 v166, v160, v166, vcc_lo
	v_cndmask_b32_e64 v164, v158, v164, s0
	v_add_f64 v[163:164], v[163:164], v[165:166]
	v_cmp_lt_f64_e32 vcc_lo, v[161:162], v[163:164]
	v_cndmask_b32_e32 v143, v143, v158, vcc_lo
	v_cndmask_b32_e32 v142, v142, v157, vcc_lo
	v_cndmask_b32_e32 v145, v145, v160, vcc_lo
	v_cndmask_b32_e32 v144, v144, v159, vcc_lo
	v_cndmask_b32_e64 v150, v150, s1, vcc_lo
	s_add_i32 s1, s1, 1
	s_cmp_lg_u32 s18, s1
	s_cbranch_scc1 .LBB68_421
.LBB68_422:
	s_inst_prefetch 0x2
	s_waitcnt lgkmcnt(0)
	v_cmp_eq_f64_e32 vcc_lo, 0, v[142:143]
	v_cmp_eq_f64_e64 s0, 0, v[144:145]
	s_and_b32 s0, vcc_lo, s0
	s_and_saveexec_b32 s1, s0
	s_xor_b32 s0, exec_lo, s1
; %bb.423:
	v_cmp_ne_u32_e32 vcc_lo, 0, v155
	v_cndmask_b32_e32 v155, 21, v155, vcc_lo
; %bb.424:
	s_andn2_saveexec_b32 s0, s0
	s_cbranch_execz .LBB68_430
; %bb.425:
	v_cmp_ngt_f64_e64 s1, |v[142:143]|, |v[144:145]|
	s_and_saveexec_b32 s2, s1
	s_xor_b32 s1, exec_lo, s2
	s_cbranch_execz .LBB68_427
; %bb.426:
	v_div_scale_f64 v[157:158], null, v[144:145], v[144:145], v[142:143]
	v_div_scale_f64 v[163:164], vcc_lo, v[142:143], v[144:145], v[142:143]
	v_rcp_f64_e32 v[159:160], v[157:158]
	v_fma_f64 v[161:162], -v[157:158], v[159:160], 1.0
	v_fma_f64 v[159:160], v[159:160], v[161:162], v[159:160]
	v_fma_f64 v[161:162], -v[157:158], v[159:160], 1.0
	v_fma_f64 v[159:160], v[159:160], v[161:162], v[159:160]
	v_mul_f64 v[161:162], v[163:164], v[159:160]
	v_fma_f64 v[157:158], -v[157:158], v[161:162], v[163:164]
	v_div_fmas_f64 v[157:158], v[157:158], v[159:160], v[161:162]
	v_div_fixup_f64 v[157:158], v[157:158], v[144:145], v[142:143]
	v_fma_f64 v[142:143], v[142:143], v[157:158], v[144:145]
	v_div_scale_f64 v[144:145], null, v[142:143], v[142:143], 1.0
	v_rcp_f64_e32 v[159:160], v[144:145]
	v_fma_f64 v[161:162], -v[144:145], v[159:160], 1.0
	v_fma_f64 v[159:160], v[159:160], v[161:162], v[159:160]
	v_fma_f64 v[161:162], -v[144:145], v[159:160], 1.0
	v_fma_f64 v[159:160], v[159:160], v[161:162], v[159:160]
	v_div_scale_f64 v[161:162], vcc_lo, 1.0, v[142:143], 1.0
	v_mul_f64 v[163:164], v[161:162], v[159:160]
	v_fma_f64 v[144:145], -v[144:145], v[163:164], v[161:162]
	v_div_fmas_f64 v[144:145], v[144:145], v[159:160], v[163:164]
	v_div_fixup_f64 v[144:145], v[144:145], v[142:143], 1.0
	v_mul_f64 v[142:143], v[157:158], v[144:145]
	v_xor_b32_e32 v145, 0x80000000, v145
.LBB68_427:
	s_andn2_saveexec_b32 s1, s1
	s_cbranch_execz .LBB68_429
; %bb.428:
	v_div_scale_f64 v[157:158], null, v[142:143], v[142:143], v[144:145]
	v_div_scale_f64 v[163:164], vcc_lo, v[144:145], v[142:143], v[144:145]
	v_rcp_f64_e32 v[159:160], v[157:158]
	v_fma_f64 v[161:162], -v[157:158], v[159:160], 1.0
	v_fma_f64 v[159:160], v[159:160], v[161:162], v[159:160]
	v_fma_f64 v[161:162], -v[157:158], v[159:160], 1.0
	v_fma_f64 v[159:160], v[159:160], v[161:162], v[159:160]
	v_mul_f64 v[161:162], v[163:164], v[159:160]
	v_fma_f64 v[157:158], -v[157:158], v[161:162], v[163:164]
	v_div_fmas_f64 v[157:158], v[157:158], v[159:160], v[161:162]
	v_div_fixup_f64 v[157:158], v[157:158], v[142:143], v[144:145]
	v_fma_f64 v[142:143], v[144:145], v[157:158], v[142:143]
	v_div_scale_f64 v[144:145], null, v[142:143], v[142:143], 1.0
	v_rcp_f64_e32 v[159:160], v[144:145]
	v_fma_f64 v[161:162], -v[144:145], v[159:160], 1.0
	v_fma_f64 v[159:160], v[159:160], v[161:162], v[159:160]
	v_fma_f64 v[161:162], -v[144:145], v[159:160], 1.0
	v_fma_f64 v[159:160], v[159:160], v[161:162], v[159:160]
	v_div_scale_f64 v[161:162], vcc_lo, 1.0, v[142:143], 1.0
	v_mul_f64 v[163:164], v[161:162], v[159:160]
	v_fma_f64 v[144:145], -v[144:145], v[163:164], v[161:162]
	v_div_fmas_f64 v[144:145], v[144:145], v[159:160], v[163:164]
	v_div_fixup_f64 v[142:143], v[144:145], v[142:143], 1.0
	v_mul_f64 v[144:145], v[157:158], -v[142:143]
.LBB68_429:
	s_or_b32 exec_lo, exec_lo, s1
.LBB68_430:
	s_or_b32 exec_lo, exec_lo, s0
	s_mov_b32 s0, exec_lo
	v_cmpx_ne_u32_e64 v156, v150
	s_xor_b32 s0, exec_lo, s0
	s_cbranch_execz .LBB68_436
; %bb.431:
	s_mov_b32 s1, exec_lo
	v_cmpx_eq_u32_e32 20, v156
	s_cbranch_execz .LBB68_435
; %bb.432:
	v_cmp_ne_u32_e32 vcc_lo, 20, v150
	s_xor_b32 s2, s16, -1
	s_and_b32 s3, s2, vcc_lo
	s_and_saveexec_b32 s2, s3
	s_cbranch_execz .LBB68_434
; %bb.433:
	v_ashrrev_i32_e32 v151, 31, v150
	v_lshlrev_b64 v[156:157], 2, v[150:151]
	v_add_co_u32 v156, vcc_lo, v148, v156
	v_add_co_ci_u32_e64 v157, null, v149, v157, vcc_lo
	s_clause 0x1
	global_load_dword v0, v[156:157], off
	global_load_dword v151, v[148:149], off offset:80
	s_waitcnt vmcnt(1)
	global_store_dword v[148:149], v0, off offset:80
	s_waitcnt vmcnt(0)
	global_store_dword v[156:157], v151, off
.LBB68_434:
	s_or_b32 exec_lo, exec_lo, s2
	v_mov_b32_e32 v156, v150
	v_mov_b32_e32 v0, v150
.LBB68_435:
	s_or_b32 exec_lo, exec_lo, s1
.LBB68_436:
	s_andn2_saveexec_b32 s0, s0
	s_cbranch_execz .LBB68_438
; %bb.437:
	v_mov_b32_e32 v156, 20
	ds_write2_b64 v1, v[54:55], v[56:57] offset0:42 offset1:43
	ds_write2_b64 v1, v[50:51], v[52:53] offset0:44 offset1:45
	;; [unrolled: 1-line block ×14, first 2 shown]
.LBB68_438:
	s_or_b32 exec_lo, exec_lo, s0
	s_mov_b32 s0, exec_lo
	s_waitcnt lgkmcnt(0)
	s_waitcnt_vscnt null, 0x0
	s_barrier
	buffer_gl0_inv
	v_cmpx_lt_i32_e32 20, v156
	s_cbranch_execz .LBB68_440
; %bb.439:
	v_mul_f64 v[150:151], v[142:143], v[60:61]
	v_mul_f64 v[60:61], v[144:145], v[60:61]
	v_fma_f64 v[150:151], v[144:145], v[58:59], v[150:151]
	v_fma_f64 v[58:59], v[142:143], v[58:59], -v[60:61]
	ds_read2_b64 v[142:145], v1 offset0:42 offset1:43
	s_waitcnt lgkmcnt(0)
	v_mul_f64 v[60:61], v[144:145], v[150:151]
	v_fma_f64 v[60:61], v[142:143], v[58:59], -v[60:61]
	v_mul_f64 v[142:143], v[142:143], v[150:151]
	v_add_f64 v[54:55], v[54:55], -v[60:61]
	v_fma_f64 v[142:143], v[144:145], v[58:59], v[142:143]
	v_add_f64 v[56:57], v[56:57], -v[142:143]
	ds_read2_b64 v[142:145], v1 offset0:44 offset1:45
	s_waitcnt lgkmcnt(0)
	v_mul_f64 v[60:61], v[144:145], v[150:151]
	v_fma_f64 v[60:61], v[142:143], v[58:59], -v[60:61]
	v_mul_f64 v[142:143], v[142:143], v[150:151]
	v_add_f64 v[50:51], v[50:51], -v[60:61]
	v_fma_f64 v[142:143], v[144:145], v[58:59], v[142:143]
	v_add_f64 v[52:53], v[52:53], -v[142:143]
	;; [unrolled: 8-line block ×13, first 2 shown]
	ds_read2_b64 v[142:145], v1 offset0:68 offset1:69
	s_waitcnt lgkmcnt(0)
	v_mul_f64 v[60:61], v[144:145], v[150:151]
	v_fma_f64 v[60:61], v[142:143], v[58:59], -v[60:61]
	v_mul_f64 v[142:143], v[142:143], v[150:151]
	v_add_f64 v[2:3], v[2:3], -v[60:61]
	v_fma_f64 v[142:143], v[144:145], v[58:59], v[142:143]
	v_mov_b32_e32 v60, v150
	v_mov_b32_e32 v61, v151
	v_add_f64 v[4:5], v[4:5], -v[142:143]
.LBB68_440:
	s_or_b32 exec_lo, exec_lo, s0
	v_lshl_add_u32 v142, v156, 4, v1
	s_barrier
	buffer_gl0_inv
	v_mov_b32_e32 v150, 21
	ds_write2_b64 v142, v[54:55], v[56:57] offset1:1
	s_waitcnt lgkmcnt(0)
	s_barrier
	buffer_gl0_inv
	ds_read2_b64 v[142:145], v1 offset0:42 offset1:43
	s_cmp_lt_i32 s18, 23
	s_cbranch_scc1 .LBB68_443
; %bb.441:
	v_add3_u32 v151, v152, 0, 0x160
	v_mov_b32_e32 v150, 21
	s_mov_b32 s1, 22
	s_inst_prefetch 0x1
	.p2align	6
.LBB68_442:                             ; =>This Inner Loop Header: Depth=1
	s_waitcnt lgkmcnt(0)
	v_cmp_gt_f64_e32 vcc_lo, 0, v[144:145]
	v_cmp_gt_f64_e64 s0, 0, v[142:143]
	ds_read2_b64 v[157:160], v151 offset1:1
	v_xor_b32_e32 v162, 0x80000000, v143
	v_xor_b32_e32 v164, 0x80000000, v145
	v_mov_b32_e32 v161, v142
	v_mov_b32_e32 v163, v144
	v_add_nc_u32_e32 v151, 16, v151
	s_waitcnt lgkmcnt(0)
	v_xor_b32_e32 v166, 0x80000000, v160
	v_cndmask_b32_e64 v162, v143, v162, s0
	v_cndmask_b32_e32 v164, v145, v164, vcc_lo
	v_cmp_gt_f64_e32 vcc_lo, 0, v[159:160]
	v_cmp_gt_f64_e64 s0, 0, v[157:158]
	v_mov_b32_e32 v165, v159
	v_add_f64 v[161:162], v[161:162], v[163:164]
	v_xor_b32_e32 v164, 0x80000000, v158
	v_mov_b32_e32 v163, v157
	v_cndmask_b32_e32 v166, v160, v166, vcc_lo
	v_cndmask_b32_e64 v164, v158, v164, s0
	v_add_f64 v[163:164], v[163:164], v[165:166]
	v_cmp_lt_f64_e32 vcc_lo, v[161:162], v[163:164]
	v_cndmask_b32_e32 v143, v143, v158, vcc_lo
	v_cndmask_b32_e32 v142, v142, v157, vcc_lo
	;; [unrolled: 1-line block ×4, first 2 shown]
	v_cndmask_b32_e64 v150, v150, s1, vcc_lo
	s_add_i32 s1, s1, 1
	s_cmp_lg_u32 s18, s1
	s_cbranch_scc1 .LBB68_442
.LBB68_443:
	s_inst_prefetch 0x2
	s_waitcnt lgkmcnt(0)
	v_cmp_eq_f64_e32 vcc_lo, 0, v[142:143]
	v_cmp_eq_f64_e64 s0, 0, v[144:145]
	s_and_b32 s0, vcc_lo, s0
	s_and_saveexec_b32 s1, s0
	s_xor_b32 s0, exec_lo, s1
; %bb.444:
	v_cmp_ne_u32_e32 vcc_lo, 0, v155
	v_cndmask_b32_e32 v155, 22, v155, vcc_lo
; %bb.445:
	s_andn2_saveexec_b32 s0, s0
	s_cbranch_execz .LBB68_451
; %bb.446:
	v_cmp_ngt_f64_e64 s1, |v[142:143]|, |v[144:145]|
	s_and_saveexec_b32 s2, s1
	s_xor_b32 s1, exec_lo, s2
	s_cbranch_execz .LBB68_448
; %bb.447:
	v_div_scale_f64 v[157:158], null, v[144:145], v[144:145], v[142:143]
	v_div_scale_f64 v[163:164], vcc_lo, v[142:143], v[144:145], v[142:143]
	v_rcp_f64_e32 v[159:160], v[157:158]
	v_fma_f64 v[161:162], -v[157:158], v[159:160], 1.0
	v_fma_f64 v[159:160], v[159:160], v[161:162], v[159:160]
	v_fma_f64 v[161:162], -v[157:158], v[159:160], 1.0
	v_fma_f64 v[159:160], v[159:160], v[161:162], v[159:160]
	v_mul_f64 v[161:162], v[163:164], v[159:160]
	v_fma_f64 v[157:158], -v[157:158], v[161:162], v[163:164]
	v_div_fmas_f64 v[157:158], v[157:158], v[159:160], v[161:162]
	v_div_fixup_f64 v[157:158], v[157:158], v[144:145], v[142:143]
	v_fma_f64 v[142:143], v[142:143], v[157:158], v[144:145]
	v_div_scale_f64 v[144:145], null, v[142:143], v[142:143], 1.0
	v_rcp_f64_e32 v[159:160], v[144:145]
	v_fma_f64 v[161:162], -v[144:145], v[159:160], 1.0
	v_fma_f64 v[159:160], v[159:160], v[161:162], v[159:160]
	v_fma_f64 v[161:162], -v[144:145], v[159:160], 1.0
	v_fma_f64 v[159:160], v[159:160], v[161:162], v[159:160]
	v_div_scale_f64 v[161:162], vcc_lo, 1.0, v[142:143], 1.0
	v_mul_f64 v[163:164], v[161:162], v[159:160]
	v_fma_f64 v[144:145], -v[144:145], v[163:164], v[161:162]
	v_div_fmas_f64 v[144:145], v[144:145], v[159:160], v[163:164]
	v_div_fixup_f64 v[144:145], v[144:145], v[142:143], 1.0
	v_mul_f64 v[142:143], v[157:158], v[144:145]
	v_xor_b32_e32 v145, 0x80000000, v145
.LBB68_448:
	s_andn2_saveexec_b32 s1, s1
	s_cbranch_execz .LBB68_450
; %bb.449:
	v_div_scale_f64 v[157:158], null, v[142:143], v[142:143], v[144:145]
	v_div_scale_f64 v[163:164], vcc_lo, v[144:145], v[142:143], v[144:145]
	v_rcp_f64_e32 v[159:160], v[157:158]
	v_fma_f64 v[161:162], -v[157:158], v[159:160], 1.0
	v_fma_f64 v[159:160], v[159:160], v[161:162], v[159:160]
	v_fma_f64 v[161:162], -v[157:158], v[159:160], 1.0
	v_fma_f64 v[159:160], v[159:160], v[161:162], v[159:160]
	v_mul_f64 v[161:162], v[163:164], v[159:160]
	v_fma_f64 v[157:158], -v[157:158], v[161:162], v[163:164]
	v_div_fmas_f64 v[157:158], v[157:158], v[159:160], v[161:162]
	v_div_fixup_f64 v[157:158], v[157:158], v[142:143], v[144:145]
	v_fma_f64 v[142:143], v[144:145], v[157:158], v[142:143]
	v_div_scale_f64 v[144:145], null, v[142:143], v[142:143], 1.0
	v_rcp_f64_e32 v[159:160], v[144:145]
	v_fma_f64 v[161:162], -v[144:145], v[159:160], 1.0
	v_fma_f64 v[159:160], v[159:160], v[161:162], v[159:160]
	v_fma_f64 v[161:162], -v[144:145], v[159:160], 1.0
	v_fma_f64 v[159:160], v[159:160], v[161:162], v[159:160]
	v_div_scale_f64 v[161:162], vcc_lo, 1.0, v[142:143], 1.0
	v_mul_f64 v[163:164], v[161:162], v[159:160]
	v_fma_f64 v[144:145], -v[144:145], v[163:164], v[161:162]
	v_div_fmas_f64 v[144:145], v[144:145], v[159:160], v[163:164]
	v_div_fixup_f64 v[142:143], v[144:145], v[142:143], 1.0
	v_mul_f64 v[144:145], v[157:158], -v[142:143]
.LBB68_450:
	s_or_b32 exec_lo, exec_lo, s1
.LBB68_451:
	s_or_b32 exec_lo, exec_lo, s0
	s_mov_b32 s0, exec_lo
	v_cmpx_ne_u32_e64 v156, v150
	s_xor_b32 s0, exec_lo, s0
	s_cbranch_execz .LBB68_457
; %bb.452:
	s_mov_b32 s1, exec_lo
	v_cmpx_eq_u32_e32 21, v156
	s_cbranch_execz .LBB68_456
; %bb.453:
	v_cmp_ne_u32_e32 vcc_lo, 21, v150
	s_xor_b32 s2, s16, -1
	s_and_b32 s3, s2, vcc_lo
	s_and_saveexec_b32 s2, s3
	s_cbranch_execz .LBB68_455
; %bb.454:
	v_ashrrev_i32_e32 v151, 31, v150
	v_lshlrev_b64 v[156:157], 2, v[150:151]
	v_add_co_u32 v156, vcc_lo, v148, v156
	v_add_co_ci_u32_e64 v157, null, v149, v157, vcc_lo
	s_clause 0x1
	global_load_dword v0, v[156:157], off
	global_load_dword v151, v[148:149], off offset:84
	s_waitcnt vmcnt(1)
	global_store_dword v[148:149], v0, off offset:84
	s_waitcnt vmcnt(0)
	global_store_dword v[156:157], v151, off
.LBB68_455:
	s_or_b32 exec_lo, exec_lo, s2
	v_mov_b32_e32 v156, v150
	v_mov_b32_e32 v0, v150
.LBB68_456:
	s_or_b32 exec_lo, exec_lo, s1
.LBB68_457:
	s_andn2_saveexec_b32 s0, s0
	s_cbranch_execz .LBB68_459
; %bb.458:
	v_mov_b32_e32 v156, 21
	ds_write2_b64 v1, v[50:51], v[52:53] offset0:44 offset1:45
	ds_write2_b64 v1, v[46:47], v[48:49] offset0:46 offset1:47
	;; [unrolled: 1-line block ×13, first 2 shown]
.LBB68_459:
	s_or_b32 exec_lo, exec_lo, s0
	s_mov_b32 s0, exec_lo
	s_waitcnt lgkmcnt(0)
	s_waitcnt_vscnt null, 0x0
	s_barrier
	buffer_gl0_inv
	v_cmpx_lt_i32_e32 21, v156
	s_cbranch_execz .LBB68_461
; %bb.460:
	v_mul_f64 v[150:151], v[142:143], v[56:57]
	v_mul_f64 v[56:57], v[144:145], v[56:57]
	v_fma_f64 v[150:151], v[144:145], v[54:55], v[150:151]
	v_fma_f64 v[54:55], v[142:143], v[54:55], -v[56:57]
	ds_read2_b64 v[142:145], v1 offset0:44 offset1:45
	s_waitcnt lgkmcnt(0)
	v_mul_f64 v[56:57], v[144:145], v[150:151]
	v_fma_f64 v[56:57], v[142:143], v[54:55], -v[56:57]
	v_mul_f64 v[142:143], v[142:143], v[150:151]
	v_add_f64 v[50:51], v[50:51], -v[56:57]
	v_fma_f64 v[142:143], v[144:145], v[54:55], v[142:143]
	v_add_f64 v[52:53], v[52:53], -v[142:143]
	ds_read2_b64 v[142:145], v1 offset0:46 offset1:47
	s_waitcnt lgkmcnt(0)
	v_mul_f64 v[56:57], v[144:145], v[150:151]
	v_fma_f64 v[56:57], v[142:143], v[54:55], -v[56:57]
	v_mul_f64 v[142:143], v[142:143], v[150:151]
	v_add_f64 v[46:47], v[46:47], -v[56:57]
	v_fma_f64 v[142:143], v[144:145], v[54:55], v[142:143]
	v_add_f64 v[48:49], v[48:49], -v[142:143]
	;; [unrolled: 8-line block ×12, first 2 shown]
	ds_read2_b64 v[142:145], v1 offset0:68 offset1:69
	s_waitcnt lgkmcnt(0)
	v_mul_f64 v[56:57], v[144:145], v[150:151]
	v_fma_f64 v[56:57], v[142:143], v[54:55], -v[56:57]
	v_mul_f64 v[142:143], v[142:143], v[150:151]
	v_add_f64 v[2:3], v[2:3], -v[56:57]
	v_fma_f64 v[142:143], v[144:145], v[54:55], v[142:143]
	v_mov_b32_e32 v56, v150
	v_mov_b32_e32 v57, v151
	v_add_f64 v[4:5], v[4:5], -v[142:143]
.LBB68_461:
	s_or_b32 exec_lo, exec_lo, s0
	v_lshl_add_u32 v142, v156, 4, v1
	s_barrier
	buffer_gl0_inv
	v_mov_b32_e32 v150, 22
	ds_write2_b64 v142, v[50:51], v[52:53] offset1:1
	s_waitcnt lgkmcnt(0)
	s_barrier
	buffer_gl0_inv
	ds_read2_b64 v[142:145], v1 offset0:44 offset1:45
	s_cmp_lt_i32 s18, 24
	s_cbranch_scc1 .LBB68_464
; %bb.462:
	v_add3_u32 v151, v152, 0, 0x170
	v_mov_b32_e32 v150, 22
	s_mov_b32 s1, 23
	s_inst_prefetch 0x1
	.p2align	6
.LBB68_463:                             ; =>This Inner Loop Header: Depth=1
	s_waitcnt lgkmcnt(0)
	v_cmp_gt_f64_e32 vcc_lo, 0, v[144:145]
	v_cmp_gt_f64_e64 s0, 0, v[142:143]
	ds_read2_b64 v[157:160], v151 offset1:1
	v_xor_b32_e32 v162, 0x80000000, v143
	v_xor_b32_e32 v164, 0x80000000, v145
	v_mov_b32_e32 v161, v142
	v_mov_b32_e32 v163, v144
	v_add_nc_u32_e32 v151, 16, v151
	s_waitcnt lgkmcnt(0)
	v_xor_b32_e32 v166, 0x80000000, v160
	v_cndmask_b32_e64 v162, v143, v162, s0
	v_cndmask_b32_e32 v164, v145, v164, vcc_lo
	v_cmp_gt_f64_e32 vcc_lo, 0, v[159:160]
	v_cmp_gt_f64_e64 s0, 0, v[157:158]
	v_mov_b32_e32 v165, v159
	v_add_f64 v[161:162], v[161:162], v[163:164]
	v_xor_b32_e32 v164, 0x80000000, v158
	v_mov_b32_e32 v163, v157
	v_cndmask_b32_e32 v166, v160, v166, vcc_lo
	v_cndmask_b32_e64 v164, v158, v164, s0
	v_add_f64 v[163:164], v[163:164], v[165:166]
	v_cmp_lt_f64_e32 vcc_lo, v[161:162], v[163:164]
	v_cndmask_b32_e32 v143, v143, v158, vcc_lo
	v_cndmask_b32_e32 v142, v142, v157, vcc_lo
	;; [unrolled: 1-line block ×4, first 2 shown]
	v_cndmask_b32_e64 v150, v150, s1, vcc_lo
	s_add_i32 s1, s1, 1
	s_cmp_lg_u32 s18, s1
	s_cbranch_scc1 .LBB68_463
.LBB68_464:
	s_inst_prefetch 0x2
	s_waitcnt lgkmcnt(0)
	v_cmp_eq_f64_e32 vcc_lo, 0, v[142:143]
	v_cmp_eq_f64_e64 s0, 0, v[144:145]
	s_and_b32 s0, vcc_lo, s0
	s_and_saveexec_b32 s1, s0
	s_xor_b32 s0, exec_lo, s1
; %bb.465:
	v_cmp_ne_u32_e32 vcc_lo, 0, v155
	v_cndmask_b32_e32 v155, 23, v155, vcc_lo
; %bb.466:
	s_andn2_saveexec_b32 s0, s0
	s_cbranch_execz .LBB68_472
; %bb.467:
	v_cmp_ngt_f64_e64 s1, |v[142:143]|, |v[144:145]|
	s_and_saveexec_b32 s2, s1
	s_xor_b32 s1, exec_lo, s2
	s_cbranch_execz .LBB68_469
; %bb.468:
	v_div_scale_f64 v[157:158], null, v[144:145], v[144:145], v[142:143]
	v_div_scale_f64 v[163:164], vcc_lo, v[142:143], v[144:145], v[142:143]
	v_rcp_f64_e32 v[159:160], v[157:158]
	v_fma_f64 v[161:162], -v[157:158], v[159:160], 1.0
	v_fma_f64 v[159:160], v[159:160], v[161:162], v[159:160]
	v_fma_f64 v[161:162], -v[157:158], v[159:160], 1.0
	v_fma_f64 v[159:160], v[159:160], v[161:162], v[159:160]
	v_mul_f64 v[161:162], v[163:164], v[159:160]
	v_fma_f64 v[157:158], -v[157:158], v[161:162], v[163:164]
	v_div_fmas_f64 v[157:158], v[157:158], v[159:160], v[161:162]
	v_div_fixup_f64 v[157:158], v[157:158], v[144:145], v[142:143]
	v_fma_f64 v[142:143], v[142:143], v[157:158], v[144:145]
	v_div_scale_f64 v[144:145], null, v[142:143], v[142:143], 1.0
	v_rcp_f64_e32 v[159:160], v[144:145]
	v_fma_f64 v[161:162], -v[144:145], v[159:160], 1.0
	v_fma_f64 v[159:160], v[159:160], v[161:162], v[159:160]
	v_fma_f64 v[161:162], -v[144:145], v[159:160], 1.0
	v_fma_f64 v[159:160], v[159:160], v[161:162], v[159:160]
	v_div_scale_f64 v[161:162], vcc_lo, 1.0, v[142:143], 1.0
	v_mul_f64 v[163:164], v[161:162], v[159:160]
	v_fma_f64 v[144:145], -v[144:145], v[163:164], v[161:162]
	v_div_fmas_f64 v[144:145], v[144:145], v[159:160], v[163:164]
	v_div_fixup_f64 v[144:145], v[144:145], v[142:143], 1.0
	v_mul_f64 v[142:143], v[157:158], v[144:145]
	v_xor_b32_e32 v145, 0x80000000, v145
.LBB68_469:
	s_andn2_saveexec_b32 s1, s1
	s_cbranch_execz .LBB68_471
; %bb.470:
	v_div_scale_f64 v[157:158], null, v[142:143], v[142:143], v[144:145]
	v_div_scale_f64 v[163:164], vcc_lo, v[144:145], v[142:143], v[144:145]
	v_rcp_f64_e32 v[159:160], v[157:158]
	v_fma_f64 v[161:162], -v[157:158], v[159:160], 1.0
	v_fma_f64 v[159:160], v[159:160], v[161:162], v[159:160]
	v_fma_f64 v[161:162], -v[157:158], v[159:160], 1.0
	v_fma_f64 v[159:160], v[159:160], v[161:162], v[159:160]
	v_mul_f64 v[161:162], v[163:164], v[159:160]
	v_fma_f64 v[157:158], -v[157:158], v[161:162], v[163:164]
	v_div_fmas_f64 v[157:158], v[157:158], v[159:160], v[161:162]
	v_div_fixup_f64 v[157:158], v[157:158], v[142:143], v[144:145]
	v_fma_f64 v[142:143], v[144:145], v[157:158], v[142:143]
	v_div_scale_f64 v[144:145], null, v[142:143], v[142:143], 1.0
	v_rcp_f64_e32 v[159:160], v[144:145]
	v_fma_f64 v[161:162], -v[144:145], v[159:160], 1.0
	v_fma_f64 v[159:160], v[159:160], v[161:162], v[159:160]
	v_fma_f64 v[161:162], -v[144:145], v[159:160], 1.0
	v_fma_f64 v[159:160], v[159:160], v[161:162], v[159:160]
	v_div_scale_f64 v[161:162], vcc_lo, 1.0, v[142:143], 1.0
	v_mul_f64 v[163:164], v[161:162], v[159:160]
	v_fma_f64 v[144:145], -v[144:145], v[163:164], v[161:162]
	v_div_fmas_f64 v[144:145], v[144:145], v[159:160], v[163:164]
	v_div_fixup_f64 v[142:143], v[144:145], v[142:143], 1.0
	v_mul_f64 v[144:145], v[157:158], -v[142:143]
.LBB68_471:
	s_or_b32 exec_lo, exec_lo, s1
.LBB68_472:
	s_or_b32 exec_lo, exec_lo, s0
	s_mov_b32 s0, exec_lo
	v_cmpx_ne_u32_e64 v156, v150
	s_xor_b32 s0, exec_lo, s0
	s_cbranch_execz .LBB68_478
; %bb.473:
	s_mov_b32 s1, exec_lo
	v_cmpx_eq_u32_e32 22, v156
	s_cbranch_execz .LBB68_477
; %bb.474:
	v_cmp_ne_u32_e32 vcc_lo, 22, v150
	s_xor_b32 s2, s16, -1
	s_and_b32 s3, s2, vcc_lo
	s_and_saveexec_b32 s2, s3
	s_cbranch_execz .LBB68_476
; %bb.475:
	v_ashrrev_i32_e32 v151, 31, v150
	v_lshlrev_b64 v[156:157], 2, v[150:151]
	v_add_co_u32 v156, vcc_lo, v148, v156
	v_add_co_ci_u32_e64 v157, null, v149, v157, vcc_lo
	s_clause 0x1
	global_load_dword v0, v[156:157], off
	global_load_dword v151, v[148:149], off offset:88
	s_waitcnt vmcnt(1)
	global_store_dword v[148:149], v0, off offset:88
	s_waitcnt vmcnt(0)
	global_store_dword v[156:157], v151, off
.LBB68_476:
	s_or_b32 exec_lo, exec_lo, s2
	v_mov_b32_e32 v156, v150
	v_mov_b32_e32 v0, v150
.LBB68_477:
	s_or_b32 exec_lo, exec_lo, s1
.LBB68_478:
	s_andn2_saveexec_b32 s0, s0
	s_cbranch_execz .LBB68_480
; %bb.479:
	v_mov_b32_e32 v156, 22
	ds_write2_b64 v1, v[46:47], v[48:49] offset0:46 offset1:47
	ds_write2_b64 v1, v[42:43], v[44:45] offset0:48 offset1:49
	;; [unrolled: 1-line block ×12, first 2 shown]
.LBB68_480:
	s_or_b32 exec_lo, exec_lo, s0
	s_mov_b32 s0, exec_lo
	s_waitcnt lgkmcnt(0)
	s_waitcnt_vscnt null, 0x0
	s_barrier
	buffer_gl0_inv
	v_cmpx_lt_i32_e32 22, v156
	s_cbranch_execz .LBB68_482
; %bb.481:
	v_mul_f64 v[150:151], v[142:143], v[52:53]
	v_mul_f64 v[52:53], v[144:145], v[52:53]
	v_fma_f64 v[150:151], v[144:145], v[50:51], v[150:151]
	v_fma_f64 v[50:51], v[142:143], v[50:51], -v[52:53]
	ds_read2_b64 v[142:145], v1 offset0:46 offset1:47
	s_waitcnt lgkmcnt(0)
	v_mul_f64 v[52:53], v[144:145], v[150:151]
	v_fma_f64 v[52:53], v[142:143], v[50:51], -v[52:53]
	v_mul_f64 v[142:143], v[142:143], v[150:151]
	v_add_f64 v[46:47], v[46:47], -v[52:53]
	v_fma_f64 v[142:143], v[144:145], v[50:51], v[142:143]
	v_add_f64 v[48:49], v[48:49], -v[142:143]
	ds_read2_b64 v[142:145], v1 offset0:48 offset1:49
	s_waitcnt lgkmcnt(0)
	v_mul_f64 v[52:53], v[144:145], v[150:151]
	v_fma_f64 v[52:53], v[142:143], v[50:51], -v[52:53]
	v_mul_f64 v[142:143], v[142:143], v[150:151]
	v_add_f64 v[42:43], v[42:43], -v[52:53]
	v_fma_f64 v[142:143], v[144:145], v[50:51], v[142:143]
	v_add_f64 v[44:45], v[44:45], -v[142:143]
	;; [unrolled: 8-line block ×11, first 2 shown]
	ds_read2_b64 v[142:145], v1 offset0:68 offset1:69
	s_waitcnt lgkmcnt(0)
	v_mul_f64 v[52:53], v[144:145], v[150:151]
	v_fma_f64 v[52:53], v[142:143], v[50:51], -v[52:53]
	v_mul_f64 v[142:143], v[142:143], v[150:151]
	v_add_f64 v[2:3], v[2:3], -v[52:53]
	v_fma_f64 v[142:143], v[144:145], v[50:51], v[142:143]
	v_mov_b32_e32 v52, v150
	v_mov_b32_e32 v53, v151
	v_add_f64 v[4:5], v[4:5], -v[142:143]
.LBB68_482:
	s_or_b32 exec_lo, exec_lo, s0
	v_lshl_add_u32 v142, v156, 4, v1
	s_barrier
	buffer_gl0_inv
	v_mov_b32_e32 v150, 23
	ds_write2_b64 v142, v[46:47], v[48:49] offset1:1
	s_waitcnt lgkmcnt(0)
	s_barrier
	buffer_gl0_inv
	ds_read2_b64 v[142:145], v1 offset0:46 offset1:47
	s_cmp_lt_i32 s18, 25
	s_cbranch_scc1 .LBB68_485
; %bb.483:
	v_add3_u32 v151, v152, 0, 0x180
	v_mov_b32_e32 v150, 23
	s_mov_b32 s1, 24
	s_inst_prefetch 0x1
	.p2align	6
.LBB68_484:                             ; =>This Inner Loop Header: Depth=1
	s_waitcnt lgkmcnt(0)
	v_cmp_gt_f64_e32 vcc_lo, 0, v[144:145]
	v_cmp_gt_f64_e64 s0, 0, v[142:143]
	ds_read2_b64 v[157:160], v151 offset1:1
	v_xor_b32_e32 v162, 0x80000000, v143
	v_xor_b32_e32 v164, 0x80000000, v145
	v_mov_b32_e32 v161, v142
	v_mov_b32_e32 v163, v144
	v_add_nc_u32_e32 v151, 16, v151
	s_waitcnt lgkmcnt(0)
	v_xor_b32_e32 v166, 0x80000000, v160
	v_cndmask_b32_e64 v162, v143, v162, s0
	v_cndmask_b32_e32 v164, v145, v164, vcc_lo
	v_cmp_gt_f64_e32 vcc_lo, 0, v[159:160]
	v_cmp_gt_f64_e64 s0, 0, v[157:158]
	v_mov_b32_e32 v165, v159
	v_add_f64 v[161:162], v[161:162], v[163:164]
	v_xor_b32_e32 v164, 0x80000000, v158
	v_mov_b32_e32 v163, v157
	v_cndmask_b32_e32 v166, v160, v166, vcc_lo
	v_cndmask_b32_e64 v164, v158, v164, s0
	v_add_f64 v[163:164], v[163:164], v[165:166]
	v_cmp_lt_f64_e32 vcc_lo, v[161:162], v[163:164]
	v_cndmask_b32_e32 v143, v143, v158, vcc_lo
	v_cndmask_b32_e32 v142, v142, v157, vcc_lo
	;; [unrolled: 1-line block ×4, first 2 shown]
	v_cndmask_b32_e64 v150, v150, s1, vcc_lo
	s_add_i32 s1, s1, 1
	s_cmp_lg_u32 s18, s1
	s_cbranch_scc1 .LBB68_484
.LBB68_485:
	s_inst_prefetch 0x2
	s_waitcnt lgkmcnt(0)
	v_cmp_eq_f64_e32 vcc_lo, 0, v[142:143]
	v_cmp_eq_f64_e64 s0, 0, v[144:145]
	s_and_b32 s0, vcc_lo, s0
	s_and_saveexec_b32 s1, s0
	s_xor_b32 s0, exec_lo, s1
; %bb.486:
	v_cmp_ne_u32_e32 vcc_lo, 0, v155
	v_cndmask_b32_e32 v155, 24, v155, vcc_lo
; %bb.487:
	s_andn2_saveexec_b32 s0, s0
	s_cbranch_execz .LBB68_493
; %bb.488:
	v_cmp_ngt_f64_e64 s1, |v[142:143]|, |v[144:145]|
	s_and_saveexec_b32 s2, s1
	s_xor_b32 s1, exec_lo, s2
	s_cbranch_execz .LBB68_490
; %bb.489:
	v_div_scale_f64 v[157:158], null, v[144:145], v[144:145], v[142:143]
	v_div_scale_f64 v[163:164], vcc_lo, v[142:143], v[144:145], v[142:143]
	v_rcp_f64_e32 v[159:160], v[157:158]
	v_fma_f64 v[161:162], -v[157:158], v[159:160], 1.0
	v_fma_f64 v[159:160], v[159:160], v[161:162], v[159:160]
	v_fma_f64 v[161:162], -v[157:158], v[159:160], 1.0
	v_fma_f64 v[159:160], v[159:160], v[161:162], v[159:160]
	v_mul_f64 v[161:162], v[163:164], v[159:160]
	v_fma_f64 v[157:158], -v[157:158], v[161:162], v[163:164]
	v_div_fmas_f64 v[157:158], v[157:158], v[159:160], v[161:162]
	v_div_fixup_f64 v[157:158], v[157:158], v[144:145], v[142:143]
	v_fma_f64 v[142:143], v[142:143], v[157:158], v[144:145]
	v_div_scale_f64 v[144:145], null, v[142:143], v[142:143], 1.0
	v_rcp_f64_e32 v[159:160], v[144:145]
	v_fma_f64 v[161:162], -v[144:145], v[159:160], 1.0
	v_fma_f64 v[159:160], v[159:160], v[161:162], v[159:160]
	v_fma_f64 v[161:162], -v[144:145], v[159:160], 1.0
	v_fma_f64 v[159:160], v[159:160], v[161:162], v[159:160]
	v_div_scale_f64 v[161:162], vcc_lo, 1.0, v[142:143], 1.0
	v_mul_f64 v[163:164], v[161:162], v[159:160]
	v_fma_f64 v[144:145], -v[144:145], v[163:164], v[161:162]
	v_div_fmas_f64 v[144:145], v[144:145], v[159:160], v[163:164]
	v_div_fixup_f64 v[144:145], v[144:145], v[142:143], 1.0
	v_mul_f64 v[142:143], v[157:158], v[144:145]
	v_xor_b32_e32 v145, 0x80000000, v145
.LBB68_490:
	s_andn2_saveexec_b32 s1, s1
	s_cbranch_execz .LBB68_492
; %bb.491:
	v_div_scale_f64 v[157:158], null, v[142:143], v[142:143], v[144:145]
	v_div_scale_f64 v[163:164], vcc_lo, v[144:145], v[142:143], v[144:145]
	v_rcp_f64_e32 v[159:160], v[157:158]
	v_fma_f64 v[161:162], -v[157:158], v[159:160], 1.0
	v_fma_f64 v[159:160], v[159:160], v[161:162], v[159:160]
	v_fma_f64 v[161:162], -v[157:158], v[159:160], 1.0
	v_fma_f64 v[159:160], v[159:160], v[161:162], v[159:160]
	v_mul_f64 v[161:162], v[163:164], v[159:160]
	v_fma_f64 v[157:158], -v[157:158], v[161:162], v[163:164]
	v_div_fmas_f64 v[157:158], v[157:158], v[159:160], v[161:162]
	v_div_fixup_f64 v[157:158], v[157:158], v[142:143], v[144:145]
	v_fma_f64 v[142:143], v[144:145], v[157:158], v[142:143]
	v_div_scale_f64 v[144:145], null, v[142:143], v[142:143], 1.0
	v_rcp_f64_e32 v[159:160], v[144:145]
	v_fma_f64 v[161:162], -v[144:145], v[159:160], 1.0
	v_fma_f64 v[159:160], v[159:160], v[161:162], v[159:160]
	v_fma_f64 v[161:162], -v[144:145], v[159:160], 1.0
	v_fma_f64 v[159:160], v[159:160], v[161:162], v[159:160]
	v_div_scale_f64 v[161:162], vcc_lo, 1.0, v[142:143], 1.0
	v_mul_f64 v[163:164], v[161:162], v[159:160]
	v_fma_f64 v[144:145], -v[144:145], v[163:164], v[161:162]
	v_div_fmas_f64 v[144:145], v[144:145], v[159:160], v[163:164]
	v_div_fixup_f64 v[142:143], v[144:145], v[142:143], 1.0
	v_mul_f64 v[144:145], v[157:158], -v[142:143]
.LBB68_492:
	s_or_b32 exec_lo, exec_lo, s1
.LBB68_493:
	s_or_b32 exec_lo, exec_lo, s0
	s_mov_b32 s0, exec_lo
	v_cmpx_ne_u32_e64 v156, v150
	s_xor_b32 s0, exec_lo, s0
	s_cbranch_execz .LBB68_499
; %bb.494:
	s_mov_b32 s1, exec_lo
	v_cmpx_eq_u32_e32 23, v156
	s_cbranch_execz .LBB68_498
; %bb.495:
	v_cmp_ne_u32_e32 vcc_lo, 23, v150
	s_xor_b32 s2, s16, -1
	s_and_b32 s3, s2, vcc_lo
	s_and_saveexec_b32 s2, s3
	s_cbranch_execz .LBB68_497
; %bb.496:
	v_ashrrev_i32_e32 v151, 31, v150
	v_lshlrev_b64 v[156:157], 2, v[150:151]
	v_add_co_u32 v156, vcc_lo, v148, v156
	v_add_co_ci_u32_e64 v157, null, v149, v157, vcc_lo
	s_clause 0x1
	global_load_dword v0, v[156:157], off
	global_load_dword v151, v[148:149], off offset:92
	s_waitcnt vmcnt(1)
	global_store_dword v[148:149], v0, off offset:92
	s_waitcnt vmcnt(0)
	global_store_dword v[156:157], v151, off
.LBB68_497:
	s_or_b32 exec_lo, exec_lo, s2
	v_mov_b32_e32 v156, v150
	v_mov_b32_e32 v0, v150
.LBB68_498:
	s_or_b32 exec_lo, exec_lo, s1
.LBB68_499:
	s_andn2_saveexec_b32 s0, s0
	s_cbranch_execz .LBB68_501
; %bb.500:
	v_mov_b32_e32 v156, 23
	ds_write2_b64 v1, v[42:43], v[44:45] offset0:48 offset1:49
	ds_write2_b64 v1, v[38:39], v[40:41] offset0:50 offset1:51
	;; [unrolled: 1-line block ×11, first 2 shown]
.LBB68_501:
	s_or_b32 exec_lo, exec_lo, s0
	s_mov_b32 s0, exec_lo
	s_waitcnt lgkmcnt(0)
	s_waitcnt_vscnt null, 0x0
	s_barrier
	buffer_gl0_inv
	v_cmpx_lt_i32_e32 23, v156
	s_cbranch_execz .LBB68_503
; %bb.502:
	v_mul_f64 v[150:151], v[142:143], v[48:49]
	v_mul_f64 v[48:49], v[144:145], v[48:49]
	v_fma_f64 v[150:151], v[144:145], v[46:47], v[150:151]
	v_fma_f64 v[46:47], v[142:143], v[46:47], -v[48:49]
	ds_read2_b64 v[142:145], v1 offset0:48 offset1:49
	s_waitcnt lgkmcnt(0)
	v_mul_f64 v[48:49], v[144:145], v[150:151]
	v_fma_f64 v[48:49], v[142:143], v[46:47], -v[48:49]
	v_mul_f64 v[142:143], v[142:143], v[150:151]
	v_add_f64 v[42:43], v[42:43], -v[48:49]
	v_fma_f64 v[142:143], v[144:145], v[46:47], v[142:143]
	v_add_f64 v[44:45], v[44:45], -v[142:143]
	ds_read2_b64 v[142:145], v1 offset0:50 offset1:51
	s_waitcnt lgkmcnt(0)
	v_mul_f64 v[48:49], v[144:145], v[150:151]
	v_fma_f64 v[48:49], v[142:143], v[46:47], -v[48:49]
	v_mul_f64 v[142:143], v[142:143], v[150:151]
	v_add_f64 v[38:39], v[38:39], -v[48:49]
	v_fma_f64 v[142:143], v[144:145], v[46:47], v[142:143]
	v_add_f64 v[40:41], v[40:41], -v[142:143]
	;; [unrolled: 8-line block ×10, first 2 shown]
	ds_read2_b64 v[142:145], v1 offset0:68 offset1:69
	s_waitcnt lgkmcnt(0)
	v_mul_f64 v[48:49], v[144:145], v[150:151]
	v_fma_f64 v[48:49], v[142:143], v[46:47], -v[48:49]
	v_mul_f64 v[142:143], v[142:143], v[150:151]
	v_add_f64 v[2:3], v[2:3], -v[48:49]
	v_fma_f64 v[142:143], v[144:145], v[46:47], v[142:143]
	v_mov_b32_e32 v48, v150
	v_mov_b32_e32 v49, v151
	v_add_f64 v[4:5], v[4:5], -v[142:143]
.LBB68_503:
	s_or_b32 exec_lo, exec_lo, s0
	v_lshl_add_u32 v142, v156, 4, v1
	s_barrier
	buffer_gl0_inv
	v_mov_b32_e32 v150, 24
	ds_write2_b64 v142, v[42:43], v[44:45] offset1:1
	s_waitcnt lgkmcnt(0)
	s_barrier
	buffer_gl0_inv
	ds_read2_b64 v[142:145], v1 offset0:48 offset1:49
	s_cmp_lt_i32 s18, 26
	s_cbranch_scc1 .LBB68_506
; %bb.504:
	v_add3_u32 v151, v152, 0, 0x190
	v_mov_b32_e32 v150, 24
	s_mov_b32 s1, 25
	s_inst_prefetch 0x1
	.p2align	6
.LBB68_505:                             ; =>This Inner Loop Header: Depth=1
	s_waitcnt lgkmcnt(0)
	v_cmp_gt_f64_e32 vcc_lo, 0, v[144:145]
	v_cmp_gt_f64_e64 s0, 0, v[142:143]
	ds_read2_b64 v[157:160], v151 offset1:1
	v_xor_b32_e32 v162, 0x80000000, v143
	v_xor_b32_e32 v164, 0x80000000, v145
	v_mov_b32_e32 v161, v142
	v_mov_b32_e32 v163, v144
	v_add_nc_u32_e32 v151, 16, v151
	s_waitcnt lgkmcnt(0)
	v_xor_b32_e32 v166, 0x80000000, v160
	v_cndmask_b32_e64 v162, v143, v162, s0
	v_cndmask_b32_e32 v164, v145, v164, vcc_lo
	v_cmp_gt_f64_e32 vcc_lo, 0, v[159:160]
	v_cmp_gt_f64_e64 s0, 0, v[157:158]
	v_mov_b32_e32 v165, v159
	v_add_f64 v[161:162], v[161:162], v[163:164]
	v_xor_b32_e32 v164, 0x80000000, v158
	v_mov_b32_e32 v163, v157
	v_cndmask_b32_e32 v166, v160, v166, vcc_lo
	v_cndmask_b32_e64 v164, v158, v164, s0
	v_add_f64 v[163:164], v[163:164], v[165:166]
	v_cmp_lt_f64_e32 vcc_lo, v[161:162], v[163:164]
	v_cndmask_b32_e32 v143, v143, v158, vcc_lo
	v_cndmask_b32_e32 v142, v142, v157, vcc_lo
	;; [unrolled: 1-line block ×4, first 2 shown]
	v_cndmask_b32_e64 v150, v150, s1, vcc_lo
	s_add_i32 s1, s1, 1
	s_cmp_lg_u32 s18, s1
	s_cbranch_scc1 .LBB68_505
.LBB68_506:
	s_inst_prefetch 0x2
	s_waitcnt lgkmcnt(0)
	v_cmp_eq_f64_e32 vcc_lo, 0, v[142:143]
	v_cmp_eq_f64_e64 s0, 0, v[144:145]
	s_and_b32 s0, vcc_lo, s0
	s_and_saveexec_b32 s1, s0
	s_xor_b32 s0, exec_lo, s1
; %bb.507:
	v_cmp_ne_u32_e32 vcc_lo, 0, v155
	v_cndmask_b32_e32 v155, 25, v155, vcc_lo
; %bb.508:
	s_andn2_saveexec_b32 s0, s0
	s_cbranch_execz .LBB68_514
; %bb.509:
	v_cmp_ngt_f64_e64 s1, |v[142:143]|, |v[144:145]|
	s_and_saveexec_b32 s2, s1
	s_xor_b32 s1, exec_lo, s2
	s_cbranch_execz .LBB68_511
; %bb.510:
	v_div_scale_f64 v[157:158], null, v[144:145], v[144:145], v[142:143]
	v_div_scale_f64 v[163:164], vcc_lo, v[142:143], v[144:145], v[142:143]
	v_rcp_f64_e32 v[159:160], v[157:158]
	v_fma_f64 v[161:162], -v[157:158], v[159:160], 1.0
	v_fma_f64 v[159:160], v[159:160], v[161:162], v[159:160]
	v_fma_f64 v[161:162], -v[157:158], v[159:160], 1.0
	v_fma_f64 v[159:160], v[159:160], v[161:162], v[159:160]
	v_mul_f64 v[161:162], v[163:164], v[159:160]
	v_fma_f64 v[157:158], -v[157:158], v[161:162], v[163:164]
	v_div_fmas_f64 v[157:158], v[157:158], v[159:160], v[161:162]
	v_div_fixup_f64 v[157:158], v[157:158], v[144:145], v[142:143]
	v_fma_f64 v[142:143], v[142:143], v[157:158], v[144:145]
	v_div_scale_f64 v[144:145], null, v[142:143], v[142:143], 1.0
	v_rcp_f64_e32 v[159:160], v[144:145]
	v_fma_f64 v[161:162], -v[144:145], v[159:160], 1.0
	v_fma_f64 v[159:160], v[159:160], v[161:162], v[159:160]
	v_fma_f64 v[161:162], -v[144:145], v[159:160], 1.0
	v_fma_f64 v[159:160], v[159:160], v[161:162], v[159:160]
	v_div_scale_f64 v[161:162], vcc_lo, 1.0, v[142:143], 1.0
	v_mul_f64 v[163:164], v[161:162], v[159:160]
	v_fma_f64 v[144:145], -v[144:145], v[163:164], v[161:162]
	v_div_fmas_f64 v[144:145], v[144:145], v[159:160], v[163:164]
	v_div_fixup_f64 v[144:145], v[144:145], v[142:143], 1.0
	v_mul_f64 v[142:143], v[157:158], v[144:145]
	v_xor_b32_e32 v145, 0x80000000, v145
.LBB68_511:
	s_andn2_saveexec_b32 s1, s1
	s_cbranch_execz .LBB68_513
; %bb.512:
	v_div_scale_f64 v[157:158], null, v[142:143], v[142:143], v[144:145]
	v_div_scale_f64 v[163:164], vcc_lo, v[144:145], v[142:143], v[144:145]
	v_rcp_f64_e32 v[159:160], v[157:158]
	v_fma_f64 v[161:162], -v[157:158], v[159:160], 1.0
	v_fma_f64 v[159:160], v[159:160], v[161:162], v[159:160]
	v_fma_f64 v[161:162], -v[157:158], v[159:160], 1.0
	v_fma_f64 v[159:160], v[159:160], v[161:162], v[159:160]
	v_mul_f64 v[161:162], v[163:164], v[159:160]
	v_fma_f64 v[157:158], -v[157:158], v[161:162], v[163:164]
	v_div_fmas_f64 v[157:158], v[157:158], v[159:160], v[161:162]
	v_div_fixup_f64 v[157:158], v[157:158], v[142:143], v[144:145]
	v_fma_f64 v[142:143], v[144:145], v[157:158], v[142:143]
	v_div_scale_f64 v[144:145], null, v[142:143], v[142:143], 1.0
	v_rcp_f64_e32 v[159:160], v[144:145]
	v_fma_f64 v[161:162], -v[144:145], v[159:160], 1.0
	v_fma_f64 v[159:160], v[159:160], v[161:162], v[159:160]
	v_fma_f64 v[161:162], -v[144:145], v[159:160], 1.0
	v_fma_f64 v[159:160], v[159:160], v[161:162], v[159:160]
	v_div_scale_f64 v[161:162], vcc_lo, 1.0, v[142:143], 1.0
	v_mul_f64 v[163:164], v[161:162], v[159:160]
	v_fma_f64 v[144:145], -v[144:145], v[163:164], v[161:162]
	v_div_fmas_f64 v[144:145], v[144:145], v[159:160], v[163:164]
	v_div_fixup_f64 v[142:143], v[144:145], v[142:143], 1.0
	v_mul_f64 v[144:145], v[157:158], -v[142:143]
.LBB68_513:
	s_or_b32 exec_lo, exec_lo, s1
.LBB68_514:
	s_or_b32 exec_lo, exec_lo, s0
	s_mov_b32 s0, exec_lo
	v_cmpx_ne_u32_e64 v156, v150
	s_xor_b32 s0, exec_lo, s0
	s_cbranch_execz .LBB68_520
; %bb.515:
	s_mov_b32 s1, exec_lo
	v_cmpx_eq_u32_e32 24, v156
	s_cbranch_execz .LBB68_519
; %bb.516:
	v_cmp_ne_u32_e32 vcc_lo, 24, v150
	s_xor_b32 s2, s16, -1
	s_and_b32 s3, s2, vcc_lo
	s_and_saveexec_b32 s2, s3
	s_cbranch_execz .LBB68_518
; %bb.517:
	v_ashrrev_i32_e32 v151, 31, v150
	v_lshlrev_b64 v[156:157], 2, v[150:151]
	v_add_co_u32 v156, vcc_lo, v148, v156
	v_add_co_ci_u32_e64 v157, null, v149, v157, vcc_lo
	s_clause 0x1
	global_load_dword v0, v[156:157], off
	global_load_dword v151, v[148:149], off offset:96
	s_waitcnt vmcnt(1)
	global_store_dword v[148:149], v0, off offset:96
	s_waitcnt vmcnt(0)
	global_store_dword v[156:157], v151, off
.LBB68_518:
	s_or_b32 exec_lo, exec_lo, s2
	v_mov_b32_e32 v156, v150
	v_mov_b32_e32 v0, v150
.LBB68_519:
	s_or_b32 exec_lo, exec_lo, s1
.LBB68_520:
	s_andn2_saveexec_b32 s0, s0
	s_cbranch_execz .LBB68_522
; %bb.521:
	v_mov_b32_e32 v156, 24
	ds_write2_b64 v1, v[38:39], v[40:41] offset0:50 offset1:51
	ds_write2_b64 v1, v[34:35], v[36:37] offset0:52 offset1:53
	ds_write2_b64 v1, v[30:31], v[32:33] offset0:54 offset1:55
	ds_write2_b64 v1, v[26:27], v[28:29] offset0:56 offset1:57
	ds_write2_b64 v1, v[22:23], v[24:25] offset0:58 offset1:59
	ds_write2_b64 v1, v[18:19], v[20:21] offset0:60 offset1:61
	ds_write2_b64 v1, v[14:15], v[16:17] offset0:62 offset1:63
	ds_write2_b64 v1, v[10:11], v[12:13] offset0:64 offset1:65
	ds_write2_b64 v1, v[6:7], v[8:9] offset0:66 offset1:67
	ds_write2_b64 v1, v[2:3], v[4:5] offset0:68 offset1:69
.LBB68_522:
	s_or_b32 exec_lo, exec_lo, s0
	s_mov_b32 s0, exec_lo
	s_waitcnt lgkmcnt(0)
	s_waitcnt_vscnt null, 0x0
	s_barrier
	buffer_gl0_inv
	v_cmpx_lt_i32_e32 24, v156
	s_cbranch_execz .LBB68_524
; %bb.523:
	v_mul_f64 v[150:151], v[142:143], v[44:45]
	v_mul_f64 v[44:45], v[144:145], v[44:45]
	v_fma_f64 v[150:151], v[144:145], v[42:43], v[150:151]
	v_fma_f64 v[42:43], v[142:143], v[42:43], -v[44:45]
	ds_read2_b64 v[142:145], v1 offset0:50 offset1:51
	s_waitcnt lgkmcnt(0)
	v_mul_f64 v[44:45], v[144:145], v[150:151]
	v_fma_f64 v[44:45], v[142:143], v[42:43], -v[44:45]
	v_mul_f64 v[142:143], v[142:143], v[150:151]
	v_add_f64 v[38:39], v[38:39], -v[44:45]
	v_fma_f64 v[142:143], v[144:145], v[42:43], v[142:143]
	v_add_f64 v[40:41], v[40:41], -v[142:143]
	ds_read2_b64 v[142:145], v1 offset0:52 offset1:53
	s_waitcnt lgkmcnt(0)
	v_mul_f64 v[44:45], v[144:145], v[150:151]
	v_fma_f64 v[44:45], v[142:143], v[42:43], -v[44:45]
	v_mul_f64 v[142:143], v[142:143], v[150:151]
	v_add_f64 v[34:35], v[34:35], -v[44:45]
	v_fma_f64 v[142:143], v[144:145], v[42:43], v[142:143]
	v_add_f64 v[36:37], v[36:37], -v[142:143]
	;; [unrolled: 8-line block ×9, first 2 shown]
	ds_read2_b64 v[142:145], v1 offset0:68 offset1:69
	s_waitcnt lgkmcnt(0)
	v_mul_f64 v[44:45], v[144:145], v[150:151]
	v_fma_f64 v[44:45], v[142:143], v[42:43], -v[44:45]
	v_mul_f64 v[142:143], v[142:143], v[150:151]
	v_add_f64 v[2:3], v[2:3], -v[44:45]
	v_fma_f64 v[142:143], v[144:145], v[42:43], v[142:143]
	v_mov_b32_e32 v44, v150
	v_mov_b32_e32 v45, v151
	v_add_f64 v[4:5], v[4:5], -v[142:143]
.LBB68_524:
	s_or_b32 exec_lo, exec_lo, s0
	v_lshl_add_u32 v142, v156, 4, v1
	s_barrier
	buffer_gl0_inv
	v_mov_b32_e32 v150, 25
	ds_write2_b64 v142, v[38:39], v[40:41] offset1:1
	s_waitcnt lgkmcnt(0)
	s_barrier
	buffer_gl0_inv
	ds_read2_b64 v[142:145], v1 offset0:50 offset1:51
	s_cmp_lt_i32 s18, 27
	s_cbranch_scc1 .LBB68_527
; %bb.525:
	v_add3_u32 v151, v152, 0, 0x1a0
	v_mov_b32_e32 v150, 25
	s_mov_b32 s1, 26
	s_inst_prefetch 0x1
	.p2align	6
.LBB68_526:                             ; =>This Inner Loop Header: Depth=1
	s_waitcnt lgkmcnt(0)
	v_cmp_gt_f64_e32 vcc_lo, 0, v[144:145]
	v_cmp_gt_f64_e64 s0, 0, v[142:143]
	ds_read2_b64 v[157:160], v151 offset1:1
	v_xor_b32_e32 v162, 0x80000000, v143
	v_xor_b32_e32 v164, 0x80000000, v145
	v_mov_b32_e32 v161, v142
	v_mov_b32_e32 v163, v144
	v_add_nc_u32_e32 v151, 16, v151
	s_waitcnt lgkmcnt(0)
	v_xor_b32_e32 v166, 0x80000000, v160
	v_cndmask_b32_e64 v162, v143, v162, s0
	v_cndmask_b32_e32 v164, v145, v164, vcc_lo
	v_cmp_gt_f64_e32 vcc_lo, 0, v[159:160]
	v_cmp_gt_f64_e64 s0, 0, v[157:158]
	v_mov_b32_e32 v165, v159
	v_add_f64 v[161:162], v[161:162], v[163:164]
	v_xor_b32_e32 v164, 0x80000000, v158
	v_mov_b32_e32 v163, v157
	v_cndmask_b32_e32 v166, v160, v166, vcc_lo
	v_cndmask_b32_e64 v164, v158, v164, s0
	v_add_f64 v[163:164], v[163:164], v[165:166]
	v_cmp_lt_f64_e32 vcc_lo, v[161:162], v[163:164]
	v_cndmask_b32_e32 v143, v143, v158, vcc_lo
	v_cndmask_b32_e32 v142, v142, v157, vcc_lo
	;; [unrolled: 1-line block ×4, first 2 shown]
	v_cndmask_b32_e64 v150, v150, s1, vcc_lo
	s_add_i32 s1, s1, 1
	s_cmp_lg_u32 s18, s1
	s_cbranch_scc1 .LBB68_526
.LBB68_527:
	s_inst_prefetch 0x2
	s_waitcnt lgkmcnt(0)
	v_cmp_eq_f64_e32 vcc_lo, 0, v[142:143]
	v_cmp_eq_f64_e64 s0, 0, v[144:145]
	s_and_b32 s0, vcc_lo, s0
	s_and_saveexec_b32 s1, s0
	s_xor_b32 s0, exec_lo, s1
; %bb.528:
	v_cmp_ne_u32_e32 vcc_lo, 0, v155
	v_cndmask_b32_e32 v155, 26, v155, vcc_lo
; %bb.529:
	s_andn2_saveexec_b32 s0, s0
	s_cbranch_execz .LBB68_535
; %bb.530:
	v_cmp_ngt_f64_e64 s1, |v[142:143]|, |v[144:145]|
	s_and_saveexec_b32 s2, s1
	s_xor_b32 s1, exec_lo, s2
	s_cbranch_execz .LBB68_532
; %bb.531:
	v_div_scale_f64 v[157:158], null, v[144:145], v[144:145], v[142:143]
	v_div_scale_f64 v[163:164], vcc_lo, v[142:143], v[144:145], v[142:143]
	v_rcp_f64_e32 v[159:160], v[157:158]
	v_fma_f64 v[161:162], -v[157:158], v[159:160], 1.0
	v_fma_f64 v[159:160], v[159:160], v[161:162], v[159:160]
	v_fma_f64 v[161:162], -v[157:158], v[159:160], 1.0
	v_fma_f64 v[159:160], v[159:160], v[161:162], v[159:160]
	v_mul_f64 v[161:162], v[163:164], v[159:160]
	v_fma_f64 v[157:158], -v[157:158], v[161:162], v[163:164]
	v_div_fmas_f64 v[157:158], v[157:158], v[159:160], v[161:162]
	v_div_fixup_f64 v[157:158], v[157:158], v[144:145], v[142:143]
	v_fma_f64 v[142:143], v[142:143], v[157:158], v[144:145]
	v_div_scale_f64 v[144:145], null, v[142:143], v[142:143], 1.0
	v_rcp_f64_e32 v[159:160], v[144:145]
	v_fma_f64 v[161:162], -v[144:145], v[159:160], 1.0
	v_fma_f64 v[159:160], v[159:160], v[161:162], v[159:160]
	v_fma_f64 v[161:162], -v[144:145], v[159:160], 1.0
	v_fma_f64 v[159:160], v[159:160], v[161:162], v[159:160]
	v_div_scale_f64 v[161:162], vcc_lo, 1.0, v[142:143], 1.0
	v_mul_f64 v[163:164], v[161:162], v[159:160]
	v_fma_f64 v[144:145], -v[144:145], v[163:164], v[161:162]
	v_div_fmas_f64 v[144:145], v[144:145], v[159:160], v[163:164]
	v_div_fixup_f64 v[144:145], v[144:145], v[142:143], 1.0
	v_mul_f64 v[142:143], v[157:158], v[144:145]
	v_xor_b32_e32 v145, 0x80000000, v145
.LBB68_532:
	s_andn2_saveexec_b32 s1, s1
	s_cbranch_execz .LBB68_534
; %bb.533:
	v_div_scale_f64 v[157:158], null, v[142:143], v[142:143], v[144:145]
	v_div_scale_f64 v[163:164], vcc_lo, v[144:145], v[142:143], v[144:145]
	v_rcp_f64_e32 v[159:160], v[157:158]
	v_fma_f64 v[161:162], -v[157:158], v[159:160], 1.0
	v_fma_f64 v[159:160], v[159:160], v[161:162], v[159:160]
	v_fma_f64 v[161:162], -v[157:158], v[159:160], 1.0
	v_fma_f64 v[159:160], v[159:160], v[161:162], v[159:160]
	v_mul_f64 v[161:162], v[163:164], v[159:160]
	v_fma_f64 v[157:158], -v[157:158], v[161:162], v[163:164]
	v_div_fmas_f64 v[157:158], v[157:158], v[159:160], v[161:162]
	v_div_fixup_f64 v[157:158], v[157:158], v[142:143], v[144:145]
	v_fma_f64 v[142:143], v[144:145], v[157:158], v[142:143]
	v_div_scale_f64 v[144:145], null, v[142:143], v[142:143], 1.0
	v_rcp_f64_e32 v[159:160], v[144:145]
	v_fma_f64 v[161:162], -v[144:145], v[159:160], 1.0
	v_fma_f64 v[159:160], v[159:160], v[161:162], v[159:160]
	v_fma_f64 v[161:162], -v[144:145], v[159:160], 1.0
	v_fma_f64 v[159:160], v[159:160], v[161:162], v[159:160]
	v_div_scale_f64 v[161:162], vcc_lo, 1.0, v[142:143], 1.0
	v_mul_f64 v[163:164], v[161:162], v[159:160]
	v_fma_f64 v[144:145], -v[144:145], v[163:164], v[161:162]
	v_div_fmas_f64 v[144:145], v[144:145], v[159:160], v[163:164]
	v_div_fixup_f64 v[142:143], v[144:145], v[142:143], 1.0
	v_mul_f64 v[144:145], v[157:158], -v[142:143]
.LBB68_534:
	s_or_b32 exec_lo, exec_lo, s1
.LBB68_535:
	s_or_b32 exec_lo, exec_lo, s0
	s_mov_b32 s0, exec_lo
	v_cmpx_ne_u32_e64 v156, v150
	s_xor_b32 s0, exec_lo, s0
	s_cbranch_execz .LBB68_541
; %bb.536:
	s_mov_b32 s1, exec_lo
	v_cmpx_eq_u32_e32 25, v156
	s_cbranch_execz .LBB68_540
; %bb.537:
	v_cmp_ne_u32_e32 vcc_lo, 25, v150
	s_xor_b32 s2, s16, -1
	s_and_b32 s3, s2, vcc_lo
	s_and_saveexec_b32 s2, s3
	s_cbranch_execz .LBB68_539
; %bb.538:
	v_ashrrev_i32_e32 v151, 31, v150
	v_lshlrev_b64 v[156:157], 2, v[150:151]
	v_add_co_u32 v156, vcc_lo, v148, v156
	v_add_co_ci_u32_e64 v157, null, v149, v157, vcc_lo
	s_clause 0x1
	global_load_dword v0, v[156:157], off
	global_load_dword v151, v[148:149], off offset:100
	s_waitcnt vmcnt(1)
	global_store_dword v[148:149], v0, off offset:100
	s_waitcnt vmcnt(0)
	global_store_dword v[156:157], v151, off
.LBB68_539:
	s_or_b32 exec_lo, exec_lo, s2
	v_mov_b32_e32 v156, v150
	v_mov_b32_e32 v0, v150
.LBB68_540:
	s_or_b32 exec_lo, exec_lo, s1
.LBB68_541:
	s_andn2_saveexec_b32 s0, s0
	s_cbranch_execz .LBB68_543
; %bb.542:
	v_mov_b32_e32 v156, 25
	ds_write2_b64 v1, v[34:35], v[36:37] offset0:52 offset1:53
	ds_write2_b64 v1, v[30:31], v[32:33] offset0:54 offset1:55
	;; [unrolled: 1-line block ×9, first 2 shown]
.LBB68_543:
	s_or_b32 exec_lo, exec_lo, s0
	s_mov_b32 s0, exec_lo
	s_waitcnt lgkmcnt(0)
	s_waitcnt_vscnt null, 0x0
	s_barrier
	buffer_gl0_inv
	v_cmpx_lt_i32_e32 25, v156
	s_cbranch_execz .LBB68_545
; %bb.544:
	v_mul_f64 v[150:151], v[142:143], v[40:41]
	v_mul_f64 v[40:41], v[144:145], v[40:41]
	v_fma_f64 v[150:151], v[144:145], v[38:39], v[150:151]
	v_fma_f64 v[38:39], v[142:143], v[38:39], -v[40:41]
	ds_read2_b64 v[142:145], v1 offset0:52 offset1:53
	s_waitcnt lgkmcnt(0)
	v_mul_f64 v[40:41], v[144:145], v[150:151]
	v_fma_f64 v[40:41], v[142:143], v[38:39], -v[40:41]
	v_mul_f64 v[142:143], v[142:143], v[150:151]
	v_add_f64 v[34:35], v[34:35], -v[40:41]
	v_fma_f64 v[142:143], v[144:145], v[38:39], v[142:143]
	v_add_f64 v[36:37], v[36:37], -v[142:143]
	ds_read2_b64 v[142:145], v1 offset0:54 offset1:55
	s_waitcnt lgkmcnt(0)
	v_mul_f64 v[40:41], v[144:145], v[150:151]
	v_fma_f64 v[40:41], v[142:143], v[38:39], -v[40:41]
	v_mul_f64 v[142:143], v[142:143], v[150:151]
	v_add_f64 v[30:31], v[30:31], -v[40:41]
	v_fma_f64 v[142:143], v[144:145], v[38:39], v[142:143]
	v_add_f64 v[32:33], v[32:33], -v[142:143]
	ds_read2_b64 v[142:145], v1 offset0:56 offset1:57
	s_waitcnt lgkmcnt(0)
	v_mul_f64 v[40:41], v[144:145], v[150:151]
	v_fma_f64 v[40:41], v[142:143], v[38:39], -v[40:41]
	v_mul_f64 v[142:143], v[142:143], v[150:151]
	v_add_f64 v[26:27], v[26:27], -v[40:41]
	v_fma_f64 v[142:143], v[144:145], v[38:39], v[142:143]
	v_add_f64 v[28:29], v[28:29], -v[142:143]
	ds_read2_b64 v[142:145], v1 offset0:58 offset1:59
	s_waitcnt lgkmcnt(0)
	v_mul_f64 v[40:41], v[144:145], v[150:151]
	v_fma_f64 v[40:41], v[142:143], v[38:39], -v[40:41]
	v_mul_f64 v[142:143], v[142:143], v[150:151]
	v_add_f64 v[22:23], v[22:23], -v[40:41]
	v_fma_f64 v[142:143], v[144:145], v[38:39], v[142:143]
	v_add_f64 v[24:25], v[24:25], -v[142:143]
	ds_read2_b64 v[142:145], v1 offset0:60 offset1:61
	s_waitcnt lgkmcnt(0)
	v_mul_f64 v[40:41], v[144:145], v[150:151]
	v_fma_f64 v[40:41], v[142:143], v[38:39], -v[40:41]
	v_mul_f64 v[142:143], v[142:143], v[150:151]
	v_add_f64 v[18:19], v[18:19], -v[40:41]
	v_fma_f64 v[142:143], v[144:145], v[38:39], v[142:143]
	v_add_f64 v[20:21], v[20:21], -v[142:143]
	ds_read2_b64 v[142:145], v1 offset0:62 offset1:63
	s_waitcnt lgkmcnt(0)
	v_mul_f64 v[40:41], v[144:145], v[150:151]
	v_fma_f64 v[40:41], v[142:143], v[38:39], -v[40:41]
	v_mul_f64 v[142:143], v[142:143], v[150:151]
	v_add_f64 v[14:15], v[14:15], -v[40:41]
	v_fma_f64 v[142:143], v[144:145], v[38:39], v[142:143]
	v_add_f64 v[16:17], v[16:17], -v[142:143]
	ds_read2_b64 v[142:145], v1 offset0:64 offset1:65
	s_waitcnt lgkmcnt(0)
	v_mul_f64 v[40:41], v[144:145], v[150:151]
	v_fma_f64 v[40:41], v[142:143], v[38:39], -v[40:41]
	v_mul_f64 v[142:143], v[142:143], v[150:151]
	v_add_f64 v[10:11], v[10:11], -v[40:41]
	v_fma_f64 v[142:143], v[144:145], v[38:39], v[142:143]
	v_add_f64 v[12:13], v[12:13], -v[142:143]
	ds_read2_b64 v[142:145], v1 offset0:66 offset1:67
	s_waitcnt lgkmcnt(0)
	v_mul_f64 v[40:41], v[144:145], v[150:151]
	v_fma_f64 v[40:41], v[142:143], v[38:39], -v[40:41]
	v_mul_f64 v[142:143], v[142:143], v[150:151]
	v_add_f64 v[6:7], v[6:7], -v[40:41]
	v_fma_f64 v[142:143], v[144:145], v[38:39], v[142:143]
	v_add_f64 v[8:9], v[8:9], -v[142:143]
	ds_read2_b64 v[142:145], v1 offset0:68 offset1:69
	s_waitcnt lgkmcnt(0)
	v_mul_f64 v[40:41], v[144:145], v[150:151]
	v_fma_f64 v[40:41], v[142:143], v[38:39], -v[40:41]
	v_mul_f64 v[142:143], v[142:143], v[150:151]
	v_add_f64 v[2:3], v[2:3], -v[40:41]
	v_fma_f64 v[142:143], v[144:145], v[38:39], v[142:143]
	v_mov_b32_e32 v40, v150
	v_mov_b32_e32 v41, v151
	v_add_f64 v[4:5], v[4:5], -v[142:143]
.LBB68_545:
	s_or_b32 exec_lo, exec_lo, s0
	v_lshl_add_u32 v142, v156, 4, v1
	s_barrier
	buffer_gl0_inv
	v_mov_b32_e32 v150, 26
	ds_write2_b64 v142, v[34:35], v[36:37] offset1:1
	s_waitcnt lgkmcnt(0)
	s_barrier
	buffer_gl0_inv
	ds_read2_b64 v[142:145], v1 offset0:52 offset1:53
	s_cmp_lt_i32 s18, 28
	s_cbranch_scc1 .LBB68_548
; %bb.546:
	v_add3_u32 v151, v152, 0, 0x1b0
	v_mov_b32_e32 v150, 26
	s_mov_b32 s1, 27
	s_inst_prefetch 0x1
	.p2align	6
.LBB68_547:                             ; =>This Inner Loop Header: Depth=1
	s_waitcnt lgkmcnt(0)
	v_cmp_gt_f64_e32 vcc_lo, 0, v[144:145]
	v_cmp_gt_f64_e64 s0, 0, v[142:143]
	ds_read2_b64 v[157:160], v151 offset1:1
	v_xor_b32_e32 v162, 0x80000000, v143
	v_xor_b32_e32 v164, 0x80000000, v145
	v_mov_b32_e32 v161, v142
	v_mov_b32_e32 v163, v144
	v_add_nc_u32_e32 v151, 16, v151
	s_waitcnt lgkmcnt(0)
	v_xor_b32_e32 v166, 0x80000000, v160
	v_cndmask_b32_e64 v162, v143, v162, s0
	v_cndmask_b32_e32 v164, v145, v164, vcc_lo
	v_cmp_gt_f64_e32 vcc_lo, 0, v[159:160]
	v_cmp_gt_f64_e64 s0, 0, v[157:158]
	v_mov_b32_e32 v165, v159
	v_add_f64 v[161:162], v[161:162], v[163:164]
	v_xor_b32_e32 v164, 0x80000000, v158
	v_mov_b32_e32 v163, v157
	v_cndmask_b32_e32 v166, v160, v166, vcc_lo
	v_cndmask_b32_e64 v164, v158, v164, s0
	v_add_f64 v[163:164], v[163:164], v[165:166]
	v_cmp_lt_f64_e32 vcc_lo, v[161:162], v[163:164]
	v_cndmask_b32_e32 v143, v143, v158, vcc_lo
	v_cndmask_b32_e32 v142, v142, v157, vcc_lo
	;; [unrolled: 1-line block ×4, first 2 shown]
	v_cndmask_b32_e64 v150, v150, s1, vcc_lo
	s_add_i32 s1, s1, 1
	s_cmp_lg_u32 s18, s1
	s_cbranch_scc1 .LBB68_547
.LBB68_548:
	s_inst_prefetch 0x2
	s_waitcnt lgkmcnt(0)
	v_cmp_eq_f64_e32 vcc_lo, 0, v[142:143]
	v_cmp_eq_f64_e64 s0, 0, v[144:145]
	s_and_b32 s0, vcc_lo, s0
	s_and_saveexec_b32 s1, s0
	s_xor_b32 s0, exec_lo, s1
; %bb.549:
	v_cmp_ne_u32_e32 vcc_lo, 0, v155
	v_cndmask_b32_e32 v155, 27, v155, vcc_lo
; %bb.550:
	s_andn2_saveexec_b32 s0, s0
	s_cbranch_execz .LBB68_556
; %bb.551:
	v_cmp_ngt_f64_e64 s1, |v[142:143]|, |v[144:145]|
	s_and_saveexec_b32 s2, s1
	s_xor_b32 s1, exec_lo, s2
	s_cbranch_execz .LBB68_553
; %bb.552:
	v_div_scale_f64 v[157:158], null, v[144:145], v[144:145], v[142:143]
	v_div_scale_f64 v[163:164], vcc_lo, v[142:143], v[144:145], v[142:143]
	v_rcp_f64_e32 v[159:160], v[157:158]
	v_fma_f64 v[161:162], -v[157:158], v[159:160], 1.0
	v_fma_f64 v[159:160], v[159:160], v[161:162], v[159:160]
	v_fma_f64 v[161:162], -v[157:158], v[159:160], 1.0
	v_fma_f64 v[159:160], v[159:160], v[161:162], v[159:160]
	v_mul_f64 v[161:162], v[163:164], v[159:160]
	v_fma_f64 v[157:158], -v[157:158], v[161:162], v[163:164]
	v_div_fmas_f64 v[157:158], v[157:158], v[159:160], v[161:162]
	v_div_fixup_f64 v[157:158], v[157:158], v[144:145], v[142:143]
	v_fma_f64 v[142:143], v[142:143], v[157:158], v[144:145]
	v_div_scale_f64 v[144:145], null, v[142:143], v[142:143], 1.0
	v_rcp_f64_e32 v[159:160], v[144:145]
	v_fma_f64 v[161:162], -v[144:145], v[159:160], 1.0
	v_fma_f64 v[159:160], v[159:160], v[161:162], v[159:160]
	v_fma_f64 v[161:162], -v[144:145], v[159:160], 1.0
	v_fma_f64 v[159:160], v[159:160], v[161:162], v[159:160]
	v_div_scale_f64 v[161:162], vcc_lo, 1.0, v[142:143], 1.0
	v_mul_f64 v[163:164], v[161:162], v[159:160]
	v_fma_f64 v[144:145], -v[144:145], v[163:164], v[161:162]
	v_div_fmas_f64 v[144:145], v[144:145], v[159:160], v[163:164]
	v_div_fixup_f64 v[144:145], v[144:145], v[142:143], 1.0
	v_mul_f64 v[142:143], v[157:158], v[144:145]
	v_xor_b32_e32 v145, 0x80000000, v145
.LBB68_553:
	s_andn2_saveexec_b32 s1, s1
	s_cbranch_execz .LBB68_555
; %bb.554:
	v_div_scale_f64 v[157:158], null, v[142:143], v[142:143], v[144:145]
	v_div_scale_f64 v[163:164], vcc_lo, v[144:145], v[142:143], v[144:145]
	v_rcp_f64_e32 v[159:160], v[157:158]
	v_fma_f64 v[161:162], -v[157:158], v[159:160], 1.0
	v_fma_f64 v[159:160], v[159:160], v[161:162], v[159:160]
	v_fma_f64 v[161:162], -v[157:158], v[159:160], 1.0
	v_fma_f64 v[159:160], v[159:160], v[161:162], v[159:160]
	v_mul_f64 v[161:162], v[163:164], v[159:160]
	v_fma_f64 v[157:158], -v[157:158], v[161:162], v[163:164]
	v_div_fmas_f64 v[157:158], v[157:158], v[159:160], v[161:162]
	v_div_fixup_f64 v[157:158], v[157:158], v[142:143], v[144:145]
	v_fma_f64 v[142:143], v[144:145], v[157:158], v[142:143]
	v_div_scale_f64 v[144:145], null, v[142:143], v[142:143], 1.0
	v_rcp_f64_e32 v[159:160], v[144:145]
	v_fma_f64 v[161:162], -v[144:145], v[159:160], 1.0
	v_fma_f64 v[159:160], v[159:160], v[161:162], v[159:160]
	v_fma_f64 v[161:162], -v[144:145], v[159:160], 1.0
	v_fma_f64 v[159:160], v[159:160], v[161:162], v[159:160]
	v_div_scale_f64 v[161:162], vcc_lo, 1.0, v[142:143], 1.0
	v_mul_f64 v[163:164], v[161:162], v[159:160]
	v_fma_f64 v[144:145], -v[144:145], v[163:164], v[161:162]
	v_div_fmas_f64 v[144:145], v[144:145], v[159:160], v[163:164]
	v_div_fixup_f64 v[142:143], v[144:145], v[142:143], 1.0
	v_mul_f64 v[144:145], v[157:158], -v[142:143]
.LBB68_555:
	s_or_b32 exec_lo, exec_lo, s1
.LBB68_556:
	s_or_b32 exec_lo, exec_lo, s0
	s_mov_b32 s0, exec_lo
	v_cmpx_ne_u32_e64 v156, v150
	s_xor_b32 s0, exec_lo, s0
	s_cbranch_execz .LBB68_562
; %bb.557:
	s_mov_b32 s1, exec_lo
	v_cmpx_eq_u32_e32 26, v156
	s_cbranch_execz .LBB68_561
; %bb.558:
	v_cmp_ne_u32_e32 vcc_lo, 26, v150
	s_xor_b32 s2, s16, -1
	s_and_b32 s3, s2, vcc_lo
	s_and_saveexec_b32 s2, s3
	s_cbranch_execz .LBB68_560
; %bb.559:
	v_ashrrev_i32_e32 v151, 31, v150
	v_lshlrev_b64 v[156:157], 2, v[150:151]
	v_add_co_u32 v156, vcc_lo, v148, v156
	v_add_co_ci_u32_e64 v157, null, v149, v157, vcc_lo
	s_clause 0x1
	global_load_dword v0, v[156:157], off
	global_load_dword v151, v[148:149], off offset:104
	s_waitcnt vmcnt(1)
	global_store_dword v[148:149], v0, off offset:104
	s_waitcnt vmcnt(0)
	global_store_dword v[156:157], v151, off
.LBB68_560:
	s_or_b32 exec_lo, exec_lo, s2
	v_mov_b32_e32 v156, v150
	v_mov_b32_e32 v0, v150
.LBB68_561:
	s_or_b32 exec_lo, exec_lo, s1
.LBB68_562:
	s_andn2_saveexec_b32 s0, s0
	s_cbranch_execz .LBB68_564
; %bb.563:
	v_mov_b32_e32 v156, 26
	ds_write2_b64 v1, v[30:31], v[32:33] offset0:54 offset1:55
	ds_write2_b64 v1, v[26:27], v[28:29] offset0:56 offset1:57
	;; [unrolled: 1-line block ×8, first 2 shown]
.LBB68_564:
	s_or_b32 exec_lo, exec_lo, s0
	s_mov_b32 s0, exec_lo
	s_waitcnt lgkmcnt(0)
	s_waitcnt_vscnt null, 0x0
	s_barrier
	buffer_gl0_inv
	v_cmpx_lt_i32_e32 26, v156
	s_cbranch_execz .LBB68_566
; %bb.565:
	v_mul_f64 v[150:151], v[142:143], v[36:37]
	v_mul_f64 v[36:37], v[144:145], v[36:37]
	v_fma_f64 v[150:151], v[144:145], v[34:35], v[150:151]
	v_fma_f64 v[34:35], v[142:143], v[34:35], -v[36:37]
	ds_read2_b64 v[142:145], v1 offset0:54 offset1:55
	s_waitcnt lgkmcnt(0)
	v_mul_f64 v[36:37], v[144:145], v[150:151]
	v_fma_f64 v[36:37], v[142:143], v[34:35], -v[36:37]
	v_mul_f64 v[142:143], v[142:143], v[150:151]
	v_add_f64 v[30:31], v[30:31], -v[36:37]
	v_fma_f64 v[142:143], v[144:145], v[34:35], v[142:143]
	v_add_f64 v[32:33], v[32:33], -v[142:143]
	ds_read2_b64 v[142:145], v1 offset0:56 offset1:57
	s_waitcnt lgkmcnt(0)
	v_mul_f64 v[36:37], v[144:145], v[150:151]
	v_fma_f64 v[36:37], v[142:143], v[34:35], -v[36:37]
	v_mul_f64 v[142:143], v[142:143], v[150:151]
	v_add_f64 v[26:27], v[26:27], -v[36:37]
	v_fma_f64 v[142:143], v[144:145], v[34:35], v[142:143]
	v_add_f64 v[28:29], v[28:29], -v[142:143]
	;; [unrolled: 8-line block ×7, first 2 shown]
	ds_read2_b64 v[142:145], v1 offset0:68 offset1:69
	s_waitcnt lgkmcnt(0)
	v_mul_f64 v[36:37], v[144:145], v[150:151]
	v_fma_f64 v[36:37], v[142:143], v[34:35], -v[36:37]
	v_mul_f64 v[142:143], v[142:143], v[150:151]
	v_add_f64 v[2:3], v[2:3], -v[36:37]
	v_fma_f64 v[142:143], v[144:145], v[34:35], v[142:143]
	v_mov_b32_e32 v36, v150
	v_mov_b32_e32 v37, v151
	v_add_f64 v[4:5], v[4:5], -v[142:143]
.LBB68_566:
	s_or_b32 exec_lo, exec_lo, s0
	v_lshl_add_u32 v142, v156, 4, v1
	s_barrier
	buffer_gl0_inv
	v_mov_b32_e32 v150, 27
	ds_write2_b64 v142, v[30:31], v[32:33] offset1:1
	s_waitcnt lgkmcnt(0)
	s_barrier
	buffer_gl0_inv
	ds_read2_b64 v[142:145], v1 offset0:54 offset1:55
	s_cmp_lt_i32 s18, 29
	s_cbranch_scc1 .LBB68_569
; %bb.567:
	v_add3_u32 v151, v152, 0, 0x1c0
	v_mov_b32_e32 v150, 27
	s_mov_b32 s1, 28
	s_inst_prefetch 0x1
	.p2align	6
.LBB68_568:                             ; =>This Inner Loop Header: Depth=1
	s_waitcnt lgkmcnt(0)
	v_cmp_gt_f64_e32 vcc_lo, 0, v[144:145]
	v_cmp_gt_f64_e64 s0, 0, v[142:143]
	ds_read2_b64 v[157:160], v151 offset1:1
	v_xor_b32_e32 v162, 0x80000000, v143
	v_xor_b32_e32 v164, 0x80000000, v145
	v_mov_b32_e32 v161, v142
	v_mov_b32_e32 v163, v144
	v_add_nc_u32_e32 v151, 16, v151
	s_waitcnt lgkmcnt(0)
	v_xor_b32_e32 v166, 0x80000000, v160
	v_cndmask_b32_e64 v162, v143, v162, s0
	v_cndmask_b32_e32 v164, v145, v164, vcc_lo
	v_cmp_gt_f64_e32 vcc_lo, 0, v[159:160]
	v_cmp_gt_f64_e64 s0, 0, v[157:158]
	v_mov_b32_e32 v165, v159
	v_add_f64 v[161:162], v[161:162], v[163:164]
	v_xor_b32_e32 v164, 0x80000000, v158
	v_mov_b32_e32 v163, v157
	v_cndmask_b32_e32 v166, v160, v166, vcc_lo
	v_cndmask_b32_e64 v164, v158, v164, s0
	v_add_f64 v[163:164], v[163:164], v[165:166]
	v_cmp_lt_f64_e32 vcc_lo, v[161:162], v[163:164]
	v_cndmask_b32_e32 v143, v143, v158, vcc_lo
	v_cndmask_b32_e32 v142, v142, v157, vcc_lo
	;; [unrolled: 1-line block ×4, first 2 shown]
	v_cndmask_b32_e64 v150, v150, s1, vcc_lo
	s_add_i32 s1, s1, 1
	s_cmp_lg_u32 s18, s1
	s_cbranch_scc1 .LBB68_568
.LBB68_569:
	s_inst_prefetch 0x2
	s_waitcnt lgkmcnt(0)
	v_cmp_eq_f64_e32 vcc_lo, 0, v[142:143]
	v_cmp_eq_f64_e64 s0, 0, v[144:145]
	s_and_b32 s0, vcc_lo, s0
	s_and_saveexec_b32 s1, s0
	s_xor_b32 s0, exec_lo, s1
; %bb.570:
	v_cmp_ne_u32_e32 vcc_lo, 0, v155
	v_cndmask_b32_e32 v155, 28, v155, vcc_lo
; %bb.571:
	s_andn2_saveexec_b32 s0, s0
	s_cbranch_execz .LBB68_577
; %bb.572:
	v_cmp_ngt_f64_e64 s1, |v[142:143]|, |v[144:145]|
	s_and_saveexec_b32 s2, s1
	s_xor_b32 s1, exec_lo, s2
	s_cbranch_execz .LBB68_574
; %bb.573:
	v_div_scale_f64 v[157:158], null, v[144:145], v[144:145], v[142:143]
	v_div_scale_f64 v[163:164], vcc_lo, v[142:143], v[144:145], v[142:143]
	v_rcp_f64_e32 v[159:160], v[157:158]
	v_fma_f64 v[161:162], -v[157:158], v[159:160], 1.0
	v_fma_f64 v[159:160], v[159:160], v[161:162], v[159:160]
	v_fma_f64 v[161:162], -v[157:158], v[159:160], 1.0
	v_fma_f64 v[159:160], v[159:160], v[161:162], v[159:160]
	v_mul_f64 v[161:162], v[163:164], v[159:160]
	v_fma_f64 v[157:158], -v[157:158], v[161:162], v[163:164]
	v_div_fmas_f64 v[157:158], v[157:158], v[159:160], v[161:162]
	v_div_fixup_f64 v[157:158], v[157:158], v[144:145], v[142:143]
	v_fma_f64 v[142:143], v[142:143], v[157:158], v[144:145]
	v_div_scale_f64 v[144:145], null, v[142:143], v[142:143], 1.0
	v_rcp_f64_e32 v[159:160], v[144:145]
	v_fma_f64 v[161:162], -v[144:145], v[159:160], 1.0
	v_fma_f64 v[159:160], v[159:160], v[161:162], v[159:160]
	v_fma_f64 v[161:162], -v[144:145], v[159:160], 1.0
	v_fma_f64 v[159:160], v[159:160], v[161:162], v[159:160]
	v_div_scale_f64 v[161:162], vcc_lo, 1.0, v[142:143], 1.0
	v_mul_f64 v[163:164], v[161:162], v[159:160]
	v_fma_f64 v[144:145], -v[144:145], v[163:164], v[161:162]
	v_div_fmas_f64 v[144:145], v[144:145], v[159:160], v[163:164]
	v_div_fixup_f64 v[144:145], v[144:145], v[142:143], 1.0
	v_mul_f64 v[142:143], v[157:158], v[144:145]
	v_xor_b32_e32 v145, 0x80000000, v145
.LBB68_574:
	s_andn2_saveexec_b32 s1, s1
	s_cbranch_execz .LBB68_576
; %bb.575:
	v_div_scale_f64 v[157:158], null, v[142:143], v[142:143], v[144:145]
	v_div_scale_f64 v[163:164], vcc_lo, v[144:145], v[142:143], v[144:145]
	v_rcp_f64_e32 v[159:160], v[157:158]
	v_fma_f64 v[161:162], -v[157:158], v[159:160], 1.0
	v_fma_f64 v[159:160], v[159:160], v[161:162], v[159:160]
	v_fma_f64 v[161:162], -v[157:158], v[159:160], 1.0
	v_fma_f64 v[159:160], v[159:160], v[161:162], v[159:160]
	v_mul_f64 v[161:162], v[163:164], v[159:160]
	v_fma_f64 v[157:158], -v[157:158], v[161:162], v[163:164]
	v_div_fmas_f64 v[157:158], v[157:158], v[159:160], v[161:162]
	v_div_fixup_f64 v[157:158], v[157:158], v[142:143], v[144:145]
	v_fma_f64 v[142:143], v[144:145], v[157:158], v[142:143]
	v_div_scale_f64 v[144:145], null, v[142:143], v[142:143], 1.0
	v_rcp_f64_e32 v[159:160], v[144:145]
	v_fma_f64 v[161:162], -v[144:145], v[159:160], 1.0
	v_fma_f64 v[159:160], v[159:160], v[161:162], v[159:160]
	v_fma_f64 v[161:162], -v[144:145], v[159:160], 1.0
	v_fma_f64 v[159:160], v[159:160], v[161:162], v[159:160]
	v_div_scale_f64 v[161:162], vcc_lo, 1.0, v[142:143], 1.0
	v_mul_f64 v[163:164], v[161:162], v[159:160]
	v_fma_f64 v[144:145], -v[144:145], v[163:164], v[161:162]
	v_div_fmas_f64 v[144:145], v[144:145], v[159:160], v[163:164]
	v_div_fixup_f64 v[142:143], v[144:145], v[142:143], 1.0
	v_mul_f64 v[144:145], v[157:158], -v[142:143]
.LBB68_576:
	s_or_b32 exec_lo, exec_lo, s1
.LBB68_577:
	s_or_b32 exec_lo, exec_lo, s0
	s_mov_b32 s0, exec_lo
	v_cmpx_ne_u32_e64 v156, v150
	s_xor_b32 s0, exec_lo, s0
	s_cbranch_execz .LBB68_583
; %bb.578:
	s_mov_b32 s1, exec_lo
	v_cmpx_eq_u32_e32 27, v156
	s_cbranch_execz .LBB68_582
; %bb.579:
	v_cmp_ne_u32_e32 vcc_lo, 27, v150
	s_xor_b32 s2, s16, -1
	s_and_b32 s3, s2, vcc_lo
	s_and_saveexec_b32 s2, s3
	s_cbranch_execz .LBB68_581
; %bb.580:
	v_ashrrev_i32_e32 v151, 31, v150
	v_lshlrev_b64 v[156:157], 2, v[150:151]
	v_add_co_u32 v156, vcc_lo, v148, v156
	v_add_co_ci_u32_e64 v157, null, v149, v157, vcc_lo
	s_clause 0x1
	global_load_dword v0, v[156:157], off
	global_load_dword v151, v[148:149], off offset:108
	s_waitcnt vmcnt(1)
	global_store_dword v[148:149], v0, off offset:108
	s_waitcnt vmcnt(0)
	global_store_dword v[156:157], v151, off
.LBB68_581:
	s_or_b32 exec_lo, exec_lo, s2
	v_mov_b32_e32 v156, v150
	v_mov_b32_e32 v0, v150
.LBB68_582:
	s_or_b32 exec_lo, exec_lo, s1
.LBB68_583:
	s_andn2_saveexec_b32 s0, s0
	s_cbranch_execz .LBB68_585
; %bb.584:
	v_mov_b32_e32 v156, 27
	ds_write2_b64 v1, v[26:27], v[28:29] offset0:56 offset1:57
	ds_write2_b64 v1, v[22:23], v[24:25] offset0:58 offset1:59
	;; [unrolled: 1-line block ×7, first 2 shown]
.LBB68_585:
	s_or_b32 exec_lo, exec_lo, s0
	s_mov_b32 s0, exec_lo
	s_waitcnt lgkmcnt(0)
	s_waitcnt_vscnt null, 0x0
	s_barrier
	buffer_gl0_inv
	v_cmpx_lt_i32_e32 27, v156
	s_cbranch_execz .LBB68_587
; %bb.586:
	v_mul_f64 v[150:151], v[142:143], v[32:33]
	v_mul_f64 v[32:33], v[144:145], v[32:33]
	v_fma_f64 v[150:151], v[144:145], v[30:31], v[150:151]
	v_fma_f64 v[30:31], v[142:143], v[30:31], -v[32:33]
	ds_read2_b64 v[142:145], v1 offset0:56 offset1:57
	s_waitcnt lgkmcnt(0)
	v_mul_f64 v[32:33], v[144:145], v[150:151]
	v_fma_f64 v[32:33], v[142:143], v[30:31], -v[32:33]
	v_mul_f64 v[142:143], v[142:143], v[150:151]
	v_add_f64 v[26:27], v[26:27], -v[32:33]
	v_fma_f64 v[142:143], v[144:145], v[30:31], v[142:143]
	v_add_f64 v[28:29], v[28:29], -v[142:143]
	ds_read2_b64 v[142:145], v1 offset0:58 offset1:59
	s_waitcnt lgkmcnt(0)
	v_mul_f64 v[32:33], v[144:145], v[150:151]
	v_fma_f64 v[32:33], v[142:143], v[30:31], -v[32:33]
	v_mul_f64 v[142:143], v[142:143], v[150:151]
	v_add_f64 v[22:23], v[22:23], -v[32:33]
	v_fma_f64 v[142:143], v[144:145], v[30:31], v[142:143]
	v_add_f64 v[24:25], v[24:25], -v[142:143]
	;; [unrolled: 8-line block ×6, first 2 shown]
	ds_read2_b64 v[142:145], v1 offset0:68 offset1:69
	s_waitcnt lgkmcnt(0)
	v_mul_f64 v[32:33], v[144:145], v[150:151]
	v_fma_f64 v[32:33], v[142:143], v[30:31], -v[32:33]
	v_mul_f64 v[142:143], v[142:143], v[150:151]
	v_add_f64 v[2:3], v[2:3], -v[32:33]
	v_fma_f64 v[142:143], v[144:145], v[30:31], v[142:143]
	v_mov_b32_e32 v32, v150
	v_mov_b32_e32 v33, v151
	v_add_f64 v[4:5], v[4:5], -v[142:143]
.LBB68_587:
	s_or_b32 exec_lo, exec_lo, s0
	v_lshl_add_u32 v142, v156, 4, v1
	s_barrier
	buffer_gl0_inv
	v_mov_b32_e32 v150, 28
	ds_write2_b64 v142, v[26:27], v[28:29] offset1:1
	s_waitcnt lgkmcnt(0)
	s_barrier
	buffer_gl0_inv
	ds_read2_b64 v[142:145], v1 offset0:56 offset1:57
	s_cmp_lt_i32 s18, 30
	s_cbranch_scc1 .LBB68_590
; %bb.588:
	v_add3_u32 v151, v152, 0, 0x1d0
	v_mov_b32_e32 v150, 28
	s_mov_b32 s1, 29
	s_inst_prefetch 0x1
	.p2align	6
.LBB68_589:                             ; =>This Inner Loop Header: Depth=1
	s_waitcnt lgkmcnt(0)
	v_cmp_gt_f64_e32 vcc_lo, 0, v[144:145]
	v_cmp_gt_f64_e64 s0, 0, v[142:143]
	ds_read2_b64 v[157:160], v151 offset1:1
	v_xor_b32_e32 v162, 0x80000000, v143
	v_xor_b32_e32 v164, 0x80000000, v145
	v_mov_b32_e32 v161, v142
	v_mov_b32_e32 v163, v144
	v_add_nc_u32_e32 v151, 16, v151
	s_waitcnt lgkmcnt(0)
	v_xor_b32_e32 v166, 0x80000000, v160
	v_cndmask_b32_e64 v162, v143, v162, s0
	v_cndmask_b32_e32 v164, v145, v164, vcc_lo
	v_cmp_gt_f64_e32 vcc_lo, 0, v[159:160]
	v_cmp_gt_f64_e64 s0, 0, v[157:158]
	v_mov_b32_e32 v165, v159
	v_add_f64 v[161:162], v[161:162], v[163:164]
	v_xor_b32_e32 v164, 0x80000000, v158
	v_mov_b32_e32 v163, v157
	v_cndmask_b32_e32 v166, v160, v166, vcc_lo
	v_cndmask_b32_e64 v164, v158, v164, s0
	v_add_f64 v[163:164], v[163:164], v[165:166]
	v_cmp_lt_f64_e32 vcc_lo, v[161:162], v[163:164]
	v_cndmask_b32_e32 v143, v143, v158, vcc_lo
	v_cndmask_b32_e32 v142, v142, v157, vcc_lo
	;; [unrolled: 1-line block ×4, first 2 shown]
	v_cndmask_b32_e64 v150, v150, s1, vcc_lo
	s_add_i32 s1, s1, 1
	s_cmp_lg_u32 s18, s1
	s_cbranch_scc1 .LBB68_589
.LBB68_590:
	s_inst_prefetch 0x2
	s_waitcnt lgkmcnt(0)
	v_cmp_eq_f64_e32 vcc_lo, 0, v[142:143]
	v_cmp_eq_f64_e64 s0, 0, v[144:145]
	s_and_b32 s0, vcc_lo, s0
	s_and_saveexec_b32 s1, s0
	s_xor_b32 s0, exec_lo, s1
; %bb.591:
	v_cmp_ne_u32_e32 vcc_lo, 0, v155
	v_cndmask_b32_e32 v155, 29, v155, vcc_lo
; %bb.592:
	s_andn2_saveexec_b32 s0, s0
	s_cbranch_execz .LBB68_598
; %bb.593:
	v_cmp_ngt_f64_e64 s1, |v[142:143]|, |v[144:145]|
	s_and_saveexec_b32 s2, s1
	s_xor_b32 s1, exec_lo, s2
	s_cbranch_execz .LBB68_595
; %bb.594:
	v_div_scale_f64 v[157:158], null, v[144:145], v[144:145], v[142:143]
	v_div_scale_f64 v[163:164], vcc_lo, v[142:143], v[144:145], v[142:143]
	v_rcp_f64_e32 v[159:160], v[157:158]
	v_fma_f64 v[161:162], -v[157:158], v[159:160], 1.0
	v_fma_f64 v[159:160], v[159:160], v[161:162], v[159:160]
	v_fma_f64 v[161:162], -v[157:158], v[159:160], 1.0
	v_fma_f64 v[159:160], v[159:160], v[161:162], v[159:160]
	v_mul_f64 v[161:162], v[163:164], v[159:160]
	v_fma_f64 v[157:158], -v[157:158], v[161:162], v[163:164]
	v_div_fmas_f64 v[157:158], v[157:158], v[159:160], v[161:162]
	v_div_fixup_f64 v[157:158], v[157:158], v[144:145], v[142:143]
	v_fma_f64 v[142:143], v[142:143], v[157:158], v[144:145]
	v_div_scale_f64 v[144:145], null, v[142:143], v[142:143], 1.0
	v_rcp_f64_e32 v[159:160], v[144:145]
	v_fma_f64 v[161:162], -v[144:145], v[159:160], 1.0
	v_fma_f64 v[159:160], v[159:160], v[161:162], v[159:160]
	v_fma_f64 v[161:162], -v[144:145], v[159:160], 1.0
	v_fma_f64 v[159:160], v[159:160], v[161:162], v[159:160]
	v_div_scale_f64 v[161:162], vcc_lo, 1.0, v[142:143], 1.0
	v_mul_f64 v[163:164], v[161:162], v[159:160]
	v_fma_f64 v[144:145], -v[144:145], v[163:164], v[161:162]
	v_div_fmas_f64 v[144:145], v[144:145], v[159:160], v[163:164]
	v_div_fixup_f64 v[144:145], v[144:145], v[142:143], 1.0
	v_mul_f64 v[142:143], v[157:158], v[144:145]
	v_xor_b32_e32 v145, 0x80000000, v145
.LBB68_595:
	s_andn2_saveexec_b32 s1, s1
	s_cbranch_execz .LBB68_597
; %bb.596:
	v_div_scale_f64 v[157:158], null, v[142:143], v[142:143], v[144:145]
	v_div_scale_f64 v[163:164], vcc_lo, v[144:145], v[142:143], v[144:145]
	v_rcp_f64_e32 v[159:160], v[157:158]
	v_fma_f64 v[161:162], -v[157:158], v[159:160], 1.0
	v_fma_f64 v[159:160], v[159:160], v[161:162], v[159:160]
	v_fma_f64 v[161:162], -v[157:158], v[159:160], 1.0
	v_fma_f64 v[159:160], v[159:160], v[161:162], v[159:160]
	v_mul_f64 v[161:162], v[163:164], v[159:160]
	v_fma_f64 v[157:158], -v[157:158], v[161:162], v[163:164]
	v_div_fmas_f64 v[157:158], v[157:158], v[159:160], v[161:162]
	v_div_fixup_f64 v[157:158], v[157:158], v[142:143], v[144:145]
	v_fma_f64 v[142:143], v[144:145], v[157:158], v[142:143]
	v_div_scale_f64 v[144:145], null, v[142:143], v[142:143], 1.0
	v_rcp_f64_e32 v[159:160], v[144:145]
	v_fma_f64 v[161:162], -v[144:145], v[159:160], 1.0
	v_fma_f64 v[159:160], v[159:160], v[161:162], v[159:160]
	v_fma_f64 v[161:162], -v[144:145], v[159:160], 1.0
	v_fma_f64 v[159:160], v[159:160], v[161:162], v[159:160]
	v_div_scale_f64 v[161:162], vcc_lo, 1.0, v[142:143], 1.0
	v_mul_f64 v[163:164], v[161:162], v[159:160]
	v_fma_f64 v[144:145], -v[144:145], v[163:164], v[161:162]
	v_div_fmas_f64 v[144:145], v[144:145], v[159:160], v[163:164]
	v_div_fixup_f64 v[142:143], v[144:145], v[142:143], 1.0
	v_mul_f64 v[144:145], v[157:158], -v[142:143]
.LBB68_597:
	s_or_b32 exec_lo, exec_lo, s1
.LBB68_598:
	s_or_b32 exec_lo, exec_lo, s0
	s_mov_b32 s0, exec_lo
	v_cmpx_ne_u32_e64 v156, v150
	s_xor_b32 s0, exec_lo, s0
	s_cbranch_execz .LBB68_604
; %bb.599:
	s_mov_b32 s1, exec_lo
	v_cmpx_eq_u32_e32 28, v156
	s_cbranch_execz .LBB68_603
; %bb.600:
	v_cmp_ne_u32_e32 vcc_lo, 28, v150
	s_xor_b32 s2, s16, -1
	s_and_b32 s3, s2, vcc_lo
	s_and_saveexec_b32 s2, s3
	s_cbranch_execz .LBB68_602
; %bb.601:
	v_ashrrev_i32_e32 v151, 31, v150
	v_lshlrev_b64 v[156:157], 2, v[150:151]
	v_add_co_u32 v156, vcc_lo, v148, v156
	v_add_co_ci_u32_e64 v157, null, v149, v157, vcc_lo
	s_clause 0x1
	global_load_dword v0, v[156:157], off
	global_load_dword v151, v[148:149], off offset:112
	s_waitcnt vmcnt(1)
	global_store_dword v[148:149], v0, off offset:112
	s_waitcnt vmcnt(0)
	global_store_dword v[156:157], v151, off
.LBB68_602:
	s_or_b32 exec_lo, exec_lo, s2
	v_mov_b32_e32 v156, v150
	v_mov_b32_e32 v0, v150
.LBB68_603:
	s_or_b32 exec_lo, exec_lo, s1
.LBB68_604:
	s_andn2_saveexec_b32 s0, s0
	s_cbranch_execz .LBB68_606
; %bb.605:
	v_mov_b32_e32 v156, 28
	ds_write2_b64 v1, v[22:23], v[24:25] offset0:58 offset1:59
	ds_write2_b64 v1, v[18:19], v[20:21] offset0:60 offset1:61
	;; [unrolled: 1-line block ×6, first 2 shown]
.LBB68_606:
	s_or_b32 exec_lo, exec_lo, s0
	s_mov_b32 s0, exec_lo
	s_waitcnt lgkmcnt(0)
	s_waitcnt_vscnt null, 0x0
	s_barrier
	buffer_gl0_inv
	v_cmpx_lt_i32_e32 28, v156
	s_cbranch_execz .LBB68_608
; %bb.607:
	v_mul_f64 v[150:151], v[142:143], v[28:29]
	v_mul_f64 v[28:29], v[144:145], v[28:29]
	v_fma_f64 v[150:151], v[144:145], v[26:27], v[150:151]
	v_fma_f64 v[26:27], v[142:143], v[26:27], -v[28:29]
	ds_read2_b64 v[142:145], v1 offset0:58 offset1:59
	s_waitcnt lgkmcnt(0)
	v_mul_f64 v[28:29], v[144:145], v[150:151]
	v_fma_f64 v[28:29], v[142:143], v[26:27], -v[28:29]
	v_mul_f64 v[142:143], v[142:143], v[150:151]
	v_add_f64 v[22:23], v[22:23], -v[28:29]
	v_fma_f64 v[142:143], v[144:145], v[26:27], v[142:143]
	v_add_f64 v[24:25], v[24:25], -v[142:143]
	ds_read2_b64 v[142:145], v1 offset0:60 offset1:61
	s_waitcnt lgkmcnt(0)
	v_mul_f64 v[28:29], v[144:145], v[150:151]
	v_fma_f64 v[28:29], v[142:143], v[26:27], -v[28:29]
	v_mul_f64 v[142:143], v[142:143], v[150:151]
	v_add_f64 v[18:19], v[18:19], -v[28:29]
	v_fma_f64 v[142:143], v[144:145], v[26:27], v[142:143]
	v_add_f64 v[20:21], v[20:21], -v[142:143]
	;; [unrolled: 8-line block ×5, first 2 shown]
	ds_read2_b64 v[142:145], v1 offset0:68 offset1:69
	s_waitcnt lgkmcnt(0)
	v_mul_f64 v[28:29], v[144:145], v[150:151]
	v_fma_f64 v[28:29], v[142:143], v[26:27], -v[28:29]
	v_mul_f64 v[142:143], v[142:143], v[150:151]
	v_add_f64 v[2:3], v[2:3], -v[28:29]
	v_fma_f64 v[142:143], v[144:145], v[26:27], v[142:143]
	v_mov_b32_e32 v28, v150
	v_mov_b32_e32 v29, v151
	v_add_f64 v[4:5], v[4:5], -v[142:143]
.LBB68_608:
	s_or_b32 exec_lo, exec_lo, s0
	v_lshl_add_u32 v142, v156, 4, v1
	s_barrier
	buffer_gl0_inv
	v_mov_b32_e32 v150, 29
	ds_write2_b64 v142, v[22:23], v[24:25] offset1:1
	s_waitcnt lgkmcnt(0)
	s_barrier
	buffer_gl0_inv
	ds_read2_b64 v[142:145], v1 offset0:58 offset1:59
	s_cmp_lt_i32 s18, 31
	s_cbranch_scc1 .LBB68_611
; %bb.609:
	v_add3_u32 v151, v152, 0, 0x1e0
	v_mov_b32_e32 v150, 29
	s_mov_b32 s1, 30
	s_inst_prefetch 0x1
	.p2align	6
.LBB68_610:                             ; =>This Inner Loop Header: Depth=1
	s_waitcnt lgkmcnt(0)
	v_cmp_gt_f64_e32 vcc_lo, 0, v[144:145]
	v_cmp_gt_f64_e64 s0, 0, v[142:143]
	ds_read2_b64 v[157:160], v151 offset1:1
	v_xor_b32_e32 v162, 0x80000000, v143
	v_xor_b32_e32 v164, 0x80000000, v145
	v_mov_b32_e32 v161, v142
	v_mov_b32_e32 v163, v144
	v_add_nc_u32_e32 v151, 16, v151
	s_waitcnt lgkmcnt(0)
	v_xor_b32_e32 v166, 0x80000000, v160
	v_cndmask_b32_e64 v162, v143, v162, s0
	v_cndmask_b32_e32 v164, v145, v164, vcc_lo
	v_cmp_gt_f64_e32 vcc_lo, 0, v[159:160]
	v_cmp_gt_f64_e64 s0, 0, v[157:158]
	v_mov_b32_e32 v165, v159
	v_add_f64 v[161:162], v[161:162], v[163:164]
	v_xor_b32_e32 v164, 0x80000000, v158
	v_mov_b32_e32 v163, v157
	v_cndmask_b32_e32 v166, v160, v166, vcc_lo
	v_cndmask_b32_e64 v164, v158, v164, s0
	v_add_f64 v[163:164], v[163:164], v[165:166]
	v_cmp_lt_f64_e32 vcc_lo, v[161:162], v[163:164]
	v_cndmask_b32_e32 v143, v143, v158, vcc_lo
	v_cndmask_b32_e32 v142, v142, v157, vcc_lo
	;; [unrolled: 1-line block ×4, first 2 shown]
	v_cndmask_b32_e64 v150, v150, s1, vcc_lo
	s_add_i32 s1, s1, 1
	s_cmp_lg_u32 s18, s1
	s_cbranch_scc1 .LBB68_610
.LBB68_611:
	s_inst_prefetch 0x2
	s_waitcnt lgkmcnt(0)
	v_cmp_eq_f64_e32 vcc_lo, 0, v[142:143]
	v_cmp_eq_f64_e64 s0, 0, v[144:145]
	s_and_b32 s0, vcc_lo, s0
	s_and_saveexec_b32 s1, s0
	s_xor_b32 s0, exec_lo, s1
; %bb.612:
	v_cmp_ne_u32_e32 vcc_lo, 0, v155
	v_cndmask_b32_e32 v155, 30, v155, vcc_lo
; %bb.613:
	s_andn2_saveexec_b32 s0, s0
	s_cbranch_execz .LBB68_619
; %bb.614:
	v_cmp_ngt_f64_e64 s1, |v[142:143]|, |v[144:145]|
	s_and_saveexec_b32 s2, s1
	s_xor_b32 s1, exec_lo, s2
	s_cbranch_execz .LBB68_616
; %bb.615:
	v_div_scale_f64 v[157:158], null, v[144:145], v[144:145], v[142:143]
	v_div_scale_f64 v[163:164], vcc_lo, v[142:143], v[144:145], v[142:143]
	v_rcp_f64_e32 v[159:160], v[157:158]
	v_fma_f64 v[161:162], -v[157:158], v[159:160], 1.0
	v_fma_f64 v[159:160], v[159:160], v[161:162], v[159:160]
	v_fma_f64 v[161:162], -v[157:158], v[159:160], 1.0
	v_fma_f64 v[159:160], v[159:160], v[161:162], v[159:160]
	v_mul_f64 v[161:162], v[163:164], v[159:160]
	v_fma_f64 v[157:158], -v[157:158], v[161:162], v[163:164]
	v_div_fmas_f64 v[157:158], v[157:158], v[159:160], v[161:162]
	v_div_fixup_f64 v[157:158], v[157:158], v[144:145], v[142:143]
	v_fma_f64 v[142:143], v[142:143], v[157:158], v[144:145]
	v_div_scale_f64 v[144:145], null, v[142:143], v[142:143], 1.0
	v_rcp_f64_e32 v[159:160], v[144:145]
	v_fma_f64 v[161:162], -v[144:145], v[159:160], 1.0
	v_fma_f64 v[159:160], v[159:160], v[161:162], v[159:160]
	v_fma_f64 v[161:162], -v[144:145], v[159:160], 1.0
	v_fma_f64 v[159:160], v[159:160], v[161:162], v[159:160]
	v_div_scale_f64 v[161:162], vcc_lo, 1.0, v[142:143], 1.0
	v_mul_f64 v[163:164], v[161:162], v[159:160]
	v_fma_f64 v[144:145], -v[144:145], v[163:164], v[161:162]
	v_div_fmas_f64 v[144:145], v[144:145], v[159:160], v[163:164]
	v_div_fixup_f64 v[144:145], v[144:145], v[142:143], 1.0
	v_mul_f64 v[142:143], v[157:158], v[144:145]
	v_xor_b32_e32 v145, 0x80000000, v145
.LBB68_616:
	s_andn2_saveexec_b32 s1, s1
	s_cbranch_execz .LBB68_618
; %bb.617:
	v_div_scale_f64 v[157:158], null, v[142:143], v[142:143], v[144:145]
	v_div_scale_f64 v[163:164], vcc_lo, v[144:145], v[142:143], v[144:145]
	v_rcp_f64_e32 v[159:160], v[157:158]
	v_fma_f64 v[161:162], -v[157:158], v[159:160], 1.0
	v_fma_f64 v[159:160], v[159:160], v[161:162], v[159:160]
	v_fma_f64 v[161:162], -v[157:158], v[159:160], 1.0
	v_fma_f64 v[159:160], v[159:160], v[161:162], v[159:160]
	v_mul_f64 v[161:162], v[163:164], v[159:160]
	v_fma_f64 v[157:158], -v[157:158], v[161:162], v[163:164]
	v_div_fmas_f64 v[157:158], v[157:158], v[159:160], v[161:162]
	v_div_fixup_f64 v[157:158], v[157:158], v[142:143], v[144:145]
	v_fma_f64 v[142:143], v[144:145], v[157:158], v[142:143]
	v_div_scale_f64 v[144:145], null, v[142:143], v[142:143], 1.0
	v_rcp_f64_e32 v[159:160], v[144:145]
	v_fma_f64 v[161:162], -v[144:145], v[159:160], 1.0
	v_fma_f64 v[159:160], v[159:160], v[161:162], v[159:160]
	v_fma_f64 v[161:162], -v[144:145], v[159:160], 1.0
	v_fma_f64 v[159:160], v[159:160], v[161:162], v[159:160]
	v_div_scale_f64 v[161:162], vcc_lo, 1.0, v[142:143], 1.0
	v_mul_f64 v[163:164], v[161:162], v[159:160]
	v_fma_f64 v[144:145], -v[144:145], v[163:164], v[161:162]
	v_div_fmas_f64 v[144:145], v[144:145], v[159:160], v[163:164]
	v_div_fixup_f64 v[142:143], v[144:145], v[142:143], 1.0
	v_mul_f64 v[144:145], v[157:158], -v[142:143]
.LBB68_618:
	s_or_b32 exec_lo, exec_lo, s1
.LBB68_619:
	s_or_b32 exec_lo, exec_lo, s0
	s_mov_b32 s0, exec_lo
	v_cmpx_ne_u32_e64 v156, v150
	s_xor_b32 s0, exec_lo, s0
	s_cbranch_execz .LBB68_625
; %bb.620:
	s_mov_b32 s1, exec_lo
	v_cmpx_eq_u32_e32 29, v156
	s_cbranch_execz .LBB68_624
; %bb.621:
	v_cmp_ne_u32_e32 vcc_lo, 29, v150
	s_xor_b32 s2, s16, -1
	s_and_b32 s3, s2, vcc_lo
	s_and_saveexec_b32 s2, s3
	s_cbranch_execz .LBB68_623
; %bb.622:
	v_ashrrev_i32_e32 v151, 31, v150
	v_lshlrev_b64 v[156:157], 2, v[150:151]
	v_add_co_u32 v156, vcc_lo, v148, v156
	v_add_co_ci_u32_e64 v157, null, v149, v157, vcc_lo
	s_clause 0x1
	global_load_dword v0, v[156:157], off
	global_load_dword v151, v[148:149], off offset:116
	s_waitcnt vmcnt(1)
	global_store_dword v[148:149], v0, off offset:116
	s_waitcnt vmcnt(0)
	global_store_dword v[156:157], v151, off
.LBB68_623:
	s_or_b32 exec_lo, exec_lo, s2
	v_mov_b32_e32 v156, v150
	v_mov_b32_e32 v0, v150
.LBB68_624:
	s_or_b32 exec_lo, exec_lo, s1
.LBB68_625:
	s_andn2_saveexec_b32 s0, s0
	s_cbranch_execz .LBB68_627
; %bb.626:
	v_mov_b32_e32 v156, 29
	ds_write2_b64 v1, v[18:19], v[20:21] offset0:60 offset1:61
	ds_write2_b64 v1, v[14:15], v[16:17] offset0:62 offset1:63
	;; [unrolled: 1-line block ×5, first 2 shown]
.LBB68_627:
	s_or_b32 exec_lo, exec_lo, s0
	s_mov_b32 s0, exec_lo
	s_waitcnt lgkmcnt(0)
	s_waitcnt_vscnt null, 0x0
	s_barrier
	buffer_gl0_inv
	v_cmpx_lt_i32_e32 29, v156
	s_cbranch_execz .LBB68_629
; %bb.628:
	v_mul_f64 v[150:151], v[142:143], v[24:25]
	v_mul_f64 v[24:25], v[144:145], v[24:25]
	v_fma_f64 v[150:151], v[144:145], v[22:23], v[150:151]
	v_fma_f64 v[22:23], v[142:143], v[22:23], -v[24:25]
	ds_read2_b64 v[142:145], v1 offset0:60 offset1:61
	s_waitcnt lgkmcnt(0)
	v_mul_f64 v[24:25], v[144:145], v[150:151]
	v_fma_f64 v[24:25], v[142:143], v[22:23], -v[24:25]
	v_mul_f64 v[142:143], v[142:143], v[150:151]
	v_add_f64 v[18:19], v[18:19], -v[24:25]
	v_fma_f64 v[142:143], v[144:145], v[22:23], v[142:143]
	v_add_f64 v[20:21], v[20:21], -v[142:143]
	ds_read2_b64 v[142:145], v1 offset0:62 offset1:63
	s_waitcnt lgkmcnt(0)
	v_mul_f64 v[24:25], v[144:145], v[150:151]
	v_fma_f64 v[24:25], v[142:143], v[22:23], -v[24:25]
	v_mul_f64 v[142:143], v[142:143], v[150:151]
	v_add_f64 v[14:15], v[14:15], -v[24:25]
	v_fma_f64 v[142:143], v[144:145], v[22:23], v[142:143]
	v_add_f64 v[16:17], v[16:17], -v[142:143]
	;; [unrolled: 8-line block ×4, first 2 shown]
	ds_read2_b64 v[142:145], v1 offset0:68 offset1:69
	s_waitcnt lgkmcnt(0)
	v_mul_f64 v[24:25], v[144:145], v[150:151]
	v_fma_f64 v[24:25], v[142:143], v[22:23], -v[24:25]
	v_mul_f64 v[142:143], v[142:143], v[150:151]
	v_add_f64 v[2:3], v[2:3], -v[24:25]
	v_fma_f64 v[142:143], v[144:145], v[22:23], v[142:143]
	v_mov_b32_e32 v24, v150
	v_mov_b32_e32 v25, v151
	v_add_f64 v[4:5], v[4:5], -v[142:143]
.LBB68_629:
	s_or_b32 exec_lo, exec_lo, s0
	v_lshl_add_u32 v142, v156, 4, v1
	s_barrier
	buffer_gl0_inv
	v_mov_b32_e32 v150, 30
	ds_write2_b64 v142, v[18:19], v[20:21] offset1:1
	s_waitcnt lgkmcnt(0)
	s_barrier
	buffer_gl0_inv
	ds_read2_b64 v[142:145], v1 offset0:60 offset1:61
	s_cmp_lt_i32 s18, 32
	s_cbranch_scc1 .LBB68_632
; %bb.630:
	v_add3_u32 v151, v152, 0, 0x1f0
	v_mov_b32_e32 v150, 30
	s_mov_b32 s1, 31
	s_inst_prefetch 0x1
	.p2align	6
.LBB68_631:                             ; =>This Inner Loop Header: Depth=1
	s_waitcnt lgkmcnt(0)
	v_cmp_gt_f64_e32 vcc_lo, 0, v[144:145]
	v_cmp_gt_f64_e64 s0, 0, v[142:143]
	ds_read2_b64 v[157:160], v151 offset1:1
	v_xor_b32_e32 v162, 0x80000000, v143
	v_xor_b32_e32 v164, 0x80000000, v145
	v_mov_b32_e32 v161, v142
	v_mov_b32_e32 v163, v144
	v_add_nc_u32_e32 v151, 16, v151
	s_waitcnt lgkmcnt(0)
	v_xor_b32_e32 v166, 0x80000000, v160
	v_cndmask_b32_e64 v162, v143, v162, s0
	v_cndmask_b32_e32 v164, v145, v164, vcc_lo
	v_cmp_gt_f64_e32 vcc_lo, 0, v[159:160]
	v_cmp_gt_f64_e64 s0, 0, v[157:158]
	v_mov_b32_e32 v165, v159
	v_add_f64 v[161:162], v[161:162], v[163:164]
	v_xor_b32_e32 v164, 0x80000000, v158
	v_mov_b32_e32 v163, v157
	v_cndmask_b32_e32 v166, v160, v166, vcc_lo
	v_cndmask_b32_e64 v164, v158, v164, s0
	v_add_f64 v[163:164], v[163:164], v[165:166]
	v_cmp_lt_f64_e32 vcc_lo, v[161:162], v[163:164]
	v_cndmask_b32_e32 v143, v143, v158, vcc_lo
	v_cndmask_b32_e32 v142, v142, v157, vcc_lo
	;; [unrolled: 1-line block ×4, first 2 shown]
	v_cndmask_b32_e64 v150, v150, s1, vcc_lo
	s_add_i32 s1, s1, 1
	s_cmp_lg_u32 s18, s1
	s_cbranch_scc1 .LBB68_631
.LBB68_632:
	s_inst_prefetch 0x2
	s_waitcnt lgkmcnt(0)
	v_cmp_eq_f64_e32 vcc_lo, 0, v[142:143]
	v_cmp_eq_f64_e64 s0, 0, v[144:145]
	s_and_b32 s0, vcc_lo, s0
	s_and_saveexec_b32 s1, s0
	s_xor_b32 s0, exec_lo, s1
; %bb.633:
	v_cmp_ne_u32_e32 vcc_lo, 0, v155
	v_cndmask_b32_e32 v155, 31, v155, vcc_lo
; %bb.634:
	s_andn2_saveexec_b32 s0, s0
	s_cbranch_execz .LBB68_640
; %bb.635:
	v_cmp_ngt_f64_e64 s1, |v[142:143]|, |v[144:145]|
	s_and_saveexec_b32 s2, s1
	s_xor_b32 s1, exec_lo, s2
	s_cbranch_execz .LBB68_637
; %bb.636:
	v_div_scale_f64 v[157:158], null, v[144:145], v[144:145], v[142:143]
	v_div_scale_f64 v[163:164], vcc_lo, v[142:143], v[144:145], v[142:143]
	v_rcp_f64_e32 v[159:160], v[157:158]
	v_fma_f64 v[161:162], -v[157:158], v[159:160], 1.0
	v_fma_f64 v[159:160], v[159:160], v[161:162], v[159:160]
	v_fma_f64 v[161:162], -v[157:158], v[159:160], 1.0
	v_fma_f64 v[159:160], v[159:160], v[161:162], v[159:160]
	v_mul_f64 v[161:162], v[163:164], v[159:160]
	v_fma_f64 v[157:158], -v[157:158], v[161:162], v[163:164]
	v_div_fmas_f64 v[157:158], v[157:158], v[159:160], v[161:162]
	v_div_fixup_f64 v[157:158], v[157:158], v[144:145], v[142:143]
	v_fma_f64 v[142:143], v[142:143], v[157:158], v[144:145]
	v_div_scale_f64 v[144:145], null, v[142:143], v[142:143], 1.0
	v_rcp_f64_e32 v[159:160], v[144:145]
	v_fma_f64 v[161:162], -v[144:145], v[159:160], 1.0
	v_fma_f64 v[159:160], v[159:160], v[161:162], v[159:160]
	v_fma_f64 v[161:162], -v[144:145], v[159:160], 1.0
	v_fma_f64 v[159:160], v[159:160], v[161:162], v[159:160]
	v_div_scale_f64 v[161:162], vcc_lo, 1.0, v[142:143], 1.0
	v_mul_f64 v[163:164], v[161:162], v[159:160]
	v_fma_f64 v[144:145], -v[144:145], v[163:164], v[161:162]
	v_div_fmas_f64 v[144:145], v[144:145], v[159:160], v[163:164]
	v_div_fixup_f64 v[144:145], v[144:145], v[142:143], 1.0
	v_mul_f64 v[142:143], v[157:158], v[144:145]
	v_xor_b32_e32 v145, 0x80000000, v145
.LBB68_637:
	s_andn2_saveexec_b32 s1, s1
	s_cbranch_execz .LBB68_639
; %bb.638:
	v_div_scale_f64 v[157:158], null, v[142:143], v[142:143], v[144:145]
	v_div_scale_f64 v[163:164], vcc_lo, v[144:145], v[142:143], v[144:145]
	v_rcp_f64_e32 v[159:160], v[157:158]
	v_fma_f64 v[161:162], -v[157:158], v[159:160], 1.0
	v_fma_f64 v[159:160], v[159:160], v[161:162], v[159:160]
	v_fma_f64 v[161:162], -v[157:158], v[159:160], 1.0
	v_fma_f64 v[159:160], v[159:160], v[161:162], v[159:160]
	v_mul_f64 v[161:162], v[163:164], v[159:160]
	v_fma_f64 v[157:158], -v[157:158], v[161:162], v[163:164]
	v_div_fmas_f64 v[157:158], v[157:158], v[159:160], v[161:162]
	v_div_fixup_f64 v[157:158], v[157:158], v[142:143], v[144:145]
	v_fma_f64 v[142:143], v[144:145], v[157:158], v[142:143]
	v_div_scale_f64 v[144:145], null, v[142:143], v[142:143], 1.0
	v_rcp_f64_e32 v[159:160], v[144:145]
	v_fma_f64 v[161:162], -v[144:145], v[159:160], 1.0
	v_fma_f64 v[159:160], v[159:160], v[161:162], v[159:160]
	v_fma_f64 v[161:162], -v[144:145], v[159:160], 1.0
	v_fma_f64 v[159:160], v[159:160], v[161:162], v[159:160]
	v_div_scale_f64 v[161:162], vcc_lo, 1.0, v[142:143], 1.0
	v_mul_f64 v[163:164], v[161:162], v[159:160]
	v_fma_f64 v[144:145], -v[144:145], v[163:164], v[161:162]
	v_div_fmas_f64 v[144:145], v[144:145], v[159:160], v[163:164]
	v_div_fixup_f64 v[142:143], v[144:145], v[142:143], 1.0
	v_mul_f64 v[144:145], v[157:158], -v[142:143]
.LBB68_639:
	s_or_b32 exec_lo, exec_lo, s1
.LBB68_640:
	s_or_b32 exec_lo, exec_lo, s0
	s_mov_b32 s0, exec_lo
	v_cmpx_ne_u32_e64 v156, v150
	s_xor_b32 s0, exec_lo, s0
	s_cbranch_execz .LBB68_646
; %bb.641:
	s_mov_b32 s1, exec_lo
	v_cmpx_eq_u32_e32 30, v156
	s_cbranch_execz .LBB68_645
; %bb.642:
	v_cmp_ne_u32_e32 vcc_lo, 30, v150
	s_xor_b32 s2, s16, -1
	s_and_b32 s3, s2, vcc_lo
	s_and_saveexec_b32 s2, s3
	s_cbranch_execz .LBB68_644
; %bb.643:
	v_ashrrev_i32_e32 v151, 31, v150
	v_lshlrev_b64 v[156:157], 2, v[150:151]
	v_add_co_u32 v156, vcc_lo, v148, v156
	v_add_co_ci_u32_e64 v157, null, v149, v157, vcc_lo
	s_clause 0x1
	global_load_dword v0, v[156:157], off
	global_load_dword v151, v[148:149], off offset:120
	s_waitcnt vmcnt(1)
	global_store_dword v[148:149], v0, off offset:120
	s_waitcnt vmcnt(0)
	global_store_dword v[156:157], v151, off
.LBB68_644:
	s_or_b32 exec_lo, exec_lo, s2
	v_mov_b32_e32 v156, v150
	v_mov_b32_e32 v0, v150
.LBB68_645:
	s_or_b32 exec_lo, exec_lo, s1
.LBB68_646:
	s_andn2_saveexec_b32 s0, s0
	s_cbranch_execz .LBB68_648
; %bb.647:
	v_mov_b32_e32 v156, 30
	ds_write2_b64 v1, v[14:15], v[16:17] offset0:62 offset1:63
	ds_write2_b64 v1, v[10:11], v[12:13] offset0:64 offset1:65
	;; [unrolled: 1-line block ×4, first 2 shown]
.LBB68_648:
	s_or_b32 exec_lo, exec_lo, s0
	s_mov_b32 s0, exec_lo
	s_waitcnt lgkmcnt(0)
	s_waitcnt_vscnt null, 0x0
	s_barrier
	buffer_gl0_inv
	v_cmpx_lt_i32_e32 30, v156
	s_cbranch_execz .LBB68_650
; %bb.649:
	v_mul_f64 v[150:151], v[142:143], v[20:21]
	v_mul_f64 v[20:21], v[144:145], v[20:21]
	ds_read2_b64 v[157:160], v1 offset0:62 offset1:63
	ds_read2_b64 v[161:164], v1 offset0:64 offset1:65
	;; [unrolled: 1-line block ×4, first 2 shown]
	v_fma_f64 v[144:145], v[144:145], v[18:19], v[150:151]
	v_fma_f64 v[18:19], v[142:143], v[18:19], -v[20:21]
	s_waitcnt lgkmcnt(3)
	v_mul_f64 v[20:21], v[159:160], v[144:145]
	v_mul_f64 v[142:143], v[157:158], v[144:145]
	s_waitcnt lgkmcnt(2)
	v_mul_f64 v[150:151], v[163:164], v[144:145]
	v_mul_f64 v[173:174], v[161:162], v[144:145]
	;; [unrolled: 3-line block ×4, first 2 shown]
	v_fma_f64 v[20:21], v[157:158], v[18:19], -v[20:21]
	v_fma_f64 v[142:143], v[159:160], v[18:19], v[142:143]
	v_fma_f64 v[150:151], v[161:162], v[18:19], -v[150:151]
	v_fma_f64 v[157:158], v[163:164], v[18:19], v[173:174]
	;; [unrolled: 2-line block ×4, first 2 shown]
	v_add_f64 v[14:15], v[14:15], -v[20:21]
	v_add_f64 v[16:17], v[16:17], -v[142:143]
	;; [unrolled: 1-line block ×8, first 2 shown]
	v_mov_b32_e32 v20, v144
	v_mov_b32_e32 v21, v145
.LBB68_650:
	s_or_b32 exec_lo, exec_lo, s0
	v_lshl_add_u32 v142, v156, 4, v1
	s_barrier
	buffer_gl0_inv
	v_mov_b32_e32 v150, 31
	ds_write2_b64 v142, v[14:15], v[16:17] offset1:1
	s_waitcnt lgkmcnt(0)
	s_barrier
	buffer_gl0_inv
	ds_read2_b64 v[142:145], v1 offset0:62 offset1:63
	s_cmp_lt_i32 s18, 33
	s_cbranch_scc1 .LBB68_653
; %bb.651:
	v_add3_u32 v151, v152, 0, 0x200
	v_mov_b32_e32 v150, 31
	s_mov_b32 s1, 32
	s_inst_prefetch 0x1
	.p2align	6
.LBB68_652:                             ; =>This Inner Loop Header: Depth=1
	s_waitcnt lgkmcnt(0)
	v_cmp_gt_f64_e32 vcc_lo, 0, v[144:145]
	v_cmp_gt_f64_e64 s0, 0, v[142:143]
	ds_read2_b64 v[157:160], v151 offset1:1
	v_xor_b32_e32 v162, 0x80000000, v143
	v_xor_b32_e32 v164, 0x80000000, v145
	v_mov_b32_e32 v161, v142
	v_mov_b32_e32 v163, v144
	v_add_nc_u32_e32 v151, 16, v151
	s_waitcnt lgkmcnt(0)
	v_xor_b32_e32 v166, 0x80000000, v160
	v_cndmask_b32_e64 v162, v143, v162, s0
	v_cndmask_b32_e32 v164, v145, v164, vcc_lo
	v_cmp_gt_f64_e32 vcc_lo, 0, v[159:160]
	v_cmp_gt_f64_e64 s0, 0, v[157:158]
	v_mov_b32_e32 v165, v159
	v_add_f64 v[161:162], v[161:162], v[163:164]
	v_xor_b32_e32 v164, 0x80000000, v158
	v_mov_b32_e32 v163, v157
	v_cndmask_b32_e32 v166, v160, v166, vcc_lo
	v_cndmask_b32_e64 v164, v158, v164, s0
	v_add_f64 v[163:164], v[163:164], v[165:166]
	v_cmp_lt_f64_e32 vcc_lo, v[161:162], v[163:164]
	v_cndmask_b32_e32 v143, v143, v158, vcc_lo
	v_cndmask_b32_e32 v142, v142, v157, vcc_lo
	;; [unrolled: 1-line block ×4, first 2 shown]
	v_cndmask_b32_e64 v150, v150, s1, vcc_lo
	s_add_i32 s1, s1, 1
	s_cmp_lg_u32 s18, s1
	s_cbranch_scc1 .LBB68_652
.LBB68_653:
	s_inst_prefetch 0x2
	s_waitcnt lgkmcnt(0)
	v_cmp_eq_f64_e32 vcc_lo, 0, v[142:143]
	v_cmp_eq_f64_e64 s0, 0, v[144:145]
	s_and_b32 s0, vcc_lo, s0
	s_and_saveexec_b32 s1, s0
	s_xor_b32 s0, exec_lo, s1
; %bb.654:
	v_cmp_ne_u32_e32 vcc_lo, 0, v155
	v_cndmask_b32_e32 v155, 32, v155, vcc_lo
; %bb.655:
	s_andn2_saveexec_b32 s0, s0
	s_cbranch_execz .LBB68_661
; %bb.656:
	v_cmp_ngt_f64_e64 s1, |v[142:143]|, |v[144:145]|
	s_and_saveexec_b32 s2, s1
	s_xor_b32 s1, exec_lo, s2
	s_cbranch_execz .LBB68_658
; %bb.657:
	v_div_scale_f64 v[157:158], null, v[144:145], v[144:145], v[142:143]
	v_div_scale_f64 v[163:164], vcc_lo, v[142:143], v[144:145], v[142:143]
	v_rcp_f64_e32 v[159:160], v[157:158]
	v_fma_f64 v[161:162], -v[157:158], v[159:160], 1.0
	v_fma_f64 v[159:160], v[159:160], v[161:162], v[159:160]
	v_fma_f64 v[161:162], -v[157:158], v[159:160], 1.0
	v_fma_f64 v[159:160], v[159:160], v[161:162], v[159:160]
	v_mul_f64 v[161:162], v[163:164], v[159:160]
	v_fma_f64 v[157:158], -v[157:158], v[161:162], v[163:164]
	v_div_fmas_f64 v[157:158], v[157:158], v[159:160], v[161:162]
	v_div_fixup_f64 v[157:158], v[157:158], v[144:145], v[142:143]
	v_fma_f64 v[142:143], v[142:143], v[157:158], v[144:145]
	v_div_scale_f64 v[144:145], null, v[142:143], v[142:143], 1.0
	v_rcp_f64_e32 v[159:160], v[144:145]
	v_fma_f64 v[161:162], -v[144:145], v[159:160], 1.0
	v_fma_f64 v[159:160], v[159:160], v[161:162], v[159:160]
	v_fma_f64 v[161:162], -v[144:145], v[159:160], 1.0
	v_fma_f64 v[159:160], v[159:160], v[161:162], v[159:160]
	v_div_scale_f64 v[161:162], vcc_lo, 1.0, v[142:143], 1.0
	v_mul_f64 v[163:164], v[161:162], v[159:160]
	v_fma_f64 v[144:145], -v[144:145], v[163:164], v[161:162]
	v_div_fmas_f64 v[144:145], v[144:145], v[159:160], v[163:164]
	v_div_fixup_f64 v[144:145], v[144:145], v[142:143], 1.0
	v_mul_f64 v[142:143], v[157:158], v[144:145]
	v_xor_b32_e32 v145, 0x80000000, v145
.LBB68_658:
	s_andn2_saveexec_b32 s1, s1
	s_cbranch_execz .LBB68_660
; %bb.659:
	v_div_scale_f64 v[157:158], null, v[142:143], v[142:143], v[144:145]
	v_div_scale_f64 v[163:164], vcc_lo, v[144:145], v[142:143], v[144:145]
	v_rcp_f64_e32 v[159:160], v[157:158]
	v_fma_f64 v[161:162], -v[157:158], v[159:160], 1.0
	v_fma_f64 v[159:160], v[159:160], v[161:162], v[159:160]
	v_fma_f64 v[161:162], -v[157:158], v[159:160], 1.0
	v_fma_f64 v[159:160], v[159:160], v[161:162], v[159:160]
	v_mul_f64 v[161:162], v[163:164], v[159:160]
	v_fma_f64 v[157:158], -v[157:158], v[161:162], v[163:164]
	v_div_fmas_f64 v[157:158], v[157:158], v[159:160], v[161:162]
	v_div_fixup_f64 v[157:158], v[157:158], v[142:143], v[144:145]
	v_fma_f64 v[142:143], v[144:145], v[157:158], v[142:143]
	v_div_scale_f64 v[144:145], null, v[142:143], v[142:143], 1.0
	v_rcp_f64_e32 v[159:160], v[144:145]
	v_fma_f64 v[161:162], -v[144:145], v[159:160], 1.0
	v_fma_f64 v[159:160], v[159:160], v[161:162], v[159:160]
	v_fma_f64 v[161:162], -v[144:145], v[159:160], 1.0
	v_fma_f64 v[159:160], v[159:160], v[161:162], v[159:160]
	v_div_scale_f64 v[161:162], vcc_lo, 1.0, v[142:143], 1.0
	v_mul_f64 v[163:164], v[161:162], v[159:160]
	v_fma_f64 v[144:145], -v[144:145], v[163:164], v[161:162]
	v_div_fmas_f64 v[144:145], v[144:145], v[159:160], v[163:164]
	v_div_fixup_f64 v[142:143], v[144:145], v[142:143], 1.0
	v_mul_f64 v[144:145], v[157:158], -v[142:143]
.LBB68_660:
	s_or_b32 exec_lo, exec_lo, s1
.LBB68_661:
	s_or_b32 exec_lo, exec_lo, s0
	s_mov_b32 s0, exec_lo
	v_cmpx_ne_u32_e64 v156, v150
	s_xor_b32 s0, exec_lo, s0
	s_cbranch_execz .LBB68_667
; %bb.662:
	s_mov_b32 s1, exec_lo
	v_cmpx_eq_u32_e32 31, v156
	s_cbranch_execz .LBB68_666
; %bb.663:
	v_cmp_ne_u32_e32 vcc_lo, 31, v150
	s_xor_b32 s2, s16, -1
	s_and_b32 s3, s2, vcc_lo
	s_and_saveexec_b32 s2, s3
	s_cbranch_execz .LBB68_665
; %bb.664:
	v_ashrrev_i32_e32 v151, 31, v150
	v_lshlrev_b64 v[156:157], 2, v[150:151]
	v_add_co_u32 v156, vcc_lo, v148, v156
	v_add_co_ci_u32_e64 v157, null, v149, v157, vcc_lo
	s_clause 0x1
	global_load_dword v0, v[156:157], off
	global_load_dword v151, v[148:149], off offset:124
	s_waitcnt vmcnt(1)
	global_store_dword v[148:149], v0, off offset:124
	s_waitcnt vmcnt(0)
	global_store_dword v[156:157], v151, off
.LBB68_665:
	s_or_b32 exec_lo, exec_lo, s2
	v_mov_b32_e32 v156, v150
	v_mov_b32_e32 v0, v150
.LBB68_666:
	s_or_b32 exec_lo, exec_lo, s1
.LBB68_667:
	s_andn2_saveexec_b32 s0, s0
	s_cbranch_execz .LBB68_669
; %bb.668:
	v_mov_b32_e32 v156, 31
	ds_write2_b64 v1, v[10:11], v[12:13] offset0:64 offset1:65
	ds_write2_b64 v1, v[6:7], v[8:9] offset0:66 offset1:67
	;; [unrolled: 1-line block ×3, first 2 shown]
.LBB68_669:
	s_or_b32 exec_lo, exec_lo, s0
	s_mov_b32 s0, exec_lo
	s_waitcnt lgkmcnt(0)
	s_waitcnt_vscnt null, 0x0
	s_barrier
	buffer_gl0_inv
	v_cmpx_lt_i32_e32 31, v156
	s_cbranch_execz .LBB68_671
; %bb.670:
	v_mul_f64 v[150:151], v[142:143], v[16:17]
	v_mul_f64 v[16:17], v[144:145], v[16:17]
	ds_read2_b64 v[157:160], v1 offset0:64 offset1:65
	ds_read2_b64 v[161:164], v1 offset0:66 offset1:67
	;; [unrolled: 1-line block ×3, first 2 shown]
	v_fma_f64 v[144:145], v[144:145], v[14:15], v[150:151]
	v_fma_f64 v[14:15], v[142:143], v[14:15], -v[16:17]
	s_waitcnt lgkmcnt(2)
	v_mul_f64 v[16:17], v[159:160], v[144:145]
	v_mul_f64 v[142:143], v[157:158], v[144:145]
	s_waitcnt lgkmcnt(1)
	v_mul_f64 v[150:151], v[163:164], v[144:145]
	v_mul_f64 v[169:170], v[161:162], v[144:145]
	;; [unrolled: 3-line block ×3, first 2 shown]
	v_fma_f64 v[16:17], v[157:158], v[14:15], -v[16:17]
	v_fma_f64 v[142:143], v[159:160], v[14:15], v[142:143]
	v_fma_f64 v[150:151], v[161:162], v[14:15], -v[150:151]
	v_fma_f64 v[157:158], v[163:164], v[14:15], v[169:170]
	;; [unrolled: 2-line block ×3, first 2 shown]
	v_add_f64 v[10:11], v[10:11], -v[16:17]
	v_add_f64 v[12:13], v[12:13], -v[142:143]
	;; [unrolled: 1-line block ×6, first 2 shown]
	v_mov_b32_e32 v16, v144
	v_mov_b32_e32 v17, v145
.LBB68_671:
	s_or_b32 exec_lo, exec_lo, s0
	v_lshl_add_u32 v142, v156, 4, v1
	s_barrier
	buffer_gl0_inv
	v_mov_b32_e32 v150, 32
	ds_write2_b64 v142, v[10:11], v[12:13] offset1:1
	s_waitcnt lgkmcnt(0)
	s_barrier
	buffer_gl0_inv
	ds_read2_b64 v[142:145], v1 offset0:64 offset1:65
	s_cmp_lt_i32 s18, 34
	s_cbranch_scc1 .LBB68_674
; %bb.672:
	v_add3_u32 v151, v152, 0, 0x210
	v_mov_b32_e32 v150, 32
	s_mov_b32 s1, 33
	s_inst_prefetch 0x1
	.p2align	6
.LBB68_673:                             ; =>This Inner Loop Header: Depth=1
	s_waitcnt lgkmcnt(0)
	v_cmp_gt_f64_e32 vcc_lo, 0, v[144:145]
	v_cmp_gt_f64_e64 s0, 0, v[142:143]
	ds_read2_b64 v[157:160], v151 offset1:1
	v_xor_b32_e32 v162, 0x80000000, v143
	v_xor_b32_e32 v164, 0x80000000, v145
	v_mov_b32_e32 v161, v142
	v_mov_b32_e32 v163, v144
	v_add_nc_u32_e32 v151, 16, v151
	s_waitcnt lgkmcnt(0)
	v_xor_b32_e32 v166, 0x80000000, v160
	v_cndmask_b32_e64 v162, v143, v162, s0
	v_cndmask_b32_e32 v164, v145, v164, vcc_lo
	v_cmp_gt_f64_e32 vcc_lo, 0, v[159:160]
	v_cmp_gt_f64_e64 s0, 0, v[157:158]
	v_mov_b32_e32 v165, v159
	v_add_f64 v[161:162], v[161:162], v[163:164]
	v_xor_b32_e32 v164, 0x80000000, v158
	v_mov_b32_e32 v163, v157
	v_cndmask_b32_e32 v166, v160, v166, vcc_lo
	v_cndmask_b32_e64 v164, v158, v164, s0
	v_add_f64 v[163:164], v[163:164], v[165:166]
	v_cmp_lt_f64_e32 vcc_lo, v[161:162], v[163:164]
	v_cndmask_b32_e32 v143, v143, v158, vcc_lo
	v_cndmask_b32_e32 v142, v142, v157, vcc_lo
	;; [unrolled: 1-line block ×4, first 2 shown]
	v_cndmask_b32_e64 v150, v150, s1, vcc_lo
	s_add_i32 s1, s1, 1
	s_cmp_lg_u32 s18, s1
	s_cbranch_scc1 .LBB68_673
.LBB68_674:
	s_inst_prefetch 0x2
	s_waitcnt lgkmcnt(0)
	v_cmp_eq_f64_e32 vcc_lo, 0, v[142:143]
	v_cmp_eq_f64_e64 s0, 0, v[144:145]
	s_and_b32 s0, vcc_lo, s0
	s_and_saveexec_b32 s1, s0
	s_xor_b32 s0, exec_lo, s1
; %bb.675:
	v_cmp_ne_u32_e32 vcc_lo, 0, v155
	v_cndmask_b32_e32 v155, 33, v155, vcc_lo
; %bb.676:
	s_andn2_saveexec_b32 s0, s0
	s_cbranch_execz .LBB68_682
; %bb.677:
	v_cmp_ngt_f64_e64 s1, |v[142:143]|, |v[144:145]|
	s_and_saveexec_b32 s2, s1
	s_xor_b32 s1, exec_lo, s2
	s_cbranch_execz .LBB68_679
; %bb.678:
	v_div_scale_f64 v[157:158], null, v[144:145], v[144:145], v[142:143]
	v_div_scale_f64 v[163:164], vcc_lo, v[142:143], v[144:145], v[142:143]
	v_rcp_f64_e32 v[159:160], v[157:158]
	v_fma_f64 v[161:162], -v[157:158], v[159:160], 1.0
	v_fma_f64 v[159:160], v[159:160], v[161:162], v[159:160]
	v_fma_f64 v[161:162], -v[157:158], v[159:160], 1.0
	v_fma_f64 v[159:160], v[159:160], v[161:162], v[159:160]
	v_mul_f64 v[161:162], v[163:164], v[159:160]
	v_fma_f64 v[157:158], -v[157:158], v[161:162], v[163:164]
	v_div_fmas_f64 v[157:158], v[157:158], v[159:160], v[161:162]
	v_div_fixup_f64 v[157:158], v[157:158], v[144:145], v[142:143]
	v_fma_f64 v[142:143], v[142:143], v[157:158], v[144:145]
	v_div_scale_f64 v[144:145], null, v[142:143], v[142:143], 1.0
	v_rcp_f64_e32 v[159:160], v[144:145]
	v_fma_f64 v[161:162], -v[144:145], v[159:160], 1.0
	v_fma_f64 v[159:160], v[159:160], v[161:162], v[159:160]
	v_fma_f64 v[161:162], -v[144:145], v[159:160], 1.0
	v_fma_f64 v[159:160], v[159:160], v[161:162], v[159:160]
	v_div_scale_f64 v[161:162], vcc_lo, 1.0, v[142:143], 1.0
	v_mul_f64 v[163:164], v[161:162], v[159:160]
	v_fma_f64 v[144:145], -v[144:145], v[163:164], v[161:162]
	v_div_fmas_f64 v[144:145], v[144:145], v[159:160], v[163:164]
	v_div_fixup_f64 v[144:145], v[144:145], v[142:143], 1.0
	v_mul_f64 v[142:143], v[157:158], v[144:145]
	v_xor_b32_e32 v145, 0x80000000, v145
.LBB68_679:
	s_andn2_saveexec_b32 s1, s1
	s_cbranch_execz .LBB68_681
; %bb.680:
	v_div_scale_f64 v[157:158], null, v[142:143], v[142:143], v[144:145]
	v_div_scale_f64 v[163:164], vcc_lo, v[144:145], v[142:143], v[144:145]
	v_rcp_f64_e32 v[159:160], v[157:158]
	v_fma_f64 v[161:162], -v[157:158], v[159:160], 1.0
	v_fma_f64 v[159:160], v[159:160], v[161:162], v[159:160]
	v_fma_f64 v[161:162], -v[157:158], v[159:160], 1.0
	v_fma_f64 v[159:160], v[159:160], v[161:162], v[159:160]
	v_mul_f64 v[161:162], v[163:164], v[159:160]
	v_fma_f64 v[157:158], -v[157:158], v[161:162], v[163:164]
	v_div_fmas_f64 v[157:158], v[157:158], v[159:160], v[161:162]
	v_div_fixup_f64 v[157:158], v[157:158], v[142:143], v[144:145]
	v_fma_f64 v[142:143], v[144:145], v[157:158], v[142:143]
	v_div_scale_f64 v[144:145], null, v[142:143], v[142:143], 1.0
	v_rcp_f64_e32 v[159:160], v[144:145]
	v_fma_f64 v[161:162], -v[144:145], v[159:160], 1.0
	v_fma_f64 v[159:160], v[159:160], v[161:162], v[159:160]
	v_fma_f64 v[161:162], -v[144:145], v[159:160], 1.0
	v_fma_f64 v[159:160], v[159:160], v[161:162], v[159:160]
	v_div_scale_f64 v[161:162], vcc_lo, 1.0, v[142:143], 1.0
	v_mul_f64 v[163:164], v[161:162], v[159:160]
	v_fma_f64 v[144:145], -v[144:145], v[163:164], v[161:162]
	v_div_fmas_f64 v[144:145], v[144:145], v[159:160], v[163:164]
	v_div_fixup_f64 v[142:143], v[144:145], v[142:143], 1.0
	v_mul_f64 v[144:145], v[157:158], -v[142:143]
.LBB68_681:
	s_or_b32 exec_lo, exec_lo, s1
.LBB68_682:
	s_or_b32 exec_lo, exec_lo, s0
	s_mov_b32 s0, exec_lo
	v_cmpx_ne_u32_e64 v156, v150
	s_xor_b32 s0, exec_lo, s0
	s_cbranch_execz .LBB68_688
; %bb.683:
	s_mov_b32 s1, exec_lo
	v_cmpx_eq_u32_e32 32, v156
	s_cbranch_execz .LBB68_687
; %bb.684:
	v_cmp_ne_u32_e32 vcc_lo, 32, v150
	s_xor_b32 s2, s16, -1
	s_and_b32 s3, s2, vcc_lo
	s_and_saveexec_b32 s2, s3
	s_cbranch_execz .LBB68_686
; %bb.685:
	v_ashrrev_i32_e32 v151, 31, v150
	v_lshlrev_b64 v[156:157], 2, v[150:151]
	v_add_co_u32 v156, vcc_lo, v148, v156
	v_add_co_ci_u32_e64 v157, null, v149, v157, vcc_lo
	s_clause 0x1
	global_load_dword v0, v[156:157], off
	global_load_dword v151, v[148:149], off offset:128
	s_waitcnt vmcnt(1)
	global_store_dword v[148:149], v0, off offset:128
	s_waitcnt vmcnt(0)
	global_store_dword v[156:157], v151, off
.LBB68_686:
	s_or_b32 exec_lo, exec_lo, s2
	v_mov_b32_e32 v156, v150
	v_mov_b32_e32 v0, v150
.LBB68_687:
	s_or_b32 exec_lo, exec_lo, s1
.LBB68_688:
	s_andn2_saveexec_b32 s0, s0
	s_cbranch_execz .LBB68_690
; %bb.689:
	v_mov_b32_e32 v156, 32
	ds_write2_b64 v1, v[6:7], v[8:9] offset0:66 offset1:67
	ds_write2_b64 v1, v[2:3], v[4:5] offset0:68 offset1:69
.LBB68_690:
	s_or_b32 exec_lo, exec_lo, s0
	s_mov_b32 s0, exec_lo
	s_waitcnt lgkmcnt(0)
	s_waitcnt_vscnt null, 0x0
	s_barrier
	buffer_gl0_inv
	v_cmpx_lt_i32_e32 32, v156
	s_cbranch_execz .LBB68_692
; %bb.691:
	v_mul_f64 v[150:151], v[142:143], v[12:13]
	v_mul_f64 v[12:13], v[144:145], v[12:13]
	ds_read2_b64 v[157:160], v1 offset0:66 offset1:67
	ds_read2_b64 v[161:164], v1 offset0:68 offset1:69
	v_fma_f64 v[144:145], v[144:145], v[10:11], v[150:151]
	v_fma_f64 v[10:11], v[142:143], v[10:11], -v[12:13]
	s_waitcnt lgkmcnt(1)
	v_mul_f64 v[12:13], v[159:160], v[144:145]
	v_mul_f64 v[142:143], v[157:158], v[144:145]
	s_waitcnt lgkmcnt(0)
	v_mul_f64 v[150:151], v[163:164], v[144:145]
	v_mul_f64 v[165:166], v[161:162], v[144:145]
	v_fma_f64 v[12:13], v[157:158], v[10:11], -v[12:13]
	v_fma_f64 v[142:143], v[159:160], v[10:11], v[142:143]
	v_fma_f64 v[150:151], v[161:162], v[10:11], -v[150:151]
	v_fma_f64 v[157:158], v[163:164], v[10:11], v[165:166]
	v_add_f64 v[6:7], v[6:7], -v[12:13]
	v_add_f64 v[8:9], v[8:9], -v[142:143]
	;; [unrolled: 1-line block ×4, first 2 shown]
	v_mov_b32_e32 v12, v144
	v_mov_b32_e32 v13, v145
.LBB68_692:
	s_or_b32 exec_lo, exec_lo, s0
	v_lshl_add_u32 v142, v156, 4, v1
	s_barrier
	buffer_gl0_inv
	v_mov_b32_e32 v150, 33
	ds_write2_b64 v142, v[6:7], v[8:9] offset1:1
	s_waitcnt lgkmcnt(0)
	s_barrier
	buffer_gl0_inv
	ds_read2_b64 v[142:145], v1 offset0:66 offset1:67
	s_cmp_lt_i32 s18, 35
	s_cbranch_scc1 .LBB68_695
; %bb.693:
	v_add3_u32 v151, v152, 0, 0x220
	v_mov_b32_e32 v150, 33
	s_mov_b32 s1, 34
	s_inst_prefetch 0x1
	.p2align	6
.LBB68_694:                             ; =>This Inner Loop Header: Depth=1
	s_waitcnt lgkmcnt(0)
	v_cmp_gt_f64_e32 vcc_lo, 0, v[144:145]
	v_cmp_gt_f64_e64 s0, 0, v[142:143]
	ds_read2_b64 v[157:160], v151 offset1:1
	v_xor_b32_e32 v162, 0x80000000, v143
	v_xor_b32_e32 v164, 0x80000000, v145
	v_mov_b32_e32 v161, v142
	v_mov_b32_e32 v163, v144
	v_add_nc_u32_e32 v151, 16, v151
	s_waitcnt lgkmcnt(0)
	v_xor_b32_e32 v166, 0x80000000, v160
	v_cndmask_b32_e64 v162, v143, v162, s0
	v_cndmask_b32_e32 v164, v145, v164, vcc_lo
	v_cmp_gt_f64_e32 vcc_lo, 0, v[159:160]
	v_cmp_gt_f64_e64 s0, 0, v[157:158]
	v_mov_b32_e32 v165, v159
	v_add_f64 v[161:162], v[161:162], v[163:164]
	v_xor_b32_e32 v164, 0x80000000, v158
	v_mov_b32_e32 v163, v157
	v_cndmask_b32_e32 v166, v160, v166, vcc_lo
	v_cndmask_b32_e64 v164, v158, v164, s0
	v_add_f64 v[163:164], v[163:164], v[165:166]
	v_cmp_lt_f64_e32 vcc_lo, v[161:162], v[163:164]
	v_cndmask_b32_e32 v143, v143, v158, vcc_lo
	v_cndmask_b32_e32 v142, v142, v157, vcc_lo
	;; [unrolled: 1-line block ×4, first 2 shown]
	v_cndmask_b32_e64 v150, v150, s1, vcc_lo
	s_add_i32 s1, s1, 1
	s_cmp_lg_u32 s18, s1
	s_cbranch_scc1 .LBB68_694
.LBB68_695:
	s_inst_prefetch 0x2
	s_waitcnt lgkmcnt(0)
	v_cmp_eq_f64_e32 vcc_lo, 0, v[142:143]
	v_cmp_eq_f64_e64 s0, 0, v[144:145]
	s_and_b32 s0, vcc_lo, s0
	s_and_saveexec_b32 s1, s0
	s_xor_b32 s0, exec_lo, s1
; %bb.696:
	v_cmp_ne_u32_e32 vcc_lo, 0, v155
	v_cndmask_b32_e32 v155, 34, v155, vcc_lo
; %bb.697:
	s_andn2_saveexec_b32 s0, s0
	s_cbranch_execz .LBB68_703
; %bb.698:
	v_cmp_ngt_f64_e64 s1, |v[142:143]|, |v[144:145]|
	s_and_saveexec_b32 s2, s1
	s_xor_b32 s1, exec_lo, s2
	s_cbranch_execz .LBB68_700
; %bb.699:
	v_div_scale_f64 v[157:158], null, v[144:145], v[144:145], v[142:143]
	v_div_scale_f64 v[163:164], vcc_lo, v[142:143], v[144:145], v[142:143]
	v_rcp_f64_e32 v[159:160], v[157:158]
	v_fma_f64 v[161:162], -v[157:158], v[159:160], 1.0
	v_fma_f64 v[159:160], v[159:160], v[161:162], v[159:160]
	v_fma_f64 v[161:162], -v[157:158], v[159:160], 1.0
	v_fma_f64 v[159:160], v[159:160], v[161:162], v[159:160]
	v_mul_f64 v[161:162], v[163:164], v[159:160]
	v_fma_f64 v[157:158], -v[157:158], v[161:162], v[163:164]
	v_div_fmas_f64 v[157:158], v[157:158], v[159:160], v[161:162]
	v_div_fixup_f64 v[157:158], v[157:158], v[144:145], v[142:143]
	v_fma_f64 v[142:143], v[142:143], v[157:158], v[144:145]
	v_div_scale_f64 v[144:145], null, v[142:143], v[142:143], 1.0
	v_rcp_f64_e32 v[159:160], v[144:145]
	v_fma_f64 v[161:162], -v[144:145], v[159:160], 1.0
	v_fma_f64 v[159:160], v[159:160], v[161:162], v[159:160]
	v_fma_f64 v[161:162], -v[144:145], v[159:160], 1.0
	v_fma_f64 v[159:160], v[159:160], v[161:162], v[159:160]
	v_div_scale_f64 v[161:162], vcc_lo, 1.0, v[142:143], 1.0
	v_mul_f64 v[163:164], v[161:162], v[159:160]
	v_fma_f64 v[144:145], -v[144:145], v[163:164], v[161:162]
	v_div_fmas_f64 v[144:145], v[144:145], v[159:160], v[163:164]
	v_div_fixup_f64 v[144:145], v[144:145], v[142:143], 1.0
	v_mul_f64 v[142:143], v[157:158], v[144:145]
	v_xor_b32_e32 v145, 0x80000000, v145
.LBB68_700:
	s_andn2_saveexec_b32 s1, s1
	s_cbranch_execz .LBB68_702
; %bb.701:
	v_div_scale_f64 v[157:158], null, v[142:143], v[142:143], v[144:145]
	v_div_scale_f64 v[163:164], vcc_lo, v[144:145], v[142:143], v[144:145]
	v_rcp_f64_e32 v[159:160], v[157:158]
	v_fma_f64 v[161:162], -v[157:158], v[159:160], 1.0
	v_fma_f64 v[159:160], v[159:160], v[161:162], v[159:160]
	v_fma_f64 v[161:162], -v[157:158], v[159:160], 1.0
	v_fma_f64 v[159:160], v[159:160], v[161:162], v[159:160]
	v_mul_f64 v[161:162], v[163:164], v[159:160]
	v_fma_f64 v[157:158], -v[157:158], v[161:162], v[163:164]
	v_div_fmas_f64 v[157:158], v[157:158], v[159:160], v[161:162]
	v_div_fixup_f64 v[157:158], v[157:158], v[142:143], v[144:145]
	v_fma_f64 v[142:143], v[144:145], v[157:158], v[142:143]
	v_div_scale_f64 v[144:145], null, v[142:143], v[142:143], 1.0
	v_rcp_f64_e32 v[159:160], v[144:145]
	v_fma_f64 v[161:162], -v[144:145], v[159:160], 1.0
	v_fma_f64 v[159:160], v[159:160], v[161:162], v[159:160]
	v_fma_f64 v[161:162], -v[144:145], v[159:160], 1.0
	v_fma_f64 v[159:160], v[159:160], v[161:162], v[159:160]
	v_div_scale_f64 v[161:162], vcc_lo, 1.0, v[142:143], 1.0
	v_mul_f64 v[163:164], v[161:162], v[159:160]
	v_fma_f64 v[144:145], -v[144:145], v[163:164], v[161:162]
	v_div_fmas_f64 v[144:145], v[144:145], v[159:160], v[163:164]
	v_div_fixup_f64 v[142:143], v[144:145], v[142:143], 1.0
	v_mul_f64 v[144:145], v[157:158], -v[142:143]
.LBB68_702:
	s_or_b32 exec_lo, exec_lo, s1
.LBB68_703:
	s_or_b32 exec_lo, exec_lo, s0
	s_mov_b32 s0, exec_lo
	v_cmpx_ne_u32_e64 v156, v150
	s_xor_b32 s0, exec_lo, s0
	s_cbranch_execz .LBB68_709
; %bb.704:
	s_mov_b32 s1, exec_lo
	v_cmpx_eq_u32_e32 33, v156
	s_cbranch_execz .LBB68_708
; %bb.705:
	v_cmp_ne_u32_e32 vcc_lo, 33, v150
	s_xor_b32 s2, s16, -1
	s_and_b32 s3, s2, vcc_lo
	s_and_saveexec_b32 s2, s3
	s_cbranch_execz .LBB68_707
; %bb.706:
	v_ashrrev_i32_e32 v151, 31, v150
	v_lshlrev_b64 v[156:157], 2, v[150:151]
	v_add_co_u32 v156, vcc_lo, v148, v156
	v_add_co_ci_u32_e64 v157, null, v149, v157, vcc_lo
	s_clause 0x1
	global_load_dword v0, v[156:157], off
	global_load_dword v151, v[148:149], off offset:132
	s_waitcnt vmcnt(1)
	global_store_dword v[148:149], v0, off offset:132
	s_waitcnt vmcnt(0)
	global_store_dword v[156:157], v151, off
.LBB68_707:
	s_or_b32 exec_lo, exec_lo, s2
	v_mov_b32_e32 v156, v150
	v_mov_b32_e32 v0, v150
.LBB68_708:
	s_or_b32 exec_lo, exec_lo, s1
.LBB68_709:
	s_andn2_saveexec_b32 s0, s0
; %bb.710:
	v_mov_b32_e32 v156, 33
	ds_write2_b64 v1, v[2:3], v[4:5] offset0:68 offset1:69
; %bb.711:
	s_or_b32 exec_lo, exec_lo, s0
	s_mov_b32 s0, exec_lo
	s_waitcnt lgkmcnt(0)
	s_waitcnt_vscnt null, 0x0
	s_barrier
	buffer_gl0_inv
	v_cmpx_lt_i32_e32 33, v156
	s_cbranch_execz .LBB68_713
; %bb.712:
	v_mul_f64 v[150:151], v[142:143], v[8:9]
	v_mul_f64 v[8:9], v[144:145], v[8:9]
	ds_read2_b64 v[157:160], v1 offset0:68 offset1:69
	v_fma_f64 v[144:145], v[144:145], v[6:7], v[150:151]
	v_fma_f64 v[6:7], v[142:143], v[6:7], -v[8:9]
	s_waitcnt lgkmcnt(0)
	v_mul_f64 v[8:9], v[159:160], v[144:145]
	v_mul_f64 v[142:143], v[157:158], v[144:145]
	v_fma_f64 v[8:9], v[157:158], v[6:7], -v[8:9]
	v_fma_f64 v[142:143], v[159:160], v[6:7], v[142:143]
	v_add_f64 v[2:3], v[2:3], -v[8:9]
	v_add_f64 v[4:5], v[4:5], -v[142:143]
	v_mov_b32_e32 v8, v144
	v_mov_b32_e32 v9, v145
.LBB68_713:
	s_or_b32 exec_lo, exec_lo, s0
	v_lshl_add_u32 v142, v156, 4, v1
	s_barrier
	buffer_gl0_inv
	v_mov_b32_e32 v150, 34
	ds_write2_b64 v142, v[2:3], v[4:5] offset1:1
	s_waitcnt lgkmcnt(0)
	s_barrier
	buffer_gl0_inv
	ds_read2_b64 v[142:145], v1 offset0:68 offset1:69
	s_cmp_lt_i32 s18, 36
	s_cbranch_scc1 .LBB68_716
; %bb.714:
	v_add3_u32 v1, v152, 0, 0x230
	v_mov_b32_e32 v150, 34
	s_mov_b32 s1, 35
	s_inst_prefetch 0x1
	.p2align	6
.LBB68_715:                             ; =>This Inner Loop Header: Depth=1
	s_waitcnt lgkmcnt(0)
	v_cmp_gt_f64_e32 vcc_lo, 0, v[144:145]
	v_cmp_gt_f64_e64 s0, 0, v[142:143]
	ds_read2_b64 v[157:160], v1 offset1:1
	v_xor_b32_e32 v152, 0x80000000, v143
	v_xor_b32_e32 v162, 0x80000000, v145
	v_mov_b32_e32 v151, v142
	v_mov_b32_e32 v161, v144
	v_add_nc_u32_e32 v1, 16, v1
	s_waitcnt lgkmcnt(0)
	v_xor_b32_e32 v164, 0x80000000, v160
	v_cndmask_b32_e64 v152, v143, v152, s0
	v_cndmask_b32_e32 v162, v145, v162, vcc_lo
	v_cmp_gt_f64_e32 vcc_lo, 0, v[159:160]
	v_cmp_gt_f64_e64 s0, 0, v[157:158]
	v_mov_b32_e32 v163, v159
	v_add_f64 v[151:152], v[151:152], v[161:162]
	v_xor_b32_e32 v162, 0x80000000, v158
	v_mov_b32_e32 v161, v157
	v_cndmask_b32_e32 v164, v160, v164, vcc_lo
	v_cndmask_b32_e64 v162, v158, v162, s0
	v_add_f64 v[161:162], v[161:162], v[163:164]
	v_cmp_lt_f64_e32 vcc_lo, v[151:152], v[161:162]
	v_cndmask_b32_e32 v143, v143, v158, vcc_lo
	v_cndmask_b32_e32 v142, v142, v157, vcc_lo
	v_cndmask_b32_e32 v145, v145, v160, vcc_lo
	v_cndmask_b32_e32 v144, v144, v159, vcc_lo
	v_cndmask_b32_e64 v150, v150, s1, vcc_lo
	s_add_i32 s1, s1, 1
	s_cmp_lg_u32 s18, s1
	s_cbranch_scc1 .LBB68_715
.LBB68_716:
	s_inst_prefetch 0x2
	s_waitcnt lgkmcnt(0)
	v_cmp_eq_f64_e32 vcc_lo, 0, v[142:143]
	v_cmp_eq_f64_e64 s0, 0, v[144:145]
	s_and_b32 s0, vcc_lo, s0
	s_and_saveexec_b32 s1, s0
	s_xor_b32 s0, exec_lo, s1
; %bb.717:
	v_cmp_ne_u32_e32 vcc_lo, 0, v155
	v_cndmask_b32_e32 v155, 35, v155, vcc_lo
; %bb.718:
	s_andn2_saveexec_b32 s0, s0
	s_cbranch_execz .LBB68_724
; %bb.719:
	v_cmp_ngt_f64_e64 s1, |v[142:143]|, |v[144:145]|
	s_and_saveexec_b32 s2, s1
	s_xor_b32 s1, exec_lo, s2
	s_cbranch_execz .LBB68_721
; %bb.720:
	v_div_scale_f64 v[151:152], null, v[144:145], v[144:145], v[142:143]
	v_div_scale_f64 v[161:162], vcc_lo, v[142:143], v[144:145], v[142:143]
	v_rcp_f64_e32 v[157:158], v[151:152]
	v_fma_f64 v[159:160], -v[151:152], v[157:158], 1.0
	v_fma_f64 v[157:158], v[157:158], v[159:160], v[157:158]
	v_fma_f64 v[159:160], -v[151:152], v[157:158], 1.0
	v_fma_f64 v[157:158], v[157:158], v[159:160], v[157:158]
	v_mul_f64 v[159:160], v[161:162], v[157:158]
	v_fma_f64 v[151:152], -v[151:152], v[159:160], v[161:162]
	v_div_fmas_f64 v[151:152], v[151:152], v[157:158], v[159:160]
	v_div_fixup_f64 v[151:152], v[151:152], v[144:145], v[142:143]
	v_fma_f64 v[142:143], v[142:143], v[151:152], v[144:145]
	v_div_scale_f64 v[144:145], null, v[142:143], v[142:143], 1.0
	v_rcp_f64_e32 v[157:158], v[144:145]
	v_fma_f64 v[159:160], -v[144:145], v[157:158], 1.0
	v_fma_f64 v[157:158], v[157:158], v[159:160], v[157:158]
	v_fma_f64 v[159:160], -v[144:145], v[157:158], 1.0
	v_fma_f64 v[157:158], v[157:158], v[159:160], v[157:158]
	v_div_scale_f64 v[159:160], vcc_lo, 1.0, v[142:143], 1.0
	v_mul_f64 v[161:162], v[159:160], v[157:158]
	v_fma_f64 v[144:145], -v[144:145], v[161:162], v[159:160]
	v_div_fmas_f64 v[144:145], v[144:145], v[157:158], v[161:162]
	v_div_fixup_f64 v[144:145], v[144:145], v[142:143], 1.0
	v_mul_f64 v[142:143], v[151:152], v[144:145]
	v_xor_b32_e32 v145, 0x80000000, v145
.LBB68_721:
	s_andn2_saveexec_b32 s1, s1
	s_cbranch_execz .LBB68_723
; %bb.722:
	v_div_scale_f64 v[151:152], null, v[142:143], v[142:143], v[144:145]
	v_div_scale_f64 v[161:162], vcc_lo, v[144:145], v[142:143], v[144:145]
	v_rcp_f64_e32 v[157:158], v[151:152]
	v_fma_f64 v[159:160], -v[151:152], v[157:158], 1.0
	v_fma_f64 v[157:158], v[157:158], v[159:160], v[157:158]
	v_fma_f64 v[159:160], -v[151:152], v[157:158], 1.0
	v_fma_f64 v[157:158], v[157:158], v[159:160], v[157:158]
	v_mul_f64 v[159:160], v[161:162], v[157:158]
	v_fma_f64 v[151:152], -v[151:152], v[159:160], v[161:162]
	v_div_fmas_f64 v[151:152], v[151:152], v[157:158], v[159:160]
	v_div_fixup_f64 v[151:152], v[151:152], v[142:143], v[144:145]
	v_fma_f64 v[142:143], v[144:145], v[151:152], v[142:143]
	v_div_scale_f64 v[144:145], null, v[142:143], v[142:143], 1.0
	v_rcp_f64_e32 v[157:158], v[144:145]
	v_fma_f64 v[159:160], -v[144:145], v[157:158], 1.0
	v_fma_f64 v[157:158], v[157:158], v[159:160], v[157:158]
	v_fma_f64 v[159:160], -v[144:145], v[157:158], 1.0
	v_fma_f64 v[157:158], v[157:158], v[159:160], v[157:158]
	v_div_scale_f64 v[159:160], vcc_lo, 1.0, v[142:143], 1.0
	v_mul_f64 v[161:162], v[159:160], v[157:158]
	v_fma_f64 v[144:145], -v[144:145], v[161:162], v[159:160]
	v_div_fmas_f64 v[144:145], v[144:145], v[157:158], v[161:162]
	v_div_fixup_f64 v[142:143], v[144:145], v[142:143], 1.0
	v_mul_f64 v[144:145], v[151:152], -v[142:143]
.LBB68_723:
	s_or_b32 exec_lo, exec_lo, s1
.LBB68_724:
	s_or_b32 exec_lo, exec_lo, s0
	v_mov_b32_e32 v151, 34
	s_mov_b32 s0, exec_lo
	v_cmpx_ne_u32_e64 v156, v150
	s_cbranch_execz .LBB68_730
; %bb.725:
	s_mov_b32 s1, exec_lo
	v_cmpx_eq_u32_e32 34, v156
	s_cbranch_execz .LBB68_729
; %bb.726:
	v_cmp_ne_u32_e32 vcc_lo, 34, v150
	s_xor_b32 s2, s16, -1
	s_and_b32 s3, s2, vcc_lo
	s_and_saveexec_b32 s2, s3
	s_cbranch_execz .LBB68_728
; %bb.727:
	v_ashrrev_i32_e32 v151, 31, v150
	v_lshlrev_b64 v[0:1], 2, v[150:151]
	v_add_co_u32 v0, vcc_lo, v148, v0
	v_add_co_ci_u32_e64 v1, null, v149, v1, vcc_lo
	s_clause 0x1
	global_load_dword v151, v[0:1], off
	global_load_dword v152, v[148:149], off offset:136
	s_waitcnt vmcnt(1)
	global_store_dword v[148:149], v151, off offset:136
	s_waitcnt vmcnt(0)
	global_store_dword v[0:1], v152, off
.LBB68_728:
	s_or_b32 exec_lo, exec_lo, s2
	v_mov_b32_e32 v156, v150
	v_mov_b32_e32 v0, v150
.LBB68_729:
	s_or_b32 exec_lo, exec_lo, s1
	v_mov_b32_e32 v151, v156
.LBB68_730:
	s_or_b32 exec_lo, exec_lo, s0
	s_mov_b32 s0, exec_lo
	s_waitcnt_vscnt null, 0x0
	s_barrier
	buffer_gl0_inv
	v_cmpx_lt_i32_e32 34, v151
	s_cbranch_execz .LBB68_732
; %bb.731:
	v_mul_f64 v[148:149], v[144:145], v[4:5]
	v_mul_f64 v[4:5], v[142:143], v[4:5]
	v_fma_f64 v[142:143], v[142:143], v[2:3], -v[148:149]
	v_fma_f64 v[4:5], v[144:145], v[2:3], v[4:5]
	v_mov_b32_e32 v2, v142
	v_mov_b32_e32 v3, v143
.LBB68_732:
	s_or_b32 exec_lo, exec_lo, s0
	v_ashrrev_i32_e32 v152, 31, v151
	s_mov_b32 s0, exec_lo
	s_barrier
	buffer_gl0_inv
	v_cmpx_gt_i32_e32 35, v151
	s_cbranch_execz .LBB68_734
; %bb.733:
	v_mul_lo_u32 v1, s15, v146
	v_mul_lo_u32 v144, s14, v147
	v_mad_u64_u32 v[142:143], null, s14, v146, 0
	s_lshl_b64 s[2:3], s[12:13], 2
	v_add3_u32 v0, v0, s17, 1
	v_add3_u32 v143, v143, v144, v1
	v_lshlrev_b64 v[142:143], 2, v[142:143]
	v_add_co_u32 v1, vcc_lo, s10, v142
	v_add_co_ci_u32_e64 v144, null, s11, v143, vcc_lo
	v_lshlrev_b64 v[142:143], 2, v[151:152]
	v_add_co_u32 v1, vcc_lo, v1, s2
	v_add_co_ci_u32_e64 v144, null, s3, v144, vcc_lo
	v_add_co_u32 v142, vcc_lo, v1, v142
	v_add_co_ci_u32_e64 v143, null, v144, v143, vcc_lo
	global_store_dword v[142:143], v0, off
.LBB68_734:
	s_or_b32 exec_lo, exec_lo, s0
	s_mov_b32 s1, exec_lo
	v_cmpx_eq_u32_e32 0, v151
	s_cbranch_execz .LBB68_737
; %bb.735:
	v_lshlrev_b64 v[0:1], 2, v[146:147]
	v_cmp_ne_u32_e64 s0, 0, v155
	v_add_co_u32 v0, vcc_lo, s4, v0
	v_add_co_ci_u32_e64 v1, null, s5, v1, vcc_lo
	global_load_dword v142, v[0:1], off
	s_waitcnt vmcnt(0)
	v_cmp_eq_u32_e32 vcc_lo, 0, v142
	s_and_b32 s0, vcc_lo, s0
	s_and_b32 exec_lo, exec_lo, s0
	s_cbranch_execz .LBB68_737
; %bb.736:
	v_add_nc_u32_e32 v142, s17, v155
	global_store_dword v[0:1], v142, off
.LBB68_737:
	s_or_b32 exec_lo, exec_lo, s1
	v_add3_u32 v0, s6, s6, v151
	v_lshlrev_b64 v[142:143], 4, v[151:152]
	v_ashrrev_i32_e32 v1, 31, v0
	v_add_nc_u32_e32 v144, s6, v0
	v_add_co_u32 v142, vcc_lo, v153, v142
	v_add_co_ci_u32_e64 v143, null, v154, v143, vcc_lo
	v_lshlrev_b64 v[0:1], 4, v[0:1]
	v_add_co_u32 v148, vcc_lo, v142, s8
	v_ashrrev_i32_e32 v145, 31, v144
	v_add_co_ci_u32_e64 v149, null, s9, v143, vcc_lo
	v_add_co_u32 v0, vcc_lo, v153, v0
	v_add_nc_u32_e32 v146, s6, v144
	v_add_co_ci_u32_e64 v1, null, v154, v1, vcc_lo
	global_store_dwordx4 v[142:143], v[134:137], off
	v_lshlrev_b64 v[134:135], 4, v[144:145]
	global_store_dwordx4 v[148:149], v[130:133], off
	global_store_dwordx4 v[0:1], v[138:141], off
	v_add_nc_u32_e32 v130, s6, v146
	v_ashrrev_i32_e32 v147, 31, v146
	v_add_co_u32 v132, vcc_lo, v153, v134
	v_add_nc_u32_e32 v134, s6, v130
	v_lshlrev_b64 v[0:1], 4, v[146:147]
	v_ashrrev_i32_e32 v131, 31, v130
	v_add_co_ci_u32_e64 v133, null, v154, v135, vcc_lo
	v_add_nc_u32_e32 v136, s6, v134
	v_ashrrev_i32_e32 v135, 31, v134
	v_add_co_u32 v0, vcc_lo, v153, v0
	v_add_co_ci_u32_e64 v1, null, v154, v1, vcc_lo
	v_ashrrev_i32_e32 v137, 31, v136
	v_lshlrev_b64 v[130:131], 4, v[130:131]
	global_store_dwordx4 v[132:133], v[126:129], off
	global_store_dwordx4 v[0:1], v[122:125], off
	v_lshlrev_b64 v[0:1], 4, v[134:135]
	v_add_nc_u32_e32 v126, s6, v136
	v_lshlrev_b64 v[124:125], 4, v[136:137]
	v_add_co_u32 v122, vcc_lo, v153, v130
	v_add_co_ci_u32_e64 v123, null, v154, v131, vcc_lo
	v_add_co_u32 v0, vcc_lo, v153, v0
	v_add_co_ci_u32_e64 v1, null, v154, v1, vcc_lo
	v_add_co_u32 v124, vcc_lo, v153, v124
	v_add_nc_u32_e32 v128, s6, v126
	v_add_co_ci_u32_e64 v125, null, v154, v125, vcc_lo
	v_ashrrev_i32_e32 v127, 31, v126
	global_store_dwordx4 v[122:123], v[118:121], off
	global_store_dwordx4 v[0:1], v[114:117], off
	global_store_dwordx4 v[124:125], v[110:113], off
	v_add_nc_u32_e32 v110, s6, v128
	v_ashrrev_i32_e32 v129, 31, v128
	v_lshlrev_b64 v[118:119], 4, v[126:127]
	v_add_nc_u32_e32 v114, s6, v110
	v_lshlrev_b64 v[0:1], 4, v[128:129]
	v_ashrrev_i32_e32 v111, 31, v110
	v_add_co_u32 v112, vcc_lo, v153, v118
	v_add_nc_u32_e32 v116, s6, v114
	v_add_co_ci_u32_e64 v113, null, v154, v119, vcc_lo
	v_add_co_u32 v0, vcc_lo, v153, v0
	v_ashrrev_i32_e32 v115, 31, v114
	v_add_co_ci_u32_e64 v1, null, v154, v1, vcc_lo
	v_ashrrev_i32_e32 v117, 31, v116
	v_lshlrev_b64 v[110:111], 4, v[110:111]
	global_store_dwordx4 v[112:113], v[106:109], off
	global_store_dwordx4 v[0:1], v[102:105], off
	v_lshlrev_b64 v[0:1], 4, v[114:115]
	v_add_nc_u32_e32 v106, s6, v116
	v_lshlrev_b64 v[104:105], 4, v[116:117]
	v_add_co_u32 v102, vcc_lo, v153, v110
	v_add_co_ci_u32_e64 v103, null, v154, v111, vcc_lo
	v_add_co_u32 v0, vcc_lo, v153, v0
	v_add_co_ci_u32_e64 v1, null, v154, v1, vcc_lo
	v_add_co_u32 v104, vcc_lo, v153, v104
	v_add_nc_u32_e32 v108, s6, v106
	v_add_co_ci_u32_e64 v105, null, v154, v105, vcc_lo
	v_ashrrev_i32_e32 v107, 31, v106
	global_store_dwordx4 v[102:103], v[98:101], off
	global_store_dwordx4 v[0:1], v[94:97], off
	global_store_dwordx4 v[104:105], v[90:93], off
	v_add_nc_u32_e32 v90, s6, v108
	v_ashrrev_i32_e32 v109, 31, v108
	v_lshlrev_b64 v[98:99], 4, v[106:107]
	v_add_nc_u32_e32 v94, s6, v90
	v_lshlrev_b64 v[0:1], 4, v[108:109]
	v_ashrrev_i32_e32 v91, 31, v90
	v_add_co_u32 v92, vcc_lo, v153, v98
	v_add_nc_u32_e32 v96, s6, v94
	v_add_co_ci_u32_e64 v93, null, v154, v99, vcc_lo
	v_add_co_u32 v0, vcc_lo, v153, v0
	v_ashrrev_i32_e32 v95, 31, v94
	;; [unrolled: 30-line block ×4, first 2 shown]
	v_add_co_ci_u32_e64 v1, null, v154, v1, vcc_lo
	v_ashrrev_i32_e32 v57, 31, v56
	v_lshlrev_b64 v[50:51], 4, v[50:51]
	global_store_dwordx4 v[52:53], v[46:49], off
	global_store_dwordx4 v[0:1], v[42:45], off
	v_lshlrev_b64 v[0:1], 4, v[54:55]
	v_add_nc_u32_e32 v46, s6, v56
	v_lshlrev_b64 v[44:45], 4, v[56:57]
	v_add_co_u32 v42, vcc_lo, v153, v50
	v_add_co_ci_u32_e64 v43, null, v154, v51, vcc_lo
	v_add_co_u32 v0, vcc_lo, v153, v0
	v_add_nc_u32_e32 v48, s6, v46
	v_add_co_ci_u32_e64 v1, null, v154, v1, vcc_lo
	v_add_co_u32 v44, vcc_lo, v153, v44
	v_ashrrev_i32_e32 v47, 31, v46
	v_add_co_ci_u32_e64 v45, null, v154, v45, vcc_lo
	v_ashrrev_i32_e32 v49, 31, v48
	global_store_dwordx4 v[42:43], v[38:41], off
	v_lshlrev_b64 v[38:39], 4, v[46:47]
	global_store_dwordx4 v[0:1], v[34:37], off
	global_store_dwordx4 v[44:45], v[30:33], off
	v_add_nc_u32_e32 v30, s6, v48
	v_lshlrev_b64 v[0:1], 4, v[48:49]
	v_add_co_u32 v32, vcc_lo, v153, v38
	v_add_nc_u32_e32 v34, s6, v30
	v_add_co_ci_u32_e64 v33, null, v154, v39, vcc_lo
	v_add_co_u32 v0, vcc_lo, v153, v0
	v_add_co_ci_u32_e64 v1, null, v154, v1, vcc_lo
	v_add_nc_u32_e32 v36, s6, v34
	v_ashrrev_i32_e32 v31, 31, v30
	global_store_dwordx4 v[32:33], v[26:29], off
	global_store_dwordx4 v[0:1], v[22:25], off
	v_ashrrev_i32_e32 v35, 31, v34
	v_add_nc_u32_e32 v22, s6, v36
	v_lshlrev_b64 v[26:27], 4, v[30:31]
	v_ashrrev_i32_e32 v37, 31, v36
	v_lshlrev_b64 v[0:1], 4, v[34:35]
	v_add_nc_u32_e32 v28, s6, v22
	v_ashrrev_i32_e32 v23, 31, v22
	v_add_co_u32 v24, vcc_lo, v153, v26
	v_add_co_ci_u32_e64 v25, null, v154, v27, vcc_lo
	v_ashrrev_i32_e32 v29, 31, v28
	v_lshlrev_b64 v[26:27], 4, v[36:37]
	v_lshlrev_b64 v[22:23], 4, v[22:23]
	v_add_co_u32 v0, vcc_lo, v153, v0
	v_lshlrev_b64 v[28:29], 4, v[28:29]
	v_add_co_ci_u32_e64 v1, null, v154, v1, vcc_lo
	v_add_co_u32 v26, vcc_lo, v153, v26
	v_add_co_ci_u32_e64 v27, null, v154, v27, vcc_lo
	v_add_co_u32 v22, vcc_lo, v153, v22
	;; [unrolled: 2-line block ×3, first 2 shown]
	v_add_co_ci_u32_e64 v29, null, v154, v29, vcc_lo
	global_store_dwordx4 v[24:25], v[18:21], off
	global_store_dwordx4 v[0:1], v[14:17], off
	;; [unrolled: 1-line block ×5, first 2 shown]
.LBB68_738:
	s_endpgm
	.section	.rodata,"a",@progbits
	.p2align	6, 0x0
	.amdhsa_kernel _ZN9rocsolver6v33100L18getf2_small_kernelILi35E19rocblas_complex_numIdEiiPS3_EEvT1_T3_lS5_lPS5_llPT2_S5_S5_S7_l
		.amdhsa_group_segment_fixed_size 0
		.amdhsa_private_segment_fixed_size 0
		.amdhsa_kernarg_size 352
		.amdhsa_user_sgpr_count 6
		.amdhsa_user_sgpr_private_segment_buffer 1
		.amdhsa_user_sgpr_dispatch_ptr 0
		.amdhsa_user_sgpr_queue_ptr 0
		.amdhsa_user_sgpr_kernarg_segment_ptr 1
		.amdhsa_user_sgpr_dispatch_id 0
		.amdhsa_user_sgpr_flat_scratch_init 0
		.amdhsa_user_sgpr_private_segment_size 0
		.amdhsa_wavefront_size32 1
		.amdhsa_uses_dynamic_stack 0
		.amdhsa_system_sgpr_private_segment_wavefront_offset 0
		.amdhsa_system_sgpr_workgroup_id_x 1
		.amdhsa_system_sgpr_workgroup_id_y 1
		.amdhsa_system_sgpr_workgroup_id_z 0
		.amdhsa_system_sgpr_workgroup_info 0
		.amdhsa_system_vgpr_workitem_id 1
		.amdhsa_next_free_vgpr 183
		.amdhsa_next_free_sgpr 19
		.amdhsa_reserve_vcc 1
		.amdhsa_reserve_flat_scratch 0
		.amdhsa_float_round_mode_32 0
		.amdhsa_float_round_mode_16_64 0
		.amdhsa_float_denorm_mode_32 3
		.amdhsa_float_denorm_mode_16_64 3
		.amdhsa_dx10_clamp 1
		.amdhsa_ieee_mode 1
		.amdhsa_fp16_overflow 0
		.amdhsa_workgroup_processor_mode 1
		.amdhsa_memory_ordered 1
		.amdhsa_forward_progress 1
		.amdhsa_shared_vgpr_count 0
		.amdhsa_exception_fp_ieee_invalid_op 0
		.amdhsa_exception_fp_denorm_src 0
		.amdhsa_exception_fp_ieee_div_zero 0
		.amdhsa_exception_fp_ieee_overflow 0
		.amdhsa_exception_fp_ieee_underflow 0
		.amdhsa_exception_fp_ieee_inexact 0
		.amdhsa_exception_int_div_zero 0
	.end_amdhsa_kernel
	.section	.text._ZN9rocsolver6v33100L18getf2_small_kernelILi35E19rocblas_complex_numIdEiiPS3_EEvT1_T3_lS5_lPS5_llPT2_S5_S5_S7_l,"axG",@progbits,_ZN9rocsolver6v33100L18getf2_small_kernelILi35E19rocblas_complex_numIdEiiPS3_EEvT1_T3_lS5_lPS5_llPT2_S5_S5_S7_l,comdat
.Lfunc_end68:
	.size	_ZN9rocsolver6v33100L18getf2_small_kernelILi35E19rocblas_complex_numIdEiiPS3_EEvT1_T3_lS5_lPS5_llPT2_S5_S5_S7_l, .Lfunc_end68-_ZN9rocsolver6v33100L18getf2_small_kernelILi35E19rocblas_complex_numIdEiiPS3_EEvT1_T3_lS5_lPS5_llPT2_S5_S5_S7_l
                                        ; -- End function
	.set _ZN9rocsolver6v33100L18getf2_small_kernelILi35E19rocblas_complex_numIdEiiPS3_EEvT1_T3_lS5_lPS5_llPT2_S5_S5_S7_l.num_vgpr, 183
	.set _ZN9rocsolver6v33100L18getf2_small_kernelILi35E19rocblas_complex_numIdEiiPS3_EEvT1_T3_lS5_lPS5_llPT2_S5_S5_S7_l.num_agpr, 0
	.set _ZN9rocsolver6v33100L18getf2_small_kernelILi35E19rocblas_complex_numIdEiiPS3_EEvT1_T3_lS5_lPS5_llPT2_S5_S5_S7_l.numbered_sgpr, 19
	.set _ZN9rocsolver6v33100L18getf2_small_kernelILi35E19rocblas_complex_numIdEiiPS3_EEvT1_T3_lS5_lPS5_llPT2_S5_S5_S7_l.num_named_barrier, 0
	.set _ZN9rocsolver6v33100L18getf2_small_kernelILi35E19rocblas_complex_numIdEiiPS3_EEvT1_T3_lS5_lPS5_llPT2_S5_S5_S7_l.private_seg_size, 0
	.set _ZN9rocsolver6v33100L18getf2_small_kernelILi35E19rocblas_complex_numIdEiiPS3_EEvT1_T3_lS5_lPS5_llPT2_S5_S5_S7_l.uses_vcc, 1
	.set _ZN9rocsolver6v33100L18getf2_small_kernelILi35E19rocblas_complex_numIdEiiPS3_EEvT1_T3_lS5_lPS5_llPT2_S5_S5_S7_l.uses_flat_scratch, 0
	.set _ZN9rocsolver6v33100L18getf2_small_kernelILi35E19rocblas_complex_numIdEiiPS3_EEvT1_T3_lS5_lPS5_llPT2_S5_S5_S7_l.has_dyn_sized_stack, 0
	.set _ZN9rocsolver6v33100L18getf2_small_kernelILi35E19rocblas_complex_numIdEiiPS3_EEvT1_T3_lS5_lPS5_llPT2_S5_S5_S7_l.has_recursion, 0
	.set _ZN9rocsolver6v33100L18getf2_small_kernelILi35E19rocblas_complex_numIdEiiPS3_EEvT1_T3_lS5_lPS5_llPT2_S5_S5_S7_l.has_indirect_call, 0
	.section	.AMDGPU.csdata,"",@progbits
; Kernel info:
; codeLenInByte = 78120
; TotalNumSgprs: 21
; NumVgprs: 183
; ScratchSize: 0
; MemoryBound: 0
; FloatMode: 240
; IeeeMode: 1
; LDSByteSize: 0 bytes/workgroup (compile time only)
; SGPRBlocks: 0
; VGPRBlocks: 22
; NumSGPRsForWavesPerEU: 21
; NumVGPRsForWavesPerEU: 183
; Occupancy: 5
; WaveLimiterHint : 0
; COMPUTE_PGM_RSRC2:SCRATCH_EN: 0
; COMPUTE_PGM_RSRC2:USER_SGPR: 6
; COMPUTE_PGM_RSRC2:TRAP_HANDLER: 0
; COMPUTE_PGM_RSRC2:TGID_X_EN: 1
; COMPUTE_PGM_RSRC2:TGID_Y_EN: 1
; COMPUTE_PGM_RSRC2:TGID_Z_EN: 0
; COMPUTE_PGM_RSRC2:TIDIG_COMP_CNT: 1
	.section	.text._ZN9rocsolver6v33100L23getf2_npvt_small_kernelILi35E19rocblas_complex_numIdEiiPS3_EEvT1_T3_lS5_lPT2_S5_S5_,"axG",@progbits,_ZN9rocsolver6v33100L23getf2_npvt_small_kernelILi35E19rocblas_complex_numIdEiiPS3_EEvT1_T3_lS5_lPT2_S5_S5_,comdat
	.globl	_ZN9rocsolver6v33100L23getf2_npvt_small_kernelILi35E19rocblas_complex_numIdEiiPS3_EEvT1_T3_lS5_lPT2_S5_S5_ ; -- Begin function _ZN9rocsolver6v33100L23getf2_npvt_small_kernelILi35E19rocblas_complex_numIdEiiPS3_EEvT1_T3_lS5_lPT2_S5_S5_
	.p2align	8
	.type	_ZN9rocsolver6v33100L23getf2_npvt_small_kernelILi35E19rocblas_complex_numIdEiiPS3_EEvT1_T3_lS5_lPT2_S5_S5_,@function
_ZN9rocsolver6v33100L23getf2_npvt_small_kernelILi35E19rocblas_complex_numIdEiiPS3_EEvT1_T3_lS5_lPT2_S5_S5_: ; @_ZN9rocsolver6v33100L23getf2_npvt_small_kernelILi35E19rocblas_complex_numIdEiiPS3_EEvT1_T3_lS5_lPT2_S5_S5_
; %bb.0:
	s_mov_b64 s[18:19], s[2:3]
	s_mov_b64 s[16:17], s[0:1]
	s_clause 0x1
	s_load_dword s0, s[4:5], 0x44
	s_load_dwordx2 s[12:13], s[4:5], 0x30
	s_add_u32 s16, s16, s8
	s_addc_u32 s17, s17, 0
	s_waitcnt lgkmcnt(0)
	s_lshr_b32 s14, s0, 16
	s_mov_b32 s0, exec_lo
	v_mad_u64_u32 v[223:224], null, s7, s14, v[1:2]
	v_cmpx_gt_i32_e64 s12, v223
	s_cbranch_execz .LBB69_320
; %bb.1:
	s_clause 0x2
	s_load_dwordx4 s[8:11], s[4:5], 0x20
	s_load_dword s6, s[4:5], 0x18
	s_load_dwordx4 s[0:3], s[4:5], 0x8
	v_ashrrev_i32_e32 v224, 31, v223
	v_lshlrev_b32_e32 v142, 4, v1
	s_mulk_i32 s14, 0x230
	v_mad_u32_u24 v172, 0x230, v1, 0
	v_add3_u32 v1, 0, s14, v142
	s_waitcnt lgkmcnt(0)
	v_mul_lo_u32 v5, s9, v223
	v_mul_lo_u32 v7, s8, v224
	v_mad_u64_u32 v[2:3], null, s8, v223, 0
	v_add3_u32 v4, s6, s6, v0
	s_lshl_b64 s[2:3], s[2:3], 4
	s_ashr_i32 s7, s6, 31
	v_add_nc_u32_e32 v6, s6, v4
	v_add3_u32 v3, v3, v7, v5
	v_ashrrev_i32_e32 v5, 31, v4
	v_add_nc_u32_e32 v8, s6, v6
	v_lshlrev_b64 v[2:3], 4, v[2:3]
	v_ashrrev_i32_e32 v7, 31, v6
	v_lshlrev_b64 v[4:5], 4, v[4:5]
	v_add_nc_u32_e32 v10, s6, v8
	v_ashrrev_i32_e32 v9, 31, v8
	v_add_co_u32 v2, vcc_lo, s0, v2
	v_add_co_ci_u32_e64 v3, null, s1, v3, vcc_lo
	v_add_nc_u32_e32 v12, s6, v10
	v_add_co_u32 v2, vcc_lo, v2, s2
	v_lshlrev_b64 v[6:7], 4, v[6:7]
	v_ashrrev_i32_e32 v11, 31, v10
	v_add_co_ci_u32_e64 v3, null, s3, v3, vcc_lo
	v_add_nc_u32_e32 v14, s6, v12
	v_lshlrev_b64 v[8:9], 4, v[8:9]
	v_ashrrev_i32_e32 v13, 31, v12
	v_add_co_u32 v170, vcc_lo, v2, v4
	v_lshlrev_b64 v[10:11], 4, v[10:11]
	v_add_co_ci_u32_e64 v171, null, v3, v5, vcc_lo
	v_add_co_u32 v16, vcc_lo, v2, v6
	v_add_nc_u32_e32 v6, s6, v14
	v_lshlrev_b64 v[4:5], 4, v[12:13]
	v_ashrrev_i32_e32 v15, 31, v14
	v_add_co_ci_u32_e64 v17, null, v3, v7, vcc_lo
	v_add_co_u32 v252, vcc_lo, v2, v8
	v_add_co_ci_u32_e64 v253, null, v3, v9, vcc_lo
	v_add_co_u32 v183, vcc_lo, v2, v10
	v_ashrrev_i32_e32 v7, 31, v6
	v_add_nc_u32_e32 v10, s6, v6
	v_lshlrev_b64 v[8:9], 4, v[14:15]
	v_add_co_ci_u32_e64 v184, null, v3, v11, vcc_lo
	v_add_co_u32 v181, vcc_lo, v2, v4
	v_add_co_ci_u32_e64 v182, null, v3, v5, vcc_lo
	v_lshlrev_b64 v[4:5], 4, v[6:7]
	v_ashrrev_i32_e32 v11, 31, v10
	v_add_nc_u32_e32 v6, s6, v10
	v_add_co_u32 v187, vcc_lo, v2, v8
	v_add_co_ci_u32_e64 v188, null, v3, v9, vcc_lo
	v_lshlrev_b64 v[8:9], 4, v[10:11]
	v_ashrrev_i32_e32 v7, 31, v6
	v_add_nc_u32_e32 v10, s6, v6
	;; [unrolled: 5-line block ×23, first 2 shown]
	v_add_co_u32 v231, vcc_lo, v2, v8
	v_add_co_ci_u32_e64 v232, null, v3, v9, vcc_lo
	v_lshlrev_b64 v[8:9], 4, v[10:11]
	v_add_nc_u32_e32 v10, s6, v6
	v_ashrrev_i32_e32 v7, 31, v6
	v_add_co_u32 v235, vcc_lo, v2, v4
	v_add_co_ci_u32_e64 v236, null, v3, v5, vcc_lo
	v_ashrrev_i32_e32 v11, 31, v10
	v_lshlrev_b64 v[4:5], 4, v[6:7]
	v_add_co_u32 v229, vcc_lo, v2, v8
	v_add_nc_u32_e32 v8, s6, v10
	v_lshlrev_b64 v[6:7], 4, v[10:11]
	v_lshlrev_b32_e32 v10, 4, v0
	v_add_co_ci_u32_e64 v230, null, v3, v9, vcc_lo
	v_add_co_u32 v233, vcc_lo, v2, v4
	v_add_co_ci_u32_e64 v234, null, v3, v5, vcc_lo
	v_add_co_u32 v239, vcc_lo, v2, v6
	;; [unrolled: 2-line block ×3, first 2 shown]
	v_add_co_ci_u32_e64 v242, null, 0, v3, vcc_lo
	s_lshl_b64 s[0:1], s[6:7], 4
	v_ashrrev_i32_e32 v9, 31, v8
	v_add_co_u32 v243, vcc_lo, v241, s0
	v_add_co_ci_u32_e64 v244, null, s1, v242, vcc_lo
	s_clause 0x2
	global_load_dwordx4 v[177:180], v[241:242], off
	global_load_dwordx4 v[134:137], v[243:244], off
	;; [unrolled: 1-line block ×3, first 2 shown]
	buffer_store_dword v16, off, s[16:19], 0 offset:16 ; 4-byte Folded Spill
	buffer_store_dword v17, off, s[16:19], 0 offset:20 ; 4-byte Folded Spill
	v_lshlrev_b64 v[4:5], 4, v[8:9]
	v_cmp_ne_u32_e64 s1, 0, v0
	v_cmp_eq_u32_e64 s0, 0, v0
	v_add_co_u32 v237, vcc_lo, v2, v4
	v_add_co_ci_u32_e64 v238, null, v3, v5, vcc_lo
	s_clause 0x1f
	global_load_dwordx4 v[126:129], v[16:17], off
	global_load_dwordx4 v[122:125], v[252:253], off
	;; [unrolled: 1-line block ×32, first 2 shown]
	s_and_saveexec_b32 s3, s0
	s_cbranch_execz .LBB69_8
; %bb.2:
	s_waitcnt vmcnt(34)
	ds_write2_b64 v1, v[177:178], v[179:180] offset1:1
	s_waitcnt vmcnt(33)
	ds_write2_b64 v172, v[134:135], v[136:137] offset0:2 offset1:3
	s_waitcnt vmcnt(32)
	ds_write2_b64 v172, v[130:131], v[132:133] offset0:4 offset1:5
	s_waitcnt vmcnt(31)
	ds_write2_b64 v172, v[126:127], v[128:129] offset0:6 offset1:7
	s_waitcnt vmcnt(30)
	ds_write2_b64 v172, v[122:123], v[124:125] offset0:8 offset1:9
	s_waitcnt vmcnt(29)
	ds_write2_b64 v172, v[118:119], v[120:121] offset0:10 offset1:11
	s_waitcnt vmcnt(28)
	ds_write2_b64 v172, v[114:115], v[116:117] offset0:12 offset1:13
	s_waitcnt vmcnt(27)
	ds_write2_b64 v172, v[110:111], v[112:113] offset0:14 offset1:15
	s_waitcnt vmcnt(26)
	ds_write2_b64 v172, v[106:107], v[108:109] offset0:16 offset1:17
	s_waitcnt vmcnt(25)
	ds_write2_b64 v172, v[102:103], v[104:105] offset0:18 offset1:19
	s_waitcnt vmcnt(24)
	ds_write2_b64 v172, v[98:99], v[100:101] offset0:20 offset1:21
	s_waitcnt vmcnt(23)
	ds_write2_b64 v172, v[94:95], v[96:97] offset0:22 offset1:23
	s_waitcnt vmcnt(22)
	ds_write2_b64 v172, v[90:91], v[92:93] offset0:24 offset1:25
	s_waitcnt vmcnt(21)
	ds_write2_b64 v172, v[86:87], v[88:89] offset0:26 offset1:27
	s_waitcnt vmcnt(20)
	ds_write2_b64 v172, v[82:83], v[84:85] offset0:28 offset1:29
	s_waitcnt vmcnt(19)
	ds_write2_b64 v172, v[78:79], v[80:81] offset0:30 offset1:31
	s_waitcnt vmcnt(18)
	ds_write2_b64 v172, v[74:75], v[76:77] offset0:32 offset1:33
	s_waitcnt vmcnt(17)
	ds_write2_b64 v172, v[70:71], v[72:73] offset0:34 offset1:35
	s_waitcnt vmcnt(16)
	ds_write2_b64 v172, v[66:67], v[68:69] offset0:36 offset1:37
	s_waitcnt vmcnt(15)
	ds_write2_b64 v172, v[62:63], v[64:65] offset0:38 offset1:39
	s_waitcnt vmcnt(14)
	ds_write2_b64 v172, v[58:59], v[60:61] offset0:40 offset1:41
	s_waitcnt vmcnt(13)
	ds_write2_b64 v172, v[54:55], v[56:57] offset0:42 offset1:43
	s_waitcnt vmcnt(12)
	ds_write2_b64 v172, v[50:51], v[52:53] offset0:44 offset1:45
	s_waitcnt vmcnt(11)
	ds_write2_b64 v172, v[46:47], v[48:49] offset0:46 offset1:47
	s_waitcnt vmcnt(10)
	ds_write2_b64 v172, v[42:43], v[44:45] offset0:48 offset1:49
	s_waitcnt vmcnt(9)
	ds_write2_b64 v172, v[38:39], v[40:41] offset0:50 offset1:51
	s_waitcnt vmcnt(8)
	ds_write2_b64 v172, v[34:35], v[36:37] offset0:52 offset1:53
	s_waitcnt vmcnt(7)
	ds_write2_b64 v172, v[30:31], v[32:33] offset0:54 offset1:55
	s_waitcnt vmcnt(6)
	ds_write2_b64 v172, v[26:27], v[28:29] offset0:56 offset1:57
	s_waitcnt vmcnt(5)
	ds_write2_b64 v172, v[22:23], v[24:25] offset0:58 offset1:59
	s_waitcnt vmcnt(4)
	ds_write2_b64 v172, v[18:19], v[20:21] offset0:60 offset1:61
	s_waitcnt vmcnt(3)
	ds_write2_b64 v172, v[14:15], v[16:17] offset0:62 offset1:63
	s_waitcnt vmcnt(2)
	ds_write2_b64 v172, v[10:11], v[12:13] offset0:64 offset1:65
	s_waitcnt vmcnt(1)
	ds_write2_b64 v172, v[6:7], v[8:9] offset0:66 offset1:67
	s_waitcnt vmcnt(0)
	ds_write2_b64 v172, v[2:3], v[4:5] offset0:68 offset1:69
	ds_read2_b64 v[142:145], v1 offset1:1
	s_waitcnt lgkmcnt(0)
	v_cmp_neq_f64_e32 vcc_lo, 0, v[142:143]
	v_cmp_neq_f64_e64 s2, 0, v[144:145]
	s_or_b32 s2, vcc_lo, s2
	s_and_b32 exec_lo, exec_lo, s2
	s_cbranch_execz .LBB69_8
; %bb.3:
	v_cmp_ngt_f64_e64 s2, |v[142:143]|, |v[144:145]|
                                        ; implicit-def: $vgpr146_vgpr147
	s_and_saveexec_b32 s4, s2
	s_xor_b32 s2, exec_lo, s4
                                        ; implicit-def: $vgpr148_vgpr149
	s_cbranch_execz .LBB69_5
; %bb.4:
	v_div_scale_f64 v[146:147], null, v[144:145], v[144:145], v[142:143]
	v_div_scale_f64 v[152:153], vcc_lo, v[142:143], v[144:145], v[142:143]
	v_rcp_f64_e32 v[148:149], v[146:147]
	v_fma_f64 v[150:151], -v[146:147], v[148:149], 1.0
	v_fma_f64 v[148:149], v[148:149], v[150:151], v[148:149]
	v_fma_f64 v[150:151], -v[146:147], v[148:149], 1.0
	v_fma_f64 v[148:149], v[148:149], v[150:151], v[148:149]
	v_mul_f64 v[150:151], v[152:153], v[148:149]
	v_fma_f64 v[146:147], -v[146:147], v[150:151], v[152:153]
	v_div_fmas_f64 v[146:147], v[146:147], v[148:149], v[150:151]
	v_div_fixup_f64 v[146:147], v[146:147], v[144:145], v[142:143]
	v_fma_f64 v[142:143], v[142:143], v[146:147], v[144:145]
	v_div_scale_f64 v[144:145], null, v[142:143], v[142:143], 1.0
	v_rcp_f64_e32 v[148:149], v[144:145]
	v_fma_f64 v[150:151], -v[144:145], v[148:149], 1.0
	v_fma_f64 v[148:149], v[148:149], v[150:151], v[148:149]
	v_fma_f64 v[150:151], -v[144:145], v[148:149], 1.0
	v_fma_f64 v[148:149], v[148:149], v[150:151], v[148:149]
	v_div_scale_f64 v[150:151], vcc_lo, 1.0, v[142:143], 1.0
	v_mul_f64 v[152:153], v[150:151], v[148:149]
	v_fma_f64 v[144:145], -v[144:145], v[152:153], v[150:151]
	v_div_fmas_f64 v[144:145], v[144:145], v[148:149], v[152:153]
	v_div_fixup_f64 v[148:149], v[144:145], v[142:143], 1.0
                                        ; implicit-def: $vgpr142_vgpr143
	v_mul_f64 v[146:147], v[146:147], v[148:149]
	v_xor_b32_e32 v149, 0x80000000, v149
.LBB69_5:
	s_andn2_saveexec_b32 s2, s2
	s_cbranch_execz .LBB69_7
; %bb.6:
	v_div_scale_f64 v[146:147], null, v[142:143], v[142:143], v[144:145]
	v_div_scale_f64 v[152:153], vcc_lo, v[144:145], v[142:143], v[144:145]
	v_rcp_f64_e32 v[148:149], v[146:147]
	v_fma_f64 v[150:151], -v[146:147], v[148:149], 1.0
	v_fma_f64 v[148:149], v[148:149], v[150:151], v[148:149]
	v_fma_f64 v[150:151], -v[146:147], v[148:149], 1.0
	v_fma_f64 v[148:149], v[148:149], v[150:151], v[148:149]
	v_mul_f64 v[150:151], v[152:153], v[148:149]
	v_fma_f64 v[146:147], -v[146:147], v[150:151], v[152:153]
	v_div_fmas_f64 v[146:147], v[146:147], v[148:149], v[150:151]
	v_div_fixup_f64 v[148:149], v[146:147], v[142:143], v[144:145]
	v_fma_f64 v[142:143], v[144:145], v[148:149], v[142:143]
	v_div_scale_f64 v[144:145], null, v[142:143], v[142:143], 1.0
	v_rcp_f64_e32 v[146:147], v[144:145]
	v_fma_f64 v[150:151], -v[144:145], v[146:147], 1.0
	v_fma_f64 v[146:147], v[146:147], v[150:151], v[146:147]
	v_fma_f64 v[150:151], -v[144:145], v[146:147], 1.0
	v_fma_f64 v[146:147], v[146:147], v[150:151], v[146:147]
	v_div_scale_f64 v[150:151], vcc_lo, 1.0, v[142:143], 1.0
	v_mul_f64 v[152:153], v[150:151], v[146:147]
	v_fma_f64 v[144:145], -v[144:145], v[152:153], v[150:151]
	v_div_fmas_f64 v[144:145], v[144:145], v[146:147], v[152:153]
	v_div_fixup_f64 v[146:147], v[144:145], v[142:143], 1.0
	v_mul_f64 v[148:149], v[148:149], -v[146:147]
.LBB69_7:
	s_or_b32 exec_lo, exec_lo, s2
	ds_write2_b64 v1, v[146:147], v[148:149] offset1:1
.LBB69_8:
	s_or_b32 exec_lo, exec_lo, s3
	s_waitcnt vmcnt(0) lgkmcnt(0)
	s_waitcnt_vscnt null, 0x0
	s_barrier
	buffer_gl0_inv
	ds_read2_b64 v[138:141], v1 offset1:1
	s_waitcnt lgkmcnt(0)
	buffer_store_dword v138, off, s[16:19], 0 ; 4-byte Folded Spill
	buffer_store_dword v139, off, s[16:19], 0 offset:4 ; 4-byte Folded Spill
	buffer_store_dword v140, off, s[16:19], 0 offset:8 ; 4-byte Folded Spill
	;; [unrolled: 1-line block ×3, first 2 shown]
	s_and_saveexec_b32 s2, s1
	s_cbranch_execz .LBB69_10
; %bb.9:
	s_clause 0x3
	buffer_load_dword v144, off, s[16:19], 0
	buffer_load_dword v145, off, s[16:19], 0 offset:4
	buffer_load_dword v146, off, s[16:19], 0 offset:8
	buffer_load_dword v147, off, s[16:19], 0 offset:12
	s_waitcnt vmcnt(2)
	v_mul_f64 v[140:141], v[144:145], v[179:180]
	s_waitcnt vmcnt(0)
	v_mul_f64 v[142:143], v[146:147], v[179:180]
	v_fma_f64 v[179:180], v[146:147], v[177:178], v[140:141]
	v_fma_f64 v[142:143], v[144:145], v[177:178], -v[142:143]
	ds_read2_b64 v[144:147], v172 offset0:2 offset1:3
	s_waitcnt lgkmcnt(0)
	v_mul_f64 v[138:139], v[146:147], v[179:180]
	v_mov_b32_e32 v178, v143
	v_mov_b32_e32 v177, v142
	v_fma_f64 v[138:139], v[144:145], v[142:143], -v[138:139]
	v_mul_f64 v[144:145], v[144:145], v[179:180]
	v_add_f64 v[134:135], v[134:135], -v[138:139]
	v_fma_f64 v[144:145], v[146:147], v[142:143], v[144:145]
	v_add_f64 v[136:137], v[136:137], -v[144:145]
	ds_read2_b64 v[144:147], v172 offset0:4 offset1:5
	s_waitcnt lgkmcnt(0)
	v_mul_f64 v[138:139], v[146:147], v[179:180]
	v_fma_f64 v[138:139], v[144:145], v[142:143], -v[138:139]
	v_mul_f64 v[144:145], v[144:145], v[179:180]
	v_add_f64 v[130:131], v[130:131], -v[138:139]
	v_fma_f64 v[144:145], v[146:147], v[142:143], v[144:145]
	v_add_f64 v[132:133], v[132:133], -v[144:145]
	ds_read2_b64 v[144:147], v172 offset0:6 offset1:7
	s_waitcnt lgkmcnt(0)
	v_mul_f64 v[138:139], v[146:147], v[179:180]
	;; [unrolled: 8-line block ×33, first 2 shown]
	v_fma_f64 v[138:139], v[144:145], v[142:143], -v[138:139]
	v_mul_f64 v[144:145], v[144:145], v[179:180]
	v_add_f64 v[2:3], v[2:3], -v[138:139]
	v_fma_f64 v[144:145], v[146:147], v[142:143], v[144:145]
	v_add_f64 v[4:5], v[4:5], -v[144:145]
.LBB69_10:
	s_or_b32 exec_lo, exec_lo, s2
	s_mov_b32 s2, exec_lo
	s_waitcnt_vscnt null, 0x0
	s_barrier
	buffer_gl0_inv
	v_cmpx_eq_u32_e32 1, v0
	s_cbranch_execz .LBB69_17
; %bb.11:
	ds_write2_b64 v1, v[134:135], v[136:137] offset1:1
	ds_write2_b64 v172, v[130:131], v[132:133] offset0:4 offset1:5
	ds_write2_b64 v172, v[126:127], v[128:129] offset0:6 offset1:7
	;; [unrolled: 1-line block ×33, first 2 shown]
	ds_read2_b64 v[142:145], v1 offset1:1
	s_waitcnt lgkmcnt(0)
	v_cmp_neq_f64_e32 vcc_lo, 0, v[142:143]
	v_cmp_neq_f64_e64 s1, 0, v[144:145]
	s_or_b32 s1, vcc_lo, s1
	s_and_b32 exec_lo, exec_lo, s1
	s_cbranch_execz .LBB69_17
; %bb.12:
	v_cmp_ngt_f64_e64 s1, |v[142:143]|, |v[144:145]|
                                        ; implicit-def: $vgpr146_vgpr147
	s_and_saveexec_b32 s3, s1
	s_xor_b32 s1, exec_lo, s3
                                        ; implicit-def: $vgpr148_vgpr149
	s_cbranch_execz .LBB69_14
; %bb.13:
	v_div_scale_f64 v[146:147], null, v[144:145], v[144:145], v[142:143]
	v_div_scale_f64 v[152:153], vcc_lo, v[142:143], v[144:145], v[142:143]
	v_rcp_f64_e32 v[148:149], v[146:147]
	v_fma_f64 v[150:151], -v[146:147], v[148:149], 1.0
	v_fma_f64 v[148:149], v[148:149], v[150:151], v[148:149]
	v_fma_f64 v[150:151], -v[146:147], v[148:149], 1.0
	v_fma_f64 v[148:149], v[148:149], v[150:151], v[148:149]
	v_mul_f64 v[150:151], v[152:153], v[148:149]
	v_fma_f64 v[146:147], -v[146:147], v[150:151], v[152:153]
	v_div_fmas_f64 v[146:147], v[146:147], v[148:149], v[150:151]
	v_div_fixup_f64 v[146:147], v[146:147], v[144:145], v[142:143]
	v_fma_f64 v[142:143], v[142:143], v[146:147], v[144:145]
	v_div_scale_f64 v[144:145], null, v[142:143], v[142:143], 1.0
	v_rcp_f64_e32 v[148:149], v[144:145]
	v_fma_f64 v[150:151], -v[144:145], v[148:149], 1.0
	v_fma_f64 v[148:149], v[148:149], v[150:151], v[148:149]
	v_fma_f64 v[150:151], -v[144:145], v[148:149], 1.0
	v_fma_f64 v[148:149], v[148:149], v[150:151], v[148:149]
	v_div_scale_f64 v[150:151], vcc_lo, 1.0, v[142:143], 1.0
	v_mul_f64 v[152:153], v[150:151], v[148:149]
	v_fma_f64 v[144:145], -v[144:145], v[152:153], v[150:151]
	v_div_fmas_f64 v[144:145], v[144:145], v[148:149], v[152:153]
	v_div_fixup_f64 v[148:149], v[144:145], v[142:143], 1.0
                                        ; implicit-def: $vgpr142_vgpr143
	v_mul_f64 v[146:147], v[146:147], v[148:149]
	v_xor_b32_e32 v149, 0x80000000, v149
.LBB69_14:
	s_andn2_saveexec_b32 s1, s1
	s_cbranch_execz .LBB69_16
; %bb.15:
	v_div_scale_f64 v[146:147], null, v[142:143], v[142:143], v[144:145]
	v_div_scale_f64 v[152:153], vcc_lo, v[144:145], v[142:143], v[144:145]
	v_rcp_f64_e32 v[148:149], v[146:147]
	v_fma_f64 v[150:151], -v[146:147], v[148:149], 1.0
	v_fma_f64 v[148:149], v[148:149], v[150:151], v[148:149]
	v_fma_f64 v[150:151], -v[146:147], v[148:149], 1.0
	v_fma_f64 v[148:149], v[148:149], v[150:151], v[148:149]
	v_mul_f64 v[150:151], v[152:153], v[148:149]
	v_fma_f64 v[146:147], -v[146:147], v[150:151], v[152:153]
	v_div_fmas_f64 v[146:147], v[146:147], v[148:149], v[150:151]
	v_div_fixup_f64 v[148:149], v[146:147], v[142:143], v[144:145]
	v_fma_f64 v[142:143], v[144:145], v[148:149], v[142:143]
	v_div_scale_f64 v[144:145], null, v[142:143], v[142:143], 1.0
	v_rcp_f64_e32 v[146:147], v[144:145]
	v_fma_f64 v[150:151], -v[144:145], v[146:147], 1.0
	v_fma_f64 v[146:147], v[146:147], v[150:151], v[146:147]
	v_fma_f64 v[150:151], -v[144:145], v[146:147], 1.0
	v_fma_f64 v[146:147], v[146:147], v[150:151], v[146:147]
	v_div_scale_f64 v[150:151], vcc_lo, 1.0, v[142:143], 1.0
	v_mul_f64 v[152:153], v[150:151], v[146:147]
	v_fma_f64 v[144:145], -v[144:145], v[152:153], v[150:151]
	v_div_fmas_f64 v[144:145], v[144:145], v[146:147], v[152:153]
	v_div_fixup_f64 v[146:147], v[144:145], v[142:143], 1.0
	v_mul_f64 v[148:149], v[148:149], -v[146:147]
.LBB69_16:
	s_or_b32 exec_lo, exec_lo, s1
	ds_write2_b64 v1, v[146:147], v[148:149] offset1:1
.LBB69_17:
	s_or_b32 exec_lo, exec_lo, s2
	s_waitcnt lgkmcnt(0)
	s_barrier
	buffer_gl0_inv
	ds_read2_b64 v[245:248], v1 offset1:1
	s_mov_b32 s1, exec_lo
	v_cmpx_lt_u32_e32 1, v0
	s_cbranch_execz .LBB69_19
; %bb.18:
	s_waitcnt lgkmcnt(0)
	v_mul_f64 v[142:143], v[247:248], v[136:137]
	v_mul_f64 v[136:137], v[245:246], v[136:137]
	ds_read2_b64 v[144:147], v172 offset0:4 offset1:5
	v_fma_f64 v[142:143], v[245:246], v[134:135], -v[142:143]
	v_fma_f64 v[136:137], v[247:248], v[134:135], v[136:137]
	s_waitcnt lgkmcnt(0)
	v_mul_f64 v[134:135], v[146:147], v[136:137]
	v_fma_f64 v[134:135], v[144:145], v[142:143], -v[134:135]
	v_mul_f64 v[144:145], v[144:145], v[136:137]
	v_add_f64 v[130:131], v[130:131], -v[134:135]
	v_fma_f64 v[144:145], v[146:147], v[142:143], v[144:145]
	v_add_f64 v[132:133], v[132:133], -v[144:145]
	ds_read2_b64 v[144:147], v172 offset0:6 offset1:7
	s_waitcnt lgkmcnt(0)
	v_mul_f64 v[134:135], v[146:147], v[136:137]
	v_fma_f64 v[134:135], v[144:145], v[142:143], -v[134:135]
	v_mul_f64 v[144:145], v[144:145], v[136:137]
	v_add_f64 v[126:127], v[126:127], -v[134:135]
	v_fma_f64 v[144:145], v[146:147], v[142:143], v[144:145]
	v_add_f64 v[128:129], v[128:129], -v[144:145]
	ds_read2_b64 v[144:147], v172 offset0:8 offset1:9
	;; [unrolled: 8-line block ×32, first 2 shown]
	s_waitcnt lgkmcnt(0)
	v_mul_f64 v[134:135], v[146:147], v[136:137]
	v_fma_f64 v[134:135], v[144:145], v[142:143], -v[134:135]
	v_mul_f64 v[144:145], v[144:145], v[136:137]
	v_add_f64 v[2:3], v[2:3], -v[134:135]
	v_fma_f64 v[144:145], v[146:147], v[142:143], v[144:145]
	v_mov_b32_e32 v134, v142
	v_mov_b32_e32 v135, v143
	v_add_f64 v[4:5], v[4:5], -v[144:145]
.LBB69_19:
	s_or_b32 exec_lo, exec_lo, s1
	s_mov_b32 s2, exec_lo
	s_waitcnt lgkmcnt(0)
	s_barrier
	buffer_gl0_inv
	v_cmpx_eq_u32_e32 2, v0
	s_cbranch_execz .LBB69_26
; %bb.20:
	ds_write2_b64 v1, v[130:131], v[132:133] offset1:1
	ds_write2_b64 v172, v[126:127], v[128:129] offset0:6 offset1:7
	ds_write2_b64 v172, v[122:123], v[124:125] offset0:8 offset1:9
	;; [unrolled: 1-line block ×32, first 2 shown]
	ds_read2_b64 v[142:145], v1 offset1:1
	s_waitcnt lgkmcnt(0)
	v_cmp_neq_f64_e32 vcc_lo, 0, v[142:143]
	v_cmp_neq_f64_e64 s1, 0, v[144:145]
	s_or_b32 s1, vcc_lo, s1
	s_and_b32 exec_lo, exec_lo, s1
	s_cbranch_execz .LBB69_26
; %bb.21:
	v_cmp_ngt_f64_e64 s1, |v[142:143]|, |v[144:145]|
                                        ; implicit-def: $vgpr146_vgpr147
	s_and_saveexec_b32 s3, s1
	s_xor_b32 s1, exec_lo, s3
                                        ; implicit-def: $vgpr148_vgpr149
	s_cbranch_execz .LBB69_23
; %bb.22:
	v_div_scale_f64 v[146:147], null, v[144:145], v[144:145], v[142:143]
	v_div_scale_f64 v[152:153], vcc_lo, v[142:143], v[144:145], v[142:143]
	v_rcp_f64_e32 v[148:149], v[146:147]
	v_fma_f64 v[150:151], -v[146:147], v[148:149], 1.0
	v_fma_f64 v[148:149], v[148:149], v[150:151], v[148:149]
	v_fma_f64 v[150:151], -v[146:147], v[148:149], 1.0
	v_fma_f64 v[148:149], v[148:149], v[150:151], v[148:149]
	v_mul_f64 v[150:151], v[152:153], v[148:149]
	v_fma_f64 v[146:147], -v[146:147], v[150:151], v[152:153]
	v_div_fmas_f64 v[146:147], v[146:147], v[148:149], v[150:151]
	v_div_fixup_f64 v[146:147], v[146:147], v[144:145], v[142:143]
	v_fma_f64 v[142:143], v[142:143], v[146:147], v[144:145]
	v_div_scale_f64 v[144:145], null, v[142:143], v[142:143], 1.0
	v_rcp_f64_e32 v[148:149], v[144:145]
	v_fma_f64 v[150:151], -v[144:145], v[148:149], 1.0
	v_fma_f64 v[148:149], v[148:149], v[150:151], v[148:149]
	v_fma_f64 v[150:151], -v[144:145], v[148:149], 1.0
	v_fma_f64 v[148:149], v[148:149], v[150:151], v[148:149]
	v_div_scale_f64 v[150:151], vcc_lo, 1.0, v[142:143], 1.0
	v_mul_f64 v[152:153], v[150:151], v[148:149]
	v_fma_f64 v[144:145], -v[144:145], v[152:153], v[150:151]
	v_div_fmas_f64 v[144:145], v[144:145], v[148:149], v[152:153]
	v_div_fixup_f64 v[148:149], v[144:145], v[142:143], 1.0
                                        ; implicit-def: $vgpr142_vgpr143
	v_mul_f64 v[146:147], v[146:147], v[148:149]
	v_xor_b32_e32 v149, 0x80000000, v149
.LBB69_23:
	s_andn2_saveexec_b32 s1, s1
	s_cbranch_execz .LBB69_25
; %bb.24:
	v_div_scale_f64 v[146:147], null, v[142:143], v[142:143], v[144:145]
	v_div_scale_f64 v[152:153], vcc_lo, v[144:145], v[142:143], v[144:145]
	v_rcp_f64_e32 v[148:149], v[146:147]
	v_fma_f64 v[150:151], -v[146:147], v[148:149], 1.0
	v_fma_f64 v[148:149], v[148:149], v[150:151], v[148:149]
	v_fma_f64 v[150:151], -v[146:147], v[148:149], 1.0
	v_fma_f64 v[148:149], v[148:149], v[150:151], v[148:149]
	v_mul_f64 v[150:151], v[152:153], v[148:149]
	v_fma_f64 v[146:147], -v[146:147], v[150:151], v[152:153]
	v_div_fmas_f64 v[146:147], v[146:147], v[148:149], v[150:151]
	v_div_fixup_f64 v[148:149], v[146:147], v[142:143], v[144:145]
	v_fma_f64 v[142:143], v[144:145], v[148:149], v[142:143]
	v_div_scale_f64 v[144:145], null, v[142:143], v[142:143], 1.0
	v_rcp_f64_e32 v[146:147], v[144:145]
	v_fma_f64 v[150:151], -v[144:145], v[146:147], 1.0
	v_fma_f64 v[146:147], v[146:147], v[150:151], v[146:147]
	v_fma_f64 v[150:151], -v[144:145], v[146:147], 1.0
	v_fma_f64 v[146:147], v[146:147], v[150:151], v[146:147]
	v_div_scale_f64 v[150:151], vcc_lo, 1.0, v[142:143], 1.0
	v_mul_f64 v[152:153], v[150:151], v[146:147]
	v_fma_f64 v[144:145], -v[144:145], v[152:153], v[150:151]
	v_div_fmas_f64 v[144:145], v[144:145], v[146:147], v[152:153]
	v_div_fixup_f64 v[146:147], v[144:145], v[142:143], 1.0
	v_mul_f64 v[148:149], v[148:149], -v[146:147]
.LBB69_25:
	s_or_b32 exec_lo, exec_lo, s1
	ds_write2_b64 v1, v[146:147], v[148:149] offset1:1
.LBB69_26:
	s_or_b32 exec_lo, exec_lo, s2
	s_waitcnt lgkmcnt(0)
	s_barrier
	buffer_gl0_inv
	ds_read2_b64 v[138:141], v1 offset1:1
	s_mov_b32 s1, exec_lo
	v_cmpx_lt_u32_e32 2, v0
	s_cbranch_execz .LBB69_28
; %bb.27:
	s_waitcnt lgkmcnt(0)
	v_mul_f64 v[142:143], v[140:141], v[132:133]
	v_mul_f64 v[132:133], v[138:139], v[132:133]
	ds_read2_b64 v[144:147], v172 offset0:6 offset1:7
	v_fma_f64 v[142:143], v[138:139], v[130:131], -v[142:143]
	v_fma_f64 v[132:133], v[140:141], v[130:131], v[132:133]
	s_waitcnt lgkmcnt(0)
	v_mul_f64 v[130:131], v[146:147], v[132:133]
	v_fma_f64 v[130:131], v[144:145], v[142:143], -v[130:131]
	v_mul_f64 v[144:145], v[144:145], v[132:133]
	v_add_f64 v[126:127], v[126:127], -v[130:131]
	v_fma_f64 v[144:145], v[146:147], v[142:143], v[144:145]
	v_add_f64 v[128:129], v[128:129], -v[144:145]
	ds_read2_b64 v[144:147], v172 offset0:8 offset1:9
	s_waitcnt lgkmcnt(0)
	v_mul_f64 v[130:131], v[146:147], v[132:133]
	v_fma_f64 v[130:131], v[144:145], v[142:143], -v[130:131]
	v_mul_f64 v[144:145], v[144:145], v[132:133]
	v_add_f64 v[122:123], v[122:123], -v[130:131]
	v_fma_f64 v[144:145], v[146:147], v[142:143], v[144:145]
	v_add_f64 v[124:125], v[124:125], -v[144:145]
	ds_read2_b64 v[144:147], v172 offset0:10 offset1:11
	s_waitcnt lgkmcnt(0)
	v_mul_f64 v[130:131], v[146:147], v[132:133]
	v_fma_f64 v[130:131], v[144:145], v[142:143], -v[130:131]
	v_mul_f64 v[144:145], v[144:145], v[132:133]
	v_add_f64 v[118:119], v[118:119], -v[130:131]
	v_fma_f64 v[144:145], v[146:147], v[142:143], v[144:145]
	v_add_f64 v[120:121], v[120:121], -v[144:145]
	ds_read2_b64 v[144:147], v172 offset0:12 offset1:13
	s_waitcnt lgkmcnt(0)
	v_mul_f64 v[130:131], v[146:147], v[132:133]
	v_fma_f64 v[130:131], v[144:145], v[142:143], -v[130:131]
	v_mul_f64 v[144:145], v[144:145], v[132:133]
	v_add_f64 v[114:115], v[114:115], -v[130:131]
	v_fma_f64 v[144:145], v[146:147], v[142:143], v[144:145]
	v_add_f64 v[116:117], v[116:117], -v[144:145]
	ds_read2_b64 v[144:147], v172 offset0:14 offset1:15
	s_waitcnt lgkmcnt(0)
	v_mul_f64 v[130:131], v[146:147], v[132:133]
	v_fma_f64 v[130:131], v[144:145], v[142:143], -v[130:131]
	v_mul_f64 v[144:145], v[144:145], v[132:133]
	v_add_f64 v[110:111], v[110:111], -v[130:131]
	v_fma_f64 v[144:145], v[146:147], v[142:143], v[144:145]
	v_add_f64 v[112:113], v[112:113], -v[144:145]
	ds_read2_b64 v[144:147], v172 offset0:16 offset1:17
	s_waitcnt lgkmcnt(0)
	v_mul_f64 v[130:131], v[146:147], v[132:133]
	v_fma_f64 v[130:131], v[144:145], v[142:143], -v[130:131]
	v_mul_f64 v[144:145], v[144:145], v[132:133]
	v_add_f64 v[106:107], v[106:107], -v[130:131]
	v_fma_f64 v[144:145], v[146:147], v[142:143], v[144:145]
	v_add_f64 v[108:109], v[108:109], -v[144:145]
	ds_read2_b64 v[144:147], v172 offset0:18 offset1:19
	s_waitcnt lgkmcnt(0)
	v_mul_f64 v[130:131], v[146:147], v[132:133]
	v_fma_f64 v[130:131], v[144:145], v[142:143], -v[130:131]
	v_mul_f64 v[144:145], v[144:145], v[132:133]
	v_add_f64 v[102:103], v[102:103], -v[130:131]
	v_fma_f64 v[144:145], v[146:147], v[142:143], v[144:145]
	v_add_f64 v[104:105], v[104:105], -v[144:145]
	ds_read2_b64 v[144:147], v172 offset0:20 offset1:21
	s_waitcnt lgkmcnt(0)
	v_mul_f64 v[130:131], v[146:147], v[132:133]
	v_fma_f64 v[130:131], v[144:145], v[142:143], -v[130:131]
	v_mul_f64 v[144:145], v[144:145], v[132:133]
	v_add_f64 v[98:99], v[98:99], -v[130:131]
	v_fma_f64 v[144:145], v[146:147], v[142:143], v[144:145]
	v_add_f64 v[100:101], v[100:101], -v[144:145]
	ds_read2_b64 v[144:147], v172 offset0:22 offset1:23
	s_waitcnt lgkmcnt(0)
	v_mul_f64 v[130:131], v[146:147], v[132:133]
	v_fma_f64 v[130:131], v[144:145], v[142:143], -v[130:131]
	v_mul_f64 v[144:145], v[144:145], v[132:133]
	v_add_f64 v[94:95], v[94:95], -v[130:131]
	v_fma_f64 v[144:145], v[146:147], v[142:143], v[144:145]
	v_add_f64 v[96:97], v[96:97], -v[144:145]
	ds_read2_b64 v[144:147], v172 offset0:24 offset1:25
	s_waitcnt lgkmcnt(0)
	v_mul_f64 v[130:131], v[146:147], v[132:133]
	v_fma_f64 v[130:131], v[144:145], v[142:143], -v[130:131]
	v_mul_f64 v[144:145], v[144:145], v[132:133]
	v_add_f64 v[90:91], v[90:91], -v[130:131]
	v_fma_f64 v[144:145], v[146:147], v[142:143], v[144:145]
	v_add_f64 v[92:93], v[92:93], -v[144:145]
	ds_read2_b64 v[144:147], v172 offset0:26 offset1:27
	s_waitcnt lgkmcnt(0)
	v_mul_f64 v[130:131], v[146:147], v[132:133]
	v_fma_f64 v[130:131], v[144:145], v[142:143], -v[130:131]
	v_mul_f64 v[144:145], v[144:145], v[132:133]
	v_add_f64 v[86:87], v[86:87], -v[130:131]
	v_fma_f64 v[144:145], v[146:147], v[142:143], v[144:145]
	v_add_f64 v[88:89], v[88:89], -v[144:145]
	ds_read2_b64 v[144:147], v172 offset0:28 offset1:29
	s_waitcnt lgkmcnt(0)
	v_mul_f64 v[130:131], v[146:147], v[132:133]
	v_fma_f64 v[130:131], v[144:145], v[142:143], -v[130:131]
	v_mul_f64 v[144:145], v[144:145], v[132:133]
	v_add_f64 v[82:83], v[82:83], -v[130:131]
	v_fma_f64 v[144:145], v[146:147], v[142:143], v[144:145]
	v_add_f64 v[84:85], v[84:85], -v[144:145]
	ds_read2_b64 v[144:147], v172 offset0:30 offset1:31
	s_waitcnt lgkmcnt(0)
	v_mul_f64 v[130:131], v[146:147], v[132:133]
	v_fma_f64 v[130:131], v[144:145], v[142:143], -v[130:131]
	v_mul_f64 v[144:145], v[144:145], v[132:133]
	v_add_f64 v[78:79], v[78:79], -v[130:131]
	v_fma_f64 v[144:145], v[146:147], v[142:143], v[144:145]
	v_add_f64 v[80:81], v[80:81], -v[144:145]
	ds_read2_b64 v[144:147], v172 offset0:32 offset1:33
	s_waitcnt lgkmcnt(0)
	v_mul_f64 v[130:131], v[146:147], v[132:133]
	v_fma_f64 v[130:131], v[144:145], v[142:143], -v[130:131]
	v_mul_f64 v[144:145], v[144:145], v[132:133]
	v_add_f64 v[74:75], v[74:75], -v[130:131]
	v_fma_f64 v[144:145], v[146:147], v[142:143], v[144:145]
	v_add_f64 v[76:77], v[76:77], -v[144:145]
	ds_read2_b64 v[144:147], v172 offset0:34 offset1:35
	s_waitcnt lgkmcnt(0)
	v_mul_f64 v[130:131], v[146:147], v[132:133]
	v_fma_f64 v[130:131], v[144:145], v[142:143], -v[130:131]
	v_mul_f64 v[144:145], v[144:145], v[132:133]
	v_add_f64 v[70:71], v[70:71], -v[130:131]
	v_fma_f64 v[144:145], v[146:147], v[142:143], v[144:145]
	v_add_f64 v[72:73], v[72:73], -v[144:145]
	ds_read2_b64 v[144:147], v172 offset0:36 offset1:37
	s_waitcnt lgkmcnt(0)
	v_mul_f64 v[130:131], v[146:147], v[132:133]
	v_fma_f64 v[130:131], v[144:145], v[142:143], -v[130:131]
	v_mul_f64 v[144:145], v[144:145], v[132:133]
	v_add_f64 v[66:67], v[66:67], -v[130:131]
	v_fma_f64 v[144:145], v[146:147], v[142:143], v[144:145]
	v_add_f64 v[68:69], v[68:69], -v[144:145]
	ds_read2_b64 v[144:147], v172 offset0:38 offset1:39
	s_waitcnt lgkmcnt(0)
	v_mul_f64 v[130:131], v[146:147], v[132:133]
	v_fma_f64 v[130:131], v[144:145], v[142:143], -v[130:131]
	v_mul_f64 v[144:145], v[144:145], v[132:133]
	v_add_f64 v[62:63], v[62:63], -v[130:131]
	v_fma_f64 v[144:145], v[146:147], v[142:143], v[144:145]
	v_add_f64 v[64:65], v[64:65], -v[144:145]
	ds_read2_b64 v[144:147], v172 offset0:40 offset1:41
	s_waitcnt lgkmcnt(0)
	v_mul_f64 v[130:131], v[146:147], v[132:133]
	v_fma_f64 v[130:131], v[144:145], v[142:143], -v[130:131]
	v_mul_f64 v[144:145], v[144:145], v[132:133]
	v_add_f64 v[58:59], v[58:59], -v[130:131]
	v_fma_f64 v[144:145], v[146:147], v[142:143], v[144:145]
	v_add_f64 v[60:61], v[60:61], -v[144:145]
	ds_read2_b64 v[144:147], v172 offset0:42 offset1:43
	s_waitcnt lgkmcnt(0)
	v_mul_f64 v[130:131], v[146:147], v[132:133]
	v_fma_f64 v[130:131], v[144:145], v[142:143], -v[130:131]
	v_mul_f64 v[144:145], v[144:145], v[132:133]
	v_add_f64 v[54:55], v[54:55], -v[130:131]
	v_fma_f64 v[144:145], v[146:147], v[142:143], v[144:145]
	v_add_f64 v[56:57], v[56:57], -v[144:145]
	ds_read2_b64 v[144:147], v172 offset0:44 offset1:45
	s_waitcnt lgkmcnt(0)
	v_mul_f64 v[130:131], v[146:147], v[132:133]
	v_fma_f64 v[130:131], v[144:145], v[142:143], -v[130:131]
	v_mul_f64 v[144:145], v[144:145], v[132:133]
	v_add_f64 v[50:51], v[50:51], -v[130:131]
	v_fma_f64 v[144:145], v[146:147], v[142:143], v[144:145]
	v_add_f64 v[52:53], v[52:53], -v[144:145]
	ds_read2_b64 v[144:147], v172 offset0:46 offset1:47
	s_waitcnt lgkmcnt(0)
	v_mul_f64 v[130:131], v[146:147], v[132:133]
	v_fma_f64 v[130:131], v[144:145], v[142:143], -v[130:131]
	v_mul_f64 v[144:145], v[144:145], v[132:133]
	v_add_f64 v[46:47], v[46:47], -v[130:131]
	v_fma_f64 v[144:145], v[146:147], v[142:143], v[144:145]
	v_add_f64 v[48:49], v[48:49], -v[144:145]
	ds_read2_b64 v[144:147], v172 offset0:48 offset1:49
	s_waitcnt lgkmcnt(0)
	v_mul_f64 v[130:131], v[146:147], v[132:133]
	v_fma_f64 v[130:131], v[144:145], v[142:143], -v[130:131]
	v_mul_f64 v[144:145], v[144:145], v[132:133]
	v_add_f64 v[42:43], v[42:43], -v[130:131]
	v_fma_f64 v[144:145], v[146:147], v[142:143], v[144:145]
	v_add_f64 v[44:45], v[44:45], -v[144:145]
	ds_read2_b64 v[144:147], v172 offset0:50 offset1:51
	s_waitcnt lgkmcnt(0)
	v_mul_f64 v[130:131], v[146:147], v[132:133]
	v_fma_f64 v[130:131], v[144:145], v[142:143], -v[130:131]
	v_mul_f64 v[144:145], v[144:145], v[132:133]
	v_add_f64 v[38:39], v[38:39], -v[130:131]
	v_fma_f64 v[144:145], v[146:147], v[142:143], v[144:145]
	v_add_f64 v[40:41], v[40:41], -v[144:145]
	ds_read2_b64 v[144:147], v172 offset0:52 offset1:53
	s_waitcnt lgkmcnt(0)
	v_mul_f64 v[130:131], v[146:147], v[132:133]
	v_fma_f64 v[130:131], v[144:145], v[142:143], -v[130:131]
	v_mul_f64 v[144:145], v[144:145], v[132:133]
	v_add_f64 v[34:35], v[34:35], -v[130:131]
	v_fma_f64 v[144:145], v[146:147], v[142:143], v[144:145]
	v_add_f64 v[36:37], v[36:37], -v[144:145]
	ds_read2_b64 v[144:147], v172 offset0:54 offset1:55
	s_waitcnt lgkmcnt(0)
	v_mul_f64 v[130:131], v[146:147], v[132:133]
	v_fma_f64 v[130:131], v[144:145], v[142:143], -v[130:131]
	v_mul_f64 v[144:145], v[144:145], v[132:133]
	v_add_f64 v[30:31], v[30:31], -v[130:131]
	v_fma_f64 v[144:145], v[146:147], v[142:143], v[144:145]
	v_add_f64 v[32:33], v[32:33], -v[144:145]
	ds_read2_b64 v[144:147], v172 offset0:56 offset1:57
	s_waitcnt lgkmcnt(0)
	v_mul_f64 v[130:131], v[146:147], v[132:133]
	v_fma_f64 v[130:131], v[144:145], v[142:143], -v[130:131]
	v_mul_f64 v[144:145], v[144:145], v[132:133]
	v_add_f64 v[26:27], v[26:27], -v[130:131]
	v_fma_f64 v[144:145], v[146:147], v[142:143], v[144:145]
	v_add_f64 v[28:29], v[28:29], -v[144:145]
	ds_read2_b64 v[144:147], v172 offset0:58 offset1:59
	s_waitcnt lgkmcnt(0)
	v_mul_f64 v[130:131], v[146:147], v[132:133]
	v_fma_f64 v[130:131], v[144:145], v[142:143], -v[130:131]
	v_mul_f64 v[144:145], v[144:145], v[132:133]
	v_add_f64 v[22:23], v[22:23], -v[130:131]
	v_fma_f64 v[144:145], v[146:147], v[142:143], v[144:145]
	v_add_f64 v[24:25], v[24:25], -v[144:145]
	ds_read2_b64 v[144:147], v172 offset0:60 offset1:61
	s_waitcnt lgkmcnt(0)
	v_mul_f64 v[130:131], v[146:147], v[132:133]
	v_fma_f64 v[130:131], v[144:145], v[142:143], -v[130:131]
	v_mul_f64 v[144:145], v[144:145], v[132:133]
	v_add_f64 v[18:19], v[18:19], -v[130:131]
	v_fma_f64 v[144:145], v[146:147], v[142:143], v[144:145]
	v_add_f64 v[20:21], v[20:21], -v[144:145]
	ds_read2_b64 v[144:147], v172 offset0:62 offset1:63
	s_waitcnt lgkmcnt(0)
	v_mul_f64 v[130:131], v[146:147], v[132:133]
	v_fma_f64 v[130:131], v[144:145], v[142:143], -v[130:131]
	v_mul_f64 v[144:145], v[144:145], v[132:133]
	v_add_f64 v[14:15], v[14:15], -v[130:131]
	v_fma_f64 v[144:145], v[146:147], v[142:143], v[144:145]
	v_add_f64 v[16:17], v[16:17], -v[144:145]
	ds_read2_b64 v[144:147], v172 offset0:64 offset1:65
	s_waitcnt lgkmcnt(0)
	v_mul_f64 v[130:131], v[146:147], v[132:133]
	v_fma_f64 v[130:131], v[144:145], v[142:143], -v[130:131]
	v_mul_f64 v[144:145], v[144:145], v[132:133]
	v_add_f64 v[10:11], v[10:11], -v[130:131]
	v_fma_f64 v[144:145], v[146:147], v[142:143], v[144:145]
	v_add_f64 v[12:13], v[12:13], -v[144:145]
	ds_read2_b64 v[144:147], v172 offset0:66 offset1:67
	s_waitcnt lgkmcnt(0)
	v_mul_f64 v[130:131], v[146:147], v[132:133]
	v_fma_f64 v[130:131], v[144:145], v[142:143], -v[130:131]
	v_mul_f64 v[144:145], v[144:145], v[132:133]
	v_add_f64 v[6:7], v[6:7], -v[130:131]
	v_fma_f64 v[144:145], v[146:147], v[142:143], v[144:145]
	v_add_f64 v[8:9], v[8:9], -v[144:145]
	ds_read2_b64 v[144:147], v172 offset0:68 offset1:69
	s_waitcnt lgkmcnt(0)
	v_mul_f64 v[130:131], v[146:147], v[132:133]
	v_fma_f64 v[130:131], v[144:145], v[142:143], -v[130:131]
	v_mul_f64 v[144:145], v[144:145], v[132:133]
	v_add_f64 v[2:3], v[2:3], -v[130:131]
	v_fma_f64 v[144:145], v[146:147], v[142:143], v[144:145]
	v_mov_b32_e32 v130, v142
	v_mov_b32_e32 v131, v143
	v_add_f64 v[4:5], v[4:5], -v[144:145]
.LBB69_28:
	s_or_b32 exec_lo, exec_lo, s1
	s_mov_b32 s2, exec_lo
	s_waitcnt lgkmcnt(0)
	s_barrier
	buffer_gl0_inv
	v_cmpx_eq_u32_e32 3, v0
	s_cbranch_execz .LBB69_35
; %bb.29:
	ds_write2_b64 v1, v[126:127], v[128:129] offset1:1
	ds_write2_b64 v172, v[122:123], v[124:125] offset0:8 offset1:9
	ds_write2_b64 v172, v[118:119], v[120:121] offset0:10 offset1:11
	ds_write2_b64 v172, v[114:115], v[116:117] offset0:12 offset1:13
	ds_write2_b64 v172, v[110:111], v[112:113] offset0:14 offset1:15
	ds_write2_b64 v172, v[106:107], v[108:109] offset0:16 offset1:17
	ds_write2_b64 v172, v[102:103], v[104:105] offset0:18 offset1:19
	ds_write2_b64 v172, v[98:99], v[100:101] offset0:20 offset1:21
	ds_write2_b64 v172, v[94:95], v[96:97] offset0:22 offset1:23
	ds_write2_b64 v172, v[90:91], v[92:93] offset0:24 offset1:25
	ds_write2_b64 v172, v[86:87], v[88:89] offset0:26 offset1:27
	ds_write2_b64 v172, v[82:83], v[84:85] offset0:28 offset1:29
	ds_write2_b64 v172, v[78:79], v[80:81] offset0:30 offset1:31
	ds_write2_b64 v172, v[74:75], v[76:77] offset0:32 offset1:33
	ds_write2_b64 v172, v[70:71], v[72:73] offset0:34 offset1:35
	ds_write2_b64 v172, v[66:67], v[68:69] offset0:36 offset1:37
	ds_write2_b64 v172, v[62:63], v[64:65] offset0:38 offset1:39
	ds_write2_b64 v172, v[58:59], v[60:61] offset0:40 offset1:41
	ds_write2_b64 v172, v[54:55], v[56:57] offset0:42 offset1:43
	ds_write2_b64 v172, v[50:51], v[52:53] offset0:44 offset1:45
	ds_write2_b64 v172, v[46:47], v[48:49] offset0:46 offset1:47
	ds_write2_b64 v172, v[42:43], v[44:45] offset0:48 offset1:49
	ds_write2_b64 v172, v[38:39], v[40:41] offset0:50 offset1:51
	ds_write2_b64 v172, v[34:35], v[36:37] offset0:52 offset1:53
	ds_write2_b64 v172, v[30:31], v[32:33] offset0:54 offset1:55
	ds_write2_b64 v172, v[26:27], v[28:29] offset0:56 offset1:57
	ds_write2_b64 v172, v[22:23], v[24:25] offset0:58 offset1:59
	ds_write2_b64 v172, v[18:19], v[20:21] offset0:60 offset1:61
	ds_write2_b64 v172, v[14:15], v[16:17] offset0:62 offset1:63
	ds_write2_b64 v172, v[10:11], v[12:13] offset0:64 offset1:65
	ds_write2_b64 v172, v[6:7], v[8:9] offset0:66 offset1:67
	ds_write2_b64 v172, v[2:3], v[4:5] offset0:68 offset1:69
	ds_read2_b64 v[142:145], v1 offset1:1
	s_waitcnt lgkmcnt(0)
	v_cmp_neq_f64_e32 vcc_lo, 0, v[142:143]
	v_cmp_neq_f64_e64 s1, 0, v[144:145]
	s_or_b32 s1, vcc_lo, s1
	s_and_b32 exec_lo, exec_lo, s1
	s_cbranch_execz .LBB69_35
; %bb.30:
	v_cmp_ngt_f64_e64 s1, |v[142:143]|, |v[144:145]|
                                        ; implicit-def: $vgpr146_vgpr147
	s_and_saveexec_b32 s3, s1
	s_xor_b32 s1, exec_lo, s3
                                        ; implicit-def: $vgpr148_vgpr149
	s_cbranch_execz .LBB69_32
; %bb.31:
	v_div_scale_f64 v[146:147], null, v[144:145], v[144:145], v[142:143]
	v_div_scale_f64 v[152:153], vcc_lo, v[142:143], v[144:145], v[142:143]
	v_rcp_f64_e32 v[148:149], v[146:147]
	v_fma_f64 v[150:151], -v[146:147], v[148:149], 1.0
	v_fma_f64 v[148:149], v[148:149], v[150:151], v[148:149]
	v_fma_f64 v[150:151], -v[146:147], v[148:149], 1.0
	v_fma_f64 v[148:149], v[148:149], v[150:151], v[148:149]
	v_mul_f64 v[150:151], v[152:153], v[148:149]
	v_fma_f64 v[146:147], -v[146:147], v[150:151], v[152:153]
	v_div_fmas_f64 v[146:147], v[146:147], v[148:149], v[150:151]
	v_div_fixup_f64 v[146:147], v[146:147], v[144:145], v[142:143]
	v_fma_f64 v[142:143], v[142:143], v[146:147], v[144:145]
	v_div_scale_f64 v[144:145], null, v[142:143], v[142:143], 1.0
	v_rcp_f64_e32 v[148:149], v[144:145]
	v_fma_f64 v[150:151], -v[144:145], v[148:149], 1.0
	v_fma_f64 v[148:149], v[148:149], v[150:151], v[148:149]
	v_fma_f64 v[150:151], -v[144:145], v[148:149], 1.0
	v_fma_f64 v[148:149], v[148:149], v[150:151], v[148:149]
	v_div_scale_f64 v[150:151], vcc_lo, 1.0, v[142:143], 1.0
	v_mul_f64 v[152:153], v[150:151], v[148:149]
	v_fma_f64 v[144:145], -v[144:145], v[152:153], v[150:151]
	v_div_fmas_f64 v[144:145], v[144:145], v[148:149], v[152:153]
	v_div_fixup_f64 v[148:149], v[144:145], v[142:143], 1.0
                                        ; implicit-def: $vgpr142_vgpr143
	v_mul_f64 v[146:147], v[146:147], v[148:149]
	v_xor_b32_e32 v149, 0x80000000, v149
.LBB69_32:
	s_andn2_saveexec_b32 s1, s1
	s_cbranch_execz .LBB69_34
; %bb.33:
	v_div_scale_f64 v[146:147], null, v[142:143], v[142:143], v[144:145]
	v_div_scale_f64 v[152:153], vcc_lo, v[144:145], v[142:143], v[144:145]
	v_rcp_f64_e32 v[148:149], v[146:147]
	v_fma_f64 v[150:151], -v[146:147], v[148:149], 1.0
	v_fma_f64 v[148:149], v[148:149], v[150:151], v[148:149]
	v_fma_f64 v[150:151], -v[146:147], v[148:149], 1.0
	v_fma_f64 v[148:149], v[148:149], v[150:151], v[148:149]
	v_mul_f64 v[150:151], v[152:153], v[148:149]
	v_fma_f64 v[146:147], -v[146:147], v[150:151], v[152:153]
	v_div_fmas_f64 v[146:147], v[146:147], v[148:149], v[150:151]
	v_div_fixup_f64 v[148:149], v[146:147], v[142:143], v[144:145]
	v_fma_f64 v[142:143], v[144:145], v[148:149], v[142:143]
	v_div_scale_f64 v[144:145], null, v[142:143], v[142:143], 1.0
	v_rcp_f64_e32 v[146:147], v[144:145]
	v_fma_f64 v[150:151], -v[144:145], v[146:147], 1.0
	v_fma_f64 v[146:147], v[146:147], v[150:151], v[146:147]
	v_fma_f64 v[150:151], -v[144:145], v[146:147], 1.0
	v_fma_f64 v[146:147], v[146:147], v[150:151], v[146:147]
	v_div_scale_f64 v[150:151], vcc_lo, 1.0, v[142:143], 1.0
	v_mul_f64 v[152:153], v[150:151], v[146:147]
	v_fma_f64 v[144:145], -v[144:145], v[152:153], v[150:151]
	v_div_fmas_f64 v[144:145], v[144:145], v[146:147], v[152:153]
	v_div_fixup_f64 v[146:147], v[144:145], v[142:143], 1.0
	v_mul_f64 v[148:149], v[148:149], -v[146:147]
.LBB69_34:
	s_or_b32 exec_lo, exec_lo, s1
	ds_write2_b64 v1, v[146:147], v[148:149] offset1:1
.LBB69_35:
	s_or_b32 exec_lo, exec_lo, s2
	s_waitcnt lgkmcnt(0)
	s_barrier
	buffer_gl0_inv
	ds_read2_b64 v[142:145], v1 offset1:1
	s_mov_b32 s1, exec_lo
	s_waitcnt lgkmcnt(0)
	buffer_store_dword v142, off, s[16:19], 0 offset:24 ; 4-byte Folded Spill
	buffer_store_dword v143, off, s[16:19], 0 offset:28 ; 4-byte Folded Spill
	;; [unrolled: 1-line block ×4, first 2 shown]
	v_cmpx_lt_u32_e32 3, v0
	s_cbranch_execz .LBB69_37
; %bb.36:
	s_clause 0x3
	buffer_load_dword v144, off, s[16:19], 0 offset:24
	buffer_load_dword v145, off, s[16:19], 0 offset:28
	;; [unrolled: 1-line block ×4, first 2 shown]
	s_waitcnt vmcnt(0)
	v_mul_f64 v[142:143], v[146:147], v[128:129]
	v_mul_f64 v[128:129], v[144:145], v[128:129]
	v_fma_f64 v[142:143], v[144:145], v[126:127], -v[142:143]
	v_fma_f64 v[128:129], v[146:147], v[126:127], v[128:129]
	ds_read2_b64 v[144:147], v172 offset0:8 offset1:9
	s_waitcnt lgkmcnt(0)
	v_mul_f64 v[126:127], v[146:147], v[128:129]
	v_fma_f64 v[126:127], v[144:145], v[142:143], -v[126:127]
	v_mul_f64 v[144:145], v[144:145], v[128:129]
	v_add_f64 v[122:123], v[122:123], -v[126:127]
	v_fma_f64 v[144:145], v[146:147], v[142:143], v[144:145]
	v_add_f64 v[124:125], v[124:125], -v[144:145]
	ds_read2_b64 v[144:147], v172 offset0:10 offset1:11
	s_waitcnt lgkmcnt(0)
	v_mul_f64 v[126:127], v[146:147], v[128:129]
	v_fma_f64 v[126:127], v[144:145], v[142:143], -v[126:127]
	v_mul_f64 v[144:145], v[144:145], v[128:129]
	v_add_f64 v[118:119], v[118:119], -v[126:127]
	v_fma_f64 v[144:145], v[146:147], v[142:143], v[144:145]
	v_add_f64 v[120:121], v[120:121], -v[144:145]
	;; [unrolled: 8-line block ×30, first 2 shown]
	ds_read2_b64 v[144:147], v172 offset0:68 offset1:69
	s_waitcnt lgkmcnt(0)
	v_mul_f64 v[126:127], v[146:147], v[128:129]
	v_fma_f64 v[126:127], v[144:145], v[142:143], -v[126:127]
	v_mul_f64 v[144:145], v[144:145], v[128:129]
	v_add_f64 v[2:3], v[2:3], -v[126:127]
	v_fma_f64 v[144:145], v[146:147], v[142:143], v[144:145]
	v_mov_b32_e32 v126, v142
	v_mov_b32_e32 v127, v143
	v_add_f64 v[4:5], v[4:5], -v[144:145]
.LBB69_37:
	s_or_b32 exec_lo, exec_lo, s1
	s_mov_b32 s2, exec_lo
	s_waitcnt_vscnt null, 0x0
	s_barrier
	buffer_gl0_inv
	v_cmpx_eq_u32_e32 4, v0
	s_cbranch_execz .LBB69_44
; %bb.38:
	ds_write2_b64 v1, v[122:123], v[124:125] offset1:1
	ds_write2_b64 v172, v[118:119], v[120:121] offset0:10 offset1:11
	ds_write2_b64 v172, v[114:115], v[116:117] offset0:12 offset1:13
	;; [unrolled: 1-line block ×30, first 2 shown]
	ds_read2_b64 v[142:145], v1 offset1:1
	s_waitcnt lgkmcnt(0)
	v_cmp_neq_f64_e32 vcc_lo, 0, v[142:143]
	v_cmp_neq_f64_e64 s1, 0, v[144:145]
	s_or_b32 s1, vcc_lo, s1
	s_and_b32 exec_lo, exec_lo, s1
	s_cbranch_execz .LBB69_44
; %bb.39:
	v_cmp_ngt_f64_e64 s1, |v[142:143]|, |v[144:145]|
                                        ; implicit-def: $vgpr146_vgpr147
	s_and_saveexec_b32 s3, s1
	s_xor_b32 s1, exec_lo, s3
                                        ; implicit-def: $vgpr148_vgpr149
	s_cbranch_execz .LBB69_41
; %bb.40:
	v_div_scale_f64 v[146:147], null, v[144:145], v[144:145], v[142:143]
	v_div_scale_f64 v[152:153], vcc_lo, v[142:143], v[144:145], v[142:143]
	v_rcp_f64_e32 v[148:149], v[146:147]
	v_fma_f64 v[150:151], -v[146:147], v[148:149], 1.0
	v_fma_f64 v[148:149], v[148:149], v[150:151], v[148:149]
	v_fma_f64 v[150:151], -v[146:147], v[148:149], 1.0
	v_fma_f64 v[148:149], v[148:149], v[150:151], v[148:149]
	v_mul_f64 v[150:151], v[152:153], v[148:149]
	v_fma_f64 v[146:147], -v[146:147], v[150:151], v[152:153]
	v_div_fmas_f64 v[146:147], v[146:147], v[148:149], v[150:151]
	v_div_fixup_f64 v[146:147], v[146:147], v[144:145], v[142:143]
	v_fma_f64 v[142:143], v[142:143], v[146:147], v[144:145]
	v_div_scale_f64 v[144:145], null, v[142:143], v[142:143], 1.0
	v_rcp_f64_e32 v[148:149], v[144:145]
	v_fma_f64 v[150:151], -v[144:145], v[148:149], 1.0
	v_fma_f64 v[148:149], v[148:149], v[150:151], v[148:149]
	v_fma_f64 v[150:151], -v[144:145], v[148:149], 1.0
	v_fma_f64 v[148:149], v[148:149], v[150:151], v[148:149]
	v_div_scale_f64 v[150:151], vcc_lo, 1.0, v[142:143], 1.0
	v_mul_f64 v[152:153], v[150:151], v[148:149]
	v_fma_f64 v[144:145], -v[144:145], v[152:153], v[150:151]
	v_div_fmas_f64 v[144:145], v[144:145], v[148:149], v[152:153]
	v_div_fixup_f64 v[148:149], v[144:145], v[142:143], 1.0
                                        ; implicit-def: $vgpr142_vgpr143
	v_mul_f64 v[146:147], v[146:147], v[148:149]
	v_xor_b32_e32 v149, 0x80000000, v149
.LBB69_41:
	s_andn2_saveexec_b32 s1, s1
	s_cbranch_execz .LBB69_43
; %bb.42:
	v_div_scale_f64 v[146:147], null, v[142:143], v[142:143], v[144:145]
	v_div_scale_f64 v[152:153], vcc_lo, v[144:145], v[142:143], v[144:145]
	v_rcp_f64_e32 v[148:149], v[146:147]
	v_fma_f64 v[150:151], -v[146:147], v[148:149], 1.0
	v_fma_f64 v[148:149], v[148:149], v[150:151], v[148:149]
	v_fma_f64 v[150:151], -v[146:147], v[148:149], 1.0
	v_fma_f64 v[148:149], v[148:149], v[150:151], v[148:149]
	v_mul_f64 v[150:151], v[152:153], v[148:149]
	v_fma_f64 v[146:147], -v[146:147], v[150:151], v[152:153]
	v_div_fmas_f64 v[146:147], v[146:147], v[148:149], v[150:151]
	v_div_fixup_f64 v[148:149], v[146:147], v[142:143], v[144:145]
	v_fma_f64 v[142:143], v[144:145], v[148:149], v[142:143]
	v_div_scale_f64 v[144:145], null, v[142:143], v[142:143], 1.0
	v_rcp_f64_e32 v[146:147], v[144:145]
	v_fma_f64 v[150:151], -v[144:145], v[146:147], 1.0
	v_fma_f64 v[146:147], v[146:147], v[150:151], v[146:147]
	v_fma_f64 v[150:151], -v[144:145], v[146:147], 1.0
	v_fma_f64 v[146:147], v[146:147], v[150:151], v[146:147]
	v_div_scale_f64 v[150:151], vcc_lo, 1.0, v[142:143], 1.0
	v_mul_f64 v[152:153], v[150:151], v[146:147]
	v_fma_f64 v[144:145], -v[144:145], v[152:153], v[150:151]
	v_div_fmas_f64 v[144:145], v[144:145], v[146:147], v[152:153]
	v_div_fixup_f64 v[146:147], v[144:145], v[142:143], 1.0
	v_mul_f64 v[148:149], v[148:149], -v[146:147]
.LBB69_43:
	s_or_b32 exec_lo, exec_lo, s1
	ds_write2_b64 v1, v[146:147], v[148:149] offset1:1
.LBB69_44:
	s_or_b32 exec_lo, exec_lo, s2
	s_waitcnt lgkmcnt(0)
	s_barrier
	buffer_gl0_inv
	ds_read2_b64 v[142:145], v1 offset1:1
	s_mov_b32 s1, exec_lo
	s_waitcnt lgkmcnt(0)
	buffer_store_dword v142, off, s[16:19], 0 offset:40 ; 4-byte Folded Spill
	buffer_store_dword v143, off, s[16:19], 0 offset:44 ; 4-byte Folded Spill
	;; [unrolled: 1-line block ×4, first 2 shown]
	v_cmpx_lt_u32_e32 4, v0
	s_cbranch_execz .LBB69_46
; %bb.45:
	s_clause 0x3
	buffer_load_dword v144, off, s[16:19], 0 offset:40
	buffer_load_dword v145, off, s[16:19], 0 offset:44
	;; [unrolled: 1-line block ×4, first 2 shown]
	s_waitcnt vmcnt(0)
	v_mul_f64 v[142:143], v[146:147], v[124:125]
	v_mul_f64 v[124:125], v[144:145], v[124:125]
	v_fma_f64 v[142:143], v[144:145], v[122:123], -v[142:143]
	v_fma_f64 v[124:125], v[146:147], v[122:123], v[124:125]
	ds_read2_b64 v[144:147], v172 offset0:10 offset1:11
	s_waitcnt lgkmcnt(0)
	v_mul_f64 v[122:123], v[146:147], v[124:125]
	v_fma_f64 v[122:123], v[144:145], v[142:143], -v[122:123]
	v_mul_f64 v[144:145], v[144:145], v[124:125]
	v_add_f64 v[118:119], v[118:119], -v[122:123]
	v_fma_f64 v[144:145], v[146:147], v[142:143], v[144:145]
	v_add_f64 v[120:121], v[120:121], -v[144:145]
	ds_read2_b64 v[144:147], v172 offset0:12 offset1:13
	s_waitcnt lgkmcnt(0)
	v_mul_f64 v[122:123], v[146:147], v[124:125]
	v_fma_f64 v[122:123], v[144:145], v[142:143], -v[122:123]
	v_mul_f64 v[144:145], v[144:145], v[124:125]
	v_add_f64 v[114:115], v[114:115], -v[122:123]
	v_fma_f64 v[144:145], v[146:147], v[142:143], v[144:145]
	v_add_f64 v[116:117], v[116:117], -v[144:145]
	;; [unrolled: 8-line block ×29, first 2 shown]
	ds_read2_b64 v[144:147], v172 offset0:68 offset1:69
	s_waitcnt lgkmcnt(0)
	v_mul_f64 v[122:123], v[146:147], v[124:125]
	v_fma_f64 v[122:123], v[144:145], v[142:143], -v[122:123]
	v_mul_f64 v[144:145], v[144:145], v[124:125]
	v_add_f64 v[2:3], v[2:3], -v[122:123]
	v_fma_f64 v[144:145], v[146:147], v[142:143], v[144:145]
	v_mov_b32_e32 v122, v142
	v_mov_b32_e32 v123, v143
	v_add_f64 v[4:5], v[4:5], -v[144:145]
.LBB69_46:
	s_or_b32 exec_lo, exec_lo, s1
	s_mov_b32 s2, exec_lo
	s_waitcnt_vscnt null, 0x0
	s_barrier
	buffer_gl0_inv
	v_cmpx_eq_u32_e32 5, v0
	s_cbranch_execz .LBB69_53
; %bb.47:
	ds_write2_b64 v1, v[118:119], v[120:121] offset1:1
	ds_write2_b64 v172, v[114:115], v[116:117] offset0:12 offset1:13
	ds_write2_b64 v172, v[110:111], v[112:113] offset0:14 offset1:15
	;; [unrolled: 1-line block ×29, first 2 shown]
	ds_read2_b64 v[142:145], v1 offset1:1
	s_waitcnt lgkmcnt(0)
	v_cmp_neq_f64_e32 vcc_lo, 0, v[142:143]
	v_cmp_neq_f64_e64 s1, 0, v[144:145]
	s_or_b32 s1, vcc_lo, s1
	s_and_b32 exec_lo, exec_lo, s1
	s_cbranch_execz .LBB69_53
; %bb.48:
	v_cmp_ngt_f64_e64 s1, |v[142:143]|, |v[144:145]|
                                        ; implicit-def: $vgpr146_vgpr147
	s_and_saveexec_b32 s3, s1
	s_xor_b32 s1, exec_lo, s3
                                        ; implicit-def: $vgpr148_vgpr149
	s_cbranch_execz .LBB69_50
; %bb.49:
	v_div_scale_f64 v[146:147], null, v[144:145], v[144:145], v[142:143]
	v_div_scale_f64 v[152:153], vcc_lo, v[142:143], v[144:145], v[142:143]
	v_rcp_f64_e32 v[148:149], v[146:147]
	v_fma_f64 v[150:151], -v[146:147], v[148:149], 1.0
	v_fma_f64 v[148:149], v[148:149], v[150:151], v[148:149]
	v_fma_f64 v[150:151], -v[146:147], v[148:149], 1.0
	v_fma_f64 v[148:149], v[148:149], v[150:151], v[148:149]
	v_mul_f64 v[150:151], v[152:153], v[148:149]
	v_fma_f64 v[146:147], -v[146:147], v[150:151], v[152:153]
	v_div_fmas_f64 v[146:147], v[146:147], v[148:149], v[150:151]
	v_div_fixup_f64 v[146:147], v[146:147], v[144:145], v[142:143]
	v_fma_f64 v[142:143], v[142:143], v[146:147], v[144:145]
	v_div_scale_f64 v[144:145], null, v[142:143], v[142:143], 1.0
	v_rcp_f64_e32 v[148:149], v[144:145]
	v_fma_f64 v[150:151], -v[144:145], v[148:149], 1.0
	v_fma_f64 v[148:149], v[148:149], v[150:151], v[148:149]
	v_fma_f64 v[150:151], -v[144:145], v[148:149], 1.0
	v_fma_f64 v[148:149], v[148:149], v[150:151], v[148:149]
	v_div_scale_f64 v[150:151], vcc_lo, 1.0, v[142:143], 1.0
	v_mul_f64 v[152:153], v[150:151], v[148:149]
	v_fma_f64 v[144:145], -v[144:145], v[152:153], v[150:151]
	v_div_fmas_f64 v[144:145], v[144:145], v[148:149], v[152:153]
	v_div_fixup_f64 v[148:149], v[144:145], v[142:143], 1.0
                                        ; implicit-def: $vgpr142_vgpr143
	v_mul_f64 v[146:147], v[146:147], v[148:149]
	v_xor_b32_e32 v149, 0x80000000, v149
.LBB69_50:
	s_andn2_saveexec_b32 s1, s1
	s_cbranch_execz .LBB69_52
; %bb.51:
	v_div_scale_f64 v[146:147], null, v[142:143], v[142:143], v[144:145]
	v_div_scale_f64 v[152:153], vcc_lo, v[144:145], v[142:143], v[144:145]
	v_rcp_f64_e32 v[148:149], v[146:147]
	v_fma_f64 v[150:151], -v[146:147], v[148:149], 1.0
	v_fma_f64 v[148:149], v[148:149], v[150:151], v[148:149]
	v_fma_f64 v[150:151], -v[146:147], v[148:149], 1.0
	v_fma_f64 v[148:149], v[148:149], v[150:151], v[148:149]
	v_mul_f64 v[150:151], v[152:153], v[148:149]
	v_fma_f64 v[146:147], -v[146:147], v[150:151], v[152:153]
	v_div_fmas_f64 v[146:147], v[146:147], v[148:149], v[150:151]
	v_div_fixup_f64 v[148:149], v[146:147], v[142:143], v[144:145]
	v_fma_f64 v[142:143], v[144:145], v[148:149], v[142:143]
	v_div_scale_f64 v[144:145], null, v[142:143], v[142:143], 1.0
	v_rcp_f64_e32 v[146:147], v[144:145]
	v_fma_f64 v[150:151], -v[144:145], v[146:147], 1.0
	v_fma_f64 v[146:147], v[146:147], v[150:151], v[146:147]
	v_fma_f64 v[150:151], -v[144:145], v[146:147], 1.0
	v_fma_f64 v[146:147], v[146:147], v[150:151], v[146:147]
	v_div_scale_f64 v[150:151], vcc_lo, 1.0, v[142:143], 1.0
	v_mul_f64 v[152:153], v[150:151], v[146:147]
	v_fma_f64 v[144:145], -v[144:145], v[152:153], v[150:151]
	v_div_fmas_f64 v[144:145], v[144:145], v[146:147], v[152:153]
	v_div_fixup_f64 v[146:147], v[144:145], v[142:143], 1.0
	v_mul_f64 v[148:149], v[148:149], -v[146:147]
.LBB69_52:
	s_or_b32 exec_lo, exec_lo, s1
	ds_write2_b64 v1, v[146:147], v[148:149] offset1:1
.LBB69_53:
	s_or_b32 exec_lo, exec_lo, s2
	s_waitcnt lgkmcnt(0)
	s_barrier
	buffer_gl0_inv
	ds_read2_b64 v[142:145], v1 offset1:1
	s_mov_b32 s1, exec_lo
	s_waitcnt lgkmcnt(0)
	buffer_store_dword v142, off, s[16:19], 0 offset:56 ; 4-byte Folded Spill
	buffer_store_dword v143, off, s[16:19], 0 offset:60 ; 4-byte Folded Spill
	;; [unrolled: 1-line block ×4, first 2 shown]
	v_cmpx_lt_u32_e32 5, v0
	s_cbranch_execz .LBB69_55
; %bb.54:
	s_clause 0x3
	buffer_load_dword v144, off, s[16:19], 0 offset:56
	buffer_load_dword v145, off, s[16:19], 0 offset:60
	;; [unrolled: 1-line block ×4, first 2 shown]
	s_waitcnt vmcnt(0)
	v_mul_f64 v[142:143], v[146:147], v[120:121]
	v_mul_f64 v[120:121], v[144:145], v[120:121]
	v_fma_f64 v[142:143], v[144:145], v[118:119], -v[142:143]
	v_fma_f64 v[120:121], v[146:147], v[118:119], v[120:121]
	ds_read2_b64 v[144:147], v172 offset0:12 offset1:13
	s_waitcnt lgkmcnt(0)
	v_mul_f64 v[118:119], v[146:147], v[120:121]
	v_fma_f64 v[118:119], v[144:145], v[142:143], -v[118:119]
	v_mul_f64 v[144:145], v[144:145], v[120:121]
	v_add_f64 v[114:115], v[114:115], -v[118:119]
	v_fma_f64 v[144:145], v[146:147], v[142:143], v[144:145]
	v_add_f64 v[116:117], v[116:117], -v[144:145]
	ds_read2_b64 v[144:147], v172 offset0:14 offset1:15
	s_waitcnt lgkmcnt(0)
	v_mul_f64 v[118:119], v[146:147], v[120:121]
	v_fma_f64 v[118:119], v[144:145], v[142:143], -v[118:119]
	v_mul_f64 v[144:145], v[144:145], v[120:121]
	v_add_f64 v[110:111], v[110:111], -v[118:119]
	v_fma_f64 v[144:145], v[146:147], v[142:143], v[144:145]
	v_add_f64 v[112:113], v[112:113], -v[144:145]
	ds_read2_b64 v[144:147], v172 offset0:16 offset1:17
	s_waitcnt lgkmcnt(0)
	v_mul_f64 v[118:119], v[146:147], v[120:121]
	v_fma_f64 v[118:119], v[144:145], v[142:143], -v[118:119]
	v_mul_f64 v[144:145], v[144:145], v[120:121]
	v_add_f64 v[106:107], v[106:107], -v[118:119]
	v_fma_f64 v[144:145], v[146:147], v[142:143], v[144:145]
	v_add_f64 v[108:109], v[108:109], -v[144:145]
	ds_read2_b64 v[144:147], v172 offset0:18 offset1:19
	s_waitcnt lgkmcnt(0)
	v_mul_f64 v[118:119], v[146:147], v[120:121]
	v_fma_f64 v[118:119], v[144:145], v[142:143], -v[118:119]
	v_mul_f64 v[144:145], v[144:145], v[120:121]
	v_add_f64 v[102:103], v[102:103], -v[118:119]
	v_fma_f64 v[144:145], v[146:147], v[142:143], v[144:145]
	v_add_f64 v[104:105], v[104:105], -v[144:145]
	ds_read2_b64 v[144:147], v172 offset0:20 offset1:21
	s_waitcnt lgkmcnt(0)
	v_mul_f64 v[118:119], v[146:147], v[120:121]
	v_fma_f64 v[118:119], v[144:145], v[142:143], -v[118:119]
	v_mul_f64 v[144:145], v[144:145], v[120:121]
	v_add_f64 v[98:99], v[98:99], -v[118:119]
	v_fma_f64 v[144:145], v[146:147], v[142:143], v[144:145]
	v_add_f64 v[100:101], v[100:101], -v[144:145]
	ds_read2_b64 v[144:147], v172 offset0:22 offset1:23
	s_waitcnt lgkmcnt(0)
	v_mul_f64 v[118:119], v[146:147], v[120:121]
	v_fma_f64 v[118:119], v[144:145], v[142:143], -v[118:119]
	v_mul_f64 v[144:145], v[144:145], v[120:121]
	v_add_f64 v[94:95], v[94:95], -v[118:119]
	v_fma_f64 v[144:145], v[146:147], v[142:143], v[144:145]
	v_add_f64 v[96:97], v[96:97], -v[144:145]
	ds_read2_b64 v[144:147], v172 offset0:24 offset1:25
	s_waitcnt lgkmcnt(0)
	v_mul_f64 v[118:119], v[146:147], v[120:121]
	v_fma_f64 v[118:119], v[144:145], v[142:143], -v[118:119]
	v_mul_f64 v[144:145], v[144:145], v[120:121]
	v_add_f64 v[90:91], v[90:91], -v[118:119]
	v_fma_f64 v[144:145], v[146:147], v[142:143], v[144:145]
	v_add_f64 v[92:93], v[92:93], -v[144:145]
	ds_read2_b64 v[144:147], v172 offset0:26 offset1:27
	s_waitcnt lgkmcnt(0)
	v_mul_f64 v[118:119], v[146:147], v[120:121]
	v_fma_f64 v[118:119], v[144:145], v[142:143], -v[118:119]
	v_mul_f64 v[144:145], v[144:145], v[120:121]
	v_add_f64 v[86:87], v[86:87], -v[118:119]
	v_fma_f64 v[144:145], v[146:147], v[142:143], v[144:145]
	v_add_f64 v[88:89], v[88:89], -v[144:145]
	ds_read2_b64 v[144:147], v172 offset0:28 offset1:29
	s_waitcnt lgkmcnt(0)
	v_mul_f64 v[118:119], v[146:147], v[120:121]
	v_fma_f64 v[118:119], v[144:145], v[142:143], -v[118:119]
	v_mul_f64 v[144:145], v[144:145], v[120:121]
	v_add_f64 v[82:83], v[82:83], -v[118:119]
	v_fma_f64 v[144:145], v[146:147], v[142:143], v[144:145]
	v_add_f64 v[84:85], v[84:85], -v[144:145]
	ds_read2_b64 v[144:147], v172 offset0:30 offset1:31
	s_waitcnt lgkmcnt(0)
	v_mul_f64 v[118:119], v[146:147], v[120:121]
	v_fma_f64 v[118:119], v[144:145], v[142:143], -v[118:119]
	v_mul_f64 v[144:145], v[144:145], v[120:121]
	v_add_f64 v[78:79], v[78:79], -v[118:119]
	v_fma_f64 v[144:145], v[146:147], v[142:143], v[144:145]
	v_add_f64 v[80:81], v[80:81], -v[144:145]
	ds_read2_b64 v[144:147], v172 offset0:32 offset1:33
	s_waitcnt lgkmcnt(0)
	v_mul_f64 v[118:119], v[146:147], v[120:121]
	v_fma_f64 v[118:119], v[144:145], v[142:143], -v[118:119]
	v_mul_f64 v[144:145], v[144:145], v[120:121]
	v_add_f64 v[74:75], v[74:75], -v[118:119]
	v_fma_f64 v[144:145], v[146:147], v[142:143], v[144:145]
	v_add_f64 v[76:77], v[76:77], -v[144:145]
	ds_read2_b64 v[144:147], v172 offset0:34 offset1:35
	s_waitcnt lgkmcnt(0)
	v_mul_f64 v[118:119], v[146:147], v[120:121]
	v_fma_f64 v[118:119], v[144:145], v[142:143], -v[118:119]
	v_mul_f64 v[144:145], v[144:145], v[120:121]
	v_add_f64 v[70:71], v[70:71], -v[118:119]
	v_fma_f64 v[144:145], v[146:147], v[142:143], v[144:145]
	v_add_f64 v[72:73], v[72:73], -v[144:145]
	ds_read2_b64 v[144:147], v172 offset0:36 offset1:37
	s_waitcnt lgkmcnt(0)
	v_mul_f64 v[118:119], v[146:147], v[120:121]
	v_fma_f64 v[118:119], v[144:145], v[142:143], -v[118:119]
	v_mul_f64 v[144:145], v[144:145], v[120:121]
	v_add_f64 v[66:67], v[66:67], -v[118:119]
	v_fma_f64 v[144:145], v[146:147], v[142:143], v[144:145]
	v_add_f64 v[68:69], v[68:69], -v[144:145]
	ds_read2_b64 v[144:147], v172 offset0:38 offset1:39
	s_waitcnt lgkmcnt(0)
	v_mul_f64 v[118:119], v[146:147], v[120:121]
	v_fma_f64 v[118:119], v[144:145], v[142:143], -v[118:119]
	v_mul_f64 v[144:145], v[144:145], v[120:121]
	v_add_f64 v[62:63], v[62:63], -v[118:119]
	v_fma_f64 v[144:145], v[146:147], v[142:143], v[144:145]
	v_add_f64 v[64:65], v[64:65], -v[144:145]
	ds_read2_b64 v[144:147], v172 offset0:40 offset1:41
	s_waitcnt lgkmcnt(0)
	v_mul_f64 v[118:119], v[146:147], v[120:121]
	v_fma_f64 v[118:119], v[144:145], v[142:143], -v[118:119]
	v_mul_f64 v[144:145], v[144:145], v[120:121]
	v_add_f64 v[58:59], v[58:59], -v[118:119]
	v_fma_f64 v[144:145], v[146:147], v[142:143], v[144:145]
	v_add_f64 v[60:61], v[60:61], -v[144:145]
	ds_read2_b64 v[144:147], v172 offset0:42 offset1:43
	s_waitcnt lgkmcnt(0)
	v_mul_f64 v[118:119], v[146:147], v[120:121]
	v_fma_f64 v[118:119], v[144:145], v[142:143], -v[118:119]
	v_mul_f64 v[144:145], v[144:145], v[120:121]
	v_add_f64 v[54:55], v[54:55], -v[118:119]
	v_fma_f64 v[144:145], v[146:147], v[142:143], v[144:145]
	v_add_f64 v[56:57], v[56:57], -v[144:145]
	ds_read2_b64 v[144:147], v172 offset0:44 offset1:45
	s_waitcnt lgkmcnt(0)
	v_mul_f64 v[118:119], v[146:147], v[120:121]
	v_fma_f64 v[118:119], v[144:145], v[142:143], -v[118:119]
	v_mul_f64 v[144:145], v[144:145], v[120:121]
	v_add_f64 v[50:51], v[50:51], -v[118:119]
	v_fma_f64 v[144:145], v[146:147], v[142:143], v[144:145]
	v_add_f64 v[52:53], v[52:53], -v[144:145]
	ds_read2_b64 v[144:147], v172 offset0:46 offset1:47
	s_waitcnt lgkmcnt(0)
	v_mul_f64 v[118:119], v[146:147], v[120:121]
	v_fma_f64 v[118:119], v[144:145], v[142:143], -v[118:119]
	v_mul_f64 v[144:145], v[144:145], v[120:121]
	v_add_f64 v[46:47], v[46:47], -v[118:119]
	v_fma_f64 v[144:145], v[146:147], v[142:143], v[144:145]
	v_add_f64 v[48:49], v[48:49], -v[144:145]
	ds_read2_b64 v[144:147], v172 offset0:48 offset1:49
	s_waitcnt lgkmcnt(0)
	v_mul_f64 v[118:119], v[146:147], v[120:121]
	v_fma_f64 v[118:119], v[144:145], v[142:143], -v[118:119]
	v_mul_f64 v[144:145], v[144:145], v[120:121]
	v_add_f64 v[42:43], v[42:43], -v[118:119]
	v_fma_f64 v[144:145], v[146:147], v[142:143], v[144:145]
	v_add_f64 v[44:45], v[44:45], -v[144:145]
	ds_read2_b64 v[144:147], v172 offset0:50 offset1:51
	s_waitcnt lgkmcnt(0)
	v_mul_f64 v[118:119], v[146:147], v[120:121]
	v_fma_f64 v[118:119], v[144:145], v[142:143], -v[118:119]
	v_mul_f64 v[144:145], v[144:145], v[120:121]
	v_add_f64 v[38:39], v[38:39], -v[118:119]
	v_fma_f64 v[144:145], v[146:147], v[142:143], v[144:145]
	v_add_f64 v[40:41], v[40:41], -v[144:145]
	ds_read2_b64 v[144:147], v172 offset0:52 offset1:53
	s_waitcnt lgkmcnt(0)
	v_mul_f64 v[118:119], v[146:147], v[120:121]
	v_fma_f64 v[118:119], v[144:145], v[142:143], -v[118:119]
	v_mul_f64 v[144:145], v[144:145], v[120:121]
	v_add_f64 v[34:35], v[34:35], -v[118:119]
	v_fma_f64 v[144:145], v[146:147], v[142:143], v[144:145]
	v_add_f64 v[36:37], v[36:37], -v[144:145]
	ds_read2_b64 v[144:147], v172 offset0:54 offset1:55
	s_waitcnt lgkmcnt(0)
	v_mul_f64 v[118:119], v[146:147], v[120:121]
	v_fma_f64 v[118:119], v[144:145], v[142:143], -v[118:119]
	v_mul_f64 v[144:145], v[144:145], v[120:121]
	v_add_f64 v[30:31], v[30:31], -v[118:119]
	v_fma_f64 v[144:145], v[146:147], v[142:143], v[144:145]
	v_add_f64 v[32:33], v[32:33], -v[144:145]
	ds_read2_b64 v[144:147], v172 offset0:56 offset1:57
	s_waitcnt lgkmcnt(0)
	v_mul_f64 v[118:119], v[146:147], v[120:121]
	v_fma_f64 v[118:119], v[144:145], v[142:143], -v[118:119]
	v_mul_f64 v[144:145], v[144:145], v[120:121]
	v_add_f64 v[26:27], v[26:27], -v[118:119]
	v_fma_f64 v[144:145], v[146:147], v[142:143], v[144:145]
	v_add_f64 v[28:29], v[28:29], -v[144:145]
	ds_read2_b64 v[144:147], v172 offset0:58 offset1:59
	s_waitcnt lgkmcnt(0)
	v_mul_f64 v[118:119], v[146:147], v[120:121]
	v_fma_f64 v[118:119], v[144:145], v[142:143], -v[118:119]
	v_mul_f64 v[144:145], v[144:145], v[120:121]
	v_add_f64 v[22:23], v[22:23], -v[118:119]
	v_fma_f64 v[144:145], v[146:147], v[142:143], v[144:145]
	v_add_f64 v[24:25], v[24:25], -v[144:145]
	ds_read2_b64 v[144:147], v172 offset0:60 offset1:61
	s_waitcnt lgkmcnt(0)
	v_mul_f64 v[118:119], v[146:147], v[120:121]
	v_fma_f64 v[118:119], v[144:145], v[142:143], -v[118:119]
	v_mul_f64 v[144:145], v[144:145], v[120:121]
	v_add_f64 v[18:19], v[18:19], -v[118:119]
	v_fma_f64 v[144:145], v[146:147], v[142:143], v[144:145]
	v_add_f64 v[20:21], v[20:21], -v[144:145]
	ds_read2_b64 v[144:147], v172 offset0:62 offset1:63
	s_waitcnt lgkmcnt(0)
	v_mul_f64 v[118:119], v[146:147], v[120:121]
	v_fma_f64 v[118:119], v[144:145], v[142:143], -v[118:119]
	v_mul_f64 v[144:145], v[144:145], v[120:121]
	v_add_f64 v[14:15], v[14:15], -v[118:119]
	v_fma_f64 v[144:145], v[146:147], v[142:143], v[144:145]
	v_add_f64 v[16:17], v[16:17], -v[144:145]
	ds_read2_b64 v[144:147], v172 offset0:64 offset1:65
	s_waitcnt lgkmcnt(0)
	v_mul_f64 v[118:119], v[146:147], v[120:121]
	v_fma_f64 v[118:119], v[144:145], v[142:143], -v[118:119]
	v_mul_f64 v[144:145], v[144:145], v[120:121]
	v_add_f64 v[10:11], v[10:11], -v[118:119]
	v_fma_f64 v[144:145], v[146:147], v[142:143], v[144:145]
	v_add_f64 v[12:13], v[12:13], -v[144:145]
	ds_read2_b64 v[144:147], v172 offset0:66 offset1:67
	s_waitcnt lgkmcnt(0)
	v_mul_f64 v[118:119], v[146:147], v[120:121]
	v_fma_f64 v[118:119], v[144:145], v[142:143], -v[118:119]
	v_mul_f64 v[144:145], v[144:145], v[120:121]
	v_add_f64 v[6:7], v[6:7], -v[118:119]
	v_fma_f64 v[144:145], v[146:147], v[142:143], v[144:145]
	v_add_f64 v[8:9], v[8:9], -v[144:145]
	ds_read2_b64 v[144:147], v172 offset0:68 offset1:69
	s_waitcnt lgkmcnt(0)
	v_mul_f64 v[118:119], v[146:147], v[120:121]
	v_fma_f64 v[118:119], v[144:145], v[142:143], -v[118:119]
	v_mul_f64 v[144:145], v[144:145], v[120:121]
	v_add_f64 v[2:3], v[2:3], -v[118:119]
	v_fma_f64 v[144:145], v[146:147], v[142:143], v[144:145]
	v_mov_b32_e32 v118, v142
	v_mov_b32_e32 v119, v143
	v_add_f64 v[4:5], v[4:5], -v[144:145]
.LBB69_55:
	s_or_b32 exec_lo, exec_lo, s1
	s_mov_b32 s2, exec_lo
	s_waitcnt_vscnt null, 0x0
	s_barrier
	buffer_gl0_inv
	v_cmpx_eq_u32_e32 6, v0
	s_cbranch_execz .LBB69_62
; %bb.56:
	ds_write2_b64 v1, v[114:115], v[116:117] offset1:1
	ds_write2_b64 v172, v[110:111], v[112:113] offset0:14 offset1:15
	ds_write2_b64 v172, v[106:107], v[108:109] offset0:16 offset1:17
	;; [unrolled: 1-line block ×28, first 2 shown]
	ds_read2_b64 v[142:145], v1 offset1:1
	s_waitcnt lgkmcnt(0)
	v_cmp_neq_f64_e32 vcc_lo, 0, v[142:143]
	v_cmp_neq_f64_e64 s1, 0, v[144:145]
	s_or_b32 s1, vcc_lo, s1
	s_and_b32 exec_lo, exec_lo, s1
	s_cbranch_execz .LBB69_62
; %bb.57:
	v_cmp_ngt_f64_e64 s1, |v[142:143]|, |v[144:145]|
                                        ; implicit-def: $vgpr146_vgpr147
	s_and_saveexec_b32 s3, s1
	s_xor_b32 s1, exec_lo, s3
                                        ; implicit-def: $vgpr148_vgpr149
	s_cbranch_execz .LBB69_59
; %bb.58:
	v_div_scale_f64 v[146:147], null, v[144:145], v[144:145], v[142:143]
	v_div_scale_f64 v[152:153], vcc_lo, v[142:143], v[144:145], v[142:143]
	v_rcp_f64_e32 v[148:149], v[146:147]
	v_fma_f64 v[150:151], -v[146:147], v[148:149], 1.0
	v_fma_f64 v[148:149], v[148:149], v[150:151], v[148:149]
	v_fma_f64 v[150:151], -v[146:147], v[148:149], 1.0
	v_fma_f64 v[148:149], v[148:149], v[150:151], v[148:149]
	v_mul_f64 v[150:151], v[152:153], v[148:149]
	v_fma_f64 v[146:147], -v[146:147], v[150:151], v[152:153]
	v_div_fmas_f64 v[146:147], v[146:147], v[148:149], v[150:151]
	v_div_fixup_f64 v[146:147], v[146:147], v[144:145], v[142:143]
	v_fma_f64 v[142:143], v[142:143], v[146:147], v[144:145]
	v_div_scale_f64 v[144:145], null, v[142:143], v[142:143], 1.0
	v_rcp_f64_e32 v[148:149], v[144:145]
	v_fma_f64 v[150:151], -v[144:145], v[148:149], 1.0
	v_fma_f64 v[148:149], v[148:149], v[150:151], v[148:149]
	v_fma_f64 v[150:151], -v[144:145], v[148:149], 1.0
	v_fma_f64 v[148:149], v[148:149], v[150:151], v[148:149]
	v_div_scale_f64 v[150:151], vcc_lo, 1.0, v[142:143], 1.0
	v_mul_f64 v[152:153], v[150:151], v[148:149]
	v_fma_f64 v[144:145], -v[144:145], v[152:153], v[150:151]
	v_div_fmas_f64 v[144:145], v[144:145], v[148:149], v[152:153]
	v_div_fixup_f64 v[148:149], v[144:145], v[142:143], 1.0
                                        ; implicit-def: $vgpr142_vgpr143
	v_mul_f64 v[146:147], v[146:147], v[148:149]
	v_xor_b32_e32 v149, 0x80000000, v149
.LBB69_59:
	s_andn2_saveexec_b32 s1, s1
	s_cbranch_execz .LBB69_61
; %bb.60:
	v_div_scale_f64 v[146:147], null, v[142:143], v[142:143], v[144:145]
	v_div_scale_f64 v[152:153], vcc_lo, v[144:145], v[142:143], v[144:145]
	v_rcp_f64_e32 v[148:149], v[146:147]
	v_fma_f64 v[150:151], -v[146:147], v[148:149], 1.0
	v_fma_f64 v[148:149], v[148:149], v[150:151], v[148:149]
	v_fma_f64 v[150:151], -v[146:147], v[148:149], 1.0
	v_fma_f64 v[148:149], v[148:149], v[150:151], v[148:149]
	v_mul_f64 v[150:151], v[152:153], v[148:149]
	v_fma_f64 v[146:147], -v[146:147], v[150:151], v[152:153]
	v_div_fmas_f64 v[146:147], v[146:147], v[148:149], v[150:151]
	v_div_fixup_f64 v[148:149], v[146:147], v[142:143], v[144:145]
	v_fma_f64 v[142:143], v[144:145], v[148:149], v[142:143]
	v_div_scale_f64 v[144:145], null, v[142:143], v[142:143], 1.0
	v_rcp_f64_e32 v[146:147], v[144:145]
	v_fma_f64 v[150:151], -v[144:145], v[146:147], 1.0
	v_fma_f64 v[146:147], v[146:147], v[150:151], v[146:147]
	v_fma_f64 v[150:151], -v[144:145], v[146:147], 1.0
	v_fma_f64 v[146:147], v[146:147], v[150:151], v[146:147]
	v_div_scale_f64 v[150:151], vcc_lo, 1.0, v[142:143], 1.0
	v_mul_f64 v[152:153], v[150:151], v[146:147]
	v_fma_f64 v[144:145], -v[144:145], v[152:153], v[150:151]
	v_div_fmas_f64 v[144:145], v[144:145], v[146:147], v[152:153]
	v_div_fixup_f64 v[146:147], v[144:145], v[142:143], 1.0
	v_mul_f64 v[148:149], v[148:149], -v[146:147]
.LBB69_61:
	s_or_b32 exec_lo, exec_lo, s1
	ds_write2_b64 v1, v[146:147], v[148:149] offset1:1
.LBB69_62:
	s_or_b32 exec_lo, exec_lo, s2
	s_waitcnt lgkmcnt(0)
	s_barrier
	buffer_gl0_inv
	ds_read2_b64 v[142:145], v1 offset1:1
	s_mov_b32 s1, exec_lo
	s_waitcnt lgkmcnt(0)
	buffer_store_dword v142, off, s[16:19], 0 offset:72 ; 4-byte Folded Spill
	buffer_store_dword v143, off, s[16:19], 0 offset:76 ; 4-byte Folded Spill
	;; [unrolled: 1-line block ×4, first 2 shown]
	v_cmpx_lt_u32_e32 6, v0
	s_cbranch_execz .LBB69_64
; %bb.63:
	s_clause 0x3
	buffer_load_dword v144, off, s[16:19], 0 offset:72
	buffer_load_dword v145, off, s[16:19], 0 offset:76
	;; [unrolled: 1-line block ×4, first 2 shown]
	s_waitcnt vmcnt(0)
	v_mul_f64 v[142:143], v[146:147], v[116:117]
	v_mul_f64 v[116:117], v[144:145], v[116:117]
	v_fma_f64 v[142:143], v[144:145], v[114:115], -v[142:143]
	v_fma_f64 v[116:117], v[146:147], v[114:115], v[116:117]
	ds_read2_b64 v[144:147], v172 offset0:14 offset1:15
	s_waitcnt lgkmcnt(0)
	v_mul_f64 v[114:115], v[146:147], v[116:117]
	v_fma_f64 v[114:115], v[144:145], v[142:143], -v[114:115]
	v_mul_f64 v[144:145], v[144:145], v[116:117]
	v_add_f64 v[110:111], v[110:111], -v[114:115]
	v_fma_f64 v[144:145], v[146:147], v[142:143], v[144:145]
	v_add_f64 v[112:113], v[112:113], -v[144:145]
	ds_read2_b64 v[144:147], v172 offset0:16 offset1:17
	s_waitcnt lgkmcnt(0)
	v_mul_f64 v[114:115], v[146:147], v[116:117]
	v_fma_f64 v[114:115], v[144:145], v[142:143], -v[114:115]
	v_mul_f64 v[144:145], v[144:145], v[116:117]
	v_add_f64 v[106:107], v[106:107], -v[114:115]
	v_fma_f64 v[144:145], v[146:147], v[142:143], v[144:145]
	v_add_f64 v[108:109], v[108:109], -v[144:145]
	;; [unrolled: 8-line block ×27, first 2 shown]
	ds_read2_b64 v[144:147], v172 offset0:68 offset1:69
	s_waitcnt lgkmcnt(0)
	v_mul_f64 v[114:115], v[146:147], v[116:117]
	v_fma_f64 v[114:115], v[144:145], v[142:143], -v[114:115]
	v_mul_f64 v[144:145], v[144:145], v[116:117]
	v_add_f64 v[2:3], v[2:3], -v[114:115]
	v_fma_f64 v[144:145], v[146:147], v[142:143], v[144:145]
	v_mov_b32_e32 v114, v142
	v_mov_b32_e32 v115, v143
	v_add_f64 v[4:5], v[4:5], -v[144:145]
.LBB69_64:
	s_or_b32 exec_lo, exec_lo, s1
	s_mov_b32 s2, exec_lo
	s_waitcnt_vscnt null, 0x0
	s_barrier
	buffer_gl0_inv
	v_cmpx_eq_u32_e32 7, v0
	s_cbranch_execz .LBB69_71
; %bb.65:
	ds_write2_b64 v1, v[110:111], v[112:113] offset1:1
	ds_write2_b64 v172, v[106:107], v[108:109] offset0:16 offset1:17
	ds_write2_b64 v172, v[102:103], v[104:105] offset0:18 offset1:19
	ds_write2_b64 v172, v[98:99], v[100:101] offset0:20 offset1:21
	ds_write2_b64 v172, v[94:95], v[96:97] offset0:22 offset1:23
	ds_write2_b64 v172, v[90:91], v[92:93] offset0:24 offset1:25
	ds_write2_b64 v172, v[86:87], v[88:89] offset0:26 offset1:27
	ds_write2_b64 v172, v[82:83], v[84:85] offset0:28 offset1:29
	ds_write2_b64 v172, v[78:79], v[80:81] offset0:30 offset1:31
	ds_write2_b64 v172, v[74:75], v[76:77] offset0:32 offset1:33
	ds_write2_b64 v172, v[70:71], v[72:73] offset0:34 offset1:35
	ds_write2_b64 v172, v[66:67], v[68:69] offset0:36 offset1:37
	ds_write2_b64 v172, v[62:63], v[64:65] offset0:38 offset1:39
	ds_write2_b64 v172, v[58:59], v[60:61] offset0:40 offset1:41
	ds_write2_b64 v172, v[54:55], v[56:57] offset0:42 offset1:43
	ds_write2_b64 v172, v[50:51], v[52:53] offset0:44 offset1:45
	ds_write2_b64 v172, v[46:47], v[48:49] offset0:46 offset1:47
	ds_write2_b64 v172, v[42:43], v[44:45] offset0:48 offset1:49
	ds_write2_b64 v172, v[38:39], v[40:41] offset0:50 offset1:51
	ds_write2_b64 v172, v[34:35], v[36:37] offset0:52 offset1:53
	ds_write2_b64 v172, v[30:31], v[32:33] offset0:54 offset1:55
	ds_write2_b64 v172, v[26:27], v[28:29] offset0:56 offset1:57
	ds_write2_b64 v172, v[22:23], v[24:25] offset0:58 offset1:59
	ds_write2_b64 v172, v[18:19], v[20:21] offset0:60 offset1:61
	ds_write2_b64 v172, v[14:15], v[16:17] offset0:62 offset1:63
	ds_write2_b64 v172, v[10:11], v[12:13] offset0:64 offset1:65
	ds_write2_b64 v172, v[6:7], v[8:9] offset0:66 offset1:67
	ds_write2_b64 v172, v[2:3], v[4:5] offset0:68 offset1:69
	ds_read2_b64 v[142:145], v1 offset1:1
	s_waitcnt lgkmcnt(0)
	v_cmp_neq_f64_e32 vcc_lo, 0, v[142:143]
	v_cmp_neq_f64_e64 s1, 0, v[144:145]
	s_or_b32 s1, vcc_lo, s1
	s_and_b32 exec_lo, exec_lo, s1
	s_cbranch_execz .LBB69_71
; %bb.66:
	v_cmp_ngt_f64_e64 s1, |v[142:143]|, |v[144:145]|
                                        ; implicit-def: $vgpr146_vgpr147
	s_and_saveexec_b32 s3, s1
	s_xor_b32 s1, exec_lo, s3
                                        ; implicit-def: $vgpr148_vgpr149
	s_cbranch_execz .LBB69_68
; %bb.67:
	v_div_scale_f64 v[146:147], null, v[144:145], v[144:145], v[142:143]
	v_div_scale_f64 v[152:153], vcc_lo, v[142:143], v[144:145], v[142:143]
	v_rcp_f64_e32 v[148:149], v[146:147]
	v_fma_f64 v[150:151], -v[146:147], v[148:149], 1.0
	v_fma_f64 v[148:149], v[148:149], v[150:151], v[148:149]
	v_fma_f64 v[150:151], -v[146:147], v[148:149], 1.0
	v_fma_f64 v[148:149], v[148:149], v[150:151], v[148:149]
	v_mul_f64 v[150:151], v[152:153], v[148:149]
	v_fma_f64 v[146:147], -v[146:147], v[150:151], v[152:153]
	v_div_fmas_f64 v[146:147], v[146:147], v[148:149], v[150:151]
	v_div_fixup_f64 v[146:147], v[146:147], v[144:145], v[142:143]
	v_fma_f64 v[142:143], v[142:143], v[146:147], v[144:145]
	v_div_scale_f64 v[144:145], null, v[142:143], v[142:143], 1.0
	v_rcp_f64_e32 v[148:149], v[144:145]
	v_fma_f64 v[150:151], -v[144:145], v[148:149], 1.0
	v_fma_f64 v[148:149], v[148:149], v[150:151], v[148:149]
	v_fma_f64 v[150:151], -v[144:145], v[148:149], 1.0
	v_fma_f64 v[148:149], v[148:149], v[150:151], v[148:149]
	v_div_scale_f64 v[150:151], vcc_lo, 1.0, v[142:143], 1.0
	v_mul_f64 v[152:153], v[150:151], v[148:149]
	v_fma_f64 v[144:145], -v[144:145], v[152:153], v[150:151]
	v_div_fmas_f64 v[144:145], v[144:145], v[148:149], v[152:153]
	v_div_fixup_f64 v[148:149], v[144:145], v[142:143], 1.0
                                        ; implicit-def: $vgpr142_vgpr143
	v_mul_f64 v[146:147], v[146:147], v[148:149]
	v_xor_b32_e32 v149, 0x80000000, v149
.LBB69_68:
	s_andn2_saveexec_b32 s1, s1
	s_cbranch_execz .LBB69_70
; %bb.69:
	v_div_scale_f64 v[146:147], null, v[142:143], v[142:143], v[144:145]
	v_div_scale_f64 v[152:153], vcc_lo, v[144:145], v[142:143], v[144:145]
	v_rcp_f64_e32 v[148:149], v[146:147]
	v_fma_f64 v[150:151], -v[146:147], v[148:149], 1.0
	v_fma_f64 v[148:149], v[148:149], v[150:151], v[148:149]
	v_fma_f64 v[150:151], -v[146:147], v[148:149], 1.0
	v_fma_f64 v[148:149], v[148:149], v[150:151], v[148:149]
	v_mul_f64 v[150:151], v[152:153], v[148:149]
	v_fma_f64 v[146:147], -v[146:147], v[150:151], v[152:153]
	v_div_fmas_f64 v[146:147], v[146:147], v[148:149], v[150:151]
	v_div_fixup_f64 v[148:149], v[146:147], v[142:143], v[144:145]
	v_fma_f64 v[142:143], v[144:145], v[148:149], v[142:143]
	v_div_scale_f64 v[144:145], null, v[142:143], v[142:143], 1.0
	v_rcp_f64_e32 v[146:147], v[144:145]
	v_fma_f64 v[150:151], -v[144:145], v[146:147], 1.0
	v_fma_f64 v[146:147], v[146:147], v[150:151], v[146:147]
	v_fma_f64 v[150:151], -v[144:145], v[146:147], 1.0
	v_fma_f64 v[146:147], v[146:147], v[150:151], v[146:147]
	v_div_scale_f64 v[150:151], vcc_lo, 1.0, v[142:143], 1.0
	v_mul_f64 v[152:153], v[150:151], v[146:147]
	v_fma_f64 v[144:145], -v[144:145], v[152:153], v[150:151]
	v_div_fmas_f64 v[144:145], v[144:145], v[146:147], v[152:153]
	v_div_fixup_f64 v[146:147], v[144:145], v[142:143], 1.0
	v_mul_f64 v[148:149], v[148:149], -v[146:147]
.LBB69_70:
	s_or_b32 exec_lo, exec_lo, s1
	ds_write2_b64 v1, v[146:147], v[148:149] offset1:1
.LBB69_71:
	s_or_b32 exec_lo, exec_lo, s2
	s_waitcnt lgkmcnt(0)
	s_barrier
	buffer_gl0_inv
	ds_read2_b64 v[142:145], v1 offset1:1
	s_mov_b32 s1, exec_lo
	s_waitcnt lgkmcnt(0)
	buffer_store_dword v142, off, s[16:19], 0 offset:88 ; 4-byte Folded Spill
	buffer_store_dword v143, off, s[16:19], 0 offset:92 ; 4-byte Folded Spill
	;; [unrolled: 1-line block ×4, first 2 shown]
	v_cmpx_lt_u32_e32 7, v0
	s_cbranch_execz .LBB69_73
; %bb.72:
	s_clause 0x3
	buffer_load_dword v144, off, s[16:19], 0 offset:88
	buffer_load_dword v145, off, s[16:19], 0 offset:92
	;; [unrolled: 1-line block ×4, first 2 shown]
	s_waitcnt vmcnt(0)
	v_mul_f64 v[142:143], v[146:147], v[112:113]
	v_mul_f64 v[112:113], v[144:145], v[112:113]
	v_fma_f64 v[142:143], v[144:145], v[110:111], -v[142:143]
	v_fma_f64 v[112:113], v[146:147], v[110:111], v[112:113]
	ds_read2_b64 v[144:147], v172 offset0:16 offset1:17
	s_waitcnt lgkmcnt(0)
	v_mul_f64 v[110:111], v[146:147], v[112:113]
	v_fma_f64 v[110:111], v[144:145], v[142:143], -v[110:111]
	v_mul_f64 v[144:145], v[144:145], v[112:113]
	v_add_f64 v[106:107], v[106:107], -v[110:111]
	v_fma_f64 v[144:145], v[146:147], v[142:143], v[144:145]
	v_add_f64 v[108:109], v[108:109], -v[144:145]
	ds_read2_b64 v[144:147], v172 offset0:18 offset1:19
	s_waitcnt lgkmcnt(0)
	v_mul_f64 v[110:111], v[146:147], v[112:113]
	v_fma_f64 v[110:111], v[144:145], v[142:143], -v[110:111]
	v_mul_f64 v[144:145], v[144:145], v[112:113]
	v_add_f64 v[102:103], v[102:103], -v[110:111]
	v_fma_f64 v[144:145], v[146:147], v[142:143], v[144:145]
	v_add_f64 v[104:105], v[104:105], -v[144:145]
	;; [unrolled: 8-line block ×26, first 2 shown]
	ds_read2_b64 v[144:147], v172 offset0:68 offset1:69
	s_waitcnt lgkmcnt(0)
	v_mul_f64 v[110:111], v[146:147], v[112:113]
	v_fma_f64 v[110:111], v[144:145], v[142:143], -v[110:111]
	v_mul_f64 v[144:145], v[144:145], v[112:113]
	v_add_f64 v[2:3], v[2:3], -v[110:111]
	v_fma_f64 v[144:145], v[146:147], v[142:143], v[144:145]
	v_mov_b32_e32 v110, v142
	v_mov_b32_e32 v111, v143
	v_add_f64 v[4:5], v[4:5], -v[144:145]
.LBB69_73:
	s_or_b32 exec_lo, exec_lo, s1
	s_mov_b32 s2, exec_lo
	s_waitcnt_vscnt null, 0x0
	s_barrier
	buffer_gl0_inv
	v_cmpx_eq_u32_e32 8, v0
	s_cbranch_execz .LBB69_80
; %bb.74:
	ds_write2_b64 v1, v[106:107], v[108:109] offset1:1
	ds_write2_b64 v172, v[102:103], v[104:105] offset0:18 offset1:19
	ds_write2_b64 v172, v[98:99], v[100:101] offset0:20 offset1:21
	ds_write2_b64 v172, v[94:95], v[96:97] offset0:22 offset1:23
	ds_write2_b64 v172, v[90:91], v[92:93] offset0:24 offset1:25
	ds_write2_b64 v172, v[86:87], v[88:89] offset0:26 offset1:27
	ds_write2_b64 v172, v[82:83], v[84:85] offset0:28 offset1:29
	ds_write2_b64 v172, v[78:79], v[80:81] offset0:30 offset1:31
	ds_write2_b64 v172, v[74:75], v[76:77] offset0:32 offset1:33
	ds_write2_b64 v172, v[70:71], v[72:73] offset0:34 offset1:35
	ds_write2_b64 v172, v[66:67], v[68:69] offset0:36 offset1:37
	ds_write2_b64 v172, v[62:63], v[64:65] offset0:38 offset1:39
	ds_write2_b64 v172, v[58:59], v[60:61] offset0:40 offset1:41
	ds_write2_b64 v172, v[54:55], v[56:57] offset0:42 offset1:43
	ds_write2_b64 v172, v[50:51], v[52:53] offset0:44 offset1:45
	ds_write2_b64 v172, v[46:47], v[48:49] offset0:46 offset1:47
	ds_write2_b64 v172, v[42:43], v[44:45] offset0:48 offset1:49
	ds_write2_b64 v172, v[38:39], v[40:41] offset0:50 offset1:51
	ds_write2_b64 v172, v[34:35], v[36:37] offset0:52 offset1:53
	ds_write2_b64 v172, v[30:31], v[32:33] offset0:54 offset1:55
	ds_write2_b64 v172, v[26:27], v[28:29] offset0:56 offset1:57
	ds_write2_b64 v172, v[22:23], v[24:25] offset0:58 offset1:59
	ds_write2_b64 v172, v[18:19], v[20:21] offset0:60 offset1:61
	ds_write2_b64 v172, v[14:15], v[16:17] offset0:62 offset1:63
	ds_write2_b64 v172, v[10:11], v[12:13] offset0:64 offset1:65
	ds_write2_b64 v172, v[6:7], v[8:9] offset0:66 offset1:67
	ds_write2_b64 v172, v[2:3], v[4:5] offset0:68 offset1:69
	ds_read2_b64 v[142:145], v1 offset1:1
	s_waitcnt lgkmcnt(0)
	v_cmp_neq_f64_e32 vcc_lo, 0, v[142:143]
	v_cmp_neq_f64_e64 s1, 0, v[144:145]
	s_or_b32 s1, vcc_lo, s1
	s_and_b32 exec_lo, exec_lo, s1
	s_cbranch_execz .LBB69_80
; %bb.75:
	v_cmp_ngt_f64_e64 s1, |v[142:143]|, |v[144:145]|
                                        ; implicit-def: $vgpr146_vgpr147
	s_and_saveexec_b32 s3, s1
	s_xor_b32 s1, exec_lo, s3
                                        ; implicit-def: $vgpr148_vgpr149
	s_cbranch_execz .LBB69_77
; %bb.76:
	v_div_scale_f64 v[146:147], null, v[144:145], v[144:145], v[142:143]
	v_div_scale_f64 v[152:153], vcc_lo, v[142:143], v[144:145], v[142:143]
	v_rcp_f64_e32 v[148:149], v[146:147]
	v_fma_f64 v[150:151], -v[146:147], v[148:149], 1.0
	v_fma_f64 v[148:149], v[148:149], v[150:151], v[148:149]
	v_fma_f64 v[150:151], -v[146:147], v[148:149], 1.0
	v_fma_f64 v[148:149], v[148:149], v[150:151], v[148:149]
	v_mul_f64 v[150:151], v[152:153], v[148:149]
	v_fma_f64 v[146:147], -v[146:147], v[150:151], v[152:153]
	v_div_fmas_f64 v[146:147], v[146:147], v[148:149], v[150:151]
	v_div_fixup_f64 v[146:147], v[146:147], v[144:145], v[142:143]
	v_fma_f64 v[142:143], v[142:143], v[146:147], v[144:145]
	v_div_scale_f64 v[144:145], null, v[142:143], v[142:143], 1.0
	v_rcp_f64_e32 v[148:149], v[144:145]
	v_fma_f64 v[150:151], -v[144:145], v[148:149], 1.0
	v_fma_f64 v[148:149], v[148:149], v[150:151], v[148:149]
	v_fma_f64 v[150:151], -v[144:145], v[148:149], 1.0
	v_fma_f64 v[148:149], v[148:149], v[150:151], v[148:149]
	v_div_scale_f64 v[150:151], vcc_lo, 1.0, v[142:143], 1.0
	v_mul_f64 v[152:153], v[150:151], v[148:149]
	v_fma_f64 v[144:145], -v[144:145], v[152:153], v[150:151]
	v_div_fmas_f64 v[144:145], v[144:145], v[148:149], v[152:153]
	v_div_fixup_f64 v[148:149], v[144:145], v[142:143], 1.0
                                        ; implicit-def: $vgpr142_vgpr143
	v_mul_f64 v[146:147], v[146:147], v[148:149]
	v_xor_b32_e32 v149, 0x80000000, v149
.LBB69_77:
	s_andn2_saveexec_b32 s1, s1
	s_cbranch_execz .LBB69_79
; %bb.78:
	v_div_scale_f64 v[146:147], null, v[142:143], v[142:143], v[144:145]
	v_div_scale_f64 v[152:153], vcc_lo, v[144:145], v[142:143], v[144:145]
	v_rcp_f64_e32 v[148:149], v[146:147]
	v_fma_f64 v[150:151], -v[146:147], v[148:149], 1.0
	v_fma_f64 v[148:149], v[148:149], v[150:151], v[148:149]
	v_fma_f64 v[150:151], -v[146:147], v[148:149], 1.0
	v_fma_f64 v[148:149], v[148:149], v[150:151], v[148:149]
	v_mul_f64 v[150:151], v[152:153], v[148:149]
	v_fma_f64 v[146:147], -v[146:147], v[150:151], v[152:153]
	v_div_fmas_f64 v[146:147], v[146:147], v[148:149], v[150:151]
	v_div_fixup_f64 v[148:149], v[146:147], v[142:143], v[144:145]
	v_fma_f64 v[142:143], v[144:145], v[148:149], v[142:143]
	v_div_scale_f64 v[144:145], null, v[142:143], v[142:143], 1.0
	v_rcp_f64_e32 v[146:147], v[144:145]
	v_fma_f64 v[150:151], -v[144:145], v[146:147], 1.0
	v_fma_f64 v[146:147], v[146:147], v[150:151], v[146:147]
	v_fma_f64 v[150:151], -v[144:145], v[146:147], 1.0
	v_fma_f64 v[146:147], v[146:147], v[150:151], v[146:147]
	v_div_scale_f64 v[150:151], vcc_lo, 1.0, v[142:143], 1.0
	v_mul_f64 v[152:153], v[150:151], v[146:147]
	v_fma_f64 v[144:145], -v[144:145], v[152:153], v[150:151]
	v_div_fmas_f64 v[144:145], v[144:145], v[146:147], v[152:153]
	v_div_fixup_f64 v[146:147], v[144:145], v[142:143], 1.0
	v_mul_f64 v[148:149], v[148:149], -v[146:147]
.LBB69_79:
	s_or_b32 exec_lo, exec_lo, s1
	ds_write2_b64 v1, v[146:147], v[148:149] offset1:1
.LBB69_80:
	s_or_b32 exec_lo, exec_lo, s2
	s_waitcnt lgkmcnt(0)
	s_barrier
	buffer_gl0_inv
	ds_read2_b64 v[142:145], v1 offset1:1
	s_mov_b32 s1, exec_lo
	s_waitcnt lgkmcnt(0)
	buffer_store_dword v142, off, s[16:19], 0 offset:104 ; 4-byte Folded Spill
	buffer_store_dword v143, off, s[16:19], 0 offset:108 ; 4-byte Folded Spill
	;; [unrolled: 1-line block ×4, first 2 shown]
	v_cmpx_lt_u32_e32 8, v0
	s_cbranch_execz .LBB69_82
; %bb.81:
	s_clause 0x3
	buffer_load_dword v144, off, s[16:19], 0 offset:104
	buffer_load_dword v145, off, s[16:19], 0 offset:108
	buffer_load_dword v146, off, s[16:19], 0 offset:112
	buffer_load_dword v147, off, s[16:19], 0 offset:116
	s_waitcnt vmcnt(0)
	v_mul_f64 v[142:143], v[146:147], v[108:109]
	v_mul_f64 v[108:109], v[144:145], v[108:109]
	v_fma_f64 v[142:143], v[144:145], v[106:107], -v[142:143]
	v_fma_f64 v[108:109], v[146:147], v[106:107], v[108:109]
	ds_read2_b64 v[144:147], v172 offset0:18 offset1:19
	s_waitcnt lgkmcnt(0)
	v_mul_f64 v[106:107], v[146:147], v[108:109]
	v_fma_f64 v[106:107], v[144:145], v[142:143], -v[106:107]
	v_mul_f64 v[144:145], v[144:145], v[108:109]
	v_add_f64 v[102:103], v[102:103], -v[106:107]
	v_fma_f64 v[144:145], v[146:147], v[142:143], v[144:145]
	v_add_f64 v[104:105], v[104:105], -v[144:145]
	ds_read2_b64 v[144:147], v172 offset0:20 offset1:21
	s_waitcnt lgkmcnt(0)
	v_mul_f64 v[106:107], v[146:147], v[108:109]
	v_fma_f64 v[106:107], v[144:145], v[142:143], -v[106:107]
	v_mul_f64 v[144:145], v[144:145], v[108:109]
	v_add_f64 v[98:99], v[98:99], -v[106:107]
	v_fma_f64 v[144:145], v[146:147], v[142:143], v[144:145]
	v_add_f64 v[100:101], v[100:101], -v[144:145]
	;; [unrolled: 8-line block ×25, first 2 shown]
	ds_read2_b64 v[144:147], v172 offset0:68 offset1:69
	s_waitcnt lgkmcnt(0)
	v_mul_f64 v[106:107], v[146:147], v[108:109]
	v_fma_f64 v[106:107], v[144:145], v[142:143], -v[106:107]
	v_mul_f64 v[144:145], v[144:145], v[108:109]
	v_add_f64 v[2:3], v[2:3], -v[106:107]
	v_fma_f64 v[144:145], v[146:147], v[142:143], v[144:145]
	v_mov_b32_e32 v106, v142
	v_mov_b32_e32 v107, v143
	v_add_f64 v[4:5], v[4:5], -v[144:145]
.LBB69_82:
	s_or_b32 exec_lo, exec_lo, s1
	s_mov_b32 s2, exec_lo
	s_waitcnt_vscnt null, 0x0
	s_barrier
	buffer_gl0_inv
	v_cmpx_eq_u32_e32 9, v0
	s_cbranch_execz .LBB69_89
; %bb.83:
	ds_write2_b64 v1, v[102:103], v[104:105] offset1:1
	ds_write2_b64 v172, v[98:99], v[100:101] offset0:20 offset1:21
	ds_write2_b64 v172, v[94:95], v[96:97] offset0:22 offset1:23
	;; [unrolled: 1-line block ×25, first 2 shown]
	ds_read2_b64 v[142:145], v1 offset1:1
	s_waitcnt lgkmcnt(0)
	v_cmp_neq_f64_e32 vcc_lo, 0, v[142:143]
	v_cmp_neq_f64_e64 s1, 0, v[144:145]
	s_or_b32 s1, vcc_lo, s1
	s_and_b32 exec_lo, exec_lo, s1
	s_cbranch_execz .LBB69_89
; %bb.84:
	v_cmp_ngt_f64_e64 s1, |v[142:143]|, |v[144:145]|
                                        ; implicit-def: $vgpr146_vgpr147
	s_and_saveexec_b32 s3, s1
	s_xor_b32 s1, exec_lo, s3
                                        ; implicit-def: $vgpr148_vgpr149
	s_cbranch_execz .LBB69_86
; %bb.85:
	v_div_scale_f64 v[146:147], null, v[144:145], v[144:145], v[142:143]
	v_div_scale_f64 v[152:153], vcc_lo, v[142:143], v[144:145], v[142:143]
	v_rcp_f64_e32 v[148:149], v[146:147]
	v_fma_f64 v[150:151], -v[146:147], v[148:149], 1.0
	v_fma_f64 v[148:149], v[148:149], v[150:151], v[148:149]
	v_fma_f64 v[150:151], -v[146:147], v[148:149], 1.0
	v_fma_f64 v[148:149], v[148:149], v[150:151], v[148:149]
	v_mul_f64 v[150:151], v[152:153], v[148:149]
	v_fma_f64 v[146:147], -v[146:147], v[150:151], v[152:153]
	v_div_fmas_f64 v[146:147], v[146:147], v[148:149], v[150:151]
	v_div_fixup_f64 v[146:147], v[146:147], v[144:145], v[142:143]
	v_fma_f64 v[142:143], v[142:143], v[146:147], v[144:145]
	v_div_scale_f64 v[144:145], null, v[142:143], v[142:143], 1.0
	v_rcp_f64_e32 v[148:149], v[144:145]
	v_fma_f64 v[150:151], -v[144:145], v[148:149], 1.0
	v_fma_f64 v[148:149], v[148:149], v[150:151], v[148:149]
	v_fma_f64 v[150:151], -v[144:145], v[148:149], 1.0
	v_fma_f64 v[148:149], v[148:149], v[150:151], v[148:149]
	v_div_scale_f64 v[150:151], vcc_lo, 1.0, v[142:143], 1.0
	v_mul_f64 v[152:153], v[150:151], v[148:149]
	v_fma_f64 v[144:145], -v[144:145], v[152:153], v[150:151]
	v_div_fmas_f64 v[144:145], v[144:145], v[148:149], v[152:153]
	v_div_fixup_f64 v[148:149], v[144:145], v[142:143], 1.0
                                        ; implicit-def: $vgpr142_vgpr143
	v_mul_f64 v[146:147], v[146:147], v[148:149]
	v_xor_b32_e32 v149, 0x80000000, v149
.LBB69_86:
	s_andn2_saveexec_b32 s1, s1
	s_cbranch_execz .LBB69_88
; %bb.87:
	v_div_scale_f64 v[146:147], null, v[142:143], v[142:143], v[144:145]
	v_div_scale_f64 v[152:153], vcc_lo, v[144:145], v[142:143], v[144:145]
	v_rcp_f64_e32 v[148:149], v[146:147]
	v_fma_f64 v[150:151], -v[146:147], v[148:149], 1.0
	v_fma_f64 v[148:149], v[148:149], v[150:151], v[148:149]
	v_fma_f64 v[150:151], -v[146:147], v[148:149], 1.0
	v_fma_f64 v[148:149], v[148:149], v[150:151], v[148:149]
	v_mul_f64 v[150:151], v[152:153], v[148:149]
	v_fma_f64 v[146:147], -v[146:147], v[150:151], v[152:153]
	v_div_fmas_f64 v[146:147], v[146:147], v[148:149], v[150:151]
	v_div_fixup_f64 v[148:149], v[146:147], v[142:143], v[144:145]
	v_fma_f64 v[142:143], v[144:145], v[148:149], v[142:143]
	v_div_scale_f64 v[144:145], null, v[142:143], v[142:143], 1.0
	v_rcp_f64_e32 v[146:147], v[144:145]
	v_fma_f64 v[150:151], -v[144:145], v[146:147], 1.0
	v_fma_f64 v[146:147], v[146:147], v[150:151], v[146:147]
	v_fma_f64 v[150:151], -v[144:145], v[146:147], 1.0
	v_fma_f64 v[146:147], v[146:147], v[150:151], v[146:147]
	v_div_scale_f64 v[150:151], vcc_lo, 1.0, v[142:143], 1.0
	v_mul_f64 v[152:153], v[150:151], v[146:147]
	v_fma_f64 v[144:145], -v[144:145], v[152:153], v[150:151]
	v_div_fmas_f64 v[144:145], v[144:145], v[146:147], v[152:153]
	v_div_fixup_f64 v[146:147], v[144:145], v[142:143], 1.0
	v_mul_f64 v[148:149], v[148:149], -v[146:147]
.LBB69_88:
	s_or_b32 exec_lo, exec_lo, s1
	ds_write2_b64 v1, v[146:147], v[148:149] offset1:1
.LBB69_89:
	s_or_b32 exec_lo, exec_lo, s2
	s_waitcnt lgkmcnt(0)
	s_barrier
	buffer_gl0_inv
	ds_read2_b64 v[142:145], v1 offset1:1
	s_mov_b32 s1, exec_lo
	s_waitcnt lgkmcnt(0)
	buffer_store_dword v142, off, s[16:19], 0 offset:120 ; 4-byte Folded Spill
	buffer_store_dword v143, off, s[16:19], 0 offset:124 ; 4-byte Folded Spill
	;; [unrolled: 1-line block ×4, first 2 shown]
	v_cmpx_lt_u32_e32 9, v0
	s_cbranch_execz .LBB69_91
; %bb.90:
	s_clause 0x3
	buffer_load_dword v144, off, s[16:19], 0 offset:120
	buffer_load_dword v145, off, s[16:19], 0 offset:124
	;; [unrolled: 1-line block ×4, first 2 shown]
	s_waitcnt vmcnt(0)
	v_mul_f64 v[142:143], v[146:147], v[104:105]
	v_mul_f64 v[104:105], v[144:145], v[104:105]
	v_fma_f64 v[142:143], v[144:145], v[102:103], -v[142:143]
	v_fma_f64 v[104:105], v[146:147], v[102:103], v[104:105]
	ds_read2_b64 v[144:147], v172 offset0:20 offset1:21
	s_waitcnt lgkmcnt(0)
	v_mul_f64 v[102:103], v[146:147], v[104:105]
	v_fma_f64 v[102:103], v[144:145], v[142:143], -v[102:103]
	v_mul_f64 v[144:145], v[144:145], v[104:105]
	v_add_f64 v[98:99], v[98:99], -v[102:103]
	v_fma_f64 v[144:145], v[146:147], v[142:143], v[144:145]
	v_add_f64 v[100:101], v[100:101], -v[144:145]
	ds_read2_b64 v[144:147], v172 offset0:22 offset1:23
	s_waitcnt lgkmcnt(0)
	v_mul_f64 v[102:103], v[146:147], v[104:105]
	v_fma_f64 v[102:103], v[144:145], v[142:143], -v[102:103]
	v_mul_f64 v[144:145], v[144:145], v[104:105]
	v_add_f64 v[94:95], v[94:95], -v[102:103]
	v_fma_f64 v[144:145], v[146:147], v[142:143], v[144:145]
	v_add_f64 v[96:97], v[96:97], -v[144:145]
	;; [unrolled: 8-line block ×24, first 2 shown]
	ds_read2_b64 v[144:147], v172 offset0:68 offset1:69
	s_waitcnt lgkmcnt(0)
	v_mul_f64 v[102:103], v[146:147], v[104:105]
	v_fma_f64 v[102:103], v[144:145], v[142:143], -v[102:103]
	v_mul_f64 v[144:145], v[144:145], v[104:105]
	v_add_f64 v[2:3], v[2:3], -v[102:103]
	v_fma_f64 v[144:145], v[146:147], v[142:143], v[144:145]
	v_mov_b32_e32 v102, v142
	v_mov_b32_e32 v103, v143
	v_add_f64 v[4:5], v[4:5], -v[144:145]
.LBB69_91:
	s_or_b32 exec_lo, exec_lo, s1
	s_mov_b32 s2, exec_lo
	s_waitcnt_vscnt null, 0x0
	s_barrier
	buffer_gl0_inv
	v_cmpx_eq_u32_e32 10, v0
	s_cbranch_execz .LBB69_98
; %bb.92:
	ds_write2_b64 v1, v[98:99], v[100:101] offset1:1
	ds_write2_b64 v172, v[94:95], v[96:97] offset0:22 offset1:23
	ds_write2_b64 v172, v[90:91], v[92:93] offset0:24 offset1:25
	;; [unrolled: 1-line block ×24, first 2 shown]
	ds_read2_b64 v[142:145], v1 offset1:1
	s_waitcnt lgkmcnt(0)
	v_cmp_neq_f64_e32 vcc_lo, 0, v[142:143]
	v_cmp_neq_f64_e64 s1, 0, v[144:145]
	s_or_b32 s1, vcc_lo, s1
	s_and_b32 exec_lo, exec_lo, s1
	s_cbranch_execz .LBB69_98
; %bb.93:
	v_cmp_ngt_f64_e64 s1, |v[142:143]|, |v[144:145]|
                                        ; implicit-def: $vgpr146_vgpr147
	s_and_saveexec_b32 s3, s1
	s_xor_b32 s1, exec_lo, s3
                                        ; implicit-def: $vgpr148_vgpr149
	s_cbranch_execz .LBB69_95
; %bb.94:
	v_div_scale_f64 v[146:147], null, v[144:145], v[144:145], v[142:143]
	v_div_scale_f64 v[152:153], vcc_lo, v[142:143], v[144:145], v[142:143]
	v_rcp_f64_e32 v[148:149], v[146:147]
	v_fma_f64 v[150:151], -v[146:147], v[148:149], 1.0
	v_fma_f64 v[148:149], v[148:149], v[150:151], v[148:149]
	v_fma_f64 v[150:151], -v[146:147], v[148:149], 1.0
	v_fma_f64 v[148:149], v[148:149], v[150:151], v[148:149]
	v_mul_f64 v[150:151], v[152:153], v[148:149]
	v_fma_f64 v[146:147], -v[146:147], v[150:151], v[152:153]
	v_div_fmas_f64 v[146:147], v[146:147], v[148:149], v[150:151]
	v_div_fixup_f64 v[146:147], v[146:147], v[144:145], v[142:143]
	v_fma_f64 v[142:143], v[142:143], v[146:147], v[144:145]
	v_div_scale_f64 v[144:145], null, v[142:143], v[142:143], 1.0
	v_rcp_f64_e32 v[148:149], v[144:145]
	v_fma_f64 v[150:151], -v[144:145], v[148:149], 1.0
	v_fma_f64 v[148:149], v[148:149], v[150:151], v[148:149]
	v_fma_f64 v[150:151], -v[144:145], v[148:149], 1.0
	v_fma_f64 v[148:149], v[148:149], v[150:151], v[148:149]
	v_div_scale_f64 v[150:151], vcc_lo, 1.0, v[142:143], 1.0
	v_mul_f64 v[152:153], v[150:151], v[148:149]
	v_fma_f64 v[144:145], -v[144:145], v[152:153], v[150:151]
	v_div_fmas_f64 v[144:145], v[144:145], v[148:149], v[152:153]
	v_div_fixup_f64 v[148:149], v[144:145], v[142:143], 1.0
                                        ; implicit-def: $vgpr142_vgpr143
	v_mul_f64 v[146:147], v[146:147], v[148:149]
	v_xor_b32_e32 v149, 0x80000000, v149
.LBB69_95:
	s_andn2_saveexec_b32 s1, s1
	s_cbranch_execz .LBB69_97
; %bb.96:
	v_div_scale_f64 v[146:147], null, v[142:143], v[142:143], v[144:145]
	v_div_scale_f64 v[152:153], vcc_lo, v[144:145], v[142:143], v[144:145]
	v_rcp_f64_e32 v[148:149], v[146:147]
	v_fma_f64 v[150:151], -v[146:147], v[148:149], 1.0
	v_fma_f64 v[148:149], v[148:149], v[150:151], v[148:149]
	v_fma_f64 v[150:151], -v[146:147], v[148:149], 1.0
	v_fma_f64 v[148:149], v[148:149], v[150:151], v[148:149]
	v_mul_f64 v[150:151], v[152:153], v[148:149]
	v_fma_f64 v[146:147], -v[146:147], v[150:151], v[152:153]
	v_div_fmas_f64 v[146:147], v[146:147], v[148:149], v[150:151]
	v_div_fixup_f64 v[148:149], v[146:147], v[142:143], v[144:145]
	v_fma_f64 v[142:143], v[144:145], v[148:149], v[142:143]
	v_div_scale_f64 v[144:145], null, v[142:143], v[142:143], 1.0
	v_rcp_f64_e32 v[146:147], v[144:145]
	v_fma_f64 v[150:151], -v[144:145], v[146:147], 1.0
	v_fma_f64 v[146:147], v[146:147], v[150:151], v[146:147]
	v_fma_f64 v[150:151], -v[144:145], v[146:147], 1.0
	v_fma_f64 v[146:147], v[146:147], v[150:151], v[146:147]
	v_div_scale_f64 v[150:151], vcc_lo, 1.0, v[142:143], 1.0
	v_mul_f64 v[152:153], v[150:151], v[146:147]
	v_fma_f64 v[144:145], -v[144:145], v[152:153], v[150:151]
	v_div_fmas_f64 v[144:145], v[144:145], v[146:147], v[152:153]
	v_div_fixup_f64 v[146:147], v[144:145], v[142:143], 1.0
	v_mul_f64 v[148:149], v[148:149], -v[146:147]
.LBB69_97:
	s_or_b32 exec_lo, exec_lo, s1
	ds_write2_b64 v1, v[146:147], v[148:149] offset1:1
.LBB69_98:
	s_or_b32 exec_lo, exec_lo, s2
	s_waitcnt lgkmcnt(0)
	s_barrier
	buffer_gl0_inv
	ds_read2_b64 v[142:145], v1 offset1:1
	s_mov_b32 s1, exec_lo
	s_waitcnt lgkmcnt(0)
	buffer_store_dword v142, off, s[16:19], 0 offset:136 ; 4-byte Folded Spill
	buffer_store_dword v143, off, s[16:19], 0 offset:140 ; 4-byte Folded Spill
	;; [unrolled: 1-line block ×4, first 2 shown]
	v_cmpx_lt_u32_e32 10, v0
	s_cbranch_execz .LBB69_100
; %bb.99:
	s_clause 0x3
	buffer_load_dword v144, off, s[16:19], 0 offset:136
	buffer_load_dword v145, off, s[16:19], 0 offset:140
	;; [unrolled: 1-line block ×4, first 2 shown]
	s_waitcnt vmcnt(0)
	v_mul_f64 v[142:143], v[146:147], v[100:101]
	v_mul_f64 v[100:101], v[144:145], v[100:101]
	v_fma_f64 v[142:143], v[144:145], v[98:99], -v[142:143]
	v_fma_f64 v[100:101], v[146:147], v[98:99], v[100:101]
	ds_read2_b64 v[144:147], v172 offset0:22 offset1:23
	s_waitcnt lgkmcnt(0)
	v_mul_f64 v[98:99], v[146:147], v[100:101]
	v_fma_f64 v[98:99], v[144:145], v[142:143], -v[98:99]
	v_mul_f64 v[144:145], v[144:145], v[100:101]
	v_add_f64 v[94:95], v[94:95], -v[98:99]
	v_fma_f64 v[144:145], v[146:147], v[142:143], v[144:145]
	v_add_f64 v[96:97], v[96:97], -v[144:145]
	ds_read2_b64 v[144:147], v172 offset0:24 offset1:25
	s_waitcnt lgkmcnt(0)
	v_mul_f64 v[98:99], v[146:147], v[100:101]
	v_fma_f64 v[98:99], v[144:145], v[142:143], -v[98:99]
	v_mul_f64 v[144:145], v[144:145], v[100:101]
	v_add_f64 v[90:91], v[90:91], -v[98:99]
	v_fma_f64 v[144:145], v[146:147], v[142:143], v[144:145]
	v_add_f64 v[92:93], v[92:93], -v[144:145]
	ds_read2_b64 v[144:147], v172 offset0:26 offset1:27
	s_waitcnt lgkmcnt(0)
	v_mul_f64 v[98:99], v[146:147], v[100:101]
	v_fma_f64 v[98:99], v[144:145], v[142:143], -v[98:99]
	v_mul_f64 v[144:145], v[144:145], v[100:101]
	v_add_f64 v[86:87], v[86:87], -v[98:99]
	v_fma_f64 v[144:145], v[146:147], v[142:143], v[144:145]
	v_add_f64 v[88:89], v[88:89], -v[144:145]
	ds_read2_b64 v[144:147], v172 offset0:28 offset1:29
	s_waitcnt lgkmcnt(0)
	v_mul_f64 v[98:99], v[146:147], v[100:101]
	v_fma_f64 v[98:99], v[144:145], v[142:143], -v[98:99]
	v_mul_f64 v[144:145], v[144:145], v[100:101]
	v_add_f64 v[82:83], v[82:83], -v[98:99]
	v_fma_f64 v[144:145], v[146:147], v[142:143], v[144:145]
	v_add_f64 v[84:85], v[84:85], -v[144:145]
	ds_read2_b64 v[144:147], v172 offset0:30 offset1:31
	s_waitcnt lgkmcnt(0)
	v_mul_f64 v[98:99], v[146:147], v[100:101]
	v_fma_f64 v[98:99], v[144:145], v[142:143], -v[98:99]
	v_mul_f64 v[144:145], v[144:145], v[100:101]
	v_add_f64 v[78:79], v[78:79], -v[98:99]
	v_fma_f64 v[144:145], v[146:147], v[142:143], v[144:145]
	v_add_f64 v[80:81], v[80:81], -v[144:145]
	ds_read2_b64 v[144:147], v172 offset0:32 offset1:33
	s_waitcnt lgkmcnt(0)
	v_mul_f64 v[98:99], v[146:147], v[100:101]
	v_fma_f64 v[98:99], v[144:145], v[142:143], -v[98:99]
	v_mul_f64 v[144:145], v[144:145], v[100:101]
	v_add_f64 v[74:75], v[74:75], -v[98:99]
	v_fma_f64 v[144:145], v[146:147], v[142:143], v[144:145]
	v_add_f64 v[76:77], v[76:77], -v[144:145]
	ds_read2_b64 v[144:147], v172 offset0:34 offset1:35
	s_waitcnt lgkmcnt(0)
	v_mul_f64 v[98:99], v[146:147], v[100:101]
	v_fma_f64 v[98:99], v[144:145], v[142:143], -v[98:99]
	v_mul_f64 v[144:145], v[144:145], v[100:101]
	v_add_f64 v[70:71], v[70:71], -v[98:99]
	v_fma_f64 v[144:145], v[146:147], v[142:143], v[144:145]
	v_add_f64 v[72:73], v[72:73], -v[144:145]
	ds_read2_b64 v[144:147], v172 offset0:36 offset1:37
	s_waitcnt lgkmcnt(0)
	v_mul_f64 v[98:99], v[146:147], v[100:101]
	v_fma_f64 v[98:99], v[144:145], v[142:143], -v[98:99]
	v_mul_f64 v[144:145], v[144:145], v[100:101]
	v_add_f64 v[66:67], v[66:67], -v[98:99]
	v_fma_f64 v[144:145], v[146:147], v[142:143], v[144:145]
	v_add_f64 v[68:69], v[68:69], -v[144:145]
	ds_read2_b64 v[144:147], v172 offset0:38 offset1:39
	s_waitcnt lgkmcnt(0)
	v_mul_f64 v[98:99], v[146:147], v[100:101]
	v_fma_f64 v[98:99], v[144:145], v[142:143], -v[98:99]
	v_mul_f64 v[144:145], v[144:145], v[100:101]
	v_add_f64 v[62:63], v[62:63], -v[98:99]
	v_fma_f64 v[144:145], v[146:147], v[142:143], v[144:145]
	v_add_f64 v[64:65], v[64:65], -v[144:145]
	ds_read2_b64 v[144:147], v172 offset0:40 offset1:41
	s_waitcnt lgkmcnt(0)
	v_mul_f64 v[98:99], v[146:147], v[100:101]
	v_fma_f64 v[98:99], v[144:145], v[142:143], -v[98:99]
	v_mul_f64 v[144:145], v[144:145], v[100:101]
	v_add_f64 v[58:59], v[58:59], -v[98:99]
	v_fma_f64 v[144:145], v[146:147], v[142:143], v[144:145]
	v_add_f64 v[60:61], v[60:61], -v[144:145]
	ds_read2_b64 v[144:147], v172 offset0:42 offset1:43
	s_waitcnt lgkmcnt(0)
	v_mul_f64 v[98:99], v[146:147], v[100:101]
	v_fma_f64 v[98:99], v[144:145], v[142:143], -v[98:99]
	v_mul_f64 v[144:145], v[144:145], v[100:101]
	v_add_f64 v[54:55], v[54:55], -v[98:99]
	v_fma_f64 v[144:145], v[146:147], v[142:143], v[144:145]
	v_add_f64 v[56:57], v[56:57], -v[144:145]
	ds_read2_b64 v[144:147], v172 offset0:44 offset1:45
	s_waitcnt lgkmcnt(0)
	v_mul_f64 v[98:99], v[146:147], v[100:101]
	v_fma_f64 v[98:99], v[144:145], v[142:143], -v[98:99]
	v_mul_f64 v[144:145], v[144:145], v[100:101]
	v_add_f64 v[50:51], v[50:51], -v[98:99]
	v_fma_f64 v[144:145], v[146:147], v[142:143], v[144:145]
	v_add_f64 v[52:53], v[52:53], -v[144:145]
	ds_read2_b64 v[144:147], v172 offset0:46 offset1:47
	s_waitcnt lgkmcnt(0)
	v_mul_f64 v[98:99], v[146:147], v[100:101]
	v_fma_f64 v[98:99], v[144:145], v[142:143], -v[98:99]
	v_mul_f64 v[144:145], v[144:145], v[100:101]
	v_add_f64 v[46:47], v[46:47], -v[98:99]
	v_fma_f64 v[144:145], v[146:147], v[142:143], v[144:145]
	v_add_f64 v[48:49], v[48:49], -v[144:145]
	ds_read2_b64 v[144:147], v172 offset0:48 offset1:49
	s_waitcnt lgkmcnt(0)
	v_mul_f64 v[98:99], v[146:147], v[100:101]
	v_fma_f64 v[98:99], v[144:145], v[142:143], -v[98:99]
	v_mul_f64 v[144:145], v[144:145], v[100:101]
	v_add_f64 v[42:43], v[42:43], -v[98:99]
	v_fma_f64 v[144:145], v[146:147], v[142:143], v[144:145]
	v_add_f64 v[44:45], v[44:45], -v[144:145]
	ds_read2_b64 v[144:147], v172 offset0:50 offset1:51
	s_waitcnt lgkmcnt(0)
	v_mul_f64 v[98:99], v[146:147], v[100:101]
	v_fma_f64 v[98:99], v[144:145], v[142:143], -v[98:99]
	v_mul_f64 v[144:145], v[144:145], v[100:101]
	v_add_f64 v[38:39], v[38:39], -v[98:99]
	v_fma_f64 v[144:145], v[146:147], v[142:143], v[144:145]
	v_add_f64 v[40:41], v[40:41], -v[144:145]
	ds_read2_b64 v[144:147], v172 offset0:52 offset1:53
	s_waitcnt lgkmcnt(0)
	v_mul_f64 v[98:99], v[146:147], v[100:101]
	v_fma_f64 v[98:99], v[144:145], v[142:143], -v[98:99]
	v_mul_f64 v[144:145], v[144:145], v[100:101]
	v_add_f64 v[34:35], v[34:35], -v[98:99]
	v_fma_f64 v[144:145], v[146:147], v[142:143], v[144:145]
	v_add_f64 v[36:37], v[36:37], -v[144:145]
	ds_read2_b64 v[144:147], v172 offset0:54 offset1:55
	s_waitcnt lgkmcnt(0)
	v_mul_f64 v[98:99], v[146:147], v[100:101]
	v_fma_f64 v[98:99], v[144:145], v[142:143], -v[98:99]
	v_mul_f64 v[144:145], v[144:145], v[100:101]
	v_add_f64 v[30:31], v[30:31], -v[98:99]
	v_fma_f64 v[144:145], v[146:147], v[142:143], v[144:145]
	v_add_f64 v[32:33], v[32:33], -v[144:145]
	ds_read2_b64 v[144:147], v172 offset0:56 offset1:57
	s_waitcnt lgkmcnt(0)
	v_mul_f64 v[98:99], v[146:147], v[100:101]
	v_fma_f64 v[98:99], v[144:145], v[142:143], -v[98:99]
	v_mul_f64 v[144:145], v[144:145], v[100:101]
	v_add_f64 v[26:27], v[26:27], -v[98:99]
	v_fma_f64 v[144:145], v[146:147], v[142:143], v[144:145]
	v_add_f64 v[28:29], v[28:29], -v[144:145]
	ds_read2_b64 v[144:147], v172 offset0:58 offset1:59
	s_waitcnt lgkmcnt(0)
	v_mul_f64 v[98:99], v[146:147], v[100:101]
	v_fma_f64 v[98:99], v[144:145], v[142:143], -v[98:99]
	v_mul_f64 v[144:145], v[144:145], v[100:101]
	v_add_f64 v[22:23], v[22:23], -v[98:99]
	v_fma_f64 v[144:145], v[146:147], v[142:143], v[144:145]
	v_add_f64 v[24:25], v[24:25], -v[144:145]
	ds_read2_b64 v[144:147], v172 offset0:60 offset1:61
	s_waitcnt lgkmcnt(0)
	v_mul_f64 v[98:99], v[146:147], v[100:101]
	v_fma_f64 v[98:99], v[144:145], v[142:143], -v[98:99]
	v_mul_f64 v[144:145], v[144:145], v[100:101]
	v_add_f64 v[18:19], v[18:19], -v[98:99]
	v_fma_f64 v[144:145], v[146:147], v[142:143], v[144:145]
	v_add_f64 v[20:21], v[20:21], -v[144:145]
	ds_read2_b64 v[144:147], v172 offset0:62 offset1:63
	s_waitcnt lgkmcnt(0)
	v_mul_f64 v[98:99], v[146:147], v[100:101]
	v_fma_f64 v[98:99], v[144:145], v[142:143], -v[98:99]
	v_mul_f64 v[144:145], v[144:145], v[100:101]
	v_add_f64 v[14:15], v[14:15], -v[98:99]
	v_fma_f64 v[144:145], v[146:147], v[142:143], v[144:145]
	v_add_f64 v[16:17], v[16:17], -v[144:145]
	ds_read2_b64 v[144:147], v172 offset0:64 offset1:65
	s_waitcnt lgkmcnt(0)
	v_mul_f64 v[98:99], v[146:147], v[100:101]
	v_fma_f64 v[98:99], v[144:145], v[142:143], -v[98:99]
	v_mul_f64 v[144:145], v[144:145], v[100:101]
	v_add_f64 v[10:11], v[10:11], -v[98:99]
	v_fma_f64 v[144:145], v[146:147], v[142:143], v[144:145]
	v_add_f64 v[12:13], v[12:13], -v[144:145]
	ds_read2_b64 v[144:147], v172 offset0:66 offset1:67
	s_waitcnt lgkmcnt(0)
	v_mul_f64 v[98:99], v[146:147], v[100:101]
	v_fma_f64 v[98:99], v[144:145], v[142:143], -v[98:99]
	v_mul_f64 v[144:145], v[144:145], v[100:101]
	v_add_f64 v[6:7], v[6:7], -v[98:99]
	v_fma_f64 v[144:145], v[146:147], v[142:143], v[144:145]
	v_add_f64 v[8:9], v[8:9], -v[144:145]
	ds_read2_b64 v[144:147], v172 offset0:68 offset1:69
	s_waitcnt lgkmcnt(0)
	v_mul_f64 v[98:99], v[146:147], v[100:101]
	v_fma_f64 v[98:99], v[144:145], v[142:143], -v[98:99]
	v_mul_f64 v[144:145], v[144:145], v[100:101]
	v_add_f64 v[2:3], v[2:3], -v[98:99]
	v_fma_f64 v[144:145], v[146:147], v[142:143], v[144:145]
	v_mov_b32_e32 v98, v142
	v_mov_b32_e32 v99, v143
	v_add_f64 v[4:5], v[4:5], -v[144:145]
.LBB69_100:
	s_or_b32 exec_lo, exec_lo, s1
	s_mov_b32 s2, exec_lo
	s_waitcnt_vscnt null, 0x0
	s_barrier
	buffer_gl0_inv
	v_cmpx_eq_u32_e32 11, v0
	s_cbranch_execz .LBB69_107
; %bb.101:
	ds_write2_b64 v1, v[94:95], v[96:97] offset1:1
	ds_write2_b64 v172, v[90:91], v[92:93] offset0:24 offset1:25
	ds_write2_b64 v172, v[86:87], v[88:89] offset0:26 offset1:27
	;; [unrolled: 1-line block ×23, first 2 shown]
	ds_read2_b64 v[142:145], v1 offset1:1
	s_waitcnt lgkmcnt(0)
	v_cmp_neq_f64_e32 vcc_lo, 0, v[142:143]
	v_cmp_neq_f64_e64 s1, 0, v[144:145]
	s_or_b32 s1, vcc_lo, s1
	s_and_b32 exec_lo, exec_lo, s1
	s_cbranch_execz .LBB69_107
; %bb.102:
	v_cmp_ngt_f64_e64 s1, |v[142:143]|, |v[144:145]|
                                        ; implicit-def: $vgpr146_vgpr147
	s_and_saveexec_b32 s3, s1
	s_xor_b32 s1, exec_lo, s3
                                        ; implicit-def: $vgpr148_vgpr149
	s_cbranch_execz .LBB69_104
; %bb.103:
	v_div_scale_f64 v[146:147], null, v[144:145], v[144:145], v[142:143]
	v_div_scale_f64 v[152:153], vcc_lo, v[142:143], v[144:145], v[142:143]
	v_rcp_f64_e32 v[148:149], v[146:147]
	v_fma_f64 v[150:151], -v[146:147], v[148:149], 1.0
	v_fma_f64 v[148:149], v[148:149], v[150:151], v[148:149]
	v_fma_f64 v[150:151], -v[146:147], v[148:149], 1.0
	v_fma_f64 v[148:149], v[148:149], v[150:151], v[148:149]
	v_mul_f64 v[150:151], v[152:153], v[148:149]
	v_fma_f64 v[146:147], -v[146:147], v[150:151], v[152:153]
	v_div_fmas_f64 v[146:147], v[146:147], v[148:149], v[150:151]
	v_div_fixup_f64 v[146:147], v[146:147], v[144:145], v[142:143]
	v_fma_f64 v[142:143], v[142:143], v[146:147], v[144:145]
	v_div_scale_f64 v[144:145], null, v[142:143], v[142:143], 1.0
	v_rcp_f64_e32 v[148:149], v[144:145]
	v_fma_f64 v[150:151], -v[144:145], v[148:149], 1.0
	v_fma_f64 v[148:149], v[148:149], v[150:151], v[148:149]
	v_fma_f64 v[150:151], -v[144:145], v[148:149], 1.0
	v_fma_f64 v[148:149], v[148:149], v[150:151], v[148:149]
	v_div_scale_f64 v[150:151], vcc_lo, 1.0, v[142:143], 1.0
	v_mul_f64 v[152:153], v[150:151], v[148:149]
	v_fma_f64 v[144:145], -v[144:145], v[152:153], v[150:151]
	v_div_fmas_f64 v[144:145], v[144:145], v[148:149], v[152:153]
	v_div_fixup_f64 v[148:149], v[144:145], v[142:143], 1.0
                                        ; implicit-def: $vgpr142_vgpr143
	v_mul_f64 v[146:147], v[146:147], v[148:149]
	v_xor_b32_e32 v149, 0x80000000, v149
.LBB69_104:
	s_andn2_saveexec_b32 s1, s1
	s_cbranch_execz .LBB69_106
; %bb.105:
	v_div_scale_f64 v[146:147], null, v[142:143], v[142:143], v[144:145]
	v_div_scale_f64 v[152:153], vcc_lo, v[144:145], v[142:143], v[144:145]
	v_rcp_f64_e32 v[148:149], v[146:147]
	v_fma_f64 v[150:151], -v[146:147], v[148:149], 1.0
	v_fma_f64 v[148:149], v[148:149], v[150:151], v[148:149]
	v_fma_f64 v[150:151], -v[146:147], v[148:149], 1.0
	v_fma_f64 v[148:149], v[148:149], v[150:151], v[148:149]
	v_mul_f64 v[150:151], v[152:153], v[148:149]
	v_fma_f64 v[146:147], -v[146:147], v[150:151], v[152:153]
	v_div_fmas_f64 v[146:147], v[146:147], v[148:149], v[150:151]
	v_div_fixup_f64 v[148:149], v[146:147], v[142:143], v[144:145]
	v_fma_f64 v[142:143], v[144:145], v[148:149], v[142:143]
	v_div_scale_f64 v[144:145], null, v[142:143], v[142:143], 1.0
	v_rcp_f64_e32 v[146:147], v[144:145]
	v_fma_f64 v[150:151], -v[144:145], v[146:147], 1.0
	v_fma_f64 v[146:147], v[146:147], v[150:151], v[146:147]
	v_fma_f64 v[150:151], -v[144:145], v[146:147], 1.0
	v_fma_f64 v[146:147], v[146:147], v[150:151], v[146:147]
	v_div_scale_f64 v[150:151], vcc_lo, 1.0, v[142:143], 1.0
	v_mul_f64 v[152:153], v[150:151], v[146:147]
	v_fma_f64 v[144:145], -v[144:145], v[152:153], v[150:151]
	v_div_fmas_f64 v[144:145], v[144:145], v[146:147], v[152:153]
	v_div_fixup_f64 v[146:147], v[144:145], v[142:143], 1.0
	v_mul_f64 v[148:149], v[148:149], -v[146:147]
.LBB69_106:
	s_or_b32 exec_lo, exec_lo, s1
	ds_write2_b64 v1, v[146:147], v[148:149] offset1:1
.LBB69_107:
	s_or_b32 exec_lo, exec_lo, s2
	s_waitcnt lgkmcnt(0)
	s_barrier
	buffer_gl0_inv
	ds_read2_b64 v[142:145], v1 offset1:1
	s_mov_b32 s1, exec_lo
	s_waitcnt lgkmcnt(0)
	buffer_store_dword v142, off, s[16:19], 0 offset:152 ; 4-byte Folded Spill
	buffer_store_dword v143, off, s[16:19], 0 offset:156 ; 4-byte Folded Spill
	;; [unrolled: 1-line block ×4, first 2 shown]
	v_cmpx_lt_u32_e32 11, v0
	s_cbranch_execz .LBB69_109
; %bb.108:
	s_clause 0x3
	buffer_load_dword v144, off, s[16:19], 0 offset:152
	buffer_load_dword v145, off, s[16:19], 0 offset:156
	;; [unrolled: 1-line block ×4, first 2 shown]
	s_waitcnt vmcnt(0)
	v_mul_f64 v[142:143], v[146:147], v[96:97]
	v_mul_f64 v[96:97], v[144:145], v[96:97]
	v_fma_f64 v[142:143], v[144:145], v[94:95], -v[142:143]
	v_fma_f64 v[96:97], v[146:147], v[94:95], v[96:97]
	ds_read2_b64 v[144:147], v172 offset0:24 offset1:25
	s_waitcnt lgkmcnt(0)
	v_mul_f64 v[94:95], v[146:147], v[96:97]
	v_fma_f64 v[94:95], v[144:145], v[142:143], -v[94:95]
	v_mul_f64 v[144:145], v[144:145], v[96:97]
	v_add_f64 v[90:91], v[90:91], -v[94:95]
	v_fma_f64 v[144:145], v[146:147], v[142:143], v[144:145]
	v_add_f64 v[92:93], v[92:93], -v[144:145]
	ds_read2_b64 v[144:147], v172 offset0:26 offset1:27
	s_waitcnt lgkmcnt(0)
	v_mul_f64 v[94:95], v[146:147], v[96:97]
	v_fma_f64 v[94:95], v[144:145], v[142:143], -v[94:95]
	v_mul_f64 v[144:145], v[144:145], v[96:97]
	v_add_f64 v[86:87], v[86:87], -v[94:95]
	v_fma_f64 v[144:145], v[146:147], v[142:143], v[144:145]
	v_add_f64 v[88:89], v[88:89], -v[144:145]
	;; [unrolled: 8-line block ×22, first 2 shown]
	ds_read2_b64 v[144:147], v172 offset0:68 offset1:69
	s_waitcnt lgkmcnt(0)
	v_mul_f64 v[94:95], v[146:147], v[96:97]
	v_fma_f64 v[94:95], v[144:145], v[142:143], -v[94:95]
	v_mul_f64 v[144:145], v[144:145], v[96:97]
	v_add_f64 v[2:3], v[2:3], -v[94:95]
	v_fma_f64 v[144:145], v[146:147], v[142:143], v[144:145]
	v_mov_b32_e32 v94, v142
	v_mov_b32_e32 v95, v143
	v_add_f64 v[4:5], v[4:5], -v[144:145]
.LBB69_109:
	s_or_b32 exec_lo, exec_lo, s1
	s_mov_b32 s2, exec_lo
	s_waitcnt_vscnt null, 0x0
	s_barrier
	buffer_gl0_inv
	v_cmpx_eq_u32_e32 12, v0
	s_cbranch_execz .LBB69_116
; %bb.110:
	ds_write2_b64 v1, v[90:91], v[92:93] offset1:1
	ds_write2_b64 v172, v[86:87], v[88:89] offset0:26 offset1:27
	ds_write2_b64 v172, v[82:83], v[84:85] offset0:28 offset1:29
	;; [unrolled: 1-line block ×22, first 2 shown]
	ds_read2_b64 v[142:145], v1 offset1:1
	s_waitcnt lgkmcnt(0)
	v_cmp_neq_f64_e32 vcc_lo, 0, v[142:143]
	v_cmp_neq_f64_e64 s1, 0, v[144:145]
	s_or_b32 s1, vcc_lo, s1
	s_and_b32 exec_lo, exec_lo, s1
	s_cbranch_execz .LBB69_116
; %bb.111:
	v_cmp_ngt_f64_e64 s1, |v[142:143]|, |v[144:145]|
                                        ; implicit-def: $vgpr146_vgpr147
	s_and_saveexec_b32 s3, s1
	s_xor_b32 s1, exec_lo, s3
                                        ; implicit-def: $vgpr148_vgpr149
	s_cbranch_execz .LBB69_113
; %bb.112:
	v_div_scale_f64 v[146:147], null, v[144:145], v[144:145], v[142:143]
	v_div_scale_f64 v[152:153], vcc_lo, v[142:143], v[144:145], v[142:143]
	v_rcp_f64_e32 v[148:149], v[146:147]
	v_fma_f64 v[150:151], -v[146:147], v[148:149], 1.0
	v_fma_f64 v[148:149], v[148:149], v[150:151], v[148:149]
	v_fma_f64 v[150:151], -v[146:147], v[148:149], 1.0
	v_fma_f64 v[148:149], v[148:149], v[150:151], v[148:149]
	v_mul_f64 v[150:151], v[152:153], v[148:149]
	v_fma_f64 v[146:147], -v[146:147], v[150:151], v[152:153]
	v_div_fmas_f64 v[146:147], v[146:147], v[148:149], v[150:151]
	v_div_fixup_f64 v[146:147], v[146:147], v[144:145], v[142:143]
	v_fma_f64 v[142:143], v[142:143], v[146:147], v[144:145]
	v_div_scale_f64 v[144:145], null, v[142:143], v[142:143], 1.0
	v_rcp_f64_e32 v[148:149], v[144:145]
	v_fma_f64 v[150:151], -v[144:145], v[148:149], 1.0
	v_fma_f64 v[148:149], v[148:149], v[150:151], v[148:149]
	v_fma_f64 v[150:151], -v[144:145], v[148:149], 1.0
	v_fma_f64 v[148:149], v[148:149], v[150:151], v[148:149]
	v_div_scale_f64 v[150:151], vcc_lo, 1.0, v[142:143], 1.0
	v_mul_f64 v[152:153], v[150:151], v[148:149]
	v_fma_f64 v[144:145], -v[144:145], v[152:153], v[150:151]
	v_div_fmas_f64 v[144:145], v[144:145], v[148:149], v[152:153]
	v_div_fixup_f64 v[148:149], v[144:145], v[142:143], 1.0
                                        ; implicit-def: $vgpr142_vgpr143
	v_mul_f64 v[146:147], v[146:147], v[148:149]
	v_xor_b32_e32 v149, 0x80000000, v149
.LBB69_113:
	s_andn2_saveexec_b32 s1, s1
	s_cbranch_execz .LBB69_115
; %bb.114:
	v_div_scale_f64 v[146:147], null, v[142:143], v[142:143], v[144:145]
	v_div_scale_f64 v[152:153], vcc_lo, v[144:145], v[142:143], v[144:145]
	v_rcp_f64_e32 v[148:149], v[146:147]
	v_fma_f64 v[150:151], -v[146:147], v[148:149], 1.0
	v_fma_f64 v[148:149], v[148:149], v[150:151], v[148:149]
	v_fma_f64 v[150:151], -v[146:147], v[148:149], 1.0
	v_fma_f64 v[148:149], v[148:149], v[150:151], v[148:149]
	v_mul_f64 v[150:151], v[152:153], v[148:149]
	v_fma_f64 v[146:147], -v[146:147], v[150:151], v[152:153]
	v_div_fmas_f64 v[146:147], v[146:147], v[148:149], v[150:151]
	v_div_fixup_f64 v[148:149], v[146:147], v[142:143], v[144:145]
	v_fma_f64 v[142:143], v[144:145], v[148:149], v[142:143]
	v_div_scale_f64 v[144:145], null, v[142:143], v[142:143], 1.0
	v_rcp_f64_e32 v[146:147], v[144:145]
	v_fma_f64 v[150:151], -v[144:145], v[146:147], 1.0
	v_fma_f64 v[146:147], v[146:147], v[150:151], v[146:147]
	v_fma_f64 v[150:151], -v[144:145], v[146:147], 1.0
	v_fma_f64 v[146:147], v[146:147], v[150:151], v[146:147]
	v_div_scale_f64 v[150:151], vcc_lo, 1.0, v[142:143], 1.0
	v_mul_f64 v[152:153], v[150:151], v[146:147]
	v_fma_f64 v[144:145], -v[144:145], v[152:153], v[150:151]
	v_div_fmas_f64 v[144:145], v[144:145], v[146:147], v[152:153]
	v_div_fixup_f64 v[146:147], v[144:145], v[142:143], 1.0
	v_mul_f64 v[148:149], v[148:149], -v[146:147]
.LBB69_115:
	s_or_b32 exec_lo, exec_lo, s1
	ds_write2_b64 v1, v[146:147], v[148:149] offset1:1
.LBB69_116:
	s_or_b32 exec_lo, exec_lo, s2
	s_waitcnt lgkmcnt(0)
	s_barrier
	buffer_gl0_inv
	ds_read2_b64 v[142:145], v1 offset1:1
	s_mov_b32 s1, exec_lo
	s_waitcnt lgkmcnt(0)
	buffer_store_dword v142, off, s[16:19], 0 offset:168 ; 4-byte Folded Spill
	buffer_store_dword v143, off, s[16:19], 0 offset:172 ; 4-byte Folded Spill
	;; [unrolled: 1-line block ×4, first 2 shown]
	v_cmpx_lt_u32_e32 12, v0
	s_cbranch_execz .LBB69_118
; %bb.117:
	s_clause 0x3
	buffer_load_dword v144, off, s[16:19], 0 offset:168
	buffer_load_dword v145, off, s[16:19], 0 offset:172
	;; [unrolled: 1-line block ×4, first 2 shown]
	s_waitcnt vmcnt(0)
	v_mul_f64 v[142:143], v[146:147], v[92:93]
	v_mul_f64 v[92:93], v[144:145], v[92:93]
	v_fma_f64 v[142:143], v[144:145], v[90:91], -v[142:143]
	v_fma_f64 v[92:93], v[146:147], v[90:91], v[92:93]
	ds_read2_b64 v[144:147], v172 offset0:26 offset1:27
	s_waitcnt lgkmcnt(0)
	v_mul_f64 v[90:91], v[146:147], v[92:93]
	v_fma_f64 v[90:91], v[144:145], v[142:143], -v[90:91]
	v_mul_f64 v[144:145], v[144:145], v[92:93]
	v_add_f64 v[86:87], v[86:87], -v[90:91]
	v_fma_f64 v[144:145], v[146:147], v[142:143], v[144:145]
	v_add_f64 v[88:89], v[88:89], -v[144:145]
	ds_read2_b64 v[144:147], v172 offset0:28 offset1:29
	s_waitcnt lgkmcnt(0)
	v_mul_f64 v[90:91], v[146:147], v[92:93]
	v_fma_f64 v[90:91], v[144:145], v[142:143], -v[90:91]
	v_mul_f64 v[144:145], v[144:145], v[92:93]
	v_add_f64 v[82:83], v[82:83], -v[90:91]
	v_fma_f64 v[144:145], v[146:147], v[142:143], v[144:145]
	v_add_f64 v[84:85], v[84:85], -v[144:145]
	;; [unrolled: 8-line block ×21, first 2 shown]
	ds_read2_b64 v[144:147], v172 offset0:68 offset1:69
	s_waitcnt lgkmcnt(0)
	v_mul_f64 v[90:91], v[146:147], v[92:93]
	v_fma_f64 v[90:91], v[144:145], v[142:143], -v[90:91]
	v_mul_f64 v[144:145], v[144:145], v[92:93]
	v_add_f64 v[2:3], v[2:3], -v[90:91]
	v_fma_f64 v[144:145], v[146:147], v[142:143], v[144:145]
	v_mov_b32_e32 v90, v142
	v_mov_b32_e32 v91, v143
	v_add_f64 v[4:5], v[4:5], -v[144:145]
.LBB69_118:
	s_or_b32 exec_lo, exec_lo, s1
	s_mov_b32 s2, exec_lo
	s_waitcnt_vscnt null, 0x0
	s_barrier
	buffer_gl0_inv
	v_cmpx_eq_u32_e32 13, v0
	s_cbranch_execz .LBB69_125
; %bb.119:
	ds_write2_b64 v1, v[86:87], v[88:89] offset1:1
	ds_write2_b64 v172, v[82:83], v[84:85] offset0:28 offset1:29
	ds_write2_b64 v172, v[78:79], v[80:81] offset0:30 offset1:31
	;; [unrolled: 1-line block ×21, first 2 shown]
	ds_read2_b64 v[142:145], v1 offset1:1
	s_waitcnt lgkmcnt(0)
	v_cmp_neq_f64_e32 vcc_lo, 0, v[142:143]
	v_cmp_neq_f64_e64 s1, 0, v[144:145]
	s_or_b32 s1, vcc_lo, s1
	s_and_b32 exec_lo, exec_lo, s1
	s_cbranch_execz .LBB69_125
; %bb.120:
	v_cmp_ngt_f64_e64 s1, |v[142:143]|, |v[144:145]|
                                        ; implicit-def: $vgpr146_vgpr147
	s_and_saveexec_b32 s3, s1
	s_xor_b32 s1, exec_lo, s3
                                        ; implicit-def: $vgpr148_vgpr149
	s_cbranch_execz .LBB69_122
; %bb.121:
	v_div_scale_f64 v[146:147], null, v[144:145], v[144:145], v[142:143]
	v_div_scale_f64 v[152:153], vcc_lo, v[142:143], v[144:145], v[142:143]
	v_rcp_f64_e32 v[148:149], v[146:147]
	v_fma_f64 v[150:151], -v[146:147], v[148:149], 1.0
	v_fma_f64 v[148:149], v[148:149], v[150:151], v[148:149]
	v_fma_f64 v[150:151], -v[146:147], v[148:149], 1.0
	v_fma_f64 v[148:149], v[148:149], v[150:151], v[148:149]
	v_mul_f64 v[150:151], v[152:153], v[148:149]
	v_fma_f64 v[146:147], -v[146:147], v[150:151], v[152:153]
	v_div_fmas_f64 v[146:147], v[146:147], v[148:149], v[150:151]
	v_div_fixup_f64 v[146:147], v[146:147], v[144:145], v[142:143]
	v_fma_f64 v[142:143], v[142:143], v[146:147], v[144:145]
	v_div_scale_f64 v[144:145], null, v[142:143], v[142:143], 1.0
	v_rcp_f64_e32 v[148:149], v[144:145]
	v_fma_f64 v[150:151], -v[144:145], v[148:149], 1.0
	v_fma_f64 v[148:149], v[148:149], v[150:151], v[148:149]
	v_fma_f64 v[150:151], -v[144:145], v[148:149], 1.0
	v_fma_f64 v[148:149], v[148:149], v[150:151], v[148:149]
	v_div_scale_f64 v[150:151], vcc_lo, 1.0, v[142:143], 1.0
	v_mul_f64 v[152:153], v[150:151], v[148:149]
	v_fma_f64 v[144:145], -v[144:145], v[152:153], v[150:151]
	v_div_fmas_f64 v[144:145], v[144:145], v[148:149], v[152:153]
	v_div_fixup_f64 v[148:149], v[144:145], v[142:143], 1.0
                                        ; implicit-def: $vgpr142_vgpr143
	v_mul_f64 v[146:147], v[146:147], v[148:149]
	v_xor_b32_e32 v149, 0x80000000, v149
.LBB69_122:
	s_andn2_saveexec_b32 s1, s1
	s_cbranch_execz .LBB69_124
; %bb.123:
	v_div_scale_f64 v[146:147], null, v[142:143], v[142:143], v[144:145]
	v_div_scale_f64 v[152:153], vcc_lo, v[144:145], v[142:143], v[144:145]
	v_rcp_f64_e32 v[148:149], v[146:147]
	v_fma_f64 v[150:151], -v[146:147], v[148:149], 1.0
	v_fma_f64 v[148:149], v[148:149], v[150:151], v[148:149]
	v_fma_f64 v[150:151], -v[146:147], v[148:149], 1.0
	v_fma_f64 v[148:149], v[148:149], v[150:151], v[148:149]
	v_mul_f64 v[150:151], v[152:153], v[148:149]
	v_fma_f64 v[146:147], -v[146:147], v[150:151], v[152:153]
	v_div_fmas_f64 v[146:147], v[146:147], v[148:149], v[150:151]
	v_div_fixup_f64 v[148:149], v[146:147], v[142:143], v[144:145]
	v_fma_f64 v[142:143], v[144:145], v[148:149], v[142:143]
	v_div_scale_f64 v[144:145], null, v[142:143], v[142:143], 1.0
	v_rcp_f64_e32 v[146:147], v[144:145]
	v_fma_f64 v[150:151], -v[144:145], v[146:147], 1.0
	v_fma_f64 v[146:147], v[146:147], v[150:151], v[146:147]
	v_fma_f64 v[150:151], -v[144:145], v[146:147], 1.0
	v_fma_f64 v[146:147], v[146:147], v[150:151], v[146:147]
	v_div_scale_f64 v[150:151], vcc_lo, 1.0, v[142:143], 1.0
	v_mul_f64 v[152:153], v[150:151], v[146:147]
	v_fma_f64 v[144:145], -v[144:145], v[152:153], v[150:151]
	v_div_fmas_f64 v[144:145], v[144:145], v[146:147], v[152:153]
	v_div_fixup_f64 v[146:147], v[144:145], v[142:143], 1.0
	v_mul_f64 v[148:149], v[148:149], -v[146:147]
.LBB69_124:
	s_or_b32 exec_lo, exec_lo, s1
	ds_write2_b64 v1, v[146:147], v[148:149] offset1:1
.LBB69_125:
	s_or_b32 exec_lo, exec_lo, s2
	s_waitcnt lgkmcnt(0)
	s_barrier
	buffer_gl0_inv
	ds_read2_b64 v[142:145], v1 offset1:1
	s_mov_b32 s1, exec_lo
	s_waitcnt lgkmcnt(0)
	buffer_store_dword v142, off, s[16:19], 0 offset:184 ; 4-byte Folded Spill
	buffer_store_dword v143, off, s[16:19], 0 offset:188 ; 4-byte Folded Spill
	;; [unrolled: 1-line block ×4, first 2 shown]
	v_cmpx_lt_u32_e32 13, v0
	s_cbranch_execz .LBB69_127
; %bb.126:
	s_clause 0x3
	buffer_load_dword v144, off, s[16:19], 0 offset:184
	buffer_load_dword v145, off, s[16:19], 0 offset:188
	;; [unrolled: 1-line block ×4, first 2 shown]
	s_waitcnt vmcnt(0)
	v_mul_f64 v[142:143], v[146:147], v[88:89]
	v_mul_f64 v[88:89], v[144:145], v[88:89]
	v_fma_f64 v[142:143], v[144:145], v[86:87], -v[142:143]
	v_fma_f64 v[88:89], v[146:147], v[86:87], v[88:89]
	ds_read2_b64 v[144:147], v172 offset0:28 offset1:29
	s_waitcnt lgkmcnt(0)
	v_mul_f64 v[86:87], v[146:147], v[88:89]
	v_fma_f64 v[86:87], v[144:145], v[142:143], -v[86:87]
	v_mul_f64 v[144:145], v[144:145], v[88:89]
	v_add_f64 v[82:83], v[82:83], -v[86:87]
	v_fma_f64 v[144:145], v[146:147], v[142:143], v[144:145]
	v_add_f64 v[84:85], v[84:85], -v[144:145]
	ds_read2_b64 v[144:147], v172 offset0:30 offset1:31
	s_waitcnt lgkmcnt(0)
	v_mul_f64 v[86:87], v[146:147], v[88:89]
	v_fma_f64 v[86:87], v[144:145], v[142:143], -v[86:87]
	v_mul_f64 v[144:145], v[144:145], v[88:89]
	v_add_f64 v[78:79], v[78:79], -v[86:87]
	v_fma_f64 v[144:145], v[146:147], v[142:143], v[144:145]
	v_add_f64 v[80:81], v[80:81], -v[144:145]
	;; [unrolled: 8-line block ×20, first 2 shown]
	ds_read2_b64 v[144:147], v172 offset0:68 offset1:69
	s_waitcnt lgkmcnt(0)
	v_mul_f64 v[86:87], v[146:147], v[88:89]
	v_fma_f64 v[86:87], v[144:145], v[142:143], -v[86:87]
	v_mul_f64 v[144:145], v[144:145], v[88:89]
	v_add_f64 v[2:3], v[2:3], -v[86:87]
	v_fma_f64 v[144:145], v[146:147], v[142:143], v[144:145]
	v_mov_b32_e32 v86, v142
	v_mov_b32_e32 v87, v143
	v_add_f64 v[4:5], v[4:5], -v[144:145]
.LBB69_127:
	s_or_b32 exec_lo, exec_lo, s1
	s_mov_b32 s2, exec_lo
	s_waitcnt_vscnt null, 0x0
	s_barrier
	buffer_gl0_inv
	v_cmpx_eq_u32_e32 14, v0
	s_cbranch_execz .LBB69_134
; %bb.128:
	ds_write2_b64 v1, v[82:83], v[84:85] offset1:1
	ds_write2_b64 v172, v[78:79], v[80:81] offset0:30 offset1:31
	ds_write2_b64 v172, v[74:75], v[76:77] offset0:32 offset1:33
	;; [unrolled: 1-line block ×20, first 2 shown]
	ds_read2_b64 v[142:145], v1 offset1:1
	s_waitcnt lgkmcnt(0)
	v_cmp_neq_f64_e32 vcc_lo, 0, v[142:143]
	v_cmp_neq_f64_e64 s1, 0, v[144:145]
	s_or_b32 s1, vcc_lo, s1
	s_and_b32 exec_lo, exec_lo, s1
	s_cbranch_execz .LBB69_134
; %bb.129:
	v_cmp_ngt_f64_e64 s1, |v[142:143]|, |v[144:145]|
                                        ; implicit-def: $vgpr146_vgpr147
	s_and_saveexec_b32 s3, s1
	s_xor_b32 s1, exec_lo, s3
                                        ; implicit-def: $vgpr148_vgpr149
	s_cbranch_execz .LBB69_131
; %bb.130:
	v_div_scale_f64 v[146:147], null, v[144:145], v[144:145], v[142:143]
	v_div_scale_f64 v[152:153], vcc_lo, v[142:143], v[144:145], v[142:143]
	v_rcp_f64_e32 v[148:149], v[146:147]
	v_fma_f64 v[150:151], -v[146:147], v[148:149], 1.0
	v_fma_f64 v[148:149], v[148:149], v[150:151], v[148:149]
	v_fma_f64 v[150:151], -v[146:147], v[148:149], 1.0
	v_fma_f64 v[148:149], v[148:149], v[150:151], v[148:149]
	v_mul_f64 v[150:151], v[152:153], v[148:149]
	v_fma_f64 v[146:147], -v[146:147], v[150:151], v[152:153]
	v_div_fmas_f64 v[146:147], v[146:147], v[148:149], v[150:151]
	v_div_fixup_f64 v[146:147], v[146:147], v[144:145], v[142:143]
	v_fma_f64 v[142:143], v[142:143], v[146:147], v[144:145]
	v_div_scale_f64 v[144:145], null, v[142:143], v[142:143], 1.0
	v_rcp_f64_e32 v[148:149], v[144:145]
	v_fma_f64 v[150:151], -v[144:145], v[148:149], 1.0
	v_fma_f64 v[148:149], v[148:149], v[150:151], v[148:149]
	v_fma_f64 v[150:151], -v[144:145], v[148:149], 1.0
	v_fma_f64 v[148:149], v[148:149], v[150:151], v[148:149]
	v_div_scale_f64 v[150:151], vcc_lo, 1.0, v[142:143], 1.0
	v_mul_f64 v[152:153], v[150:151], v[148:149]
	v_fma_f64 v[144:145], -v[144:145], v[152:153], v[150:151]
	v_div_fmas_f64 v[144:145], v[144:145], v[148:149], v[152:153]
	v_div_fixup_f64 v[148:149], v[144:145], v[142:143], 1.0
                                        ; implicit-def: $vgpr142_vgpr143
	v_mul_f64 v[146:147], v[146:147], v[148:149]
	v_xor_b32_e32 v149, 0x80000000, v149
.LBB69_131:
	s_andn2_saveexec_b32 s1, s1
	s_cbranch_execz .LBB69_133
; %bb.132:
	v_div_scale_f64 v[146:147], null, v[142:143], v[142:143], v[144:145]
	v_div_scale_f64 v[152:153], vcc_lo, v[144:145], v[142:143], v[144:145]
	v_rcp_f64_e32 v[148:149], v[146:147]
	v_fma_f64 v[150:151], -v[146:147], v[148:149], 1.0
	v_fma_f64 v[148:149], v[148:149], v[150:151], v[148:149]
	v_fma_f64 v[150:151], -v[146:147], v[148:149], 1.0
	v_fma_f64 v[148:149], v[148:149], v[150:151], v[148:149]
	v_mul_f64 v[150:151], v[152:153], v[148:149]
	v_fma_f64 v[146:147], -v[146:147], v[150:151], v[152:153]
	v_div_fmas_f64 v[146:147], v[146:147], v[148:149], v[150:151]
	v_div_fixup_f64 v[148:149], v[146:147], v[142:143], v[144:145]
	v_fma_f64 v[142:143], v[144:145], v[148:149], v[142:143]
	v_div_scale_f64 v[144:145], null, v[142:143], v[142:143], 1.0
	v_rcp_f64_e32 v[146:147], v[144:145]
	v_fma_f64 v[150:151], -v[144:145], v[146:147], 1.0
	v_fma_f64 v[146:147], v[146:147], v[150:151], v[146:147]
	v_fma_f64 v[150:151], -v[144:145], v[146:147], 1.0
	v_fma_f64 v[146:147], v[146:147], v[150:151], v[146:147]
	v_div_scale_f64 v[150:151], vcc_lo, 1.0, v[142:143], 1.0
	v_mul_f64 v[152:153], v[150:151], v[146:147]
	v_fma_f64 v[144:145], -v[144:145], v[152:153], v[150:151]
	v_div_fmas_f64 v[144:145], v[144:145], v[146:147], v[152:153]
	v_div_fixup_f64 v[146:147], v[144:145], v[142:143], 1.0
	v_mul_f64 v[148:149], v[148:149], -v[146:147]
.LBB69_133:
	s_or_b32 exec_lo, exec_lo, s1
	ds_write2_b64 v1, v[146:147], v[148:149] offset1:1
.LBB69_134:
	s_or_b32 exec_lo, exec_lo, s2
	s_waitcnt lgkmcnt(0)
	s_barrier
	buffer_gl0_inv
	ds_read2_b64 v[142:145], v1 offset1:1
	s_mov_b32 s1, exec_lo
	s_waitcnt lgkmcnt(0)
	buffer_store_dword v142, off, s[16:19], 0 offset:200 ; 4-byte Folded Spill
	buffer_store_dword v143, off, s[16:19], 0 offset:204 ; 4-byte Folded Spill
	;; [unrolled: 1-line block ×4, first 2 shown]
	v_cmpx_lt_u32_e32 14, v0
	s_cbranch_execz .LBB69_136
; %bb.135:
	s_clause 0x3
	buffer_load_dword v144, off, s[16:19], 0 offset:200
	buffer_load_dword v145, off, s[16:19], 0 offset:204
	;; [unrolled: 1-line block ×4, first 2 shown]
	s_waitcnt vmcnt(0)
	v_mul_f64 v[142:143], v[146:147], v[84:85]
	v_mul_f64 v[84:85], v[144:145], v[84:85]
	v_fma_f64 v[142:143], v[144:145], v[82:83], -v[142:143]
	v_fma_f64 v[84:85], v[146:147], v[82:83], v[84:85]
	ds_read2_b64 v[144:147], v172 offset0:30 offset1:31
	s_waitcnt lgkmcnt(0)
	v_mul_f64 v[82:83], v[146:147], v[84:85]
	v_fma_f64 v[82:83], v[144:145], v[142:143], -v[82:83]
	v_mul_f64 v[144:145], v[144:145], v[84:85]
	v_add_f64 v[78:79], v[78:79], -v[82:83]
	v_fma_f64 v[144:145], v[146:147], v[142:143], v[144:145]
	v_add_f64 v[80:81], v[80:81], -v[144:145]
	ds_read2_b64 v[144:147], v172 offset0:32 offset1:33
	s_waitcnt lgkmcnt(0)
	v_mul_f64 v[82:83], v[146:147], v[84:85]
	v_fma_f64 v[82:83], v[144:145], v[142:143], -v[82:83]
	v_mul_f64 v[144:145], v[144:145], v[84:85]
	v_add_f64 v[74:75], v[74:75], -v[82:83]
	v_fma_f64 v[144:145], v[146:147], v[142:143], v[144:145]
	v_add_f64 v[76:77], v[76:77], -v[144:145]
	;; [unrolled: 8-line block ×19, first 2 shown]
	ds_read2_b64 v[144:147], v172 offset0:68 offset1:69
	s_waitcnt lgkmcnt(0)
	v_mul_f64 v[82:83], v[146:147], v[84:85]
	v_fma_f64 v[82:83], v[144:145], v[142:143], -v[82:83]
	v_mul_f64 v[144:145], v[144:145], v[84:85]
	v_add_f64 v[2:3], v[2:3], -v[82:83]
	v_fma_f64 v[144:145], v[146:147], v[142:143], v[144:145]
	v_mov_b32_e32 v82, v142
	v_mov_b32_e32 v83, v143
	v_add_f64 v[4:5], v[4:5], -v[144:145]
.LBB69_136:
	s_or_b32 exec_lo, exec_lo, s1
	s_mov_b32 s2, exec_lo
	s_waitcnt_vscnt null, 0x0
	s_barrier
	buffer_gl0_inv
	v_cmpx_eq_u32_e32 15, v0
	s_cbranch_execz .LBB69_143
; %bb.137:
	ds_write2_b64 v1, v[78:79], v[80:81] offset1:1
	ds_write2_b64 v172, v[74:75], v[76:77] offset0:32 offset1:33
	ds_write2_b64 v172, v[70:71], v[72:73] offset0:34 offset1:35
	;; [unrolled: 1-line block ×19, first 2 shown]
	ds_read2_b64 v[142:145], v1 offset1:1
	s_waitcnt lgkmcnt(0)
	v_cmp_neq_f64_e32 vcc_lo, 0, v[142:143]
	v_cmp_neq_f64_e64 s1, 0, v[144:145]
	s_or_b32 s1, vcc_lo, s1
	s_and_b32 exec_lo, exec_lo, s1
	s_cbranch_execz .LBB69_143
; %bb.138:
	v_cmp_ngt_f64_e64 s1, |v[142:143]|, |v[144:145]|
                                        ; implicit-def: $vgpr146_vgpr147
	s_and_saveexec_b32 s3, s1
	s_xor_b32 s1, exec_lo, s3
                                        ; implicit-def: $vgpr148_vgpr149
	s_cbranch_execz .LBB69_140
; %bb.139:
	v_div_scale_f64 v[146:147], null, v[144:145], v[144:145], v[142:143]
	v_div_scale_f64 v[152:153], vcc_lo, v[142:143], v[144:145], v[142:143]
	v_rcp_f64_e32 v[148:149], v[146:147]
	v_fma_f64 v[150:151], -v[146:147], v[148:149], 1.0
	v_fma_f64 v[148:149], v[148:149], v[150:151], v[148:149]
	v_fma_f64 v[150:151], -v[146:147], v[148:149], 1.0
	v_fma_f64 v[148:149], v[148:149], v[150:151], v[148:149]
	v_mul_f64 v[150:151], v[152:153], v[148:149]
	v_fma_f64 v[146:147], -v[146:147], v[150:151], v[152:153]
	v_div_fmas_f64 v[146:147], v[146:147], v[148:149], v[150:151]
	v_div_fixup_f64 v[146:147], v[146:147], v[144:145], v[142:143]
	v_fma_f64 v[142:143], v[142:143], v[146:147], v[144:145]
	v_div_scale_f64 v[144:145], null, v[142:143], v[142:143], 1.0
	v_rcp_f64_e32 v[148:149], v[144:145]
	v_fma_f64 v[150:151], -v[144:145], v[148:149], 1.0
	v_fma_f64 v[148:149], v[148:149], v[150:151], v[148:149]
	v_fma_f64 v[150:151], -v[144:145], v[148:149], 1.0
	v_fma_f64 v[148:149], v[148:149], v[150:151], v[148:149]
	v_div_scale_f64 v[150:151], vcc_lo, 1.0, v[142:143], 1.0
	v_mul_f64 v[152:153], v[150:151], v[148:149]
	v_fma_f64 v[144:145], -v[144:145], v[152:153], v[150:151]
	v_div_fmas_f64 v[144:145], v[144:145], v[148:149], v[152:153]
	v_div_fixup_f64 v[148:149], v[144:145], v[142:143], 1.0
                                        ; implicit-def: $vgpr142_vgpr143
	v_mul_f64 v[146:147], v[146:147], v[148:149]
	v_xor_b32_e32 v149, 0x80000000, v149
.LBB69_140:
	s_andn2_saveexec_b32 s1, s1
	s_cbranch_execz .LBB69_142
; %bb.141:
	v_div_scale_f64 v[146:147], null, v[142:143], v[142:143], v[144:145]
	v_div_scale_f64 v[152:153], vcc_lo, v[144:145], v[142:143], v[144:145]
	v_rcp_f64_e32 v[148:149], v[146:147]
	v_fma_f64 v[150:151], -v[146:147], v[148:149], 1.0
	v_fma_f64 v[148:149], v[148:149], v[150:151], v[148:149]
	v_fma_f64 v[150:151], -v[146:147], v[148:149], 1.0
	v_fma_f64 v[148:149], v[148:149], v[150:151], v[148:149]
	v_mul_f64 v[150:151], v[152:153], v[148:149]
	v_fma_f64 v[146:147], -v[146:147], v[150:151], v[152:153]
	v_div_fmas_f64 v[146:147], v[146:147], v[148:149], v[150:151]
	v_div_fixup_f64 v[148:149], v[146:147], v[142:143], v[144:145]
	v_fma_f64 v[142:143], v[144:145], v[148:149], v[142:143]
	v_div_scale_f64 v[144:145], null, v[142:143], v[142:143], 1.0
	v_rcp_f64_e32 v[146:147], v[144:145]
	v_fma_f64 v[150:151], -v[144:145], v[146:147], 1.0
	v_fma_f64 v[146:147], v[146:147], v[150:151], v[146:147]
	v_fma_f64 v[150:151], -v[144:145], v[146:147], 1.0
	v_fma_f64 v[146:147], v[146:147], v[150:151], v[146:147]
	v_div_scale_f64 v[150:151], vcc_lo, 1.0, v[142:143], 1.0
	v_mul_f64 v[152:153], v[150:151], v[146:147]
	v_fma_f64 v[144:145], -v[144:145], v[152:153], v[150:151]
	v_div_fmas_f64 v[144:145], v[144:145], v[146:147], v[152:153]
	v_div_fixup_f64 v[146:147], v[144:145], v[142:143], 1.0
	v_mul_f64 v[148:149], v[148:149], -v[146:147]
.LBB69_142:
	s_or_b32 exec_lo, exec_lo, s1
	ds_write2_b64 v1, v[146:147], v[148:149] offset1:1
.LBB69_143:
	s_or_b32 exec_lo, exec_lo, s2
	s_waitcnt lgkmcnt(0)
	s_barrier
	buffer_gl0_inv
	ds_read2_b64 v[142:145], v1 offset1:1
	s_mov_b32 s1, exec_lo
	s_waitcnt lgkmcnt(0)
	buffer_store_dword v142, off, s[16:19], 0 offset:216 ; 4-byte Folded Spill
	buffer_store_dword v143, off, s[16:19], 0 offset:220 ; 4-byte Folded Spill
	;; [unrolled: 1-line block ×4, first 2 shown]
	v_cmpx_lt_u32_e32 15, v0
	s_cbranch_execz .LBB69_145
; %bb.144:
	s_clause 0x3
	buffer_load_dword v144, off, s[16:19], 0 offset:216
	buffer_load_dword v145, off, s[16:19], 0 offset:220
	;; [unrolled: 1-line block ×4, first 2 shown]
	s_waitcnt vmcnt(0)
	v_mul_f64 v[142:143], v[146:147], v[80:81]
	v_mul_f64 v[80:81], v[144:145], v[80:81]
	v_fma_f64 v[142:143], v[144:145], v[78:79], -v[142:143]
	v_fma_f64 v[80:81], v[146:147], v[78:79], v[80:81]
	ds_read2_b64 v[144:147], v172 offset0:32 offset1:33
	s_waitcnt lgkmcnt(0)
	v_mul_f64 v[78:79], v[146:147], v[80:81]
	v_fma_f64 v[78:79], v[144:145], v[142:143], -v[78:79]
	v_mul_f64 v[144:145], v[144:145], v[80:81]
	v_add_f64 v[74:75], v[74:75], -v[78:79]
	v_fma_f64 v[144:145], v[146:147], v[142:143], v[144:145]
	v_add_f64 v[76:77], v[76:77], -v[144:145]
	ds_read2_b64 v[144:147], v172 offset0:34 offset1:35
	s_waitcnt lgkmcnt(0)
	v_mul_f64 v[78:79], v[146:147], v[80:81]
	v_fma_f64 v[78:79], v[144:145], v[142:143], -v[78:79]
	v_mul_f64 v[144:145], v[144:145], v[80:81]
	v_add_f64 v[70:71], v[70:71], -v[78:79]
	v_fma_f64 v[144:145], v[146:147], v[142:143], v[144:145]
	v_add_f64 v[72:73], v[72:73], -v[144:145]
	;; [unrolled: 8-line block ×18, first 2 shown]
	ds_read2_b64 v[144:147], v172 offset0:68 offset1:69
	s_waitcnt lgkmcnt(0)
	v_mul_f64 v[78:79], v[146:147], v[80:81]
	v_fma_f64 v[78:79], v[144:145], v[142:143], -v[78:79]
	v_mul_f64 v[144:145], v[144:145], v[80:81]
	v_add_f64 v[2:3], v[2:3], -v[78:79]
	v_fma_f64 v[144:145], v[146:147], v[142:143], v[144:145]
	v_mov_b32_e32 v78, v142
	v_mov_b32_e32 v79, v143
	v_add_f64 v[4:5], v[4:5], -v[144:145]
.LBB69_145:
	s_or_b32 exec_lo, exec_lo, s1
	s_mov_b32 s2, exec_lo
	s_waitcnt_vscnt null, 0x0
	s_barrier
	buffer_gl0_inv
	v_cmpx_eq_u32_e32 16, v0
	s_cbranch_execz .LBB69_152
; %bb.146:
	ds_write2_b64 v1, v[74:75], v[76:77] offset1:1
	ds_write2_b64 v172, v[70:71], v[72:73] offset0:34 offset1:35
	ds_write2_b64 v172, v[66:67], v[68:69] offset0:36 offset1:37
	;; [unrolled: 1-line block ×18, first 2 shown]
	ds_read2_b64 v[142:145], v1 offset1:1
	s_waitcnt lgkmcnt(0)
	v_cmp_neq_f64_e32 vcc_lo, 0, v[142:143]
	v_cmp_neq_f64_e64 s1, 0, v[144:145]
	s_or_b32 s1, vcc_lo, s1
	s_and_b32 exec_lo, exec_lo, s1
	s_cbranch_execz .LBB69_152
; %bb.147:
	v_cmp_ngt_f64_e64 s1, |v[142:143]|, |v[144:145]|
                                        ; implicit-def: $vgpr146_vgpr147
	s_and_saveexec_b32 s3, s1
	s_xor_b32 s1, exec_lo, s3
                                        ; implicit-def: $vgpr148_vgpr149
	s_cbranch_execz .LBB69_149
; %bb.148:
	v_div_scale_f64 v[146:147], null, v[144:145], v[144:145], v[142:143]
	v_div_scale_f64 v[152:153], vcc_lo, v[142:143], v[144:145], v[142:143]
	v_rcp_f64_e32 v[148:149], v[146:147]
	v_fma_f64 v[150:151], -v[146:147], v[148:149], 1.0
	v_fma_f64 v[148:149], v[148:149], v[150:151], v[148:149]
	v_fma_f64 v[150:151], -v[146:147], v[148:149], 1.0
	v_fma_f64 v[148:149], v[148:149], v[150:151], v[148:149]
	v_mul_f64 v[150:151], v[152:153], v[148:149]
	v_fma_f64 v[146:147], -v[146:147], v[150:151], v[152:153]
	v_div_fmas_f64 v[146:147], v[146:147], v[148:149], v[150:151]
	v_div_fixup_f64 v[146:147], v[146:147], v[144:145], v[142:143]
	v_fma_f64 v[142:143], v[142:143], v[146:147], v[144:145]
	v_div_scale_f64 v[144:145], null, v[142:143], v[142:143], 1.0
	v_rcp_f64_e32 v[148:149], v[144:145]
	v_fma_f64 v[150:151], -v[144:145], v[148:149], 1.0
	v_fma_f64 v[148:149], v[148:149], v[150:151], v[148:149]
	v_fma_f64 v[150:151], -v[144:145], v[148:149], 1.0
	v_fma_f64 v[148:149], v[148:149], v[150:151], v[148:149]
	v_div_scale_f64 v[150:151], vcc_lo, 1.0, v[142:143], 1.0
	v_mul_f64 v[152:153], v[150:151], v[148:149]
	v_fma_f64 v[144:145], -v[144:145], v[152:153], v[150:151]
	v_div_fmas_f64 v[144:145], v[144:145], v[148:149], v[152:153]
	v_div_fixup_f64 v[148:149], v[144:145], v[142:143], 1.0
                                        ; implicit-def: $vgpr142_vgpr143
	v_mul_f64 v[146:147], v[146:147], v[148:149]
	v_xor_b32_e32 v149, 0x80000000, v149
.LBB69_149:
	s_andn2_saveexec_b32 s1, s1
	s_cbranch_execz .LBB69_151
; %bb.150:
	v_div_scale_f64 v[146:147], null, v[142:143], v[142:143], v[144:145]
	v_div_scale_f64 v[152:153], vcc_lo, v[144:145], v[142:143], v[144:145]
	v_rcp_f64_e32 v[148:149], v[146:147]
	v_fma_f64 v[150:151], -v[146:147], v[148:149], 1.0
	v_fma_f64 v[148:149], v[148:149], v[150:151], v[148:149]
	v_fma_f64 v[150:151], -v[146:147], v[148:149], 1.0
	v_fma_f64 v[148:149], v[148:149], v[150:151], v[148:149]
	v_mul_f64 v[150:151], v[152:153], v[148:149]
	v_fma_f64 v[146:147], -v[146:147], v[150:151], v[152:153]
	v_div_fmas_f64 v[146:147], v[146:147], v[148:149], v[150:151]
	v_div_fixup_f64 v[148:149], v[146:147], v[142:143], v[144:145]
	v_fma_f64 v[142:143], v[144:145], v[148:149], v[142:143]
	v_div_scale_f64 v[144:145], null, v[142:143], v[142:143], 1.0
	v_rcp_f64_e32 v[146:147], v[144:145]
	v_fma_f64 v[150:151], -v[144:145], v[146:147], 1.0
	v_fma_f64 v[146:147], v[146:147], v[150:151], v[146:147]
	v_fma_f64 v[150:151], -v[144:145], v[146:147], 1.0
	v_fma_f64 v[146:147], v[146:147], v[150:151], v[146:147]
	v_div_scale_f64 v[150:151], vcc_lo, 1.0, v[142:143], 1.0
	v_mul_f64 v[152:153], v[150:151], v[146:147]
	v_fma_f64 v[144:145], -v[144:145], v[152:153], v[150:151]
	v_div_fmas_f64 v[144:145], v[144:145], v[146:147], v[152:153]
	v_div_fixup_f64 v[146:147], v[144:145], v[142:143], 1.0
	v_mul_f64 v[148:149], v[148:149], -v[146:147]
.LBB69_151:
	s_or_b32 exec_lo, exec_lo, s1
	ds_write2_b64 v1, v[146:147], v[148:149] offset1:1
.LBB69_152:
	s_or_b32 exec_lo, exec_lo, s2
	s_waitcnt lgkmcnt(0)
	s_barrier
	buffer_gl0_inv
	ds_read2_b64 v[142:145], v1 offset1:1
	s_mov_b32 s1, exec_lo
	s_waitcnt lgkmcnt(0)
	buffer_store_dword v142, off, s[16:19], 0 offset:232 ; 4-byte Folded Spill
	buffer_store_dword v143, off, s[16:19], 0 offset:236 ; 4-byte Folded Spill
	;; [unrolled: 1-line block ×4, first 2 shown]
	v_cmpx_lt_u32_e32 16, v0
	s_cbranch_execz .LBB69_154
; %bb.153:
	s_clause 0x3
	buffer_load_dword v144, off, s[16:19], 0 offset:232
	buffer_load_dword v145, off, s[16:19], 0 offset:236
	;; [unrolled: 1-line block ×4, first 2 shown]
	s_waitcnt vmcnt(0)
	v_mul_f64 v[142:143], v[146:147], v[76:77]
	v_mul_f64 v[76:77], v[144:145], v[76:77]
	v_fma_f64 v[142:143], v[144:145], v[74:75], -v[142:143]
	v_fma_f64 v[76:77], v[146:147], v[74:75], v[76:77]
	ds_read2_b64 v[144:147], v172 offset0:34 offset1:35
	s_waitcnt lgkmcnt(0)
	v_mul_f64 v[74:75], v[146:147], v[76:77]
	v_fma_f64 v[74:75], v[144:145], v[142:143], -v[74:75]
	v_mul_f64 v[144:145], v[144:145], v[76:77]
	v_add_f64 v[70:71], v[70:71], -v[74:75]
	v_fma_f64 v[144:145], v[146:147], v[142:143], v[144:145]
	v_add_f64 v[72:73], v[72:73], -v[144:145]
	ds_read2_b64 v[144:147], v172 offset0:36 offset1:37
	s_waitcnt lgkmcnt(0)
	v_mul_f64 v[74:75], v[146:147], v[76:77]
	v_fma_f64 v[74:75], v[144:145], v[142:143], -v[74:75]
	v_mul_f64 v[144:145], v[144:145], v[76:77]
	v_add_f64 v[66:67], v[66:67], -v[74:75]
	v_fma_f64 v[144:145], v[146:147], v[142:143], v[144:145]
	v_add_f64 v[68:69], v[68:69], -v[144:145]
	;; [unrolled: 8-line block ×17, first 2 shown]
	ds_read2_b64 v[144:147], v172 offset0:68 offset1:69
	s_waitcnt lgkmcnt(0)
	v_mul_f64 v[74:75], v[146:147], v[76:77]
	v_fma_f64 v[74:75], v[144:145], v[142:143], -v[74:75]
	v_mul_f64 v[144:145], v[144:145], v[76:77]
	v_add_f64 v[2:3], v[2:3], -v[74:75]
	v_fma_f64 v[144:145], v[146:147], v[142:143], v[144:145]
	v_mov_b32_e32 v74, v142
	v_mov_b32_e32 v75, v143
	v_add_f64 v[4:5], v[4:5], -v[144:145]
.LBB69_154:
	s_or_b32 exec_lo, exec_lo, s1
	s_mov_b32 s2, exec_lo
	s_waitcnt_vscnt null, 0x0
	s_barrier
	buffer_gl0_inv
	v_cmpx_eq_u32_e32 17, v0
	s_cbranch_execz .LBB69_161
; %bb.155:
	ds_write2_b64 v1, v[70:71], v[72:73] offset1:1
	ds_write2_b64 v172, v[66:67], v[68:69] offset0:36 offset1:37
	ds_write2_b64 v172, v[62:63], v[64:65] offset0:38 offset1:39
	;; [unrolled: 1-line block ×17, first 2 shown]
	ds_read2_b64 v[142:145], v1 offset1:1
	s_waitcnt lgkmcnt(0)
	v_cmp_neq_f64_e32 vcc_lo, 0, v[142:143]
	v_cmp_neq_f64_e64 s1, 0, v[144:145]
	s_or_b32 s1, vcc_lo, s1
	s_and_b32 exec_lo, exec_lo, s1
	s_cbranch_execz .LBB69_161
; %bb.156:
	v_cmp_ngt_f64_e64 s1, |v[142:143]|, |v[144:145]|
                                        ; implicit-def: $vgpr146_vgpr147
	s_and_saveexec_b32 s3, s1
	s_xor_b32 s1, exec_lo, s3
                                        ; implicit-def: $vgpr148_vgpr149
	s_cbranch_execz .LBB69_158
; %bb.157:
	v_div_scale_f64 v[146:147], null, v[144:145], v[144:145], v[142:143]
	v_div_scale_f64 v[152:153], vcc_lo, v[142:143], v[144:145], v[142:143]
	v_rcp_f64_e32 v[148:149], v[146:147]
	v_fma_f64 v[150:151], -v[146:147], v[148:149], 1.0
	v_fma_f64 v[148:149], v[148:149], v[150:151], v[148:149]
	v_fma_f64 v[150:151], -v[146:147], v[148:149], 1.0
	v_fma_f64 v[148:149], v[148:149], v[150:151], v[148:149]
	v_mul_f64 v[150:151], v[152:153], v[148:149]
	v_fma_f64 v[146:147], -v[146:147], v[150:151], v[152:153]
	v_div_fmas_f64 v[146:147], v[146:147], v[148:149], v[150:151]
	v_div_fixup_f64 v[146:147], v[146:147], v[144:145], v[142:143]
	v_fma_f64 v[142:143], v[142:143], v[146:147], v[144:145]
	v_div_scale_f64 v[144:145], null, v[142:143], v[142:143], 1.0
	v_rcp_f64_e32 v[148:149], v[144:145]
	v_fma_f64 v[150:151], -v[144:145], v[148:149], 1.0
	v_fma_f64 v[148:149], v[148:149], v[150:151], v[148:149]
	v_fma_f64 v[150:151], -v[144:145], v[148:149], 1.0
	v_fma_f64 v[148:149], v[148:149], v[150:151], v[148:149]
	v_div_scale_f64 v[150:151], vcc_lo, 1.0, v[142:143], 1.0
	v_mul_f64 v[152:153], v[150:151], v[148:149]
	v_fma_f64 v[144:145], -v[144:145], v[152:153], v[150:151]
	v_div_fmas_f64 v[144:145], v[144:145], v[148:149], v[152:153]
	v_div_fixup_f64 v[148:149], v[144:145], v[142:143], 1.0
                                        ; implicit-def: $vgpr142_vgpr143
	v_mul_f64 v[146:147], v[146:147], v[148:149]
	v_xor_b32_e32 v149, 0x80000000, v149
.LBB69_158:
	s_andn2_saveexec_b32 s1, s1
	s_cbranch_execz .LBB69_160
; %bb.159:
	v_div_scale_f64 v[146:147], null, v[142:143], v[142:143], v[144:145]
	v_div_scale_f64 v[152:153], vcc_lo, v[144:145], v[142:143], v[144:145]
	v_rcp_f64_e32 v[148:149], v[146:147]
	v_fma_f64 v[150:151], -v[146:147], v[148:149], 1.0
	v_fma_f64 v[148:149], v[148:149], v[150:151], v[148:149]
	v_fma_f64 v[150:151], -v[146:147], v[148:149], 1.0
	v_fma_f64 v[148:149], v[148:149], v[150:151], v[148:149]
	v_mul_f64 v[150:151], v[152:153], v[148:149]
	v_fma_f64 v[146:147], -v[146:147], v[150:151], v[152:153]
	v_div_fmas_f64 v[146:147], v[146:147], v[148:149], v[150:151]
	v_div_fixup_f64 v[148:149], v[146:147], v[142:143], v[144:145]
	v_fma_f64 v[142:143], v[144:145], v[148:149], v[142:143]
	v_div_scale_f64 v[144:145], null, v[142:143], v[142:143], 1.0
	v_rcp_f64_e32 v[146:147], v[144:145]
	v_fma_f64 v[150:151], -v[144:145], v[146:147], 1.0
	v_fma_f64 v[146:147], v[146:147], v[150:151], v[146:147]
	v_fma_f64 v[150:151], -v[144:145], v[146:147], 1.0
	v_fma_f64 v[146:147], v[146:147], v[150:151], v[146:147]
	v_div_scale_f64 v[150:151], vcc_lo, 1.0, v[142:143], 1.0
	v_mul_f64 v[152:153], v[150:151], v[146:147]
	v_fma_f64 v[144:145], -v[144:145], v[152:153], v[150:151]
	v_div_fmas_f64 v[144:145], v[144:145], v[146:147], v[152:153]
	v_div_fixup_f64 v[146:147], v[144:145], v[142:143], 1.0
	v_mul_f64 v[148:149], v[148:149], -v[146:147]
.LBB69_160:
	s_or_b32 exec_lo, exec_lo, s1
	ds_write2_b64 v1, v[146:147], v[148:149] offset1:1
.LBB69_161:
	s_or_b32 exec_lo, exec_lo, s2
	s_waitcnt lgkmcnt(0)
	s_barrier
	buffer_gl0_inv
	ds_read2_b64 v[142:145], v1 offset1:1
	s_mov_b32 s1, exec_lo
	s_waitcnt lgkmcnt(0)
	buffer_store_dword v142, off, s[16:19], 0 offset:248 ; 4-byte Folded Spill
	buffer_store_dword v143, off, s[16:19], 0 offset:252 ; 4-byte Folded Spill
	;; [unrolled: 1-line block ×4, first 2 shown]
	v_cmpx_lt_u32_e32 17, v0
	s_cbranch_execz .LBB69_163
; %bb.162:
	s_clause 0x3
	buffer_load_dword v144, off, s[16:19], 0 offset:248
	buffer_load_dword v145, off, s[16:19], 0 offset:252
	;; [unrolled: 1-line block ×4, first 2 shown]
	s_waitcnt vmcnt(0)
	v_mul_f64 v[142:143], v[146:147], v[72:73]
	v_mul_f64 v[72:73], v[144:145], v[72:73]
	v_fma_f64 v[142:143], v[144:145], v[70:71], -v[142:143]
	v_fma_f64 v[72:73], v[146:147], v[70:71], v[72:73]
	ds_read2_b64 v[144:147], v172 offset0:36 offset1:37
	s_waitcnt lgkmcnt(0)
	v_mul_f64 v[70:71], v[146:147], v[72:73]
	v_fma_f64 v[70:71], v[144:145], v[142:143], -v[70:71]
	v_mul_f64 v[144:145], v[144:145], v[72:73]
	v_add_f64 v[66:67], v[66:67], -v[70:71]
	v_fma_f64 v[144:145], v[146:147], v[142:143], v[144:145]
	v_add_f64 v[68:69], v[68:69], -v[144:145]
	ds_read2_b64 v[144:147], v172 offset0:38 offset1:39
	s_waitcnt lgkmcnt(0)
	v_mul_f64 v[70:71], v[146:147], v[72:73]
	v_fma_f64 v[70:71], v[144:145], v[142:143], -v[70:71]
	v_mul_f64 v[144:145], v[144:145], v[72:73]
	v_add_f64 v[62:63], v[62:63], -v[70:71]
	v_fma_f64 v[144:145], v[146:147], v[142:143], v[144:145]
	v_add_f64 v[64:65], v[64:65], -v[144:145]
	;; [unrolled: 8-line block ×16, first 2 shown]
	ds_read2_b64 v[144:147], v172 offset0:68 offset1:69
	s_waitcnt lgkmcnt(0)
	v_mul_f64 v[70:71], v[146:147], v[72:73]
	v_fma_f64 v[70:71], v[144:145], v[142:143], -v[70:71]
	v_mul_f64 v[144:145], v[144:145], v[72:73]
	v_add_f64 v[2:3], v[2:3], -v[70:71]
	v_fma_f64 v[144:145], v[146:147], v[142:143], v[144:145]
	v_mov_b32_e32 v70, v142
	v_mov_b32_e32 v71, v143
	v_add_f64 v[4:5], v[4:5], -v[144:145]
.LBB69_163:
	s_or_b32 exec_lo, exec_lo, s1
	s_mov_b32 s2, exec_lo
	s_waitcnt_vscnt null, 0x0
	s_barrier
	buffer_gl0_inv
	v_cmpx_eq_u32_e32 18, v0
	s_cbranch_execz .LBB69_170
; %bb.164:
	ds_write2_b64 v1, v[66:67], v[68:69] offset1:1
	ds_write2_b64 v172, v[62:63], v[64:65] offset0:38 offset1:39
	ds_write2_b64 v172, v[58:59], v[60:61] offset0:40 offset1:41
	;; [unrolled: 1-line block ×16, first 2 shown]
	ds_read2_b64 v[142:145], v1 offset1:1
	s_waitcnt lgkmcnt(0)
	v_cmp_neq_f64_e32 vcc_lo, 0, v[142:143]
	v_cmp_neq_f64_e64 s1, 0, v[144:145]
	s_or_b32 s1, vcc_lo, s1
	s_and_b32 exec_lo, exec_lo, s1
	s_cbranch_execz .LBB69_170
; %bb.165:
	v_cmp_ngt_f64_e64 s1, |v[142:143]|, |v[144:145]|
                                        ; implicit-def: $vgpr146_vgpr147
	s_and_saveexec_b32 s3, s1
	s_xor_b32 s1, exec_lo, s3
                                        ; implicit-def: $vgpr148_vgpr149
	s_cbranch_execz .LBB69_167
; %bb.166:
	v_div_scale_f64 v[146:147], null, v[144:145], v[144:145], v[142:143]
	v_div_scale_f64 v[152:153], vcc_lo, v[142:143], v[144:145], v[142:143]
	v_rcp_f64_e32 v[148:149], v[146:147]
	v_fma_f64 v[150:151], -v[146:147], v[148:149], 1.0
	v_fma_f64 v[148:149], v[148:149], v[150:151], v[148:149]
	v_fma_f64 v[150:151], -v[146:147], v[148:149], 1.0
	v_fma_f64 v[148:149], v[148:149], v[150:151], v[148:149]
	v_mul_f64 v[150:151], v[152:153], v[148:149]
	v_fma_f64 v[146:147], -v[146:147], v[150:151], v[152:153]
	v_div_fmas_f64 v[146:147], v[146:147], v[148:149], v[150:151]
	v_div_fixup_f64 v[146:147], v[146:147], v[144:145], v[142:143]
	v_fma_f64 v[142:143], v[142:143], v[146:147], v[144:145]
	v_div_scale_f64 v[144:145], null, v[142:143], v[142:143], 1.0
	v_rcp_f64_e32 v[148:149], v[144:145]
	v_fma_f64 v[150:151], -v[144:145], v[148:149], 1.0
	v_fma_f64 v[148:149], v[148:149], v[150:151], v[148:149]
	v_fma_f64 v[150:151], -v[144:145], v[148:149], 1.0
	v_fma_f64 v[148:149], v[148:149], v[150:151], v[148:149]
	v_div_scale_f64 v[150:151], vcc_lo, 1.0, v[142:143], 1.0
	v_mul_f64 v[152:153], v[150:151], v[148:149]
	v_fma_f64 v[144:145], -v[144:145], v[152:153], v[150:151]
	v_div_fmas_f64 v[144:145], v[144:145], v[148:149], v[152:153]
	v_div_fixup_f64 v[148:149], v[144:145], v[142:143], 1.0
                                        ; implicit-def: $vgpr142_vgpr143
	v_mul_f64 v[146:147], v[146:147], v[148:149]
	v_xor_b32_e32 v149, 0x80000000, v149
.LBB69_167:
	s_andn2_saveexec_b32 s1, s1
	s_cbranch_execz .LBB69_169
; %bb.168:
	v_div_scale_f64 v[146:147], null, v[142:143], v[142:143], v[144:145]
	v_div_scale_f64 v[152:153], vcc_lo, v[144:145], v[142:143], v[144:145]
	v_rcp_f64_e32 v[148:149], v[146:147]
	v_fma_f64 v[150:151], -v[146:147], v[148:149], 1.0
	v_fma_f64 v[148:149], v[148:149], v[150:151], v[148:149]
	v_fma_f64 v[150:151], -v[146:147], v[148:149], 1.0
	v_fma_f64 v[148:149], v[148:149], v[150:151], v[148:149]
	v_mul_f64 v[150:151], v[152:153], v[148:149]
	v_fma_f64 v[146:147], -v[146:147], v[150:151], v[152:153]
	v_div_fmas_f64 v[146:147], v[146:147], v[148:149], v[150:151]
	v_div_fixup_f64 v[148:149], v[146:147], v[142:143], v[144:145]
	v_fma_f64 v[142:143], v[144:145], v[148:149], v[142:143]
	v_div_scale_f64 v[144:145], null, v[142:143], v[142:143], 1.0
	v_rcp_f64_e32 v[146:147], v[144:145]
	v_fma_f64 v[150:151], -v[144:145], v[146:147], 1.0
	v_fma_f64 v[146:147], v[146:147], v[150:151], v[146:147]
	v_fma_f64 v[150:151], -v[144:145], v[146:147], 1.0
	v_fma_f64 v[146:147], v[146:147], v[150:151], v[146:147]
	v_div_scale_f64 v[150:151], vcc_lo, 1.0, v[142:143], 1.0
	v_mul_f64 v[152:153], v[150:151], v[146:147]
	v_fma_f64 v[144:145], -v[144:145], v[152:153], v[150:151]
	v_div_fmas_f64 v[144:145], v[144:145], v[146:147], v[152:153]
	v_div_fixup_f64 v[146:147], v[144:145], v[142:143], 1.0
	v_mul_f64 v[148:149], v[148:149], -v[146:147]
.LBB69_169:
	s_or_b32 exec_lo, exec_lo, s1
	ds_write2_b64 v1, v[146:147], v[148:149] offset1:1
.LBB69_170:
	s_or_b32 exec_lo, exec_lo, s2
	s_waitcnt lgkmcnt(0)
	s_barrier
	buffer_gl0_inv
	ds_read2_b64 v[142:145], v1 offset1:1
	s_mov_b32 s1, exec_lo
	s_waitcnt lgkmcnt(0)
	buffer_store_dword v142, off, s[16:19], 0 offset:264 ; 4-byte Folded Spill
	buffer_store_dword v143, off, s[16:19], 0 offset:268 ; 4-byte Folded Spill
	;; [unrolled: 1-line block ×4, first 2 shown]
	v_cmpx_lt_u32_e32 18, v0
	s_cbranch_execz .LBB69_172
; %bb.171:
	s_clause 0x3
	buffer_load_dword v144, off, s[16:19], 0 offset:264
	buffer_load_dword v145, off, s[16:19], 0 offset:268
	;; [unrolled: 1-line block ×4, first 2 shown]
	s_waitcnt vmcnt(2)
	v_mul_f64 v[142:143], v[144:145], v[68:69]
	s_waitcnt vmcnt(0)
	v_mul_f64 v[68:69], v[146:147], v[68:69]
	v_fma_f64 v[142:143], v[146:147], v[66:67], v[142:143]
	v_fma_f64 v[66:67], v[144:145], v[66:67], -v[68:69]
	ds_read2_b64 v[144:147], v172 offset0:38 offset1:39
	s_waitcnt lgkmcnt(0)
	v_mul_f64 v[68:69], v[146:147], v[142:143]
	v_fma_f64 v[68:69], v[144:145], v[66:67], -v[68:69]
	v_mul_f64 v[144:145], v[144:145], v[142:143]
	v_add_f64 v[62:63], v[62:63], -v[68:69]
	v_fma_f64 v[144:145], v[146:147], v[66:67], v[144:145]
	v_add_f64 v[64:65], v[64:65], -v[144:145]
	ds_read2_b64 v[144:147], v172 offset0:40 offset1:41
	s_waitcnt lgkmcnt(0)
	v_mul_f64 v[68:69], v[146:147], v[142:143]
	v_fma_f64 v[68:69], v[144:145], v[66:67], -v[68:69]
	v_mul_f64 v[144:145], v[144:145], v[142:143]
	v_add_f64 v[58:59], v[58:59], -v[68:69]
	v_fma_f64 v[144:145], v[146:147], v[66:67], v[144:145]
	v_add_f64 v[60:61], v[60:61], -v[144:145]
	;; [unrolled: 8-line block ×15, first 2 shown]
	ds_read2_b64 v[144:147], v172 offset0:68 offset1:69
	s_waitcnt lgkmcnt(0)
	v_mul_f64 v[68:69], v[146:147], v[142:143]
	v_fma_f64 v[68:69], v[144:145], v[66:67], -v[68:69]
	v_mul_f64 v[144:145], v[144:145], v[142:143]
	v_add_f64 v[2:3], v[2:3], -v[68:69]
	v_fma_f64 v[144:145], v[146:147], v[66:67], v[144:145]
	v_mov_b32_e32 v68, v142
	v_mov_b32_e32 v69, v143
	v_add_f64 v[4:5], v[4:5], -v[144:145]
.LBB69_172:
	s_or_b32 exec_lo, exec_lo, s1
	s_mov_b32 s2, exec_lo
	s_waitcnt_vscnt null, 0x0
	s_barrier
	buffer_gl0_inv
	v_cmpx_eq_u32_e32 19, v0
	s_cbranch_execz .LBB69_179
; %bb.173:
	ds_write2_b64 v1, v[62:63], v[64:65] offset1:1
	ds_write2_b64 v172, v[58:59], v[60:61] offset0:40 offset1:41
	ds_write2_b64 v172, v[54:55], v[56:57] offset0:42 offset1:43
	;; [unrolled: 1-line block ×15, first 2 shown]
	ds_read2_b64 v[142:145], v1 offset1:1
	s_waitcnt lgkmcnt(0)
	v_cmp_neq_f64_e32 vcc_lo, 0, v[142:143]
	v_cmp_neq_f64_e64 s1, 0, v[144:145]
	s_or_b32 s1, vcc_lo, s1
	s_and_b32 exec_lo, exec_lo, s1
	s_cbranch_execz .LBB69_179
; %bb.174:
	v_cmp_ngt_f64_e64 s1, |v[142:143]|, |v[144:145]|
                                        ; implicit-def: $vgpr146_vgpr147
	s_and_saveexec_b32 s3, s1
	s_xor_b32 s1, exec_lo, s3
                                        ; implicit-def: $vgpr148_vgpr149
	s_cbranch_execz .LBB69_176
; %bb.175:
	v_div_scale_f64 v[146:147], null, v[144:145], v[144:145], v[142:143]
	v_div_scale_f64 v[152:153], vcc_lo, v[142:143], v[144:145], v[142:143]
	v_rcp_f64_e32 v[148:149], v[146:147]
	v_fma_f64 v[150:151], -v[146:147], v[148:149], 1.0
	v_fma_f64 v[148:149], v[148:149], v[150:151], v[148:149]
	v_fma_f64 v[150:151], -v[146:147], v[148:149], 1.0
	v_fma_f64 v[148:149], v[148:149], v[150:151], v[148:149]
	v_mul_f64 v[150:151], v[152:153], v[148:149]
	v_fma_f64 v[146:147], -v[146:147], v[150:151], v[152:153]
	v_div_fmas_f64 v[146:147], v[146:147], v[148:149], v[150:151]
	v_div_fixup_f64 v[146:147], v[146:147], v[144:145], v[142:143]
	v_fma_f64 v[142:143], v[142:143], v[146:147], v[144:145]
	v_div_scale_f64 v[144:145], null, v[142:143], v[142:143], 1.0
	v_rcp_f64_e32 v[148:149], v[144:145]
	v_fma_f64 v[150:151], -v[144:145], v[148:149], 1.0
	v_fma_f64 v[148:149], v[148:149], v[150:151], v[148:149]
	v_fma_f64 v[150:151], -v[144:145], v[148:149], 1.0
	v_fma_f64 v[148:149], v[148:149], v[150:151], v[148:149]
	v_div_scale_f64 v[150:151], vcc_lo, 1.0, v[142:143], 1.0
	v_mul_f64 v[152:153], v[150:151], v[148:149]
	v_fma_f64 v[144:145], -v[144:145], v[152:153], v[150:151]
	v_div_fmas_f64 v[144:145], v[144:145], v[148:149], v[152:153]
	v_div_fixup_f64 v[148:149], v[144:145], v[142:143], 1.0
                                        ; implicit-def: $vgpr142_vgpr143
	v_mul_f64 v[146:147], v[146:147], v[148:149]
	v_xor_b32_e32 v149, 0x80000000, v149
.LBB69_176:
	s_andn2_saveexec_b32 s1, s1
	s_cbranch_execz .LBB69_178
; %bb.177:
	v_div_scale_f64 v[146:147], null, v[142:143], v[142:143], v[144:145]
	v_div_scale_f64 v[152:153], vcc_lo, v[144:145], v[142:143], v[144:145]
	v_rcp_f64_e32 v[148:149], v[146:147]
	v_fma_f64 v[150:151], -v[146:147], v[148:149], 1.0
	v_fma_f64 v[148:149], v[148:149], v[150:151], v[148:149]
	v_fma_f64 v[150:151], -v[146:147], v[148:149], 1.0
	v_fma_f64 v[148:149], v[148:149], v[150:151], v[148:149]
	v_mul_f64 v[150:151], v[152:153], v[148:149]
	v_fma_f64 v[146:147], -v[146:147], v[150:151], v[152:153]
	v_div_fmas_f64 v[146:147], v[146:147], v[148:149], v[150:151]
	v_div_fixup_f64 v[148:149], v[146:147], v[142:143], v[144:145]
	v_fma_f64 v[142:143], v[144:145], v[148:149], v[142:143]
	v_div_scale_f64 v[144:145], null, v[142:143], v[142:143], 1.0
	v_rcp_f64_e32 v[146:147], v[144:145]
	v_fma_f64 v[150:151], -v[144:145], v[146:147], 1.0
	v_fma_f64 v[146:147], v[146:147], v[150:151], v[146:147]
	v_fma_f64 v[150:151], -v[144:145], v[146:147], 1.0
	v_fma_f64 v[146:147], v[146:147], v[150:151], v[146:147]
	v_div_scale_f64 v[150:151], vcc_lo, 1.0, v[142:143], 1.0
	v_mul_f64 v[152:153], v[150:151], v[146:147]
	v_fma_f64 v[144:145], -v[144:145], v[152:153], v[150:151]
	v_div_fmas_f64 v[144:145], v[144:145], v[146:147], v[152:153]
	v_div_fixup_f64 v[146:147], v[144:145], v[142:143], 1.0
	v_mul_f64 v[148:149], v[148:149], -v[146:147]
.LBB69_178:
	s_or_b32 exec_lo, exec_lo, s1
	ds_write2_b64 v1, v[146:147], v[148:149] offset1:1
.LBB69_179:
	s_or_b32 exec_lo, exec_lo, s2
	s_waitcnt lgkmcnt(0)
	s_barrier
	buffer_gl0_inv
	ds_read2_b64 v[142:145], v1 offset1:1
	s_mov_b32 s1, exec_lo
	s_waitcnt lgkmcnt(0)
	buffer_store_dword v142, off, s[16:19], 0 offset:280 ; 4-byte Folded Spill
	buffer_store_dword v143, off, s[16:19], 0 offset:284 ; 4-byte Folded Spill
	;; [unrolled: 1-line block ×4, first 2 shown]
	v_cmpx_lt_u32_e32 19, v0
	s_cbranch_execz .LBB69_181
; %bb.180:
	s_clause 0x3
	buffer_load_dword v144, off, s[16:19], 0 offset:280
	buffer_load_dword v145, off, s[16:19], 0 offset:284
	;; [unrolled: 1-line block ×4, first 2 shown]
	s_waitcnt vmcnt(2)
	v_mul_f64 v[142:143], v[144:145], v[64:65]
	s_waitcnt vmcnt(0)
	v_mul_f64 v[64:65], v[146:147], v[64:65]
	v_fma_f64 v[142:143], v[146:147], v[62:63], v[142:143]
	v_fma_f64 v[62:63], v[144:145], v[62:63], -v[64:65]
	ds_read2_b64 v[144:147], v172 offset0:40 offset1:41
	s_waitcnt lgkmcnt(0)
	v_mul_f64 v[64:65], v[146:147], v[142:143]
	v_fma_f64 v[64:65], v[144:145], v[62:63], -v[64:65]
	v_mul_f64 v[144:145], v[144:145], v[142:143]
	v_add_f64 v[58:59], v[58:59], -v[64:65]
	v_fma_f64 v[144:145], v[146:147], v[62:63], v[144:145]
	v_add_f64 v[60:61], v[60:61], -v[144:145]
	ds_read2_b64 v[144:147], v172 offset0:42 offset1:43
	s_waitcnt lgkmcnt(0)
	v_mul_f64 v[64:65], v[146:147], v[142:143]
	v_fma_f64 v[64:65], v[144:145], v[62:63], -v[64:65]
	v_mul_f64 v[144:145], v[144:145], v[142:143]
	v_add_f64 v[54:55], v[54:55], -v[64:65]
	v_fma_f64 v[144:145], v[146:147], v[62:63], v[144:145]
	v_add_f64 v[56:57], v[56:57], -v[144:145]
	;; [unrolled: 8-line block ×14, first 2 shown]
	ds_read2_b64 v[144:147], v172 offset0:68 offset1:69
	s_waitcnt lgkmcnt(0)
	v_mul_f64 v[64:65], v[146:147], v[142:143]
	v_fma_f64 v[64:65], v[144:145], v[62:63], -v[64:65]
	v_mul_f64 v[144:145], v[144:145], v[142:143]
	v_add_f64 v[2:3], v[2:3], -v[64:65]
	v_fma_f64 v[144:145], v[146:147], v[62:63], v[144:145]
	v_mov_b32_e32 v64, v142
	v_mov_b32_e32 v65, v143
	v_add_f64 v[4:5], v[4:5], -v[144:145]
.LBB69_181:
	s_or_b32 exec_lo, exec_lo, s1
	s_mov_b32 s2, exec_lo
	s_waitcnt_vscnt null, 0x0
	s_barrier
	buffer_gl0_inv
	v_cmpx_eq_u32_e32 20, v0
	s_cbranch_execz .LBB69_188
; %bb.182:
	ds_write2_b64 v1, v[58:59], v[60:61] offset1:1
	ds_write2_b64 v172, v[54:55], v[56:57] offset0:42 offset1:43
	ds_write2_b64 v172, v[50:51], v[52:53] offset0:44 offset1:45
	;; [unrolled: 1-line block ×14, first 2 shown]
	ds_read2_b64 v[142:145], v1 offset1:1
	s_waitcnt lgkmcnt(0)
	v_cmp_neq_f64_e32 vcc_lo, 0, v[142:143]
	v_cmp_neq_f64_e64 s1, 0, v[144:145]
	s_or_b32 s1, vcc_lo, s1
	s_and_b32 exec_lo, exec_lo, s1
	s_cbranch_execz .LBB69_188
; %bb.183:
	v_cmp_ngt_f64_e64 s1, |v[142:143]|, |v[144:145]|
                                        ; implicit-def: $vgpr146_vgpr147
	s_and_saveexec_b32 s3, s1
	s_xor_b32 s1, exec_lo, s3
                                        ; implicit-def: $vgpr148_vgpr149
	s_cbranch_execz .LBB69_185
; %bb.184:
	v_div_scale_f64 v[146:147], null, v[144:145], v[144:145], v[142:143]
	v_div_scale_f64 v[152:153], vcc_lo, v[142:143], v[144:145], v[142:143]
	v_rcp_f64_e32 v[148:149], v[146:147]
	v_fma_f64 v[150:151], -v[146:147], v[148:149], 1.0
	v_fma_f64 v[148:149], v[148:149], v[150:151], v[148:149]
	v_fma_f64 v[150:151], -v[146:147], v[148:149], 1.0
	v_fma_f64 v[148:149], v[148:149], v[150:151], v[148:149]
	v_mul_f64 v[150:151], v[152:153], v[148:149]
	v_fma_f64 v[146:147], -v[146:147], v[150:151], v[152:153]
	v_div_fmas_f64 v[146:147], v[146:147], v[148:149], v[150:151]
	v_div_fixup_f64 v[146:147], v[146:147], v[144:145], v[142:143]
	v_fma_f64 v[142:143], v[142:143], v[146:147], v[144:145]
	v_div_scale_f64 v[144:145], null, v[142:143], v[142:143], 1.0
	v_rcp_f64_e32 v[148:149], v[144:145]
	v_fma_f64 v[150:151], -v[144:145], v[148:149], 1.0
	v_fma_f64 v[148:149], v[148:149], v[150:151], v[148:149]
	v_fma_f64 v[150:151], -v[144:145], v[148:149], 1.0
	v_fma_f64 v[148:149], v[148:149], v[150:151], v[148:149]
	v_div_scale_f64 v[150:151], vcc_lo, 1.0, v[142:143], 1.0
	v_mul_f64 v[152:153], v[150:151], v[148:149]
	v_fma_f64 v[144:145], -v[144:145], v[152:153], v[150:151]
	v_div_fmas_f64 v[144:145], v[144:145], v[148:149], v[152:153]
	v_div_fixup_f64 v[148:149], v[144:145], v[142:143], 1.0
                                        ; implicit-def: $vgpr142_vgpr143
	v_mul_f64 v[146:147], v[146:147], v[148:149]
	v_xor_b32_e32 v149, 0x80000000, v149
.LBB69_185:
	s_andn2_saveexec_b32 s1, s1
	s_cbranch_execz .LBB69_187
; %bb.186:
	v_div_scale_f64 v[146:147], null, v[142:143], v[142:143], v[144:145]
	v_div_scale_f64 v[152:153], vcc_lo, v[144:145], v[142:143], v[144:145]
	v_rcp_f64_e32 v[148:149], v[146:147]
	v_fma_f64 v[150:151], -v[146:147], v[148:149], 1.0
	v_fma_f64 v[148:149], v[148:149], v[150:151], v[148:149]
	v_fma_f64 v[150:151], -v[146:147], v[148:149], 1.0
	v_fma_f64 v[148:149], v[148:149], v[150:151], v[148:149]
	v_mul_f64 v[150:151], v[152:153], v[148:149]
	v_fma_f64 v[146:147], -v[146:147], v[150:151], v[152:153]
	v_div_fmas_f64 v[146:147], v[146:147], v[148:149], v[150:151]
	v_div_fixup_f64 v[148:149], v[146:147], v[142:143], v[144:145]
	v_fma_f64 v[142:143], v[144:145], v[148:149], v[142:143]
	v_div_scale_f64 v[144:145], null, v[142:143], v[142:143], 1.0
	v_rcp_f64_e32 v[146:147], v[144:145]
	v_fma_f64 v[150:151], -v[144:145], v[146:147], 1.0
	v_fma_f64 v[146:147], v[146:147], v[150:151], v[146:147]
	v_fma_f64 v[150:151], -v[144:145], v[146:147], 1.0
	v_fma_f64 v[146:147], v[146:147], v[150:151], v[146:147]
	v_div_scale_f64 v[150:151], vcc_lo, 1.0, v[142:143], 1.0
	v_mul_f64 v[152:153], v[150:151], v[146:147]
	v_fma_f64 v[144:145], -v[144:145], v[152:153], v[150:151]
	v_div_fmas_f64 v[144:145], v[144:145], v[146:147], v[152:153]
	v_div_fixup_f64 v[146:147], v[144:145], v[142:143], 1.0
	v_mul_f64 v[148:149], v[148:149], -v[146:147]
.LBB69_187:
	s_or_b32 exec_lo, exec_lo, s1
	ds_write2_b64 v1, v[146:147], v[148:149] offset1:1
.LBB69_188:
	s_or_b32 exec_lo, exec_lo, s2
	s_waitcnt lgkmcnt(0)
	s_barrier
	buffer_gl0_inv
	ds_read2_b64 v[142:145], v1 offset1:1
	s_mov_b32 s1, exec_lo
	s_waitcnt lgkmcnt(0)
	buffer_store_dword v142, off, s[16:19], 0 offset:296 ; 4-byte Folded Spill
	buffer_store_dword v143, off, s[16:19], 0 offset:300 ; 4-byte Folded Spill
	;; [unrolled: 1-line block ×4, first 2 shown]
	v_cmpx_lt_u32_e32 20, v0
	s_cbranch_execz .LBB69_190
; %bb.189:
	s_clause 0x3
	buffer_load_dword v144, off, s[16:19], 0 offset:296
	buffer_load_dword v145, off, s[16:19], 0 offset:300
	;; [unrolled: 1-line block ×4, first 2 shown]
	s_waitcnt vmcnt(2)
	v_mul_f64 v[142:143], v[144:145], v[60:61]
	s_waitcnt vmcnt(0)
	v_mul_f64 v[60:61], v[146:147], v[60:61]
	v_fma_f64 v[142:143], v[146:147], v[58:59], v[142:143]
	v_fma_f64 v[58:59], v[144:145], v[58:59], -v[60:61]
	ds_read2_b64 v[144:147], v172 offset0:42 offset1:43
	s_waitcnt lgkmcnt(0)
	v_mul_f64 v[60:61], v[146:147], v[142:143]
	v_fma_f64 v[60:61], v[144:145], v[58:59], -v[60:61]
	v_mul_f64 v[144:145], v[144:145], v[142:143]
	v_add_f64 v[54:55], v[54:55], -v[60:61]
	v_fma_f64 v[144:145], v[146:147], v[58:59], v[144:145]
	v_add_f64 v[56:57], v[56:57], -v[144:145]
	ds_read2_b64 v[144:147], v172 offset0:44 offset1:45
	s_waitcnt lgkmcnt(0)
	v_mul_f64 v[60:61], v[146:147], v[142:143]
	v_fma_f64 v[60:61], v[144:145], v[58:59], -v[60:61]
	v_mul_f64 v[144:145], v[144:145], v[142:143]
	v_add_f64 v[50:51], v[50:51], -v[60:61]
	v_fma_f64 v[144:145], v[146:147], v[58:59], v[144:145]
	v_add_f64 v[52:53], v[52:53], -v[144:145]
	;; [unrolled: 8-line block ×13, first 2 shown]
	ds_read2_b64 v[144:147], v172 offset0:68 offset1:69
	s_waitcnt lgkmcnt(0)
	v_mul_f64 v[60:61], v[146:147], v[142:143]
	v_fma_f64 v[60:61], v[144:145], v[58:59], -v[60:61]
	v_mul_f64 v[144:145], v[144:145], v[142:143]
	v_add_f64 v[2:3], v[2:3], -v[60:61]
	v_fma_f64 v[144:145], v[146:147], v[58:59], v[144:145]
	v_mov_b32_e32 v60, v142
	v_mov_b32_e32 v61, v143
	v_add_f64 v[4:5], v[4:5], -v[144:145]
.LBB69_190:
	s_or_b32 exec_lo, exec_lo, s1
	s_mov_b32 s2, exec_lo
	s_waitcnt_vscnt null, 0x0
	s_barrier
	buffer_gl0_inv
	v_cmpx_eq_u32_e32 21, v0
	s_cbranch_execz .LBB69_197
; %bb.191:
	ds_write2_b64 v1, v[54:55], v[56:57] offset1:1
	ds_write2_b64 v172, v[50:51], v[52:53] offset0:44 offset1:45
	ds_write2_b64 v172, v[46:47], v[48:49] offset0:46 offset1:47
	ds_write2_b64 v172, v[42:43], v[44:45] offset0:48 offset1:49
	ds_write2_b64 v172, v[38:39], v[40:41] offset0:50 offset1:51
	ds_write2_b64 v172, v[34:35], v[36:37] offset0:52 offset1:53
	ds_write2_b64 v172, v[30:31], v[32:33] offset0:54 offset1:55
	ds_write2_b64 v172, v[26:27], v[28:29] offset0:56 offset1:57
	ds_write2_b64 v172, v[22:23], v[24:25] offset0:58 offset1:59
	ds_write2_b64 v172, v[18:19], v[20:21] offset0:60 offset1:61
	ds_write2_b64 v172, v[14:15], v[16:17] offset0:62 offset1:63
	ds_write2_b64 v172, v[10:11], v[12:13] offset0:64 offset1:65
	ds_write2_b64 v172, v[6:7], v[8:9] offset0:66 offset1:67
	ds_write2_b64 v172, v[2:3], v[4:5] offset0:68 offset1:69
	ds_read2_b64 v[142:145], v1 offset1:1
	s_waitcnt lgkmcnt(0)
	v_cmp_neq_f64_e32 vcc_lo, 0, v[142:143]
	v_cmp_neq_f64_e64 s1, 0, v[144:145]
	s_or_b32 s1, vcc_lo, s1
	s_and_b32 exec_lo, exec_lo, s1
	s_cbranch_execz .LBB69_197
; %bb.192:
	v_cmp_ngt_f64_e64 s1, |v[142:143]|, |v[144:145]|
                                        ; implicit-def: $vgpr146_vgpr147
	s_and_saveexec_b32 s3, s1
	s_xor_b32 s1, exec_lo, s3
                                        ; implicit-def: $vgpr148_vgpr149
	s_cbranch_execz .LBB69_194
; %bb.193:
	v_div_scale_f64 v[146:147], null, v[144:145], v[144:145], v[142:143]
	v_div_scale_f64 v[152:153], vcc_lo, v[142:143], v[144:145], v[142:143]
	v_rcp_f64_e32 v[148:149], v[146:147]
	v_fma_f64 v[150:151], -v[146:147], v[148:149], 1.0
	v_fma_f64 v[148:149], v[148:149], v[150:151], v[148:149]
	v_fma_f64 v[150:151], -v[146:147], v[148:149], 1.0
	v_fma_f64 v[148:149], v[148:149], v[150:151], v[148:149]
	v_mul_f64 v[150:151], v[152:153], v[148:149]
	v_fma_f64 v[146:147], -v[146:147], v[150:151], v[152:153]
	v_div_fmas_f64 v[146:147], v[146:147], v[148:149], v[150:151]
	v_div_fixup_f64 v[146:147], v[146:147], v[144:145], v[142:143]
	v_fma_f64 v[142:143], v[142:143], v[146:147], v[144:145]
	v_div_scale_f64 v[144:145], null, v[142:143], v[142:143], 1.0
	v_rcp_f64_e32 v[148:149], v[144:145]
	v_fma_f64 v[150:151], -v[144:145], v[148:149], 1.0
	v_fma_f64 v[148:149], v[148:149], v[150:151], v[148:149]
	v_fma_f64 v[150:151], -v[144:145], v[148:149], 1.0
	v_fma_f64 v[148:149], v[148:149], v[150:151], v[148:149]
	v_div_scale_f64 v[150:151], vcc_lo, 1.0, v[142:143], 1.0
	v_mul_f64 v[152:153], v[150:151], v[148:149]
	v_fma_f64 v[144:145], -v[144:145], v[152:153], v[150:151]
	v_div_fmas_f64 v[144:145], v[144:145], v[148:149], v[152:153]
	v_div_fixup_f64 v[148:149], v[144:145], v[142:143], 1.0
                                        ; implicit-def: $vgpr142_vgpr143
	v_mul_f64 v[146:147], v[146:147], v[148:149]
	v_xor_b32_e32 v149, 0x80000000, v149
.LBB69_194:
	s_andn2_saveexec_b32 s1, s1
	s_cbranch_execz .LBB69_196
; %bb.195:
	v_div_scale_f64 v[146:147], null, v[142:143], v[142:143], v[144:145]
	v_div_scale_f64 v[152:153], vcc_lo, v[144:145], v[142:143], v[144:145]
	v_rcp_f64_e32 v[148:149], v[146:147]
	v_fma_f64 v[150:151], -v[146:147], v[148:149], 1.0
	v_fma_f64 v[148:149], v[148:149], v[150:151], v[148:149]
	v_fma_f64 v[150:151], -v[146:147], v[148:149], 1.0
	v_fma_f64 v[148:149], v[148:149], v[150:151], v[148:149]
	v_mul_f64 v[150:151], v[152:153], v[148:149]
	v_fma_f64 v[146:147], -v[146:147], v[150:151], v[152:153]
	v_div_fmas_f64 v[146:147], v[146:147], v[148:149], v[150:151]
	v_div_fixup_f64 v[148:149], v[146:147], v[142:143], v[144:145]
	v_fma_f64 v[142:143], v[144:145], v[148:149], v[142:143]
	v_div_scale_f64 v[144:145], null, v[142:143], v[142:143], 1.0
	v_rcp_f64_e32 v[146:147], v[144:145]
	v_fma_f64 v[150:151], -v[144:145], v[146:147], 1.0
	v_fma_f64 v[146:147], v[146:147], v[150:151], v[146:147]
	v_fma_f64 v[150:151], -v[144:145], v[146:147], 1.0
	v_fma_f64 v[146:147], v[146:147], v[150:151], v[146:147]
	v_div_scale_f64 v[150:151], vcc_lo, 1.0, v[142:143], 1.0
	v_mul_f64 v[152:153], v[150:151], v[146:147]
	v_fma_f64 v[144:145], -v[144:145], v[152:153], v[150:151]
	v_div_fmas_f64 v[144:145], v[144:145], v[146:147], v[152:153]
	v_div_fixup_f64 v[146:147], v[144:145], v[142:143], 1.0
	v_mul_f64 v[148:149], v[148:149], -v[146:147]
.LBB69_196:
	s_or_b32 exec_lo, exec_lo, s1
	ds_write2_b64 v1, v[146:147], v[148:149] offset1:1
.LBB69_197:
	s_or_b32 exec_lo, exec_lo, s2
	s_waitcnt lgkmcnt(0)
	s_barrier
	buffer_gl0_inv
	ds_read2_b64 v[142:145], v1 offset1:1
	s_mov_b32 s1, exec_lo
	s_waitcnt lgkmcnt(0)
	buffer_store_dword v142, off, s[16:19], 0 offset:312 ; 4-byte Folded Spill
	buffer_store_dword v143, off, s[16:19], 0 offset:316 ; 4-byte Folded Spill
	;; [unrolled: 1-line block ×4, first 2 shown]
	v_cmpx_lt_u32_e32 21, v0
	s_cbranch_execz .LBB69_199
; %bb.198:
	s_clause 0x3
	buffer_load_dword v144, off, s[16:19], 0 offset:312
	buffer_load_dword v145, off, s[16:19], 0 offset:316
	buffer_load_dword v146, off, s[16:19], 0 offset:320
	buffer_load_dword v147, off, s[16:19], 0 offset:324
	s_waitcnt vmcnt(2)
	v_mul_f64 v[142:143], v[144:145], v[56:57]
	s_waitcnt vmcnt(0)
	v_mul_f64 v[56:57], v[146:147], v[56:57]
	v_fma_f64 v[142:143], v[146:147], v[54:55], v[142:143]
	v_fma_f64 v[54:55], v[144:145], v[54:55], -v[56:57]
	ds_read2_b64 v[144:147], v172 offset0:44 offset1:45
	s_waitcnt lgkmcnt(0)
	v_mul_f64 v[56:57], v[146:147], v[142:143]
	v_fma_f64 v[56:57], v[144:145], v[54:55], -v[56:57]
	v_mul_f64 v[144:145], v[144:145], v[142:143]
	v_add_f64 v[50:51], v[50:51], -v[56:57]
	v_fma_f64 v[144:145], v[146:147], v[54:55], v[144:145]
	v_add_f64 v[52:53], v[52:53], -v[144:145]
	ds_read2_b64 v[144:147], v172 offset0:46 offset1:47
	s_waitcnt lgkmcnt(0)
	v_mul_f64 v[56:57], v[146:147], v[142:143]
	v_fma_f64 v[56:57], v[144:145], v[54:55], -v[56:57]
	v_mul_f64 v[144:145], v[144:145], v[142:143]
	v_add_f64 v[46:47], v[46:47], -v[56:57]
	v_fma_f64 v[144:145], v[146:147], v[54:55], v[144:145]
	v_add_f64 v[48:49], v[48:49], -v[144:145]
	ds_read2_b64 v[144:147], v172 offset0:48 offset1:49
	s_waitcnt lgkmcnt(0)
	v_mul_f64 v[56:57], v[146:147], v[142:143]
	v_fma_f64 v[56:57], v[144:145], v[54:55], -v[56:57]
	v_mul_f64 v[144:145], v[144:145], v[142:143]
	v_add_f64 v[42:43], v[42:43], -v[56:57]
	v_fma_f64 v[144:145], v[146:147], v[54:55], v[144:145]
	v_add_f64 v[44:45], v[44:45], -v[144:145]
	ds_read2_b64 v[144:147], v172 offset0:50 offset1:51
	s_waitcnt lgkmcnt(0)
	v_mul_f64 v[56:57], v[146:147], v[142:143]
	v_fma_f64 v[56:57], v[144:145], v[54:55], -v[56:57]
	v_mul_f64 v[144:145], v[144:145], v[142:143]
	v_add_f64 v[38:39], v[38:39], -v[56:57]
	v_fma_f64 v[144:145], v[146:147], v[54:55], v[144:145]
	v_add_f64 v[40:41], v[40:41], -v[144:145]
	ds_read2_b64 v[144:147], v172 offset0:52 offset1:53
	s_waitcnt lgkmcnt(0)
	v_mul_f64 v[56:57], v[146:147], v[142:143]
	v_fma_f64 v[56:57], v[144:145], v[54:55], -v[56:57]
	v_mul_f64 v[144:145], v[144:145], v[142:143]
	v_add_f64 v[34:35], v[34:35], -v[56:57]
	v_fma_f64 v[144:145], v[146:147], v[54:55], v[144:145]
	v_add_f64 v[36:37], v[36:37], -v[144:145]
	ds_read2_b64 v[144:147], v172 offset0:54 offset1:55
	s_waitcnt lgkmcnt(0)
	v_mul_f64 v[56:57], v[146:147], v[142:143]
	v_fma_f64 v[56:57], v[144:145], v[54:55], -v[56:57]
	v_mul_f64 v[144:145], v[144:145], v[142:143]
	v_add_f64 v[30:31], v[30:31], -v[56:57]
	v_fma_f64 v[144:145], v[146:147], v[54:55], v[144:145]
	v_add_f64 v[32:33], v[32:33], -v[144:145]
	ds_read2_b64 v[144:147], v172 offset0:56 offset1:57
	s_waitcnt lgkmcnt(0)
	v_mul_f64 v[56:57], v[146:147], v[142:143]
	v_fma_f64 v[56:57], v[144:145], v[54:55], -v[56:57]
	v_mul_f64 v[144:145], v[144:145], v[142:143]
	v_add_f64 v[26:27], v[26:27], -v[56:57]
	v_fma_f64 v[144:145], v[146:147], v[54:55], v[144:145]
	v_add_f64 v[28:29], v[28:29], -v[144:145]
	ds_read2_b64 v[144:147], v172 offset0:58 offset1:59
	s_waitcnt lgkmcnt(0)
	v_mul_f64 v[56:57], v[146:147], v[142:143]
	v_fma_f64 v[56:57], v[144:145], v[54:55], -v[56:57]
	v_mul_f64 v[144:145], v[144:145], v[142:143]
	v_add_f64 v[22:23], v[22:23], -v[56:57]
	v_fma_f64 v[144:145], v[146:147], v[54:55], v[144:145]
	v_add_f64 v[24:25], v[24:25], -v[144:145]
	ds_read2_b64 v[144:147], v172 offset0:60 offset1:61
	s_waitcnt lgkmcnt(0)
	v_mul_f64 v[56:57], v[146:147], v[142:143]
	v_fma_f64 v[56:57], v[144:145], v[54:55], -v[56:57]
	v_mul_f64 v[144:145], v[144:145], v[142:143]
	v_add_f64 v[18:19], v[18:19], -v[56:57]
	v_fma_f64 v[144:145], v[146:147], v[54:55], v[144:145]
	v_add_f64 v[20:21], v[20:21], -v[144:145]
	ds_read2_b64 v[144:147], v172 offset0:62 offset1:63
	s_waitcnt lgkmcnt(0)
	v_mul_f64 v[56:57], v[146:147], v[142:143]
	v_fma_f64 v[56:57], v[144:145], v[54:55], -v[56:57]
	v_mul_f64 v[144:145], v[144:145], v[142:143]
	v_add_f64 v[14:15], v[14:15], -v[56:57]
	v_fma_f64 v[144:145], v[146:147], v[54:55], v[144:145]
	v_add_f64 v[16:17], v[16:17], -v[144:145]
	ds_read2_b64 v[144:147], v172 offset0:64 offset1:65
	s_waitcnt lgkmcnt(0)
	v_mul_f64 v[56:57], v[146:147], v[142:143]
	v_fma_f64 v[56:57], v[144:145], v[54:55], -v[56:57]
	v_mul_f64 v[144:145], v[144:145], v[142:143]
	v_add_f64 v[10:11], v[10:11], -v[56:57]
	v_fma_f64 v[144:145], v[146:147], v[54:55], v[144:145]
	v_add_f64 v[12:13], v[12:13], -v[144:145]
	ds_read2_b64 v[144:147], v172 offset0:66 offset1:67
	s_waitcnt lgkmcnt(0)
	v_mul_f64 v[56:57], v[146:147], v[142:143]
	v_fma_f64 v[56:57], v[144:145], v[54:55], -v[56:57]
	v_mul_f64 v[144:145], v[144:145], v[142:143]
	v_add_f64 v[6:7], v[6:7], -v[56:57]
	v_fma_f64 v[144:145], v[146:147], v[54:55], v[144:145]
	v_add_f64 v[8:9], v[8:9], -v[144:145]
	ds_read2_b64 v[144:147], v172 offset0:68 offset1:69
	s_waitcnt lgkmcnt(0)
	v_mul_f64 v[56:57], v[146:147], v[142:143]
	v_fma_f64 v[56:57], v[144:145], v[54:55], -v[56:57]
	v_mul_f64 v[144:145], v[144:145], v[142:143]
	v_add_f64 v[2:3], v[2:3], -v[56:57]
	v_fma_f64 v[144:145], v[146:147], v[54:55], v[144:145]
	v_mov_b32_e32 v56, v142
	v_mov_b32_e32 v57, v143
	v_add_f64 v[4:5], v[4:5], -v[144:145]
.LBB69_199:
	s_or_b32 exec_lo, exec_lo, s1
	s_mov_b32 s2, exec_lo
	s_waitcnt_vscnt null, 0x0
	s_barrier
	buffer_gl0_inv
	v_cmpx_eq_u32_e32 22, v0
	s_cbranch_execz .LBB69_206
; %bb.200:
	ds_write2_b64 v1, v[50:51], v[52:53] offset1:1
	ds_write2_b64 v172, v[46:47], v[48:49] offset0:46 offset1:47
	ds_write2_b64 v172, v[42:43], v[44:45] offset0:48 offset1:49
	;; [unrolled: 1-line block ×12, first 2 shown]
	ds_read2_b64 v[142:145], v1 offset1:1
	s_waitcnt lgkmcnt(0)
	v_cmp_neq_f64_e32 vcc_lo, 0, v[142:143]
	v_cmp_neq_f64_e64 s1, 0, v[144:145]
	s_or_b32 s1, vcc_lo, s1
	s_and_b32 exec_lo, exec_lo, s1
	s_cbranch_execz .LBB69_206
; %bb.201:
	v_cmp_ngt_f64_e64 s1, |v[142:143]|, |v[144:145]|
                                        ; implicit-def: $vgpr146_vgpr147
	s_and_saveexec_b32 s3, s1
	s_xor_b32 s1, exec_lo, s3
                                        ; implicit-def: $vgpr148_vgpr149
	s_cbranch_execz .LBB69_203
; %bb.202:
	v_div_scale_f64 v[146:147], null, v[144:145], v[144:145], v[142:143]
	v_div_scale_f64 v[152:153], vcc_lo, v[142:143], v[144:145], v[142:143]
	v_rcp_f64_e32 v[148:149], v[146:147]
	v_fma_f64 v[150:151], -v[146:147], v[148:149], 1.0
	v_fma_f64 v[148:149], v[148:149], v[150:151], v[148:149]
	v_fma_f64 v[150:151], -v[146:147], v[148:149], 1.0
	v_fma_f64 v[148:149], v[148:149], v[150:151], v[148:149]
	v_mul_f64 v[150:151], v[152:153], v[148:149]
	v_fma_f64 v[146:147], -v[146:147], v[150:151], v[152:153]
	v_div_fmas_f64 v[146:147], v[146:147], v[148:149], v[150:151]
	v_div_fixup_f64 v[146:147], v[146:147], v[144:145], v[142:143]
	v_fma_f64 v[142:143], v[142:143], v[146:147], v[144:145]
	v_div_scale_f64 v[144:145], null, v[142:143], v[142:143], 1.0
	v_rcp_f64_e32 v[148:149], v[144:145]
	v_fma_f64 v[150:151], -v[144:145], v[148:149], 1.0
	v_fma_f64 v[148:149], v[148:149], v[150:151], v[148:149]
	v_fma_f64 v[150:151], -v[144:145], v[148:149], 1.0
	v_fma_f64 v[148:149], v[148:149], v[150:151], v[148:149]
	v_div_scale_f64 v[150:151], vcc_lo, 1.0, v[142:143], 1.0
	v_mul_f64 v[152:153], v[150:151], v[148:149]
	v_fma_f64 v[144:145], -v[144:145], v[152:153], v[150:151]
	v_div_fmas_f64 v[144:145], v[144:145], v[148:149], v[152:153]
	v_div_fixup_f64 v[148:149], v[144:145], v[142:143], 1.0
                                        ; implicit-def: $vgpr142_vgpr143
	v_mul_f64 v[146:147], v[146:147], v[148:149]
	v_xor_b32_e32 v149, 0x80000000, v149
.LBB69_203:
	s_andn2_saveexec_b32 s1, s1
	s_cbranch_execz .LBB69_205
; %bb.204:
	v_div_scale_f64 v[146:147], null, v[142:143], v[142:143], v[144:145]
	v_div_scale_f64 v[152:153], vcc_lo, v[144:145], v[142:143], v[144:145]
	v_rcp_f64_e32 v[148:149], v[146:147]
	v_fma_f64 v[150:151], -v[146:147], v[148:149], 1.0
	v_fma_f64 v[148:149], v[148:149], v[150:151], v[148:149]
	v_fma_f64 v[150:151], -v[146:147], v[148:149], 1.0
	v_fma_f64 v[148:149], v[148:149], v[150:151], v[148:149]
	v_mul_f64 v[150:151], v[152:153], v[148:149]
	v_fma_f64 v[146:147], -v[146:147], v[150:151], v[152:153]
	v_div_fmas_f64 v[146:147], v[146:147], v[148:149], v[150:151]
	v_div_fixup_f64 v[148:149], v[146:147], v[142:143], v[144:145]
	v_fma_f64 v[142:143], v[144:145], v[148:149], v[142:143]
	v_div_scale_f64 v[144:145], null, v[142:143], v[142:143], 1.0
	v_rcp_f64_e32 v[146:147], v[144:145]
	v_fma_f64 v[150:151], -v[144:145], v[146:147], 1.0
	v_fma_f64 v[146:147], v[146:147], v[150:151], v[146:147]
	v_fma_f64 v[150:151], -v[144:145], v[146:147], 1.0
	v_fma_f64 v[146:147], v[146:147], v[150:151], v[146:147]
	v_div_scale_f64 v[150:151], vcc_lo, 1.0, v[142:143], 1.0
	v_mul_f64 v[152:153], v[150:151], v[146:147]
	v_fma_f64 v[144:145], -v[144:145], v[152:153], v[150:151]
	v_div_fmas_f64 v[144:145], v[144:145], v[146:147], v[152:153]
	v_div_fixup_f64 v[146:147], v[144:145], v[142:143], 1.0
	v_mul_f64 v[148:149], v[148:149], -v[146:147]
.LBB69_205:
	s_or_b32 exec_lo, exec_lo, s1
	ds_write2_b64 v1, v[146:147], v[148:149] offset1:1
.LBB69_206:
	s_or_b32 exec_lo, exec_lo, s2
	s_waitcnt lgkmcnt(0)
	s_barrier
	buffer_gl0_inv
	ds_read2_b64 v[142:145], v1 offset1:1
	s_mov_b32 s1, exec_lo
	s_waitcnt lgkmcnt(0)
	buffer_store_dword v142, off, s[16:19], 0 offset:328 ; 4-byte Folded Spill
	buffer_store_dword v143, off, s[16:19], 0 offset:332 ; 4-byte Folded Spill
	;; [unrolled: 1-line block ×4, first 2 shown]
	v_cmpx_lt_u32_e32 22, v0
	s_cbranch_execz .LBB69_208
; %bb.207:
	s_clause 0x3
	buffer_load_dword v148, off, s[16:19], 0 offset:328
	buffer_load_dword v149, off, s[16:19], 0 offset:332
	;; [unrolled: 1-line block ×4, first 2 shown]
	s_waitcnt vmcnt(2)
	v_mul_f64 v[142:143], v[148:149], v[52:53]
	s_waitcnt vmcnt(0)
	v_mul_f64 v[52:53], v[150:151], v[52:53]
	v_fma_f64 v[146:147], v[150:151], v[50:51], v[142:143]
	ds_read2_b64 v[142:145], v172 offset0:46 offset1:47
	v_fma_f64 v[50:51], v[148:149], v[50:51], -v[52:53]
	s_waitcnt lgkmcnt(0)
	v_mul_f64 v[52:53], v[144:145], v[146:147]
	v_fma_f64 v[52:53], v[142:143], v[50:51], -v[52:53]
	v_mul_f64 v[142:143], v[142:143], v[146:147]
	v_add_f64 v[46:47], v[46:47], -v[52:53]
	v_fma_f64 v[142:143], v[144:145], v[50:51], v[142:143]
	v_add_f64 v[48:49], v[48:49], -v[142:143]
	ds_read2_b64 v[142:145], v172 offset0:48 offset1:49
	s_waitcnt lgkmcnt(0)
	v_mul_f64 v[52:53], v[144:145], v[146:147]
	v_fma_f64 v[52:53], v[142:143], v[50:51], -v[52:53]
	v_mul_f64 v[142:143], v[142:143], v[146:147]
	v_add_f64 v[42:43], v[42:43], -v[52:53]
	v_fma_f64 v[142:143], v[144:145], v[50:51], v[142:143]
	v_add_f64 v[44:45], v[44:45], -v[142:143]
	ds_read2_b64 v[142:145], v172 offset0:50 offset1:51
	;; [unrolled: 8-line block ×11, first 2 shown]
	s_waitcnt lgkmcnt(0)
	v_mul_f64 v[52:53], v[144:145], v[146:147]
	v_fma_f64 v[52:53], v[142:143], v[50:51], -v[52:53]
	v_mul_f64 v[142:143], v[142:143], v[146:147]
	v_add_f64 v[2:3], v[2:3], -v[52:53]
	v_fma_f64 v[142:143], v[144:145], v[50:51], v[142:143]
	v_mov_b32_e32 v52, v146
	v_mov_b32_e32 v53, v147
	v_add_f64 v[4:5], v[4:5], -v[142:143]
.LBB69_208:
	s_or_b32 exec_lo, exec_lo, s1
	s_mov_b32 s2, exec_lo
	s_waitcnt_vscnt null, 0x0
	s_barrier
	buffer_gl0_inv
	v_cmpx_eq_u32_e32 23, v0
	s_cbranch_execz .LBB69_215
; %bb.209:
	ds_write2_b64 v1, v[46:47], v[48:49] offset1:1
	ds_write2_b64 v172, v[42:43], v[44:45] offset0:48 offset1:49
	ds_write2_b64 v172, v[38:39], v[40:41] offset0:50 offset1:51
	;; [unrolled: 1-line block ×11, first 2 shown]
	ds_read2_b64 v[142:145], v1 offset1:1
	s_waitcnt lgkmcnt(0)
	v_cmp_neq_f64_e32 vcc_lo, 0, v[142:143]
	v_cmp_neq_f64_e64 s1, 0, v[144:145]
	s_or_b32 s1, vcc_lo, s1
	s_and_b32 exec_lo, exec_lo, s1
	s_cbranch_execz .LBB69_215
; %bb.210:
	v_cmp_ngt_f64_e64 s1, |v[142:143]|, |v[144:145]|
                                        ; implicit-def: $vgpr146_vgpr147
	s_and_saveexec_b32 s3, s1
	s_xor_b32 s1, exec_lo, s3
                                        ; implicit-def: $vgpr148_vgpr149
	s_cbranch_execz .LBB69_212
; %bb.211:
	v_div_scale_f64 v[146:147], null, v[144:145], v[144:145], v[142:143]
	v_div_scale_f64 v[152:153], vcc_lo, v[142:143], v[144:145], v[142:143]
	v_rcp_f64_e32 v[148:149], v[146:147]
	v_fma_f64 v[150:151], -v[146:147], v[148:149], 1.0
	v_fma_f64 v[148:149], v[148:149], v[150:151], v[148:149]
	v_fma_f64 v[150:151], -v[146:147], v[148:149], 1.0
	v_fma_f64 v[148:149], v[148:149], v[150:151], v[148:149]
	v_mul_f64 v[150:151], v[152:153], v[148:149]
	v_fma_f64 v[146:147], -v[146:147], v[150:151], v[152:153]
	v_div_fmas_f64 v[146:147], v[146:147], v[148:149], v[150:151]
	v_div_fixup_f64 v[146:147], v[146:147], v[144:145], v[142:143]
	v_fma_f64 v[142:143], v[142:143], v[146:147], v[144:145]
	v_div_scale_f64 v[144:145], null, v[142:143], v[142:143], 1.0
	v_rcp_f64_e32 v[148:149], v[144:145]
	v_fma_f64 v[150:151], -v[144:145], v[148:149], 1.0
	v_fma_f64 v[148:149], v[148:149], v[150:151], v[148:149]
	v_fma_f64 v[150:151], -v[144:145], v[148:149], 1.0
	v_fma_f64 v[148:149], v[148:149], v[150:151], v[148:149]
	v_div_scale_f64 v[150:151], vcc_lo, 1.0, v[142:143], 1.0
	v_mul_f64 v[152:153], v[150:151], v[148:149]
	v_fma_f64 v[144:145], -v[144:145], v[152:153], v[150:151]
	v_div_fmas_f64 v[144:145], v[144:145], v[148:149], v[152:153]
	v_div_fixup_f64 v[148:149], v[144:145], v[142:143], 1.0
                                        ; implicit-def: $vgpr142_vgpr143
	v_mul_f64 v[146:147], v[146:147], v[148:149]
	v_xor_b32_e32 v149, 0x80000000, v149
.LBB69_212:
	s_andn2_saveexec_b32 s1, s1
	s_cbranch_execz .LBB69_214
; %bb.213:
	v_div_scale_f64 v[146:147], null, v[142:143], v[142:143], v[144:145]
	v_div_scale_f64 v[152:153], vcc_lo, v[144:145], v[142:143], v[144:145]
	v_rcp_f64_e32 v[148:149], v[146:147]
	v_fma_f64 v[150:151], -v[146:147], v[148:149], 1.0
	v_fma_f64 v[148:149], v[148:149], v[150:151], v[148:149]
	v_fma_f64 v[150:151], -v[146:147], v[148:149], 1.0
	v_fma_f64 v[148:149], v[148:149], v[150:151], v[148:149]
	v_mul_f64 v[150:151], v[152:153], v[148:149]
	v_fma_f64 v[146:147], -v[146:147], v[150:151], v[152:153]
	v_div_fmas_f64 v[146:147], v[146:147], v[148:149], v[150:151]
	v_div_fixup_f64 v[148:149], v[146:147], v[142:143], v[144:145]
	v_fma_f64 v[142:143], v[144:145], v[148:149], v[142:143]
	v_div_scale_f64 v[144:145], null, v[142:143], v[142:143], 1.0
	v_rcp_f64_e32 v[146:147], v[144:145]
	v_fma_f64 v[150:151], -v[144:145], v[146:147], 1.0
	v_fma_f64 v[146:147], v[146:147], v[150:151], v[146:147]
	v_fma_f64 v[150:151], -v[144:145], v[146:147], 1.0
	v_fma_f64 v[146:147], v[146:147], v[150:151], v[146:147]
	v_div_scale_f64 v[150:151], vcc_lo, 1.0, v[142:143], 1.0
	v_mul_f64 v[152:153], v[150:151], v[146:147]
	v_fma_f64 v[144:145], -v[144:145], v[152:153], v[150:151]
	v_div_fmas_f64 v[144:145], v[144:145], v[146:147], v[152:153]
	v_div_fixup_f64 v[146:147], v[144:145], v[142:143], 1.0
	v_mul_f64 v[148:149], v[148:149], -v[146:147]
.LBB69_214:
	s_or_b32 exec_lo, exec_lo, s1
	ds_write2_b64 v1, v[146:147], v[148:149] offset1:1
.LBB69_215:
	s_or_b32 exec_lo, exec_lo, s2
	s_waitcnt lgkmcnt(0)
	s_barrier
	buffer_gl0_inv
	ds_read2_b64 v[142:145], v1 offset1:1
	s_mov_b32 s1, exec_lo
	s_waitcnt lgkmcnt(0)
	buffer_store_dword v142, off, s[16:19], 0 offset:344 ; 4-byte Folded Spill
	buffer_store_dword v143, off, s[16:19], 0 offset:348 ; 4-byte Folded Spill
	;; [unrolled: 1-line block ×4, first 2 shown]
	v_cmpx_lt_u32_e32 23, v0
	s_cbranch_execz .LBB69_217
; %bb.216:
	s_clause 0x3
	buffer_load_dword v148, off, s[16:19], 0 offset:344
	buffer_load_dword v149, off, s[16:19], 0 offset:348
	;; [unrolled: 1-line block ×4, first 2 shown]
	s_waitcnt vmcnt(2)
	v_mul_f64 v[142:143], v[148:149], v[48:49]
	s_waitcnt vmcnt(0)
	v_mul_f64 v[48:49], v[150:151], v[48:49]
	v_fma_f64 v[146:147], v[150:151], v[46:47], v[142:143]
	ds_read2_b64 v[142:145], v172 offset0:48 offset1:49
	v_fma_f64 v[46:47], v[148:149], v[46:47], -v[48:49]
	s_waitcnt lgkmcnt(0)
	v_mul_f64 v[48:49], v[144:145], v[146:147]
	v_fma_f64 v[48:49], v[142:143], v[46:47], -v[48:49]
	v_mul_f64 v[142:143], v[142:143], v[146:147]
	v_add_f64 v[42:43], v[42:43], -v[48:49]
	v_fma_f64 v[142:143], v[144:145], v[46:47], v[142:143]
	v_add_f64 v[44:45], v[44:45], -v[142:143]
	ds_read2_b64 v[142:145], v172 offset0:50 offset1:51
	s_waitcnt lgkmcnt(0)
	v_mul_f64 v[48:49], v[144:145], v[146:147]
	v_fma_f64 v[48:49], v[142:143], v[46:47], -v[48:49]
	v_mul_f64 v[142:143], v[142:143], v[146:147]
	v_add_f64 v[38:39], v[38:39], -v[48:49]
	v_fma_f64 v[142:143], v[144:145], v[46:47], v[142:143]
	v_add_f64 v[40:41], v[40:41], -v[142:143]
	ds_read2_b64 v[142:145], v172 offset0:52 offset1:53
	s_waitcnt lgkmcnt(0)
	v_mul_f64 v[48:49], v[144:145], v[146:147]
	v_fma_f64 v[48:49], v[142:143], v[46:47], -v[48:49]
	v_mul_f64 v[142:143], v[142:143], v[146:147]
	v_add_f64 v[34:35], v[34:35], -v[48:49]
	v_fma_f64 v[142:143], v[144:145], v[46:47], v[142:143]
	v_add_f64 v[36:37], v[36:37], -v[142:143]
	ds_read2_b64 v[142:145], v172 offset0:54 offset1:55
	s_waitcnt lgkmcnt(0)
	v_mul_f64 v[48:49], v[144:145], v[146:147]
	v_fma_f64 v[48:49], v[142:143], v[46:47], -v[48:49]
	v_mul_f64 v[142:143], v[142:143], v[146:147]
	v_add_f64 v[30:31], v[30:31], -v[48:49]
	v_fma_f64 v[142:143], v[144:145], v[46:47], v[142:143]
	v_add_f64 v[32:33], v[32:33], -v[142:143]
	ds_read2_b64 v[142:145], v172 offset0:56 offset1:57
	s_waitcnt lgkmcnt(0)
	v_mul_f64 v[48:49], v[144:145], v[146:147]
	v_fma_f64 v[48:49], v[142:143], v[46:47], -v[48:49]
	v_mul_f64 v[142:143], v[142:143], v[146:147]
	v_add_f64 v[26:27], v[26:27], -v[48:49]
	v_fma_f64 v[142:143], v[144:145], v[46:47], v[142:143]
	v_add_f64 v[28:29], v[28:29], -v[142:143]
	ds_read2_b64 v[142:145], v172 offset0:58 offset1:59
	s_waitcnt lgkmcnt(0)
	v_mul_f64 v[48:49], v[144:145], v[146:147]
	v_fma_f64 v[48:49], v[142:143], v[46:47], -v[48:49]
	v_mul_f64 v[142:143], v[142:143], v[146:147]
	v_add_f64 v[22:23], v[22:23], -v[48:49]
	v_fma_f64 v[142:143], v[144:145], v[46:47], v[142:143]
	v_add_f64 v[24:25], v[24:25], -v[142:143]
	ds_read2_b64 v[142:145], v172 offset0:60 offset1:61
	s_waitcnt lgkmcnt(0)
	v_mul_f64 v[48:49], v[144:145], v[146:147]
	v_fma_f64 v[48:49], v[142:143], v[46:47], -v[48:49]
	v_mul_f64 v[142:143], v[142:143], v[146:147]
	v_add_f64 v[18:19], v[18:19], -v[48:49]
	v_fma_f64 v[142:143], v[144:145], v[46:47], v[142:143]
	v_add_f64 v[20:21], v[20:21], -v[142:143]
	ds_read2_b64 v[142:145], v172 offset0:62 offset1:63
	s_waitcnt lgkmcnt(0)
	v_mul_f64 v[48:49], v[144:145], v[146:147]
	v_fma_f64 v[48:49], v[142:143], v[46:47], -v[48:49]
	v_mul_f64 v[142:143], v[142:143], v[146:147]
	v_add_f64 v[14:15], v[14:15], -v[48:49]
	v_fma_f64 v[142:143], v[144:145], v[46:47], v[142:143]
	v_add_f64 v[16:17], v[16:17], -v[142:143]
	ds_read2_b64 v[142:145], v172 offset0:64 offset1:65
	s_waitcnt lgkmcnt(0)
	v_mul_f64 v[48:49], v[144:145], v[146:147]
	v_fma_f64 v[48:49], v[142:143], v[46:47], -v[48:49]
	v_mul_f64 v[142:143], v[142:143], v[146:147]
	v_add_f64 v[10:11], v[10:11], -v[48:49]
	v_fma_f64 v[142:143], v[144:145], v[46:47], v[142:143]
	v_add_f64 v[12:13], v[12:13], -v[142:143]
	ds_read2_b64 v[142:145], v172 offset0:66 offset1:67
	s_waitcnt lgkmcnt(0)
	v_mul_f64 v[48:49], v[144:145], v[146:147]
	v_fma_f64 v[48:49], v[142:143], v[46:47], -v[48:49]
	v_mul_f64 v[142:143], v[142:143], v[146:147]
	v_add_f64 v[6:7], v[6:7], -v[48:49]
	v_fma_f64 v[142:143], v[144:145], v[46:47], v[142:143]
	v_add_f64 v[8:9], v[8:9], -v[142:143]
	ds_read2_b64 v[142:145], v172 offset0:68 offset1:69
	s_waitcnt lgkmcnt(0)
	v_mul_f64 v[48:49], v[144:145], v[146:147]
	v_fma_f64 v[48:49], v[142:143], v[46:47], -v[48:49]
	v_mul_f64 v[142:143], v[142:143], v[146:147]
	v_add_f64 v[2:3], v[2:3], -v[48:49]
	v_fma_f64 v[142:143], v[144:145], v[46:47], v[142:143]
	v_mov_b32_e32 v48, v146
	v_mov_b32_e32 v49, v147
	v_add_f64 v[4:5], v[4:5], -v[142:143]
.LBB69_217:
	s_or_b32 exec_lo, exec_lo, s1
	s_mov_b32 s2, exec_lo
	s_waitcnt_vscnt null, 0x0
	s_barrier
	buffer_gl0_inv
	v_cmpx_eq_u32_e32 24, v0
	s_cbranch_execz .LBB69_224
; %bb.218:
	ds_write2_b64 v1, v[42:43], v[44:45] offset1:1
	ds_write2_b64 v172, v[38:39], v[40:41] offset0:50 offset1:51
	ds_write2_b64 v172, v[34:35], v[36:37] offset0:52 offset1:53
	;; [unrolled: 1-line block ×10, first 2 shown]
	ds_read2_b64 v[142:145], v1 offset1:1
	s_waitcnt lgkmcnt(0)
	v_cmp_neq_f64_e32 vcc_lo, 0, v[142:143]
	v_cmp_neq_f64_e64 s1, 0, v[144:145]
	s_or_b32 s1, vcc_lo, s1
	s_and_b32 exec_lo, exec_lo, s1
	s_cbranch_execz .LBB69_224
; %bb.219:
	v_cmp_ngt_f64_e64 s1, |v[142:143]|, |v[144:145]|
                                        ; implicit-def: $vgpr146_vgpr147
	s_and_saveexec_b32 s3, s1
	s_xor_b32 s1, exec_lo, s3
                                        ; implicit-def: $vgpr148_vgpr149
	s_cbranch_execz .LBB69_221
; %bb.220:
	v_div_scale_f64 v[146:147], null, v[144:145], v[144:145], v[142:143]
	v_div_scale_f64 v[152:153], vcc_lo, v[142:143], v[144:145], v[142:143]
	v_rcp_f64_e32 v[148:149], v[146:147]
	v_fma_f64 v[150:151], -v[146:147], v[148:149], 1.0
	v_fma_f64 v[148:149], v[148:149], v[150:151], v[148:149]
	v_fma_f64 v[150:151], -v[146:147], v[148:149], 1.0
	v_fma_f64 v[148:149], v[148:149], v[150:151], v[148:149]
	v_mul_f64 v[150:151], v[152:153], v[148:149]
	v_fma_f64 v[146:147], -v[146:147], v[150:151], v[152:153]
	v_div_fmas_f64 v[146:147], v[146:147], v[148:149], v[150:151]
	v_div_fixup_f64 v[146:147], v[146:147], v[144:145], v[142:143]
	v_fma_f64 v[142:143], v[142:143], v[146:147], v[144:145]
	v_div_scale_f64 v[144:145], null, v[142:143], v[142:143], 1.0
	v_rcp_f64_e32 v[148:149], v[144:145]
	v_fma_f64 v[150:151], -v[144:145], v[148:149], 1.0
	v_fma_f64 v[148:149], v[148:149], v[150:151], v[148:149]
	v_fma_f64 v[150:151], -v[144:145], v[148:149], 1.0
	v_fma_f64 v[148:149], v[148:149], v[150:151], v[148:149]
	v_div_scale_f64 v[150:151], vcc_lo, 1.0, v[142:143], 1.0
	v_mul_f64 v[152:153], v[150:151], v[148:149]
	v_fma_f64 v[144:145], -v[144:145], v[152:153], v[150:151]
	v_div_fmas_f64 v[144:145], v[144:145], v[148:149], v[152:153]
	v_div_fixup_f64 v[148:149], v[144:145], v[142:143], 1.0
                                        ; implicit-def: $vgpr142_vgpr143
	v_mul_f64 v[146:147], v[146:147], v[148:149]
	v_xor_b32_e32 v149, 0x80000000, v149
.LBB69_221:
	s_andn2_saveexec_b32 s1, s1
	s_cbranch_execz .LBB69_223
; %bb.222:
	v_div_scale_f64 v[146:147], null, v[142:143], v[142:143], v[144:145]
	v_div_scale_f64 v[152:153], vcc_lo, v[144:145], v[142:143], v[144:145]
	v_rcp_f64_e32 v[148:149], v[146:147]
	v_fma_f64 v[150:151], -v[146:147], v[148:149], 1.0
	v_fma_f64 v[148:149], v[148:149], v[150:151], v[148:149]
	v_fma_f64 v[150:151], -v[146:147], v[148:149], 1.0
	v_fma_f64 v[148:149], v[148:149], v[150:151], v[148:149]
	v_mul_f64 v[150:151], v[152:153], v[148:149]
	v_fma_f64 v[146:147], -v[146:147], v[150:151], v[152:153]
	v_div_fmas_f64 v[146:147], v[146:147], v[148:149], v[150:151]
	v_div_fixup_f64 v[148:149], v[146:147], v[142:143], v[144:145]
	v_fma_f64 v[142:143], v[144:145], v[148:149], v[142:143]
	v_div_scale_f64 v[144:145], null, v[142:143], v[142:143], 1.0
	v_rcp_f64_e32 v[146:147], v[144:145]
	v_fma_f64 v[150:151], -v[144:145], v[146:147], 1.0
	v_fma_f64 v[146:147], v[146:147], v[150:151], v[146:147]
	v_fma_f64 v[150:151], -v[144:145], v[146:147], 1.0
	v_fma_f64 v[146:147], v[146:147], v[150:151], v[146:147]
	v_div_scale_f64 v[150:151], vcc_lo, 1.0, v[142:143], 1.0
	v_mul_f64 v[152:153], v[150:151], v[146:147]
	v_fma_f64 v[144:145], -v[144:145], v[152:153], v[150:151]
	v_div_fmas_f64 v[144:145], v[144:145], v[146:147], v[152:153]
	v_div_fixup_f64 v[146:147], v[144:145], v[142:143], 1.0
	v_mul_f64 v[148:149], v[148:149], -v[146:147]
.LBB69_223:
	s_or_b32 exec_lo, exec_lo, s1
	ds_write2_b64 v1, v[146:147], v[148:149] offset1:1
.LBB69_224:
	s_or_b32 exec_lo, exec_lo, s2
	s_waitcnt lgkmcnt(0)
	s_barrier
	buffer_gl0_inv
	ds_read2_b64 v[142:145], v1 offset1:1
	s_mov_b32 s1, exec_lo
	s_waitcnt lgkmcnt(0)
	buffer_store_dword v142, off, s[16:19], 0 offset:360 ; 4-byte Folded Spill
	buffer_store_dword v143, off, s[16:19], 0 offset:364 ; 4-byte Folded Spill
	;; [unrolled: 1-line block ×4, first 2 shown]
	v_cmpx_lt_u32_e32 24, v0
	s_cbranch_execz .LBB69_226
; %bb.225:
	s_clause 0x3
	buffer_load_dword v148, off, s[16:19], 0 offset:360
	buffer_load_dword v149, off, s[16:19], 0 offset:364
	;; [unrolled: 1-line block ×4, first 2 shown]
	s_waitcnt vmcnt(2)
	v_mul_f64 v[142:143], v[148:149], v[44:45]
	s_waitcnt vmcnt(0)
	v_mul_f64 v[44:45], v[150:151], v[44:45]
	v_fma_f64 v[146:147], v[150:151], v[42:43], v[142:143]
	ds_read2_b64 v[142:145], v172 offset0:50 offset1:51
	v_fma_f64 v[42:43], v[148:149], v[42:43], -v[44:45]
	s_waitcnt lgkmcnt(0)
	v_mul_f64 v[44:45], v[144:145], v[146:147]
	v_fma_f64 v[44:45], v[142:143], v[42:43], -v[44:45]
	v_mul_f64 v[142:143], v[142:143], v[146:147]
	v_add_f64 v[38:39], v[38:39], -v[44:45]
	v_fma_f64 v[142:143], v[144:145], v[42:43], v[142:143]
	v_add_f64 v[40:41], v[40:41], -v[142:143]
	ds_read2_b64 v[142:145], v172 offset0:52 offset1:53
	s_waitcnt lgkmcnt(0)
	v_mul_f64 v[44:45], v[144:145], v[146:147]
	v_fma_f64 v[44:45], v[142:143], v[42:43], -v[44:45]
	v_mul_f64 v[142:143], v[142:143], v[146:147]
	v_add_f64 v[34:35], v[34:35], -v[44:45]
	v_fma_f64 v[142:143], v[144:145], v[42:43], v[142:143]
	v_add_f64 v[36:37], v[36:37], -v[142:143]
	ds_read2_b64 v[142:145], v172 offset0:54 offset1:55
	;; [unrolled: 8-line block ×9, first 2 shown]
	s_waitcnt lgkmcnt(0)
	v_mul_f64 v[44:45], v[144:145], v[146:147]
	v_fma_f64 v[44:45], v[142:143], v[42:43], -v[44:45]
	v_mul_f64 v[142:143], v[142:143], v[146:147]
	v_add_f64 v[2:3], v[2:3], -v[44:45]
	v_fma_f64 v[142:143], v[144:145], v[42:43], v[142:143]
	v_mov_b32_e32 v44, v146
	v_mov_b32_e32 v45, v147
	v_add_f64 v[4:5], v[4:5], -v[142:143]
.LBB69_226:
	s_or_b32 exec_lo, exec_lo, s1
	s_mov_b32 s2, exec_lo
	s_waitcnt_vscnt null, 0x0
	s_barrier
	buffer_gl0_inv
	v_cmpx_eq_u32_e32 25, v0
	s_cbranch_execz .LBB69_233
; %bb.227:
	ds_write2_b64 v1, v[38:39], v[40:41] offset1:1
	ds_write2_b64 v172, v[34:35], v[36:37] offset0:52 offset1:53
	ds_write2_b64 v172, v[30:31], v[32:33] offset0:54 offset1:55
	;; [unrolled: 1-line block ×9, first 2 shown]
	ds_read2_b64 v[142:145], v1 offset1:1
	s_waitcnt lgkmcnt(0)
	v_cmp_neq_f64_e32 vcc_lo, 0, v[142:143]
	v_cmp_neq_f64_e64 s1, 0, v[144:145]
	s_or_b32 s1, vcc_lo, s1
	s_and_b32 exec_lo, exec_lo, s1
	s_cbranch_execz .LBB69_233
; %bb.228:
	v_cmp_ngt_f64_e64 s1, |v[142:143]|, |v[144:145]|
                                        ; implicit-def: $vgpr146_vgpr147
	s_and_saveexec_b32 s3, s1
	s_xor_b32 s1, exec_lo, s3
                                        ; implicit-def: $vgpr148_vgpr149
	s_cbranch_execz .LBB69_230
; %bb.229:
	v_div_scale_f64 v[146:147], null, v[144:145], v[144:145], v[142:143]
	v_div_scale_f64 v[152:153], vcc_lo, v[142:143], v[144:145], v[142:143]
	v_rcp_f64_e32 v[148:149], v[146:147]
	v_fma_f64 v[150:151], -v[146:147], v[148:149], 1.0
	v_fma_f64 v[148:149], v[148:149], v[150:151], v[148:149]
	v_fma_f64 v[150:151], -v[146:147], v[148:149], 1.0
	v_fma_f64 v[148:149], v[148:149], v[150:151], v[148:149]
	v_mul_f64 v[150:151], v[152:153], v[148:149]
	v_fma_f64 v[146:147], -v[146:147], v[150:151], v[152:153]
	v_div_fmas_f64 v[146:147], v[146:147], v[148:149], v[150:151]
	v_div_fixup_f64 v[146:147], v[146:147], v[144:145], v[142:143]
	v_fma_f64 v[142:143], v[142:143], v[146:147], v[144:145]
	v_div_scale_f64 v[144:145], null, v[142:143], v[142:143], 1.0
	v_rcp_f64_e32 v[148:149], v[144:145]
	v_fma_f64 v[150:151], -v[144:145], v[148:149], 1.0
	v_fma_f64 v[148:149], v[148:149], v[150:151], v[148:149]
	v_fma_f64 v[150:151], -v[144:145], v[148:149], 1.0
	v_fma_f64 v[148:149], v[148:149], v[150:151], v[148:149]
	v_div_scale_f64 v[150:151], vcc_lo, 1.0, v[142:143], 1.0
	v_mul_f64 v[152:153], v[150:151], v[148:149]
	v_fma_f64 v[144:145], -v[144:145], v[152:153], v[150:151]
	v_div_fmas_f64 v[144:145], v[144:145], v[148:149], v[152:153]
	v_div_fixup_f64 v[148:149], v[144:145], v[142:143], 1.0
                                        ; implicit-def: $vgpr142_vgpr143
	v_mul_f64 v[146:147], v[146:147], v[148:149]
	v_xor_b32_e32 v149, 0x80000000, v149
.LBB69_230:
	s_andn2_saveexec_b32 s1, s1
	s_cbranch_execz .LBB69_232
; %bb.231:
	v_div_scale_f64 v[146:147], null, v[142:143], v[142:143], v[144:145]
	v_div_scale_f64 v[152:153], vcc_lo, v[144:145], v[142:143], v[144:145]
	v_rcp_f64_e32 v[148:149], v[146:147]
	v_fma_f64 v[150:151], -v[146:147], v[148:149], 1.0
	v_fma_f64 v[148:149], v[148:149], v[150:151], v[148:149]
	v_fma_f64 v[150:151], -v[146:147], v[148:149], 1.0
	v_fma_f64 v[148:149], v[148:149], v[150:151], v[148:149]
	v_mul_f64 v[150:151], v[152:153], v[148:149]
	v_fma_f64 v[146:147], -v[146:147], v[150:151], v[152:153]
	v_div_fmas_f64 v[146:147], v[146:147], v[148:149], v[150:151]
	v_div_fixup_f64 v[148:149], v[146:147], v[142:143], v[144:145]
	v_fma_f64 v[142:143], v[144:145], v[148:149], v[142:143]
	v_div_scale_f64 v[144:145], null, v[142:143], v[142:143], 1.0
	v_rcp_f64_e32 v[146:147], v[144:145]
	v_fma_f64 v[150:151], -v[144:145], v[146:147], 1.0
	v_fma_f64 v[146:147], v[146:147], v[150:151], v[146:147]
	v_fma_f64 v[150:151], -v[144:145], v[146:147], 1.0
	v_fma_f64 v[146:147], v[146:147], v[150:151], v[146:147]
	v_div_scale_f64 v[150:151], vcc_lo, 1.0, v[142:143], 1.0
	v_mul_f64 v[152:153], v[150:151], v[146:147]
	v_fma_f64 v[144:145], -v[144:145], v[152:153], v[150:151]
	v_div_fmas_f64 v[144:145], v[144:145], v[146:147], v[152:153]
	v_div_fixup_f64 v[146:147], v[144:145], v[142:143], 1.0
	v_mul_f64 v[148:149], v[148:149], -v[146:147]
.LBB69_232:
	s_or_b32 exec_lo, exec_lo, s1
	ds_write2_b64 v1, v[146:147], v[148:149] offset1:1
.LBB69_233:
	s_or_b32 exec_lo, exec_lo, s2
	s_waitcnt lgkmcnt(0)
	s_barrier
	buffer_gl0_inv
	ds_read2_b64 v[142:145], v1 offset1:1
	s_mov_b32 s1, exec_lo
	s_waitcnt lgkmcnt(0)
	buffer_store_dword v142, off, s[16:19], 0 offset:376 ; 4-byte Folded Spill
	buffer_store_dword v143, off, s[16:19], 0 offset:380 ; 4-byte Folded Spill
	;; [unrolled: 1-line block ×4, first 2 shown]
	v_cmpx_lt_u32_e32 25, v0
	s_cbranch_execz .LBB69_235
; %bb.234:
	s_clause 0x3
	buffer_load_dword v148, off, s[16:19], 0 offset:376
	buffer_load_dword v149, off, s[16:19], 0 offset:380
	;; [unrolled: 1-line block ×4, first 2 shown]
	s_waitcnt vmcnt(2)
	v_mul_f64 v[142:143], v[148:149], v[40:41]
	s_waitcnt vmcnt(0)
	v_mul_f64 v[40:41], v[150:151], v[40:41]
	v_fma_f64 v[146:147], v[150:151], v[38:39], v[142:143]
	ds_read2_b64 v[142:145], v172 offset0:52 offset1:53
	v_fma_f64 v[38:39], v[148:149], v[38:39], -v[40:41]
	s_waitcnt lgkmcnt(0)
	v_mul_f64 v[40:41], v[144:145], v[146:147]
	v_fma_f64 v[40:41], v[142:143], v[38:39], -v[40:41]
	v_mul_f64 v[142:143], v[142:143], v[146:147]
	v_add_f64 v[34:35], v[34:35], -v[40:41]
	v_fma_f64 v[142:143], v[144:145], v[38:39], v[142:143]
	v_add_f64 v[36:37], v[36:37], -v[142:143]
	ds_read2_b64 v[142:145], v172 offset0:54 offset1:55
	s_waitcnt lgkmcnt(0)
	v_mul_f64 v[40:41], v[144:145], v[146:147]
	v_fma_f64 v[40:41], v[142:143], v[38:39], -v[40:41]
	v_mul_f64 v[142:143], v[142:143], v[146:147]
	v_add_f64 v[30:31], v[30:31], -v[40:41]
	v_fma_f64 v[142:143], v[144:145], v[38:39], v[142:143]
	v_add_f64 v[32:33], v[32:33], -v[142:143]
	ds_read2_b64 v[142:145], v172 offset0:56 offset1:57
	s_waitcnt lgkmcnt(0)
	v_mul_f64 v[40:41], v[144:145], v[146:147]
	v_fma_f64 v[40:41], v[142:143], v[38:39], -v[40:41]
	v_mul_f64 v[142:143], v[142:143], v[146:147]
	v_add_f64 v[26:27], v[26:27], -v[40:41]
	v_fma_f64 v[142:143], v[144:145], v[38:39], v[142:143]
	v_add_f64 v[28:29], v[28:29], -v[142:143]
	ds_read2_b64 v[142:145], v172 offset0:58 offset1:59
	s_waitcnt lgkmcnt(0)
	v_mul_f64 v[40:41], v[144:145], v[146:147]
	v_fma_f64 v[40:41], v[142:143], v[38:39], -v[40:41]
	v_mul_f64 v[142:143], v[142:143], v[146:147]
	v_add_f64 v[22:23], v[22:23], -v[40:41]
	v_fma_f64 v[142:143], v[144:145], v[38:39], v[142:143]
	v_add_f64 v[24:25], v[24:25], -v[142:143]
	ds_read2_b64 v[142:145], v172 offset0:60 offset1:61
	s_waitcnt lgkmcnt(0)
	v_mul_f64 v[40:41], v[144:145], v[146:147]
	v_fma_f64 v[40:41], v[142:143], v[38:39], -v[40:41]
	v_mul_f64 v[142:143], v[142:143], v[146:147]
	v_add_f64 v[18:19], v[18:19], -v[40:41]
	v_fma_f64 v[142:143], v[144:145], v[38:39], v[142:143]
	v_add_f64 v[20:21], v[20:21], -v[142:143]
	ds_read2_b64 v[142:145], v172 offset0:62 offset1:63
	s_waitcnt lgkmcnt(0)
	v_mul_f64 v[40:41], v[144:145], v[146:147]
	v_fma_f64 v[40:41], v[142:143], v[38:39], -v[40:41]
	v_mul_f64 v[142:143], v[142:143], v[146:147]
	v_add_f64 v[14:15], v[14:15], -v[40:41]
	v_fma_f64 v[142:143], v[144:145], v[38:39], v[142:143]
	v_add_f64 v[16:17], v[16:17], -v[142:143]
	ds_read2_b64 v[142:145], v172 offset0:64 offset1:65
	s_waitcnt lgkmcnt(0)
	v_mul_f64 v[40:41], v[144:145], v[146:147]
	v_fma_f64 v[40:41], v[142:143], v[38:39], -v[40:41]
	v_mul_f64 v[142:143], v[142:143], v[146:147]
	v_add_f64 v[10:11], v[10:11], -v[40:41]
	v_fma_f64 v[142:143], v[144:145], v[38:39], v[142:143]
	v_add_f64 v[12:13], v[12:13], -v[142:143]
	ds_read2_b64 v[142:145], v172 offset0:66 offset1:67
	s_waitcnt lgkmcnt(0)
	v_mul_f64 v[40:41], v[144:145], v[146:147]
	v_fma_f64 v[40:41], v[142:143], v[38:39], -v[40:41]
	v_mul_f64 v[142:143], v[142:143], v[146:147]
	v_add_f64 v[6:7], v[6:7], -v[40:41]
	v_fma_f64 v[142:143], v[144:145], v[38:39], v[142:143]
	v_add_f64 v[8:9], v[8:9], -v[142:143]
	ds_read2_b64 v[142:145], v172 offset0:68 offset1:69
	s_waitcnt lgkmcnt(0)
	v_mul_f64 v[40:41], v[144:145], v[146:147]
	v_fma_f64 v[40:41], v[142:143], v[38:39], -v[40:41]
	v_mul_f64 v[142:143], v[142:143], v[146:147]
	v_add_f64 v[2:3], v[2:3], -v[40:41]
	v_fma_f64 v[142:143], v[144:145], v[38:39], v[142:143]
	v_mov_b32_e32 v40, v146
	v_mov_b32_e32 v41, v147
	v_add_f64 v[4:5], v[4:5], -v[142:143]
.LBB69_235:
	s_or_b32 exec_lo, exec_lo, s1
	s_mov_b32 s2, exec_lo
	s_waitcnt_vscnt null, 0x0
	s_barrier
	buffer_gl0_inv
	v_cmpx_eq_u32_e32 26, v0
	s_cbranch_execz .LBB69_242
; %bb.236:
	ds_write2_b64 v1, v[34:35], v[36:37] offset1:1
	ds_write2_b64 v172, v[30:31], v[32:33] offset0:54 offset1:55
	ds_write2_b64 v172, v[26:27], v[28:29] offset0:56 offset1:57
	;; [unrolled: 1-line block ×8, first 2 shown]
	ds_read2_b64 v[142:145], v1 offset1:1
	s_waitcnt lgkmcnt(0)
	v_cmp_neq_f64_e32 vcc_lo, 0, v[142:143]
	v_cmp_neq_f64_e64 s1, 0, v[144:145]
	s_or_b32 s1, vcc_lo, s1
	s_and_b32 exec_lo, exec_lo, s1
	s_cbranch_execz .LBB69_242
; %bb.237:
	v_cmp_ngt_f64_e64 s1, |v[142:143]|, |v[144:145]|
                                        ; implicit-def: $vgpr146_vgpr147
	s_and_saveexec_b32 s3, s1
	s_xor_b32 s1, exec_lo, s3
                                        ; implicit-def: $vgpr148_vgpr149
	s_cbranch_execz .LBB69_239
; %bb.238:
	v_div_scale_f64 v[146:147], null, v[144:145], v[144:145], v[142:143]
	v_div_scale_f64 v[152:153], vcc_lo, v[142:143], v[144:145], v[142:143]
	v_rcp_f64_e32 v[148:149], v[146:147]
	v_fma_f64 v[150:151], -v[146:147], v[148:149], 1.0
	v_fma_f64 v[148:149], v[148:149], v[150:151], v[148:149]
	v_fma_f64 v[150:151], -v[146:147], v[148:149], 1.0
	v_fma_f64 v[148:149], v[148:149], v[150:151], v[148:149]
	v_mul_f64 v[150:151], v[152:153], v[148:149]
	v_fma_f64 v[146:147], -v[146:147], v[150:151], v[152:153]
	v_div_fmas_f64 v[146:147], v[146:147], v[148:149], v[150:151]
	v_div_fixup_f64 v[146:147], v[146:147], v[144:145], v[142:143]
	v_fma_f64 v[142:143], v[142:143], v[146:147], v[144:145]
	v_div_scale_f64 v[144:145], null, v[142:143], v[142:143], 1.0
	v_rcp_f64_e32 v[148:149], v[144:145]
	v_fma_f64 v[150:151], -v[144:145], v[148:149], 1.0
	v_fma_f64 v[148:149], v[148:149], v[150:151], v[148:149]
	v_fma_f64 v[150:151], -v[144:145], v[148:149], 1.0
	v_fma_f64 v[148:149], v[148:149], v[150:151], v[148:149]
	v_div_scale_f64 v[150:151], vcc_lo, 1.0, v[142:143], 1.0
	v_mul_f64 v[152:153], v[150:151], v[148:149]
	v_fma_f64 v[144:145], -v[144:145], v[152:153], v[150:151]
	v_div_fmas_f64 v[144:145], v[144:145], v[148:149], v[152:153]
	v_div_fixup_f64 v[148:149], v[144:145], v[142:143], 1.0
                                        ; implicit-def: $vgpr142_vgpr143
	v_mul_f64 v[146:147], v[146:147], v[148:149]
	v_xor_b32_e32 v149, 0x80000000, v149
.LBB69_239:
	s_andn2_saveexec_b32 s1, s1
	s_cbranch_execz .LBB69_241
; %bb.240:
	v_div_scale_f64 v[146:147], null, v[142:143], v[142:143], v[144:145]
	v_div_scale_f64 v[152:153], vcc_lo, v[144:145], v[142:143], v[144:145]
	v_rcp_f64_e32 v[148:149], v[146:147]
	v_fma_f64 v[150:151], -v[146:147], v[148:149], 1.0
	v_fma_f64 v[148:149], v[148:149], v[150:151], v[148:149]
	v_fma_f64 v[150:151], -v[146:147], v[148:149], 1.0
	v_fma_f64 v[148:149], v[148:149], v[150:151], v[148:149]
	v_mul_f64 v[150:151], v[152:153], v[148:149]
	v_fma_f64 v[146:147], -v[146:147], v[150:151], v[152:153]
	v_div_fmas_f64 v[146:147], v[146:147], v[148:149], v[150:151]
	v_div_fixup_f64 v[148:149], v[146:147], v[142:143], v[144:145]
	v_fma_f64 v[142:143], v[144:145], v[148:149], v[142:143]
	v_div_scale_f64 v[144:145], null, v[142:143], v[142:143], 1.0
	v_rcp_f64_e32 v[146:147], v[144:145]
	v_fma_f64 v[150:151], -v[144:145], v[146:147], 1.0
	v_fma_f64 v[146:147], v[146:147], v[150:151], v[146:147]
	v_fma_f64 v[150:151], -v[144:145], v[146:147], 1.0
	v_fma_f64 v[146:147], v[146:147], v[150:151], v[146:147]
	v_div_scale_f64 v[150:151], vcc_lo, 1.0, v[142:143], 1.0
	v_mul_f64 v[152:153], v[150:151], v[146:147]
	v_fma_f64 v[144:145], -v[144:145], v[152:153], v[150:151]
	v_div_fmas_f64 v[144:145], v[144:145], v[146:147], v[152:153]
	v_div_fixup_f64 v[146:147], v[144:145], v[142:143], 1.0
	v_mul_f64 v[148:149], v[148:149], -v[146:147]
.LBB69_241:
	s_or_b32 exec_lo, exec_lo, s1
	ds_write2_b64 v1, v[146:147], v[148:149] offset1:1
.LBB69_242:
	s_or_b32 exec_lo, exec_lo, s2
	s_waitcnt lgkmcnt(0)
	s_barrier
	buffer_gl0_inv
	ds_read2_b64 v[142:145], v1 offset1:1
	s_mov_b32 s1, exec_lo
	s_waitcnt lgkmcnt(0)
	buffer_store_dword v142, off, s[16:19], 0 offset:392 ; 4-byte Folded Spill
	buffer_store_dword v143, off, s[16:19], 0 offset:396 ; 4-byte Folded Spill
	;; [unrolled: 1-line block ×4, first 2 shown]
	v_cmpx_lt_u32_e32 26, v0
	s_cbranch_execz .LBB69_244
; %bb.243:
	s_clause 0x3
	buffer_load_dword v148, off, s[16:19], 0 offset:392
	buffer_load_dword v149, off, s[16:19], 0 offset:396
	;; [unrolled: 1-line block ×4, first 2 shown]
	s_waitcnt vmcnt(2)
	v_mul_f64 v[142:143], v[148:149], v[36:37]
	s_waitcnt vmcnt(0)
	v_mul_f64 v[36:37], v[150:151], v[36:37]
	v_fma_f64 v[146:147], v[150:151], v[34:35], v[142:143]
	ds_read2_b64 v[142:145], v172 offset0:54 offset1:55
	v_fma_f64 v[34:35], v[148:149], v[34:35], -v[36:37]
	s_waitcnt lgkmcnt(0)
	v_mul_f64 v[36:37], v[144:145], v[146:147]
	v_fma_f64 v[36:37], v[142:143], v[34:35], -v[36:37]
	v_mul_f64 v[142:143], v[142:143], v[146:147]
	v_add_f64 v[30:31], v[30:31], -v[36:37]
	v_fma_f64 v[142:143], v[144:145], v[34:35], v[142:143]
	v_add_f64 v[32:33], v[32:33], -v[142:143]
	ds_read2_b64 v[142:145], v172 offset0:56 offset1:57
	s_waitcnt lgkmcnt(0)
	v_mul_f64 v[36:37], v[144:145], v[146:147]
	v_fma_f64 v[36:37], v[142:143], v[34:35], -v[36:37]
	v_mul_f64 v[142:143], v[142:143], v[146:147]
	v_add_f64 v[26:27], v[26:27], -v[36:37]
	v_fma_f64 v[142:143], v[144:145], v[34:35], v[142:143]
	v_add_f64 v[28:29], v[28:29], -v[142:143]
	ds_read2_b64 v[142:145], v172 offset0:58 offset1:59
	;; [unrolled: 8-line block ×7, first 2 shown]
	s_waitcnt lgkmcnt(0)
	v_mul_f64 v[36:37], v[144:145], v[146:147]
	v_fma_f64 v[36:37], v[142:143], v[34:35], -v[36:37]
	v_mul_f64 v[142:143], v[142:143], v[146:147]
	v_add_f64 v[2:3], v[2:3], -v[36:37]
	v_fma_f64 v[142:143], v[144:145], v[34:35], v[142:143]
	v_mov_b32_e32 v36, v146
	v_mov_b32_e32 v37, v147
	v_add_f64 v[4:5], v[4:5], -v[142:143]
.LBB69_244:
	s_or_b32 exec_lo, exec_lo, s1
	s_mov_b32 s2, exec_lo
	s_waitcnt_vscnt null, 0x0
	s_barrier
	buffer_gl0_inv
	v_cmpx_eq_u32_e32 27, v0
	s_cbranch_execz .LBB69_251
; %bb.245:
	ds_write2_b64 v1, v[30:31], v[32:33] offset1:1
	ds_write2_b64 v172, v[26:27], v[28:29] offset0:56 offset1:57
	ds_write2_b64 v172, v[22:23], v[24:25] offset0:58 offset1:59
	;; [unrolled: 1-line block ×7, first 2 shown]
	ds_read2_b64 v[142:145], v1 offset1:1
	s_waitcnt lgkmcnt(0)
	v_cmp_neq_f64_e32 vcc_lo, 0, v[142:143]
	v_cmp_neq_f64_e64 s1, 0, v[144:145]
	s_or_b32 s1, vcc_lo, s1
	s_and_b32 exec_lo, exec_lo, s1
	s_cbranch_execz .LBB69_251
; %bb.246:
	v_cmp_ngt_f64_e64 s1, |v[142:143]|, |v[144:145]|
                                        ; implicit-def: $vgpr146_vgpr147
	s_and_saveexec_b32 s3, s1
	s_xor_b32 s1, exec_lo, s3
                                        ; implicit-def: $vgpr148_vgpr149
	s_cbranch_execz .LBB69_248
; %bb.247:
	v_div_scale_f64 v[146:147], null, v[144:145], v[144:145], v[142:143]
	v_div_scale_f64 v[152:153], vcc_lo, v[142:143], v[144:145], v[142:143]
	v_rcp_f64_e32 v[148:149], v[146:147]
	v_fma_f64 v[150:151], -v[146:147], v[148:149], 1.0
	v_fma_f64 v[148:149], v[148:149], v[150:151], v[148:149]
	v_fma_f64 v[150:151], -v[146:147], v[148:149], 1.0
	v_fma_f64 v[148:149], v[148:149], v[150:151], v[148:149]
	v_mul_f64 v[150:151], v[152:153], v[148:149]
	v_fma_f64 v[146:147], -v[146:147], v[150:151], v[152:153]
	v_div_fmas_f64 v[146:147], v[146:147], v[148:149], v[150:151]
	v_div_fixup_f64 v[146:147], v[146:147], v[144:145], v[142:143]
	v_fma_f64 v[142:143], v[142:143], v[146:147], v[144:145]
	v_div_scale_f64 v[144:145], null, v[142:143], v[142:143], 1.0
	v_rcp_f64_e32 v[148:149], v[144:145]
	v_fma_f64 v[150:151], -v[144:145], v[148:149], 1.0
	v_fma_f64 v[148:149], v[148:149], v[150:151], v[148:149]
	v_fma_f64 v[150:151], -v[144:145], v[148:149], 1.0
	v_fma_f64 v[148:149], v[148:149], v[150:151], v[148:149]
	v_div_scale_f64 v[150:151], vcc_lo, 1.0, v[142:143], 1.0
	v_mul_f64 v[152:153], v[150:151], v[148:149]
	v_fma_f64 v[144:145], -v[144:145], v[152:153], v[150:151]
	v_div_fmas_f64 v[144:145], v[144:145], v[148:149], v[152:153]
	v_div_fixup_f64 v[148:149], v[144:145], v[142:143], 1.0
                                        ; implicit-def: $vgpr142_vgpr143
	v_mul_f64 v[146:147], v[146:147], v[148:149]
	v_xor_b32_e32 v149, 0x80000000, v149
.LBB69_248:
	s_andn2_saveexec_b32 s1, s1
	s_cbranch_execz .LBB69_250
; %bb.249:
	v_div_scale_f64 v[146:147], null, v[142:143], v[142:143], v[144:145]
	v_div_scale_f64 v[152:153], vcc_lo, v[144:145], v[142:143], v[144:145]
	v_rcp_f64_e32 v[148:149], v[146:147]
	v_fma_f64 v[150:151], -v[146:147], v[148:149], 1.0
	v_fma_f64 v[148:149], v[148:149], v[150:151], v[148:149]
	v_fma_f64 v[150:151], -v[146:147], v[148:149], 1.0
	v_fma_f64 v[148:149], v[148:149], v[150:151], v[148:149]
	v_mul_f64 v[150:151], v[152:153], v[148:149]
	v_fma_f64 v[146:147], -v[146:147], v[150:151], v[152:153]
	v_div_fmas_f64 v[146:147], v[146:147], v[148:149], v[150:151]
	v_div_fixup_f64 v[148:149], v[146:147], v[142:143], v[144:145]
	v_fma_f64 v[142:143], v[144:145], v[148:149], v[142:143]
	v_div_scale_f64 v[144:145], null, v[142:143], v[142:143], 1.0
	v_rcp_f64_e32 v[146:147], v[144:145]
	v_fma_f64 v[150:151], -v[144:145], v[146:147], 1.0
	v_fma_f64 v[146:147], v[146:147], v[150:151], v[146:147]
	v_fma_f64 v[150:151], -v[144:145], v[146:147], 1.0
	v_fma_f64 v[146:147], v[146:147], v[150:151], v[146:147]
	v_div_scale_f64 v[150:151], vcc_lo, 1.0, v[142:143], 1.0
	v_mul_f64 v[152:153], v[150:151], v[146:147]
	v_fma_f64 v[144:145], -v[144:145], v[152:153], v[150:151]
	v_div_fmas_f64 v[144:145], v[144:145], v[146:147], v[152:153]
	v_div_fixup_f64 v[146:147], v[144:145], v[142:143], 1.0
	v_mul_f64 v[148:149], v[148:149], -v[146:147]
.LBB69_250:
	s_or_b32 exec_lo, exec_lo, s1
	ds_write2_b64 v1, v[146:147], v[148:149] offset1:1
.LBB69_251:
	s_or_b32 exec_lo, exec_lo, s2
	s_waitcnt lgkmcnt(0)
	s_barrier
	buffer_gl0_inv
	ds_read2_b64 v[142:145], v1 offset1:1
	s_mov_b32 s1, exec_lo
	s_waitcnt lgkmcnt(0)
	buffer_store_dword v142, off, s[16:19], 0 offset:408 ; 4-byte Folded Spill
	buffer_store_dword v143, off, s[16:19], 0 offset:412 ; 4-byte Folded Spill
	;; [unrolled: 1-line block ×4, first 2 shown]
	v_cmpx_lt_u32_e32 27, v0
	s_cbranch_execz .LBB69_253
; %bb.252:
	s_clause 0x3
	buffer_load_dword v148, off, s[16:19], 0 offset:408
	buffer_load_dword v149, off, s[16:19], 0 offset:412
	buffer_load_dword v150, off, s[16:19], 0 offset:416
	buffer_load_dword v151, off, s[16:19], 0 offset:420
	s_waitcnt vmcnt(2)
	v_mul_f64 v[142:143], v[148:149], v[32:33]
	s_waitcnt vmcnt(0)
	v_mul_f64 v[32:33], v[150:151], v[32:33]
	v_fma_f64 v[146:147], v[150:151], v[30:31], v[142:143]
	ds_read2_b64 v[142:145], v172 offset0:56 offset1:57
	v_fma_f64 v[30:31], v[148:149], v[30:31], -v[32:33]
	s_waitcnt lgkmcnt(0)
	v_mul_f64 v[32:33], v[144:145], v[146:147]
	v_fma_f64 v[32:33], v[142:143], v[30:31], -v[32:33]
	v_mul_f64 v[142:143], v[142:143], v[146:147]
	v_add_f64 v[26:27], v[26:27], -v[32:33]
	v_fma_f64 v[142:143], v[144:145], v[30:31], v[142:143]
	v_add_f64 v[28:29], v[28:29], -v[142:143]
	ds_read2_b64 v[142:145], v172 offset0:58 offset1:59
	s_waitcnt lgkmcnt(0)
	v_mul_f64 v[32:33], v[144:145], v[146:147]
	v_fma_f64 v[32:33], v[142:143], v[30:31], -v[32:33]
	v_mul_f64 v[142:143], v[142:143], v[146:147]
	v_add_f64 v[22:23], v[22:23], -v[32:33]
	v_fma_f64 v[142:143], v[144:145], v[30:31], v[142:143]
	v_add_f64 v[24:25], v[24:25], -v[142:143]
	ds_read2_b64 v[142:145], v172 offset0:60 offset1:61
	;; [unrolled: 8-line block ×6, first 2 shown]
	s_waitcnt lgkmcnt(0)
	v_mul_f64 v[32:33], v[144:145], v[146:147]
	v_fma_f64 v[32:33], v[142:143], v[30:31], -v[32:33]
	v_mul_f64 v[142:143], v[142:143], v[146:147]
	v_add_f64 v[2:3], v[2:3], -v[32:33]
	v_fma_f64 v[142:143], v[144:145], v[30:31], v[142:143]
	v_mov_b32_e32 v32, v146
	v_mov_b32_e32 v33, v147
	v_add_f64 v[4:5], v[4:5], -v[142:143]
.LBB69_253:
	s_or_b32 exec_lo, exec_lo, s1
	s_mov_b32 s2, exec_lo
	s_waitcnt_vscnt null, 0x0
	s_barrier
	buffer_gl0_inv
	v_cmpx_eq_u32_e32 28, v0
	s_cbranch_execz .LBB69_260
; %bb.254:
	ds_write2_b64 v1, v[26:27], v[28:29] offset1:1
	ds_write2_b64 v172, v[22:23], v[24:25] offset0:58 offset1:59
	ds_write2_b64 v172, v[18:19], v[20:21] offset0:60 offset1:61
	;; [unrolled: 1-line block ×6, first 2 shown]
	ds_read2_b64 v[142:145], v1 offset1:1
	s_waitcnt lgkmcnt(0)
	v_cmp_neq_f64_e32 vcc_lo, 0, v[142:143]
	v_cmp_neq_f64_e64 s1, 0, v[144:145]
	s_or_b32 s1, vcc_lo, s1
	s_and_b32 exec_lo, exec_lo, s1
	s_cbranch_execz .LBB69_260
; %bb.255:
	v_cmp_ngt_f64_e64 s1, |v[142:143]|, |v[144:145]|
                                        ; implicit-def: $vgpr146_vgpr147
	s_and_saveexec_b32 s3, s1
	s_xor_b32 s1, exec_lo, s3
                                        ; implicit-def: $vgpr148_vgpr149
	s_cbranch_execz .LBB69_257
; %bb.256:
	v_div_scale_f64 v[146:147], null, v[144:145], v[144:145], v[142:143]
	v_div_scale_f64 v[152:153], vcc_lo, v[142:143], v[144:145], v[142:143]
	v_rcp_f64_e32 v[148:149], v[146:147]
	v_fma_f64 v[150:151], -v[146:147], v[148:149], 1.0
	v_fma_f64 v[148:149], v[148:149], v[150:151], v[148:149]
	v_fma_f64 v[150:151], -v[146:147], v[148:149], 1.0
	v_fma_f64 v[148:149], v[148:149], v[150:151], v[148:149]
	v_mul_f64 v[150:151], v[152:153], v[148:149]
	v_fma_f64 v[146:147], -v[146:147], v[150:151], v[152:153]
	v_div_fmas_f64 v[146:147], v[146:147], v[148:149], v[150:151]
	v_div_fixup_f64 v[146:147], v[146:147], v[144:145], v[142:143]
	v_fma_f64 v[142:143], v[142:143], v[146:147], v[144:145]
	v_div_scale_f64 v[144:145], null, v[142:143], v[142:143], 1.0
	v_rcp_f64_e32 v[148:149], v[144:145]
	v_fma_f64 v[150:151], -v[144:145], v[148:149], 1.0
	v_fma_f64 v[148:149], v[148:149], v[150:151], v[148:149]
	v_fma_f64 v[150:151], -v[144:145], v[148:149], 1.0
	v_fma_f64 v[148:149], v[148:149], v[150:151], v[148:149]
	v_div_scale_f64 v[150:151], vcc_lo, 1.0, v[142:143], 1.0
	v_mul_f64 v[152:153], v[150:151], v[148:149]
	v_fma_f64 v[144:145], -v[144:145], v[152:153], v[150:151]
	v_div_fmas_f64 v[144:145], v[144:145], v[148:149], v[152:153]
	v_div_fixup_f64 v[148:149], v[144:145], v[142:143], 1.0
                                        ; implicit-def: $vgpr142_vgpr143
	v_mul_f64 v[146:147], v[146:147], v[148:149]
	v_xor_b32_e32 v149, 0x80000000, v149
.LBB69_257:
	s_andn2_saveexec_b32 s1, s1
	s_cbranch_execz .LBB69_259
; %bb.258:
	v_div_scale_f64 v[146:147], null, v[142:143], v[142:143], v[144:145]
	v_div_scale_f64 v[152:153], vcc_lo, v[144:145], v[142:143], v[144:145]
	v_rcp_f64_e32 v[148:149], v[146:147]
	v_fma_f64 v[150:151], -v[146:147], v[148:149], 1.0
	v_fma_f64 v[148:149], v[148:149], v[150:151], v[148:149]
	v_fma_f64 v[150:151], -v[146:147], v[148:149], 1.0
	v_fma_f64 v[148:149], v[148:149], v[150:151], v[148:149]
	v_mul_f64 v[150:151], v[152:153], v[148:149]
	v_fma_f64 v[146:147], -v[146:147], v[150:151], v[152:153]
	v_div_fmas_f64 v[146:147], v[146:147], v[148:149], v[150:151]
	v_div_fixup_f64 v[148:149], v[146:147], v[142:143], v[144:145]
	v_fma_f64 v[142:143], v[144:145], v[148:149], v[142:143]
	v_div_scale_f64 v[144:145], null, v[142:143], v[142:143], 1.0
	v_rcp_f64_e32 v[146:147], v[144:145]
	v_fma_f64 v[150:151], -v[144:145], v[146:147], 1.0
	v_fma_f64 v[146:147], v[146:147], v[150:151], v[146:147]
	v_fma_f64 v[150:151], -v[144:145], v[146:147], 1.0
	v_fma_f64 v[146:147], v[146:147], v[150:151], v[146:147]
	v_div_scale_f64 v[150:151], vcc_lo, 1.0, v[142:143], 1.0
	v_mul_f64 v[152:153], v[150:151], v[146:147]
	v_fma_f64 v[144:145], -v[144:145], v[152:153], v[150:151]
	v_div_fmas_f64 v[144:145], v[144:145], v[146:147], v[152:153]
	v_div_fixup_f64 v[146:147], v[144:145], v[142:143], 1.0
	v_mul_f64 v[148:149], v[148:149], -v[146:147]
.LBB69_259:
	s_or_b32 exec_lo, exec_lo, s1
	ds_write2_b64 v1, v[146:147], v[148:149] offset1:1
.LBB69_260:
	s_or_b32 exec_lo, exec_lo, s2
	s_waitcnt lgkmcnt(0)
	s_barrier
	buffer_gl0_inv
	ds_read2_b64 v[142:145], v1 offset1:1
	s_mov_b32 s1, exec_lo
	v_cmpx_lt_u32_e32 28, v0
	s_cbranch_execz .LBB69_262
; %bb.261:
	s_waitcnt lgkmcnt(0)
	v_mul_f64 v[146:147], v[142:143], v[28:29]
	v_mul_f64 v[28:29], v[144:145], v[28:29]
	v_fma_f64 v[150:151], v[144:145], v[26:27], v[146:147]
	ds_read2_b64 v[146:149], v172 offset0:58 offset1:59
	v_fma_f64 v[26:27], v[142:143], v[26:27], -v[28:29]
	s_waitcnt lgkmcnt(0)
	v_mul_f64 v[28:29], v[148:149], v[150:151]
	v_fma_f64 v[28:29], v[146:147], v[26:27], -v[28:29]
	v_mul_f64 v[146:147], v[146:147], v[150:151]
	v_add_f64 v[22:23], v[22:23], -v[28:29]
	v_fma_f64 v[146:147], v[148:149], v[26:27], v[146:147]
	v_add_f64 v[24:25], v[24:25], -v[146:147]
	ds_read2_b64 v[146:149], v172 offset0:60 offset1:61
	s_waitcnt lgkmcnt(0)
	v_mul_f64 v[28:29], v[148:149], v[150:151]
	v_fma_f64 v[28:29], v[146:147], v[26:27], -v[28:29]
	v_mul_f64 v[146:147], v[146:147], v[150:151]
	v_add_f64 v[18:19], v[18:19], -v[28:29]
	v_fma_f64 v[146:147], v[148:149], v[26:27], v[146:147]
	v_add_f64 v[20:21], v[20:21], -v[146:147]
	ds_read2_b64 v[146:149], v172 offset0:62 offset1:63
	;; [unrolled: 8-line block ×5, first 2 shown]
	s_waitcnt lgkmcnt(0)
	v_mul_f64 v[28:29], v[148:149], v[150:151]
	v_fma_f64 v[28:29], v[146:147], v[26:27], -v[28:29]
	v_mul_f64 v[146:147], v[146:147], v[150:151]
	v_add_f64 v[2:3], v[2:3], -v[28:29]
	v_fma_f64 v[146:147], v[148:149], v[26:27], v[146:147]
	v_mov_b32_e32 v28, v150
	v_mov_b32_e32 v29, v151
	v_add_f64 v[4:5], v[4:5], -v[146:147]
.LBB69_262:
	s_or_b32 exec_lo, exec_lo, s1
	s_mov_b32 s2, exec_lo
	s_waitcnt lgkmcnt(0)
	s_barrier
	buffer_gl0_inv
	v_cmpx_eq_u32_e32 29, v0
	s_cbranch_execz .LBB69_269
; %bb.263:
	ds_write2_b64 v1, v[22:23], v[24:25] offset1:1
	ds_write2_b64 v172, v[18:19], v[20:21] offset0:60 offset1:61
	ds_write2_b64 v172, v[14:15], v[16:17] offset0:62 offset1:63
	;; [unrolled: 1-line block ×5, first 2 shown]
	ds_read2_b64 v[146:149], v1 offset1:1
	s_waitcnt lgkmcnt(0)
	v_cmp_neq_f64_e32 vcc_lo, 0, v[146:147]
	v_cmp_neq_f64_e64 s1, 0, v[148:149]
	s_or_b32 s1, vcc_lo, s1
	s_and_b32 exec_lo, exec_lo, s1
	s_cbranch_execz .LBB69_269
; %bb.264:
	v_cmp_ngt_f64_e64 s1, |v[146:147]|, |v[148:149]|
                                        ; implicit-def: $vgpr150_vgpr151
	s_and_saveexec_b32 s3, s1
	s_xor_b32 s1, exec_lo, s3
                                        ; implicit-def: $vgpr152_vgpr153
	s_cbranch_execz .LBB69_266
; %bb.265:
	v_div_scale_f64 v[150:151], null, v[148:149], v[148:149], v[146:147]
	v_div_scale_f64 v[156:157], vcc_lo, v[146:147], v[148:149], v[146:147]
	v_rcp_f64_e32 v[152:153], v[150:151]
	v_fma_f64 v[154:155], -v[150:151], v[152:153], 1.0
	v_fma_f64 v[152:153], v[152:153], v[154:155], v[152:153]
	v_fma_f64 v[154:155], -v[150:151], v[152:153], 1.0
	v_fma_f64 v[152:153], v[152:153], v[154:155], v[152:153]
	v_mul_f64 v[154:155], v[156:157], v[152:153]
	v_fma_f64 v[150:151], -v[150:151], v[154:155], v[156:157]
	v_div_fmas_f64 v[150:151], v[150:151], v[152:153], v[154:155]
	v_div_fixup_f64 v[150:151], v[150:151], v[148:149], v[146:147]
	v_fma_f64 v[146:147], v[146:147], v[150:151], v[148:149]
	v_div_scale_f64 v[148:149], null, v[146:147], v[146:147], 1.0
	v_rcp_f64_e32 v[152:153], v[148:149]
	v_fma_f64 v[154:155], -v[148:149], v[152:153], 1.0
	v_fma_f64 v[152:153], v[152:153], v[154:155], v[152:153]
	v_fma_f64 v[154:155], -v[148:149], v[152:153], 1.0
	v_fma_f64 v[152:153], v[152:153], v[154:155], v[152:153]
	v_div_scale_f64 v[154:155], vcc_lo, 1.0, v[146:147], 1.0
	v_mul_f64 v[156:157], v[154:155], v[152:153]
	v_fma_f64 v[148:149], -v[148:149], v[156:157], v[154:155]
	v_div_fmas_f64 v[148:149], v[148:149], v[152:153], v[156:157]
	v_div_fixup_f64 v[152:153], v[148:149], v[146:147], 1.0
                                        ; implicit-def: $vgpr146_vgpr147
	v_mul_f64 v[150:151], v[150:151], v[152:153]
	v_xor_b32_e32 v153, 0x80000000, v153
.LBB69_266:
	s_andn2_saveexec_b32 s1, s1
	s_cbranch_execz .LBB69_268
; %bb.267:
	v_div_scale_f64 v[150:151], null, v[146:147], v[146:147], v[148:149]
	v_div_scale_f64 v[156:157], vcc_lo, v[148:149], v[146:147], v[148:149]
	v_rcp_f64_e32 v[152:153], v[150:151]
	v_fma_f64 v[154:155], -v[150:151], v[152:153], 1.0
	v_fma_f64 v[152:153], v[152:153], v[154:155], v[152:153]
	v_fma_f64 v[154:155], -v[150:151], v[152:153], 1.0
	v_fma_f64 v[152:153], v[152:153], v[154:155], v[152:153]
	v_mul_f64 v[154:155], v[156:157], v[152:153]
	v_fma_f64 v[150:151], -v[150:151], v[154:155], v[156:157]
	v_div_fmas_f64 v[150:151], v[150:151], v[152:153], v[154:155]
	v_div_fixup_f64 v[152:153], v[150:151], v[146:147], v[148:149]
	v_fma_f64 v[146:147], v[148:149], v[152:153], v[146:147]
	v_div_scale_f64 v[148:149], null, v[146:147], v[146:147], 1.0
	v_rcp_f64_e32 v[150:151], v[148:149]
	v_fma_f64 v[154:155], -v[148:149], v[150:151], 1.0
	v_fma_f64 v[150:151], v[150:151], v[154:155], v[150:151]
	v_fma_f64 v[154:155], -v[148:149], v[150:151], 1.0
	v_fma_f64 v[150:151], v[150:151], v[154:155], v[150:151]
	v_div_scale_f64 v[154:155], vcc_lo, 1.0, v[146:147], 1.0
	v_mul_f64 v[156:157], v[154:155], v[150:151]
	v_fma_f64 v[148:149], -v[148:149], v[156:157], v[154:155]
	v_div_fmas_f64 v[148:149], v[148:149], v[150:151], v[156:157]
	v_div_fixup_f64 v[150:151], v[148:149], v[146:147], 1.0
	v_mul_f64 v[152:153], v[152:153], -v[150:151]
.LBB69_268:
	s_or_b32 exec_lo, exec_lo, s1
	ds_write2_b64 v1, v[150:151], v[152:153] offset1:1
.LBB69_269:
	s_or_b32 exec_lo, exec_lo, s2
	s_waitcnt lgkmcnt(0)
	s_barrier
	buffer_gl0_inv
	ds_read2_b64 v[146:149], v1 offset1:1
	s_mov_b32 s1, exec_lo
	v_cmpx_lt_u32_e32 29, v0
	s_cbranch_execz .LBB69_271
; %bb.270:
	s_waitcnt lgkmcnt(0)
	v_mul_f64 v[150:151], v[146:147], v[24:25]
	v_mul_f64 v[24:25], v[148:149], v[24:25]
	v_fma_f64 v[154:155], v[148:149], v[22:23], v[150:151]
	ds_read2_b64 v[150:153], v172 offset0:60 offset1:61
	v_fma_f64 v[22:23], v[146:147], v[22:23], -v[24:25]
	s_waitcnt lgkmcnt(0)
	v_mul_f64 v[24:25], v[152:153], v[154:155]
	v_fma_f64 v[24:25], v[150:151], v[22:23], -v[24:25]
	v_mul_f64 v[150:151], v[150:151], v[154:155]
	v_add_f64 v[18:19], v[18:19], -v[24:25]
	v_fma_f64 v[150:151], v[152:153], v[22:23], v[150:151]
	v_add_f64 v[20:21], v[20:21], -v[150:151]
	ds_read2_b64 v[150:153], v172 offset0:62 offset1:63
	s_waitcnt lgkmcnt(0)
	v_mul_f64 v[24:25], v[152:153], v[154:155]
	v_fma_f64 v[24:25], v[150:151], v[22:23], -v[24:25]
	v_mul_f64 v[150:151], v[150:151], v[154:155]
	v_add_f64 v[14:15], v[14:15], -v[24:25]
	v_fma_f64 v[150:151], v[152:153], v[22:23], v[150:151]
	v_add_f64 v[16:17], v[16:17], -v[150:151]
	ds_read2_b64 v[150:153], v172 offset0:64 offset1:65
	;; [unrolled: 8-line block ×4, first 2 shown]
	s_waitcnt lgkmcnt(0)
	v_mul_f64 v[24:25], v[152:153], v[154:155]
	v_fma_f64 v[24:25], v[150:151], v[22:23], -v[24:25]
	v_mul_f64 v[150:151], v[150:151], v[154:155]
	v_add_f64 v[2:3], v[2:3], -v[24:25]
	v_fma_f64 v[150:151], v[152:153], v[22:23], v[150:151]
	v_mov_b32_e32 v24, v154
	v_mov_b32_e32 v25, v155
	v_add_f64 v[4:5], v[4:5], -v[150:151]
.LBB69_271:
	s_or_b32 exec_lo, exec_lo, s1
	s_mov_b32 s2, exec_lo
	s_waitcnt lgkmcnt(0)
	s_barrier
	buffer_gl0_inv
	v_cmpx_eq_u32_e32 30, v0
	s_cbranch_execz .LBB69_278
; %bb.272:
	ds_write2_b64 v1, v[18:19], v[20:21] offset1:1
	ds_write2_b64 v172, v[14:15], v[16:17] offset0:62 offset1:63
	ds_write2_b64 v172, v[10:11], v[12:13] offset0:64 offset1:65
	;; [unrolled: 1-line block ×4, first 2 shown]
	ds_read2_b64 v[150:153], v1 offset1:1
	s_waitcnt lgkmcnt(0)
	v_cmp_neq_f64_e32 vcc_lo, 0, v[150:151]
	v_cmp_neq_f64_e64 s1, 0, v[152:153]
	s_or_b32 s1, vcc_lo, s1
	s_and_b32 exec_lo, exec_lo, s1
	s_cbranch_execz .LBB69_278
; %bb.273:
	v_cmp_ngt_f64_e64 s1, |v[150:151]|, |v[152:153]|
                                        ; implicit-def: $vgpr154_vgpr155
	s_and_saveexec_b32 s3, s1
	s_xor_b32 s1, exec_lo, s3
                                        ; implicit-def: $vgpr156_vgpr157
	s_cbranch_execz .LBB69_275
; %bb.274:
	v_div_scale_f64 v[154:155], null, v[152:153], v[152:153], v[150:151]
	v_div_scale_f64 v[160:161], vcc_lo, v[150:151], v[152:153], v[150:151]
	v_rcp_f64_e32 v[156:157], v[154:155]
	v_fma_f64 v[158:159], -v[154:155], v[156:157], 1.0
	v_fma_f64 v[156:157], v[156:157], v[158:159], v[156:157]
	v_fma_f64 v[158:159], -v[154:155], v[156:157], 1.0
	v_fma_f64 v[156:157], v[156:157], v[158:159], v[156:157]
	v_mul_f64 v[158:159], v[160:161], v[156:157]
	v_fma_f64 v[154:155], -v[154:155], v[158:159], v[160:161]
	v_div_fmas_f64 v[154:155], v[154:155], v[156:157], v[158:159]
	v_div_fixup_f64 v[154:155], v[154:155], v[152:153], v[150:151]
	v_fma_f64 v[150:151], v[150:151], v[154:155], v[152:153]
	v_div_scale_f64 v[152:153], null, v[150:151], v[150:151], 1.0
	v_rcp_f64_e32 v[156:157], v[152:153]
	v_fma_f64 v[158:159], -v[152:153], v[156:157], 1.0
	v_fma_f64 v[156:157], v[156:157], v[158:159], v[156:157]
	v_fma_f64 v[158:159], -v[152:153], v[156:157], 1.0
	v_fma_f64 v[156:157], v[156:157], v[158:159], v[156:157]
	v_div_scale_f64 v[158:159], vcc_lo, 1.0, v[150:151], 1.0
	v_mul_f64 v[160:161], v[158:159], v[156:157]
	v_fma_f64 v[152:153], -v[152:153], v[160:161], v[158:159]
	v_div_fmas_f64 v[152:153], v[152:153], v[156:157], v[160:161]
	v_div_fixup_f64 v[156:157], v[152:153], v[150:151], 1.0
                                        ; implicit-def: $vgpr150_vgpr151
	v_mul_f64 v[154:155], v[154:155], v[156:157]
	v_xor_b32_e32 v157, 0x80000000, v157
.LBB69_275:
	s_andn2_saveexec_b32 s1, s1
	s_cbranch_execz .LBB69_277
; %bb.276:
	v_div_scale_f64 v[154:155], null, v[150:151], v[150:151], v[152:153]
	v_div_scale_f64 v[160:161], vcc_lo, v[152:153], v[150:151], v[152:153]
	v_rcp_f64_e32 v[156:157], v[154:155]
	v_fma_f64 v[158:159], -v[154:155], v[156:157], 1.0
	v_fma_f64 v[156:157], v[156:157], v[158:159], v[156:157]
	v_fma_f64 v[158:159], -v[154:155], v[156:157], 1.0
	v_fma_f64 v[156:157], v[156:157], v[158:159], v[156:157]
	v_mul_f64 v[158:159], v[160:161], v[156:157]
	v_fma_f64 v[154:155], -v[154:155], v[158:159], v[160:161]
	v_div_fmas_f64 v[154:155], v[154:155], v[156:157], v[158:159]
	v_div_fixup_f64 v[156:157], v[154:155], v[150:151], v[152:153]
	v_fma_f64 v[150:151], v[152:153], v[156:157], v[150:151]
	v_div_scale_f64 v[152:153], null, v[150:151], v[150:151], 1.0
	v_rcp_f64_e32 v[154:155], v[152:153]
	v_fma_f64 v[158:159], -v[152:153], v[154:155], 1.0
	v_fma_f64 v[154:155], v[154:155], v[158:159], v[154:155]
	v_fma_f64 v[158:159], -v[152:153], v[154:155], 1.0
	v_fma_f64 v[154:155], v[154:155], v[158:159], v[154:155]
	v_div_scale_f64 v[158:159], vcc_lo, 1.0, v[150:151], 1.0
	v_mul_f64 v[160:161], v[158:159], v[154:155]
	v_fma_f64 v[152:153], -v[152:153], v[160:161], v[158:159]
	v_div_fmas_f64 v[152:153], v[152:153], v[154:155], v[160:161]
	v_div_fixup_f64 v[154:155], v[152:153], v[150:151], 1.0
	v_mul_f64 v[156:157], v[156:157], -v[154:155]
.LBB69_277:
	s_or_b32 exec_lo, exec_lo, s1
	ds_write2_b64 v1, v[154:155], v[156:157] offset1:1
.LBB69_278:
	s_or_b32 exec_lo, exec_lo, s2
	s_waitcnt lgkmcnt(0)
	s_barrier
	buffer_gl0_inv
	ds_read2_b64 v[150:153], v1 offset1:1
	s_mov_b32 s1, exec_lo
	v_cmpx_lt_u32_e32 30, v0
	s_cbranch_execz .LBB69_280
; %bb.279:
	s_waitcnt lgkmcnt(0)
	v_mul_f64 v[154:155], v[150:151], v[20:21]
	v_mul_f64 v[20:21], v[152:153], v[20:21]
	v_fma_f64 v[158:159], v[152:153], v[18:19], v[154:155]
	ds_read2_b64 v[154:157], v172 offset0:62 offset1:63
	v_fma_f64 v[18:19], v[150:151], v[18:19], -v[20:21]
	s_waitcnt lgkmcnt(0)
	v_mul_f64 v[20:21], v[156:157], v[158:159]
	v_fma_f64 v[20:21], v[154:155], v[18:19], -v[20:21]
	v_mul_f64 v[154:155], v[154:155], v[158:159]
	v_add_f64 v[14:15], v[14:15], -v[20:21]
	v_fma_f64 v[154:155], v[156:157], v[18:19], v[154:155]
	v_add_f64 v[16:17], v[16:17], -v[154:155]
	ds_read2_b64 v[154:157], v172 offset0:64 offset1:65
	s_waitcnt lgkmcnt(0)
	v_mul_f64 v[20:21], v[156:157], v[158:159]
	v_fma_f64 v[20:21], v[154:155], v[18:19], -v[20:21]
	v_mul_f64 v[154:155], v[154:155], v[158:159]
	v_add_f64 v[10:11], v[10:11], -v[20:21]
	v_fma_f64 v[154:155], v[156:157], v[18:19], v[154:155]
	v_add_f64 v[12:13], v[12:13], -v[154:155]
	ds_read2_b64 v[154:157], v172 offset0:66 offset1:67
	;; [unrolled: 8-line block ×3, first 2 shown]
	s_waitcnt lgkmcnt(0)
	v_mul_f64 v[20:21], v[156:157], v[158:159]
	v_fma_f64 v[20:21], v[154:155], v[18:19], -v[20:21]
	v_mul_f64 v[154:155], v[154:155], v[158:159]
	v_add_f64 v[2:3], v[2:3], -v[20:21]
	v_fma_f64 v[154:155], v[156:157], v[18:19], v[154:155]
	v_mov_b32_e32 v20, v158
	v_mov_b32_e32 v21, v159
	v_add_f64 v[4:5], v[4:5], -v[154:155]
.LBB69_280:
	s_or_b32 exec_lo, exec_lo, s1
	s_mov_b32 s2, exec_lo
	s_waitcnt lgkmcnt(0)
	s_barrier
	buffer_gl0_inv
	v_cmpx_eq_u32_e32 31, v0
	s_cbranch_execz .LBB69_287
; %bb.281:
	ds_write2_b64 v1, v[14:15], v[16:17] offset1:1
	ds_write2_b64 v172, v[10:11], v[12:13] offset0:64 offset1:65
	ds_write2_b64 v172, v[6:7], v[8:9] offset0:66 offset1:67
	;; [unrolled: 1-line block ×3, first 2 shown]
	ds_read2_b64 v[154:157], v1 offset1:1
	s_waitcnt lgkmcnt(0)
	v_cmp_neq_f64_e32 vcc_lo, 0, v[154:155]
	v_cmp_neq_f64_e64 s1, 0, v[156:157]
	s_or_b32 s1, vcc_lo, s1
	s_and_b32 exec_lo, exec_lo, s1
	s_cbranch_execz .LBB69_287
; %bb.282:
	v_cmp_ngt_f64_e64 s1, |v[154:155]|, |v[156:157]|
                                        ; implicit-def: $vgpr158_vgpr159
	s_and_saveexec_b32 s3, s1
	s_xor_b32 s1, exec_lo, s3
                                        ; implicit-def: $vgpr160_vgpr161
	s_cbranch_execz .LBB69_284
; %bb.283:
	v_div_scale_f64 v[158:159], null, v[156:157], v[156:157], v[154:155]
	v_div_scale_f64 v[164:165], vcc_lo, v[154:155], v[156:157], v[154:155]
	v_rcp_f64_e32 v[160:161], v[158:159]
	v_fma_f64 v[162:163], -v[158:159], v[160:161], 1.0
	v_fma_f64 v[160:161], v[160:161], v[162:163], v[160:161]
	v_fma_f64 v[162:163], -v[158:159], v[160:161], 1.0
	v_fma_f64 v[160:161], v[160:161], v[162:163], v[160:161]
	v_mul_f64 v[162:163], v[164:165], v[160:161]
	v_fma_f64 v[158:159], -v[158:159], v[162:163], v[164:165]
	v_div_fmas_f64 v[158:159], v[158:159], v[160:161], v[162:163]
	v_div_fixup_f64 v[158:159], v[158:159], v[156:157], v[154:155]
	v_fma_f64 v[154:155], v[154:155], v[158:159], v[156:157]
	v_div_scale_f64 v[156:157], null, v[154:155], v[154:155], 1.0
	v_rcp_f64_e32 v[160:161], v[156:157]
	v_fma_f64 v[162:163], -v[156:157], v[160:161], 1.0
	v_fma_f64 v[160:161], v[160:161], v[162:163], v[160:161]
	v_fma_f64 v[162:163], -v[156:157], v[160:161], 1.0
	v_fma_f64 v[160:161], v[160:161], v[162:163], v[160:161]
	v_div_scale_f64 v[162:163], vcc_lo, 1.0, v[154:155], 1.0
	v_mul_f64 v[164:165], v[162:163], v[160:161]
	v_fma_f64 v[156:157], -v[156:157], v[164:165], v[162:163]
	v_div_fmas_f64 v[156:157], v[156:157], v[160:161], v[164:165]
	v_div_fixup_f64 v[160:161], v[156:157], v[154:155], 1.0
                                        ; implicit-def: $vgpr154_vgpr155
	v_mul_f64 v[158:159], v[158:159], v[160:161]
	v_xor_b32_e32 v161, 0x80000000, v161
.LBB69_284:
	s_andn2_saveexec_b32 s1, s1
	s_cbranch_execz .LBB69_286
; %bb.285:
	v_div_scale_f64 v[158:159], null, v[154:155], v[154:155], v[156:157]
	v_div_scale_f64 v[164:165], vcc_lo, v[156:157], v[154:155], v[156:157]
	v_rcp_f64_e32 v[160:161], v[158:159]
	v_fma_f64 v[162:163], -v[158:159], v[160:161], 1.0
	v_fma_f64 v[160:161], v[160:161], v[162:163], v[160:161]
	v_fma_f64 v[162:163], -v[158:159], v[160:161], 1.0
	v_fma_f64 v[160:161], v[160:161], v[162:163], v[160:161]
	v_mul_f64 v[162:163], v[164:165], v[160:161]
	v_fma_f64 v[158:159], -v[158:159], v[162:163], v[164:165]
	v_div_fmas_f64 v[158:159], v[158:159], v[160:161], v[162:163]
	v_div_fixup_f64 v[160:161], v[158:159], v[154:155], v[156:157]
	v_fma_f64 v[154:155], v[156:157], v[160:161], v[154:155]
	v_div_scale_f64 v[156:157], null, v[154:155], v[154:155], 1.0
	v_rcp_f64_e32 v[158:159], v[156:157]
	v_fma_f64 v[162:163], -v[156:157], v[158:159], 1.0
	v_fma_f64 v[158:159], v[158:159], v[162:163], v[158:159]
	v_fma_f64 v[162:163], -v[156:157], v[158:159], 1.0
	v_fma_f64 v[158:159], v[158:159], v[162:163], v[158:159]
	v_div_scale_f64 v[162:163], vcc_lo, 1.0, v[154:155], 1.0
	v_mul_f64 v[164:165], v[162:163], v[158:159]
	v_fma_f64 v[156:157], -v[156:157], v[164:165], v[162:163]
	v_div_fmas_f64 v[156:157], v[156:157], v[158:159], v[164:165]
	v_div_fixup_f64 v[158:159], v[156:157], v[154:155], 1.0
	v_mul_f64 v[160:161], v[160:161], -v[158:159]
.LBB69_286:
	s_or_b32 exec_lo, exec_lo, s1
	ds_write2_b64 v1, v[158:159], v[160:161] offset1:1
.LBB69_287:
	s_or_b32 exec_lo, exec_lo, s2
	s_waitcnt lgkmcnt(0)
	s_barrier
	buffer_gl0_inv
	ds_read2_b64 v[154:157], v1 offset1:1
	s_mov_b32 s1, exec_lo
	v_cmpx_lt_u32_e32 31, v0
	s_cbranch_execz .LBB69_289
; %bb.288:
	s_waitcnt lgkmcnt(0)
	v_mul_f64 v[158:159], v[154:155], v[16:17]
	v_mul_f64 v[16:17], v[156:157], v[16:17]
	v_fma_f64 v[162:163], v[156:157], v[14:15], v[158:159]
	ds_read2_b64 v[158:161], v172 offset0:64 offset1:65
	v_fma_f64 v[14:15], v[154:155], v[14:15], -v[16:17]
	s_waitcnt lgkmcnt(0)
	v_mul_f64 v[16:17], v[160:161], v[162:163]
	v_fma_f64 v[16:17], v[158:159], v[14:15], -v[16:17]
	v_mul_f64 v[158:159], v[158:159], v[162:163]
	v_add_f64 v[10:11], v[10:11], -v[16:17]
	v_fma_f64 v[158:159], v[160:161], v[14:15], v[158:159]
	v_add_f64 v[12:13], v[12:13], -v[158:159]
	ds_read2_b64 v[158:161], v172 offset0:66 offset1:67
	s_waitcnt lgkmcnt(0)
	v_mul_f64 v[16:17], v[160:161], v[162:163]
	v_fma_f64 v[16:17], v[158:159], v[14:15], -v[16:17]
	v_mul_f64 v[158:159], v[158:159], v[162:163]
	v_add_f64 v[6:7], v[6:7], -v[16:17]
	v_fma_f64 v[158:159], v[160:161], v[14:15], v[158:159]
	v_add_f64 v[8:9], v[8:9], -v[158:159]
	ds_read2_b64 v[158:161], v172 offset0:68 offset1:69
	s_waitcnt lgkmcnt(0)
	v_mul_f64 v[16:17], v[160:161], v[162:163]
	v_fma_f64 v[16:17], v[158:159], v[14:15], -v[16:17]
	v_mul_f64 v[158:159], v[158:159], v[162:163]
	v_add_f64 v[2:3], v[2:3], -v[16:17]
	v_fma_f64 v[158:159], v[160:161], v[14:15], v[158:159]
	v_mov_b32_e32 v16, v162
	v_mov_b32_e32 v17, v163
	v_add_f64 v[4:5], v[4:5], -v[158:159]
.LBB69_289:
	s_or_b32 exec_lo, exec_lo, s1
	s_mov_b32 s2, exec_lo
	s_waitcnt lgkmcnt(0)
	s_barrier
	buffer_gl0_inv
	v_cmpx_eq_u32_e32 32, v0
	s_cbranch_execz .LBB69_296
; %bb.290:
	ds_write2_b64 v1, v[10:11], v[12:13] offset1:1
	ds_write2_b64 v172, v[6:7], v[8:9] offset0:66 offset1:67
	ds_write2_b64 v172, v[2:3], v[4:5] offset0:68 offset1:69
	ds_read2_b64 v[158:161], v1 offset1:1
	s_waitcnt lgkmcnt(0)
	v_cmp_neq_f64_e32 vcc_lo, 0, v[158:159]
	v_cmp_neq_f64_e64 s1, 0, v[160:161]
	s_or_b32 s1, vcc_lo, s1
	s_and_b32 exec_lo, exec_lo, s1
	s_cbranch_execz .LBB69_296
; %bb.291:
	v_cmp_ngt_f64_e64 s1, |v[158:159]|, |v[160:161]|
                                        ; implicit-def: $vgpr162_vgpr163
	s_and_saveexec_b32 s3, s1
	s_xor_b32 s1, exec_lo, s3
                                        ; implicit-def: $vgpr164_vgpr165
	s_cbranch_execz .LBB69_293
; %bb.292:
	v_div_scale_f64 v[162:163], null, v[160:161], v[160:161], v[158:159]
	v_div_scale_f64 v[168:169], vcc_lo, v[158:159], v[160:161], v[158:159]
	v_rcp_f64_e32 v[164:165], v[162:163]
	v_fma_f64 v[166:167], -v[162:163], v[164:165], 1.0
	v_fma_f64 v[164:165], v[164:165], v[166:167], v[164:165]
	v_fma_f64 v[166:167], -v[162:163], v[164:165], 1.0
	v_fma_f64 v[164:165], v[164:165], v[166:167], v[164:165]
	v_mul_f64 v[166:167], v[168:169], v[164:165]
	v_fma_f64 v[162:163], -v[162:163], v[166:167], v[168:169]
	v_div_fmas_f64 v[162:163], v[162:163], v[164:165], v[166:167]
	v_div_fixup_f64 v[162:163], v[162:163], v[160:161], v[158:159]
	v_fma_f64 v[158:159], v[158:159], v[162:163], v[160:161]
	v_div_scale_f64 v[160:161], null, v[158:159], v[158:159], 1.0
	v_rcp_f64_e32 v[164:165], v[160:161]
	v_fma_f64 v[166:167], -v[160:161], v[164:165], 1.0
	v_fma_f64 v[164:165], v[164:165], v[166:167], v[164:165]
	v_fma_f64 v[166:167], -v[160:161], v[164:165], 1.0
	v_fma_f64 v[164:165], v[164:165], v[166:167], v[164:165]
	v_div_scale_f64 v[166:167], vcc_lo, 1.0, v[158:159], 1.0
	v_mul_f64 v[168:169], v[166:167], v[164:165]
	v_fma_f64 v[160:161], -v[160:161], v[168:169], v[166:167]
	v_div_fmas_f64 v[160:161], v[160:161], v[164:165], v[168:169]
	v_div_fixup_f64 v[164:165], v[160:161], v[158:159], 1.0
                                        ; implicit-def: $vgpr158_vgpr159
	v_mul_f64 v[162:163], v[162:163], v[164:165]
	v_xor_b32_e32 v165, 0x80000000, v165
.LBB69_293:
	s_andn2_saveexec_b32 s1, s1
	s_cbranch_execz .LBB69_295
; %bb.294:
	v_div_scale_f64 v[162:163], null, v[158:159], v[158:159], v[160:161]
	v_div_scale_f64 v[168:169], vcc_lo, v[160:161], v[158:159], v[160:161]
	v_rcp_f64_e32 v[164:165], v[162:163]
	v_fma_f64 v[166:167], -v[162:163], v[164:165], 1.0
	v_fma_f64 v[164:165], v[164:165], v[166:167], v[164:165]
	v_fma_f64 v[166:167], -v[162:163], v[164:165], 1.0
	v_fma_f64 v[164:165], v[164:165], v[166:167], v[164:165]
	v_mul_f64 v[166:167], v[168:169], v[164:165]
	v_fma_f64 v[162:163], -v[162:163], v[166:167], v[168:169]
	v_div_fmas_f64 v[162:163], v[162:163], v[164:165], v[166:167]
	v_div_fixup_f64 v[164:165], v[162:163], v[158:159], v[160:161]
	v_fma_f64 v[158:159], v[160:161], v[164:165], v[158:159]
	v_div_scale_f64 v[160:161], null, v[158:159], v[158:159], 1.0
	v_rcp_f64_e32 v[162:163], v[160:161]
	v_fma_f64 v[166:167], -v[160:161], v[162:163], 1.0
	v_fma_f64 v[162:163], v[162:163], v[166:167], v[162:163]
	v_fma_f64 v[166:167], -v[160:161], v[162:163], 1.0
	v_fma_f64 v[162:163], v[162:163], v[166:167], v[162:163]
	v_div_scale_f64 v[166:167], vcc_lo, 1.0, v[158:159], 1.0
	v_mul_f64 v[168:169], v[166:167], v[162:163]
	v_fma_f64 v[160:161], -v[160:161], v[168:169], v[166:167]
	v_div_fmas_f64 v[160:161], v[160:161], v[162:163], v[168:169]
	v_div_fixup_f64 v[162:163], v[160:161], v[158:159], 1.0
	v_mul_f64 v[164:165], v[164:165], -v[162:163]
.LBB69_295:
	s_or_b32 exec_lo, exec_lo, s1
	ds_write2_b64 v1, v[162:163], v[164:165] offset1:1
.LBB69_296:
	s_or_b32 exec_lo, exec_lo, s2
	s_waitcnt lgkmcnt(0)
	s_barrier
	buffer_gl0_inv
	ds_read2_b64 v[158:161], v1 offset1:1
	s_mov_b32 s1, exec_lo
	v_cmpx_lt_u32_e32 32, v0
	s_cbranch_execz .LBB69_298
; %bb.297:
	s_waitcnt lgkmcnt(0)
	v_mul_f64 v[162:163], v[158:159], v[12:13]
	v_mul_f64 v[12:13], v[160:161], v[12:13]
	v_fma_f64 v[166:167], v[160:161], v[10:11], v[162:163]
	ds_read2_b64 v[162:165], v172 offset0:66 offset1:67
	v_fma_f64 v[10:11], v[158:159], v[10:11], -v[12:13]
	s_waitcnt lgkmcnt(0)
	v_mul_f64 v[12:13], v[164:165], v[166:167]
	v_fma_f64 v[12:13], v[162:163], v[10:11], -v[12:13]
	v_mul_f64 v[162:163], v[162:163], v[166:167]
	v_add_f64 v[6:7], v[6:7], -v[12:13]
	v_fma_f64 v[162:163], v[164:165], v[10:11], v[162:163]
	v_add_f64 v[8:9], v[8:9], -v[162:163]
	ds_read2_b64 v[162:165], v172 offset0:68 offset1:69
	s_waitcnt lgkmcnt(0)
	v_mul_f64 v[12:13], v[164:165], v[166:167]
	v_fma_f64 v[12:13], v[162:163], v[10:11], -v[12:13]
	v_mul_f64 v[162:163], v[162:163], v[166:167]
	v_add_f64 v[2:3], v[2:3], -v[12:13]
	v_fma_f64 v[162:163], v[164:165], v[10:11], v[162:163]
	v_mov_b32_e32 v12, v166
	v_mov_b32_e32 v13, v167
	v_add_f64 v[4:5], v[4:5], -v[162:163]
.LBB69_298:
	s_or_b32 exec_lo, exec_lo, s1
	s_mov_b32 s2, exec_lo
	s_waitcnt lgkmcnt(0)
	s_barrier
	buffer_gl0_inv
	v_cmpx_eq_u32_e32 33, v0
	s_cbranch_execz .LBB69_305
; %bb.299:
	ds_write2_b64 v1, v[6:7], v[8:9] offset1:1
	ds_write2_b64 v172, v[2:3], v[4:5] offset0:68 offset1:69
	ds_read2_b64 v[162:165], v1 offset1:1
	s_waitcnt lgkmcnt(0)
	v_cmp_neq_f64_e32 vcc_lo, 0, v[162:163]
	v_cmp_neq_f64_e64 s1, 0, v[164:165]
	s_or_b32 s1, vcc_lo, s1
	s_and_b32 exec_lo, exec_lo, s1
	s_cbranch_execz .LBB69_305
; %bb.300:
	v_cmp_ngt_f64_e64 s1, |v[162:163]|, |v[164:165]|
                                        ; implicit-def: $vgpr166_vgpr167
	s_and_saveexec_b32 s3, s1
	s_xor_b32 s1, exec_lo, s3
                                        ; implicit-def: $vgpr168_vgpr169
	s_cbranch_execz .LBB69_302
; %bb.301:
	v_div_scale_f64 v[166:167], null, v[164:165], v[164:165], v[162:163]
	v_div_scale_f64 v[175:176], vcc_lo, v[162:163], v[164:165], v[162:163]
	v_rcp_f64_e32 v[168:169], v[166:167]
	v_fma_f64 v[173:174], -v[166:167], v[168:169], 1.0
	v_fma_f64 v[168:169], v[168:169], v[173:174], v[168:169]
	v_fma_f64 v[173:174], -v[166:167], v[168:169], 1.0
	v_fma_f64 v[168:169], v[168:169], v[173:174], v[168:169]
	v_mul_f64 v[173:174], v[175:176], v[168:169]
	v_fma_f64 v[166:167], -v[166:167], v[173:174], v[175:176]
	v_div_fmas_f64 v[166:167], v[166:167], v[168:169], v[173:174]
	v_div_fixup_f64 v[166:167], v[166:167], v[164:165], v[162:163]
	v_fma_f64 v[162:163], v[162:163], v[166:167], v[164:165]
	v_div_scale_f64 v[164:165], null, v[162:163], v[162:163], 1.0
	v_rcp_f64_e32 v[168:169], v[164:165]
	v_fma_f64 v[173:174], -v[164:165], v[168:169], 1.0
	v_fma_f64 v[168:169], v[168:169], v[173:174], v[168:169]
	v_fma_f64 v[173:174], -v[164:165], v[168:169], 1.0
	v_fma_f64 v[168:169], v[168:169], v[173:174], v[168:169]
	v_div_scale_f64 v[173:174], vcc_lo, 1.0, v[162:163], 1.0
	v_mul_f64 v[175:176], v[173:174], v[168:169]
	v_fma_f64 v[164:165], -v[164:165], v[175:176], v[173:174]
	v_div_fmas_f64 v[164:165], v[164:165], v[168:169], v[175:176]
	v_div_fixup_f64 v[168:169], v[164:165], v[162:163], 1.0
                                        ; implicit-def: $vgpr162_vgpr163
	v_mul_f64 v[166:167], v[166:167], v[168:169]
	v_xor_b32_e32 v169, 0x80000000, v169
.LBB69_302:
	s_andn2_saveexec_b32 s1, s1
	s_cbranch_execz .LBB69_304
; %bb.303:
	v_div_scale_f64 v[166:167], null, v[162:163], v[162:163], v[164:165]
	v_div_scale_f64 v[175:176], vcc_lo, v[164:165], v[162:163], v[164:165]
	v_rcp_f64_e32 v[168:169], v[166:167]
	v_fma_f64 v[173:174], -v[166:167], v[168:169], 1.0
	v_fma_f64 v[168:169], v[168:169], v[173:174], v[168:169]
	v_fma_f64 v[173:174], -v[166:167], v[168:169], 1.0
	v_fma_f64 v[168:169], v[168:169], v[173:174], v[168:169]
	v_mul_f64 v[173:174], v[175:176], v[168:169]
	v_fma_f64 v[166:167], -v[166:167], v[173:174], v[175:176]
	v_div_fmas_f64 v[166:167], v[166:167], v[168:169], v[173:174]
	v_div_fixup_f64 v[168:169], v[166:167], v[162:163], v[164:165]
	v_fma_f64 v[162:163], v[164:165], v[168:169], v[162:163]
	v_div_scale_f64 v[164:165], null, v[162:163], v[162:163], 1.0
	v_rcp_f64_e32 v[166:167], v[164:165]
	v_fma_f64 v[173:174], -v[164:165], v[166:167], 1.0
	v_fma_f64 v[166:167], v[166:167], v[173:174], v[166:167]
	v_fma_f64 v[173:174], -v[164:165], v[166:167], 1.0
	v_fma_f64 v[166:167], v[166:167], v[173:174], v[166:167]
	v_div_scale_f64 v[173:174], vcc_lo, 1.0, v[162:163], 1.0
	v_mul_f64 v[175:176], v[173:174], v[166:167]
	v_fma_f64 v[164:165], -v[164:165], v[175:176], v[173:174]
	v_div_fmas_f64 v[164:165], v[164:165], v[166:167], v[175:176]
	v_div_fixup_f64 v[166:167], v[164:165], v[162:163], 1.0
	v_mul_f64 v[168:169], v[168:169], -v[166:167]
.LBB69_304:
	s_or_b32 exec_lo, exec_lo, s1
	ds_write2_b64 v1, v[166:167], v[168:169] offset1:1
.LBB69_305:
	s_or_b32 exec_lo, exec_lo, s2
	s_waitcnt lgkmcnt(0)
	s_barrier
	buffer_gl0_inv
	ds_read2_b64 v[162:165], v1 offset1:1
	s_mov_b32 s1, exec_lo
	v_cmpx_lt_u32_e32 33, v0
	s_cbranch_execz .LBB69_307
; %bb.306:
	s_waitcnt lgkmcnt(0)
	v_mul_f64 v[166:167], v[162:163], v[8:9]
	v_mul_f64 v[8:9], v[164:165], v[8:9]
	v_fma_f64 v[173:174], v[164:165], v[6:7], v[166:167]
	ds_read2_b64 v[166:169], v172 offset0:68 offset1:69
	v_fma_f64 v[6:7], v[162:163], v[6:7], -v[8:9]
	s_waitcnt lgkmcnt(0)
	v_mul_f64 v[8:9], v[168:169], v[173:174]
	v_fma_f64 v[8:9], v[166:167], v[6:7], -v[8:9]
	v_mul_f64 v[166:167], v[166:167], v[173:174]
	v_add_f64 v[2:3], v[2:3], -v[8:9]
	v_fma_f64 v[166:167], v[168:169], v[6:7], v[166:167]
	v_mov_b32_e32 v8, v173
	v_mov_b32_e32 v9, v174
	v_add_f64 v[4:5], v[4:5], -v[166:167]
.LBB69_307:
	s_or_b32 exec_lo, exec_lo, s1
	s_mov_b32 s2, exec_lo
	s_waitcnt lgkmcnt(0)
	s_barrier
	buffer_gl0_inv
	v_cmpx_eq_u32_e32 34, v0
	s_cbranch_execz .LBB69_314
; %bb.308:
	v_cmp_neq_f64_e32 vcc_lo, 0, v[2:3]
	v_cmp_neq_f64_e64 s1, 0, v[4:5]
	ds_write2_b64 v1, v[2:3], v[4:5] offset1:1
	s_or_b32 s1, vcc_lo, s1
	s_and_b32 exec_lo, exec_lo, s1
	s_cbranch_execz .LBB69_314
; %bb.309:
	v_cmp_ngt_f64_e64 s1, |v[2:3]|, |v[4:5]|
                                        ; implicit-def: $vgpr166_vgpr167
	s_mov_b32 s3, exec_lo
	s_and_b32 s4, s3, s1
                                        ; implicit-def: $vgpr168_vgpr169
	buffer_store_dword v18, off, s[16:19], 0 offset:424 ; 4-byte Folded Spill
	buffer_store_dword v19, off, s[16:19], 0 offset:428 ; 4-byte Folded Spill
	;; [unrolled: 1-line block ×4, first 2 shown]
	s_xor_b32 s1, s4, s3
	s_mov_b32 exec_lo, s4
	s_cbranch_execz .LBB69_311
; %bb.310:
	v_div_scale_f64 v[166:167], null, v[4:5], v[4:5], v[2:3]
	v_div_scale_f64 v[174:175], vcc_lo, v[2:3], v[4:5], v[2:3]
	v_mov_b32_e32 v18, v22
	v_mov_b32_e32 v19, v23
	;; [unrolled: 1-line block ×18, first 2 shown]
	v_rcp_f64_e32 v[168:169], v[166:167]
	v_mov_b32_e32 v32, v36
	v_mov_b32_e32 v33, v37
	;; [unrolled: 1-line block ×23, first 2 shown]
	v_fma_f64 v[172:173], -v[166:167], v[168:169], 1.0
	v_mov_b32_e32 v55, v59
	v_mov_b32_e32 v56, v60
	v_mov_b32_e32 v57, v61
	v_mov_b32_e32 v58, v62
	v_mov_b32_e32 v59, v63
	v_mov_b32_e32 v60, v64
	v_mov_b32_e32 v61, v65
	v_mov_b32_e32 v62, v66
	v_mov_b32_e32 v63, v67
	v_mov_b32_e32 v64, v68
	v_mov_b32_e32 v65, v69
	v_mov_b32_e32 v66, v146
	v_mov_b32_e32 v67, v147
	v_mov_b32_e32 v68, v148
	v_mov_b32_e32 v69, v149
	v_mov_b32_e32 v149, v73
	v_mov_b32_e32 v148, v72
	v_mov_b32_e32 v147, v71
	v_mov_b32_e32 v146, v70
	v_mov_b32_e32 v70, v74
	v_mov_b32_e32 v71, v75
	v_fma_f64 v[168:169], v[168:169], v[172:173], v[168:169]
	v_mov_b32_e32 v72, v76
	v_mov_b32_e32 v73, v77
	;; [unrolled: 1-line block ×21, first 2 shown]
	v_fma_f64 v[172:173], -v[166:167], v[168:169], 1.0
	v_mov_b32_e32 v93, v97
	v_mov_b32_e32 v94, v98
	;; [unrolled: 1-line block ×21, first 2 shown]
	v_fma_f64 v[168:169], v[168:169], v[172:173], v[168:169]
	v_mov_b32_e32 v110, v114
	v_mov_b32_e32 v111, v115
	;; [unrolled: 1-line block ×21, first 2 shown]
	v_mul_f64 v[172:173], v[174:175], v[168:169]
	v_mov_b32_e32 v139, v246
	v_mov_b32_e32 v140, v247
	;; [unrolled: 1-line block ×21, first 2 shown]
	v_fma_f64 v[166:167], -v[166:167], v[172:173], v[174:175]
	v_mov_b32_e32 v241, v238
	v_mov_b32_e32 v240, v237
	;; [unrolled: 1-line block ×21, first 2 shown]
	v_div_fmas_f64 v[166:167], v[166:167], v[168:169], v[172:173]
	v_mov_b32_e32 v220, v217
	v_mov_b32_e32 v219, v216
	;; [unrolled: 1-line block ×21, first 2 shown]
	v_div_fixup_f64 v[166:167], v[166:167], v[4:5], v[2:3]
	v_mov_b32_e32 v198, v254
	v_mov_b32_e32 v199, v255
	;; [unrolled: 1-line block ×18, first 2 shown]
	v_fma_f64 v[168:169], v[2:3], v[166:167], v[4:5]
	v_mov_b32_e32 v181, v184
	v_mov_b32_e32 v182, v185
	;; [unrolled: 1-line block ×21, first 2 shown]
	v_div_scale_f64 v[172:173], null, v[168:169], v[168:169], 1.0
	v_mov_b32_e32 v200, v203
	v_mov_b32_e32 v201, v204
	;; [unrolled: 1-line block ×20, first 2 shown]
	v_rcp_f64_e32 v[174:175], v[172:173]
	v_mov_b32_e32 v220, v223
	v_mov_b32_e32 v221, v224
	;; [unrolled: 1-line block ×23, first 2 shown]
	v_fma_f64 v[176:177], -v[172:173], v[174:175], 1.0
	v_mov_b32_e32 v243, v246
	v_mov_b32_e32 v244, v247
	v_fma_f64 v[174:175], v[174:175], v[176:177], v[174:175]
	v_fma_f64 v[176:177], -v[172:173], v[174:175], 1.0
	v_fma_f64 v[174:175], v[174:175], v[176:177], v[174:175]
	v_div_scale_f64 v[176:177], vcc_lo, 1.0, v[168:169], 1.0
	v_mul_f64 v[178:179], v[176:177], v[174:175]
	v_fma_f64 v[172:173], -v[172:173], v[178:179], v[176:177]
	v_div_fmas_f64 v[172:173], v[172:173], v[174:175], v[178:179]
	v_mov_b32_e32 v180, v137
	v_mov_b32_e32 v179, v136
	;; [unrolled: 1-line block ×140, first 2 shown]
	s_clause 0x3
	buffer_load_dword v18, off, s[16:19], 0 offset:424
	buffer_load_dword v19, off, s[16:19], 0 offset:428
	;; [unrolled: 1-line block ×4, first 2 shown]
	v_div_fixup_f64 v[168:169], v[172:173], v[168:169], 1.0
	v_mul_f64 v[166:167], v[166:167], v[168:169]
	v_xor_b32_e32 v169, 0x80000000, v169
.LBB69_311:
	s_andn2_saveexec_b32 s1, s1
	s_cbranch_execz .LBB69_313
; %bb.312:
	v_div_scale_f64 v[166:167], null, v[2:3], v[2:3], v[4:5]
	v_div_scale_f64 v[174:175], vcc_lo, v[4:5], v[2:3], v[4:5]
	s_waitcnt vmcnt(0)
	v_mov_b32_e32 v18, v22
	v_mov_b32_e32 v19, v23
	v_mov_b32_e32 v20, v24
	v_mov_b32_e32 v21, v25
	v_mov_b32_e32 v22, v150
	v_mov_b32_e32 v23, v151
	v_mov_b32_e32 v24, v152
	v_mov_b32_e32 v25, v153
	v_mov_b32_e32 v153, v29
	v_mov_b32_e32 v152, v28
	v_mov_b32_e32 v151, v27
	v_mov_b32_e32 v150, v26
	v_mov_b32_e32 v26, v30
	v_mov_b32_e32 v27, v31
	v_mov_b32_e32 v28, v32
	v_mov_b32_e32 v29, v33
	v_mov_b32_e32 v30, v34
	v_mov_b32_e32 v31, v35
	v_rcp_f64_e32 v[168:169], v[166:167]
	v_mov_b32_e32 v32, v36
	v_mov_b32_e32 v33, v37
	;; [unrolled: 1-line block ×23, first 2 shown]
	v_fma_f64 v[172:173], -v[166:167], v[168:169], 1.0
	v_mov_b32_e32 v55, v59
	v_mov_b32_e32 v56, v60
	;; [unrolled: 1-line block ×21, first 2 shown]
	v_fma_f64 v[168:169], v[168:169], v[172:173], v[168:169]
	v_mov_b32_e32 v72, v76
	v_mov_b32_e32 v73, v77
	;; [unrolled: 1-line block ×21, first 2 shown]
	v_fma_f64 v[172:173], -v[166:167], v[168:169], 1.0
	v_mov_b32_e32 v93, v97
	v_mov_b32_e32 v94, v98
	;; [unrolled: 1-line block ×21, first 2 shown]
	v_fma_f64 v[168:169], v[168:169], v[172:173], v[168:169]
	v_mov_b32_e32 v110, v114
	v_mov_b32_e32 v111, v115
	;; [unrolled: 1-line block ×21, first 2 shown]
	v_mul_f64 v[172:173], v[174:175], v[168:169]
	v_mov_b32_e32 v139, v246
	v_mov_b32_e32 v140, v247
	;; [unrolled: 1-line block ×21, first 2 shown]
	v_fma_f64 v[166:167], -v[166:167], v[172:173], v[174:175]
	v_mov_b32_e32 v241, v238
	v_mov_b32_e32 v240, v237
	;; [unrolled: 1-line block ×21, first 2 shown]
	v_div_fmas_f64 v[166:167], v[166:167], v[168:169], v[172:173]
	v_mov_b32_e32 v220, v217
	v_mov_b32_e32 v219, v216
	;; [unrolled: 1-line block ×21, first 2 shown]
	v_div_fixup_f64 v[168:169], v[166:167], v[2:3], v[4:5]
	v_mov_b32_e32 v198, v254
	v_mov_b32_e32 v199, v255
	;; [unrolled: 1-line block ×18, first 2 shown]
	v_fma_f64 v[166:167], v[4:5], v[168:169], v[2:3]
	v_mov_b32_e32 v181, v184
	v_mov_b32_e32 v182, v185
	;; [unrolled: 1-line block ×21, first 2 shown]
	v_div_scale_f64 v[172:173], null, v[166:167], v[166:167], 1.0
	v_mov_b32_e32 v200, v203
	v_mov_b32_e32 v201, v204
	;; [unrolled: 1-line block ×20, first 2 shown]
	v_rcp_f64_e32 v[174:175], v[172:173]
	v_mov_b32_e32 v220, v223
	v_mov_b32_e32 v221, v224
	;; [unrolled: 1-line block ×23, first 2 shown]
	v_fma_f64 v[176:177], -v[172:173], v[174:175], 1.0
	v_mov_b32_e32 v243, v246
	v_mov_b32_e32 v244, v247
	v_fma_f64 v[174:175], v[174:175], v[176:177], v[174:175]
	v_fma_f64 v[176:177], -v[172:173], v[174:175], 1.0
	v_fma_f64 v[174:175], v[174:175], v[176:177], v[174:175]
	v_div_scale_f64 v[176:177], vcc_lo, 1.0, v[166:167], 1.0
	v_mul_f64 v[178:179], v[176:177], v[174:175]
	v_fma_f64 v[172:173], -v[172:173], v[178:179], v[176:177]
	v_div_fmas_f64 v[172:173], v[172:173], v[174:175], v[178:179]
	v_mov_b32_e32 v180, v137
	v_mov_b32_e32 v179, v136
	v_mov_b32_e32 v178, v135
	v_mov_b32_e32 v177, v134
	v_mov_b32_e32 v137, v133
	v_mov_b32_e32 v136, v132
	v_mov_b32_e32 v135, v131
	v_mov_b32_e32 v134, v130
	v_mov_b32_e32 v130, v248
	v_mov_b32_e32 v131, v249
	v_mov_b32_e32 v132, v250
	v_mov_b32_e32 v133, v251
	v_mov_b32_e32 v248, v141
	v_mov_b32_e32 v247, v140
	v_mov_b32_e32 v246, v139
	v_mov_b32_e32 v245, v138
	v_mov_b32_e32 v141, v129
	v_mov_b32_e32 v140, v128
	v_mov_b32_e32 v139, v127
	v_mov_b32_e32 v138, v126
	v_mov_b32_e32 v129, v125
	v_mov_b32_e32 v128, v124
	v_mov_b32_e32 v127, v123
	v_mov_b32_e32 v126, v122
	v_mov_b32_e32 v125, v121
	v_mov_b32_e32 v124, v120
	v_mov_b32_e32 v123, v119
	v_mov_b32_e32 v122, v118
	v_mov_b32_e32 v121, v117
	v_mov_b32_e32 v120, v116
	v_mov_b32_e32 v119, v115
	v_mov_b32_e32 v118, v114
	v_mov_b32_e32 v117, v113
	v_mov_b32_e32 v116, v112
	v_mov_b32_e32 v115, v111
	v_mov_b32_e32 v114, v110
	v_mov_b32_e32 v113, v109
	v_mov_b32_e32 v112, v108
	v_mov_b32_e32 v111, v107
	v_mov_b32_e32 v110, v106
	v_mov_b32_e32 v106, v142
	v_mov_b32_e32 v107, v143
	v_mov_b32_e32 v108, v144
	v_mov_b32_e32 v109, v145
	v_mov_b32_e32 v145, v105
	v_mov_b32_e32 v144, v104
	v_mov_b32_e32 v143, v103
	v_mov_b32_e32 v142, v102
	v_mov_b32_e32 v105, v101
	v_mov_b32_e32 v104, v100
	v_mov_b32_e32 v103, v99
	v_mov_b32_e32 v102, v98
	v_mov_b32_e32 v101, v97
	v_mov_b32_e32 v100, v96
	v_mov_b32_e32 v99, v95
	v_mov_b32_e32 v98, v94
	v_mov_b32_e32 v97, v93
	v_mov_b32_e32 v96, v92
	v_mov_b32_e32 v95, v91
	v_mov_b32_e32 v94, v90
	v_mov_b32_e32 v93, v89
	v_mov_b32_e32 v92, v88
	v_mov_b32_e32 v91, v87
	v_mov_b32_e32 v90, v86
	v_mov_b32_e32 v89, v85
	v_mov_b32_e32 v88, v84
	v_mov_b32_e32 v87, v83
	v_mov_b32_e32 v86, v82
	v_mov_b32_e32 v85, v81
	v_mov_b32_e32 v84, v80
	v_mov_b32_e32 v83, v79
	v_mov_b32_e32 v82, v78
	v_mov_b32_e32 v81, v77
	v_mov_b32_e32 v80, v76
	v_mov_b32_e32 v79, v75
	v_mov_b32_e32 v78, v74
	v_mov_b32_e32 v77, v73
	v_mov_b32_e32 v76, v72
	v_mov_b32_e32 v75, v71
	v_mov_b32_e32 v74, v70
	v_mov_b32_e32 v70, v146
	v_mov_b32_e32 v71, v147
	v_mov_b32_e32 v72, v148
	v_mov_b32_e32 v73, v149
	v_mov_b32_e32 v149, v69
	v_mov_b32_e32 v148, v68
	v_mov_b32_e32 v147, v67
	v_mov_b32_e32 v146, v66
	v_mov_b32_e32 v69, v65
	v_mov_b32_e32 v68, v64
	v_mov_b32_e32 v67, v63
	v_mov_b32_e32 v66, v62
	v_mov_b32_e32 v65, v61
	v_mov_b32_e32 v64, v60
	v_mov_b32_e32 v63, v59
	v_mov_b32_e32 v62, v58
	v_mov_b32_e32 v61, v57
	v_mov_b32_e32 v60, v56
	v_mov_b32_e32 v59, v55
	v_mov_b32_e32 v58, v54
	v_mov_b32_e32 v57, v53
	v_mov_b32_e32 v56, v52
	v_mov_b32_e32 v55, v51
	v_mov_b32_e32 v54, v50
	v_mov_b32_e32 v53, v49
	v_mov_b32_e32 v52, v48
	v_mov_b32_e32 v51, v47
	v_mov_b32_e32 v50, v46
	v_mov_b32_e32 v49, v45
	v_mov_b32_e32 v48, v44
	v_mov_b32_e32 v47, v43
	v_mov_b32_e32 v46, v42
	v_mov_b32_e32 v45, v41
	v_mov_b32_e32 v44, v40
	v_mov_b32_e32 v43, v39
	v_mov_b32_e32 v42, v38
	v_mov_b32_e32 v41, v37
	v_mov_b32_e32 v40, v36
	v_mov_b32_e32 v39, v35
	v_mov_b32_e32 v38, v34
	v_mov_b32_e32 v37, v33
	v_mov_b32_e32 v36, v32
	v_mov_b32_e32 v35, v31
	v_mov_b32_e32 v34, v30
	v_mov_b32_e32 v33, v29
	v_mov_b32_e32 v32, v28
	v_mov_b32_e32 v31, v27
	v_mov_b32_e32 v30, v26
	v_mov_b32_e32 v26, v150
	v_mov_b32_e32 v27, v151
	v_mov_b32_e32 v28, v152
	v_mov_b32_e32 v29, v153
	v_mov_b32_e32 v153, v25
	v_mov_b32_e32 v152, v24
	v_mov_b32_e32 v151, v23
	v_mov_b32_e32 v150, v22
	v_mov_b32_e32 v25, v21
	v_mov_b32_e32 v24, v20
	v_mov_b32_e32 v23, v19
	v_mov_b32_e32 v22, v18
	s_clause 0x3
	buffer_load_dword v18, off, s[16:19], 0 offset:424
	buffer_load_dword v19, off, s[16:19], 0 offset:428
	buffer_load_dword v20, off, s[16:19], 0 offset:432
	buffer_load_dword v21, off, s[16:19], 0 offset:436
	v_div_fixup_f64 v[166:167], v[172:173], v[166:167], 1.0
	v_mul_f64 v[168:169], v[168:169], -v[166:167]
.LBB69_313:
	s_or_b32 exec_lo, exec_lo, s1
	ds_write2_b64 v1, v[166:167], v[168:169] offset1:1
.LBB69_314:
	s_or_b32 exec_lo, exec_lo, s2
	s_waitcnt vmcnt(0) lgkmcnt(0)
	s_waitcnt_vscnt null, 0x0
	s_barrier
	buffer_gl0_inv
	ds_read2_b64 v[166:169], v1 offset1:1
	s_mov_b32 s1, exec_lo
	v_cmpx_lt_u32_e32 34, v0
	s_cbranch_execz .LBB69_316
; %bb.315:
	s_waitcnt lgkmcnt(0)
	v_mul_f64 v[0:1], v[168:169], v[4:5]
	v_mul_f64 v[4:5], v[166:167], v[4:5]
	v_fma_f64 v[0:1], v[166:167], v[2:3], -v[0:1]
	v_fma_f64 v[4:5], v[168:169], v[2:3], v[4:5]
	v_mov_b32_e32 v3, v1
	v_mov_b32_e32 v2, v0
.LBB69_316:
	s_or_b32 exec_lo, exec_lo, s1
	s_waitcnt lgkmcnt(0)
	s_barrier
	buffer_gl0_inv
	s_and_saveexec_b32 s6, s0
	s_cbranch_execz .LBB69_319
; %bb.317:
	s_clause 0x3
	buffer_load_dword v172, off, s[16:19], 0
	buffer_load_dword v173, off, s[16:19], 0 offset:4
	buffer_load_dword v174, off, s[16:19], 0 offset:8
	;; [unrolled: 1-line block ×3, first 2 shown]
	v_cmp_eq_f64_e64 s3, 0, v[138:139]
	v_cmp_eq_f64_e64 s4, 0, v[140:141]
	s_clause 0x3
	buffer_load_dword v138, off, s[16:19], 0 offset:24
	buffer_load_dword v139, off, s[16:19], 0 offset:28
	;; [unrolled: 1-line block ×4, first 2 shown]
	v_cmp_neq_f64_e64 s1, 0, v[245:246]
	v_cmp_neq_f64_e64 s2, 0, v[247:248]
	s_and_b32 s3, s3, s4
	s_or_b32 s1, s1, s2
	s_waitcnt vmcnt(6)
	v_cmp_eq_f64_e32 vcc_lo, 0, v[172:173]
	s_waitcnt vmcnt(4)
	v_cmp_eq_f64_e64 s0, 0, v[174:175]
	s_waitcnt vmcnt(2)
	v_cmp_eq_f64_e64 s5, 0, v[138:139]
	s_and_b32 s0, vcc_lo, s0
	s_waitcnt vmcnt(0)
	v_cmp_eq_f64_e32 vcc_lo, 0, v[140:141]
	s_clause 0x3
	buffer_load_dword v138, off, s[16:19], 0 offset:40
	buffer_load_dword v139, off, s[16:19], 0 offset:44
	buffer_load_dword v140, off, s[16:19], 0 offset:48
	buffer_load_dword v141, off, s[16:19], 0 offset:52
	v_cndmask_b32_e64 v0, 0, 1, s0
	s_or_b32 s0, s1, s0
	v_cndmask_b32_e64 v0, 2, v0, s0
	v_cmp_eq_u32_e64 s0, 0, v0
	s_and_b32 s0, s3, s0
	v_cndmask_b32_e64 v0, v0, 3, s0
	s_and_b32 s5, s5, vcc_lo
	v_cmp_eq_u32_e64 s0, 0, v0
	s_and_b32 s0, s5, s0
	v_cndmask_b32_e64 v0, v0, 4, s0
	v_cmp_eq_u32_e64 s5, 0, v0
	s_waitcnt vmcnt(2)
	v_cmp_eq_f64_e64 s1, 0, v[138:139]
	s_waitcnt vmcnt(0)
	v_cmp_eq_f64_e64 s2, 0, v[140:141]
	s_clause 0x3
	buffer_load_dword v138, off, s[16:19], 0 offset:56
	buffer_load_dword v139, off, s[16:19], 0 offset:60
	;; [unrolled: 1-line block ×4, first 2 shown]
	s_and_b32 s1, s1, s2
	s_and_b32 s1, s1, s5
	v_cndmask_b32_e64 v172, v0, 5, s1
	v_lshlrev_b64 v[0:1], 2, v[223:224]
	s_waitcnt vmcnt(2)
	v_cmp_eq_f64_e64 s3, 0, v[138:139]
	s_waitcnt vmcnt(0)
	v_cmp_eq_f64_e64 s4, 0, v[140:141]
	s_clause 0x3
	buffer_load_dword v138, off, s[16:19], 0 offset:72
	buffer_load_dword v139, off, s[16:19], 0 offset:76
	;; [unrolled: 1-line block ×4, first 2 shown]
	s_and_b32 s5, s3, s4
	v_add_co_u32 v0, s4, s10, v0
	v_add_co_ci_u32_e64 v1, null, s11, v1, s4
	v_cmp_eq_u32_e64 s3, 0, v172
	s_and_b32 s3, s5, s3
	v_cndmask_b32_e64 v172, v172, 6, s3
	v_cmp_eq_u32_e64 s3, 0, v172
	s_waitcnt vmcnt(2)
	v_cmp_eq_f64_e32 vcc_lo, 0, v[138:139]
	s_waitcnt vmcnt(0)
	v_cmp_eq_f64_e64 s0, 0, v[140:141]
	s_clause 0x3
	buffer_load_dword v138, off, s[16:19], 0 offset:88
	buffer_load_dword v139, off, s[16:19], 0 offset:92
	;; [unrolled: 1-line block ×4, first 2 shown]
	global_load_dword v173, v[0:1], off
	s_and_b32 s0, vcc_lo, s0
	s_and_b32 s0, s0, s3
	v_cndmask_b32_e64 v172, v172, 7, s0
	v_cmp_eq_u32_e32 vcc_lo, 0, v172
	s_waitcnt vmcnt(3)
	v_cmp_eq_f64_e64 s1, 0, v[138:139]
	s_waitcnt vmcnt(1)
	v_cmp_eq_f64_e64 s2, 0, v[140:141]
	s_clause 0x3
	buffer_load_dword v138, off, s[16:19], 0 offset:104
	buffer_load_dword v139, off, s[16:19], 0 offset:108
	buffer_load_dword v140, off, s[16:19], 0 offset:112
	buffer_load_dword v141, off, s[16:19], 0 offset:116
	s_and_b32 s1, s1, s2
	s_and_b32 s1, s1, vcc_lo
	v_cndmask_b32_e64 v172, v172, 8, s1
	v_cmp_eq_u32_e32 vcc_lo, 0, v172
	s_waitcnt vmcnt(2)
	v_cmp_eq_f64_e64 s4, 0, v[138:139]
	s_waitcnt vmcnt(0)
	v_cmp_eq_f64_e64 s5, 0, v[140:141]
	s_clause 0x3
	buffer_load_dword v138, off, s[16:19], 0 offset:120
	buffer_load_dword v139, off, s[16:19], 0 offset:124
	buffer_load_dword v140, off, s[16:19], 0 offset:128
	buffer_load_dword v141, off, s[16:19], 0 offset:132
	s_and_b32 s4, s4, s5
	s_and_b32 s4, s4, vcc_lo
	;; [unrolled: 13-line block ×18, first 2 shown]
	v_cndmask_b32_e64 v172, v172, 25, s0
	v_cmp_eq_u32_e32 vcc_lo, 0, v172
	s_waitcnt vmcnt(2)
	v_cmp_eq_f64_e64 s1, 0, v[138:139]
	s_waitcnt vmcnt(0)
	v_cmp_eq_f64_e64 s2, 0, v[140:141]
	s_clause 0x3
	buffer_load_dword v138, off, s[16:19], 0 offset:392
	buffer_load_dword v139, off, s[16:19], 0 offset:396
	;; [unrolled: 1-line block ×4, first 2 shown]
	s_and_b32 s1, s1, s2
	v_cmp_eq_f64_e64 s2, 0, v[144:145]
	s_and_b32 s1, s1, vcc_lo
	v_cndmask_b32_e64 v172, v172, 26, s1
	v_cmp_eq_f64_e64 s1, 0, v[142:143]
	v_cmp_eq_u32_e32 vcc_lo, 0, v172
	s_and_b32 s1, s1, s2
	v_cmp_eq_f64_e64 s2, 0, v[156:157]
	s_waitcnt vmcnt(2)
	v_cmp_eq_f64_e64 s4, 0, v[138:139]
	s_waitcnt vmcnt(0)
	v_cmp_eq_f64_e64 s5, 0, v[140:141]
	s_clause 0x3
	buffer_load_dword v138, off, s[16:19], 0 offset:408
	buffer_load_dword v139, off, s[16:19], 0 offset:412
	;; [unrolled: 1-line block ×4, first 2 shown]
	s_and_b32 s4, s4, s5
	v_cmp_eq_f64_e64 s5, 0, v[148:149]
	s_and_b32 s4, s4, vcc_lo
	v_cndmask_b32_e64 v142, v172, 27, s4
	v_cmp_eq_f64_e64 s4, 0, v[146:147]
	v_cmp_eq_u32_e32 vcc_lo, 0, v142
	s_and_b32 s4, s4, s5
	v_cmp_eq_f64_e64 s5, 0, v[160:161]
	s_waitcnt vmcnt(2)
	v_cmp_eq_f64_e64 s0, 0, v[138:139]
	s_waitcnt vmcnt(0)
	v_cmp_eq_f64_e64 s3, 0, v[140:141]
	s_and_b32 s0, s0, s3
	v_cmp_eq_f64_e64 s3, 0, v[152:153]
	s_and_b32 s0, s0, vcc_lo
	v_cndmask_b32_e64 v142, v142, 28, s0
	v_cmp_eq_f64_e64 s0, 0, v[150:151]
	v_cmp_eq_u32_e32 vcc_lo, 0, v142
	s_and_b32 s1, s1, vcc_lo
	v_cndmask_b32_e64 v142, v142, 29, s1
	v_cmp_eq_f64_e64 s1, 0, v[154:155]
	v_cmp_eq_u32_e32 vcc_lo, 0, v142
	s_and_b32 s4, s4, vcc_lo
	s_and_b32 s0, s0, s3
	v_cndmask_b32_e64 v142, v142, 30, s4
	v_cmp_eq_f64_e64 s4, 0, v[158:159]
	v_cmp_eq_f64_e64 s3, 0, v[164:165]
	v_cmp_eq_u32_e32 vcc_lo, 0, v142
	s_and_b32 s0, s0, vcc_lo
	s_and_b32 s1, s1, s2
	v_cndmask_b32_e64 v142, v142, 31, s0
	v_cmp_eq_f64_e64 s0, 0, v[162:163]
	;; [unrolled: 6-line block ×3, first 2 shown]
	v_cmp_eq_u32_e32 vcc_lo, 0, v142
	s_and_b32 s4, s4, vcc_lo
	s_and_b32 s0, s0, s3
	v_cndmask_b32_e64 v142, v142, 33, s4
	v_cmp_eq_u32_e32 vcc_lo, 0, v142
	s_and_b32 s0, s0, vcc_lo
	v_cndmask_b32_e64 v142, v142, 34, s0
	s_and_b32 s0, s1, s2
	v_cmp_eq_u32_e32 vcc_lo, 0, v142
	s_and_b32 s0, s0, vcc_lo
	v_cmp_eq_u32_e32 vcc_lo, 0, v173
	v_cndmask_b32_e64 v142, v142, 35, s0
	v_cmp_ne_u32_e64 s0, 0, v142
	s_and_b32 s0, vcc_lo, s0
	s_and_b32 exec_lo, exec_lo, s0
	s_cbranch_execz .LBB69_319
; %bb.318:
	v_add_nc_u32_e32 v142, s13, v142
	global_store_dword v[0:1], v142, off
.LBB69_319:
	s_or_b32 exec_lo, exec_lo, s6
	global_store_dwordx4 v[241:242], v[177:180], off
	global_store_dwordx4 v[243:244], v[134:137], off
	;; [unrolled: 1-line block ×3, first 2 shown]
	s_clause 0x1
	buffer_load_dword v0, off, s[16:19], 0 offset:16
	buffer_load_dword v1, off, s[16:19], 0 offset:20
	s_waitcnt vmcnt(0)
	global_store_dwordx4 v[0:1], v[126:129], off
	global_store_dwordx4 v[252:253], v[122:125], off
	;; [unrolled: 1-line block ×32, first 2 shown]
.LBB69_320:
	s_endpgm
	.section	.rodata,"a",@progbits
	.p2align	6, 0x0
	.amdhsa_kernel _ZN9rocsolver6v33100L23getf2_npvt_small_kernelILi35E19rocblas_complex_numIdEiiPS3_EEvT1_T3_lS5_lPT2_S5_S5_
		.amdhsa_group_segment_fixed_size 0
		.amdhsa_private_segment_fixed_size 444
		.amdhsa_kernarg_size 312
		.amdhsa_user_sgpr_count 6
		.amdhsa_user_sgpr_private_segment_buffer 1
		.amdhsa_user_sgpr_dispatch_ptr 0
		.amdhsa_user_sgpr_queue_ptr 0
		.amdhsa_user_sgpr_kernarg_segment_ptr 1
		.amdhsa_user_sgpr_dispatch_id 0
		.amdhsa_user_sgpr_flat_scratch_init 0
		.amdhsa_user_sgpr_private_segment_size 0
		.amdhsa_wavefront_size32 1
		.amdhsa_uses_dynamic_stack 0
		.amdhsa_system_sgpr_private_segment_wavefront_offset 1
		.amdhsa_system_sgpr_workgroup_id_x 1
		.amdhsa_system_sgpr_workgroup_id_y 1
		.amdhsa_system_sgpr_workgroup_id_z 0
		.amdhsa_system_sgpr_workgroup_info 0
		.amdhsa_system_vgpr_workitem_id 1
		.amdhsa_next_free_vgpr 256
		.amdhsa_next_free_sgpr 20
		.amdhsa_reserve_vcc 1
		.amdhsa_reserve_flat_scratch 0
		.amdhsa_float_round_mode_32 0
		.amdhsa_float_round_mode_16_64 0
		.amdhsa_float_denorm_mode_32 3
		.amdhsa_float_denorm_mode_16_64 3
		.amdhsa_dx10_clamp 1
		.amdhsa_ieee_mode 1
		.amdhsa_fp16_overflow 0
		.amdhsa_workgroup_processor_mode 1
		.amdhsa_memory_ordered 1
		.amdhsa_forward_progress 1
		.amdhsa_shared_vgpr_count 0
		.amdhsa_exception_fp_ieee_invalid_op 0
		.amdhsa_exception_fp_denorm_src 0
		.amdhsa_exception_fp_ieee_div_zero 0
		.amdhsa_exception_fp_ieee_overflow 0
		.amdhsa_exception_fp_ieee_underflow 0
		.amdhsa_exception_fp_ieee_inexact 0
		.amdhsa_exception_int_div_zero 0
	.end_amdhsa_kernel
	.section	.text._ZN9rocsolver6v33100L23getf2_npvt_small_kernelILi35E19rocblas_complex_numIdEiiPS3_EEvT1_T3_lS5_lPT2_S5_S5_,"axG",@progbits,_ZN9rocsolver6v33100L23getf2_npvt_small_kernelILi35E19rocblas_complex_numIdEiiPS3_EEvT1_T3_lS5_lPT2_S5_S5_,comdat
.Lfunc_end69:
	.size	_ZN9rocsolver6v33100L23getf2_npvt_small_kernelILi35E19rocblas_complex_numIdEiiPS3_EEvT1_T3_lS5_lPT2_S5_S5_, .Lfunc_end69-_ZN9rocsolver6v33100L23getf2_npvt_small_kernelILi35E19rocblas_complex_numIdEiiPS3_EEvT1_T3_lS5_lPT2_S5_S5_
                                        ; -- End function
	.set _ZN9rocsolver6v33100L23getf2_npvt_small_kernelILi35E19rocblas_complex_numIdEiiPS3_EEvT1_T3_lS5_lPT2_S5_S5_.num_vgpr, 256
	.set _ZN9rocsolver6v33100L23getf2_npvt_small_kernelILi35E19rocblas_complex_numIdEiiPS3_EEvT1_T3_lS5_lPT2_S5_S5_.num_agpr, 0
	.set _ZN9rocsolver6v33100L23getf2_npvt_small_kernelILi35E19rocblas_complex_numIdEiiPS3_EEvT1_T3_lS5_lPT2_S5_S5_.numbered_sgpr, 20
	.set _ZN9rocsolver6v33100L23getf2_npvt_small_kernelILi35E19rocblas_complex_numIdEiiPS3_EEvT1_T3_lS5_lPT2_S5_S5_.num_named_barrier, 0
	.set _ZN9rocsolver6v33100L23getf2_npvt_small_kernelILi35E19rocblas_complex_numIdEiiPS3_EEvT1_T3_lS5_lPT2_S5_S5_.private_seg_size, 444
	.set _ZN9rocsolver6v33100L23getf2_npvt_small_kernelILi35E19rocblas_complex_numIdEiiPS3_EEvT1_T3_lS5_lPT2_S5_S5_.uses_vcc, 1
	.set _ZN9rocsolver6v33100L23getf2_npvt_small_kernelILi35E19rocblas_complex_numIdEiiPS3_EEvT1_T3_lS5_lPT2_S5_S5_.uses_flat_scratch, 0
	.set _ZN9rocsolver6v33100L23getf2_npvt_small_kernelILi35E19rocblas_complex_numIdEiiPS3_EEvT1_T3_lS5_lPT2_S5_S5_.has_dyn_sized_stack, 0
	.set _ZN9rocsolver6v33100L23getf2_npvt_small_kernelILi35E19rocblas_complex_numIdEiiPS3_EEvT1_T3_lS5_lPT2_S5_S5_.has_recursion, 0
	.set _ZN9rocsolver6v33100L23getf2_npvt_small_kernelILi35E19rocblas_complex_numIdEiiPS3_EEvT1_T3_lS5_lPT2_S5_S5_.has_indirect_call, 0
	.section	.AMDGPU.csdata,"",@progbits
; Kernel info:
; codeLenInByte = 70496
; TotalNumSgprs: 22
; NumVgprs: 256
; ScratchSize: 444
; MemoryBound: 1
; FloatMode: 240
; IeeeMode: 1
; LDSByteSize: 0 bytes/workgroup (compile time only)
; SGPRBlocks: 0
; VGPRBlocks: 31
; NumSGPRsForWavesPerEU: 22
; NumVGPRsForWavesPerEU: 256
; Occupancy: 4
; WaveLimiterHint : 0
; COMPUTE_PGM_RSRC2:SCRATCH_EN: 1
; COMPUTE_PGM_RSRC2:USER_SGPR: 6
; COMPUTE_PGM_RSRC2:TRAP_HANDLER: 0
; COMPUTE_PGM_RSRC2:TGID_X_EN: 1
; COMPUTE_PGM_RSRC2:TGID_Y_EN: 1
; COMPUTE_PGM_RSRC2:TGID_Z_EN: 0
; COMPUTE_PGM_RSRC2:TIDIG_COMP_CNT: 1
	.section	.text._ZN9rocsolver6v33100L18getf2_small_kernelILi36E19rocblas_complex_numIdEiiPS3_EEvT1_T3_lS5_lPS5_llPT2_S5_S5_S7_l,"axG",@progbits,_ZN9rocsolver6v33100L18getf2_small_kernelILi36E19rocblas_complex_numIdEiiPS3_EEvT1_T3_lS5_lPS5_llPT2_S5_S5_S7_l,comdat
	.globl	_ZN9rocsolver6v33100L18getf2_small_kernelILi36E19rocblas_complex_numIdEiiPS3_EEvT1_T3_lS5_lPS5_llPT2_S5_S5_S7_l ; -- Begin function _ZN9rocsolver6v33100L18getf2_small_kernelILi36E19rocblas_complex_numIdEiiPS3_EEvT1_T3_lS5_lPS5_llPT2_S5_S5_S7_l
	.p2align	8
	.type	_ZN9rocsolver6v33100L18getf2_small_kernelILi36E19rocblas_complex_numIdEiiPS3_EEvT1_T3_lS5_lPS5_llPT2_S5_S5_S7_l,@function
_ZN9rocsolver6v33100L18getf2_small_kernelILi36E19rocblas_complex_numIdEiiPS3_EEvT1_T3_lS5_lPS5_llPT2_S5_S5_S7_l: ; @_ZN9rocsolver6v33100L18getf2_small_kernelILi36E19rocblas_complex_numIdEiiPS3_EEvT1_T3_lS5_lPS5_llPT2_S5_S5_S7_l
; %bb.0:
	s_clause 0x1
	s_load_dword s0, s[4:5], 0x6c
	s_load_dwordx2 s[16:17], s[4:5], 0x48
	s_waitcnt lgkmcnt(0)
	s_lshr_b32 s0, s0, 16
	v_mad_u64_u32 v[150:151], null, s7, s0, v[1:2]
	s_mov_b32 s0, exec_lo
	v_cmpx_gt_i32_e64 s16, v150
	s_cbranch_execz .LBB70_759
; %bb.1:
	s_load_dwordx4 s[0:3], s[4:5], 0x50
	v_mov_b32_e32 v152, 0
	v_ashrrev_i32_e32 v151, 31, v150
	v_mov_b32_e32 v153, 0
	s_waitcnt lgkmcnt(0)
	s_cmp_eq_u64 s[0:1], 0
	s_cselect_b32 s16, -1, 0
	s_and_b32 vcc_lo, exec_lo, s16
	s_cbranch_vccnz .LBB70_3
; %bb.2:
	v_mul_lo_u32 v4, s3, v150
	v_mul_lo_u32 v5, s2, v151
	v_mad_u64_u32 v[2:3], null, s2, v150, 0
	v_add3_u32 v3, v3, v5, v4
	v_lshlrev_b64 v[2:3], 2, v[2:3]
	v_add_co_u32 v152, vcc_lo, s0, v2
	v_add_co_ci_u32_e64 v153, null, s1, v3, vcc_lo
.LBB70_3:
	s_clause 0x2
	s_load_dwordx8 s[8:15], s[4:5], 0x20
	s_load_dword s6, s[4:5], 0x18
	s_load_dwordx4 s[0:3], s[4:5], 0x8
	v_lshlrev_b32_e32 v156, 4, v0
	s_clause 0x1
	s_load_dword s18, s[4:5], 0x0
	s_load_dwordx2 s[4:5], s[4:5], 0x40
	s_waitcnt lgkmcnt(0)
	v_mul_lo_u32 v5, s9, v150
	v_mul_lo_u32 v7, s8, v151
	v_mad_u64_u32 v[2:3], null, s8, v150, 0
	v_add3_u32 v4, s6, s6, v0
	s_lshl_b64 s[2:3], s[2:3], 4
	s_ashr_i32 s7, s6, 31
	s_lshl_b64 s[8:9], s[6:7], 4
	v_add_nc_u32_e32 v6, s6, v4
	v_add3_u32 v3, v3, v7, v5
	v_ashrrev_i32_e32 v5, 31, v4
	v_add_nc_u32_e32 v8, s6, v6
	v_lshlrev_b64 v[2:3], 4, v[2:3]
	v_ashrrev_i32_e32 v7, 31, v6
	v_lshlrev_b64 v[4:5], 4, v[4:5]
	v_ashrrev_i32_e32 v9, 31, v8
	v_add_nc_u32_e32 v10, s6, v8
	v_add_co_u32 v12, vcc_lo, s0, v2
	v_add_co_ci_u32_e64 v13, null, s1, v3, vcc_lo
	v_lshlrev_b64 v[2:3], 4, v[8:9]
	v_add_nc_u32_e32 v8, s6, v10
	v_add_co_u32 v157, vcc_lo, v12, s2
	v_ashrrev_i32_e32 v11, 31, v10
	v_lshlrev_b64 v[6:7], 4, v[6:7]
	v_add_nc_u32_e32 v12, s6, v8
	v_add_co_ci_u32_e64 v158, null, s3, v13, vcc_lo
	v_ashrrev_i32_e32 v9, 31, v8
	v_lshlrev_b64 v[10:11], 4, v[10:11]
	v_add_nc_u32_e32 v14, s6, v12
	v_ashrrev_i32_e32 v13, 31, v12
	v_add_co_u32 v4, vcc_lo, v157, v4
	v_add_co_ci_u32_e64 v5, null, v158, v5, vcc_lo
	v_add_nc_u32_e32 v16, s6, v14
	v_ashrrev_i32_e32 v15, 31, v14
	v_add_co_u32 v6, vcc_lo, v157, v6
	v_lshlrev_b64 v[8:9], 4, v[8:9]
	v_add_nc_u32_e32 v18, s6, v16
	v_ashrrev_i32_e32 v17, 31, v16
	v_add_co_ci_u32_e64 v7, null, v158, v7, vcc_lo
	v_add_co_u32 v2, vcc_lo, v157, v2
	v_add_nc_u32_e32 v20, s6, v18
	v_lshlrev_b64 v[12:13], 4, v[12:13]
	v_ashrrev_i32_e32 v19, 31, v18
	v_add_co_ci_u32_e64 v3, null, v158, v3, vcc_lo
	v_add_nc_u32_e32 v22, s6, v20
	v_add_co_u32 v10, vcc_lo, v157, v10
	v_lshlrev_b64 v[14:15], 4, v[14:15]
	v_ashrrev_i32_e32 v21, 31, v20
	v_add_nc_u32_e32 v24, s6, v22
	v_add_co_ci_u32_e64 v11, null, v158, v11, vcc_lo
	v_add_co_u32 v8, vcc_lo, v157, v8
	v_add_nc_u32_e32 v26, s6, v24
	v_lshlrev_b64 v[16:17], 4, v[16:17]
	v_ashrrev_i32_e32 v23, 31, v22
	v_add_co_ci_u32_e64 v9, null, v158, v9, vcc_lo
	v_add_nc_u32_e32 v28, s6, v26
	v_add_co_u32 v12, vcc_lo, v157, v12
	v_lshlrev_b64 v[18:19], 4, v[18:19]
	v_ashrrev_i32_e32 v25, 31, v24
	v_add_nc_u32_e32 v30, s6, v28
	;; [unrolled: 11-line block ×4, first 2 shown]
	v_add_co_ci_u32_e64 v21, null, v158, v21, vcc_lo
	v_add_co_u32 v22, vcc_lo, v157, v22
	v_add_nc_u32_e32 v44, s6, v42
	v_lshlrev_b64 v[28:29], 4, v[28:29]
	v_ashrrev_i32_e32 v35, 31, v34
	v_add_co_ci_u32_e64 v23, null, v158, v23, vcc_lo
	v_add_co_u32 v24, vcc_lo, v157, v24
	v_lshlrev_b64 v[30:31], 4, v[30:31]
	v_ashrrev_i32_e32 v37, 31, v36
	v_add_nc_u32_e32 v46, s6, v44
	v_add_co_ci_u32_e64 v25, null, v158, v25, vcc_lo
	v_add_co_u32 v26, vcc_lo, v157, v26
	v_lshlrev_b64 v[32:33], 4, v[32:33]
	v_ashrrev_i32_e32 v39, 31, v38
	v_add_co_ci_u32_e64 v27, null, v158, v27, vcc_lo
	v_add_co_u32 v28, vcc_lo, v157, v28
	v_lshlrev_b64 v[34:35], 4, v[34:35]
	v_ashrrev_i32_e32 v41, 31, v40
	v_add_co_ci_u32_e64 v29, null, v158, v29, vcc_lo
	v_add_co_u32 v30, vcc_lo, v157, v30
	v_lshlrev_b64 v[36:37], 4, v[36:37]
	v_add_nc_u32_e32 v48, s6, v46
	v_ashrrev_i32_e32 v43, 31, v42
	v_add_co_ci_u32_e64 v31, null, v158, v31, vcc_lo
	v_add_co_u32 v32, vcc_lo, v157, v32
	v_lshlrev_b64 v[38:39], 4, v[38:39]
	v_ashrrev_i32_e32 v45, 31, v44
	v_add_co_ci_u32_e64 v33, null, v158, v33, vcc_lo
	v_add_co_u32 v34, vcc_lo, v157, v34
	v_lshlrev_b64 v[40:41], 4, v[40:41]
	v_ashrrev_i32_e32 v47, 31, v46
	v_add_nc_u32_e32 v50, s6, v48
	v_add_co_ci_u32_e64 v35, null, v158, v35, vcc_lo
	v_add_co_u32 v36, vcc_lo, v157, v36
	v_lshlrev_b64 v[42:43], 4, v[42:43]
	v_ashrrev_i32_e32 v49, 31, v48
	v_add_co_ci_u32_e64 v37, null, v158, v37, vcc_lo
	v_add_co_u32 v38, vcc_lo, v157, v38
	v_lshlrev_b64 v[44:45], 4, v[44:45]
	v_add_co_ci_u32_e64 v39, null, v158, v39, vcc_lo
	v_add_co_u32 v40, vcc_lo, v157, v40
	v_lshlrev_b64 v[46:47], 4, v[46:47]
	v_add_nc_u32_e32 v52, s6, v50
	v_add_co_ci_u32_e64 v41, null, v158, v41, vcc_lo
	v_add_co_u32 v42, vcc_lo, v157, v42
	v_lshlrev_b64 v[48:49], 4, v[48:49]
	v_ashrrev_i32_e32 v51, 31, v50
	v_add_co_ci_u32_e64 v43, null, v158, v43, vcc_lo
	v_add_co_u32 v44, vcc_lo, v157, v44
	v_ashrrev_i32_e32 v53, 31, v52
	v_add_nc_u32_e32 v54, s6, v52
	v_add_co_ci_u32_e64 v45, null, v158, v45, vcc_lo
	v_add_co_u32 v46, vcc_lo, v157, v46
	v_lshlrev_b64 v[50:51], 4, v[50:51]
	v_add_co_ci_u32_e64 v47, null, v158, v47, vcc_lo
	v_add_co_u32 v146, vcc_lo, v157, v48
	v_add_co_ci_u32_e64 v147, null, v158, v49, vcc_lo
	v_lshlrev_b64 v[48:49], 4, v[52:53]
	v_ashrrev_i32_e32 v55, 31, v54
	v_add_nc_u32_e32 v52, s6, v54
	v_add_co_u32 v148, vcc_lo, v157, v50
	v_add_co_ci_u32_e64 v149, null, v158, v51, vcc_lo
	v_lshlrev_b64 v[50:51], 4, v[54:55]
	v_ashrrev_i32_e32 v53, 31, v52
	v_add_nc_u32_e32 v54, s6, v52
	;; [unrolled: 5-line block ×5, first 2 shown]
	v_add_co_u32 v163, vcc_lo, v157, v50
	v_add_co_ci_u32_e64 v164, null, v158, v51, vcc_lo
	v_lshlrev_b64 v[50:51], 4, v[54:55]
	v_add_nc_u32_e32 v54, s6, v52
	v_ashrrev_i32_e32 v53, 31, v52
	v_add_co_u32 v165, vcc_lo, v157, v48
	v_add_co_ci_u32_e64 v166, null, v158, v49, vcc_lo
	v_ashrrev_i32_e32 v55, 31, v54
	v_lshlrev_b64 v[48:49], 4, v[52:53]
	v_add_co_u32 v167, vcc_lo, v157, v50
	v_add_co_ci_u32_e64 v168, null, v158, v51, vcc_lo
	v_lshlrev_b64 v[50:51], 4, v[54:55]
	v_add_nc_u32_e32 v52, s6, v54
	v_add_co_u32 v169, vcc_lo, v157, v48
	v_add_co_ci_u32_e64 v170, null, v158, v49, vcc_lo
	v_ashrrev_i32_e32 v53, 31, v52
	v_add_co_u32 v171, vcc_lo, v157, v50
	v_add_co_ci_u32_e64 v172, null, v158, v51, vcc_lo
	v_add_co_u32 v50, vcc_lo, v157, v156
	v_add_co_ci_u32_e64 v51, null, 0, v158, vcc_lo
	v_lshlrev_b64 v[48:49], 4, v[52:53]
	v_add_co_u32 v52, vcc_lo, v50, s8
	v_add_co_ci_u32_e64 v53, null, s9, v51, vcc_lo
	s_max_i32 s0, s18, 36
	v_add_co_u32 v173, vcc_lo, v157, v48
	v_add_co_ci_u32_e64 v174, null, v158, v49, vcc_lo
	s_clause 0x23
	global_load_dwordx4 v[142:145], v[50:51], off
	global_load_dwordx4 v[130:133], v[52:53], off
	;; [unrolled: 1-line block ×36, first 2 shown]
	v_mul_lo_u32 v154, s0, v1
	s_cmp_lt_i32 s18, 2
	v_lshl_add_u32 v1, v154, 4, 0
	v_add_nc_u32_e32 v146, v1, v156
	v_lshlrev_b32_e32 v156, 4, v154
	v_mov_b32_e32 v154, 0
	s_waitcnt vmcnt(35)
	ds_write2_b64 v146, v[142:143], v[144:145] offset1:1
	s_waitcnt vmcnt(0) lgkmcnt(0)
	s_barrier
	buffer_gl0_inv
	ds_read2_b64 v[146:149], v1 offset1:1
	s_cbranch_scc1 .LBB70_6
; %bb.4:
	v_add3_u32 v155, v156, 0, 16
	v_mov_b32_e32 v154, 0
	s_mov_b32 s3, 1
	s_inst_prefetch 0x1
	.p2align	6
.LBB70_5:                               ; =>This Inner Loop Header: Depth=1
	ds_read2_b64 v[159:162], v155 offset1:1
	s_waitcnt lgkmcnt(1)
	v_cmp_gt_f64_e32 vcc_lo, 0, v[146:147]
	v_cmp_gt_f64_e64 s0, 0, v[148:149]
	v_xor_b32_e32 v164, 0x80000000, v147
	v_xor_b32_e32 v166, 0x80000000, v149
	v_mov_b32_e32 v163, v146
	v_mov_b32_e32 v165, v148
	v_add_nc_u32_e32 v155, 16, v155
	s_waitcnt lgkmcnt(0)
	v_cmp_gt_f64_e64 s1, 0, v[159:160]
	v_cmp_gt_f64_e64 s2, 0, v[161:162]
	v_xor_b32_e32 v168, 0x80000000, v160
	v_xor_b32_e32 v170, 0x80000000, v162
	v_mov_b32_e32 v167, v159
	v_mov_b32_e32 v169, v161
	v_cndmask_b32_e32 v164, v147, v164, vcc_lo
	v_cndmask_b32_e64 v166, v149, v166, s0
	v_add_f64 v[163:164], v[163:164], v[165:166]
	v_cndmask_b32_e64 v168, v160, v168, s1
	v_cndmask_b32_e64 v170, v162, v170, s2
	v_add_f64 v[165:166], v[167:168], v[169:170]
	v_cmp_lt_f64_e32 vcc_lo, v[163:164], v[165:166]
	v_cndmask_b32_e32 v147, v147, v160, vcc_lo
	v_cndmask_b32_e32 v146, v146, v159, vcc_lo
	;; [unrolled: 1-line block ×4, first 2 shown]
	v_cndmask_b32_e64 v154, v154, s3, vcc_lo
	s_add_i32 s3, s3, 1
	s_cmp_eq_u32 s18, s3
	s_cbranch_scc0 .LBB70_5
.LBB70_6:
	s_inst_prefetch 0x2
	s_waitcnt lgkmcnt(0)
	v_cmp_neq_f64_e32 vcc_lo, 0, v[146:147]
	v_cmp_neq_f64_e64 s0, 0, v[148:149]
	v_mov_b32_e32 v159, 1
	v_mov_b32_e32 v161, 1
	s_or_b32 s1, vcc_lo, s0
	s_and_saveexec_b32 s0, s1
	s_cbranch_execz .LBB70_12
; %bb.7:
	v_cmp_ngt_f64_e64 s1, |v[146:147]|, |v[148:149]|
	s_and_saveexec_b32 s2, s1
	s_xor_b32 s1, exec_lo, s2
	s_cbranch_execz .LBB70_9
; %bb.8:
	v_div_scale_f64 v[159:160], null, v[148:149], v[148:149], v[146:147]
	v_div_scale_f64 v[165:166], vcc_lo, v[146:147], v[148:149], v[146:147]
	v_rcp_f64_e32 v[161:162], v[159:160]
	v_fma_f64 v[163:164], -v[159:160], v[161:162], 1.0
	v_fma_f64 v[161:162], v[161:162], v[163:164], v[161:162]
	v_fma_f64 v[163:164], -v[159:160], v[161:162], 1.0
	v_fma_f64 v[161:162], v[161:162], v[163:164], v[161:162]
	v_mul_f64 v[163:164], v[165:166], v[161:162]
	v_fma_f64 v[159:160], -v[159:160], v[163:164], v[165:166]
	v_div_fmas_f64 v[159:160], v[159:160], v[161:162], v[163:164]
	v_div_fixup_f64 v[159:160], v[159:160], v[148:149], v[146:147]
	v_fma_f64 v[146:147], v[146:147], v[159:160], v[148:149]
	v_div_scale_f64 v[148:149], null, v[146:147], v[146:147], 1.0
	v_rcp_f64_e32 v[161:162], v[148:149]
	v_fma_f64 v[163:164], -v[148:149], v[161:162], 1.0
	v_fma_f64 v[161:162], v[161:162], v[163:164], v[161:162]
	v_fma_f64 v[163:164], -v[148:149], v[161:162], 1.0
	v_fma_f64 v[161:162], v[161:162], v[163:164], v[161:162]
	v_div_scale_f64 v[163:164], vcc_lo, 1.0, v[146:147], 1.0
	v_mul_f64 v[165:166], v[163:164], v[161:162]
	v_fma_f64 v[148:149], -v[148:149], v[165:166], v[163:164]
	v_div_fmas_f64 v[148:149], v[148:149], v[161:162], v[165:166]
	v_div_fixup_f64 v[148:149], v[148:149], v[146:147], 1.0
	v_mul_f64 v[146:147], v[159:160], v[148:149]
	v_xor_b32_e32 v149, 0x80000000, v149
.LBB70_9:
	s_andn2_saveexec_b32 s1, s1
	s_cbranch_execz .LBB70_11
; %bb.10:
	v_div_scale_f64 v[159:160], null, v[146:147], v[146:147], v[148:149]
	v_div_scale_f64 v[165:166], vcc_lo, v[148:149], v[146:147], v[148:149]
	v_rcp_f64_e32 v[161:162], v[159:160]
	v_fma_f64 v[163:164], -v[159:160], v[161:162], 1.0
	v_fma_f64 v[161:162], v[161:162], v[163:164], v[161:162]
	v_fma_f64 v[163:164], -v[159:160], v[161:162], 1.0
	v_fma_f64 v[161:162], v[161:162], v[163:164], v[161:162]
	v_mul_f64 v[163:164], v[165:166], v[161:162]
	v_fma_f64 v[159:160], -v[159:160], v[163:164], v[165:166]
	v_div_fmas_f64 v[159:160], v[159:160], v[161:162], v[163:164]
	v_div_fixup_f64 v[159:160], v[159:160], v[146:147], v[148:149]
	v_fma_f64 v[146:147], v[148:149], v[159:160], v[146:147]
	v_div_scale_f64 v[148:149], null, v[146:147], v[146:147], 1.0
	v_rcp_f64_e32 v[161:162], v[148:149]
	v_fma_f64 v[163:164], -v[148:149], v[161:162], 1.0
	v_fma_f64 v[161:162], v[161:162], v[163:164], v[161:162]
	v_fma_f64 v[163:164], -v[148:149], v[161:162], 1.0
	v_fma_f64 v[161:162], v[161:162], v[163:164], v[161:162]
	v_div_scale_f64 v[163:164], vcc_lo, 1.0, v[146:147], 1.0
	v_mul_f64 v[165:166], v[163:164], v[161:162]
	v_fma_f64 v[148:149], -v[148:149], v[165:166], v[163:164]
	v_div_fmas_f64 v[148:149], v[148:149], v[161:162], v[165:166]
	v_div_fixup_f64 v[146:147], v[148:149], v[146:147], 1.0
	v_mul_f64 v[148:149], v[159:160], -v[146:147]
.LBB70_11:
	s_or_b32 exec_lo, exec_lo, s1
	v_mov_b32_e32 v161, 0
	v_mov_b32_e32 v159, 2
.LBB70_12:
	s_or_b32 exec_lo, exec_lo, s0
	s_mov_b32 s0, exec_lo
	v_cmpx_ne_u32_e64 v0, v154
	s_xor_b32 s0, exec_lo, s0
	s_cbranch_execz .LBB70_18
; %bb.13:
	s_mov_b32 s1, exec_lo
	v_cmpx_eq_u32_e32 0, v0
	s_cbranch_execz .LBB70_17
; %bb.14:
	v_cmp_ne_u32_e32 vcc_lo, 0, v154
	s_xor_b32 s2, s16, -1
	s_and_b32 s3, s2, vcc_lo
	s_and_saveexec_b32 s2, s3
	s_cbranch_execz .LBB70_16
; %bb.15:
	v_ashrrev_i32_e32 v155, 31, v154
	v_lshlrev_b64 v[162:163], 2, v[154:155]
	v_add_co_u32 v162, vcc_lo, v152, v162
	v_add_co_ci_u32_e64 v163, null, v153, v163, vcc_lo
	s_clause 0x1
	global_load_dword v0, v[162:163], off
	global_load_dword v155, v[152:153], off
	s_waitcnt vmcnt(1)
	global_store_dword v[152:153], v0, off
	s_waitcnt vmcnt(0)
	global_store_dword v[162:163], v155, off
.LBB70_16:
	s_or_b32 exec_lo, exec_lo, s2
	v_mov_b32_e32 v0, v154
.LBB70_17:
	s_or_b32 exec_lo, exec_lo, s1
.LBB70_18:
	s_or_saveexec_b32 s0, s0
	v_mov_b32_e32 v160, v0
	s_xor_b32 exec_lo, exec_lo, s0
	s_cbranch_execz .LBB70_20
; %bb.19:
	v_mov_b32_e32 v160, 0
	ds_write2_b64 v1, v[130:131], v[132:133] offset0:2 offset1:3
	ds_write2_b64 v1, v[138:139], v[140:141] offset0:4 offset1:5
	;; [unrolled: 1-line block ×35, first 2 shown]
.LBB70_20:
	s_or_b32 exec_lo, exec_lo, s0
	s_mov_b32 s0, exec_lo
	s_waitcnt lgkmcnt(0)
	s_waitcnt_vscnt null, 0x0
	s_barrier
	buffer_gl0_inv
	v_cmpx_lt_i32_e32 0, v160
	s_cbranch_execz .LBB70_22
; %bb.21:
	v_mul_f64 v[154:155], v[148:149], v[144:145]
	v_mul_f64 v[144:145], v[146:147], v[144:145]
	v_fma_f64 v[154:155], v[146:147], v[142:143], -v[154:155]
	v_fma_f64 v[144:145], v[148:149], v[142:143], v[144:145]
	ds_read2_b64 v[146:149], v1 offset0:2 offset1:3
	s_waitcnt lgkmcnt(0)
	v_mul_f64 v[142:143], v[148:149], v[144:145]
	v_fma_f64 v[142:143], v[146:147], v[154:155], -v[142:143]
	v_mul_f64 v[146:147], v[146:147], v[144:145]
	v_add_f64 v[130:131], v[130:131], -v[142:143]
	v_fma_f64 v[146:147], v[148:149], v[154:155], v[146:147]
	v_add_f64 v[132:133], v[132:133], -v[146:147]
	ds_read2_b64 v[146:149], v1 offset0:4 offset1:5
	s_waitcnt lgkmcnt(0)
	v_mul_f64 v[142:143], v[148:149], v[144:145]
	v_fma_f64 v[142:143], v[146:147], v[154:155], -v[142:143]
	v_mul_f64 v[146:147], v[146:147], v[144:145]
	v_add_f64 v[138:139], v[138:139], -v[142:143]
	v_fma_f64 v[146:147], v[148:149], v[154:155], v[146:147]
	v_add_f64 v[140:141], v[140:141], -v[146:147]
	;; [unrolled: 8-line block ×34, first 2 shown]
	ds_read2_b64 v[146:149], v1 offset0:70 offset1:71
	s_waitcnt lgkmcnt(0)
	v_mul_f64 v[142:143], v[148:149], v[144:145]
	v_fma_f64 v[142:143], v[146:147], v[154:155], -v[142:143]
	v_mul_f64 v[146:147], v[146:147], v[144:145]
	v_add_f64 v[2:3], v[2:3], -v[142:143]
	v_fma_f64 v[146:147], v[148:149], v[154:155], v[146:147]
	v_mov_b32_e32 v142, v154
	v_mov_b32_e32 v143, v155
	v_add_f64 v[4:5], v[4:5], -v[146:147]
.LBB70_22:
	s_or_b32 exec_lo, exec_lo, s0
	v_lshl_add_u32 v146, v160, 4, v1
	s_barrier
	buffer_gl0_inv
	v_mov_b32_e32 v154, 1
	ds_write2_b64 v146, v[130:131], v[132:133] offset1:1
	s_waitcnt lgkmcnt(0)
	s_barrier
	buffer_gl0_inv
	ds_read2_b64 v[146:149], v1 offset0:2 offset1:3
	s_cmp_lt_i32 s18, 3
	s_cbranch_scc1 .LBB70_25
; %bb.23:
	v_add3_u32 v155, v156, 0, 32
	v_mov_b32_e32 v154, 1
	s_mov_b32 s1, 2
	s_inst_prefetch 0x1
	.p2align	6
.LBB70_24:                              ; =>This Inner Loop Header: Depth=1
	s_waitcnt lgkmcnt(0)
	v_cmp_gt_f64_e32 vcc_lo, 0, v[148:149]
	v_cmp_gt_f64_e64 s0, 0, v[146:147]
	ds_read2_b64 v[162:165], v155 offset1:1
	v_xor_b32_e32 v167, 0x80000000, v147
	v_xor_b32_e32 v169, 0x80000000, v149
	v_mov_b32_e32 v166, v146
	v_mov_b32_e32 v168, v148
	v_add_nc_u32_e32 v155, 16, v155
	s_waitcnt lgkmcnt(0)
	v_xor_b32_e32 v171, 0x80000000, v165
	v_cndmask_b32_e64 v167, v147, v167, s0
	v_cndmask_b32_e32 v169, v149, v169, vcc_lo
	v_cmp_gt_f64_e32 vcc_lo, 0, v[164:165]
	v_cmp_gt_f64_e64 s0, 0, v[162:163]
	v_mov_b32_e32 v170, v164
	v_add_f64 v[166:167], v[166:167], v[168:169]
	v_xor_b32_e32 v169, 0x80000000, v163
	v_mov_b32_e32 v168, v162
	v_cndmask_b32_e32 v171, v165, v171, vcc_lo
	v_cndmask_b32_e64 v169, v163, v169, s0
	v_add_f64 v[168:169], v[168:169], v[170:171]
	v_cmp_lt_f64_e32 vcc_lo, v[166:167], v[168:169]
	v_cndmask_b32_e32 v147, v147, v163, vcc_lo
	v_cndmask_b32_e32 v146, v146, v162, vcc_lo
	;; [unrolled: 1-line block ×4, first 2 shown]
	v_cndmask_b32_e64 v154, v154, s1, vcc_lo
	s_add_i32 s1, s1, 1
	s_cmp_lg_u32 s18, s1
	s_cbranch_scc1 .LBB70_24
.LBB70_25:
	s_inst_prefetch 0x2
	s_waitcnt lgkmcnt(0)
	v_cmp_neq_f64_e32 vcc_lo, 0, v[146:147]
	v_cmp_neq_f64_e64 s0, 0, v[148:149]
	s_or_b32 s1, vcc_lo, s0
	s_and_saveexec_b32 s0, s1
	s_cbranch_execz .LBB70_31
; %bb.26:
	v_cmp_ngt_f64_e64 s1, |v[146:147]|, |v[148:149]|
	s_and_saveexec_b32 s2, s1
	s_xor_b32 s1, exec_lo, s2
	s_cbranch_execz .LBB70_28
; %bb.27:
	v_div_scale_f64 v[162:163], null, v[148:149], v[148:149], v[146:147]
	v_div_scale_f64 v[168:169], vcc_lo, v[146:147], v[148:149], v[146:147]
	v_rcp_f64_e32 v[164:165], v[162:163]
	v_fma_f64 v[166:167], -v[162:163], v[164:165], 1.0
	v_fma_f64 v[164:165], v[164:165], v[166:167], v[164:165]
	v_fma_f64 v[166:167], -v[162:163], v[164:165], 1.0
	v_fma_f64 v[164:165], v[164:165], v[166:167], v[164:165]
	v_mul_f64 v[166:167], v[168:169], v[164:165]
	v_fma_f64 v[162:163], -v[162:163], v[166:167], v[168:169]
	v_div_fmas_f64 v[162:163], v[162:163], v[164:165], v[166:167]
	v_div_fixup_f64 v[162:163], v[162:163], v[148:149], v[146:147]
	v_fma_f64 v[146:147], v[146:147], v[162:163], v[148:149]
	v_div_scale_f64 v[148:149], null, v[146:147], v[146:147], 1.0
	v_rcp_f64_e32 v[164:165], v[148:149]
	v_fma_f64 v[166:167], -v[148:149], v[164:165], 1.0
	v_fma_f64 v[164:165], v[164:165], v[166:167], v[164:165]
	v_fma_f64 v[166:167], -v[148:149], v[164:165], 1.0
	v_fma_f64 v[164:165], v[164:165], v[166:167], v[164:165]
	v_div_scale_f64 v[166:167], vcc_lo, 1.0, v[146:147], 1.0
	v_mul_f64 v[168:169], v[166:167], v[164:165]
	v_fma_f64 v[148:149], -v[148:149], v[168:169], v[166:167]
	v_div_fmas_f64 v[148:149], v[148:149], v[164:165], v[168:169]
	v_div_fixup_f64 v[148:149], v[148:149], v[146:147], 1.0
	v_mul_f64 v[146:147], v[162:163], v[148:149]
	v_xor_b32_e32 v149, 0x80000000, v149
.LBB70_28:
	s_andn2_saveexec_b32 s1, s1
	s_cbranch_execz .LBB70_30
; %bb.29:
	v_div_scale_f64 v[162:163], null, v[146:147], v[146:147], v[148:149]
	v_div_scale_f64 v[168:169], vcc_lo, v[148:149], v[146:147], v[148:149]
	v_rcp_f64_e32 v[164:165], v[162:163]
	v_fma_f64 v[166:167], -v[162:163], v[164:165], 1.0
	v_fma_f64 v[164:165], v[164:165], v[166:167], v[164:165]
	v_fma_f64 v[166:167], -v[162:163], v[164:165], 1.0
	v_fma_f64 v[164:165], v[164:165], v[166:167], v[164:165]
	v_mul_f64 v[166:167], v[168:169], v[164:165]
	v_fma_f64 v[162:163], -v[162:163], v[166:167], v[168:169]
	v_div_fmas_f64 v[162:163], v[162:163], v[164:165], v[166:167]
	v_div_fixup_f64 v[162:163], v[162:163], v[146:147], v[148:149]
	v_fma_f64 v[146:147], v[148:149], v[162:163], v[146:147]
	v_div_scale_f64 v[148:149], null, v[146:147], v[146:147], 1.0
	v_rcp_f64_e32 v[164:165], v[148:149]
	v_fma_f64 v[166:167], -v[148:149], v[164:165], 1.0
	v_fma_f64 v[164:165], v[164:165], v[166:167], v[164:165]
	v_fma_f64 v[166:167], -v[148:149], v[164:165], 1.0
	v_fma_f64 v[164:165], v[164:165], v[166:167], v[164:165]
	v_div_scale_f64 v[166:167], vcc_lo, 1.0, v[146:147], 1.0
	v_mul_f64 v[168:169], v[166:167], v[164:165]
	v_fma_f64 v[148:149], -v[148:149], v[168:169], v[166:167]
	v_div_fmas_f64 v[148:149], v[148:149], v[164:165], v[168:169]
	v_div_fixup_f64 v[146:147], v[148:149], v[146:147], 1.0
	v_mul_f64 v[148:149], v[162:163], -v[146:147]
.LBB70_30:
	s_or_b32 exec_lo, exec_lo, s1
	v_mov_b32_e32 v159, v161
.LBB70_31:
	s_or_b32 exec_lo, exec_lo, s0
	s_mov_b32 s0, exec_lo
	v_cmpx_ne_u32_e64 v160, v154
	s_xor_b32 s0, exec_lo, s0
	s_cbranch_execz .LBB70_37
; %bb.32:
	s_mov_b32 s1, exec_lo
	v_cmpx_eq_u32_e32 1, v160
	s_cbranch_execz .LBB70_36
; %bb.33:
	v_cmp_ne_u32_e32 vcc_lo, 1, v154
	s_xor_b32 s2, s16, -1
	s_and_b32 s3, s2, vcc_lo
	s_and_saveexec_b32 s2, s3
	s_cbranch_execz .LBB70_35
; %bb.34:
	v_ashrrev_i32_e32 v155, 31, v154
	v_lshlrev_b64 v[160:161], 2, v[154:155]
	v_add_co_u32 v160, vcc_lo, v152, v160
	v_add_co_ci_u32_e64 v161, null, v153, v161, vcc_lo
	s_clause 0x1
	global_load_dword v0, v[160:161], off
	global_load_dword v155, v[152:153], off offset:4
	s_waitcnt vmcnt(1)
	global_store_dword v[152:153], v0, off offset:4
	s_waitcnt vmcnt(0)
	global_store_dword v[160:161], v155, off
.LBB70_35:
	s_or_b32 exec_lo, exec_lo, s2
	v_mov_b32_e32 v160, v154
	v_mov_b32_e32 v0, v154
.LBB70_36:
	s_or_b32 exec_lo, exec_lo, s1
.LBB70_37:
	s_andn2_saveexec_b32 s0, s0
	s_cbranch_execz .LBB70_39
; %bb.38:
	v_mov_b32_e32 v160, 1
	ds_write2_b64 v1, v[138:139], v[140:141] offset0:4 offset1:5
	ds_write2_b64 v1, v[134:135], v[136:137] offset0:6 offset1:7
	;; [unrolled: 1-line block ×34, first 2 shown]
.LBB70_39:
	s_or_b32 exec_lo, exec_lo, s0
	s_mov_b32 s0, exec_lo
	s_waitcnt lgkmcnt(0)
	s_waitcnt_vscnt null, 0x0
	s_barrier
	buffer_gl0_inv
	v_cmpx_lt_i32_e32 1, v160
	s_cbranch_execz .LBB70_41
; %bb.40:
	v_mul_f64 v[154:155], v[148:149], v[132:133]
	v_mul_f64 v[132:133], v[146:147], v[132:133]
	v_fma_f64 v[154:155], v[146:147], v[130:131], -v[154:155]
	v_fma_f64 v[132:133], v[148:149], v[130:131], v[132:133]
	ds_read2_b64 v[146:149], v1 offset0:4 offset1:5
	s_waitcnt lgkmcnt(0)
	v_mul_f64 v[130:131], v[148:149], v[132:133]
	v_fma_f64 v[130:131], v[146:147], v[154:155], -v[130:131]
	v_mul_f64 v[146:147], v[146:147], v[132:133]
	v_add_f64 v[138:139], v[138:139], -v[130:131]
	v_fma_f64 v[146:147], v[148:149], v[154:155], v[146:147]
	v_add_f64 v[140:141], v[140:141], -v[146:147]
	ds_read2_b64 v[146:149], v1 offset0:6 offset1:7
	s_waitcnt lgkmcnt(0)
	v_mul_f64 v[130:131], v[148:149], v[132:133]
	v_fma_f64 v[130:131], v[146:147], v[154:155], -v[130:131]
	v_mul_f64 v[146:147], v[146:147], v[132:133]
	v_add_f64 v[134:135], v[134:135], -v[130:131]
	v_fma_f64 v[146:147], v[148:149], v[154:155], v[146:147]
	v_add_f64 v[136:137], v[136:137], -v[146:147]
	;; [unrolled: 8-line block ×33, first 2 shown]
	ds_read2_b64 v[146:149], v1 offset0:70 offset1:71
	s_waitcnt lgkmcnt(0)
	v_mul_f64 v[130:131], v[148:149], v[132:133]
	v_fma_f64 v[130:131], v[146:147], v[154:155], -v[130:131]
	v_mul_f64 v[146:147], v[146:147], v[132:133]
	v_add_f64 v[2:3], v[2:3], -v[130:131]
	v_fma_f64 v[146:147], v[148:149], v[154:155], v[146:147]
	v_mov_b32_e32 v130, v154
	v_mov_b32_e32 v131, v155
	v_add_f64 v[4:5], v[4:5], -v[146:147]
.LBB70_41:
	s_or_b32 exec_lo, exec_lo, s0
	v_lshl_add_u32 v146, v160, 4, v1
	s_barrier
	buffer_gl0_inv
	v_mov_b32_e32 v154, 2
	ds_write2_b64 v146, v[138:139], v[140:141] offset1:1
	s_waitcnt lgkmcnt(0)
	s_barrier
	buffer_gl0_inv
	ds_read2_b64 v[146:149], v1 offset0:4 offset1:5
	s_cmp_lt_i32 s18, 4
	s_cbranch_scc1 .LBB70_44
; %bb.42:
	v_add3_u32 v155, v156, 0, 48
	v_mov_b32_e32 v154, 2
	s_mov_b32 s1, 3
	s_inst_prefetch 0x1
	.p2align	6
.LBB70_43:                              ; =>This Inner Loop Header: Depth=1
	s_waitcnt lgkmcnt(0)
	v_cmp_gt_f64_e32 vcc_lo, 0, v[148:149]
	v_cmp_gt_f64_e64 s0, 0, v[146:147]
	ds_read2_b64 v[161:164], v155 offset1:1
	v_xor_b32_e32 v166, 0x80000000, v147
	v_xor_b32_e32 v168, 0x80000000, v149
	v_mov_b32_e32 v165, v146
	v_mov_b32_e32 v167, v148
	v_add_nc_u32_e32 v155, 16, v155
	s_waitcnt lgkmcnt(0)
	v_xor_b32_e32 v170, 0x80000000, v164
	v_cndmask_b32_e64 v166, v147, v166, s0
	v_cndmask_b32_e32 v168, v149, v168, vcc_lo
	v_cmp_gt_f64_e32 vcc_lo, 0, v[163:164]
	v_cmp_gt_f64_e64 s0, 0, v[161:162]
	v_mov_b32_e32 v169, v163
	v_add_f64 v[165:166], v[165:166], v[167:168]
	v_xor_b32_e32 v168, 0x80000000, v162
	v_mov_b32_e32 v167, v161
	v_cndmask_b32_e32 v170, v164, v170, vcc_lo
	v_cndmask_b32_e64 v168, v162, v168, s0
	v_add_f64 v[167:168], v[167:168], v[169:170]
	v_cmp_lt_f64_e32 vcc_lo, v[165:166], v[167:168]
	v_cndmask_b32_e32 v147, v147, v162, vcc_lo
	v_cndmask_b32_e32 v146, v146, v161, vcc_lo
	;; [unrolled: 1-line block ×4, first 2 shown]
	v_cndmask_b32_e64 v154, v154, s1, vcc_lo
	s_add_i32 s1, s1, 1
	s_cmp_lg_u32 s18, s1
	s_cbranch_scc1 .LBB70_43
.LBB70_44:
	s_inst_prefetch 0x2
	s_waitcnt lgkmcnt(0)
	v_cmp_eq_f64_e32 vcc_lo, 0, v[146:147]
	v_cmp_eq_f64_e64 s0, 0, v[148:149]
	s_and_b32 s0, vcc_lo, s0
	s_and_saveexec_b32 s1, s0
	s_xor_b32 s0, exec_lo, s1
; %bb.45:
	v_cmp_ne_u32_e32 vcc_lo, 0, v159
	v_cndmask_b32_e32 v159, 3, v159, vcc_lo
; %bb.46:
	s_andn2_saveexec_b32 s0, s0
	s_cbranch_execz .LBB70_52
; %bb.47:
	v_cmp_ngt_f64_e64 s1, |v[146:147]|, |v[148:149]|
	s_and_saveexec_b32 s2, s1
	s_xor_b32 s1, exec_lo, s2
	s_cbranch_execz .LBB70_49
; %bb.48:
	v_div_scale_f64 v[161:162], null, v[148:149], v[148:149], v[146:147]
	v_div_scale_f64 v[167:168], vcc_lo, v[146:147], v[148:149], v[146:147]
	v_rcp_f64_e32 v[163:164], v[161:162]
	v_fma_f64 v[165:166], -v[161:162], v[163:164], 1.0
	v_fma_f64 v[163:164], v[163:164], v[165:166], v[163:164]
	v_fma_f64 v[165:166], -v[161:162], v[163:164], 1.0
	v_fma_f64 v[163:164], v[163:164], v[165:166], v[163:164]
	v_mul_f64 v[165:166], v[167:168], v[163:164]
	v_fma_f64 v[161:162], -v[161:162], v[165:166], v[167:168]
	v_div_fmas_f64 v[161:162], v[161:162], v[163:164], v[165:166]
	v_div_fixup_f64 v[161:162], v[161:162], v[148:149], v[146:147]
	v_fma_f64 v[146:147], v[146:147], v[161:162], v[148:149]
	v_div_scale_f64 v[148:149], null, v[146:147], v[146:147], 1.0
	v_rcp_f64_e32 v[163:164], v[148:149]
	v_fma_f64 v[165:166], -v[148:149], v[163:164], 1.0
	v_fma_f64 v[163:164], v[163:164], v[165:166], v[163:164]
	v_fma_f64 v[165:166], -v[148:149], v[163:164], 1.0
	v_fma_f64 v[163:164], v[163:164], v[165:166], v[163:164]
	v_div_scale_f64 v[165:166], vcc_lo, 1.0, v[146:147], 1.0
	v_mul_f64 v[167:168], v[165:166], v[163:164]
	v_fma_f64 v[148:149], -v[148:149], v[167:168], v[165:166]
	v_div_fmas_f64 v[148:149], v[148:149], v[163:164], v[167:168]
	v_div_fixup_f64 v[148:149], v[148:149], v[146:147], 1.0
	v_mul_f64 v[146:147], v[161:162], v[148:149]
	v_xor_b32_e32 v149, 0x80000000, v149
.LBB70_49:
	s_andn2_saveexec_b32 s1, s1
	s_cbranch_execz .LBB70_51
; %bb.50:
	v_div_scale_f64 v[161:162], null, v[146:147], v[146:147], v[148:149]
	v_div_scale_f64 v[167:168], vcc_lo, v[148:149], v[146:147], v[148:149]
	v_rcp_f64_e32 v[163:164], v[161:162]
	v_fma_f64 v[165:166], -v[161:162], v[163:164], 1.0
	v_fma_f64 v[163:164], v[163:164], v[165:166], v[163:164]
	v_fma_f64 v[165:166], -v[161:162], v[163:164], 1.0
	v_fma_f64 v[163:164], v[163:164], v[165:166], v[163:164]
	v_mul_f64 v[165:166], v[167:168], v[163:164]
	v_fma_f64 v[161:162], -v[161:162], v[165:166], v[167:168]
	v_div_fmas_f64 v[161:162], v[161:162], v[163:164], v[165:166]
	v_div_fixup_f64 v[161:162], v[161:162], v[146:147], v[148:149]
	v_fma_f64 v[146:147], v[148:149], v[161:162], v[146:147]
	v_div_scale_f64 v[148:149], null, v[146:147], v[146:147], 1.0
	v_rcp_f64_e32 v[163:164], v[148:149]
	v_fma_f64 v[165:166], -v[148:149], v[163:164], 1.0
	v_fma_f64 v[163:164], v[163:164], v[165:166], v[163:164]
	v_fma_f64 v[165:166], -v[148:149], v[163:164], 1.0
	v_fma_f64 v[163:164], v[163:164], v[165:166], v[163:164]
	v_div_scale_f64 v[165:166], vcc_lo, 1.0, v[146:147], 1.0
	v_mul_f64 v[167:168], v[165:166], v[163:164]
	v_fma_f64 v[148:149], -v[148:149], v[167:168], v[165:166]
	v_div_fmas_f64 v[148:149], v[148:149], v[163:164], v[167:168]
	v_div_fixup_f64 v[146:147], v[148:149], v[146:147], 1.0
	v_mul_f64 v[148:149], v[161:162], -v[146:147]
.LBB70_51:
	s_or_b32 exec_lo, exec_lo, s1
.LBB70_52:
	s_or_b32 exec_lo, exec_lo, s0
	s_mov_b32 s0, exec_lo
	v_cmpx_ne_u32_e64 v160, v154
	s_xor_b32 s0, exec_lo, s0
	s_cbranch_execz .LBB70_58
; %bb.53:
	s_mov_b32 s1, exec_lo
	v_cmpx_eq_u32_e32 2, v160
	s_cbranch_execz .LBB70_57
; %bb.54:
	v_cmp_ne_u32_e32 vcc_lo, 2, v154
	s_xor_b32 s2, s16, -1
	s_and_b32 s3, s2, vcc_lo
	s_and_saveexec_b32 s2, s3
	s_cbranch_execz .LBB70_56
; %bb.55:
	v_ashrrev_i32_e32 v155, 31, v154
	v_lshlrev_b64 v[160:161], 2, v[154:155]
	v_add_co_u32 v160, vcc_lo, v152, v160
	v_add_co_ci_u32_e64 v161, null, v153, v161, vcc_lo
	s_clause 0x1
	global_load_dword v0, v[160:161], off
	global_load_dword v155, v[152:153], off offset:8
	s_waitcnt vmcnt(1)
	global_store_dword v[152:153], v0, off offset:8
	s_waitcnt vmcnt(0)
	global_store_dword v[160:161], v155, off
.LBB70_56:
	s_or_b32 exec_lo, exec_lo, s2
	v_mov_b32_e32 v160, v154
	v_mov_b32_e32 v0, v154
.LBB70_57:
	s_or_b32 exec_lo, exec_lo, s1
.LBB70_58:
	s_andn2_saveexec_b32 s0, s0
	s_cbranch_execz .LBB70_60
; %bb.59:
	v_mov_b32_e32 v160, 2
	ds_write2_b64 v1, v[134:135], v[136:137] offset0:6 offset1:7
	ds_write2_b64 v1, v[126:127], v[128:129] offset0:8 offset1:9
	;; [unrolled: 1-line block ×33, first 2 shown]
.LBB70_60:
	s_or_b32 exec_lo, exec_lo, s0
	s_mov_b32 s0, exec_lo
	s_waitcnt lgkmcnt(0)
	s_waitcnt_vscnt null, 0x0
	s_barrier
	buffer_gl0_inv
	v_cmpx_lt_i32_e32 2, v160
	s_cbranch_execz .LBB70_62
; %bb.61:
	v_mul_f64 v[154:155], v[148:149], v[140:141]
	v_mul_f64 v[140:141], v[146:147], v[140:141]
	v_fma_f64 v[154:155], v[146:147], v[138:139], -v[154:155]
	v_fma_f64 v[140:141], v[148:149], v[138:139], v[140:141]
	ds_read2_b64 v[146:149], v1 offset0:6 offset1:7
	s_waitcnt lgkmcnt(0)
	v_mul_f64 v[138:139], v[148:149], v[140:141]
	v_fma_f64 v[138:139], v[146:147], v[154:155], -v[138:139]
	v_mul_f64 v[146:147], v[146:147], v[140:141]
	v_add_f64 v[134:135], v[134:135], -v[138:139]
	v_fma_f64 v[146:147], v[148:149], v[154:155], v[146:147]
	v_add_f64 v[136:137], v[136:137], -v[146:147]
	ds_read2_b64 v[146:149], v1 offset0:8 offset1:9
	s_waitcnt lgkmcnt(0)
	v_mul_f64 v[138:139], v[148:149], v[140:141]
	v_fma_f64 v[138:139], v[146:147], v[154:155], -v[138:139]
	v_mul_f64 v[146:147], v[146:147], v[140:141]
	v_add_f64 v[126:127], v[126:127], -v[138:139]
	v_fma_f64 v[146:147], v[148:149], v[154:155], v[146:147]
	v_add_f64 v[128:129], v[128:129], -v[146:147]
	;; [unrolled: 8-line block ×32, first 2 shown]
	ds_read2_b64 v[146:149], v1 offset0:70 offset1:71
	s_waitcnt lgkmcnt(0)
	v_mul_f64 v[138:139], v[148:149], v[140:141]
	v_fma_f64 v[138:139], v[146:147], v[154:155], -v[138:139]
	v_mul_f64 v[146:147], v[146:147], v[140:141]
	v_add_f64 v[2:3], v[2:3], -v[138:139]
	v_fma_f64 v[146:147], v[148:149], v[154:155], v[146:147]
	v_mov_b32_e32 v138, v154
	v_mov_b32_e32 v139, v155
	v_add_f64 v[4:5], v[4:5], -v[146:147]
.LBB70_62:
	s_or_b32 exec_lo, exec_lo, s0
	v_lshl_add_u32 v146, v160, 4, v1
	s_barrier
	buffer_gl0_inv
	v_mov_b32_e32 v154, 3
	ds_write2_b64 v146, v[134:135], v[136:137] offset1:1
	s_waitcnt lgkmcnt(0)
	s_barrier
	buffer_gl0_inv
	ds_read2_b64 v[146:149], v1 offset0:6 offset1:7
	s_cmp_lt_i32 s18, 5
	s_mov_b32 s1, 4
	s_cbranch_scc1 .LBB70_65
; %bb.63:
	v_add3_u32 v155, v156, 0, 64
	v_mov_b32_e32 v154, 3
	s_inst_prefetch 0x1
	.p2align	6
.LBB70_64:                              ; =>This Inner Loop Header: Depth=1
	s_waitcnt lgkmcnt(0)
	v_cmp_gt_f64_e32 vcc_lo, 0, v[148:149]
	v_cmp_gt_f64_e64 s0, 0, v[146:147]
	ds_read2_b64 v[161:164], v155 offset1:1
	v_xor_b32_e32 v166, 0x80000000, v147
	v_xor_b32_e32 v168, 0x80000000, v149
	v_mov_b32_e32 v165, v146
	v_mov_b32_e32 v167, v148
	v_add_nc_u32_e32 v155, 16, v155
	s_waitcnt lgkmcnt(0)
	v_xor_b32_e32 v170, 0x80000000, v164
	v_cndmask_b32_e64 v166, v147, v166, s0
	v_cndmask_b32_e32 v168, v149, v168, vcc_lo
	v_cmp_gt_f64_e32 vcc_lo, 0, v[163:164]
	v_cmp_gt_f64_e64 s0, 0, v[161:162]
	v_mov_b32_e32 v169, v163
	v_add_f64 v[165:166], v[165:166], v[167:168]
	v_xor_b32_e32 v168, 0x80000000, v162
	v_mov_b32_e32 v167, v161
	v_cndmask_b32_e32 v170, v164, v170, vcc_lo
	v_cndmask_b32_e64 v168, v162, v168, s0
	v_add_f64 v[167:168], v[167:168], v[169:170]
	v_cmp_lt_f64_e32 vcc_lo, v[165:166], v[167:168]
	v_cndmask_b32_e32 v147, v147, v162, vcc_lo
	v_cndmask_b32_e32 v146, v146, v161, vcc_lo
	v_cndmask_b32_e32 v149, v149, v164, vcc_lo
	v_cndmask_b32_e32 v148, v148, v163, vcc_lo
	v_cndmask_b32_e64 v154, v154, s1, vcc_lo
	s_add_i32 s1, s1, 1
	s_cmp_lg_u32 s18, s1
	s_cbranch_scc1 .LBB70_64
.LBB70_65:
	s_inst_prefetch 0x2
	s_waitcnt lgkmcnt(0)
	v_cmp_eq_f64_e32 vcc_lo, 0, v[146:147]
	v_cmp_eq_f64_e64 s0, 0, v[148:149]
	s_and_b32 s0, vcc_lo, s0
	s_and_saveexec_b32 s1, s0
	s_xor_b32 s0, exec_lo, s1
; %bb.66:
	v_cmp_ne_u32_e32 vcc_lo, 0, v159
	v_cndmask_b32_e32 v159, 4, v159, vcc_lo
; %bb.67:
	s_andn2_saveexec_b32 s0, s0
	s_cbranch_execz .LBB70_73
; %bb.68:
	v_cmp_ngt_f64_e64 s1, |v[146:147]|, |v[148:149]|
	s_and_saveexec_b32 s2, s1
	s_xor_b32 s1, exec_lo, s2
	s_cbranch_execz .LBB70_70
; %bb.69:
	v_div_scale_f64 v[161:162], null, v[148:149], v[148:149], v[146:147]
	v_div_scale_f64 v[167:168], vcc_lo, v[146:147], v[148:149], v[146:147]
	v_rcp_f64_e32 v[163:164], v[161:162]
	v_fma_f64 v[165:166], -v[161:162], v[163:164], 1.0
	v_fma_f64 v[163:164], v[163:164], v[165:166], v[163:164]
	v_fma_f64 v[165:166], -v[161:162], v[163:164], 1.0
	v_fma_f64 v[163:164], v[163:164], v[165:166], v[163:164]
	v_mul_f64 v[165:166], v[167:168], v[163:164]
	v_fma_f64 v[161:162], -v[161:162], v[165:166], v[167:168]
	v_div_fmas_f64 v[161:162], v[161:162], v[163:164], v[165:166]
	v_div_fixup_f64 v[161:162], v[161:162], v[148:149], v[146:147]
	v_fma_f64 v[146:147], v[146:147], v[161:162], v[148:149]
	v_div_scale_f64 v[148:149], null, v[146:147], v[146:147], 1.0
	v_rcp_f64_e32 v[163:164], v[148:149]
	v_fma_f64 v[165:166], -v[148:149], v[163:164], 1.0
	v_fma_f64 v[163:164], v[163:164], v[165:166], v[163:164]
	v_fma_f64 v[165:166], -v[148:149], v[163:164], 1.0
	v_fma_f64 v[163:164], v[163:164], v[165:166], v[163:164]
	v_div_scale_f64 v[165:166], vcc_lo, 1.0, v[146:147], 1.0
	v_mul_f64 v[167:168], v[165:166], v[163:164]
	v_fma_f64 v[148:149], -v[148:149], v[167:168], v[165:166]
	v_div_fmas_f64 v[148:149], v[148:149], v[163:164], v[167:168]
	v_div_fixup_f64 v[148:149], v[148:149], v[146:147], 1.0
	v_mul_f64 v[146:147], v[161:162], v[148:149]
	v_xor_b32_e32 v149, 0x80000000, v149
.LBB70_70:
	s_andn2_saveexec_b32 s1, s1
	s_cbranch_execz .LBB70_72
; %bb.71:
	v_div_scale_f64 v[161:162], null, v[146:147], v[146:147], v[148:149]
	v_div_scale_f64 v[167:168], vcc_lo, v[148:149], v[146:147], v[148:149]
	v_rcp_f64_e32 v[163:164], v[161:162]
	v_fma_f64 v[165:166], -v[161:162], v[163:164], 1.0
	v_fma_f64 v[163:164], v[163:164], v[165:166], v[163:164]
	v_fma_f64 v[165:166], -v[161:162], v[163:164], 1.0
	v_fma_f64 v[163:164], v[163:164], v[165:166], v[163:164]
	v_mul_f64 v[165:166], v[167:168], v[163:164]
	v_fma_f64 v[161:162], -v[161:162], v[165:166], v[167:168]
	v_div_fmas_f64 v[161:162], v[161:162], v[163:164], v[165:166]
	v_div_fixup_f64 v[161:162], v[161:162], v[146:147], v[148:149]
	v_fma_f64 v[146:147], v[148:149], v[161:162], v[146:147]
	v_div_scale_f64 v[148:149], null, v[146:147], v[146:147], 1.0
	v_rcp_f64_e32 v[163:164], v[148:149]
	v_fma_f64 v[165:166], -v[148:149], v[163:164], 1.0
	v_fma_f64 v[163:164], v[163:164], v[165:166], v[163:164]
	v_fma_f64 v[165:166], -v[148:149], v[163:164], 1.0
	v_fma_f64 v[163:164], v[163:164], v[165:166], v[163:164]
	v_div_scale_f64 v[165:166], vcc_lo, 1.0, v[146:147], 1.0
	v_mul_f64 v[167:168], v[165:166], v[163:164]
	v_fma_f64 v[148:149], -v[148:149], v[167:168], v[165:166]
	v_div_fmas_f64 v[148:149], v[148:149], v[163:164], v[167:168]
	v_div_fixup_f64 v[146:147], v[148:149], v[146:147], 1.0
	v_mul_f64 v[148:149], v[161:162], -v[146:147]
.LBB70_72:
	s_or_b32 exec_lo, exec_lo, s1
.LBB70_73:
	s_or_b32 exec_lo, exec_lo, s0
	s_mov_b32 s0, exec_lo
	v_cmpx_ne_u32_e64 v160, v154
	s_xor_b32 s0, exec_lo, s0
	s_cbranch_execz .LBB70_79
; %bb.74:
	s_mov_b32 s1, exec_lo
	v_cmpx_eq_u32_e32 3, v160
	s_cbranch_execz .LBB70_78
; %bb.75:
	v_cmp_ne_u32_e32 vcc_lo, 3, v154
	s_xor_b32 s2, s16, -1
	s_and_b32 s3, s2, vcc_lo
	s_and_saveexec_b32 s2, s3
	s_cbranch_execz .LBB70_77
; %bb.76:
	v_ashrrev_i32_e32 v155, 31, v154
	v_lshlrev_b64 v[160:161], 2, v[154:155]
	v_add_co_u32 v160, vcc_lo, v152, v160
	v_add_co_ci_u32_e64 v161, null, v153, v161, vcc_lo
	s_clause 0x1
	global_load_dword v0, v[160:161], off
	global_load_dword v155, v[152:153], off offset:12
	s_waitcnt vmcnt(1)
	global_store_dword v[152:153], v0, off offset:12
	s_waitcnt vmcnt(0)
	global_store_dword v[160:161], v155, off
.LBB70_77:
	s_or_b32 exec_lo, exec_lo, s2
	v_mov_b32_e32 v160, v154
	v_mov_b32_e32 v0, v154
.LBB70_78:
	s_or_b32 exec_lo, exec_lo, s1
.LBB70_79:
	s_andn2_saveexec_b32 s0, s0
	s_cbranch_execz .LBB70_81
; %bb.80:
	v_mov_b32_e32 v160, 3
	ds_write2_b64 v1, v[126:127], v[128:129] offset0:8 offset1:9
	ds_write2_b64 v1, v[122:123], v[124:125] offset0:10 offset1:11
	;; [unrolled: 1-line block ×32, first 2 shown]
.LBB70_81:
	s_or_b32 exec_lo, exec_lo, s0
	s_mov_b32 s0, exec_lo
	s_waitcnt lgkmcnt(0)
	s_waitcnt_vscnt null, 0x0
	s_barrier
	buffer_gl0_inv
	v_cmpx_lt_i32_e32 3, v160
	s_cbranch_execz .LBB70_83
; %bb.82:
	v_mul_f64 v[154:155], v[148:149], v[136:137]
	v_mul_f64 v[136:137], v[146:147], v[136:137]
	v_fma_f64 v[154:155], v[146:147], v[134:135], -v[154:155]
	v_fma_f64 v[136:137], v[148:149], v[134:135], v[136:137]
	ds_read2_b64 v[146:149], v1 offset0:8 offset1:9
	s_waitcnt lgkmcnt(0)
	v_mul_f64 v[134:135], v[148:149], v[136:137]
	v_fma_f64 v[134:135], v[146:147], v[154:155], -v[134:135]
	v_mul_f64 v[146:147], v[146:147], v[136:137]
	v_add_f64 v[126:127], v[126:127], -v[134:135]
	v_fma_f64 v[146:147], v[148:149], v[154:155], v[146:147]
	v_add_f64 v[128:129], v[128:129], -v[146:147]
	ds_read2_b64 v[146:149], v1 offset0:10 offset1:11
	s_waitcnt lgkmcnt(0)
	v_mul_f64 v[134:135], v[148:149], v[136:137]
	v_fma_f64 v[134:135], v[146:147], v[154:155], -v[134:135]
	v_mul_f64 v[146:147], v[146:147], v[136:137]
	v_add_f64 v[122:123], v[122:123], -v[134:135]
	v_fma_f64 v[146:147], v[148:149], v[154:155], v[146:147]
	v_add_f64 v[124:125], v[124:125], -v[146:147]
	;; [unrolled: 8-line block ×31, first 2 shown]
	ds_read2_b64 v[146:149], v1 offset0:70 offset1:71
	s_waitcnt lgkmcnt(0)
	v_mul_f64 v[134:135], v[148:149], v[136:137]
	v_fma_f64 v[134:135], v[146:147], v[154:155], -v[134:135]
	v_mul_f64 v[146:147], v[146:147], v[136:137]
	v_add_f64 v[2:3], v[2:3], -v[134:135]
	v_fma_f64 v[146:147], v[148:149], v[154:155], v[146:147]
	v_mov_b32_e32 v134, v154
	v_mov_b32_e32 v135, v155
	v_add_f64 v[4:5], v[4:5], -v[146:147]
.LBB70_83:
	s_or_b32 exec_lo, exec_lo, s0
	v_lshl_add_u32 v146, v160, 4, v1
	s_barrier
	buffer_gl0_inv
	v_mov_b32_e32 v154, 4
	ds_write2_b64 v146, v[126:127], v[128:129] offset1:1
	s_waitcnt lgkmcnt(0)
	s_barrier
	buffer_gl0_inv
	ds_read2_b64 v[146:149], v1 offset0:8 offset1:9
	s_cmp_lt_i32 s18, 6
	s_cbranch_scc1 .LBB70_86
; %bb.84:
	v_mov_b32_e32 v154, 4
	v_add3_u32 v155, v156, 0, 0x50
	s_mov_b32 s1, 5
	s_inst_prefetch 0x1
	.p2align	6
.LBB70_85:                              ; =>This Inner Loop Header: Depth=1
	s_waitcnt lgkmcnt(0)
	v_cmp_gt_f64_e32 vcc_lo, 0, v[148:149]
	v_cmp_gt_f64_e64 s0, 0, v[146:147]
	ds_read2_b64 v[161:164], v155 offset1:1
	v_xor_b32_e32 v166, 0x80000000, v147
	v_xor_b32_e32 v168, 0x80000000, v149
	v_mov_b32_e32 v165, v146
	v_mov_b32_e32 v167, v148
	v_add_nc_u32_e32 v155, 16, v155
	s_waitcnt lgkmcnt(0)
	v_xor_b32_e32 v170, 0x80000000, v164
	v_cndmask_b32_e64 v166, v147, v166, s0
	v_cndmask_b32_e32 v168, v149, v168, vcc_lo
	v_cmp_gt_f64_e32 vcc_lo, 0, v[163:164]
	v_cmp_gt_f64_e64 s0, 0, v[161:162]
	v_mov_b32_e32 v169, v163
	v_add_f64 v[165:166], v[165:166], v[167:168]
	v_xor_b32_e32 v168, 0x80000000, v162
	v_mov_b32_e32 v167, v161
	v_cndmask_b32_e32 v170, v164, v170, vcc_lo
	v_cndmask_b32_e64 v168, v162, v168, s0
	v_add_f64 v[167:168], v[167:168], v[169:170]
	v_cmp_lt_f64_e32 vcc_lo, v[165:166], v[167:168]
	v_cndmask_b32_e32 v147, v147, v162, vcc_lo
	v_cndmask_b32_e32 v146, v146, v161, vcc_lo
	;; [unrolled: 1-line block ×4, first 2 shown]
	v_cndmask_b32_e64 v154, v154, s1, vcc_lo
	s_add_i32 s1, s1, 1
	s_cmp_lg_u32 s18, s1
	s_cbranch_scc1 .LBB70_85
.LBB70_86:
	s_inst_prefetch 0x2
	s_waitcnt lgkmcnt(0)
	v_cmp_eq_f64_e32 vcc_lo, 0, v[146:147]
	v_cmp_eq_f64_e64 s0, 0, v[148:149]
	s_and_b32 s0, vcc_lo, s0
	s_and_saveexec_b32 s1, s0
	s_xor_b32 s0, exec_lo, s1
; %bb.87:
	v_cmp_ne_u32_e32 vcc_lo, 0, v159
	v_cndmask_b32_e32 v159, 5, v159, vcc_lo
; %bb.88:
	s_andn2_saveexec_b32 s0, s0
	s_cbranch_execz .LBB70_94
; %bb.89:
	v_cmp_ngt_f64_e64 s1, |v[146:147]|, |v[148:149]|
	s_and_saveexec_b32 s2, s1
	s_xor_b32 s1, exec_lo, s2
	s_cbranch_execz .LBB70_91
; %bb.90:
	v_div_scale_f64 v[161:162], null, v[148:149], v[148:149], v[146:147]
	v_div_scale_f64 v[167:168], vcc_lo, v[146:147], v[148:149], v[146:147]
	v_rcp_f64_e32 v[163:164], v[161:162]
	v_fma_f64 v[165:166], -v[161:162], v[163:164], 1.0
	v_fma_f64 v[163:164], v[163:164], v[165:166], v[163:164]
	v_fma_f64 v[165:166], -v[161:162], v[163:164], 1.0
	v_fma_f64 v[163:164], v[163:164], v[165:166], v[163:164]
	v_mul_f64 v[165:166], v[167:168], v[163:164]
	v_fma_f64 v[161:162], -v[161:162], v[165:166], v[167:168]
	v_div_fmas_f64 v[161:162], v[161:162], v[163:164], v[165:166]
	v_div_fixup_f64 v[161:162], v[161:162], v[148:149], v[146:147]
	v_fma_f64 v[146:147], v[146:147], v[161:162], v[148:149]
	v_div_scale_f64 v[148:149], null, v[146:147], v[146:147], 1.0
	v_rcp_f64_e32 v[163:164], v[148:149]
	v_fma_f64 v[165:166], -v[148:149], v[163:164], 1.0
	v_fma_f64 v[163:164], v[163:164], v[165:166], v[163:164]
	v_fma_f64 v[165:166], -v[148:149], v[163:164], 1.0
	v_fma_f64 v[163:164], v[163:164], v[165:166], v[163:164]
	v_div_scale_f64 v[165:166], vcc_lo, 1.0, v[146:147], 1.0
	v_mul_f64 v[167:168], v[165:166], v[163:164]
	v_fma_f64 v[148:149], -v[148:149], v[167:168], v[165:166]
	v_div_fmas_f64 v[148:149], v[148:149], v[163:164], v[167:168]
	v_div_fixup_f64 v[148:149], v[148:149], v[146:147], 1.0
	v_mul_f64 v[146:147], v[161:162], v[148:149]
	v_xor_b32_e32 v149, 0x80000000, v149
.LBB70_91:
	s_andn2_saveexec_b32 s1, s1
	s_cbranch_execz .LBB70_93
; %bb.92:
	v_div_scale_f64 v[161:162], null, v[146:147], v[146:147], v[148:149]
	v_div_scale_f64 v[167:168], vcc_lo, v[148:149], v[146:147], v[148:149]
	v_rcp_f64_e32 v[163:164], v[161:162]
	v_fma_f64 v[165:166], -v[161:162], v[163:164], 1.0
	v_fma_f64 v[163:164], v[163:164], v[165:166], v[163:164]
	v_fma_f64 v[165:166], -v[161:162], v[163:164], 1.0
	v_fma_f64 v[163:164], v[163:164], v[165:166], v[163:164]
	v_mul_f64 v[165:166], v[167:168], v[163:164]
	v_fma_f64 v[161:162], -v[161:162], v[165:166], v[167:168]
	v_div_fmas_f64 v[161:162], v[161:162], v[163:164], v[165:166]
	v_div_fixup_f64 v[161:162], v[161:162], v[146:147], v[148:149]
	v_fma_f64 v[146:147], v[148:149], v[161:162], v[146:147]
	v_div_scale_f64 v[148:149], null, v[146:147], v[146:147], 1.0
	v_rcp_f64_e32 v[163:164], v[148:149]
	v_fma_f64 v[165:166], -v[148:149], v[163:164], 1.0
	v_fma_f64 v[163:164], v[163:164], v[165:166], v[163:164]
	v_fma_f64 v[165:166], -v[148:149], v[163:164], 1.0
	v_fma_f64 v[163:164], v[163:164], v[165:166], v[163:164]
	v_div_scale_f64 v[165:166], vcc_lo, 1.0, v[146:147], 1.0
	v_mul_f64 v[167:168], v[165:166], v[163:164]
	v_fma_f64 v[148:149], -v[148:149], v[167:168], v[165:166]
	v_div_fmas_f64 v[148:149], v[148:149], v[163:164], v[167:168]
	v_div_fixup_f64 v[146:147], v[148:149], v[146:147], 1.0
	v_mul_f64 v[148:149], v[161:162], -v[146:147]
.LBB70_93:
	s_or_b32 exec_lo, exec_lo, s1
.LBB70_94:
	s_or_b32 exec_lo, exec_lo, s0
	s_mov_b32 s0, exec_lo
	v_cmpx_ne_u32_e64 v160, v154
	s_xor_b32 s0, exec_lo, s0
	s_cbranch_execz .LBB70_100
; %bb.95:
	s_mov_b32 s1, exec_lo
	v_cmpx_eq_u32_e32 4, v160
	s_cbranch_execz .LBB70_99
; %bb.96:
	v_cmp_ne_u32_e32 vcc_lo, 4, v154
	s_xor_b32 s2, s16, -1
	s_and_b32 s3, s2, vcc_lo
	s_and_saveexec_b32 s2, s3
	s_cbranch_execz .LBB70_98
; %bb.97:
	v_ashrrev_i32_e32 v155, 31, v154
	v_lshlrev_b64 v[160:161], 2, v[154:155]
	v_add_co_u32 v160, vcc_lo, v152, v160
	v_add_co_ci_u32_e64 v161, null, v153, v161, vcc_lo
	s_clause 0x1
	global_load_dword v0, v[160:161], off
	global_load_dword v155, v[152:153], off offset:16
	s_waitcnt vmcnt(1)
	global_store_dword v[152:153], v0, off offset:16
	s_waitcnt vmcnt(0)
	global_store_dword v[160:161], v155, off
.LBB70_98:
	s_or_b32 exec_lo, exec_lo, s2
	v_mov_b32_e32 v160, v154
	v_mov_b32_e32 v0, v154
.LBB70_99:
	s_or_b32 exec_lo, exec_lo, s1
.LBB70_100:
	s_andn2_saveexec_b32 s0, s0
	s_cbranch_execz .LBB70_102
; %bb.101:
	v_mov_b32_e32 v160, 4
	ds_write2_b64 v1, v[122:123], v[124:125] offset0:10 offset1:11
	ds_write2_b64 v1, v[118:119], v[120:121] offset0:12 offset1:13
	;; [unrolled: 1-line block ×31, first 2 shown]
.LBB70_102:
	s_or_b32 exec_lo, exec_lo, s0
	s_mov_b32 s0, exec_lo
	s_waitcnt lgkmcnt(0)
	s_waitcnt_vscnt null, 0x0
	s_barrier
	buffer_gl0_inv
	v_cmpx_lt_i32_e32 4, v160
	s_cbranch_execz .LBB70_104
; %bb.103:
	v_mul_f64 v[154:155], v[148:149], v[128:129]
	v_mul_f64 v[128:129], v[146:147], v[128:129]
	v_fma_f64 v[154:155], v[146:147], v[126:127], -v[154:155]
	v_fma_f64 v[128:129], v[148:149], v[126:127], v[128:129]
	ds_read2_b64 v[146:149], v1 offset0:10 offset1:11
	s_waitcnt lgkmcnt(0)
	v_mul_f64 v[126:127], v[148:149], v[128:129]
	v_fma_f64 v[126:127], v[146:147], v[154:155], -v[126:127]
	v_mul_f64 v[146:147], v[146:147], v[128:129]
	v_add_f64 v[122:123], v[122:123], -v[126:127]
	v_fma_f64 v[146:147], v[148:149], v[154:155], v[146:147]
	v_add_f64 v[124:125], v[124:125], -v[146:147]
	ds_read2_b64 v[146:149], v1 offset0:12 offset1:13
	s_waitcnt lgkmcnt(0)
	v_mul_f64 v[126:127], v[148:149], v[128:129]
	v_fma_f64 v[126:127], v[146:147], v[154:155], -v[126:127]
	v_mul_f64 v[146:147], v[146:147], v[128:129]
	v_add_f64 v[118:119], v[118:119], -v[126:127]
	v_fma_f64 v[146:147], v[148:149], v[154:155], v[146:147]
	v_add_f64 v[120:121], v[120:121], -v[146:147]
	;; [unrolled: 8-line block ×30, first 2 shown]
	ds_read2_b64 v[146:149], v1 offset0:70 offset1:71
	s_waitcnt lgkmcnt(0)
	v_mul_f64 v[126:127], v[148:149], v[128:129]
	v_fma_f64 v[126:127], v[146:147], v[154:155], -v[126:127]
	v_mul_f64 v[146:147], v[146:147], v[128:129]
	v_add_f64 v[2:3], v[2:3], -v[126:127]
	v_fma_f64 v[146:147], v[148:149], v[154:155], v[146:147]
	v_mov_b32_e32 v126, v154
	v_mov_b32_e32 v127, v155
	v_add_f64 v[4:5], v[4:5], -v[146:147]
.LBB70_104:
	s_or_b32 exec_lo, exec_lo, s0
	v_lshl_add_u32 v146, v160, 4, v1
	s_barrier
	buffer_gl0_inv
	v_mov_b32_e32 v154, 5
	ds_write2_b64 v146, v[122:123], v[124:125] offset1:1
	s_waitcnt lgkmcnt(0)
	s_barrier
	buffer_gl0_inv
	ds_read2_b64 v[146:149], v1 offset0:10 offset1:11
	s_cmp_lt_i32 s18, 7
	s_cbranch_scc1 .LBB70_107
; %bb.105:
	v_add3_u32 v155, v156, 0, 0x60
	v_mov_b32_e32 v154, 5
	s_mov_b32 s1, 6
	s_inst_prefetch 0x1
	.p2align	6
.LBB70_106:                             ; =>This Inner Loop Header: Depth=1
	s_waitcnt lgkmcnt(0)
	v_cmp_gt_f64_e32 vcc_lo, 0, v[148:149]
	v_cmp_gt_f64_e64 s0, 0, v[146:147]
	ds_read2_b64 v[161:164], v155 offset1:1
	v_xor_b32_e32 v166, 0x80000000, v147
	v_xor_b32_e32 v168, 0x80000000, v149
	v_mov_b32_e32 v165, v146
	v_mov_b32_e32 v167, v148
	v_add_nc_u32_e32 v155, 16, v155
	s_waitcnt lgkmcnt(0)
	v_xor_b32_e32 v170, 0x80000000, v164
	v_cndmask_b32_e64 v166, v147, v166, s0
	v_cndmask_b32_e32 v168, v149, v168, vcc_lo
	v_cmp_gt_f64_e32 vcc_lo, 0, v[163:164]
	v_cmp_gt_f64_e64 s0, 0, v[161:162]
	v_mov_b32_e32 v169, v163
	v_add_f64 v[165:166], v[165:166], v[167:168]
	v_xor_b32_e32 v168, 0x80000000, v162
	v_mov_b32_e32 v167, v161
	v_cndmask_b32_e32 v170, v164, v170, vcc_lo
	v_cndmask_b32_e64 v168, v162, v168, s0
	v_add_f64 v[167:168], v[167:168], v[169:170]
	v_cmp_lt_f64_e32 vcc_lo, v[165:166], v[167:168]
	v_cndmask_b32_e32 v147, v147, v162, vcc_lo
	v_cndmask_b32_e32 v146, v146, v161, vcc_lo
	;; [unrolled: 1-line block ×4, first 2 shown]
	v_cndmask_b32_e64 v154, v154, s1, vcc_lo
	s_add_i32 s1, s1, 1
	s_cmp_lg_u32 s18, s1
	s_cbranch_scc1 .LBB70_106
.LBB70_107:
	s_inst_prefetch 0x2
	s_waitcnt lgkmcnt(0)
	v_cmp_eq_f64_e32 vcc_lo, 0, v[146:147]
	v_cmp_eq_f64_e64 s0, 0, v[148:149]
	s_and_b32 s0, vcc_lo, s0
	s_and_saveexec_b32 s1, s0
	s_xor_b32 s0, exec_lo, s1
; %bb.108:
	v_cmp_ne_u32_e32 vcc_lo, 0, v159
	v_cndmask_b32_e32 v159, 6, v159, vcc_lo
; %bb.109:
	s_andn2_saveexec_b32 s0, s0
	s_cbranch_execz .LBB70_115
; %bb.110:
	v_cmp_ngt_f64_e64 s1, |v[146:147]|, |v[148:149]|
	s_and_saveexec_b32 s2, s1
	s_xor_b32 s1, exec_lo, s2
	s_cbranch_execz .LBB70_112
; %bb.111:
	v_div_scale_f64 v[161:162], null, v[148:149], v[148:149], v[146:147]
	v_div_scale_f64 v[167:168], vcc_lo, v[146:147], v[148:149], v[146:147]
	v_rcp_f64_e32 v[163:164], v[161:162]
	v_fma_f64 v[165:166], -v[161:162], v[163:164], 1.0
	v_fma_f64 v[163:164], v[163:164], v[165:166], v[163:164]
	v_fma_f64 v[165:166], -v[161:162], v[163:164], 1.0
	v_fma_f64 v[163:164], v[163:164], v[165:166], v[163:164]
	v_mul_f64 v[165:166], v[167:168], v[163:164]
	v_fma_f64 v[161:162], -v[161:162], v[165:166], v[167:168]
	v_div_fmas_f64 v[161:162], v[161:162], v[163:164], v[165:166]
	v_div_fixup_f64 v[161:162], v[161:162], v[148:149], v[146:147]
	v_fma_f64 v[146:147], v[146:147], v[161:162], v[148:149]
	v_div_scale_f64 v[148:149], null, v[146:147], v[146:147], 1.0
	v_rcp_f64_e32 v[163:164], v[148:149]
	v_fma_f64 v[165:166], -v[148:149], v[163:164], 1.0
	v_fma_f64 v[163:164], v[163:164], v[165:166], v[163:164]
	v_fma_f64 v[165:166], -v[148:149], v[163:164], 1.0
	v_fma_f64 v[163:164], v[163:164], v[165:166], v[163:164]
	v_div_scale_f64 v[165:166], vcc_lo, 1.0, v[146:147], 1.0
	v_mul_f64 v[167:168], v[165:166], v[163:164]
	v_fma_f64 v[148:149], -v[148:149], v[167:168], v[165:166]
	v_div_fmas_f64 v[148:149], v[148:149], v[163:164], v[167:168]
	v_div_fixup_f64 v[148:149], v[148:149], v[146:147], 1.0
	v_mul_f64 v[146:147], v[161:162], v[148:149]
	v_xor_b32_e32 v149, 0x80000000, v149
.LBB70_112:
	s_andn2_saveexec_b32 s1, s1
	s_cbranch_execz .LBB70_114
; %bb.113:
	v_div_scale_f64 v[161:162], null, v[146:147], v[146:147], v[148:149]
	v_div_scale_f64 v[167:168], vcc_lo, v[148:149], v[146:147], v[148:149]
	v_rcp_f64_e32 v[163:164], v[161:162]
	v_fma_f64 v[165:166], -v[161:162], v[163:164], 1.0
	v_fma_f64 v[163:164], v[163:164], v[165:166], v[163:164]
	v_fma_f64 v[165:166], -v[161:162], v[163:164], 1.0
	v_fma_f64 v[163:164], v[163:164], v[165:166], v[163:164]
	v_mul_f64 v[165:166], v[167:168], v[163:164]
	v_fma_f64 v[161:162], -v[161:162], v[165:166], v[167:168]
	v_div_fmas_f64 v[161:162], v[161:162], v[163:164], v[165:166]
	v_div_fixup_f64 v[161:162], v[161:162], v[146:147], v[148:149]
	v_fma_f64 v[146:147], v[148:149], v[161:162], v[146:147]
	v_div_scale_f64 v[148:149], null, v[146:147], v[146:147], 1.0
	v_rcp_f64_e32 v[163:164], v[148:149]
	v_fma_f64 v[165:166], -v[148:149], v[163:164], 1.0
	v_fma_f64 v[163:164], v[163:164], v[165:166], v[163:164]
	v_fma_f64 v[165:166], -v[148:149], v[163:164], 1.0
	v_fma_f64 v[163:164], v[163:164], v[165:166], v[163:164]
	v_div_scale_f64 v[165:166], vcc_lo, 1.0, v[146:147], 1.0
	v_mul_f64 v[167:168], v[165:166], v[163:164]
	v_fma_f64 v[148:149], -v[148:149], v[167:168], v[165:166]
	v_div_fmas_f64 v[148:149], v[148:149], v[163:164], v[167:168]
	v_div_fixup_f64 v[146:147], v[148:149], v[146:147], 1.0
	v_mul_f64 v[148:149], v[161:162], -v[146:147]
.LBB70_114:
	s_or_b32 exec_lo, exec_lo, s1
.LBB70_115:
	s_or_b32 exec_lo, exec_lo, s0
	s_mov_b32 s0, exec_lo
	v_cmpx_ne_u32_e64 v160, v154
	s_xor_b32 s0, exec_lo, s0
	s_cbranch_execz .LBB70_121
; %bb.116:
	s_mov_b32 s1, exec_lo
	v_cmpx_eq_u32_e32 5, v160
	s_cbranch_execz .LBB70_120
; %bb.117:
	v_cmp_ne_u32_e32 vcc_lo, 5, v154
	s_xor_b32 s2, s16, -1
	s_and_b32 s3, s2, vcc_lo
	s_and_saveexec_b32 s2, s3
	s_cbranch_execz .LBB70_119
; %bb.118:
	v_ashrrev_i32_e32 v155, 31, v154
	v_lshlrev_b64 v[160:161], 2, v[154:155]
	v_add_co_u32 v160, vcc_lo, v152, v160
	v_add_co_ci_u32_e64 v161, null, v153, v161, vcc_lo
	s_clause 0x1
	global_load_dword v0, v[160:161], off
	global_load_dword v155, v[152:153], off offset:20
	s_waitcnt vmcnt(1)
	global_store_dword v[152:153], v0, off offset:20
	s_waitcnt vmcnt(0)
	global_store_dword v[160:161], v155, off
.LBB70_119:
	s_or_b32 exec_lo, exec_lo, s2
	v_mov_b32_e32 v160, v154
	v_mov_b32_e32 v0, v154
.LBB70_120:
	s_or_b32 exec_lo, exec_lo, s1
.LBB70_121:
	s_andn2_saveexec_b32 s0, s0
	s_cbranch_execz .LBB70_123
; %bb.122:
	v_mov_b32_e32 v160, 5
	ds_write2_b64 v1, v[118:119], v[120:121] offset0:12 offset1:13
	ds_write2_b64 v1, v[114:115], v[116:117] offset0:14 offset1:15
	;; [unrolled: 1-line block ×30, first 2 shown]
.LBB70_123:
	s_or_b32 exec_lo, exec_lo, s0
	s_mov_b32 s0, exec_lo
	s_waitcnt lgkmcnt(0)
	s_waitcnt_vscnt null, 0x0
	s_barrier
	buffer_gl0_inv
	v_cmpx_lt_i32_e32 5, v160
	s_cbranch_execz .LBB70_125
; %bb.124:
	v_mul_f64 v[154:155], v[148:149], v[124:125]
	v_mul_f64 v[124:125], v[146:147], v[124:125]
	v_fma_f64 v[154:155], v[146:147], v[122:123], -v[154:155]
	v_fma_f64 v[124:125], v[148:149], v[122:123], v[124:125]
	ds_read2_b64 v[146:149], v1 offset0:12 offset1:13
	s_waitcnt lgkmcnt(0)
	v_mul_f64 v[122:123], v[148:149], v[124:125]
	v_fma_f64 v[122:123], v[146:147], v[154:155], -v[122:123]
	v_mul_f64 v[146:147], v[146:147], v[124:125]
	v_add_f64 v[118:119], v[118:119], -v[122:123]
	v_fma_f64 v[146:147], v[148:149], v[154:155], v[146:147]
	v_add_f64 v[120:121], v[120:121], -v[146:147]
	ds_read2_b64 v[146:149], v1 offset0:14 offset1:15
	s_waitcnt lgkmcnt(0)
	v_mul_f64 v[122:123], v[148:149], v[124:125]
	v_fma_f64 v[122:123], v[146:147], v[154:155], -v[122:123]
	v_mul_f64 v[146:147], v[146:147], v[124:125]
	v_add_f64 v[114:115], v[114:115], -v[122:123]
	v_fma_f64 v[146:147], v[148:149], v[154:155], v[146:147]
	v_add_f64 v[116:117], v[116:117], -v[146:147]
	;; [unrolled: 8-line block ×29, first 2 shown]
	ds_read2_b64 v[146:149], v1 offset0:70 offset1:71
	s_waitcnt lgkmcnt(0)
	v_mul_f64 v[122:123], v[148:149], v[124:125]
	v_fma_f64 v[122:123], v[146:147], v[154:155], -v[122:123]
	v_mul_f64 v[146:147], v[146:147], v[124:125]
	v_add_f64 v[2:3], v[2:3], -v[122:123]
	v_fma_f64 v[146:147], v[148:149], v[154:155], v[146:147]
	v_mov_b32_e32 v122, v154
	v_mov_b32_e32 v123, v155
	v_add_f64 v[4:5], v[4:5], -v[146:147]
.LBB70_125:
	s_or_b32 exec_lo, exec_lo, s0
	v_lshl_add_u32 v146, v160, 4, v1
	s_barrier
	buffer_gl0_inv
	v_mov_b32_e32 v154, 6
	ds_write2_b64 v146, v[118:119], v[120:121] offset1:1
	s_waitcnt lgkmcnt(0)
	s_barrier
	buffer_gl0_inv
	ds_read2_b64 v[146:149], v1 offset0:12 offset1:13
	s_cmp_lt_i32 s18, 8
	s_cbranch_scc1 .LBB70_128
; %bb.126:
	v_add3_u32 v155, v156, 0, 0x70
	v_mov_b32_e32 v154, 6
	s_mov_b32 s1, 7
	s_inst_prefetch 0x1
	.p2align	6
.LBB70_127:                             ; =>This Inner Loop Header: Depth=1
	s_waitcnt lgkmcnt(0)
	v_cmp_gt_f64_e32 vcc_lo, 0, v[148:149]
	v_cmp_gt_f64_e64 s0, 0, v[146:147]
	ds_read2_b64 v[161:164], v155 offset1:1
	v_xor_b32_e32 v166, 0x80000000, v147
	v_xor_b32_e32 v168, 0x80000000, v149
	v_mov_b32_e32 v165, v146
	v_mov_b32_e32 v167, v148
	v_add_nc_u32_e32 v155, 16, v155
	s_waitcnt lgkmcnt(0)
	v_xor_b32_e32 v170, 0x80000000, v164
	v_cndmask_b32_e64 v166, v147, v166, s0
	v_cndmask_b32_e32 v168, v149, v168, vcc_lo
	v_cmp_gt_f64_e32 vcc_lo, 0, v[163:164]
	v_cmp_gt_f64_e64 s0, 0, v[161:162]
	v_mov_b32_e32 v169, v163
	v_add_f64 v[165:166], v[165:166], v[167:168]
	v_xor_b32_e32 v168, 0x80000000, v162
	v_mov_b32_e32 v167, v161
	v_cndmask_b32_e32 v170, v164, v170, vcc_lo
	v_cndmask_b32_e64 v168, v162, v168, s0
	v_add_f64 v[167:168], v[167:168], v[169:170]
	v_cmp_lt_f64_e32 vcc_lo, v[165:166], v[167:168]
	v_cndmask_b32_e32 v147, v147, v162, vcc_lo
	v_cndmask_b32_e32 v146, v146, v161, vcc_lo
	v_cndmask_b32_e32 v149, v149, v164, vcc_lo
	v_cndmask_b32_e32 v148, v148, v163, vcc_lo
	v_cndmask_b32_e64 v154, v154, s1, vcc_lo
	s_add_i32 s1, s1, 1
	s_cmp_lg_u32 s18, s1
	s_cbranch_scc1 .LBB70_127
.LBB70_128:
	s_inst_prefetch 0x2
	s_waitcnt lgkmcnt(0)
	v_cmp_eq_f64_e32 vcc_lo, 0, v[146:147]
	v_cmp_eq_f64_e64 s0, 0, v[148:149]
	s_and_b32 s0, vcc_lo, s0
	s_and_saveexec_b32 s1, s0
	s_xor_b32 s0, exec_lo, s1
; %bb.129:
	v_cmp_ne_u32_e32 vcc_lo, 0, v159
	v_cndmask_b32_e32 v159, 7, v159, vcc_lo
; %bb.130:
	s_andn2_saveexec_b32 s0, s0
	s_cbranch_execz .LBB70_136
; %bb.131:
	v_cmp_ngt_f64_e64 s1, |v[146:147]|, |v[148:149]|
	s_and_saveexec_b32 s2, s1
	s_xor_b32 s1, exec_lo, s2
	s_cbranch_execz .LBB70_133
; %bb.132:
	v_div_scale_f64 v[161:162], null, v[148:149], v[148:149], v[146:147]
	v_div_scale_f64 v[167:168], vcc_lo, v[146:147], v[148:149], v[146:147]
	v_rcp_f64_e32 v[163:164], v[161:162]
	v_fma_f64 v[165:166], -v[161:162], v[163:164], 1.0
	v_fma_f64 v[163:164], v[163:164], v[165:166], v[163:164]
	v_fma_f64 v[165:166], -v[161:162], v[163:164], 1.0
	v_fma_f64 v[163:164], v[163:164], v[165:166], v[163:164]
	v_mul_f64 v[165:166], v[167:168], v[163:164]
	v_fma_f64 v[161:162], -v[161:162], v[165:166], v[167:168]
	v_div_fmas_f64 v[161:162], v[161:162], v[163:164], v[165:166]
	v_div_fixup_f64 v[161:162], v[161:162], v[148:149], v[146:147]
	v_fma_f64 v[146:147], v[146:147], v[161:162], v[148:149]
	v_div_scale_f64 v[148:149], null, v[146:147], v[146:147], 1.0
	v_rcp_f64_e32 v[163:164], v[148:149]
	v_fma_f64 v[165:166], -v[148:149], v[163:164], 1.0
	v_fma_f64 v[163:164], v[163:164], v[165:166], v[163:164]
	v_fma_f64 v[165:166], -v[148:149], v[163:164], 1.0
	v_fma_f64 v[163:164], v[163:164], v[165:166], v[163:164]
	v_div_scale_f64 v[165:166], vcc_lo, 1.0, v[146:147], 1.0
	v_mul_f64 v[167:168], v[165:166], v[163:164]
	v_fma_f64 v[148:149], -v[148:149], v[167:168], v[165:166]
	v_div_fmas_f64 v[148:149], v[148:149], v[163:164], v[167:168]
	v_div_fixup_f64 v[148:149], v[148:149], v[146:147], 1.0
	v_mul_f64 v[146:147], v[161:162], v[148:149]
	v_xor_b32_e32 v149, 0x80000000, v149
.LBB70_133:
	s_andn2_saveexec_b32 s1, s1
	s_cbranch_execz .LBB70_135
; %bb.134:
	v_div_scale_f64 v[161:162], null, v[146:147], v[146:147], v[148:149]
	v_div_scale_f64 v[167:168], vcc_lo, v[148:149], v[146:147], v[148:149]
	v_rcp_f64_e32 v[163:164], v[161:162]
	v_fma_f64 v[165:166], -v[161:162], v[163:164], 1.0
	v_fma_f64 v[163:164], v[163:164], v[165:166], v[163:164]
	v_fma_f64 v[165:166], -v[161:162], v[163:164], 1.0
	v_fma_f64 v[163:164], v[163:164], v[165:166], v[163:164]
	v_mul_f64 v[165:166], v[167:168], v[163:164]
	v_fma_f64 v[161:162], -v[161:162], v[165:166], v[167:168]
	v_div_fmas_f64 v[161:162], v[161:162], v[163:164], v[165:166]
	v_div_fixup_f64 v[161:162], v[161:162], v[146:147], v[148:149]
	v_fma_f64 v[146:147], v[148:149], v[161:162], v[146:147]
	v_div_scale_f64 v[148:149], null, v[146:147], v[146:147], 1.0
	v_rcp_f64_e32 v[163:164], v[148:149]
	v_fma_f64 v[165:166], -v[148:149], v[163:164], 1.0
	v_fma_f64 v[163:164], v[163:164], v[165:166], v[163:164]
	v_fma_f64 v[165:166], -v[148:149], v[163:164], 1.0
	v_fma_f64 v[163:164], v[163:164], v[165:166], v[163:164]
	v_div_scale_f64 v[165:166], vcc_lo, 1.0, v[146:147], 1.0
	v_mul_f64 v[167:168], v[165:166], v[163:164]
	v_fma_f64 v[148:149], -v[148:149], v[167:168], v[165:166]
	v_div_fmas_f64 v[148:149], v[148:149], v[163:164], v[167:168]
	v_div_fixup_f64 v[146:147], v[148:149], v[146:147], 1.0
	v_mul_f64 v[148:149], v[161:162], -v[146:147]
.LBB70_135:
	s_or_b32 exec_lo, exec_lo, s1
.LBB70_136:
	s_or_b32 exec_lo, exec_lo, s0
	s_mov_b32 s0, exec_lo
	v_cmpx_ne_u32_e64 v160, v154
	s_xor_b32 s0, exec_lo, s0
	s_cbranch_execz .LBB70_142
; %bb.137:
	s_mov_b32 s1, exec_lo
	v_cmpx_eq_u32_e32 6, v160
	s_cbranch_execz .LBB70_141
; %bb.138:
	v_cmp_ne_u32_e32 vcc_lo, 6, v154
	s_xor_b32 s2, s16, -1
	s_and_b32 s3, s2, vcc_lo
	s_and_saveexec_b32 s2, s3
	s_cbranch_execz .LBB70_140
; %bb.139:
	v_ashrrev_i32_e32 v155, 31, v154
	v_lshlrev_b64 v[160:161], 2, v[154:155]
	v_add_co_u32 v160, vcc_lo, v152, v160
	v_add_co_ci_u32_e64 v161, null, v153, v161, vcc_lo
	s_clause 0x1
	global_load_dword v0, v[160:161], off
	global_load_dword v155, v[152:153], off offset:24
	s_waitcnt vmcnt(1)
	global_store_dword v[152:153], v0, off offset:24
	s_waitcnt vmcnt(0)
	global_store_dword v[160:161], v155, off
.LBB70_140:
	s_or_b32 exec_lo, exec_lo, s2
	v_mov_b32_e32 v160, v154
	v_mov_b32_e32 v0, v154
.LBB70_141:
	s_or_b32 exec_lo, exec_lo, s1
.LBB70_142:
	s_andn2_saveexec_b32 s0, s0
	s_cbranch_execz .LBB70_144
; %bb.143:
	v_mov_b32_e32 v160, 6
	ds_write2_b64 v1, v[114:115], v[116:117] offset0:14 offset1:15
	ds_write2_b64 v1, v[110:111], v[112:113] offset0:16 offset1:17
	;; [unrolled: 1-line block ×29, first 2 shown]
.LBB70_144:
	s_or_b32 exec_lo, exec_lo, s0
	s_mov_b32 s0, exec_lo
	s_waitcnt lgkmcnt(0)
	s_waitcnt_vscnt null, 0x0
	s_barrier
	buffer_gl0_inv
	v_cmpx_lt_i32_e32 6, v160
	s_cbranch_execz .LBB70_146
; %bb.145:
	v_mul_f64 v[154:155], v[148:149], v[120:121]
	v_mul_f64 v[120:121], v[146:147], v[120:121]
	v_fma_f64 v[154:155], v[146:147], v[118:119], -v[154:155]
	v_fma_f64 v[120:121], v[148:149], v[118:119], v[120:121]
	ds_read2_b64 v[146:149], v1 offset0:14 offset1:15
	s_waitcnt lgkmcnt(0)
	v_mul_f64 v[118:119], v[148:149], v[120:121]
	v_fma_f64 v[118:119], v[146:147], v[154:155], -v[118:119]
	v_mul_f64 v[146:147], v[146:147], v[120:121]
	v_add_f64 v[114:115], v[114:115], -v[118:119]
	v_fma_f64 v[146:147], v[148:149], v[154:155], v[146:147]
	v_add_f64 v[116:117], v[116:117], -v[146:147]
	ds_read2_b64 v[146:149], v1 offset0:16 offset1:17
	s_waitcnt lgkmcnt(0)
	v_mul_f64 v[118:119], v[148:149], v[120:121]
	v_fma_f64 v[118:119], v[146:147], v[154:155], -v[118:119]
	v_mul_f64 v[146:147], v[146:147], v[120:121]
	v_add_f64 v[110:111], v[110:111], -v[118:119]
	v_fma_f64 v[146:147], v[148:149], v[154:155], v[146:147]
	v_add_f64 v[112:113], v[112:113], -v[146:147]
	;; [unrolled: 8-line block ×28, first 2 shown]
	ds_read2_b64 v[146:149], v1 offset0:70 offset1:71
	s_waitcnt lgkmcnt(0)
	v_mul_f64 v[118:119], v[148:149], v[120:121]
	v_fma_f64 v[118:119], v[146:147], v[154:155], -v[118:119]
	v_mul_f64 v[146:147], v[146:147], v[120:121]
	v_add_f64 v[2:3], v[2:3], -v[118:119]
	v_fma_f64 v[146:147], v[148:149], v[154:155], v[146:147]
	v_mov_b32_e32 v118, v154
	v_mov_b32_e32 v119, v155
	v_add_f64 v[4:5], v[4:5], -v[146:147]
.LBB70_146:
	s_or_b32 exec_lo, exec_lo, s0
	v_lshl_add_u32 v146, v160, 4, v1
	s_barrier
	buffer_gl0_inv
	v_mov_b32_e32 v154, 7
	ds_write2_b64 v146, v[114:115], v[116:117] offset1:1
	s_waitcnt lgkmcnt(0)
	s_barrier
	buffer_gl0_inv
	ds_read2_b64 v[146:149], v1 offset0:14 offset1:15
	s_cmp_lt_i32 s18, 9
	s_cbranch_scc1 .LBB70_149
; %bb.147:
	v_add3_u32 v155, v156, 0, 0x80
	v_mov_b32_e32 v154, 7
	s_mov_b32 s1, 8
	s_inst_prefetch 0x1
	.p2align	6
.LBB70_148:                             ; =>This Inner Loop Header: Depth=1
	s_waitcnt lgkmcnt(0)
	v_cmp_gt_f64_e32 vcc_lo, 0, v[148:149]
	v_cmp_gt_f64_e64 s0, 0, v[146:147]
	ds_read2_b64 v[161:164], v155 offset1:1
	v_xor_b32_e32 v166, 0x80000000, v147
	v_xor_b32_e32 v168, 0x80000000, v149
	v_mov_b32_e32 v165, v146
	v_mov_b32_e32 v167, v148
	v_add_nc_u32_e32 v155, 16, v155
	s_waitcnt lgkmcnt(0)
	v_xor_b32_e32 v170, 0x80000000, v164
	v_cndmask_b32_e64 v166, v147, v166, s0
	v_cndmask_b32_e32 v168, v149, v168, vcc_lo
	v_cmp_gt_f64_e32 vcc_lo, 0, v[163:164]
	v_cmp_gt_f64_e64 s0, 0, v[161:162]
	v_mov_b32_e32 v169, v163
	v_add_f64 v[165:166], v[165:166], v[167:168]
	v_xor_b32_e32 v168, 0x80000000, v162
	v_mov_b32_e32 v167, v161
	v_cndmask_b32_e32 v170, v164, v170, vcc_lo
	v_cndmask_b32_e64 v168, v162, v168, s0
	v_add_f64 v[167:168], v[167:168], v[169:170]
	v_cmp_lt_f64_e32 vcc_lo, v[165:166], v[167:168]
	v_cndmask_b32_e32 v147, v147, v162, vcc_lo
	v_cndmask_b32_e32 v146, v146, v161, vcc_lo
	;; [unrolled: 1-line block ×4, first 2 shown]
	v_cndmask_b32_e64 v154, v154, s1, vcc_lo
	s_add_i32 s1, s1, 1
	s_cmp_lg_u32 s18, s1
	s_cbranch_scc1 .LBB70_148
.LBB70_149:
	s_inst_prefetch 0x2
	s_waitcnt lgkmcnt(0)
	v_cmp_eq_f64_e32 vcc_lo, 0, v[146:147]
	v_cmp_eq_f64_e64 s0, 0, v[148:149]
	s_and_b32 s0, vcc_lo, s0
	s_and_saveexec_b32 s1, s0
	s_xor_b32 s0, exec_lo, s1
; %bb.150:
	v_cmp_ne_u32_e32 vcc_lo, 0, v159
	v_cndmask_b32_e32 v159, 8, v159, vcc_lo
; %bb.151:
	s_andn2_saveexec_b32 s0, s0
	s_cbranch_execz .LBB70_157
; %bb.152:
	v_cmp_ngt_f64_e64 s1, |v[146:147]|, |v[148:149]|
	s_and_saveexec_b32 s2, s1
	s_xor_b32 s1, exec_lo, s2
	s_cbranch_execz .LBB70_154
; %bb.153:
	v_div_scale_f64 v[161:162], null, v[148:149], v[148:149], v[146:147]
	v_div_scale_f64 v[167:168], vcc_lo, v[146:147], v[148:149], v[146:147]
	v_rcp_f64_e32 v[163:164], v[161:162]
	v_fma_f64 v[165:166], -v[161:162], v[163:164], 1.0
	v_fma_f64 v[163:164], v[163:164], v[165:166], v[163:164]
	v_fma_f64 v[165:166], -v[161:162], v[163:164], 1.0
	v_fma_f64 v[163:164], v[163:164], v[165:166], v[163:164]
	v_mul_f64 v[165:166], v[167:168], v[163:164]
	v_fma_f64 v[161:162], -v[161:162], v[165:166], v[167:168]
	v_div_fmas_f64 v[161:162], v[161:162], v[163:164], v[165:166]
	v_div_fixup_f64 v[161:162], v[161:162], v[148:149], v[146:147]
	v_fma_f64 v[146:147], v[146:147], v[161:162], v[148:149]
	v_div_scale_f64 v[148:149], null, v[146:147], v[146:147], 1.0
	v_rcp_f64_e32 v[163:164], v[148:149]
	v_fma_f64 v[165:166], -v[148:149], v[163:164], 1.0
	v_fma_f64 v[163:164], v[163:164], v[165:166], v[163:164]
	v_fma_f64 v[165:166], -v[148:149], v[163:164], 1.0
	v_fma_f64 v[163:164], v[163:164], v[165:166], v[163:164]
	v_div_scale_f64 v[165:166], vcc_lo, 1.0, v[146:147], 1.0
	v_mul_f64 v[167:168], v[165:166], v[163:164]
	v_fma_f64 v[148:149], -v[148:149], v[167:168], v[165:166]
	v_div_fmas_f64 v[148:149], v[148:149], v[163:164], v[167:168]
	v_div_fixup_f64 v[148:149], v[148:149], v[146:147], 1.0
	v_mul_f64 v[146:147], v[161:162], v[148:149]
	v_xor_b32_e32 v149, 0x80000000, v149
.LBB70_154:
	s_andn2_saveexec_b32 s1, s1
	s_cbranch_execz .LBB70_156
; %bb.155:
	v_div_scale_f64 v[161:162], null, v[146:147], v[146:147], v[148:149]
	v_div_scale_f64 v[167:168], vcc_lo, v[148:149], v[146:147], v[148:149]
	v_rcp_f64_e32 v[163:164], v[161:162]
	v_fma_f64 v[165:166], -v[161:162], v[163:164], 1.0
	v_fma_f64 v[163:164], v[163:164], v[165:166], v[163:164]
	v_fma_f64 v[165:166], -v[161:162], v[163:164], 1.0
	v_fma_f64 v[163:164], v[163:164], v[165:166], v[163:164]
	v_mul_f64 v[165:166], v[167:168], v[163:164]
	v_fma_f64 v[161:162], -v[161:162], v[165:166], v[167:168]
	v_div_fmas_f64 v[161:162], v[161:162], v[163:164], v[165:166]
	v_div_fixup_f64 v[161:162], v[161:162], v[146:147], v[148:149]
	v_fma_f64 v[146:147], v[148:149], v[161:162], v[146:147]
	v_div_scale_f64 v[148:149], null, v[146:147], v[146:147], 1.0
	v_rcp_f64_e32 v[163:164], v[148:149]
	v_fma_f64 v[165:166], -v[148:149], v[163:164], 1.0
	v_fma_f64 v[163:164], v[163:164], v[165:166], v[163:164]
	v_fma_f64 v[165:166], -v[148:149], v[163:164], 1.0
	v_fma_f64 v[163:164], v[163:164], v[165:166], v[163:164]
	v_div_scale_f64 v[165:166], vcc_lo, 1.0, v[146:147], 1.0
	v_mul_f64 v[167:168], v[165:166], v[163:164]
	v_fma_f64 v[148:149], -v[148:149], v[167:168], v[165:166]
	v_div_fmas_f64 v[148:149], v[148:149], v[163:164], v[167:168]
	v_div_fixup_f64 v[146:147], v[148:149], v[146:147], 1.0
	v_mul_f64 v[148:149], v[161:162], -v[146:147]
.LBB70_156:
	s_or_b32 exec_lo, exec_lo, s1
.LBB70_157:
	s_or_b32 exec_lo, exec_lo, s0
	s_mov_b32 s0, exec_lo
	v_cmpx_ne_u32_e64 v160, v154
	s_xor_b32 s0, exec_lo, s0
	s_cbranch_execz .LBB70_163
; %bb.158:
	s_mov_b32 s1, exec_lo
	v_cmpx_eq_u32_e32 7, v160
	s_cbranch_execz .LBB70_162
; %bb.159:
	v_cmp_ne_u32_e32 vcc_lo, 7, v154
	s_xor_b32 s2, s16, -1
	s_and_b32 s3, s2, vcc_lo
	s_and_saveexec_b32 s2, s3
	s_cbranch_execz .LBB70_161
; %bb.160:
	v_ashrrev_i32_e32 v155, 31, v154
	v_lshlrev_b64 v[160:161], 2, v[154:155]
	v_add_co_u32 v160, vcc_lo, v152, v160
	v_add_co_ci_u32_e64 v161, null, v153, v161, vcc_lo
	s_clause 0x1
	global_load_dword v0, v[160:161], off
	global_load_dword v155, v[152:153], off offset:28
	s_waitcnt vmcnt(1)
	global_store_dword v[152:153], v0, off offset:28
	s_waitcnt vmcnt(0)
	global_store_dword v[160:161], v155, off
.LBB70_161:
	s_or_b32 exec_lo, exec_lo, s2
	v_mov_b32_e32 v160, v154
	v_mov_b32_e32 v0, v154
.LBB70_162:
	s_or_b32 exec_lo, exec_lo, s1
.LBB70_163:
	s_andn2_saveexec_b32 s0, s0
	s_cbranch_execz .LBB70_165
; %bb.164:
	v_mov_b32_e32 v160, 7
	ds_write2_b64 v1, v[110:111], v[112:113] offset0:16 offset1:17
	ds_write2_b64 v1, v[106:107], v[108:109] offset0:18 offset1:19
	;; [unrolled: 1-line block ×28, first 2 shown]
.LBB70_165:
	s_or_b32 exec_lo, exec_lo, s0
	s_mov_b32 s0, exec_lo
	s_waitcnt lgkmcnt(0)
	s_waitcnt_vscnt null, 0x0
	s_barrier
	buffer_gl0_inv
	v_cmpx_lt_i32_e32 7, v160
	s_cbranch_execz .LBB70_167
; %bb.166:
	v_mul_f64 v[154:155], v[148:149], v[116:117]
	v_mul_f64 v[116:117], v[146:147], v[116:117]
	v_fma_f64 v[154:155], v[146:147], v[114:115], -v[154:155]
	v_fma_f64 v[116:117], v[148:149], v[114:115], v[116:117]
	ds_read2_b64 v[146:149], v1 offset0:16 offset1:17
	s_waitcnt lgkmcnt(0)
	v_mul_f64 v[114:115], v[148:149], v[116:117]
	v_fma_f64 v[114:115], v[146:147], v[154:155], -v[114:115]
	v_mul_f64 v[146:147], v[146:147], v[116:117]
	v_add_f64 v[110:111], v[110:111], -v[114:115]
	v_fma_f64 v[146:147], v[148:149], v[154:155], v[146:147]
	v_add_f64 v[112:113], v[112:113], -v[146:147]
	ds_read2_b64 v[146:149], v1 offset0:18 offset1:19
	s_waitcnt lgkmcnt(0)
	v_mul_f64 v[114:115], v[148:149], v[116:117]
	v_fma_f64 v[114:115], v[146:147], v[154:155], -v[114:115]
	v_mul_f64 v[146:147], v[146:147], v[116:117]
	v_add_f64 v[106:107], v[106:107], -v[114:115]
	v_fma_f64 v[146:147], v[148:149], v[154:155], v[146:147]
	v_add_f64 v[108:109], v[108:109], -v[146:147]
	;; [unrolled: 8-line block ×27, first 2 shown]
	ds_read2_b64 v[146:149], v1 offset0:70 offset1:71
	s_waitcnt lgkmcnt(0)
	v_mul_f64 v[114:115], v[148:149], v[116:117]
	v_fma_f64 v[114:115], v[146:147], v[154:155], -v[114:115]
	v_mul_f64 v[146:147], v[146:147], v[116:117]
	v_add_f64 v[2:3], v[2:3], -v[114:115]
	v_fma_f64 v[146:147], v[148:149], v[154:155], v[146:147]
	v_mov_b32_e32 v114, v154
	v_mov_b32_e32 v115, v155
	v_add_f64 v[4:5], v[4:5], -v[146:147]
.LBB70_167:
	s_or_b32 exec_lo, exec_lo, s0
	v_lshl_add_u32 v146, v160, 4, v1
	s_barrier
	buffer_gl0_inv
	v_mov_b32_e32 v154, 8
	ds_write2_b64 v146, v[110:111], v[112:113] offset1:1
	s_waitcnt lgkmcnt(0)
	s_barrier
	buffer_gl0_inv
	ds_read2_b64 v[146:149], v1 offset0:16 offset1:17
	s_cmp_lt_i32 s18, 10
	s_cbranch_scc1 .LBB70_170
; %bb.168:
	v_add3_u32 v155, v156, 0, 0x90
	v_mov_b32_e32 v154, 8
	s_mov_b32 s1, 9
	s_inst_prefetch 0x1
	.p2align	6
.LBB70_169:                             ; =>This Inner Loop Header: Depth=1
	s_waitcnt lgkmcnt(0)
	v_cmp_gt_f64_e32 vcc_lo, 0, v[148:149]
	v_cmp_gt_f64_e64 s0, 0, v[146:147]
	ds_read2_b64 v[161:164], v155 offset1:1
	v_xor_b32_e32 v166, 0x80000000, v147
	v_xor_b32_e32 v168, 0x80000000, v149
	v_mov_b32_e32 v165, v146
	v_mov_b32_e32 v167, v148
	v_add_nc_u32_e32 v155, 16, v155
	s_waitcnt lgkmcnt(0)
	v_xor_b32_e32 v170, 0x80000000, v164
	v_cndmask_b32_e64 v166, v147, v166, s0
	v_cndmask_b32_e32 v168, v149, v168, vcc_lo
	v_cmp_gt_f64_e32 vcc_lo, 0, v[163:164]
	v_cmp_gt_f64_e64 s0, 0, v[161:162]
	v_mov_b32_e32 v169, v163
	v_add_f64 v[165:166], v[165:166], v[167:168]
	v_xor_b32_e32 v168, 0x80000000, v162
	v_mov_b32_e32 v167, v161
	v_cndmask_b32_e32 v170, v164, v170, vcc_lo
	v_cndmask_b32_e64 v168, v162, v168, s0
	v_add_f64 v[167:168], v[167:168], v[169:170]
	v_cmp_lt_f64_e32 vcc_lo, v[165:166], v[167:168]
	v_cndmask_b32_e32 v147, v147, v162, vcc_lo
	v_cndmask_b32_e32 v146, v146, v161, vcc_lo
	v_cndmask_b32_e32 v149, v149, v164, vcc_lo
	v_cndmask_b32_e32 v148, v148, v163, vcc_lo
	v_cndmask_b32_e64 v154, v154, s1, vcc_lo
	s_add_i32 s1, s1, 1
	s_cmp_lg_u32 s18, s1
	s_cbranch_scc1 .LBB70_169
.LBB70_170:
	s_inst_prefetch 0x2
	s_waitcnt lgkmcnt(0)
	v_cmp_eq_f64_e32 vcc_lo, 0, v[146:147]
	v_cmp_eq_f64_e64 s0, 0, v[148:149]
	s_and_b32 s0, vcc_lo, s0
	s_and_saveexec_b32 s1, s0
	s_xor_b32 s0, exec_lo, s1
; %bb.171:
	v_cmp_ne_u32_e32 vcc_lo, 0, v159
	v_cndmask_b32_e32 v159, 9, v159, vcc_lo
; %bb.172:
	s_andn2_saveexec_b32 s0, s0
	s_cbranch_execz .LBB70_178
; %bb.173:
	v_cmp_ngt_f64_e64 s1, |v[146:147]|, |v[148:149]|
	s_and_saveexec_b32 s2, s1
	s_xor_b32 s1, exec_lo, s2
	s_cbranch_execz .LBB70_175
; %bb.174:
	v_div_scale_f64 v[161:162], null, v[148:149], v[148:149], v[146:147]
	v_div_scale_f64 v[167:168], vcc_lo, v[146:147], v[148:149], v[146:147]
	v_rcp_f64_e32 v[163:164], v[161:162]
	v_fma_f64 v[165:166], -v[161:162], v[163:164], 1.0
	v_fma_f64 v[163:164], v[163:164], v[165:166], v[163:164]
	v_fma_f64 v[165:166], -v[161:162], v[163:164], 1.0
	v_fma_f64 v[163:164], v[163:164], v[165:166], v[163:164]
	v_mul_f64 v[165:166], v[167:168], v[163:164]
	v_fma_f64 v[161:162], -v[161:162], v[165:166], v[167:168]
	v_div_fmas_f64 v[161:162], v[161:162], v[163:164], v[165:166]
	v_div_fixup_f64 v[161:162], v[161:162], v[148:149], v[146:147]
	v_fma_f64 v[146:147], v[146:147], v[161:162], v[148:149]
	v_div_scale_f64 v[148:149], null, v[146:147], v[146:147], 1.0
	v_rcp_f64_e32 v[163:164], v[148:149]
	v_fma_f64 v[165:166], -v[148:149], v[163:164], 1.0
	v_fma_f64 v[163:164], v[163:164], v[165:166], v[163:164]
	v_fma_f64 v[165:166], -v[148:149], v[163:164], 1.0
	v_fma_f64 v[163:164], v[163:164], v[165:166], v[163:164]
	v_div_scale_f64 v[165:166], vcc_lo, 1.0, v[146:147], 1.0
	v_mul_f64 v[167:168], v[165:166], v[163:164]
	v_fma_f64 v[148:149], -v[148:149], v[167:168], v[165:166]
	v_div_fmas_f64 v[148:149], v[148:149], v[163:164], v[167:168]
	v_div_fixup_f64 v[148:149], v[148:149], v[146:147], 1.0
	v_mul_f64 v[146:147], v[161:162], v[148:149]
	v_xor_b32_e32 v149, 0x80000000, v149
.LBB70_175:
	s_andn2_saveexec_b32 s1, s1
	s_cbranch_execz .LBB70_177
; %bb.176:
	v_div_scale_f64 v[161:162], null, v[146:147], v[146:147], v[148:149]
	v_div_scale_f64 v[167:168], vcc_lo, v[148:149], v[146:147], v[148:149]
	v_rcp_f64_e32 v[163:164], v[161:162]
	v_fma_f64 v[165:166], -v[161:162], v[163:164], 1.0
	v_fma_f64 v[163:164], v[163:164], v[165:166], v[163:164]
	v_fma_f64 v[165:166], -v[161:162], v[163:164], 1.0
	v_fma_f64 v[163:164], v[163:164], v[165:166], v[163:164]
	v_mul_f64 v[165:166], v[167:168], v[163:164]
	v_fma_f64 v[161:162], -v[161:162], v[165:166], v[167:168]
	v_div_fmas_f64 v[161:162], v[161:162], v[163:164], v[165:166]
	v_div_fixup_f64 v[161:162], v[161:162], v[146:147], v[148:149]
	v_fma_f64 v[146:147], v[148:149], v[161:162], v[146:147]
	v_div_scale_f64 v[148:149], null, v[146:147], v[146:147], 1.0
	v_rcp_f64_e32 v[163:164], v[148:149]
	v_fma_f64 v[165:166], -v[148:149], v[163:164], 1.0
	v_fma_f64 v[163:164], v[163:164], v[165:166], v[163:164]
	v_fma_f64 v[165:166], -v[148:149], v[163:164], 1.0
	v_fma_f64 v[163:164], v[163:164], v[165:166], v[163:164]
	v_div_scale_f64 v[165:166], vcc_lo, 1.0, v[146:147], 1.0
	v_mul_f64 v[167:168], v[165:166], v[163:164]
	v_fma_f64 v[148:149], -v[148:149], v[167:168], v[165:166]
	v_div_fmas_f64 v[148:149], v[148:149], v[163:164], v[167:168]
	v_div_fixup_f64 v[146:147], v[148:149], v[146:147], 1.0
	v_mul_f64 v[148:149], v[161:162], -v[146:147]
.LBB70_177:
	s_or_b32 exec_lo, exec_lo, s1
.LBB70_178:
	s_or_b32 exec_lo, exec_lo, s0
	s_mov_b32 s0, exec_lo
	v_cmpx_ne_u32_e64 v160, v154
	s_xor_b32 s0, exec_lo, s0
	s_cbranch_execz .LBB70_184
; %bb.179:
	s_mov_b32 s1, exec_lo
	v_cmpx_eq_u32_e32 8, v160
	s_cbranch_execz .LBB70_183
; %bb.180:
	v_cmp_ne_u32_e32 vcc_lo, 8, v154
	s_xor_b32 s2, s16, -1
	s_and_b32 s3, s2, vcc_lo
	s_and_saveexec_b32 s2, s3
	s_cbranch_execz .LBB70_182
; %bb.181:
	v_ashrrev_i32_e32 v155, 31, v154
	v_lshlrev_b64 v[160:161], 2, v[154:155]
	v_add_co_u32 v160, vcc_lo, v152, v160
	v_add_co_ci_u32_e64 v161, null, v153, v161, vcc_lo
	s_clause 0x1
	global_load_dword v0, v[160:161], off
	global_load_dword v155, v[152:153], off offset:32
	s_waitcnt vmcnt(1)
	global_store_dword v[152:153], v0, off offset:32
	s_waitcnt vmcnt(0)
	global_store_dword v[160:161], v155, off
.LBB70_182:
	s_or_b32 exec_lo, exec_lo, s2
	v_mov_b32_e32 v160, v154
	v_mov_b32_e32 v0, v154
.LBB70_183:
	s_or_b32 exec_lo, exec_lo, s1
.LBB70_184:
	s_andn2_saveexec_b32 s0, s0
	s_cbranch_execz .LBB70_186
; %bb.185:
	v_mov_b32_e32 v160, 8
	ds_write2_b64 v1, v[106:107], v[108:109] offset0:18 offset1:19
	ds_write2_b64 v1, v[102:103], v[104:105] offset0:20 offset1:21
	;; [unrolled: 1-line block ×27, first 2 shown]
.LBB70_186:
	s_or_b32 exec_lo, exec_lo, s0
	s_mov_b32 s0, exec_lo
	s_waitcnt lgkmcnt(0)
	s_waitcnt_vscnt null, 0x0
	s_barrier
	buffer_gl0_inv
	v_cmpx_lt_i32_e32 8, v160
	s_cbranch_execz .LBB70_188
; %bb.187:
	v_mul_f64 v[154:155], v[148:149], v[112:113]
	v_mul_f64 v[112:113], v[146:147], v[112:113]
	v_fma_f64 v[154:155], v[146:147], v[110:111], -v[154:155]
	v_fma_f64 v[112:113], v[148:149], v[110:111], v[112:113]
	ds_read2_b64 v[146:149], v1 offset0:18 offset1:19
	s_waitcnt lgkmcnt(0)
	v_mul_f64 v[110:111], v[148:149], v[112:113]
	v_fma_f64 v[110:111], v[146:147], v[154:155], -v[110:111]
	v_mul_f64 v[146:147], v[146:147], v[112:113]
	v_add_f64 v[106:107], v[106:107], -v[110:111]
	v_fma_f64 v[146:147], v[148:149], v[154:155], v[146:147]
	v_add_f64 v[108:109], v[108:109], -v[146:147]
	ds_read2_b64 v[146:149], v1 offset0:20 offset1:21
	s_waitcnt lgkmcnt(0)
	v_mul_f64 v[110:111], v[148:149], v[112:113]
	v_fma_f64 v[110:111], v[146:147], v[154:155], -v[110:111]
	v_mul_f64 v[146:147], v[146:147], v[112:113]
	v_add_f64 v[102:103], v[102:103], -v[110:111]
	v_fma_f64 v[146:147], v[148:149], v[154:155], v[146:147]
	v_add_f64 v[104:105], v[104:105], -v[146:147]
	;; [unrolled: 8-line block ×26, first 2 shown]
	ds_read2_b64 v[146:149], v1 offset0:70 offset1:71
	s_waitcnt lgkmcnt(0)
	v_mul_f64 v[110:111], v[148:149], v[112:113]
	v_fma_f64 v[110:111], v[146:147], v[154:155], -v[110:111]
	v_mul_f64 v[146:147], v[146:147], v[112:113]
	v_add_f64 v[2:3], v[2:3], -v[110:111]
	v_fma_f64 v[146:147], v[148:149], v[154:155], v[146:147]
	v_mov_b32_e32 v110, v154
	v_mov_b32_e32 v111, v155
	v_add_f64 v[4:5], v[4:5], -v[146:147]
.LBB70_188:
	s_or_b32 exec_lo, exec_lo, s0
	v_lshl_add_u32 v146, v160, 4, v1
	s_barrier
	buffer_gl0_inv
	v_mov_b32_e32 v154, 9
	ds_write2_b64 v146, v[106:107], v[108:109] offset1:1
	s_waitcnt lgkmcnt(0)
	s_barrier
	buffer_gl0_inv
	ds_read2_b64 v[146:149], v1 offset0:18 offset1:19
	s_cmp_lt_i32 s18, 11
	s_cbranch_scc1 .LBB70_191
; %bb.189:
	v_add3_u32 v155, v156, 0, 0xa0
	v_mov_b32_e32 v154, 9
	s_mov_b32 s1, 10
	s_inst_prefetch 0x1
	.p2align	6
.LBB70_190:                             ; =>This Inner Loop Header: Depth=1
	s_waitcnt lgkmcnt(0)
	v_cmp_gt_f64_e32 vcc_lo, 0, v[148:149]
	v_cmp_gt_f64_e64 s0, 0, v[146:147]
	ds_read2_b64 v[161:164], v155 offset1:1
	v_xor_b32_e32 v166, 0x80000000, v147
	v_xor_b32_e32 v168, 0x80000000, v149
	v_mov_b32_e32 v165, v146
	v_mov_b32_e32 v167, v148
	v_add_nc_u32_e32 v155, 16, v155
	s_waitcnt lgkmcnt(0)
	v_xor_b32_e32 v170, 0x80000000, v164
	v_cndmask_b32_e64 v166, v147, v166, s0
	v_cndmask_b32_e32 v168, v149, v168, vcc_lo
	v_cmp_gt_f64_e32 vcc_lo, 0, v[163:164]
	v_cmp_gt_f64_e64 s0, 0, v[161:162]
	v_mov_b32_e32 v169, v163
	v_add_f64 v[165:166], v[165:166], v[167:168]
	v_xor_b32_e32 v168, 0x80000000, v162
	v_mov_b32_e32 v167, v161
	v_cndmask_b32_e32 v170, v164, v170, vcc_lo
	v_cndmask_b32_e64 v168, v162, v168, s0
	v_add_f64 v[167:168], v[167:168], v[169:170]
	v_cmp_lt_f64_e32 vcc_lo, v[165:166], v[167:168]
	v_cndmask_b32_e32 v147, v147, v162, vcc_lo
	v_cndmask_b32_e32 v146, v146, v161, vcc_lo
	;; [unrolled: 1-line block ×4, first 2 shown]
	v_cndmask_b32_e64 v154, v154, s1, vcc_lo
	s_add_i32 s1, s1, 1
	s_cmp_lg_u32 s18, s1
	s_cbranch_scc1 .LBB70_190
.LBB70_191:
	s_inst_prefetch 0x2
	s_waitcnt lgkmcnt(0)
	v_cmp_eq_f64_e32 vcc_lo, 0, v[146:147]
	v_cmp_eq_f64_e64 s0, 0, v[148:149]
	s_and_b32 s0, vcc_lo, s0
	s_and_saveexec_b32 s1, s0
	s_xor_b32 s0, exec_lo, s1
; %bb.192:
	v_cmp_ne_u32_e32 vcc_lo, 0, v159
	v_cndmask_b32_e32 v159, 10, v159, vcc_lo
; %bb.193:
	s_andn2_saveexec_b32 s0, s0
	s_cbranch_execz .LBB70_199
; %bb.194:
	v_cmp_ngt_f64_e64 s1, |v[146:147]|, |v[148:149]|
	s_and_saveexec_b32 s2, s1
	s_xor_b32 s1, exec_lo, s2
	s_cbranch_execz .LBB70_196
; %bb.195:
	v_div_scale_f64 v[161:162], null, v[148:149], v[148:149], v[146:147]
	v_div_scale_f64 v[167:168], vcc_lo, v[146:147], v[148:149], v[146:147]
	v_rcp_f64_e32 v[163:164], v[161:162]
	v_fma_f64 v[165:166], -v[161:162], v[163:164], 1.0
	v_fma_f64 v[163:164], v[163:164], v[165:166], v[163:164]
	v_fma_f64 v[165:166], -v[161:162], v[163:164], 1.0
	v_fma_f64 v[163:164], v[163:164], v[165:166], v[163:164]
	v_mul_f64 v[165:166], v[167:168], v[163:164]
	v_fma_f64 v[161:162], -v[161:162], v[165:166], v[167:168]
	v_div_fmas_f64 v[161:162], v[161:162], v[163:164], v[165:166]
	v_div_fixup_f64 v[161:162], v[161:162], v[148:149], v[146:147]
	v_fma_f64 v[146:147], v[146:147], v[161:162], v[148:149]
	v_div_scale_f64 v[148:149], null, v[146:147], v[146:147], 1.0
	v_rcp_f64_e32 v[163:164], v[148:149]
	v_fma_f64 v[165:166], -v[148:149], v[163:164], 1.0
	v_fma_f64 v[163:164], v[163:164], v[165:166], v[163:164]
	v_fma_f64 v[165:166], -v[148:149], v[163:164], 1.0
	v_fma_f64 v[163:164], v[163:164], v[165:166], v[163:164]
	v_div_scale_f64 v[165:166], vcc_lo, 1.0, v[146:147], 1.0
	v_mul_f64 v[167:168], v[165:166], v[163:164]
	v_fma_f64 v[148:149], -v[148:149], v[167:168], v[165:166]
	v_div_fmas_f64 v[148:149], v[148:149], v[163:164], v[167:168]
	v_div_fixup_f64 v[148:149], v[148:149], v[146:147], 1.0
	v_mul_f64 v[146:147], v[161:162], v[148:149]
	v_xor_b32_e32 v149, 0x80000000, v149
.LBB70_196:
	s_andn2_saveexec_b32 s1, s1
	s_cbranch_execz .LBB70_198
; %bb.197:
	v_div_scale_f64 v[161:162], null, v[146:147], v[146:147], v[148:149]
	v_div_scale_f64 v[167:168], vcc_lo, v[148:149], v[146:147], v[148:149]
	v_rcp_f64_e32 v[163:164], v[161:162]
	v_fma_f64 v[165:166], -v[161:162], v[163:164], 1.0
	v_fma_f64 v[163:164], v[163:164], v[165:166], v[163:164]
	v_fma_f64 v[165:166], -v[161:162], v[163:164], 1.0
	v_fma_f64 v[163:164], v[163:164], v[165:166], v[163:164]
	v_mul_f64 v[165:166], v[167:168], v[163:164]
	v_fma_f64 v[161:162], -v[161:162], v[165:166], v[167:168]
	v_div_fmas_f64 v[161:162], v[161:162], v[163:164], v[165:166]
	v_div_fixup_f64 v[161:162], v[161:162], v[146:147], v[148:149]
	v_fma_f64 v[146:147], v[148:149], v[161:162], v[146:147]
	v_div_scale_f64 v[148:149], null, v[146:147], v[146:147], 1.0
	v_rcp_f64_e32 v[163:164], v[148:149]
	v_fma_f64 v[165:166], -v[148:149], v[163:164], 1.0
	v_fma_f64 v[163:164], v[163:164], v[165:166], v[163:164]
	v_fma_f64 v[165:166], -v[148:149], v[163:164], 1.0
	v_fma_f64 v[163:164], v[163:164], v[165:166], v[163:164]
	v_div_scale_f64 v[165:166], vcc_lo, 1.0, v[146:147], 1.0
	v_mul_f64 v[167:168], v[165:166], v[163:164]
	v_fma_f64 v[148:149], -v[148:149], v[167:168], v[165:166]
	v_div_fmas_f64 v[148:149], v[148:149], v[163:164], v[167:168]
	v_div_fixup_f64 v[146:147], v[148:149], v[146:147], 1.0
	v_mul_f64 v[148:149], v[161:162], -v[146:147]
.LBB70_198:
	s_or_b32 exec_lo, exec_lo, s1
.LBB70_199:
	s_or_b32 exec_lo, exec_lo, s0
	s_mov_b32 s0, exec_lo
	v_cmpx_ne_u32_e64 v160, v154
	s_xor_b32 s0, exec_lo, s0
	s_cbranch_execz .LBB70_205
; %bb.200:
	s_mov_b32 s1, exec_lo
	v_cmpx_eq_u32_e32 9, v160
	s_cbranch_execz .LBB70_204
; %bb.201:
	v_cmp_ne_u32_e32 vcc_lo, 9, v154
	s_xor_b32 s2, s16, -1
	s_and_b32 s3, s2, vcc_lo
	s_and_saveexec_b32 s2, s3
	s_cbranch_execz .LBB70_203
; %bb.202:
	v_ashrrev_i32_e32 v155, 31, v154
	v_lshlrev_b64 v[160:161], 2, v[154:155]
	v_add_co_u32 v160, vcc_lo, v152, v160
	v_add_co_ci_u32_e64 v161, null, v153, v161, vcc_lo
	s_clause 0x1
	global_load_dword v0, v[160:161], off
	global_load_dword v155, v[152:153], off offset:36
	s_waitcnt vmcnt(1)
	global_store_dword v[152:153], v0, off offset:36
	s_waitcnt vmcnt(0)
	global_store_dword v[160:161], v155, off
.LBB70_203:
	s_or_b32 exec_lo, exec_lo, s2
	v_mov_b32_e32 v160, v154
	v_mov_b32_e32 v0, v154
.LBB70_204:
	s_or_b32 exec_lo, exec_lo, s1
.LBB70_205:
	s_andn2_saveexec_b32 s0, s0
	s_cbranch_execz .LBB70_207
; %bb.206:
	v_mov_b32_e32 v160, 9
	ds_write2_b64 v1, v[102:103], v[104:105] offset0:20 offset1:21
	ds_write2_b64 v1, v[98:99], v[100:101] offset0:22 offset1:23
	;; [unrolled: 1-line block ×26, first 2 shown]
.LBB70_207:
	s_or_b32 exec_lo, exec_lo, s0
	s_mov_b32 s0, exec_lo
	s_waitcnt lgkmcnt(0)
	s_waitcnt_vscnt null, 0x0
	s_barrier
	buffer_gl0_inv
	v_cmpx_lt_i32_e32 9, v160
	s_cbranch_execz .LBB70_209
; %bb.208:
	v_mul_f64 v[154:155], v[148:149], v[108:109]
	v_mul_f64 v[108:109], v[146:147], v[108:109]
	v_fma_f64 v[154:155], v[146:147], v[106:107], -v[154:155]
	v_fma_f64 v[108:109], v[148:149], v[106:107], v[108:109]
	ds_read2_b64 v[146:149], v1 offset0:20 offset1:21
	s_waitcnt lgkmcnt(0)
	v_mul_f64 v[106:107], v[148:149], v[108:109]
	v_fma_f64 v[106:107], v[146:147], v[154:155], -v[106:107]
	v_mul_f64 v[146:147], v[146:147], v[108:109]
	v_add_f64 v[102:103], v[102:103], -v[106:107]
	v_fma_f64 v[146:147], v[148:149], v[154:155], v[146:147]
	v_add_f64 v[104:105], v[104:105], -v[146:147]
	ds_read2_b64 v[146:149], v1 offset0:22 offset1:23
	s_waitcnt lgkmcnt(0)
	v_mul_f64 v[106:107], v[148:149], v[108:109]
	v_fma_f64 v[106:107], v[146:147], v[154:155], -v[106:107]
	v_mul_f64 v[146:147], v[146:147], v[108:109]
	v_add_f64 v[98:99], v[98:99], -v[106:107]
	v_fma_f64 v[146:147], v[148:149], v[154:155], v[146:147]
	v_add_f64 v[100:101], v[100:101], -v[146:147]
	;; [unrolled: 8-line block ×25, first 2 shown]
	ds_read2_b64 v[146:149], v1 offset0:70 offset1:71
	s_waitcnt lgkmcnt(0)
	v_mul_f64 v[106:107], v[148:149], v[108:109]
	v_fma_f64 v[106:107], v[146:147], v[154:155], -v[106:107]
	v_mul_f64 v[146:147], v[146:147], v[108:109]
	v_add_f64 v[2:3], v[2:3], -v[106:107]
	v_fma_f64 v[146:147], v[148:149], v[154:155], v[146:147]
	v_mov_b32_e32 v106, v154
	v_mov_b32_e32 v107, v155
	v_add_f64 v[4:5], v[4:5], -v[146:147]
.LBB70_209:
	s_or_b32 exec_lo, exec_lo, s0
	v_lshl_add_u32 v146, v160, 4, v1
	s_barrier
	buffer_gl0_inv
	v_mov_b32_e32 v154, 10
	ds_write2_b64 v146, v[102:103], v[104:105] offset1:1
	s_waitcnt lgkmcnt(0)
	s_barrier
	buffer_gl0_inv
	ds_read2_b64 v[146:149], v1 offset0:20 offset1:21
	s_cmp_lt_i32 s18, 12
	s_cbranch_scc1 .LBB70_212
; %bb.210:
	v_add3_u32 v155, v156, 0, 0xb0
	v_mov_b32_e32 v154, 10
	s_mov_b32 s1, 11
	s_inst_prefetch 0x1
	.p2align	6
.LBB70_211:                             ; =>This Inner Loop Header: Depth=1
	s_waitcnt lgkmcnt(0)
	v_cmp_gt_f64_e32 vcc_lo, 0, v[148:149]
	v_cmp_gt_f64_e64 s0, 0, v[146:147]
	ds_read2_b64 v[161:164], v155 offset1:1
	v_xor_b32_e32 v166, 0x80000000, v147
	v_xor_b32_e32 v168, 0x80000000, v149
	v_mov_b32_e32 v165, v146
	v_mov_b32_e32 v167, v148
	v_add_nc_u32_e32 v155, 16, v155
	s_waitcnt lgkmcnt(0)
	v_xor_b32_e32 v170, 0x80000000, v164
	v_cndmask_b32_e64 v166, v147, v166, s0
	v_cndmask_b32_e32 v168, v149, v168, vcc_lo
	v_cmp_gt_f64_e32 vcc_lo, 0, v[163:164]
	v_cmp_gt_f64_e64 s0, 0, v[161:162]
	v_mov_b32_e32 v169, v163
	v_add_f64 v[165:166], v[165:166], v[167:168]
	v_xor_b32_e32 v168, 0x80000000, v162
	v_mov_b32_e32 v167, v161
	v_cndmask_b32_e32 v170, v164, v170, vcc_lo
	v_cndmask_b32_e64 v168, v162, v168, s0
	v_add_f64 v[167:168], v[167:168], v[169:170]
	v_cmp_lt_f64_e32 vcc_lo, v[165:166], v[167:168]
	v_cndmask_b32_e32 v147, v147, v162, vcc_lo
	v_cndmask_b32_e32 v146, v146, v161, vcc_lo
	;; [unrolled: 1-line block ×4, first 2 shown]
	v_cndmask_b32_e64 v154, v154, s1, vcc_lo
	s_add_i32 s1, s1, 1
	s_cmp_lg_u32 s18, s1
	s_cbranch_scc1 .LBB70_211
.LBB70_212:
	s_inst_prefetch 0x2
	s_waitcnt lgkmcnt(0)
	v_cmp_eq_f64_e32 vcc_lo, 0, v[146:147]
	v_cmp_eq_f64_e64 s0, 0, v[148:149]
	s_and_b32 s0, vcc_lo, s0
	s_and_saveexec_b32 s1, s0
	s_xor_b32 s0, exec_lo, s1
; %bb.213:
	v_cmp_ne_u32_e32 vcc_lo, 0, v159
	v_cndmask_b32_e32 v159, 11, v159, vcc_lo
; %bb.214:
	s_andn2_saveexec_b32 s0, s0
	s_cbranch_execz .LBB70_220
; %bb.215:
	v_cmp_ngt_f64_e64 s1, |v[146:147]|, |v[148:149]|
	s_and_saveexec_b32 s2, s1
	s_xor_b32 s1, exec_lo, s2
	s_cbranch_execz .LBB70_217
; %bb.216:
	v_div_scale_f64 v[161:162], null, v[148:149], v[148:149], v[146:147]
	v_div_scale_f64 v[167:168], vcc_lo, v[146:147], v[148:149], v[146:147]
	v_rcp_f64_e32 v[163:164], v[161:162]
	v_fma_f64 v[165:166], -v[161:162], v[163:164], 1.0
	v_fma_f64 v[163:164], v[163:164], v[165:166], v[163:164]
	v_fma_f64 v[165:166], -v[161:162], v[163:164], 1.0
	v_fma_f64 v[163:164], v[163:164], v[165:166], v[163:164]
	v_mul_f64 v[165:166], v[167:168], v[163:164]
	v_fma_f64 v[161:162], -v[161:162], v[165:166], v[167:168]
	v_div_fmas_f64 v[161:162], v[161:162], v[163:164], v[165:166]
	v_div_fixup_f64 v[161:162], v[161:162], v[148:149], v[146:147]
	v_fma_f64 v[146:147], v[146:147], v[161:162], v[148:149]
	v_div_scale_f64 v[148:149], null, v[146:147], v[146:147], 1.0
	v_rcp_f64_e32 v[163:164], v[148:149]
	v_fma_f64 v[165:166], -v[148:149], v[163:164], 1.0
	v_fma_f64 v[163:164], v[163:164], v[165:166], v[163:164]
	v_fma_f64 v[165:166], -v[148:149], v[163:164], 1.0
	v_fma_f64 v[163:164], v[163:164], v[165:166], v[163:164]
	v_div_scale_f64 v[165:166], vcc_lo, 1.0, v[146:147], 1.0
	v_mul_f64 v[167:168], v[165:166], v[163:164]
	v_fma_f64 v[148:149], -v[148:149], v[167:168], v[165:166]
	v_div_fmas_f64 v[148:149], v[148:149], v[163:164], v[167:168]
	v_div_fixup_f64 v[148:149], v[148:149], v[146:147], 1.0
	v_mul_f64 v[146:147], v[161:162], v[148:149]
	v_xor_b32_e32 v149, 0x80000000, v149
.LBB70_217:
	s_andn2_saveexec_b32 s1, s1
	s_cbranch_execz .LBB70_219
; %bb.218:
	v_div_scale_f64 v[161:162], null, v[146:147], v[146:147], v[148:149]
	v_div_scale_f64 v[167:168], vcc_lo, v[148:149], v[146:147], v[148:149]
	v_rcp_f64_e32 v[163:164], v[161:162]
	v_fma_f64 v[165:166], -v[161:162], v[163:164], 1.0
	v_fma_f64 v[163:164], v[163:164], v[165:166], v[163:164]
	v_fma_f64 v[165:166], -v[161:162], v[163:164], 1.0
	v_fma_f64 v[163:164], v[163:164], v[165:166], v[163:164]
	v_mul_f64 v[165:166], v[167:168], v[163:164]
	v_fma_f64 v[161:162], -v[161:162], v[165:166], v[167:168]
	v_div_fmas_f64 v[161:162], v[161:162], v[163:164], v[165:166]
	v_div_fixup_f64 v[161:162], v[161:162], v[146:147], v[148:149]
	v_fma_f64 v[146:147], v[148:149], v[161:162], v[146:147]
	v_div_scale_f64 v[148:149], null, v[146:147], v[146:147], 1.0
	v_rcp_f64_e32 v[163:164], v[148:149]
	v_fma_f64 v[165:166], -v[148:149], v[163:164], 1.0
	v_fma_f64 v[163:164], v[163:164], v[165:166], v[163:164]
	v_fma_f64 v[165:166], -v[148:149], v[163:164], 1.0
	v_fma_f64 v[163:164], v[163:164], v[165:166], v[163:164]
	v_div_scale_f64 v[165:166], vcc_lo, 1.0, v[146:147], 1.0
	v_mul_f64 v[167:168], v[165:166], v[163:164]
	v_fma_f64 v[148:149], -v[148:149], v[167:168], v[165:166]
	v_div_fmas_f64 v[148:149], v[148:149], v[163:164], v[167:168]
	v_div_fixup_f64 v[146:147], v[148:149], v[146:147], 1.0
	v_mul_f64 v[148:149], v[161:162], -v[146:147]
.LBB70_219:
	s_or_b32 exec_lo, exec_lo, s1
.LBB70_220:
	s_or_b32 exec_lo, exec_lo, s0
	s_mov_b32 s0, exec_lo
	v_cmpx_ne_u32_e64 v160, v154
	s_xor_b32 s0, exec_lo, s0
	s_cbranch_execz .LBB70_226
; %bb.221:
	s_mov_b32 s1, exec_lo
	v_cmpx_eq_u32_e32 10, v160
	s_cbranch_execz .LBB70_225
; %bb.222:
	v_cmp_ne_u32_e32 vcc_lo, 10, v154
	s_xor_b32 s2, s16, -1
	s_and_b32 s3, s2, vcc_lo
	s_and_saveexec_b32 s2, s3
	s_cbranch_execz .LBB70_224
; %bb.223:
	v_ashrrev_i32_e32 v155, 31, v154
	v_lshlrev_b64 v[160:161], 2, v[154:155]
	v_add_co_u32 v160, vcc_lo, v152, v160
	v_add_co_ci_u32_e64 v161, null, v153, v161, vcc_lo
	s_clause 0x1
	global_load_dword v0, v[160:161], off
	global_load_dword v155, v[152:153], off offset:40
	s_waitcnt vmcnt(1)
	global_store_dword v[152:153], v0, off offset:40
	s_waitcnt vmcnt(0)
	global_store_dword v[160:161], v155, off
.LBB70_224:
	s_or_b32 exec_lo, exec_lo, s2
	v_mov_b32_e32 v160, v154
	v_mov_b32_e32 v0, v154
.LBB70_225:
	s_or_b32 exec_lo, exec_lo, s1
.LBB70_226:
	s_andn2_saveexec_b32 s0, s0
	s_cbranch_execz .LBB70_228
; %bb.227:
	v_mov_b32_e32 v160, 10
	ds_write2_b64 v1, v[98:99], v[100:101] offset0:22 offset1:23
	ds_write2_b64 v1, v[94:95], v[96:97] offset0:24 offset1:25
	;; [unrolled: 1-line block ×25, first 2 shown]
.LBB70_228:
	s_or_b32 exec_lo, exec_lo, s0
	s_mov_b32 s0, exec_lo
	s_waitcnt lgkmcnt(0)
	s_waitcnt_vscnt null, 0x0
	s_barrier
	buffer_gl0_inv
	v_cmpx_lt_i32_e32 10, v160
	s_cbranch_execz .LBB70_230
; %bb.229:
	v_mul_f64 v[154:155], v[148:149], v[104:105]
	v_mul_f64 v[104:105], v[146:147], v[104:105]
	v_fma_f64 v[154:155], v[146:147], v[102:103], -v[154:155]
	v_fma_f64 v[104:105], v[148:149], v[102:103], v[104:105]
	ds_read2_b64 v[146:149], v1 offset0:22 offset1:23
	s_waitcnt lgkmcnt(0)
	v_mul_f64 v[102:103], v[148:149], v[104:105]
	v_fma_f64 v[102:103], v[146:147], v[154:155], -v[102:103]
	v_mul_f64 v[146:147], v[146:147], v[104:105]
	v_add_f64 v[98:99], v[98:99], -v[102:103]
	v_fma_f64 v[146:147], v[148:149], v[154:155], v[146:147]
	v_add_f64 v[100:101], v[100:101], -v[146:147]
	ds_read2_b64 v[146:149], v1 offset0:24 offset1:25
	s_waitcnt lgkmcnt(0)
	v_mul_f64 v[102:103], v[148:149], v[104:105]
	v_fma_f64 v[102:103], v[146:147], v[154:155], -v[102:103]
	v_mul_f64 v[146:147], v[146:147], v[104:105]
	v_add_f64 v[94:95], v[94:95], -v[102:103]
	v_fma_f64 v[146:147], v[148:149], v[154:155], v[146:147]
	v_add_f64 v[96:97], v[96:97], -v[146:147]
	;; [unrolled: 8-line block ×24, first 2 shown]
	ds_read2_b64 v[146:149], v1 offset0:70 offset1:71
	s_waitcnt lgkmcnt(0)
	v_mul_f64 v[102:103], v[148:149], v[104:105]
	v_fma_f64 v[102:103], v[146:147], v[154:155], -v[102:103]
	v_mul_f64 v[146:147], v[146:147], v[104:105]
	v_add_f64 v[2:3], v[2:3], -v[102:103]
	v_fma_f64 v[146:147], v[148:149], v[154:155], v[146:147]
	v_mov_b32_e32 v102, v154
	v_mov_b32_e32 v103, v155
	v_add_f64 v[4:5], v[4:5], -v[146:147]
.LBB70_230:
	s_or_b32 exec_lo, exec_lo, s0
	v_lshl_add_u32 v146, v160, 4, v1
	s_barrier
	buffer_gl0_inv
	v_mov_b32_e32 v154, 11
	ds_write2_b64 v146, v[98:99], v[100:101] offset1:1
	s_waitcnt lgkmcnt(0)
	s_barrier
	buffer_gl0_inv
	ds_read2_b64 v[146:149], v1 offset0:22 offset1:23
	s_cmp_lt_i32 s18, 13
	s_cbranch_scc1 .LBB70_233
; %bb.231:
	v_add3_u32 v155, v156, 0, 0xc0
	v_mov_b32_e32 v154, 11
	s_mov_b32 s1, 12
	s_inst_prefetch 0x1
	.p2align	6
.LBB70_232:                             ; =>This Inner Loop Header: Depth=1
	s_waitcnt lgkmcnt(0)
	v_cmp_gt_f64_e32 vcc_lo, 0, v[148:149]
	v_cmp_gt_f64_e64 s0, 0, v[146:147]
	ds_read2_b64 v[161:164], v155 offset1:1
	v_xor_b32_e32 v166, 0x80000000, v147
	v_xor_b32_e32 v168, 0x80000000, v149
	v_mov_b32_e32 v165, v146
	v_mov_b32_e32 v167, v148
	v_add_nc_u32_e32 v155, 16, v155
	s_waitcnt lgkmcnt(0)
	v_xor_b32_e32 v170, 0x80000000, v164
	v_cndmask_b32_e64 v166, v147, v166, s0
	v_cndmask_b32_e32 v168, v149, v168, vcc_lo
	v_cmp_gt_f64_e32 vcc_lo, 0, v[163:164]
	v_cmp_gt_f64_e64 s0, 0, v[161:162]
	v_mov_b32_e32 v169, v163
	v_add_f64 v[165:166], v[165:166], v[167:168]
	v_xor_b32_e32 v168, 0x80000000, v162
	v_mov_b32_e32 v167, v161
	v_cndmask_b32_e32 v170, v164, v170, vcc_lo
	v_cndmask_b32_e64 v168, v162, v168, s0
	v_add_f64 v[167:168], v[167:168], v[169:170]
	v_cmp_lt_f64_e32 vcc_lo, v[165:166], v[167:168]
	v_cndmask_b32_e32 v147, v147, v162, vcc_lo
	v_cndmask_b32_e32 v146, v146, v161, vcc_lo
	;; [unrolled: 1-line block ×4, first 2 shown]
	v_cndmask_b32_e64 v154, v154, s1, vcc_lo
	s_add_i32 s1, s1, 1
	s_cmp_lg_u32 s18, s1
	s_cbranch_scc1 .LBB70_232
.LBB70_233:
	s_inst_prefetch 0x2
	s_waitcnt lgkmcnt(0)
	v_cmp_eq_f64_e32 vcc_lo, 0, v[146:147]
	v_cmp_eq_f64_e64 s0, 0, v[148:149]
	s_and_b32 s0, vcc_lo, s0
	s_and_saveexec_b32 s1, s0
	s_xor_b32 s0, exec_lo, s1
; %bb.234:
	v_cmp_ne_u32_e32 vcc_lo, 0, v159
	v_cndmask_b32_e32 v159, 12, v159, vcc_lo
; %bb.235:
	s_andn2_saveexec_b32 s0, s0
	s_cbranch_execz .LBB70_241
; %bb.236:
	v_cmp_ngt_f64_e64 s1, |v[146:147]|, |v[148:149]|
	s_and_saveexec_b32 s2, s1
	s_xor_b32 s1, exec_lo, s2
	s_cbranch_execz .LBB70_238
; %bb.237:
	v_div_scale_f64 v[161:162], null, v[148:149], v[148:149], v[146:147]
	v_div_scale_f64 v[167:168], vcc_lo, v[146:147], v[148:149], v[146:147]
	v_rcp_f64_e32 v[163:164], v[161:162]
	v_fma_f64 v[165:166], -v[161:162], v[163:164], 1.0
	v_fma_f64 v[163:164], v[163:164], v[165:166], v[163:164]
	v_fma_f64 v[165:166], -v[161:162], v[163:164], 1.0
	v_fma_f64 v[163:164], v[163:164], v[165:166], v[163:164]
	v_mul_f64 v[165:166], v[167:168], v[163:164]
	v_fma_f64 v[161:162], -v[161:162], v[165:166], v[167:168]
	v_div_fmas_f64 v[161:162], v[161:162], v[163:164], v[165:166]
	v_div_fixup_f64 v[161:162], v[161:162], v[148:149], v[146:147]
	v_fma_f64 v[146:147], v[146:147], v[161:162], v[148:149]
	v_div_scale_f64 v[148:149], null, v[146:147], v[146:147], 1.0
	v_rcp_f64_e32 v[163:164], v[148:149]
	v_fma_f64 v[165:166], -v[148:149], v[163:164], 1.0
	v_fma_f64 v[163:164], v[163:164], v[165:166], v[163:164]
	v_fma_f64 v[165:166], -v[148:149], v[163:164], 1.0
	v_fma_f64 v[163:164], v[163:164], v[165:166], v[163:164]
	v_div_scale_f64 v[165:166], vcc_lo, 1.0, v[146:147], 1.0
	v_mul_f64 v[167:168], v[165:166], v[163:164]
	v_fma_f64 v[148:149], -v[148:149], v[167:168], v[165:166]
	v_div_fmas_f64 v[148:149], v[148:149], v[163:164], v[167:168]
	v_div_fixup_f64 v[148:149], v[148:149], v[146:147], 1.0
	v_mul_f64 v[146:147], v[161:162], v[148:149]
	v_xor_b32_e32 v149, 0x80000000, v149
.LBB70_238:
	s_andn2_saveexec_b32 s1, s1
	s_cbranch_execz .LBB70_240
; %bb.239:
	v_div_scale_f64 v[161:162], null, v[146:147], v[146:147], v[148:149]
	v_div_scale_f64 v[167:168], vcc_lo, v[148:149], v[146:147], v[148:149]
	v_rcp_f64_e32 v[163:164], v[161:162]
	v_fma_f64 v[165:166], -v[161:162], v[163:164], 1.0
	v_fma_f64 v[163:164], v[163:164], v[165:166], v[163:164]
	v_fma_f64 v[165:166], -v[161:162], v[163:164], 1.0
	v_fma_f64 v[163:164], v[163:164], v[165:166], v[163:164]
	v_mul_f64 v[165:166], v[167:168], v[163:164]
	v_fma_f64 v[161:162], -v[161:162], v[165:166], v[167:168]
	v_div_fmas_f64 v[161:162], v[161:162], v[163:164], v[165:166]
	v_div_fixup_f64 v[161:162], v[161:162], v[146:147], v[148:149]
	v_fma_f64 v[146:147], v[148:149], v[161:162], v[146:147]
	v_div_scale_f64 v[148:149], null, v[146:147], v[146:147], 1.0
	v_rcp_f64_e32 v[163:164], v[148:149]
	v_fma_f64 v[165:166], -v[148:149], v[163:164], 1.0
	v_fma_f64 v[163:164], v[163:164], v[165:166], v[163:164]
	v_fma_f64 v[165:166], -v[148:149], v[163:164], 1.0
	v_fma_f64 v[163:164], v[163:164], v[165:166], v[163:164]
	v_div_scale_f64 v[165:166], vcc_lo, 1.0, v[146:147], 1.0
	v_mul_f64 v[167:168], v[165:166], v[163:164]
	v_fma_f64 v[148:149], -v[148:149], v[167:168], v[165:166]
	v_div_fmas_f64 v[148:149], v[148:149], v[163:164], v[167:168]
	v_div_fixup_f64 v[146:147], v[148:149], v[146:147], 1.0
	v_mul_f64 v[148:149], v[161:162], -v[146:147]
.LBB70_240:
	s_or_b32 exec_lo, exec_lo, s1
.LBB70_241:
	s_or_b32 exec_lo, exec_lo, s0
	s_mov_b32 s0, exec_lo
	v_cmpx_ne_u32_e64 v160, v154
	s_xor_b32 s0, exec_lo, s0
	s_cbranch_execz .LBB70_247
; %bb.242:
	s_mov_b32 s1, exec_lo
	v_cmpx_eq_u32_e32 11, v160
	s_cbranch_execz .LBB70_246
; %bb.243:
	v_cmp_ne_u32_e32 vcc_lo, 11, v154
	s_xor_b32 s2, s16, -1
	s_and_b32 s3, s2, vcc_lo
	s_and_saveexec_b32 s2, s3
	s_cbranch_execz .LBB70_245
; %bb.244:
	v_ashrrev_i32_e32 v155, 31, v154
	v_lshlrev_b64 v[160:161], 2, v[154:155]
	v_add_co_u32 v160, vcc_lo, v152, v160
	v_add_co_ci_u32_e64 v161, null, v153, v161, vcc_lo
	s_clause 0x1
	global_load_dword v0, v[160:161], off
	global_load_dword v155, v[152:153], off offset:44
	s_waitcnt vmcnt(1)
	global_store_dword v[152:153], v0, off offset:44
	s_waitcnt vmcnt(0)
	global_store_dword v[160:161], v155, off
.LBB70_245:
	s_or_b32 exec_lo, exec_lo, s2
	v_mov_b32_e32 v160, v154
	v_mov_b32_e32 v0, v154
.LBB70_246:
	s_or_b32 exec_lo, exec_lo, s1
.LBB70_247:
	s_andn2_saveexec_b32 s0, s0
	s_cbranch_execz .LBB70_249
; %bb.248:
	v_mov_b32_e32 v160, 11
	ds_write2_b64 v1, v[94:95], v[96:97] offset0:24 offset1:25
	ds_write2_b64 v1, v[90:91], v[92:93] offset0:26 offset1:27
	;; [unrolled: 1-line block ×24, first 2 shown]
.LBB70_249:
	s_or_b32 exec_lo, exec_lo, s0
	s_mov_b32 s0, exec_lo
	s_waitcnt lgkmcnt(0)
	s_waitcnt_vscnt null, 0x0
	s_barrier
	buffer_gl0_inv
	v_cmpx_lt_i32_e32 11, v160
	s_cbranch_execz .LBB70_251
; %bb.250:
	v_mul_f64 v[154:155], v[148:149], v[100:101]
	v_mul_f64 v[100:101], v[146:147], v[100:101]
	v_fma_f64 v[154:155], v[146:147], v[98:99], -v[154:155]
	v_fma_f64 v[100:101], v[148:149], v[98:99], v[100:101]
	ds_read2_b64 v[146:149], v1 offset0:24 offset1:25
	s_waitcnt lgkmcnt(0)
	v_mul_f64 v[98:99], v[148:149], v[100:101]
	v_fma_f64 v[98:99], v[146:147], v[154:155], -v[98:99]
	v_mul_f64 v[146:147], v[146:147], v[100:101]
	v_add_f64 v[94:95], v[94:95], -v[98:99]
	v_fma_f64 v[146:147], v[148:149], v[154:155], v[146:147]
	v_add_f64 v[96:97], v[96:97], -v[146:147]
	ds_read2_b64 v[146:149], v1 offset0:26 offset1:27
	s_waitcnt lgkmcnt(0)
	v_mul_f64 v[98:99], v[148:149], v[100:101]
	v_fma_f64 v[98:99], v[146:147], v[154:155], -v[98:99]
	v_mul_f64 v[146:147], v[146:147], v[100:101]
	v_add_f64 v[90:91], v[90:91], -v[98:99]
	v_fma_f64 v[146:147], v[148:149], v[154:155], v[146:147]
	v_add_f64 v[92:93], v[92:93], -v[146:147]
	;; [unrolled: 8-line block ×23, first 2 shown]
	ds_read2_b64 v[146:149], v1 offset0:70 offset1:71
	s_waitcnt lgkmcnt(0)
	v_mul_f64 v[98:99], v[148:149], v[100:101]
	v_fma_f64 v[98:99], v[146:147], v[154:155], -v[98:99]
	v_mul_f64 v[146:147], v[146:147], v[100:101]
	v_add_f64 v[2:3], v[2:3], -v[98:99]
	v_fma_f64 v[146:147], v[148:149], v[154:155], v[146:147]
	v_mov_b32_e32 v98, v154
	v_mov_b32_e32 v99, v155
	v_add_f64 v[4:5], v[4:5], -v[146:147]
.LBB70_251:
	s_or_b32 exec_lo, exec_lo, s0
	v_lshl_add_u32 v146, v160, 4, v1
	s_barrier
	buffer_gl0_inv
	v_mov_b32_e32 v154, 12
	ds_write2_b64 v146, v[94:95], v[96:97] offset1:1
	s_waitcnt lgkmcnt(0)
	s_barrier
	buffer_gl0_inv
	ds_read2_b64 v[146:149], v1 offset0:24 offset1:25
	s_cmp_lt_i32 s18, 14
	s_cbranch_scc1 .LBB70_254
; %bb.252:
	v_add3_u32 v155, v156, 0, 0xd0
	v_mov_b32_e32 v154, 12
	s_mov_b32 s1, 13
	s_inst_prefetch 0x1
	.p2align	6
.LBB70_253:                             ; =>This Inner Loop Header: Depth=1
	s_waitcnt lgkmcnt(0)
	v_cmp_gt_f64_e32 vcc_lo, 0, v[148:149]
	v_cmp_gt_f64_e64 s0, 0, v[146:147]
	ds_read2_b64 v[161:164], v155 offset1:1
	v_xor_b32_e32 v166, 0x80000000, v147
	v_xor_b32_e32 v168, 0x80000000, v149
	v_mov_b32_e32 v165, v146
	v_mov_b32_e32 v167, v148
	v_add_nc_u32_e32 v155, 16, v155
	s_waitcnt lgkmcnt(0)
	v_xor_b32_e32 v170, 0x80000000, v164
	v_cndmask_b32_e64 v166, v147, v166, s0
	v_cndmask_b32_e32 v168, v149, v168, vcc_lo
	v_cmp_gt_f64_e32 vcc_lo, 0, v[163:164]
	v_cmp_gt_f64_e64 s0, 0, v[161:162]
	v_mov_b32_e32 v169, v163
	v_add_f64 v[165:166], v[165:166], v[167:168]
	v_xor_b32_e32 v168, 0x80000000, v162
	v_mov_b32_e32 v167, v161
	v_cndmask_b32_e32 v170, v164, v170, vcc_lo
	v_cndmask_b32_e64 v168, v162, v168, s0
	v_add_f64 v[167:168], v[167:168], v[169:170]
	v_cmp_lt_f64_e32 vcc_lo, v[165:166], v[167:168]
	v_cndmask_b32_e32 v147, v147, v162, vcc_lo
	v_cndmask_b32_e32 v146, v146, v161, vcc_lo
	;; [unrolled: 1-line block ×4, first 2 shown]
	v_cndmask_b32_e64 v154, v154, s1, vcc_lo
	s_add_i32 s1, s1, 1
	s_cmp_lg_u32 s18, s1
	s_cbranch_scc1 .LBB70_253
.LBB70_254:
	s_inst_prefetch 0x2
	s_waitcnt lgkmcnt(0)
	v_cmp_eq_f64_e32 vcc_lo, 0, v[146:147]
	v_cmp_eq_f64_e64 s0, 0, v[148:149]
	s_and_b32 s0, vcc_lo, s0
	s_and_saveexec_b32 s1, s0
	s_xor_b32 s0, exec_lo, s1
; %bb.255:
	v_cmp_ne_u32_e32 vcc_lo, 0, v159
	v_cndmask_b32_e32 v159, 13, v159, vcc_lo
; %bb.256:
	s_andn2_saveexec_b32 s0, s0
	s_cbranch_execz .LBB70_262
; %bb.257:
	v_cmp_ngt_f64_e64 s1, |v[146:147]|, |v[148:149]|
	s_and_saveexec_b32 s2, s1
	s_xor_b32 s1, exec_lo, s2
	s_cbranch_execz .LBB70_259
; %bb.258:
	v_div_scale_f64 v[161:162], null, v[148:149], v[148:149], v[146:147]
	v_div_scale_f64 v[167:168], vcc_lo, v[146:147], v[148:149], v[146:147]
	v_rcp_f64_e32 v[163:164], v[161:162]
	v_fma_f64 v[165:166], -v[161:162], v[163:164], 1.0
	v_fma_f64 v[163:164], v[163:164], v[165:166], v[163:164]
	v_fma_f64 v[165:166], -v[161:162], v[163:164], 1.0
	v_fma_f64 v[163:164], v[163:164], v[165:166], v[163:164]
	v_mul_f64 v[165:166], v[167:168], v[163:164]
	v_fma_f64 v[161:162], -v[161:162], v[165:166], v[167:168]
	v_div_fmas_f64 v[161:162], v[161:162], v[163:164], v[165:166]
	v_div_fixup_f64 v[161:162], v[161:162], v[148:149], v[146:147]
	v_fma_f64 v[146:147], v[146:147], v[161:162], v[148:149]
	v_div_scale_f64 v[148:149], null, v[146:147], v[146:147], 1.0
	v_rcp_f64_e32 v[163:164], v[148:149]
	v_fma_f64 v[165:166], -v[148:149], v[163:164], 1.0
	v_fma_f64 v[163:164], v[163:164], v[165:166], v[163:164]
	v_fma_f64 v[165:166], -v[148:149], v[163:164], 1.0
	v_fma_f64 v[163:164], v[163:164], v[165:166], v[163:164]
	v_div_scale_f64 v[165:166], vcc_lo, 1.0, v[146:147], 1.0
	v_mul_f64 v[167:168], v[165:166], v[163:164]
	v_fma_f64 v[148:149], -v[148:149], v[167:168], v[165:166]
	v_div_fmas_f64 v[148:149], v[148:149], v[163:164], v[167:168]
	v_div_fixup_f64 v[148:149], v[148:149], v[146:147], 1.0
	v_mul_f64 v[146:147], v[161:162], v[148:149]
	v_xor_b32_e32 v149, 0x80000000, v149
.LBB70_259:
	s_andn2_saveexec_b32 s1, s1
	s_cbranch_execz .LBB70_261
; %bb.260:
	v_div_scale_f64 v[161:162], null, v[146:147], v[146:147], v[148:149]
	v_div_scale_f64 v[167:168], vcc_lo, v[148:149], v[146:147], v[148:149]
	v_rcp_f64_e32 v[163:164], v[161:162]
	v_fma_f64 v[165:166], -v[161:162], v[163:164], 1.0
	v_fma_f64 v[163:164], v[163:164], v[165:166], v[163:164]
	v_fma_f64 v[165:166], -v[161:162], v[163:164], 1.0
	v_fma_f64 v[163:164], v[163:164], v[165:166], v[163:164]
	v_mul_f64 v[165:166], v[167:168], v[163:164]
	v_fma_f64 v[161:162], -v[161:162], v[165:166], v[167:168]
	v_div_fmas_f64 v[161:162], v[161:162], v[163:164], v[165:166]
	v_div_fixup_f64 v[161:162], v[161:162], v[146:147], v[148:149]
	v_fma_f64 v[146:147], v[148:149], v[161:162], v[146:147]
	v_div_scale_f64 v[148:149], null, v[146:147], v[146:147], 1.0
	v_rcp_f64_e32 v[163:164], v[148:149]
	v_fma_f64 v[165:166], -v[148:149], v[163:164], 1.0
	v_fma_f64 v[163:164], v[163:164], v[165:166], v[163:164]
	v_fma_f64 v[165:166], -v[148:149], v[163:164], 1.0
	v_fma_f64 v[163:164], v[163:164], v[165:166], v[163:164]
	v_div_scale_f64 v[165:166], vcc_lo, 1.0, v[146:147], 1.0
	v_mul_f64 v[167:168], v[165:166], v[163:164]
	v_fma_f64 v[148:149], -v[148:149], v[167:168], v[165:166]
	v_div_fmas_f64 v[148:149], v[148:149], v[163:164], v[167:168]
	v_div_fixup_f64 v[146:147], v[148:149], v[146:147], 1.0
	v_mul_f64 v[148:149], v[161:162], -v[146:147]
.LBB70_261:
	s_or_b32 exec_lo, exec_lo, s1
.LBB70_262:
	s_or_b32 exec_lo, exec_lo, s0
	s_mov_b32 s0, exec_lo
	v_cmpx_ne_u32_e64 v160, v154
	s_xor_b32 s0, exec_lo, s0
	s_cbranch_execz .LBB70_268
; %bb.263:
	s_mov_b32 s1, exec_lo
	v_cmpx_eq_u32_e32 12, v160
	s_cbranch_execz .LBB70_267
; %bb.264:
	v_cmp_ne_u32_e32 vcc_lo, 12, v154
	s_xor_b32 s2, s16, -1
	s_and_b32 s3, s2, vcc_lo
	s_and_saveexec_b32 s2, s3
	s_cbranch_execz .LBB70_266
; %bb.265:
	v_ashrrev_i32_e32 v155, 31, v154
	v_lshlrev_b64 v[160:161], 2, v[154:155]
	v_add_co_u32 v160, vcc_lo, v152, v160
	v_add_co_ci_u32_e64 v161, null, v153, v161, vcc_lo
	s_clause 0x1
	global_load_dword v0, v[160:161], off
	global_load_dword v155, v[152:153], off offset:48
	s_waitcnt vmcnt(1)
	global_store_dword v[152:153], v0, off offset:48
	s_waitcnt vmcnt(0)
	global_store_dword v[160:161], v155, off
.LBB70_266:
	s_or_b32 exec_lo, exec_lo, s2
	v_mov_b32_e32 v160, v154
	v_mov_b32_e32 v0, v154
.LBB70_267:
	s_or_b32 exec_lo, exec_lo, s1
.LBB70_268:
	s_andn2_saveexec_b32 s0, s0
	s_cbranch_execz .LBB70_270
; %bb.269:
	v_mov_b32_e32 v160, 12
	ds_write2_b64 v1, v[90:91], v[92:93] offset0:26 offset1:27
	ds_write2_b64 v1, v[86:87], v[88:89] offset0:28 offset1:29
	;; [unrolled: 1-line block ×23, first 2 shown]
.LBB70_270:
	s_or_b32 exec_lo, exec_lo, s0
	s_mov_b32 s0, exec_lo
	s_waitcnt lgkmcnt(0)
	s_waitcnt_vscnt null, 0x0
	s_barrier
	buffer_gl0_inv
	v_cmpx_lt_i32_e32 12, v160
	s_cbranch_execz .LBB70_272
; %bb.271:
	v_mul_f64 v[154:155], v[148:149], v[96:97]
	v_mul_f64 v[96:97], v[146:147], v[96:97]
	v_fma_f64 v[154:155], v[146:147], v[94:95], -v[154:155]
	v_fma_f64 v[96:97], v[148:149], v[94:95], v[96:97]
	ds_read2_b64 v[146:149], v1 offset0:26 offset1:27
	s_waitcnt lgkmcnt(0)
	v_mul_f64 v[94:95], v[148:149], v[96:97]
	v_fma_f64 v[94:95], v[146:147], v[154:155], -v[94:95]
	v_mul_f64 v[146:147], v[146:147], v[96:97]
	v_add_f64 v[90:91], v[90:91], -v[94:95]
	v_fma_f64 v[146:147], v[148:149], v[154:155], v[146:147]
	v_add_f64 v[92:93], v[92:93], -v[146:147]
	ds_read2_b64 v[146:149], v1 offset0:28 offset1:29
	s_waitcnt lgkmcnt(0)
	v_mul_f64 v[94:95], v[148:149], v[96:97]
	v_fma_f64 v[94:95], v[146:147], v[154:155], -v[94:95]
	v_mul_f64 v[146:147], v[146:147], v[96:97]
	v_add_f64 v[86:87], v[86:87], -v[94:95]
	v_fma_f64 v[146:147], v[148:149], v[154:155], v[146:147]
	v_add_f64 v[88:89], v[88:89], -v[146:147]
	;; [unrolled: 8-line block ×22, first 2 shown]
	ds_read2_b64 v[146:149], v1 offset0:70 offset1:71
	s_waitcnt lgkmcnt(0)
	v_mul_f64 v[94:95], v[148:149], v[96:97]
	v_fma_f64 v[94:95], v[146:147], v[154:155], -v[94:95]
	v_mul_f64 v[146:147], v[146:147], v[96:97]
	v_add_f64 v[2:3], v[2:3], -v[94:95]
	v_fma_f64 v[146:147], v[148:149], v[154:155], v[146:147]
	v_mov_b32_e32 v94, v154
	v_mov_b32_e32 v95, v155
	v_add_f64 v[4:5], v[4:5], -v[146:147]
.LBB70_272:
	s_or_b32 exec_lo, exec_lo, s0
	v_lshl_add_u32 v146, v160, 4, v1
	s_barrier
	buffer_gl0_inv
	v_mov_b32_e32 v154, 13
	ds_write2_b64 v146, v[90:91], v[92:93] offset1:1
	s_waitcnt lgkmcnt(0)
	s_barrier
	buffer_gl0_inv
	ds_read2_b64 v[146:149], v1 offset0:26 offset1:27
	s_cmp_lt_i32 s18, 15
	s_cbranch_scc1 .LBB70_275
; %bb.273:
	v_add3_u32 v155, v156, 0, 0xe0
	v_mov_b32_e32 v154, 13
	s_mov_b32 s1, 14
	s_inst_prefetch 0x1
	.p2align	6
.LBB70_274:                             ; =>This Inner Loop Header: Depth=1
	s_waitcnt lgkmcnt(0)
	v_cmp_gt_f64_e32 vcc_lo, 0, v[148:149]
	v_cmp_gt_f64_e64 s0, 0, v[146:147]
	ds_read2_b64 v[161:164], v155 offset1:1
	v_xor_b32_e32 v166, 0x80000000, v147
	v_xor_b32_e32 v168, 0x80000000, v149
	v_mov_b32_e32 v165, v146
	v_mov_b32_e32 v167, v148
	v_add_nc_u32_e32 v155, 16, v155
	s_waitcnt lgkmcnt(0)
	v_xor_b32_e32 v170, 0x80000000, v164
	v_cndmask_b32_e64 v166, v147, v166, s0
	v_cndmask_b32_e32 v168, v149, v168, vcc_lo
	v_cmp_gt_f64_e32 vcc_lo, 0, v[163:164]
	v_cmp_gt_f64_e64 s0, 0, v[161:162]
	v_mov_b32_e32 v169, v163
	v_add_f64 v[165:166], v[165:166], v[167:168]
	v_xor_b32_e32 v168, 0x80000000, v162
	v_mov_b32_e32 v167, v161
	v_cndmask_b32_e32 v170, v164, v170, vcc_lo
	v_cndmask_b32_e64 v168, v162, v168, s0
	v_add_f64 v[167:168], v[167:168], v[169:170]
	v_cmp_lt_f64_e32 vcc_lo, v[165:166], v[167:168]
	v_cndmask_b32_e32 v147, v147, v162, vcc_lo
	v_cndmask_b32_e32 v146, v146, v161, vcc_lo
	;; [unrolled: 1-line block ×4, first 2 shown]
	v_cndmask_b32_e64 v154, v154, s1, vcc_lo
	s_add_i32 s1, s1, 1
	s_cmp_lg_u32 s18, s1
	s_cbranch_scc1 .LBB70_274
.LBB70_275:
	s_inst_prefetch 0x2
	s_waitcnt lgkmcnt(0)
	v_cmp_eq_f64_e32 vcc_lo, 0, v[146:147]
	v_cmp_eq_f64_e64 s0, 0, v[148:149]
	s_and_b32 s0, vcc_lo, s0
	s_and_saveexec_b32 s1, s0
	s_xor_b32 s0, exec_lo, s1
; %bb.276:
	v_cmp_ne_u32_e32 vcc_lo, 0, v159
	v_cndmask_b32_e32 v159, 14, v159, vcc_lo
; %bb.277:
	s_andn2_saveexec_b32 s0, s0
	s_cbranch_execz .LBB70_283
; %bb.278:
	v_cmp_ngt_f64_e64 s1, |v[146:147]|, |v[148:149]|
	s_and_saveexec_b32 s2, s1
	s_xor_b32 s1, exec_lo, s2
	s_cbranch_execz .LBB70_280
; %bb.279:
	v_div_scale_f64 v[161:162], null, v[148:149], v[148:149], v[146:147]
	v_div_scale_f64 v[167:168], vcc_lo, v[146:147], v[148:149], v[146:147]
	v_rcp_f64_e32 v[163:164], v[161:162]
	v_fma_f64 v[165:166], -v[161:162], v[163:164], 1.0
	v_fma_f64 v[163:164], v[163:164], v[165:166], v[163:164]
	v_fma_f64 v[165:166], -v[161:162], v[163:164], 1.0
	v_fma_f64 v[163:164], v[163:164], v[165:166], v[163:164]
	v_mul_f64 v[165:166], v[167:168], v[163:164]
	v_fma_f64 v[161:162], -v[161:162], v[165:166], v[167:168]
	v_div_fmas_f64 v[161:162], v[161:162], v[163:164], v[165:166]
	v_div_fixup_f64 v[161:162], v[161:162], v[148:149], v[146:147]
	v_fma_f64 v[146:147], v[146:147], v[161:162], v[148:149]
	v_div_scale_f64 v[148:149], null, v[146:147], v[146:147], 1.0
	v_rcp_f64_e32 v[163:164], v[148:149]
	v_fma_f64 v[165:166], -v[148:149], v[163:164], 1.0
	v_fma_f64 v[163:164], v[163:164], v[165:166], v[163:164]
	v_fma_f64 v[165:166], -v[148:149], v[163:164], 1.0
	v_fma_f64 v[163:164], v[163:164], v[165:166], v[163:164]
	v_div_scale_f64 v[165:166], vcc_lo, 1.0, v[146:147], 1.0
	v_mul_f64 v[167:168], v[165:166], v[163:164]
	v_fma_f64 v[148:149], -v[148:149], v[167:168], v[165:166]
	v_div_fmas_f64 v[148:149], v[148:149], v[163:164], v[167:168]
	v_div_fixup_f64 v[148:149], v[148:149], v[146:147], 1.0
	v_mul_f64 v[146:147], v[161:162], v[148:149]
	v_xor_b32_e32 v149, 0x80000000, v149
.LBB70_280:
	s_andn2_saveexec_b32 s1, s1
	s_cbranch_execz .LBB70_282
; %bb.281:
	v_div_scale_f64 v[161:162], null, v[146:147], v[146:147], v[148:149]
	v_div_scale_f64 v[167:168], vcc_lo, v[148:149], v[146:147], v[148:149]
	v_rcp_f64_e32 v[163:164], v[161:162]
	v_fma_f64 v[165:166], -v[161:162], v[163:164], 1.0
	v_fma_f64 v[163:164], v[163:164], v[165:166], v[163:164]
	v_fma_f64 v[165:166], -v[161:162], v[163:164], 1.0
	v_fma_f64 v[163:164], v[163:164], v[165:166], v[163:164]
	v_mul_f64 v[165:166], v[167:168], v[163:164]
	v_fma_f64 v[161:162], -v[161:162], v[165:166], v[167:168]
	v_div_fmas_f64 v[161:162], v[161:162], v[163:164], v[165:166]
	v_div_fixup_f64 v[161:162], v[161:162], v[146:147], v[148:149]
	v_fma_f64 v[146:147], v[148:149], v[161:162], v[146:147]
	v_div_scale_f64 v[148:149], null, v[146:147], v[146:147], 1.0
	v_rcp_f64_e32 v[163:164], v[148:149]
	v_fma_f64 v[165:166], -v[148:149], v[163:164], 1.0
	v_fma_f64 v[163:164], v[163:164], v[165:166], v[163:164]
	v_fma_f64 v[165:166], -v[148:149], v[163:164], 1.0
	v_fma_f64 v[163:164], v[163:164], v[165:166], v[163:164]
	v_div_scale_f64 v[165:166], vcc_lo, 1.0, v[146:147], 1.0
	v_mul_f64 v[167:168], v[165:166], v[163:164]
	v_fma_f64 v[148:149], -v[148:149], v[167:168], v[165:166]
	v_div_fmas_f64 v[148:149], v[148:149], v[163:164], v[167:168]
	v_div_fixup_f64 v[146:147], v[148:149], v[146:147], 1.0
	v_mul_f64 v[148:149], v[161:162], -v[146:147]
.LBB70_282:
	s_or_b32 exec_lo, exec_lo, s1
.LBB70_283:
	s_or_b32 exec_lo, exec_lo, s0
	s_mov_b32 s0, exec_lo
	v_cmpx_ne_u32_e64 v160, v154
	s_xor_b32 s0, exec_lo, s0
	s_cbranch_execz .LBB70_289
; %bb.284:
	s_mov_b32 s1, exec_lo
	v_cmpx_eq_u32_e32 13, v160
	s_cbranch_execz .LBB70_288
; %bb.285:
	v_cmp_ne_u32_e32 vcc_lo, 13, v154
	s_xor_b32 s2, s16, -1
	s_and_b32 s3, s2, vcc_lo
	s_and_saveexec_b32 s2, s3
	s_cbranch_execz .LBB70_287
; %bb.286:
	v_ashrrev_i32_e32 v155, 31, v154
	v_lshlrev_b64 v[160:161], 2, v[154:155]
	v_add_co_u32 v160, vcc_lo, v152, v160
	v_add_co_ci_u32_e64 v161, null, v153, v161, vcc_lo
	s_clause 0x1
	global_load_dword v0, v[160:161], off
	global_load_dword v155, v[152:153], off offset:52
	s_waitcnt vmcnt(1)
	global_store_dword v[152:153], v0, off offset:52
	s_waitcnt vmcnt(0)
	global_store_dword v[160:161], v155, off
.LBB70_287:
	s_or_b32 exec_lo, exec_lo, s2
	v_mov_b32_e32 v160, v154
	v_mov_b32_e32 v0, v154
.LBB70_288:
	s_or_b32 exec_lo, exec_lo, s1
.LBB70_289:
	s_andn2_saveexec_b32 s0, s0
	s_cbranch_execz .LBB70_291
; %bb.290:
	v_mov_b32_e32 v160, 13
	ds_write2_b64 v1, v[86:87], v[88:89] offset0:28 offset1:29
	ds_write2_b64 v1, v[82:83], v[84:85] offset0:30 offset1:31
	;; [unrolled: 1-line block ×22, first 2 shown]
.LBB70_291:
	s_or_b32 exec_lo, exec_lo, s0
	s_mov_b32 s0, exec_lo
	s_waitcnt lgkmcnt(0)
	s_waitcnt_vscnt null, 0x0
	s_barrier
	buffer_gl0_inv
	v_cmpx_lt_i32_e32 13, v160
	s_cbranch_execz .LBB70_293
; %bb.292:
	v_mul_f64 v[154:155], v[148:149], v[92:93]
	v_mul_f64 v[92:93], v[146:147], v[92:93]
	v_fma_f64 v[154:155], v[146:147], v[90:91], -v[154:155]
	v_fma_f64 v[92:93], v[148:149], v[90:91], v[92:93]
	ds_read2_b64 v[146:149], v1 offset0:28 offset1:29
	s_waitcnt lgkmcnt(0)
	v_mul_f64 v[90:91], v[148:149], v[92:93]
	v_fma_f64 v[90:91], v[146:147], v[154:155], -v[90:91]
	v_mul_f64 v[146:147], v[146:147], v[92:93]
	v_add_f64 v[86:87], v[86:87], -v[90:91]
	v_fma_f64 v[146:147], v[148:149], v[154:155], v[146:147]
	v_add_f64 v[88:89], v[88:89], -v[146:147]
	ds_read2_b64 v[146:149], v1 offset0:30 offset1:31
	s_waitcnt lgkmcnt(0)
	v_mul_f64 v[90:91], v[148:149], v[92:93]
	v_fma_f64 v[90:91], v[146:147], v[154:155], -v[90:91]
	v_mul_f64 v[146:147], v[146:147], v[92:93]
	v_add_f64 v[82:83], v[82:83], -v[90:91]
	v_fma_f64 v[146:147], v[148:149], v[154:155], v[146:147]
	v_add_f64 v[84:85], v[84:85], -v[146:147]
	;; [unrolled: 8-line block ×21, first 2 shown]
	ds_read2_b64 v[146:149], v1 offset0:70 offset1:71
	s_waitcnt lgkmcnt(0)
	v_mul_f64 v[90:91], v[148:149], v[92:93]
	v_fma_f64 v[90:91], v[146:147], v[154:155], -v[90:91]
	v_mul_f64 v[146:147], v[146:147], v[92:93]
	v_add_f64 v[2:3], v[2:3], -v[90:91]
	v_fma_f64 v[146:147], v[148:149], v[154:155], v[146:147]
	v_mov_b32_e32 v90, v154
	v_mov_b32_e32 v91, v155
	v_add_f64 v[4:5], v[4:5], -v[146:147]
.LBB70_293:
	s_or_b32 exec_lo, exec_lo, s0
	v_lshl_add_u32 v146, v160, 4, v1
	s_barrier
	buffer_gl0_inv
	v_mov_b32_e32 v154, 14
	ds_write2_b64 v146, v[86:87], v[88:89] offset1:1
	s_waitcnt lgkmcnt(0)
	s_barrier
	buffer_gl0_inv
	ds_read2_b64 v[146:149], v1 offset0:28 offset1:29
	s_cmp_lt_i32 s18, 16
	s_cbranch_scc1 .LBB70_296
; %bb.294:
	v_add3_u32 v155, v156, 0, 0xf0
	v_mov_b32_e32 v154, 14
	s_mov_b32 s1, 15
	s_inst_prefetch 0x1
	.p2align	6
.LBB70_295:                             ; =>This Inner Loop Header: Depth=1
	s_waitcnt lgkmcnt(0)
	v_cmp_gt_f64_e32 vcc_lo, 0, v[148:149]
	v_cmp_gt_f64_e64 s0, 0, v[146:147]
	ds_read2_b64 v[161:164], v155 offset1:1
	v_xor_b32_e32 v166, 0x80000000, v147
	v_xor_b32_e32 v168, 0x80000000, v149
	v_mov_b32_e32 v165, v146
	v_mov_b32_e32 v167, v148
	v_add_nc_u32_e32 v155, 16, v155
	s_waitcnt lgkmcnt(0)
	v_xor_b32_e32 v170, 0x80000000, v164
	v_cndmask_b32_e64 v166, v147, v166, s0
	v_cndmask_b32_e32 v168, v149, v168, vcc_lo
	v_cmp_gt_f64_e32 vcc_lo, 0, v[163:164]
	v_cmp_gt_f64_e64 s0, 0, v[161:162]
	v_mov_b32_e32 v169, v163
	v_add_f64 v[165:166], v[165:166], v[167:168]
	v_xor_b32_e32 v168, 0x80000000, v162
	v_mov_b32_e32 v167, v161
	v_cndmask_b32_e32 v170, v164, v170, vcc_lo
	v_cndmask_b32_e64 v168, v162, v168, s0
	v_add_f64 v[167:168], v[167:168], v[169:170]
	v_cmp_lt_f64_e32 vcc_lo, v[165:166], v[167:168]
	v_cndmask_b32_e32 v147, v147, v162, vcc_lo
	v_cndmask_b32_e32 v146, v146, v161, vcc_lo
	;; [unrolled: 1-line block ×4, first 2 shown]
	v_cndmask_b32_e64 v154, v154, s1, vcc_lo
	s_add_i32 s1, s1, 1
	s_cmp_lg_u32 s18, s1
	s_cbranch_scc1 .LBB70_295
.LBB70_296:
	s_inst_prefetch 0x2
	s_waitcnt lgkmcnt(0)
	v_cmp_eq_f64_e32 vcc_lo, 0, v[146:147]
	v_cmp_eq_f64_e64 s0, 0, v[148:149]
	s_and_b32 s0, vcc_lo, s0
	s_and_saveexec_b32 s1, s0
	s_xor_b32 s0, exec_lo, s1
; %bb.297:
	v_cmp_ne_u32_e32 vcc_lo, 0, v159
	v_cndmask_b32_e32 v159, 15, v159, vcc_lo
; %bb.298:
	s_andn2_saveexec_b32 s0, s0
	s_cbranch_execz .LBB70_304
; %bb.299:
	v_cmp_ngt_f64_e64 s1, |v[146:147]|, |v[148:149]|
	s_and_saveexec_b32 s2, s1
	s_xor_b32 s1, exec_lo, s2
	s_cbranch_execz .LBB70_301
; %bb.300:
	v_div_scale_f64 v[161:162], null, v[148:149], v[148:149], v[146:147]
	v_div_scale_f64 v[167:168], vcc_lo, v[146:147], v[148:149], v[146:147]
	v_rcp_f64_e32 v[163:164], v[161:162]
	v_fma_f64 v[165:166], -v[161:162], v[163:164], 1.0
	v_fma_f64 v[163:164], v[163:164], v[165:166], v[163:164]
	v_fma_f64 v[165:166], -v[161:162], v[163:164], 1.0
	v_fma_f64 v[163:164], v[163:164], v[165:166], v[163:164]
	v_mul_f64 v[165:166], v[167:168], v[163:164]
	v_fma_f64 v[161:162], -v[161:162], v[165:166], v[167:168]
	v_div_fmas_f64 v[161:162], v[161:162], v[163:164], v[165:166]
	v_div_fixup_f64 v[161:162], v[161:162], v[148:149], v[146:147]
	v_fma_f64 v[146:147], v[146:147], v[161:162], v[148:149]
	v_div_scale_f64 v[148:149], null, v[146:147], v[146:147], 1.0
	v_rcp_f64_e32 v[163:164], v[148:149]
	v_fma_f64 v[165:166], -v[148:149], v[163:164], 1.0
	v_fma_f64 v[163:164], v[163:164], v[165:166], v[163:164]
	v_fma_f64 v[165:166], -v[148:149], v[163:164], 1.0
	v_fma_f64 v[163:164], v[163:164], v[165:166], v[163:164]
	v_div_scale_f64 v[165:166], vcc_lo, 1.0, v[146:147], 1.0
	v_mul_f64 v[167:168], v[165:166], v[163:164]
	v_fma_f64 v[148:149], -v[148:149], v[167:168], v[165:166]
	v_div_fmas_f64 v[148:149], v[148:149], v[163:164], v[167:168]
	v_div_fixup_f64 v[148:149], v[148:149], v[146:147], 1.0
	v_mul_f64 v[146:147], v[161:162], v[148:149]
	v_xor_b32_e32 v149, 0x80000000, v149
.LBB70_301:
	s_andn2_saveexec_b32 s1, s1
	s_cbranch_execz .LBB70_303
; %bb.302:
	v_div_scale_f64 v[161:162], null, v[146:147], v[146:147], v[148:149]
	v_div_scale_f64 v[167:168], vcc_lo, v[148:149], v[146:147], v[148:149]
	v_rcp_f64_e32 v[163:164], v[161:162]
	v_fma_f64 v[165:166], -v[161:162], v[163:164], 1.0
	v_fma_f64 v[163:164], v[163:164], v[165:166], v[163:164]
	v_fma_f64 v[165:166], -v[161:162], v[163:164], 1.0
	v_fma_f64 v[163:164], v[163:164], v[165:166], v[163:164]
	v_mul_f64 v[165:166], v[167:168], v[163:164]
	v_fma_f64 v[161:162], -v[161:162], v[165:166], v[167:168]
	v_div_fmas_f64 v[161:162], v[161:162], v[163:164], v[165:166]
	v_div_fixup_f64 v[161:162], v[161:162], v[146:147], v[148:149]
	v_fma_f64 v[146:147], v[148:149], v[161:162], v[146:147]
	v_div_scale_f64 v[148:149], null, v[146:147], v[146:147], 1.0
	v_rcp_f64_e32 v[163:164], v[148:149]
	v_fma_f64 v[165:166], -v[148:149], v[163:164], 1.0
	v_fma_f64 v[163:164], v[163:164], v[165:166], v[163:164]
	v_fma_f64 v[165:166], -v[148:149], v[163:164], 1.0
	v_fma_f64 v[163:164], v[163:164], v[165:166], v[163:164]
	v_div_scale_f64 v[165:166], vcc_lo, 1.0, v[146:147], 1.0
	v_mul_f64 v[167:168], v[165:166], v[163:164]
	v_fma_f64 v[148:149], -v[148:149], v[167:168], v[165:166]
	v_div_fmas_f64 v[148:149], v[148:149], v[163:164], v[167:168]
	v_div_fixup_f64 v[146:147], v[148:149], v[146:147], 1.0
	v_mul_f64 v[148:149], v[161:162], -v[146:147]
.LBB70_303:
	s_or_b32 exec_lo, exec_lo, s1
.LBB70_304:
	s_or_b32 exec_lo, exec_lo, s0
	s_mov_b32 s0, exec_lo
	v_cmpx_ne_u32_e64 v160, v154
	s_xor_b32 s0, exec_lo, s0
	s_cbranch_execz .LBB70_310
; %bb.305:
	s_mov_b32 s1, exec_lo
	v_cmpx_eq_u32_e32 14, v160
	s_cbranch_execz .LBB70_309
; %bb.306:
	v_cmp_ne_u32_e32 vcc_lo, 14, v154
	s_xor_b32 s2, s16, -1
	s_and_b32 s3, s2, vcc_lo
	s_and_saveexec_b32 s2, s3
	s_cbranch_execz .LBB70_308
; %bb.307:
	v_ashrrev_i32_e32 v155, 31, v154
	v_lshlrev_b64 v[160:161], 2, v[154:155]
	v_add_co_u32 v160, vcc_lo, v152, v160
	v_add_co_ci_u32_e64 v161, null, v153, v161, vcc_lo
	s_clause 0x1
	global_load_dword v0, v[160:161], off
	global_load_dword v155, v[152:153], off offset:56
	s_waitcnt vmcnt(1)
	global_store_dword v[152:153], v0, off offset:56
	s_waitcnt vmcnt(0)
	global_store_dword v[160:161], v155, off
.LBB70_308:
	s_or_b32 exec_lo, exec_lo, s2
	v_mov_b32_e32 v160, v154
	v_mov_b32_e32 v0, v154
.LBB70_309:
	s_or_b32 exec_lo, exec_lo, s1
.LBB70_310:
	s_andn2_saveexec_b32 s0, s0
	s_cbranch_execz .LBB70_312
; %bb.311:
	v_mov_b32_e32 v160, 14
	ds_write2_b64 v1, v[82:83], v[84:85] offset0:30 offset1:31
	ds_write2_b64 v1, v[78:79], v[80:81] offset0:32 offset1:33
	;; [unrolled: 1-line block ×21, first 2 shown]
.LBB70_312:
	s_or_b32 exec_lo, exec_lo, s0
	s_mov_b32 s0, exec_lo
	s_waitcnt lgkmcnt(0)
	s_waitcnt_vscnt null, 0x0
	s_barrier
	buffer_gl0_inv
	v_cmpx_lt_i32_e32 14, v160
	s_cbranch_execz .LBB70_314
; %bb.313:
	v_mul_f64 v[154:155], v[148:149], v[88:89]
	v_mul_f64 v[88:89], v[146:147], v[88:89]
	v_fma_f64 v[154:155], v[146:147], v[86:87], -v[154:155]
	v_fma_f64 v[88:89], v[148:149], v[86:87], v[88:89]
	ds_read2_b64 v[146:149], v1 offset0:30 offset1:31
	s_waitcnt lgkmcnt(0)
	v_mul_f64 v[86:87], v[148:149], v[88:89]
	v_fma_f64 v[86:87], v[146:147], v[154:155], -v[86:87]
	v_mul_f64 v[146:147], v[146:147], v[88:89]
	v_add_f64 v[82:83], v[82:83], -v[86:87]
	v_fma_f64 v[146:147], v[148:149], v[154:155], v[146:147]
	v_add_f64 v[84:85], v[84:85], -v[146:147]
	ds_read2_b64 v[146:149], v1 offset0:32 offset1:33
	s_waitcnt lgkmcnt(0)
	v_mul_f64 v[86:87], v[148:149], v[88:89]
	v_fma_f64 v[86:87], v[146:147], v[154:155], -v[86:87]
	v_mul_f64 v[146:147], v[146:147], v[88:89]
	v_add_f64 v[78:79], v[78:79], -v[86:87]
	v_fma_f64 v[146:147], v[148:149], v[154:155], v[146:147]
	v_add_f64 v[80:81], v[80:81], -v[146:147]
	;; [unrolled: 8-line block ×20, first 2 shown]
	ds_read2_b64 v[146:149], v1 offset0:70 offset1:71
	s_waitcnt lgkmcnt(0)
	v_mul_f64 v[86:87], v[148:149], v[88:89]
	v_fma_f64 v[86:87], v[146:147], v[154:155], -v[86:87]
	v_mul_f64 v[146:147], v[146:147], v[88:89]
	v_add_f64 v[2:3], v[2:3], -v[86:87]
	v_fma_f64 v[146:147], v[148:149], v[154:155], v[146:147]
	v_mov_b32_e32 v86, v154
	v_mov_b32_e32 v87, v155
	v_add_f64 v[4:5], v[4:5], -v[146:147]
.LBB70_314:
	s_or_b32 exec_lo, exec_lo, s0
	v_lshl_add_u32 v146, v160, 4, v1
	s_barrier
	buffer_gl0_inv
	v_mov_b32_e32 v154, 15
	ds_write2_b64 v146, v[82:83], v[84:85] offset1:1
	s_waitcnt lgkmcnt(0)
	s_barrier
	buffer_gl0_inv
	ds_read2_b64 v[146:149], v1 offset0:30 offset1:31
	s_cmp_lt_i32 s18, 17
	s_cbranch_scc1 .LBB70_317
; %bb.315:
	v_add3_u32 v155, v156, 0, 0x100
	v_mov_b32_e32 v154, 15
	s_mov_b32 s1, 16
	s_inst_prefetch 0x1
	.p2align	6
.LBB70_316:                             ; =>This Inner Loop Header: Depth=1
	s_waitcnt lgkmcnt(0)
	v_cmp_gt_f64_e32 vcc_lo, 0, v[148:149]
	v_cmp_gt_f64_e64 s0, 0, v[146:147]
	ds_read2_b64 v[161:164], v155 offset1:1
	v_xor_b32_e32 v166, 0x80000000, v147
	v_xor_b32_e32 v168, 0x80000000, v149
	v_mov_b32_e32 v165, v146
	v_mov_b32_e32 v167, v148
	v_add_nc_u32_e32 v155, 16, v155
	s_waitcnt lgkmcnt(0)
	v_xor_b32_e32 v170, 0x80000000, v164
	v_cndmask_b32_e64 v166, v147, v166, s0
	v_cndmask_b32_e32 v168, v149, v168, vcc_lo
	v_cmp_gt_f64_e32 vcc_lo, 0, v[163:164]
	v_cmp_gt_f64_e64 s0, 0, v[161:162]
	v_mov_b32_e32 v169, v163
	v_add_f64 v[165:166], v[165:166], v[167:168]
	v_xor_b32_e32 v168, 0x80000000, v162
	v_mov_b32_e32 v167, v161
	v_cndmask_b32_e32 v170, v164, v170, vcc_lo
	v_cndmask_b32_e64 v168, v162, v168, s0
	v_add_f64 v[167:168], v[167:168], v[169:170]
	v_cmp_lt_f64_e32 vcc_lo, v[165:166], v[167:168]
	v_cndmask_b32_e32 v147, v147, v162, vcc_lo
	v_cndmask_b32_e32 v146, v146, v161, vcc_lo
	;; [unrolled: 1-line block ×4, first 2 shown]
	v_cndmask_b32_e64 v154, v154, s1, vcc_lo
	s_add_i32 s1, s1, 1
	s_cmp_lg_u32 s18, s1
	s_cbranch_scc1 .LBB70_316
.LBB70_317:
	s_inst_prefetch 0x2
	s_waitcnt lgkmcnt(0)
	v_cmp_eq_f64_e32 vcc_lo, 0, v[146:147]
	v_cmp_eq_f64_e64 s0, 0, v[148:149]
	s_and_b32 s0, vcc_lo, s0
	s_and_saveexec_b32 s1, s0
	s_xor_b32 s0, exec_lo, s1
; %bb.318:
	v_cmp_ne_u32_e32 vcc_lo, 0, v159
	v_cndmask_b32_e32 v159, 16, v159, vcc_lo
; %bb.319:
	s_andn2_saveexec_b32 s0, s0
	s_cbranch_execz .LBB70_325
; %bb.320:
	v_cmp_ngt_f64_e64 s1, |v[146:147]|, |v[148:149]|
	s_and_saveexec_b32 s2, s1
	s_xor_b32 s1, exec_lo, s2
	s_cbranch_execz .LBB70_322
; %bb.321:
	v_div_scale_f64 v[161:162], null, v[148:149], v[148:149], v[146:147]
	v_div_scale_f64 v[167:168], vcc_lo, v[146:147], v[148:149], v[146:147]
	v_rcp_f64_e32 v[163:164], v[161:162]
	v_fma_f64 v[165:166], -v[161:162], v[163:164], 1.0
	v_fma_f64 v[163:164], v[163:164], v[165:166], v[163:164]
	v_fma_f64 v[165:166], -v[161:162], v[163:164], 1.0
	v_fma_f64 v[163:164], v[163:164], v[165:166], v[163:164]
	v_mul_f64 v[165:166], v[167:168], v[163:164]
	v_fma_f64 v[161:162], -v[161:162], v[165:166], v[167:168]
	v_div_fmas_f64 v[161:162], v[161:162], v[163:164], v[165:166]
	v_div_fixup_f64 v[161:162], v[161:162], v[148:149], v[146:147]
	v_fma_f64 v[146:147], v[146:147], v[161:162], v[148:149]
	v_div_scale_f64 v[148:149], null, v[146:147], v[146:147], 1.0
	v_rcp_f64_e32 v[163:164], v[148:149]
	v_fma_f64 v[165:166], -v[148:149], v[163:164], 1.0
	v_fma_f64 v[163:164], v[163:164], v[165:166], v[163:164]
	v_fma_f64 v[165:166], -v[148:149], v[163:164], 1.0
	v_fma_f64 v[163:164], v[163:164], v[165:166], v[163:164]
	v_div_scale_f64 v[165:166], vcc_lo, 1.0, v[146:147], 1.0
	v_mul_f64 v[167:168], v[165:166], v[163:164]
	v_fma_f64 v[148:149], -v[148:149], v[167:168], v[165:166]
	v_div_fmas_f64 v[148:149], v[148:149], v[163:164], v[167:168]
	v_div_fixup_f64 v[148:149], v[148:149], v[146:147], 1.0
	v_mul_f64 v[146:147], v[161:162], v[148:149]
	v_xor_b32_e32 v149, 0x80000000, v149
.LBB70_322:
	s_andn2_saveexec_b32 s1, s1
	s_cbranch_execz .LBB70_324
; %bb.323:
	v_div_scale_f64 v[161:162], null, v[146:147], v[146:147], v[148:149]
	v_div_scale_f64 v[167:168], vcc_lo, v[148:149], v[146:147], v[148:149]
	v_rcp_f64_e32 v[163:164], v[161:162]
	v_fma_f64 v[165:166], -v[161:162], v[163:164], 1.0
	v_fma_f64 v[163:164], v[163:164], v[165:166], v[163:164]
	v_fma_f64 v[165:166], -v[161:162], v[163:164], 1.0
	v_fma_f64 v[163:164], v[163:164], v[165:166], v[163:164]
	v_mul_f64 v[165:166], v[167:168], v[163:164]
	v_fma_f64 v[161:162], -v[161:162], v[165:166], v[167:168]
	v_div_fmas_f64 v[161:162], v[161:162], v[163:164], v[165:166]
	v_div_fixup_f64 v[161:162], v[161:162], v[146:147], v[148:149]
	v_fma_f64 v[146:147], v[148:149], v[161:162], v[146:147]
	v_div_scale_f64 v[148:149], null, v[146:147], v[146:147], 1.0
	v_rcp_f64_e32 v[163:164], v[148:149]
	v_fma_f64 v[165:166], -v[148:149], v[163:164], 1.0
	v_fma_f64 v[163:164], v[163:164], v[165:166], v[163:164]
	v_fma_f64 v[165:166], -v[148:149], v[163:164], 1.0
	v_fma_f64 v[163:164], v[163:164], v[165:166], v[163:164]
	v_div_scale_f64 v[165:166], vcc_lo, 1.0, v[146:147], 1.0
	v_mul_f64 v[167:168], v[165:166], v[163:164]
	v_fma_f64 v[148:149], -v[148:149], v[167:168], v[165:166]
	v_div_fmas_f64 v[148:149], v[148:149], v[163:164], v[167:168]
	v_div_fixup_f64 v[146:147], v[148:149], v[146:147], 1.0
	v_mul_f64 v[148:149], v[161:162], -v[146:147]
.LBB70_324:
	s_or_b32 exec_lo, exec_lo, s1
.LBB70_325:
	s_or_b32 exec_lo, exec_lo, s0
	s_mov_b32 s0, exec_lo
	v_cmpx_ne_u32_e64 v160, v154
	s_xor_b32 s0, exec_lo, s0
	s_cbranch_execz .LBB70_331
; %bb.326:
	s_mov_b32 s1, exec_lo
	v_cmpx_eq_u32_e32 15, v160
	s_cbranch_execz .LBB70_330
; %bb.327:
	v_cmp_ne_u32_e32 vcc_lo, 15, v154
	s_xor_b32 s2, s16, -1
	s_and_b32 s3, s2, vcc_lo
	s_and_saveexec_b32 s2, s3
	s_cbranch_execz .LBB70_329
; %bb.328:
	v_ashrrev_i32_e32 v155, 31, v154
	v_lshlrev_b64 v[160:161], 2, v[154:155]
	v_add_co_u32 v160, vcc_lo, v152, v160
	v_add_co_ci_u32_e64 v161, null, v153, v161, vcc_lo
	s_clause 0x1
	global_load_dword v0, v[160:161], off
	global_load_dword v155, v[152:153], off offset:60
	s_waitcnt vmcnt(1)
	global_store_dword v[152:153], v0, off offset:60
	s_waitcnt vmcnt(0)
	global_store_dword v[160:161], v155, off
.LBB70_329:
	s_or_b32 exec_lo, exec_lo, s2
	v_mov_b32_e32 v160, v154
	v_mov_b32_e32 v0, v154
.LBB70_330:
	s_or_b32 exec_lo, exec_lo, s1
.LBB70_331:
	s_andn2_saveexec_b32 s0, s0
	s_cbranch_execz .LBB70_333
; %bb.332:
	v_mov_b32_e32 v160, 15
	ds_write2_b64 v1, v[78:79], v[80:81] offset0:32 offset1:33
	ds_write2_b64 v1, v[74:75], v[76:77] offset0:34 offset1:35
	;; [unrolled: 1-line block ×20, first 2 shown]
.LBB70_333:
	s_or_b32 exec_lo, exec_lo, s0
	s_mov_b32 s0, exec_lo
	s_waitcnt lgkmcnt(0)
	s_waitcnt_vscnt null, 0x0
	s_barrier
	buffer_gl0_inv
	v_cmpx_lt_i32_e32 15, v160
	s_cbranch_execz .LBB70_335
; %bb.334:
	v_mul_f64 v[154:155], v[148:149], v[84:85]
	v_mul_f64 v[84:85], v[146:147], v[84:85]
	v_fma_f64 v[154:155], v[146:147], v[82:83], -v[154:155]
	v_fma_f64 v[84:85], v[148:149], v[82:83], v[84:85]
	ds_read2_b64 v[146:149], v1 offset0:32 offset1:33
	s_waitcnt lgkmcnt(0)
	v_mul_f64 v[82:83], v[148:149], v[84:85]
	v_fma_f64 v[82:83], v[146:147], v[154:155], -v[82:83]
	v_mul_f64 v[146:147], v[146:147], v[84:85]
	v_add_f64 v[78:79], v[78:79], -v[82:83]
	v_fma_f64 v[146:147], v[148:149], v[154:155], v[146:147]
	v_add_f64 v[80:81], v[80:81], -v[146:147]
	ds_read2_b64 v[146:149], v1 offset0:34 offset1:35
	s_waitcnt lgkmcnt(0)
	v_mul_f64 v[82:83], v[148:149], v[84:85]
	v_fma_f64 v[82:83], v[146:147], v[154:155], -v[82:83]
	v_mul_f64 v[146:147], v[146:147], v[84:85]
	v_add_f64 v[74:75], v[74:75], -v[82:83]
	v_fma_f64 v[146:147], v[148:149], v[154:155], v[146:147]
	v_add_f64 v[76:77], v[76:77], -v[146:147]
	;; [unrolled: 8-line block ×19, first 2 shown]
	ds_read2_b64 v[146:149], v1 offset0:70 offset1:71
	s_waitcnt lgkmcnt(0)
	v_mul_f64 v[82:83], v[148:149], v[84:85]
	v_fma_f64 v[82:83], v[146:147], v[154:155], -v[82:83]
	v_mul_f64 v[146:147], v[146:147], v[84:85]
	v_add_f64 v[2:3], v[2:3], -v[82:83]
	v_fma_f64 v[146:147], v[148:149], v[154:155], v[146:147]
	v_mov_b32_e32 v82, v154
	v_mov_b32_e32 v83, v155
	v_add_f64 v[4:5], v[4:5], -v[146:147]
.LBB70_335:
	s_or_b32 exec_lo, exec_lo, s0
	v_lshl_add_u32 v146, v160, 4, v1
	s_barrier
	buffer_gl0_inv
	v_mov_b32_e32 v154, 16
	ds_write2_b64 v146, v[78:79], v[80:81] offset1:1
	s_waitcnt lgkmcnt(0)
	s_barrier
	buffer_gl0_inv
	ds_read2_b64 v[146:149], v1 offset0:32 offset1:33
	s_cmp_lt_i32 s18, 18
	s_cbranch_scc1 .LBB70_338
; %bb.336:
	v_add3_u32 v155, v156, 0, 0x110
	v_mov_b32_e32 v154, 16
	s_mov_b32 s1, 17
	s_inst_prefetch 0x1
	.p2align	6
.LBB70_337:                             ; =>This Inner Loop Header: Depth=1
	s_waitcnt lgkmcnt(0)
	v_cmp_gt_f64_e32 vcc_lo, 0, v[148:149]
	v_cmp_gt_f64_e64 s0, 0, v[146:147]
	ds_read2_b64 v[161:164], v155 offset1:1
	v_xor_b32_e32 v166, 0x80000000, v147
	v_xor_b32_e32 v168, 0x80000000, v149
	v_mov_b32_e32 v165, v146
	v_mov_b32_e32 v167, v148
	v_add_nc_u32_e32 v155, 16, v155
	s_waitcnt lgkmcnt(0)
	v_xor_b32_e32 v170, 0x80000000, v164
	v_cndmask_b32_e64 v166, v147, v166, s0
	v_cndmask_b32_e32 v168, v149, v168, vcc_lo
	v_cmp_gt_f64_e32 vcc_lo, 0, v[163:164]
	v_cmp_gt_f64_e64 s0, 0, v[161:162]
	v_mov_b32_e32 v169, v163
	v_add_f64 v[165:166], v[165:166], v[167:168]
	v_xor_b32_e32 v168, 0x80000000, v162
	v_mov_b32_e32 v167, v161
	v_cndmask_b32_e32 v170, v164, v170, vcc_lo
	v_cndmask_b32_e64 v168, v162, v168, s0
	v_add_f64 v[167:168], v[167:168], v[169:170]
	v_cmp_lt_f64_e32 vcc_lo, v[165:166], v[167:168]
	v_cndmask_b32_e32 v147, v147, v162, vcc_lo
	v_cndmask_b32_e32 v146, v146, v161, vcc_lo
	;; [unrolled: 1-line block ×4, first 2 shown]
	v_cndmask_b32_e64 v154, v154, s1, vcc_lo
	s_add_i32 s1, s1, 1
	s_cmp_lg_u32 s18, s1
	s_cbranch_scc1 .LBB70_337
.LBB70_338:
	s_inst_prefetch 0x2
	s_waitcnt lgkmcnt(0)
	v_cmp_eq_f64_e32 vcc_lo, 0, v[146:147]
	v_cmp_eq_f64_e64 s0, 0, v[148:149]
	s_and_b32 s0, vcc_lo, s0
	s_and_saveexec_b32 s1, s0
	s_xor_b32 s0, exec_lo, s1
; %bb.339:
	v_cmp_ne_u32_e32 vcc_lo, 0, v159
	v_cndmask_b32_e32 v159, 17, v159, vcc_lo
; %bb.340:
	s_andn2_saveexec_b32 s0, s0
	s_cbranch_execz .LBB70_346
; %bb.341:
	v_cmp_ngt_f64_e64 s1, |v[146:147]|, |v[148:149]|
	s_and_saveexec_b32 s2, s1
	s_xor_b32 s1, exec_lo, s2
	s_cbranch_execz .LBB70_343
; %bb.342:
	v_div_scale_f64 v[161:162], null, v[148:149], v[148:149], v[146:147]
	v_div_scale_f64 v[167:168], vcc_lo, v[146:147], v[148:149], v[146:147]
	v_rcp_f64_e32 v[163:164], v[161:162]
	v_fma_f64 v[165:166], -v[161:162], v[163:164], 1.0
	v_fma_f64 v[163:164], v[163:164], v[165:166], v[163:164]
	v_fma_f64 v[165:166], -v[161:162], v[163:164], 1.0
	v_fma_f64 v[163:164], v[163:164], v[165:166], v[163:164]
	v_mul_f64 v[165:166], v[167:168], v[163:164]
	v_fma_f64 v[161:162], -v[161:162], v[165:166], v[167:168]
	v_div_fmas_f64 v[161:162], v[161:162], v[163:164], v[165:166]
	v_div_fixup_f64 v[161:162], v[161:162], v[148:149], v[146:147]
	v_fma_f64 v[146:147], v[146:147], v[161:162], v[148:149]
	v_div_scale_f64 v[148:149], null, v[146:147], v[146:147], 1.0
	v_rcp_f64_e32 v[163:164], v[148:149]
	v_fma_f64 v[165:166], -v[148:149], v[163:164], 1.0
	v_fma_f64 v[163:164], v[163:164], v[165:166], v[163:164]
	v_fma_f64 v[165:166], -v[148:149], v[163:164], 1.0
	v_fma_f64 v[163:164], v[163:164], v[165:166], v[163:164]
	v_div_scale_f64 v[165:166], vcc_lo, 1.0, v[146:147], 1.0
	v_mul_f64 v[167:168], v[165:166], v[163:164]
	v_fma_f64 v[148:149], -v[148:149], v[167:168], v[165:166]
	v_div_fmas_f64 v[148:149], v[148:149], v[163:164], v[167:168]
	v_div_fixup_f64 v[148:149], v[148:149], v[146:147], 1.0
	v_mul_f64 v[146:147], v[161:162], v[148:149]
	v_xor_b32_e32 v149, 0x80000000, v149
.LBB70_343:
	s_andn2_saveexec_b32 s1, s1
	s_cbranch_execz .LBB70_345
; %bb.344:
	v_div_scale_f64 v[161:162], null, v[146:147], v[146:147], v[148:149]
	v_div_scale_f64 v[167:168], vcc_lo, v[148:149], v[146:147], v[148:149]
	v_rcp_f64_e32 v[163:164], v[161:162]
	v_fma_f64 v[165:166], -v[161:162], v[163:164], 1.0
	v_fma_f64 v[163:164], v[163:164], v[165:166], v[163:164]
	v_fma_f64 v[165:166], -v[161:162], v[163:164], 1.0
	v_fma_f64 v[163:164], v[163:164], v[165:166], v[163:164]
	v_mul_f64 v[165:166], v[167:168], v[163:164]
	v_fma_f64 v[161:162], -v[161:162], v[165:166], v[167:168]
	v_div_fmas_f64 v[161:162], v[161:162], v[163:164], v[165:166]
	v_div_fixup_f64 v[161:162], v[161:162], v[146:147], v[148:149]
	v_fma_f64 v[146:147], v[148:149], v[161:162], v[146:147]
	v_div_scale_f64 v[148:149], null, v[146:147], v[146:147], 1.0
	v_rcp_f64_e32 v[163:164], v[148:149]
	v_fma_f64 v[165:166], -v[148:149], v[163:164], 1.0
	v_fma_f64 v[163:164], v[163:164], v[165:166], v[163:164]
	v_fma_f64 v[165:166], -v[148:149], v[163:164], 1.0
	v_fma_f64 v[163:164], v[163:164], v[165:166], v[163:164]
	v_div_scale_f64 v[165:166], vcc_lo, 1.0, v[146:147], 1.0
	v_mul_f64 v[167:168], v[165:166], v[163:164]
	v_fma_f64 v[148:149], -v[148:149], v[167:168], v[165:166]
	v_div_fmas_f64 v[148:149], v[148:149], v[163:164], v[167:168]
	v_div_fixup_f64 v[146:147], v[148:149], v[146:147], 1.0
	v_mul_f64 v[148:149], v[161:162], -v[146:147]
.LBB70_345:
	s_or_b32 exec_lo, exec_lo, s1
.LBB70_346:
	s_or_b32 exec_lo, exec_lo, s0
	s_mov_b32 s0, exec_lo
	v_cmpx_ne_u32_e64 v160, v154
	s_xor_b32 s0, exec_lo, s0
	s_cbranch_execz .LBB70_352
; %bb.347:
	s_mov_b32 s1, exec_lo
	v_cmpx_eq_u32_e32 16, v160
	s_cbranch_execz .LBB70_351
; %bb.348:
	v_cmp_ne_u32_e32 vcc_lo, 16, v154
	s_xor_b32 s2, s16, -1
	s_and_b32 s3, s2, vcc_lo
	s_and_saveexec_b32 s2, s3
	s_cbranch_execz .LBB70_350
; %bb.349:
	v_ashrrev_i32_e32 v155, 31, v154
	v_lshlrev_b64 v[160:161], 2, v[154:155]
	v_add_co_u32 v160, vcc_lo, v152, v160
	v_add_co_ci_u32_e64 v161, null, v153, v161, vcc_lo
	s_clause 0x1
	global_load_dword v0, v[160:161], off
	global_load_dword v155, v[152:153], off offset:64
	s_waitcnt vmcnt(1)
	global_store_dword v[152:153], v0, off offset:64
	s_waitcnt vmcnt(0)
	global_store_dword v[160:161], v155, off
.LBB70_350:
	s_or_b32 exec_lo, exec_lo, s2
	v_mov_b32_e32 v160, v154
	v_mov_b32_e32 v0, v154
.LBB70_351:
	s_or_b32 exec_lo, exec_lo, s1
.LBB70_352:
	s_andn2_saveexec_b32 s0, s0
	s_cbranch_execz .LBB70_354
; %bb.353:
	v_mov_b32_e32 v160, 16
	ds_write2_b64 v1, v[74:75], v[76:77] offset0:34 offset1:35
	ds_write2_b64 v1, v[70:71], v[72:73] offset0:36 offset1:37
	;; [unrolled: 1-line block ×19, first 2 shown]
.LBB70_354:
	s_or_b32 exec_lo, exec_lo, s0
	s_mov_b32 s0, exec_lo
	s_waitcnt lgkmcnt(0)
	s_waitcnt_vscnt null, 0x0
	s_barrier
	buffer_gl0_inv
	v_cmpx_lt_i32_e32 16, v160
	s_cbranch_execz .LBB70_356
; %bb.355:
	v_mul_f64 v[154:155], v[148:149], v[80:81]
	v_mul_f64 v[80:81], v[146:147], v[80:81]
	v_fma_f64 v[154:155], v[146:147], v[78:79], -v[154:155]
	v_fma_f64 v[80:81], v[148:149], v[78:79], v[80:81]
	ds_read2_b64 v[146:149], v1 offset0:34 offset1:35
	s_waitcnt lgkmcnt(0)
	v_mul_f64 v[78:79], v[148:149], v[80:81]
	v_fma_f64 v[78:79], v[146:147], v[154:155], -v[78:79]
	v_mul_f64 v[146:147], v[146:147], v[80:81]
	v_add_f64 v[74:75], v[74:75], -v[78:79]
	v_fma_f64 v[146:147], v[148:149], v[154:155], v[146:147]
	v_add_f64 v[76:77], v[76:77], -v[146:147]
	ds_read2_b64 v[146:149], v1 offset0:36 offset1:37
	s_waitcnt lgkmcnt(0)
	v_mul_f64 v[78:79], v[148:149], v[80:81]
	v_fma_f64 v[78:79], v[146:147], v[154:155], -v[78:79]
	v_mul_f64 v[146:147], v[146:147], v[80:81]
	v_add_f64 v[70:71], v[70:71], -v[78:79]
	v_fma_f64 v[146:147], v[148:149], v[154:155], v[146:147]
	v_add_f64 v[72:73], v[72:73], -v[146:147]
	;; [unrolled: 8-line block ×18, first 2 shown]
	ds_read2_b64 v[146:149], v1 offset0:70 offset1:71
	s_waitcnt lgkmcnt(0)
	v_mul_f64 v[78:79], v[148:149], v[80:81]
	v_fma_f64 v[78:79], v[146:147], v[154:155], -v[78:79]
	v_mul_f64 v[146:147], v[146:147], v[80:81]
	v_add_f64 v[2:3], v[2:3], -v[78:79]
	v_fma_f64 v[146:147], v[148:149], v[154:155], v[146:147]
	v_mov_b32_e32 v78, v154
	v_mov_b32_e32 v79, v155
	v_add_f64 v[4:5], v[4:5], -v[146:147]
.LBB70_356:
	s_or_b32 exec_lo, exec_lo, s0
	v_lshl_add_u32 v146, v160, 4, v1
	s_barrier
	buffer_gl0_inv
	v_mov_b32_e32 v154, 17
	ds_write2_b64 v146, v[74:75], v[76:77] offset1:1
	s_waitcnt lgkmcnt(0)
	s_barrier
	buffer_gl0_inv
	ds_read2_b64 v[146:149], v1 offset0:34 offset1:35
	s_cmp_lt_i32 s18, 19
	s_cbranch_scc1 .LBB70_359
; %bb.357:
	v_add3_u32 v155, v156, 0, 0x120
	v_mov_b32_e32 v154, 17
	s_mov_b32 s1, 18
	s_inst_prefetch 0x1
	.p2align	6
.LBB70_358:                             ; =>This Inner Loop Header: Depth=1
	s_waitcnt lgkmcnt(0)
	v_cmp_gt_f64_e32 vcc_lo, 0, v[148:149]
	v_cmp_gt_f64_e64 s0, 0, v[146:147]
	ds_read2_b64 v[161:164], v155 offset1:1
	v_xor_b32_e32 v166, 0x80000000, v147
	v_xor_b32_e32 v168, 0x80000000, v149
	v_mov_b32_e32 v165, v146
	v_mov_b32_e32 v167, v148
	v_add_nc_u32_e32 v155, 16, v155
	s_waitcnt lgkmcnt(0)
	v_xor_b32_e32 v170, 0x80000000, v164
	v_cndmask_b32_e64 v166, v147, v166, s0
	v_cndmask_b32_e32 v168, v149, v168, vcc_lo
	v_cmp_gt_f64_e32 vcc_lo, 0, v[163:164]
	v_cmp_gt_f64_e64 s0, 0, v[161:162]
	v_mov_b32_e32 v169, v163
	v_add_f64 v[165:166], v[165:166], v[167:168]
	v_xor_b32_e32 v168, 0x80000000, v162
	v_mov_b32_e32 v167, v161
	v_cndmask_b32_e32 v170, v164, v170, vcc_lo
	v_cndmask_b32_e64 v168, v162, v168, s0
	v_add_f64 v[167:168], v[167:168], v[169:170]
	v_cmp_lt_f64_e32 vcc_lo, v[165:166], v[167:168]
	v_cndmask_b32_e32 v147, v147, v162, vcc_lo
	v_cndmask_b32_e32 v146, v146, v161, vcc_lo
	;; [unrolled: 1-line block ×4, first 2 shown]
	v_cndmask_b32_e64 v154, v154, s1, vcc_lo
	s_add_i32 s1, s1, 1
	s_cmp_lg_u32 s18, s1
	s_cbranch_scc1 .LBB70_358
.LBB70_359:
	s_inst_prefetch 0x2
	s_waitcnt lgkmcnt(0)
	v_cmp_eq_f64_e32 vcc_lo, 0, v[146:147]
	v_cmp_eq_f64_e64 s0, 0, v[148:149]
	s_and_b32 s0, vcc_lo, s0
	s_and_saveexec_b32 s1, s0
	s_xor_b32 s0, exec_lo, s1
; %bb.360:
	v_cmp_ne_u32_e32 vcc_lo, 0, v159
	v_cndmask_b32_e32 v159, 18, v159, vcc_lo
; %bb.361:
	s_andn2_saveexec_b32 s0, s0
	s_cbranch_execz .LBB70_367
; %bb.362:
	v_cmp_ngt_f64_e64 s1, |v[146:147]|, |v[148:149]|
	s_and_saveexec_b32 s2, s1
	s_xor_b32 s1, exec_lo, s2
	s_cbranch_execz .LBB70_364
; %bb.363:
	v_div_scale_f64 v[161:162], null, v[148:149], v[148:149], v[146:147]
	v_div_scale_f64 v[167:168], vcc_lo, v[146:147], v[148:149], v[146:147]
	v_rcp_f64_e32 v[163:164], v[161:162]
	v_fma_f64 v[165:166], -v[161:162], v[163:164], 1.0
	v_fma_f64 v[163:164], v[163:164], v[165:166], v[163:164]
	v_fma_f64 v[165:166], -v[161:162], v[163:164], 1.0
	v_fma_f64 v[163:164], v[163:164], v[165:166], v[163:164]
	v_mul_f64 v[165:166], v[167:168], v[163:164]
	v_fma_f64 v[161:162], -v[161:162], v[165:166], v[167:168]
	v_div_fmas_f64 v[161:162], v[161:162], v[163:164], v[165:166]
	v_div_fixup_f64 v[161:162], v[161:162], v[148:149], v[146:147]
	v_fma_f64 v[146:147], v[146:147], v[161:162], v[148:149]
	v_div_scale_f64 v[148:149], null, v[146:147], v[146:147], 1.0
	v_rcp_f64_e32 v[163:164], v[148:149]
	v_fma_f64 v[165:166], -v[148:149], v[163:164], 1.0
	v_fma_f64 v[163:164], v[163:164], v[165:166], v[163:164]
	v_fma_f64 v[165:166], -v[148:149], v[163:164], 1.0
	v_fma_f64 v[163:164], v[163:164], v[165:166], v[163:164]
	v_div_scale_f64 v[165:166], vcc_lo, 1.0, v[146:147], 1.0
	v_mul_f64 v[167:168], v[165:166], v[163:164]
	v_fma_f64 v[148:149], -v[148:149], v[167:168], v[165:166]
	v_div_fmas_f64 v[148:149], v[148:149], v[163:164], v[167:168]
	v_div_fixup_f64 v[148:149], v[148:149], v[146:147], 1.0
	v_mul_f64 v[146:147], v[161:162], v[148:149]
	v_xor_b32_e32 v149, 0x80000000, v149
.LBB70_364:
	s_andn2_saveexec_b32 s1, s1
	s_cbranch_execz .LBB70_366
; %bb.365:
	v_div_scale_f64 v[161:162], null, v[146:147], v[146:147], v[148:149]
	v_div_scale_f64 v[167:168], vcc_lo, v[148:149], v[146:147], v[148:149]
	v_rcp_f64_e32 v[163:164], v[161:162]
	v_fma_f64 v[165:166], -v[161:162], v[163:164], 1.0
	v_fma_f64 v[163:164], v[163:164], v[165:166], v[163:164]
	v_fma_f64 v[165:166], -v[161:162], v[163:164], 1.0
	v_fma_f64 v[163:164], v[163:164], v[165:166], v[163:164]
	v_mul_f64 v[165:166], v[167:168], v[163:164]
	v_fma_f64 v[161:162], -v[161:162], v[165:166], v[167:168]
	v_div_fmas_f64 v[161:162], v[161:162], v[163:164], v[165:166]
	v_div_fixup_f64 v[161:162], v[161:162], v[146:147], v[148:149]
	v_fma_f64 v[146:147], v[148:149], v[161:162], v[146:147]
	v_div_scale_f64 v[148:149], null, v[146:147], v[146:147], 1.0
	v_rcp_f64_e32 v[163:164], v[148:149]
	v_fma_f64 v[165:166], -v[148:149], v[163:164], 1.0
	v_fma_f64 v[163:164], v[163:164], v[165:166], v[163:164]
	v_fma_f64 v[165:166], -v[148:149], v[163:164], 1.0
	v_fma_f64 v[163:164], v[163:164], v[165:166], v[163:164]
	v_div_scale_f64 v[165:166], vcc_lo, 1.0, v[146:147], 1.0
	v_mul_f64 v[167:168], v[165:166], v[163:164]
	v_fma_f64 v[148:149], -v[148:149], v[167:168], v[165:166]
	v_div_fmas_f64 v[148:149], v[148:149], v[163:164], v[167:168]
	v_div_fixup_f64 v[146:147], v[148:149], v[146:147], 1.0
	v_mul_f64 v[148:149], v[161:162], -v[146:147]
.LBB70_366:
	s_or_b32 exec_lo, exec_lo, s1
.LBB70_367:
	s_or_b32 exec_lo, exec_lo, s0
	s_mov_b32 s0, exec_lo
	v_cmpx_ne_u32_e64 v160, v154
	s_xor_b32 s0, exec_lo, s0
	s_cbranch_execz .LBB70_373
; %bb.368:
	s_mov_b32 s1, exec_lo
	v_cmpx_eq_u32_e32 17, v160
	s_cbranch_execz .LBB70_372
; %bb.369:
	v_cmp_ne_u32_e32 vcc_lo, 17, v154
	s_xor_b32 s2, s16, -1
	s_and_b32 s3, s2, vcc_lo
	s_and_saveexec_b32 s2, s3
	s_cbranch_execz .LBB70_371
; %bb.370:
	v_ashrrev_i32_e32 v155, 31, v154
	v_lshlrev_b64 v[160:161], 2, v[154:155]
	v_add_co_u32 v160, vcc_lo, v152, v160
	v_add_co_ci_u32_e64 v161, null, v153, v161, vcc_lo
	s_clause 0x1
	global_load_dword v0, v[160:161], off
	global_load_dword v155, v[152:153], off offset:68
	s_waitcnt vmcnt(1)
	global_store_dword v[152:153], v0, off offset:68
	s_waitcnt vmcnt(0)
	global_store_dword v[160:161], v155, off
.LBB70_371:
	s_or_b32 exec_lo, exec_lo, s2
	v_mov_b32_e32 v160, v154
	v_mov_b32_e32 v0, v154
.LBB70_372:
	s_or_b32 exec_lo, exec_lo, s1
.LBB70_373:
	s_andn2_saveexec_b32 s0, s0
	s_cbranch_execz .LBB70_375
; %bb.374:
	v_mov_b32_e32 v160, 17
	ds_write2_b64 v1, v[70:71], v[72:73] offset0:36 offset1:37
	ds_write2_b64 v1, v[66:67], v[68:69] offset0:38 offset1:39
	;; [unrolled: 1-line block ×18, first 2 shown]
.LBB70_375:
	s_or_b32 exec_lo, exec_lo, s0
	s_mov_b32 s0, exec_lo
	s_waitcnt lgkmcnt(0)
	s_waitcnt_vscnt null, 0x0
	s_barrier
	buffer_gl0_inv
	v_cmpx_lt_i32_e32 17, v160
	s_cbranch_execz .LBB70_377
; %bb.376:
	v_mul_f64 v[154:155], v[148:149], v[76:77]
	v_mul_f64 v[76:77], v[146:147], v[76:77]
	v_fma_f64 v[154:155], v[146:147], v[74:75], -v[154:155]
	v_fma_f64 v[76:77], v[148:149], v[74:75], v[76:77]
	ds_read2_b64 v[146:149], v1 offset0:36 offset1:37
	s_waitcnt lgkmcnt(0)
	v_mul_f64 v[74:75], v[148:149], v[76:77]
	v_fma_f64 v[74:75], v[146:147], v[154:155], -v[74:75]
	v_mul_f64 v[146:147], v[146:147], v[76:77]
	v_add_f64 v[70:71], v[70:71], -v[74:75]
	v_fma_f64 v[146:147], v[148:149], v[154:155], v[146:147]
	v_add_f64 v[72:73], v[72:73], -v[146:147]
	ds_read2_b64 v[146:149], v1 offset0:38 offset1:39
	s_waitcnt lgkmcnt(0)
	v_mul_f64 v[74:75], v[148:149], v[76:77]
	v_fma_f64 v[74:75], v[146:147], v[154:155], -v[74:75]
	v_mul_f64 v[146:147], v[146:147], v[76:77]
	v_add_f64 v[66:67], v[66:67], -v[74:75]
	v_fma_f64 v[146:147], v[148:149], v[154:155], v[146:147]
	v_add_f64 v[68:69], v[68:69], -v[146:147]
	;; [unrolled: 8-line block ×17, first 2 shown]
	ds_read2_b64 v[146:149], v1 offset0:70 offset1:71
	s_waitcnt lgkmcnt(0)
	v_mul_f64 v[74:75], v[148:149], v[76:77]
	v_fma_f64 v[74:75], v[146:147], v[154:155], -v[74:75]
	v_mul_f64 v[146:147], v[146:147], v[76:77]
	v_add_f64 v[2:3], v[2:3], -v[74:75]
	v_fma_f64 v[146:147], v[148:149], v[154:155], v[146:147]
	v_mov_b32_e32 v74, v154
	v_mov_b32_e32 v75, v155
	v_add_f64 v[4:5], v[4:5], -v[146:147]
.LBB70_377:
	s_or_b32 exec_lo, exec_lo, s0
	v_lshl_add_u32 v146, v160, 4, v1
	s_barrier
	buffer_gl0_inv
	v_mov_b32_e32 v154, 18
	ds_write2_b64 v146, v[70:71], v[72:73] offset1:1
	s_waitcnt lgkmcnt(0)
	s_barrier
	buffer_gl0_inv
	ds_read2_b64 v[146:149], v1 offset0:36 offset1:37
	s_cmp_lt_i32 s18, 20
	s_cbranch_scc1 .LBB70_380
; %bb.378:
	v_add3_u32 v155, v156, 0, 0x130
	v_mov_b32_e32 v154, 18
	s_mov_b32 s1, 19
	s_inst_prefetch 0x1
	.p2align	6
.LBB70_379:                             ; =>This Inner Loop Header: Depth=1
	s_waitcnt lgkmcnt(0)
	v_cmp_gt_f64_e32 vcc_lo, 0, v[148:149]
	v_cmp_gt_f64_e64 s0, 0, v[146:147]
	ds_read2_b64 v[161:164], v155 offset1:1
	v_xor_b32_e32 v166, 0x80000000, v147
	v_xor_b32_e32 v168, 0x80000000, v149
	v_mov_b32_e32 v165, v146
	v_mov_b32_e32 v167, v148
	v_add_nc_u32_e32 v155, 16, v155
	s_waitcnt lgkmcnt(0)
	v_xor_b32_e32 v170, 0x80000000, v164
	v_cndmask_b32_e64 v166, v147, v166, s0
	v_cndmask_b32_e32 v168, v149, v168, vcc_lo
	v_cmp_gt_f64_e32 vcc_lo, 0, v[163:164]
	v_cmp_gt_f64_e64 s0, 0, v[161:162]
	v_mov_b32_e32 v169, v163
	v_add_f64 v[165:166], v[165:166], v[167:168]
	v_xor_b32_e32 v168, 0x80000000, v162
	v_mov_b32_e32 v167, v161
	v_cndmask_b32_e32 v170, v164, v170, vcc_lo
	v_cndmask_b32_e64 v168, v162, v168, s0
	v_add_f64 v[167:168], v[167:168], v[169:170]
	v_cmp_lt_f64_e32 vcc_lo, v[165:166], v[167:168]
	v_cndmask_b32_e32 v147, v147, v162, vcc_lo
	v_cndmask_b32_e32 v146, v146, v161, vcc_lo
	v_cndmask_b32_e32 v149, v149, v164, vcc_lo
	v_cndmask_b32_e32 v148, v148, v163, vcc_lo
	v_cndmask_b32_e64 v154, v154, s1, vcc_lo
	s_add_i32 s1, s1, 1
	s_cmp_lg_u32 s18, s1
	s_cbranch_scc1 .LBB70_379
.LBB70_380:
	s_inst_prefetch 0x2
	s_waitcnt lgkmcnt(0)
	v_cmp_eq_f64_e32 vcc_lo, 0, v[146:147]
	v_cmp_eq_f64_e64 s0, 0, v[148:149]
	s_and_b32 s0, vcc_lo, s0
	s_and_saveexec_b32 s1, s0
	s_xor_b32 s0, exec_lo, s1
; %bb.381:
	v_cmp_ne_u32_e32 vcc_lo, 0, v159
	v_cndmask_b32_e32 v159, 19, v159, vcc_lo
; %bb.382:
	s_andn2_saveexec_b32 s0, s0
	s_cbranch_execz .LBB70_388
; %bb.383:
	v_cmp_ngt_f64_e64 s1, |v[146:147]|, |v[148:149]|
	s_and_saveexec_b32 s2, s1
	s_xor_b32 s1, exec_lo, s2
	s_cbranch_execz .LBB70_385
; %bb.384:
	v_div_scale_f64 v[161:162], null, v[148:149], v[148:149], v[146:147]
	v_div_scale_f64 v[167:168], vcc_lo, v[146:147], v[148:149], v[146:147]
	v_rcp_f64_e32 v[163:164], v[161:162]
	v_fma_f64 v[165:166], -v[161:162], v[163:164], 1.0
	v_fma_f64 v[163:164], v[163:164], v[165:166], v[163:164]
	v_fma_f64 v[165:166], -v[161:162], v[163:164], 1.0
	v_fma_f64 v[163:164], v[163:164], v[165:166], v[163:164]
	v_mul_f64 v[165:166], v[167:168], v[163:164]
	v_fma_f64 v[161:162], -v[161:162], v[165:166], v[167:168]
	v_div_fmas_f64 v[161:162], v[161:162], v[163:164], v[165:166]
	v_div_fixup_f64 v[161:162], v[161:162], v[148:149], v[146:147]
	v_fma_f64 v[146:147], v[146:147], v[161:162], v[148:149]
	v_div_scale_f64 v[148:149], null, v[146:147], v[146:147], 1.0
	v_rcp_f64_e32 v[163:164], v[148:149]
	v_fma_f64 v[165:166], -v[148:149], v[163:164], 1.0
	v_fma_f64 v[163:164], v[163:164], v[165:166], v[163:164]
	v_fma_f64 v[165:166], -v[148:149], v[163:164], 1.0
	v_fma_f64 v[163:164], v[163:164], v[165:166], v[163:164]
	v_div_scale_f64 v[165:166], vcc_lo, 1.0, v[146:147], 1.0
	v_mul_f64 v[167:168], v[165:166], v[163:164]
	v_fma_f64 v[148:149], -v[148:149], v[167:168], v[165:166]
	v_div_fmas_f64 v[148:149], v[148:149], v[163:164], v[167:168]
	v_div_fixup_f64 v[148:149], v[148:149], v[146:147], 1.0
	v_mul_f64 v[146:147], v[161:162], v[148:149]
	v_xor_b32_e32 v149, 0x80000000, v149
.LBB70_385:
	s_andn2_saveexec_b32 s1, s1
	s_cbranch_execz .LBB70_387
; %bb.386:
	v_div_scale_f64 v[161:162], null, v[146:147], v[146:147], v[148:149]
	v_div_scale_f64 v[167:168], vcc_lo, v[148:149], v[146:147], v[148:149]
	v_rcp_f64_e32 v[163:164], v[161:162]
	v_fma_f64 v[165:166], -v[161:162], v[163:164], 1.0
	v_fma_f64 v[163:164], v[163:164], v[165:166], v[163:164]
	v_fma_f64 v[165:166], -v[161:162], v[163:164], 1.0
	v_fma_f64 v[163:164], v[163:164], v[165:166], v[163:164]
	v_mul_f64 v[165:166], v[167:168], v[163:164]
	v_fma_f64 v[161:162], -v[161:162], v[165:166], v[167:168]
	v_div_fmas_f64 v[161:162], v[161:162], v[163:164], v[165:166]
	v_div_fixup_f64 v[161:162], v[161:162], v[146:147], v[148:149]
	v_fma_f64 v[146:147], v[148:149], v[161:162], v[146:147]
	v_div_scale_f64 v[148:149], null, v[146:147], v[146:147], 1.0
	v_rcp_f64_e32 v[163:164], v[148:149]
	v_fma_f64 v[165:166], -v[148:149], v[163:164], 1.0
	v_fma_f64 v[163:164], v[163:164], v[165:166], v[163:164]
	v_fma_f64 v[165:166], -v[148:149], v[163:164], 1.0
	v_fma_f64 v[163:164], v[163:164], v[165:166], v[163:164]
	v_div_scale_f64 v[165:166], vcc_lo, 1.0, v[146:147], 1.0
	v_mul_f64 v[167:168], v[165:166], v[163:164]
	v_fma_f64 v[148:149], -v[148:149], v[167:168], v[165:166]
	v_div_fmas_f64 v[148:149], v[148:149], v[163:164], v[167:168]
	v_div_fixup_f64 v[146:147], v[148:149], v[146:147], 1.0
	v_mul_f64 v[148:149], v[161:162], -v[146:147]
.LBB70_387:
	s_or_b32 exec_lo, exec_lo, s1
.LBB70_388:
	s_or_b32 exec_lo, exec_lo, s0
	s_mov_b32 s0, exec_lo
	v_cmpx_ne_u32_e64 v160, v154
	s_xor_b32 s0, exec_lo, s0
	s_cbranch_execz .LBB70_394
; %bb.389:
	s_mov_b32 s1, exec_lo
	v_cmpx_eq_u32_e32 18, v160
	s_cbranch_execz .LBB70_393
; %bb.390:
	v_cmp_ne_u32_e32 vcc_lo, 18, v154
	s_xor_b32 s2, s16, -1
	s_and_b32 s3, s2, vcc_lo
	s_and_saveexec_b32 s2, s3
	s_cbranch_execz .LBB70_392
; %bb.391:
	v_ashrrev_i32_e32 v155, 31, v154
	v_lshlrev_b64 v[160:161], 2, v[154:155]
	v_add_co_u32 v160, vcc_lo, v152, v160
	v_add_co_ci_u32_e64 v161, null, v153, v161, vcc_lo
	s_clause 0x1
	global_load_dword v0, v[160:161], off
	global_load_dword v155, v[152:153], off offset:72
	s_waitcnt vmcnt(1)
	global_store_dword v[152:153], v0, off offset:72
	s_waitcnt vmcnt(0)
	global_store_dword v[160:161], v155, off
.LBB70_392:
	s_or_b32 exec_lo, exec_lo, s2
	v_mov_b32_e32 v160, v154
	v_mov_b32_e32 v0, v154
.LBB70_393:
	s_or_b32 exec_lo, exec_lo, s1
.LBB70_394:
	s_andn2_saveexec_b32 s0, s0
	s_cbranch_execz .LBB70_396
; %bb.395:
	v_mov_b32_e32 v160, 18
	ds_write2_b64 v1, v[66:67], v[68:69] offset0:38 offset1:39
	ds_write2_b64 v1, v[62:63], v[64:65] offset0:40 offset1:41
	;; [unrolled: 1-line block ×17, first 2 shown]
.LBB70_396:
	s_or_b32 exec_lo, exec_lo, s0
	s_mov_b32 s0, exec_lo
	s_waitcnt lgkmcnt(0)
	s_waitcnt_vscnt null, 0x0
	s_barrier
	buffer_gl0_inv
	v_cmpx_lt_i32_e32 18, v160
	s_cbranch_execz .LBB70_398
; %bb.397:
	v_mul_f64 v[154:155], v[148:149], v[72:73]
	v_mul_f64 v[72:73], v[146:147], v[72:73]
	v_fma_f64 v[154:155], v[146:147], v[70:71], -v[154:155]
	v_fma_f64 v[72:73], v[148:149], v[70:71], v[72:73]
	ds_read2_b64 v[146:149], v1 offset0:38 offset1:39
	s_waitcnt lgkmcnt(0)
	v_mul_f64 v[70:71], v[148:149], v[72:73]
	v_fma_f64 v[70:71], v[146:147], v[154:155], -v[70:71]
	v_mul_f64 v[146:147], v[146:147], v[72:73]
	v_add_f64 v[66:67], v[66:67], -v[70:71]
	v_fma_f64 v[146:147], v[148:149], v[154:155], v[146:147]
	v_add_f64 v[68:69], v[68:69], -v[146:147]
	ds_read2_b64 v[146:149], v1 offset0:40 offset1:41
	s_waitcnt lgkmcnt(0)
	v_mul_f64 v[70:71], v[148:149], v[72:73]
	v_fma_f64 v[70:71], v[146:147], v[154:155], -v[70:71]
	v_mul_f64 v[146:147], v[146:147], v[72:73]
	v_add_f64 v[62:63], v[62:63], -v[70:71]
	v_fma_f64 v[146:147], v[148:149], v[154:155], v[146:147]
	v_add_f64 v[64:65], v[64:65], -v[146:147]
	;; [unrolled: 8-line block ×16, first 2 shown]
	ds_read2_b64 v[146:149], v1 offset0:70 offset1:71
	s_waitcnt lgkmcnt(0)
	v_mul_f64 v[70:71], v[148:149], v[72:73]
	v_fma_f64 v[70:71], v[146:147], v[154:155], -v[70:71]
	v_mul_f64 v[146:147], v[146:147], v[72:73]
	v_add_f64 v[2:3], v[2:3], -v[70:71]
	v_fma_f64 v[146:147], v[148:149], v[154:155], v[146:147]
	v_mov_b32_e32 v70, v154
	v_mov_b32_e32 v71, v155
	v_add_f64 v[4:5], v[4:5], -v[146:147]
.LBB70_398:
	s_or_b32 exec_lo, exec_lo, s0
	v_lshl_add_u32 v146, v160, 4, v1
	s_barrier
	buffer_gl0_inv
	v_mov_b32_e32 v154, 19
	ds_write2_b64 v146, v[66:67], v[68:69] offset1:1
	s_waitcnt lgkmcnt(0)
	s_barrier
	buffer_gl0_inv
	ds_read2_b64 v[146:149], v1 offset0:38 offset1:39
	s_cmp_lt_i32 s18, 21
	s_cbranch_scc1 .LBB70_401
; %bb.399:
	v_add3_u32 v155, v156, 0, 0x140
	v_mov_b32_e32 v154, 19
	s_mov_b32 s1, 20
	s_inst_prefetch 0x1
	.p2align	6
.LBB70_400:                             ; =>This Inner Loop Header: Depth=1
	s_waitcnt lgkmcnt(0)
	v_cmp_gt_f64_e32 vcc_lo, 0, v[148:149]
	v_cmp_gt_f64_e64 s0, 0, v[146:147]
	ds_read2_b64 v[161:164], v155 offset1:1
	v_xor_b32_e32 v166, 0x80000000, v147
	v_xor_b32_e32 v168, 0x80000000, v149
	v_mov_b32_e32 v165, v146
	v_mov_b32_e32 v167, v148
	v_add_nc_u32_e32 v155, 16, v155
	s_waitcnt lgkmcnt(0)
	v_xor_b32_e32 v170, 0x80000000, v164
	v_cndmask_b32_e64 v166, v147, v166, s0
	v_cndmask_b32_e32 v168, v149, v168, vcc_lo
	v_cmp_gt_f64_e32 vcc_lo, 0, v[163:164]
	v_cmp_gt_f64_e64 s0, 0, v[161:162]
	v_mov_b32_e32 v169, v163
	v_add_f64 v[165:166], v[165:166], v[167:168]
	v_xor_b32_e32 v168, 0x80000000, v162
	v_mov_b32_e32 v167, v161
	v_cndmask_b32_e32 v170, v164, v170, vcc_lo
	v_cndmask_b32_e64 v168, v162, v168, s0
	v_add_f64 v[167:168], v[167:168], v[169:170]
	v_cmp_lt_f64_e32 vcc_lo, v[165:166], v[167:168]
	v_cndmask_b32_e32 v147, v147, v162, vcc_lo
	v_cndmask_b32_e32 v146, v146, v161, vcc_lo
	;; [unrolled: 1-line block ×4, first 2 shown]
	v_cndmask_b32_e64 v154, v154, s1, vcc_lo
	s_add_i32 s1, s1, 1
	s_cmp_lg_u32 s18, s1
	s_cbranch_scc1 .LBB70_400
.LBB70_401:
	s_inst_prefetch 0x2
	s_waitcnt lgkmcnt(0)
	v_cmp_eq_f64_e32 vcc_lo, 0, v[146:147]
	v_cmp_eq_f64_e64 s0, 0, v[148:149]
	s_and_b32 s0, vcc_lo, s0
	s_and_saveexec_b32 s1, s0
	s_xor_b32 s0, exec_lo, s1
; %bb.402:
	v_cmp_ne_u32_e32 vcc_lo, 0, v159
	v_cndmask_b32_e32 v159, 20, v159, vcc_lo
; %bb.403:
	s_andn2_saveexec_b32 s0, s0
	s_cbranch_execz .LBB70_409
; %bb.404:
	v_cmp_ngt_f64_e64 s1, |v[146:147]|, |v[148:149]|
	s_and_saveexec_b32 s2, s1
	s_xor_b32 s1, exec_lo, s2
	s_cbranch_execz .LBB70_406
; %bb.405:
	v_div_scale_f64 v[161:162], null, v[148:149], v[148:149], v[146:147]
	v_div_scale_f64 v[167:168], vcc_lo, v[146:147], v[148:149], v[146:147]
	v_rcp_f64_e32 v[163:164], v[161:162]
	v_fma_f64 v[165:166], -v[161:162], v[163:164], 1.0
	v_fma_f64 v[163:164], v[163:164], v[165:166], v[163:164]
	v_fma_f64 v[165:166], -v[161:162], v[163:164], 1.0
	v_fma_f64 v[163:164], v[163:164], v[165:166], v[163:164]
	v_mul_f64 v[165:166], v[167:168], v[163:164]
	v_fma_f64 v[161:162], -v[161:162], v[165:166], v[167:168]
	v_div_fmas_f64 v[161:162], v[161:162], v[163:164], v[165:166]
	v_div_fixup_f64 v[161:162], v[161:162], v[148:149], v[146:147]
	v_fma_f64 v[146:147], v[146:147], v[161:162], v[148:149]
	v_div_scale_f64 v[148:149], null, v[146:147], v[146:147], 1.0
	v_rcp_f64_e32 v[163:164], v[148:149]
	v_fma_f64 v[165:166], -v[148:149], v[163:164], 1.0
	v_fma_f64 v[163:164], v[163:164], v[165:166], v[163:164]
	v_fma_f64 v[165:166], -v[148:149], v[163:164], 1.0
	v_fma_f64 v[163:164], v[163:164], v[165:166], v[163:164]
	v_div_scale_f64 v[165:166], vcc_lo, 1.0, v[146:147], 1.0
	v_mul_f64 v[167:168], v[165:166], v[163:164]
	v_fma_f64 v[148:149], -v[148:149], v[167:168], v[165:166]
	v_div_fmas_f64 v[148:149], v[148:149], v[163:164], v[167:168]
	v_div_fixup_f64 v[148:149], v[148:149], v[146:147], 1.0
	v_mul_f64 v[146:147], v[161:162], v[148:149]
	v_xor_b32_e32 v149, 0x80000000, v149
.LBB70_406:
	s_andn2_saveexec_b32 s1, s1
	s_cbranch_execz .LBB70_408
; %bb.407:
	v_div_scale_f64 v[161:162], null, v[146:147], v[146:147], v[148:149]
	v_div_scale_f64 v[167:168], vcc_lo, v[148:149], v[146:147], v[148:149]
	v_rcp_f64_e32 v[163:164], v[161:162]
	v_fma_f64 v[165:166], -v[161:162], v[163:164], 1.0
	v_fma_f64 v[163:164], v[163:164], v[165:166], v[163:164]
	v_fma_f64 v[165:166], -v[161:162], v[163:164], 1.0
	v_fma_f64 v[163:164], v[163:164], v[165:166], v[163:164]
	v_mul_f64 v[165:166], v[167:168], v[163:164]
	v_fma_f64 v[161:162], -v[161:162], v[165:166], v[167:168]
	v_div_fmas_f64 v[161:162], v[161:162], v[163:164], v[165:166]
	v_div_fixup_f64 v[161:162], v[161:162], v[146:147], v[148:149]
	v_fma_f64 v[146:147], v[148:149], v[161:162], v[146:147]
	v_div_scale_f64 v[148:149], null, v[146:147], v[146:147], 1.0
	v_rcp_f64_e32 v[163:164], v[148:149]
	v_fma_f64 v[165:166], -v[148:149], v[163:164], 1.0
	v_fma_f64 v[163:164], v[163:164], v[165:166], v[163:164]
	v_fma_f64 v[165:166], -v[148:149], v[163:164], 1.0
	v_fma_f64 v[163:164], v[163:164], v[165:166], v[163:164]
	v_div_scale_f64 v[165:166], vcc_lo, 1.0, v[146:147], 1.0
	v_mul_f64 v[167:168], v[165:166], v[163:164]
	v_fma_f64 v[148:149], -v[148:149], v[167:168], v[165:166]
	v_div_fmas_f64 v[148:149], v[148:149], v[163:164], v[167:168]
	v_div_fixup_f64 v[146:147], v[148:149], v[146:147], 1.0
	v_mul_f64 v[148:149], v[161:162], -v[146:147]
.LBB70_408:
	s_or_b32 exec_lo, exec_lo, s1
.LBB70_409:
	s_or_b32 exec_lo, exec_lo, s0
	s_mov_b32 s0, exec_lo
	v_cmpx_ne_u32_e64 v160, v154
	s_xor_b32 s0, exec_lo, s0
	s_cbranch_execz .LBB70_415
; %bb.410:
	s_mov_b32 s1, exec_lo
	v_cmpx_eq_u32_e32 19, v160
	s_cbranch_execz .LBB70_414
; %bb.411:
	v_cmp_ne_u32_e32 vcc_lo, 19, v154
	s_xor_b32 s2, s16, -1
	s_and_b32 s3, s2, vcc_lo
	s_and_saveexec_b32 s2, s3
	s_cbranch_execz .LBB70_413
; %bb.412:
	v_ashrrev_i32_e32 v155, 31, v154
	v_lshlrev_b64 v[160:161], 2, v[154:155]
	v_add_co_u32 v160, vcc_lo, v152, v160
	v_add_co_ci_u32_e64 v161, null, v153, v161, vcc_lo
	s_clause 0x1
	global_load_dword v0, v[160:161], off
	global_load_dword v155, v[152:153], off offset:76
	s_waitcnt vmcnt(1)
	global_store_dword v[152:153], v0, off offset:76
	s_waitcnt vmcnt(0)
	global_store_dword v[160:161], v155, off
.LBB70_413:
	s_or_b32 exec_lo, exec_lo, s2
	v_mov_b32_e32 v160, v154
	v_mov_b32_e32 v0, v154
.LBB70_414:
	s_or_b32 exec_lo, exec_lo, s1
.LBB70_415:
	s_andn2_saveexec_b32 s0, s0
	s_cbranch_execz .LBB70_417
; %bb.416:
	v_mov_b32_e32 v160, 19
	ds_write2_b64 v1, v[62:63], v[64:65] offset0:40 offset1:41
	ds_write2_b64 v1, v[58:59], v[60:61] offset0:42 offset1:43
	;; [unrolled: 1-line block ×16, first 2 shown]
.LBB70_417:
	s_or_b32 exec_lo, exec_lo, s0
	s_mov_b32 s0, exec_lo
	s_waitcnt lgkmcnt(0)
	s_waitcnt_vscnt null, 0x0
	s_barrier
	buffer_gl0_inv
	v_cmpx_lt_i32_e32 19, v160
	s_cbranch_execz .LBB70_419
; %bb.418:
	v_mul_f64 v[154:155], v[146:147], v[68:69]
	v_mul_f64 v[68:69], v[148:149], v[68:69]
	v_fma_f64 v[154:155], v[148:149], v[66:67], v[154:155]
	v_fma_f64 v[66:67], v[146:147], v[66:67], -v[68:69]
	ds_read2_b64 v[146:149], v1 offset0:40 offset1:41
	s_waitcnt lgkmcnt(0)
	v_mul_f64 v[68:69], v[148:149], v[154:155]
	v_fma_f64 v[68:69], v[146:147], v[66:67], -v[68:69]
	v_mul_f64 v[146:147], v[146:147], v[154:155]
	v_add_f64 v[62:63], v[62:63], -v[68:69]
	v_fma_f64 v[146:147], v[148:149], v[66:67], v[146:147]
	v_add_f64 v[64:65], v[64:65], -v[146:147]
	ds_read2_b64 v[146:149], v1 offset0:42 offset1:43
	s_waitcnt lgkmcnt(0)
	v_mul_f64 v[68:69], v[148:149], v[154:155]
	v_fma_f64 v[68:69], v[146:147], v[66:67], -v[68:69]
	v_mul_f64 v[146:147], v[146:147], v[154:155]
	v_add_f64 v[58:59], v[58:59], -v[68:69]
	v_fma_f64 v[146:147], v[148:149], v[66:67], v[146:147]
	v_add_f64 v[60:61], v[60:61], -v[146:147]
	;; [unrolled: 8-line block ×15, first 2 shown]
	ds_read2_b64 v[146:149], v1 offset0:70 offset1:71
	s_waitcnt lgkmcnt(0)
	v_mul_f64 v[68:69], v[148:149], v[154:155]
	v_fma_f64 v[68:69], v[146:147], v[66:67], -v[68:69]
	v_mul_f64 v[146:147], v[146:147], v[154:155]
	v_add_f64 v[2:3], v[2:3], -v[68:69]
	v_fma_f64 v[146:147], v[148:149], v[66:67], v[146:147]
	v_mov_b32_e32 v68, v154
	v_mov_b32_e32 v69, v155
	v_add_f64 v[4:5], v[4:5], -v[146:147]
.LBB70_419:
	s_or_b32 exec_lo, exec_lo, s0
	v_lshl_add_u32 v146, v160, 4, v1
	s_barrier
	buffer_gl0_inv
	v_mov_b32_e32 v154, 20
	ds_write2_b64 v146, v[62:63], v[64:65] offset1:1
	s_waitcnt lgkmcnt(0)
	s_barrier
	buffer_gl0_inv
	ds_read2_b64 v[146:149], v1 offset0:40 offset1:41
	s_cmp_lt_i32 s18, 22
	s_cbranch_scc1 .LBB70_422
; %bb.420:
	v_add3_u32 v155, v156, 0, 0x150
	v_mov_b32_e32 v154, 20
	s_mov_b32 s1, 21
	s_inst_prefetch 0x1
	.p2align	6
.LBB70_421:                             ; =>This Inner Loop Header: Depth=1
	s_waitcnt lgkmcnt(0)
	v_cmp_gt_f64_e32 vcc_lo, 0, v[148:149]
	v_cmp_gt_f64_e64 s0, 0, v[146:147]
	ds_read2_b64 v[161:164], v155 offset1:1
	v_xor_b32_e32 v166, 0x80000000, v147
	v_xor_b32_e32 v168, 0x80000000, v149
	v_mov_b32_e32 v165, v146
	v_mov_b32_e32 v167, v148
	v_add_nc_u32_e32 v155, 16, v155
	s_waitcnt lgkmcnt(0)
	v_xor_b32_e32 v170, 0x80000000, v164
	v_cndmask_b32_e64 v166, v147, v166, s0
	v_cndmask_b32_e32 v168, v149, v168, vcc_lo
	v_cmp_gt_f64_e32 vcc_lo, 0, v[163:164]
	v_cmp_gt_f64_e64 s0, 0, v[161:162]
	v_mov_b32_e32 v169, v163
	v_add_f64 v[165:166], v[165:166], v[167:168]
	v_xor_b32_e32 v168, 0x80000000, v162
	v_mov_b32_e32 v167, v161
	v_cndmask_b32_e32 v170, v164, v170, vcc_lo
	v_cndmask_b32_e64 v168, v162, v168, s0
	v_add_f64 v[167:168], v[167:168], v[169:170]
	v_cmp_lt_f64_e32 vcc_lo, v[165:166], v[167:168]
	v_cndmask_b32_e32 v147, v147, v162, vcc_lo
	v_cndmask_b32_e32 v146, v146, v161, vcc_lo
	;; [unrolled: 1-line block ×4, first 2 shown]
	v_cndmask_b32_e64 v154, v154, s1, vcc_lo
	s_add_i32 s1, s1, 1
	s_cmp_lg_u32 s18, s1
	s_cbranch_scc1 .LBB70_421
.LBB70_422:
	s_inst_prefetch 0x2
	s_waitcnt lgkmcnt(0)
	v_cmp_eq_f64_e32 vcc_lo, 0, v[146:147]
	v_cmp_eq_f64_e64 s0, 0, v[148:149]
	s_and_b32 s0, vcc_lo, s0
	s_and_saveexec_b32 s1, s0
	s_xor_b32 s0, exec_lo, s1
; %bb.423:
	v_cmp_ne_u32_e32 vcc_lo, 0, v159
	v_cndmask_b32_e32 v159, 21, v159, vcc_lo
; %bb.424:
	s_andn2_saveexec_b32 s0, s0
	s_cbranch_execz .LBB70_430
; %bb.425:
	v_cmp_ngt_f64_e64 s1, |v[146:147]|, |v[148:149]|
	s_and_saveexec_b32 s2, s1
	s_xor_b32 s1, exec_lo, s2
	s_cbranch_execz .LBB70_427
; %bb.426:
	v_div_scale_f64 v[161:162], null, v[148:149], v[148:149], v[146:147]
	v_div_scale_f64 v[167:168], vcc_lo, v[146:147], v[148:149], v[146:147]
	v_rcp_f64_e32 v[163:164], v[161:162]
	v_fma_f64 v[165:166], -v[161:162], v[163:164], 1.0
	v_fma_f64 v[163:164], v[163:164], v[165:166], v[163:164]
	v_fma_f64 v[165:166], -v[161:162], v[163:164], 1.0
	v_fma_f64 v[163:164], v[163:164], v[165:166], v[163:164]
	v_mul_f64 v[165:166], v[167:168], v[163:164]
	v_fma_f64 v[161:162], -v[161:162], v[165:166], v[167:168]
	v_div_fmas_f64 v[161:162], v[161:162], v[163:164], v[165:166]
	v_div_fixup_f64 v[161:162], v[161:162], v[148:149], v[146:147]
	v_fma_f64 v[146:147], v[146:147], v[161:162], v[148:149]
	v_div_scale_f64 v[148:149], null, v[146:147], v[146:147], 1.0
	v_rcp_f64_e32 v[163:164], v[148:149]
	v_fma_f64 v[165:166], -v[148:149], v[163:164], 1.0
	v_fma_f64 v[163:164], v[163:164], v[165:166], v[163:164]
	v_fma_f64 v[165:166], -v[148:149], v[163:164], 1.0
	v_fma_f64 v[163:164], v[163:164], v[165:166], v[163:164]
	v_div_scale_f64 v[165:166], vcc_lo, 1.0, v[146:147], 1.0
	v_mul_f64 v[167:168], v[165:166], v[163:164]
	v_fma_f64 v[148:149], -v[148:149], v[167:168], v[165:166]
	v_div_fmas_f64 v[148:149], v[148:149], v[163:164], v[167:168]
	v_div_fixup_f64 v[148:149], v[148:149], v[146:147], 1.0
	v_mul_f64 v[146:147], v[161:162], v[148:149]
	v_xor_b32_e32 v149, 0x80000000, v149
.LBB70_427:
	s_andn2_saveexec_b32 s1, s1
	s_cbranch_execz .LBB70_429
; %bb.428:
	v_div_scale_f64 v[161:162], null, v[146:147], v[146:147], v[148:149]
	v_div_scale_f64 v[167:168], vcc_lo, v[148:149], v[146:147], v[148:149]
	v_rcp_f64_e32 v[163:164], v[161:162]
	v_fma_f64 v[165:166], -v[161:162], v[163:164], 1.0
	v_fma_f64 v[163:164], v[163:164], v[165:166], v[163:164]
	v_fma_f64 v[165:166], -v[161:162], v[163:164], 1.0
	v_fma_f64 v[163:164], v[163:164], v[165:166], v[163:164]
	v_mul_f64 v[165:166], v[167:168], v[163:164]
	v_fma_f64 v[161:162], -v[161:162], v[165:166], v[167:168]
	v_div_fmas_f64 v[161:162], v[161:162], v[163:164], v[165:166]
	v_div_fixup_f64 v[161:162], v[161:162], v[146:147], v[148:149]
	v_fma_f64 v[146:147], v[148:149], v[161:162], v[146:147]
	v_div_scale_f64 v[148:149], null, v[146:147], v[146:147], 1.0
	v_rcp_f64_e32 v[163:164], v[148:149]
	v_fma_f64 v[165:166], -v[148:149], v[163:164], 1.0
	v_fma_f64 v[163:164], v[163:164], v[165:166], v[163:164]
	v_fma_f64 v[165:166], -v[148:149], v[163:164], 1.0
	v_fma_f64 v[163:164], v[163:164], v[165:166], v[163:164]
	v_div_scale_f64 v[165:166], vcc_lo, 1.0, v[146:147], 1.0
	v_mul_f64 v[167:168], v[165:166], v[163:164]
	v_fma_f64 v[148:149], -v[148:149], v[167:168], v[165:166]
	v_div_fmas_f64 v[148:149], v[148:149], v[163:164], v[167:168]
	v_div_fixup_f64 v[146:147], v[148:149], v[146:147], 1.0
	v_mul_f64 v[148:149], v[161:162], -v[146:147]
.LBB70_429:
	s_or_b32 exec_lo, exec_lo, s1
.LBB70_430:
	s_or_b32 exec_lo, exec_lo, s0
	s_mov_b32 s0, exec_lo
	v_cmpx_ne_u32_e64 v160, v154
	s_xor_b32 s0, exec_lo, s0
	s_cbranch_execz .LBB70_436
; %bb.431:
	s_mov_b32 s1, exec_lo
	v_cmpx_eq_u32_e32 20, v160
	s_cbranch_execz .LBB70_435
; %bb.432:
	v_cmp_ne_u32_e32 vcc_lo, 20, v154
	s_xor_b32 s2, s16, -1
	s_and_b32 s3, s2, vcc_lo
	s_and_saveexec_b32 s2, s3
	s_cbranch_execz .LBB70_434
; %bb.433:
	v_ashrrev_i32_e32 v155, 31, v154
	v_lshlrev_b64 v[160:161], 2, v[154:155]
	v_add_co_u32 v160, vcc_lo, v152, v160
	v_add_co_ci_u32_e64 v161, null, v153, v161, vcc_lo
	s_clause 0x1
	global_load_dword v0, v[160:161], off
	global_load_dword v155, v[152:153], off offset:80
	s_waitcnt vmcnt(1)
	global_store_dword v[152:153], v0, off offset:80
	s_waitcnt vmcnt(0)
	global_store_dword v[160:161], v155, off
.LBB70_434:
	s_or_b32 exec_lo, exec_lo, s2
	v_mov_b32_e32 v160, v154
	v_mov_b32_e32 v0, v154
.LBB70_435:
	s_or_b32 exec_lo, exec_lo, s1
.LBB70_436:
	s_andn2_saveexec_b32 s0, s0
	s_cbranch_execz .LBB70_438
; %bb.437:
	v_mov_b32_e32 v160, 20
	ds_write2_b64 v1, v[58:59], v[60:61] offset0:42 offset1:43
	ds_write2_b64 v1, v[54:55], v[56:57] offset0:44 offset1:45
	;; [unrolled: 1-line block ×15, first 2 shown]
.LBB70_438:
	s_or_b32 exec_lo, exec_lo, s0
	s_mov_b32 s0, exec_lo
	s_waitcnt lgkmcnt(0)
	s_waitcnt_vscnt null, 0x0
	s_barrier
	buffer_gl0_inv
	v_cmpx_lt_i32_e32 20, v160
	s_cbranch_execz .LBB70_440
; %bb.439:
	v_mul_f64 v[154:155], v[146:147], v[64:65]
	v_mul_f64 v[64:65], v[148:149], v[64:65]
	v_fma_f64 v[154:155], v[148:149], v[62:63], v[154:155]
	v_fma_f64 v[62:63], v[146:147], v[62:63], -v[64:65]
	ds_read2_b64 v[146:149], v1 offset0:42 offset1:43
	s_waitcnt lgkmcnt(0)
	v_mul_f64 v[64:65], v[148:149], v[154:155]
	v_fma_f64 v[64:65], v[146:147], v[62:63], -v[64:65]
	v_mul_f64 v[146:147], v[146:147], v[154:155]
	v_add_f64 v[58:59], v[58:59], -v[64:65]
	v_fma_f64 v[146:147], v[148:149], v[62:63], v[146:147]
	v_add_f64 v[60:61], v[60:61], -v[146:147]
	ds_read2_b64 v[146:149], v1 offset0:44 offset1:45
	s_waitcnt lgkmcnt(0)
	v_mul_f64 v[64:65], v[148:149], v[154:155]
	v_fma_f64 v[64:65], v[146:147], v[62:63], -v[64:65]
	v_mul_f64 v[146:147], v[146:147], v[154:155]
	v_add_f64 v[54:55], v[54:55], -v[64:65]
	v_fma_f64 v[146:147], v[148:149], v[62:63], v[146:147]
	v_add_f64 v[56:57], v[56:57], -v[146:147]
	;; [unrolled: 8-line block ×14, first 2 shown]
	ds_read2_b64 v[146:149], v1 offset0:70 offset1:71
	s_waitcnt lgkmcnt(0)
	v_mul_f64 v[64:65], v[148:149], v[154:155]
	v_fma_f64 v[64:65], v[146:147], v[62:63], -v[64:65]
	v_mul_f64 v[146:147], v[146:147], v[154:155]
	v_add_f64 v[2:3], v[2:3], -v[64:65]
	v_fma_f64 v[146:147], v[148:149], v[62:63], v[146:147]
	v_mov_b32_e32 v64, v154
	v_mov_b32_e32 v65, v155
	v_add_f64 v[4:5], v[4:5], -v[146:147]
.LBB70_440:
	s_or_b32 exec_lo, exec_lo, s0
	v_lshl_add_u32 v146, v160, 4, v1
	s_barrier
	buffer_gl0_inv
	v_mov_b32_e32 v154, 21
	ds_write2_b64 v146, v[58:59], v[60:61] offset1:1
	s_waitcnt lgkmcnt(0)
	s_barrier
	buffer_gl0_inv
	ds_read2_b64 v[146:149], v1 offset0:42 offset1:43
	s_cmp_lt_i32 s18, 23
	s_cbranch_scc1 .LBB70_443
; %bb.441:
	v_add3_u32 v155, v156, 0, 0x160
	v_mov_b32_e32 v154, 21
	s_mov_b32 s1, 22
	s_inst_prefetch 0x1
	.p2align	6
.LBB70_442:                             ; =>This Inner Loop Header: Depth=1
	s_waitcnt lgkmcnt(0)
	v_cmp_gt_f64_e32 vcc_lo, 0, v[148:149]
	v_cmp_gt_f64_e64 s0, 0, v[146:147]
	ds_read2_b64 v[161:164], v155 offset1:1
	v_xor_b32_e32 v166, 0x80000000, v147
	v_xor_b32_e32 v168, 0x80000000, v149
	v_mov_b32_e32 v165, v146
	v_mov_b32_e32 v167, v148
	v_add_nc_u32_e32 v155, 16, v155
	s_waitcnt lgkmcnt(0)
	v_xor_b32_e32 v170, 0x80000000, v164
	v_cndmask_b32_e64 v166, v147, v166, s0
	v_cndmask_b32_e32 v168, v149, v168, vcc_lo
	v_cmp_gt_f64_e32 vcc_lo, 0, v[163:164]
	v_cmp_gt_f64_e64 s0, 0, v[161:162]
	v_mov_b32_e32 v169, v163
	v_add_f64 v[165:166], v[165:166], v[167:168]
	v_xor_b32_e32 v168, 0x80000000, v162
	v_mov_b32_e32 v167, v161
	v_cndmask_b32_e32 v170, v164, v170, vcc_lo
	v_cndmask_b32_e64 v168, v162, v168, s0
	v_add_f64 v[167:168], v[167:168], v[169:170]
	v_cmp_lt_f64_e32 vcc_lo, v[165:166], v[167:168]
	v_cndmask_b32_e32 v147, v147, v162, vcc_lo
	v_cndmask_b32_e32 v146, v146, v161, vcc_lo
	v_cndmask_b32_e32 v149, v149, v164, vcc_lo
	v_cndmask_b32_e32 v148, v148, v163, vcc_lo
	v_cndmask_b32_e64 v154, v154, s1, vcc_lo
	s_add_i32 s1, s1, 1
	s_cmp_lg_u32 s18, s1
	s_cbranch_scc1 .LBB70_442
.LBB70_443:
	s_inst_prefetch 0x2
	s_waitcnt lgkmcnt(0)
	v_cmp_eq_f64_e32 vcc_lo, 0, v[146:147]
	v_cmp_eq_f64_e64 s0, 0, v[148:149]
	s_and_b32 s0, vcc_lo, s0
	s_and_saveexec_b32 s1, s0
	s_xor_b32 s0, exec_lo, s1
; %bb.444:
	v_cmp_ne_u32_e32 vcc_lo, 0, v159
	v_cndmask_b32_e32 v159, 22, v159, vcc_lo
; %bb.445:
	s_andn2_saveexec_b32 s0, s0
	s_cbranch_execz .LBB70_451
; %bb.446:
	v_cmp_ngt_f64_e64 s1, |v[146:147]|, |v[148:149]|
	s_and_saveexec_b32 s2, s1
	s_xor_b32 s1, exec_lo, s2
	s_cbranch_execz .LBB70_448
; %bb.447:
	v_div_scale_f64 v[161:162], null, v[148:149], v[148:149], v[146:147]
	v_div_scale_f64 v[167:168], vcc_lo, v[146:147], v[148:149], v[146:147]
	v_rcp_f64_e32 v[163:164], v[161:162]
	v_fma_f64 v[165:166], -v[161:162], v[163:164], 1.0
	v_fma_f64 v[163:164], v[163:164], v[165:166], v[163:164]
	v_fma_f64 v[165:166], -v[161:162], v[163:164], 1.0
	v_fma_f64 v[163:164], v[163:164], v[165:166], v[163:164]
	v_mul_f64 v[165:166], v[167:168], v[163:164]
	v_fma_f64 v[161:162], -v[161:162], v[165:166], v[167:168]
	v_div_fmas_f64 v[161:162], v[161:162], v[163:164], v[165:166]
	v_div_fixup_f64 v[161:162], v[161:162], v[148:149], v[146:147]
	v_fma_f64 v[146:147], v[146:147], v[161:162], v[148:149]
	v_div_scale_f64 v[148:149], null, v[146:147], v[146:147], 1.0
	v_rcp_f64_e32 v[163:164], v[148:149]
	v_fma_f64 v[165:166], -v[148:149], v[163:164], 1.0
	v_fma_f64 v[163:164], v[163:164], v[165:166], v[163:164]
	v_fma_f64 v[165:166], -v[148:149], v[163:164], 1.0
	v_fma_f64 v[163:164], v[163:164], v[165:166], v[163:164]
	v_div_scale_f64 v[165:166], vcc_lo, 1.0, v[146:147], 1.0
	v_mul_f64 v[167:168], v[165:166], v[163:164]
	v_fma_f64 v[148:149], -v[148:149], v[167:168], v[165:166]
	v_div_fmas_f64 v[148:149], v[148:149], v[163:164], v[167:168]
	v_div_fixup_f64 v[148:149], v[148:149], v[146:147], 1.0
	v_mul_f64 v[146:147], v[161:162], v[148:149]
	v_xor_b32_e32 v149, 0x80000000, v149
.LBB70_448:
	s_andn2_saveexec_b32 s1, s1
	s_cbranch_execz .LBB70_450
; %bb.449:
	v_div_scale_f64 v[161:162], null, v[146:147], v[146:147], v[148:149]
	v_div_scale_f64 v[167:168], vcc_lo, v[148:149], v[146:147], v[148:149]
	v_rcp_f64_e32 v[163:164], v[161:162]
	v_fma_f64 v[165:166], -v[161:162], v[163:164], 1.0
	v_fma_f64 v[163:164], v[163:164], v[165:166], v[163:164]
	v_fma_f64 v[165:166], -v[161:162], v[163:164], 1.0
	v_fma_f64 v[163:164], v[163:164], v[165:166], v[163:164]
	v_mul_f64 v[165:166], v[167:168], v[163:164]
	v_fma_f64 v[161:162], -v[161:162], v[165:166], v[167:168]
	v_div_fmas_f64 v[161:162], v[161:162], v[163:164], v[165:166]
	v_div_fixup_f64 v[161:162], v[161:162], v[146:147], v[148:149]
	v_fma_f64 v[146:147], v[148:149], v[161:162], v[146:147]
	v_div_scale_f64 v[148:149], null, v[146:147], v[146:147], 1.0
	v_rcp_f64_e32 v[163:164], v[148:149]
	v_fma_f64 v[165:166], -v[148:149], v[163:164], 1.0
	v_fma_f64 v[163:164], v[163:164], v[165:166], v[163:164]
	v_fma_f64 v[165:166], -v[148:149], v[163:164], 1.0
	v_fma_f64 v[163:164], v[163:164], v[165:166], v[163:164]
	v_div_scale_f64 v[165:166], vcc_lo, 1.0, v[146:147], 1.0
	v_mul_f64 v[167:168], v[165:166], v[163:164]
	v_fma_f64 v[148:149], -v[148:149], v[167:168], v[165:166]
	v_div_fmas_f64 v[148:149], v[148:149], v[163:164], v[167:168]
	v_div_fixup_f64 v[146:147], v[148:149], v[146:147], 1.0
	v_mul_f64 v[148:149], v[161:162], -v[146:147]
.LBB70_450:
	s_or_b32 exec_lo, exec_lo, s1
.LBB70_451:
	s_or_b32 exec_lo, exec_lo, s0
	s_mov_b32 s0, exec_lo
	v_cmpx_ne_u32_e64 v160, v154
	s_xor_b32 s0, exec_lo, s0
	s_cbranch_execz .LBB70_457
; %bb.452:
	s_mov_b32 s1, exec_lo
	v_cmpx_eq_u32_e32 21, v160
	s_cbranch_execz .LBB70_456
; %bb.453:
	v_cmp_ne_u32_e32 vcc_lo, 21, v154
	s_xor_b32 s2, s16, -1
	s_and_b32 s3, s2, vcc_lo
	s_and_saveexec_b32 s2, s3
	s_cbranch_execz .LBB70_455
; %bb.454:
	v_ashrrev_i32_e32 v155, 31, v154
	v_lshlrev_b64 v[160:161], 2, v[154:155]
	v_add_co_u32 v160, vcc_lo, v152, v160
	v_add_co_ci_u32_e64 v161, null, v153, v161, vcc_lo
	s_clause 0x1
	global_load_dword v0, v[160:161], off
	global_load_dword v155, v[152:153], off offset:84
	s_waitcnt vmcnt(1)
	global_store_dword v[152:153], v0, off offset:84
	s_waitcnt vmcnt(0)
	global_store_dword v[160:161], v155, off
.LBB70_455:
	s_or_b32 exec_lo, exec_lo, s2
	v_mov_b32_e32 v160, v154
	v_mov_b32_e32 v0, v154
.LBB70_456:
	s_or_b32 exec_lo, exec_lo, s1
.LBB70_457:
	s_andn2_saveexec_b32 s0, s0
	s_cbranch_execz .LBB70_459
; %bb.458:
	v_mov_b32_e32 v160, 21
	ds_write2_b64 v1, v[54:55], v[56:57] offset0:44 offset1:45
	ds_write2_b64 v1, v[50:51], v[52:53] offset0:46 offset1:47
	;; [unrolled: 1-line block ×14, first 2 shown]
.LBB70_459:
	s_or_b32 exec_lo, exec_lo, s0
	s_mov_b32 s0, exec_lo
	s_waitcnt lgkmcnt(0)
	s_waitcnt_vscnt null, 0x0
	s_barrier
	buffer_gl0_inv
	v_cmpx_lt_i32_e32 21, v160
	s_cbranch_execz .LBB70_461
; %bb.460:
	v_mul_f64 v[154:155], v[146:147], v[60:61]
	v_mul_f64 v[60:61], v[148:149], v[60:61]
	v_fma_f64 v[154:155], v[148:149], v[58:59], v[154:155]
	v_fma_f64 v[58:59], v[146:147], v[58:59], -v[60:61]
	ds_read2_b64 v[146:149], v1 offset0:44 offset1:45
	s_waitcnt lgkmcnt(0)
	v_mul_f64 v[60:61], v[148:149], v[154:155]
	v_fma_f64 v[60:61], v[146:147], v[58:59], -v[60:61]
	v_mul_f64 v[146:147], v[146:147], v[154:155]
	v_add_f64 v[54:55], v[54:55], -v[60:61]
	v_fma_f64 v[146:147], v[148:149], v[58:59], v[146:147]
	v_add_f64 v[56:57], v[56:57], -v[146:147]
	ds_read2_b64 v[146:149], v1 offset0:46 offset1:47
	s_waitcnt lgkmcnt(0)
	v_mul_f64 v[60:61], v[148:149], v[154:155]
	v_fma_f64 v[60:61], v[146:147], v[58:59], -v[60:61]
	v_mul_f64 v[146:147], v[146:147], v[154:155]
	v_add_f64 v[50:51], v[50:51], -v[60:61]
	v_fma_f64 v[146:147], v[148:149], v[58:59], v[146:147]
	v_add_f64 v[52:53], v[52:53], -v[146:147]
	;; [unrolled: 8-line block ×13, first 2 shown]
	ds_read2_b64 v[146:149], v1 offset0:70 offset1:71
	s_waitcnt lgkmcnt(0)
	v_mul_f64 v[60:61], v[148:149], v[154:155]
	v_fma_f64 v[60:61], v[146:147], v[58:59], -v[60:61]
	v_mul_f64 v[146:147], v[146:147], v[154:155]
	v_add_f64 v[2:3], v[2:3], -v[60:61]
	v_fma_f64 v[146:147], v[148:149], v[58:59], v[146:147]
	v_mov_b32_e32 v60, v154
	v_mov_b32_e32 v61, v155
	v_add_f64 v[4:5], v[4:5], -v[146:147]
.LBB70_461:
	s_or_b32 exec_lo, exec_lo, s0
	v_lshl_add_u32 v146, v160, 4, v1
	s_barrier
	buffer_gl0_inv
	v_mov_b32_e32 v154, 22
	ds_write2_b64 v146, v[54:55], v[56:57] offset1:1
	s_waitcnt lgkmcnt(0)
	s_barrier
	buffer_gl0_inv
	ds_read2_b64 v[146:149], v1 offset0:44 offset1:45
	s_cmp_lt_i32 s18, 24
	s_cbranch_scc1 .LBB70_464
; %bb.462:
	v_add3_u32 v155, v156, 0, 0x170
	v_mov_b32_e32 v154, 22
	s_mov_b32 s1, 23
	s_inst_prefetch 0x1
	.p2align	6
.LBB70_463:                             ; =>This Inner Loop Header: Depth=1
	s_waitcnt lgkmcnt(0)
	v_cmp_gt_f64_e32 vcc_lo, 0, v[148:149]
	v_cmp_gt_f64_e64 s0, 0, v[146:147]
	ds_read2_b64 v[161:164], v155 offset1:1
	v_xor_b32_e32 v166, 0x80000000, v147
	v_xor_b32_e32 v168, 0x80000000, v149
	v_mov_b32_e32 v165, v146
	v_mov_b32_e32 v167, v148
	v_add_nc_u32_e32 v155, 16, v155
	s_waitcnt lgkmcnt(0)
	v_xor_b32_e32 v170, 0x80000000, v164
	v_cndmask_b32_e64 v166, v147, v166, s0
	v_cndmask_b32_e32 v168, v149, v168, vcc_lo
	v_cmp_gt_f64_e32 vcc_lo, 0, v[163:164]
	v_cmp_gt_f64_e64 s0, 0, v[161:162]
	v_mov_b32_e32 v169, v163
	v_add_f64 v[165:166], v[165:166], v[167:168]
	v_xor_b32_e32 v168, 0x80000000, v162
	v_mov_b32_e32 v167, v161
	v_cndmask_b32_e32 v170, v164, v170, vcc_lo
	v_cndmask_b32_e64 v168, v162, v168, s0
	v_add_f64 v[167:168], v[167:168], v[169:170]
	v_cmp_lt_f64_e32 vcc_lo, v[165:166], v[167:168]
	v_cndmask_b32_e32 v147, v147, v162, vcc_lo
	v_cndmask_b32_e32 v146, v146, v161, vcc_lo
	;; [unrolled: 1-line block ×4, first 2 shown]
	v_cndmask_b32_e64 v154, v154, s1, vcc_lo
	s_add_i32 s1, s1, 1
	s_cmp_lg_u32 s18, s1
	s_cbranch_scc1 .LBB70_463
.LBB70_464:
	s_inst_prefetch 0x2
	s_waitcnt lgkmcnt(0)
	v_cmp_eq_f64_e32 vcc_lo, 0, v[146:147]
	v_cmp_eq_f64_e64 s0, 0, v[148:149]
	s_and_b32 s0, vcc_lo, s0
	s_and_saveexec_b32 s1, s0
	s_xor_b32 s0, exec_lo, s1
; %bb.465:
	v_cmp_ne_u32_e32 vcc_lo, 0, v159
	v_cndmask_b32_e32 v159, 23, v159, vcc_lo
; %bb.466:
	s_andn2_saveexec_b32 s0, s0
	s_cbranch_execz .LBB70_472
; %bb.467:
	v_cmp_ngt_f64_e64 s1, |v[146:147]|, |v[148:149]|
	s_and_saveexec_b32 s2, s1
	s_xor_b32 s1, exec_lo, s2
	s_cbranch_execz .LBB70_469
; %bb.468:
	v_div_scale_f64 v[161:162], null, v[148:149], v[148:149], v[146:147]
	v_div_scale_f64 v[167:168], vcc_lo, v[146:147], v[148:149], v[146:147]
	v_rcp_f64_e32 v[163:164], v[161:162]
	v_fma_f64 v[165:166], -v[161:162], v[163:164], 1.0
	v_fma_f64 v[163:164], v[163:164], v[165:166], v[163:164]
	v_fma_f64 v[165:166], -v[161:162], v[163:164], 1.0
	v_fma_f64 v[163:164], v[163:164], v[165:166], v[163:164]
	v_mul_f64 v[165:166], v[167:168], v[163:164]
	v_fma_f64 v[161:162], -v[161:162], v[165:166], v[167:168]
	v_div_fmas_f64 v[161:162], v[161:162], v[163:164], v[165:166]
	v_div_fixup_f64 v[161:162], v[161:162], v[148:149], v[146:147]
	v_fma_f64 v[146:147], v[146:147], v[161:162], v[148:149]
	v_div_scale_f64 v[148:149], null, v[146:147], v[146:147], 1.0
	v_rcp_f64_e32 v[163:164], v[148:149]
	v_fma_f64 v[165:166], -v[148:149], v[163:164], 1.0
	v_fma_f64 v[163:164], v[163:164], v[165:166], v[163:164]
	v_fma_f64 v[165:166], -v[148:149], v[163:164], 1.0
	v_fma_f64 v[163:164], v[163:164], v[165:166], v[163:164]
	v_div_scale_f64 v[165:166], vcc_lo, 1.0, v[146:147], 1.0
	v_mul_f64 v[167:168], v[165:166], v[163:164]
	v_fma_f64 v[148:149], -v[148:149], v[167:168], v[165:166]
	v_div_fmas_f64 v[148:149], v[148:149], v[163:164], v[167:168]
	v_div_fixup_f64 v[148:149], v[148:149], v[146:147], 1.0
	v_mul_f64 v[146:147], v[161:162], v[148:149]
	v_xor_b32_e32 v149, 0x80000000, v149
.LBB70_469:
	s_andn2_saveexec_b32 s1, s1
	s_cbranch_execz .LBB70_471
; %bb.470:
	v_div_scale_f64 v[161:162], null, v[146:147], v[146:147], v[148:149]
	v_div_scale_f64 v[167:168], vcc_lo, v[148:149], v[146:147], v[148:149]
	v_rcp_f64_e32 v[163:164], v[161:162]
	v_fma_f64 v[165:166], -v[161:162], v[163:164], 1.0
	v_fma_f64 v[163:164], v[163:164], v[165:166], v[163:164]
	v_fma_f64 v[165:166], -v[161:162], v[163:164], 1.0
	v_fma_f64 v[163:164], v[163:164], v[165:166], v[163:164]
	v_mul_f64 v[165:166], v[167:168], v[163:164]
	v_fma_f64 v[161:162], -v[161:162], v[165:166], v[167:168]
	v_div_fmas_f64 v[161:162], v[161:162], v[163:164], v[165:166]
	v_div_fixup_f64 v[161:162], v[161:162], v[146:147], v[148:149]
	v_fma_f64 v[146:147], v[148:149], v[161:162], v[146:147]
	v_div_scale_f64 v[148:149], null, v[146:147], v[146:147], 1.0
	v_rcp_f64_e32 v[163:164], v[148:149]
	v_fma_f64 v[165:166], -v[148:149], v[163:164], 1.0
	v_fma_f64 v[163:164], v[163:164], v[165:166], v[163:164]
	v_fma_f64 v[165:166], -v[148:149], v[163:164], 1.0
	v_fma_f64 v[163:164], v[163:164], v[165:166], v[163:164]
	v_div_scale_f64 v[165:166], vcc_lo, 1.0, v[146:147], 1.0
	v_mul_f64 v[167:168], v[165:166], v[163:164]
	v_fma_f64 v[148:149], -v[148:149], v[167:168], v[165:166]
	v_div_fmas_f64 v[148:149], v[148:149], v[163:164], v[167:168]
	v_div_fixup_f64 v[146:147], v[148:149], v[146:147], 1.0
	v_mul_f64 v[148:149], v[161:162], -v[146:147]
.LBB70_471:
	s_or_b32 exec_lo, exec_lo, s1
.LBB70_472:
	s_or_b32 exec_lo, exec_lo, s0
	s_mov_b32 s0, exec_lo
	v_cmpx_ne_u32_e64 v160, v154
	s_xor_b32 s0, exec_lo, s0
	s_cbranch_execz .LBB70_478
; %bb.473:
	s_mov_b32 s1, exec_lo
	v_cmpx_eq_u32_e32 22, v160
	s_cbranch_execz .LBB70_477
; %bb.474:
	v_cmp_ne_u32_e32 vcc_lo, 22, v154
	s_xor_b32 s2, s16, -1
	s_and_b32 s3, s2, vcc_lo
	s_and_saveexec_b32 s2, s3
	s_cbranch_execz .LBB70_476
; %bb.475:
	v_ashrrev_i32_e32 v155, 31, v154
	v_lshlrev_b64 v[160:161], 2, v[154:155]
	v_add_co_u32 v160, vcc_lo, v152, v160
	v_add_co_ci_u32_e64 v161, null, v153, v161, vcc_lo
	s_clause 0x1
	global_load_dword v0, v[160:161], off
	global_load_dword v155, v[152:153], off offset:88
	s_waitcnt vmcnt(1)
	global_store_dword v[152:153], v0, off offset:88
	s_waitcnt vmcnt(0)
	global_store_dword v[160:161], v155, off
.LBB70_476:
	s_or_b32 exec_lo, exec_lo, s2
	v_mov_b32_e32 v160, v154
	v_mov_b32_e32 v0, v154
.LBB70_477:
	s_or_b32 exec_lo, exec_lo, s1
.LBB70_478:
	s_andn2_saveexec_b32 s0, s0
	s_cbranch_execz .LBB70_480
; %bb.479:
	v_mov_b32_e32 v160, 22
	ds_write2_b64 v1, v[50:51], v[52:53] offset0:46 offset1:47
	ds_write2_b64 v1, v[46:47], v[48:49] offset0:48 offset1:49
	ds_write2_b64 v1, v[42:43], v[44:45] offset0:50 offset1:51
	ds_write2_b64 v1, v[38:39], v[40:41] offset0:52 offset1:53
	ds_write2_b64 v1, v[34:35], v[36:37] offset0:54 offset1:55
	ds_write2_b64 v1, v[30:31], v[32:33] offset0:56 offset1:57
	ds_write2_b64 v1, v[26:27], v[28:29] offset0:58 offset1:59
	ds_write2_b64 v1, v[22:23], v[24:25] offset0:60 offset1:61
	ds_write2_b64 v1, v[18:19], v[20:21] offset0:62 offset1:63
	ds_write2_b64 v1, v[14:15], v[16:17] offset0:64 offset1:65
	ds_write2_b64 v1, v[10:11], v[12:13] offset0:66 offset1:67
	ds_write2_b64 v1, v[6:7], v[8:9] offset0:68 offset1:69
	ds_write2_b64 v1, v[2:3], v[4:5] offset0:70 offset1:71
.LBB70_480:
	s_or_b32 exec_lo, exec_lo, s0
	s_mov_b32 s0, exec_lo
	s_waitcnt lgkmcnt(0)
	s_waitcnt_vscnt null, 0x0
	s_barrier
	buffer_gl0_inv
	v_cmpx_lt_i32_e32 22, v160
	s_cbranch_execz .LBB70_482
; %bb.481:
	v_mul_f64 v[154:155], v[146:147], v[56:57]
	v_mul_f64 v[56:57], v[148:149], v[56:57]
	v_fma_f64 v[154:155], v[148:149], v[54:55], v[154:155]
	v_fma_f64 v[54:55], v[146:147], v[54:55], -v[56:57]
	ds_read2_b64 v[146:149], v1 offset0:46 offset1:47
	s_waitcnt lgkmcnt(0)
	v_mul_f64 v[56:57], v[148:149], v[154:155]
	v_fma_f64 v[56:57], v[146:147], v[54:55], -v[56:57]
	v_mul_f64 v[146:147], v[146:147], v[154:155]
	v_add_f64 v[50:51], v[50:51], -v[56:57]
	v_fma_f64 v[146:147], v[148:149], v[54:55], v[146:147]
	v_add_f64 v[52:53], v[52:53], -v[146:147]
	ds_read2_b64 v[146:149], v1 offset0:48 offset1:49
	s_waitcnt lgkmcnt(0)
	v_mul_f64 v[56:57], v[148:149], v[154:155]
	v_fma_f64 v[56:57], v[146:147], v[54:55], -v[56:57]
	v_mul_f64 v[146:147], v[146:147], v[154:155]
	v_add_f64 v[46:47], v[46:47], -v[56:57]
	v_fma_f64 v[146:147], v[148:149], v[54:55], v[146:147]
	v_add_f64 v[48:49], v[48:49], -v[146:147]
	ds_read2_b64 v[146:149], v1 offset0:50 offset1:51
	s_waitcnt lgkmcnt(0)
	v_mul_f64 v[56:57], v[148:149], v[154:155]
	v_fma_f64 v[56:57], v[146:147], v[54:55], -v[56:57]
	v_mul_f64 v[146:147], v[146:147], v[154:155]
	v_add_f64 v[42:43], v[42:43], -v[56:57]
	v_fma_f64 v[146:147], v[148:149], v[54:55], v[146:147]
	v_add_f64 v[44:45], v[44:45], -v[146:147]
	ds_read2_b64 v[146:149], v1 offset0:52 offset1:53
	s_waitcnt lgkmcnt(0)
	v_mul_f64 v[56:57], v[148:149], v[154:155]
	v_fma_f64 v[56:57], v[146:147], v[54:55], -v[56:57]
	v_mul_f64 v[146:147], v[146:147], v[154:155]
	v_add_f64 v[38:39], v[38:39], -v[56:57]
	v_fma_f64 v[146:147], v[148:149], v[54:55], v[146:147]
	v_add_f64 v[40:41], v[40:41], -v[146:147]
	ds_read2_b64 v[146:149], v1 offset0:54 offset1:55
	s_waitcnt lgkmcnt(0)
	v_mul_f64 v[56:57], v[148:149], v[154:155]
	v_fma_f64 v[56:57], v[146:147], v[54:55], -v[56:57]
	v_mul_f64 v[146:147], v[146:147], v[154:155]
	v_add_f64 v[34:35], v[34:35], -v[56:57]
	v_fma_f64 v[146:147], v[148:149], v[54:55], v[146:147]
	v_add_f64 v[36:37], v[36:37], -v[146:147]
	ds_read2_b64 v[146:149], v1 offset0:56 offset1:57
	s_waitcnt lgkmcnt(0)
	v_mul_f64 v[56:57], v[148:149], v[154:155]
	v_fma_f64 v[56:57], v[146:147], v[54:55], -v[56:57]
	v_mul_f64 v[146:147], v[146:147], v[154:155]
	v_add_f64 v[30:31], v[30:31], -v[56:57]
	v_fma_f64 v[146:147], v[148:149], v[54:55], v[146:147]
	v_add_f64 v[32:33], v[32:33], -v[146:147]
	ds_read2_b64 v[146:149], v1 offset0:58 offset1:59
	s_waitcnt lgkmcnt(0)
	v_mul_f64 v[56:57], v[148:149], v[154:155]
	v_fma_f64 v[56:57], v[146:147], v[54:55], -v[56:57]
	v_mul_f64 v[146:147], v[146:147], v[154:155]
	v_add_f64 v[26:27], v[26:27], -v[56:57]
	v_fma_f64 v[146:147], v[148:149], v[54:55], v[146:147]
	v_add_f64 v[28:29], v[28:29], -v[146:147]
	ds_read2_b64 v[146:149], v1 offset0:60 offset1:61
	s_waitcnt lgkmcnt(0)
	v_mul_f64 v[56:57], v[148:149], v[154:155]
	v_fma_f64 v[56:57], v[146:147], v[54:55], -v[56:57]
	v_mul_f64 v[146:147], v[146:147], v[154:155]
	v_add_f64 v[22:23], v[22:23], -v[56:57]
	v_fma_f64 v[146:147], v[148:149], v[54:55], v[146:147]
	v_add_f64 v[24:25], v[24:25], -v[146:147]
	ds_read2_b64 v[146:149], v1 offset0:62 offset1:63
	s_waitcnt lgkmcnt(0)
	v_mul_f64 v[56:57], v[148:149], v[154:155]
	v_fma_f64 v[56:57], v[146:147], v[54:55], -v[56:57]
	v_mul_f64 v[146:147], v[146:147], v[154:155]
	v_add_f64 v[18:19], v[18:19], -v[56:57]
	v_fma_f64 v[146:147], v[148:149], v[54:55], v[146:147]
	v_add_f64 v[20:21], v[20:21], -v[146:147]
	ds_read2_b64 v[146:149], v1 offset0:64 offset1:65
	s_waitcnt lgkmcnt(0)
	v_mul_f64 v[56:57], v[148:149], v[154:155]
	v_fma_f64 v[56:57], v[146:147], v[54:55], -v[56:57]
	v_mul_f64 v[146:147], v[146:147], v[154:155]
	v_add_f64 v[14:15], v[14:15], -v[56:57]
	v_fma_f64 v[146:147], v[148:149], v[54:55], v[146:147]
	v_add_f64 v[16:17], v[16:17], -v[146:147]
	ds_read2_b64 v[146:149], v1 offset0:66 offset1:67
	s_waitcnt lgkmcnt(0)
	v_mul_f64 v[56:57], v[148:149], v[154:155]
	v_fma_f64 v[56:57], v[146:147], v[54:55], -v[56:57]
	v_mul_f64 v[146:147], v[146:147], v[154:155]
	v_add_f64 v[10:11], v[10:11], -v[56:57]
	v_fma_f64 v[146:147], v[148:149], v[54:55], v[146:147]
	v_add_f64 v[12:13], v[12:13], -v[146:147]
	ds_read2_b64 v[146:149], v1 offset0:68 offset1:69
	s_waitcnt lgkmcnt(0)
	v_mul_f64 v[56:57], v[148:149], v[154:155]
	v_fma_f64 v[56:57], v[146:147], v[54:55], -v[56:57]
	v_mul_f64 v[146:147], v[146:147], v[154:155]
	v_add_f64 v[6:7], v[6:7], -v[56:57]
	v_fma_f64 v[146:147], v[148:149], v[54:55], v[146:147]
	v_add_f64 v[8:9], v[8:9], -v[146:147]
	ds_read2_b64 v[146:149], v1 offset0:70 offset1:71
	s_waitcnt lgkmcnt(0)
	v_mul_f64 v[56:57], v[148:149], v[154:155]
	v_fma_f64 v[56:57], v[146:147], v[54:55], -v[56:57]
	v_mul_f64 v[146:147], v[146:147], v[154:155]
	v_add_f64 v[2:3], v[2:3], -v[56:57]
	v_fma_f64 v[146:147], v[148:149], v[54:55], v[146:147]
	v_mov_b32_e32 v56, v154
	v_mov_b32_e32 v57, v155
	v_add_f64 v[4:5], v[4:5], -v[146:147]
.LBB70_482:
	s_or_b32 exec_lo, exec_lo, s0
	v_lshl_add_u32 v146, v160, 4, v1
	s_barrier
	buffer_gl0_inv
	v_mov_b32_e32 v154, 23
	ds_write2_b64 v146, v[50:51], v[52:53] offset1:1
	s_waitcnt lgkmcnt(0)
	s_barrier
	buffer_gl0_inv
	ds_read2_b64 v[146:149], v1 offset0:46 offset1:47
	s_cmp_lt_i32 s18, 25
	s_cbranch_scc1 .LBB70_485
; %bb.483:
	v_add3_u32 v155, v156, 0, 0x180
	v_mov_b32_e32 v154, 23
	s_mov_b32 s1, 24
	s_inst_prefetch 0x1
	.p2align	6
.LBB70_484:                             ; =>This Inner Loop Header: Depth=1
	s_waitcnt lgkmcnt(0)
	v_cmp_gt_f64_e32 vcc_lo, 0, v[148:149]
	v_cmp_gt_f64_e64 s0, 0, v[146:147]
	ds_read2_b64 v[161:164], v155 offset1:1
	v_xor_b32_e32 v166, 0x80000000, v147
	v_xor_b32_e32 v168, 0x80000000, v149
	v_mov_b32_e32 v165, v146
	v_mov_b32_e32 v167, v148
	v_add_nc_u32_e32 v155, 16, v155
	s_waitcnt lgkmcnt(0)
	v_xor_b32_e32 v170, 0x80000000, v164
	v_cndmask_b32_e64 v166, v147, v166, s0
	v_cndmask_b32_e32 v168, v149, v168, vcc_lo
	v_cmp_gt_f64_e32 vcc_lo, 0, v[163:164]
	v_cmp_gt_f64_e64 s0, 0, v[161:162]
	v_mov_b32_e32 v169, v163
	v_add_f64 v[165:166], v[165:166], v[167:168]
	v_xor_b32_e32 v168, 0x80000000, v162
	v_mov_b32_e32 v167, v161
	v_cndmask_b32_e32 v170, v164, v170, vcc_lo
	v_cndmask_b32_e64 v168, v162, v168, s0
	v_add_f64 v[167:168], v[167:168], v[169:170]
	v_cmp_lt_f64_e32 vcc_lo, v[165:166], v[167:168]
	v_cndmask_b32_e32 v147, v147, v162, vcc_lo
	v_cndmask_b32_e32 v146, v146, v161, vcc_lo
	;; [unrolled: 1-line block ×4, first 2 shown]
	v_cndmask_b32_e64 v154, v154, s1, vcc_lo
	s_add_i32 s1, s1, 1
	s_cmp_lg_u32 s18, s1
	s_cbranch_scc1 .LBB70_484
.LBB70_485:
	s_inst_prefetch 0x2
	s_waitcnt lgkmcnt(0)
	v_cmp_eq_f64_e32 vcc_lo, 0, v[146:147]
	v_cmp_eq_f64_e64 s0, 0, v[148:149]
	s_and_b32 s0, vcc_lo, s0
	s_and_saveexec_b32 s1, s0
	s_xor_b32 s0, exec_lo, s1
; %bb.486:
	v_cmp_ne_u32_e32 vcc_lo, 0, v159
	v_cndmask_b32_e32 v159, 24, v159, vcc_lo
; %bb.487:
	s_andn2_saveexec_b32 s0, s0
	s_cbranch_execz .LBB70_493
; %bb.488:
	v_cmp_ngt_f64_e64 s1, |v[146:147]|, |v[148:149]|
	s_and_saveexec_b32 s2, s1
	s_xor_b32 s1, exec_lo, s2
	s_cbranch_execz .LBB70_490
; %bb.489:
	v_div_scale_f64 v[161:162], null, v[148:149], v[148:149], v[146:147]
	v_div_scale_f64 v[167:168], vcc_lo, v[146:147], v[148:149], v[146:147]
	v_rcp_f64_e32 v[163:164], v[161:162]
	v_fma_f64 v[165:166], -v[161:162], v[163:164], 1.0
	v_fma_f64 v[163:164], v[163:164], v[165:166], v[163:164]
	v_fma_f64 v[165:166], -v[161:162], v[163:164], 1.0
	v_fma_f64 v[163:164], v[163:164], v[165:166], v[163:164]
	v_mul_f64 v[165:166], v[167:168], v[163:164]
	v_fma_f64 v[161:162], -v[161:162], v[165:166], v[167:168]
	v_div_fmas_f64 v[161:162], v[161:162], v[163:164], v[165:166]
	v_div_fixup_f64 v[161:162], v[161:162], v[148:149], v[146:147]
	v_fma_f64 v[146:147], v[146:147], v[161:162], v[148:149]
	v_div_scale_f64 v[148:149], null, v[146:147], v[146:147], 1.0
	v_rcp_f64_e32 v[163:164], v[148:149]
	v_fma_f64 v[165:166], -v[148:149], v[163:164], 1.0
	v_fma_f64 v[163:164], v[163:164], v[165:166], v[163:164]
	v_fma_f64 v[165:166], -v[148:149], v[163:164], 1.0
	v_fma_f64 v[163:164], v[163:164], v[165:166], v[163:164]
	v_div_scale_f64 v[165:166], vcc_lo, 1.0, v[146:147], 1.0
	v_mul_f64 v[167:168], v[165:166], v[163:164]
	v_fma_f64 v[148:149], -v[148:149], v[167:168], v[165:166]
	v_div_fmas_f64 v[148:149], v[148:149], v[163:164], v[167:168]
	v_div_fixup_f64 v[148:149], v[148:149], v[146:147], 1.0
	v_mul_f64 v[146:147], v[161:162], v[148:149]
	v_xor_b32_e32 v149, 0x80000000, v149
.LBB70_490:
	s_andn2_saveexec_b32 s1, s1
	s_cbranch_execz .LBB70_492
; %bb.491:
	v_div_scale_f64 v[161:162], null, v[146:147], v[146:147], v[148:149]
	v_div_scale_f64 v[167:168], vcc_lo, v[148:149], v[146:147], v[148:149]
	v_rcp_f64_e32 v[163:164], v[161:162]
	v_fma_f64 v[165:166], -v[161:162], v[163:164], 1.0
	v_fma_f64 v[163:164], v[163:164], v[165:166], v[163:164]
	v_fma_f64 v[165:166], -v[161:162], v[163:164], 1.0
	v_fma_f64 v[163:164], v[163:164], v[165:166], v[163:164]
	v_mul_f64 v[165:166], v[167:168], v[163:164]
	v_fma_f64 v[161:162], -v[161:162], v[165:166], v[167:168]
	v_div_fmas_f64 v[161:162], v[161:162], v[163:164], v[165:166]
	v_div_fixup_f64 v[161:162], v[161:162], v[146:147], v[148:149]
	v_fma_f64 v[146:147], v[148:149], v[161:162], v[146:147]
	v_div_scale_f64 v[148:149], null, v[146:147], v[146:147], 1.0
	v_rcp_f64_e32 v[163:164], v[148:149]
	v_fma_f64 v[165:166], -v[148:149], v[163:164], 1.0
	v_fma_f64 v[163:164], v[163:164], v[165:166], v[163:164]
	v_fma_f64 v[165:166], -v[148:149], v[163:164], 1.0
	v_fma_f64 v[163:164], v[163:164], v[165:166], v[163:164]
	v_div_scale_f64 v[165:166], vcc_lo, 1.0, v[146:147], 1.0
	v_mul_f64 v[167:168], v[165:166], v[163:164]
	v_fma_f64 v[148:149], -v[148:149], v[167:168], v[165:166]
	v_div_fmas_f64 v[148:149], v[148:149], v[163:164], v[167:168]
	v_div_fixup_f64 v[146:147], v[148:149], v[146:147], 1.0
	v_mul_f64 v[148:149], v[161:162], -v[146:147]
.LBB70_492:
	s_or_b32 exec_lo, exec_lo, s1
.LBB70_493:
	s_or_b32 exec_lo, exec_lo, s0
	s_mov_b32 s0, exec_lo
	v_cmpx_ne_u32_e64 v160, v154
	s_xor_b32 s0, exec_lo, s0
	s_cbranch_execz .LBB70_499
; %bb.494:
	s_mov_b32 s1, exec_lo
	v_cmpx_eq_u32_e32 23, v160
	s_cbranch_execz .LBB70_498
; %bb.495:
	v_cmp_ne_u32_e32 vcc_lo, 23, v154
	s_xor_b32 s2, s16, -1
	s_and_b32 s3, s2, vcc_lo
	s_and_saveexec_b32 s2, s3
	s_cbranch_execz .LBB70_497
; %bb.496:
	v_ashrrev_i32_e32 v155, 31, v154
	v_lshlrev_b64 v[160:161], 2, v[154:155]
	v_add_co_u32 v160, vcc_lo, v152, v160
	v_add_co_ci_u32_e64 v161, null, v153, v161, vcc_lo
	s_clause 0x1
	global_load_dword v0, v[160:161], off
	global_load_dword v155, v[152:153], off offset:92
	s_waitcnt vmcnt(1)
	global_store_dword v[152:153], v0, off offset:92
	s_waitcnt vmcnt(0)
	global_store_dword v[160:161], v155, off
.LBB70_497:
	s_or_b32 exec_lo, exec_lo, s2
	v_mov_b32_e32 v160, v154
	v_mov_b32_e32 v0, v154
.LBB70_498:
	s_or_b32 exec_lo, exec_lo, s1
.LBB70_499:
	s_andn2_saveexec_b32 s0, s0
	s_cbranch_execz .LBB70_501
; %bb.500:
	v_mov_b32_e32 v160, 23
	ds_write2_b64 v1, v[46:47], v[48:49] offset0:48 offset1:49
	ds_write2_b64 v1, v[42:43], v[44:45] offset0:50 offset1:51
	ds_write2_b64 v1, v[38:39], v[40:41] offset0:52 offset1:53
	ds_write2_b64 v1, v[34:35], v[36:37] offset0:54 offset1:55
	ds_write2_b64 v1, v[30:31], v[32:33] offset0:56 offset1:57
	ds_write2_b64 v1, v[26:27], v[28:29] offset0:58 offset1:59
	ds_write2_b64 v1, v[22:23], v[24:25] offset0:60 offset1:61
	ds_write2_b64 v1, v[18:19], v[20:21] offset0:62 offset1:63
	ds_write2_b64 v1, v[14:15], v[16:17] offset0:64 offset1:65
	ds_write2_b64 v1, v[10:11], v[12:13] offset0:66 offset1:67
	ds_write2_b64 v1, v[6:7], v[8:9] offset0:68 offset1:69
	ds_write2_b64 v1, v[2:3], v[4:5] offset0:70 offset1:71
.LBB70_501:
	s_or_b32 exec_lo, exec_lo, s0
	s_mov_b32 s0, exec_lo
	s_waitcnt lgkmcnt(0)
	s_waitcnt_vscnt null, 0x0
	s_barrier
	buffer_gl0_inv
	v_cmpx_lt_i32_e32 23, v160
	s_cbranch_execz .LBB70_503
; %bb.502:
	v_mul_f64 v[154:155], v[146:147], v[52:53]
	v_mul_f64 v[52:53], v[148:149], v[52:53]
	v_fma_f64 v[154:155], v[148:149], v[50:51], v[154:155]
	v_fma_f64 v[50:51], v[146:147], v[50:51], -v[52:53]
	ds_read2_b64 v[146:149], v1 offset0:48 offset1:49
	s_waitcnt lgkmcnt(0)
	v_mul_f64 v[52:53], v[148:149], v[154:155]
	v_fma_f64 v[52:53], v[146:147], v[50:51], -v[52:53]
	v_mul_f64 v[146:147], v[146:147], v[154:155]
	v_add_f64 v[46:47], v[46:47], -v[52:53]
	v_fma_f64 v[146:147], v[148:149], v[50:51], v[146:147]
	v_add_f64 v[48:49], v[48:49], -v[146:147]
	ds_read2_b64 v[146:149], v1 offset0:50 offset1:51
	s_waitcnt lgkmcnt(0)
	v_mul_f64 v[52:53], v[148:149], v[154:155]
	v_fma_f64 v[52:53], v[146:147], v[50:51], -v[52:53]
	v_mul_f64 v[146:147], v[146:147], v[154:155]
	v_add_f64 v[42:43], v[42:43], -v[52:53]
	v_fma_f64 v[146:147], v[148:149], v[50:51], v[146:147]
	v_add_f64 v[44:45], v[44:45], -v[146:147]
	;; [unrolled: 8-line block ×11, first 2 shown]
	ds_read2_b64 v[146:149], v1 offset0:70 offset1:71
	s_waitcnt lgkmcnt(0)
	v_mul_f64 v[52:53], v[148:149], v[154:155]
	v_fma_f64 v[52:53], v[146:147], v[50:51], -v[52:53]
	v_mul_f64 v[146:147], v[146:147], v[154:155]
	v_add_f64 v[2:3], v[2:3], -v[52:53]
	v_fma_f64 v[146:147], v[148:149], v[50:51], v[146:147]
	v_mov_b32_e32 v52, v154
	v_mov_b32_e32 v53, v155
	v_add_f64 v[4:5], v[4:5], -v[146:147]
.LBB70_503:
	s_or_b32 exec_lo, exec_lo, s0
	v_lshl_add_u32 v146, v160, 4, v1
	s_barrier
	buffer_gl0_inv
	v_mov_b32_e32 v154, 24
	ds_write2_b64 v146, v[46:47], v[48:49] offset1:1
	s_waitcnt lgkmcnt(0)
	s_barrier
	buffer_gl0_inv
	ds_read2_b64 v[146:149], v1 offset0:48 offset1:49
	s_cmp_lt_i32 s18, 26
	s_cbranch_scc1 .LBB70_506
; %bb.504:
	v_add3_u32 v155, v156, 0, 0x190
	v_mov_b32_e32 v154, 24
	s_mov_b32 s1, 25
	s_inst_prefetch 0x1
	.p2align	6
.LBB70_505:                             ; =>This Inner Loop Header: Depth=1
	s_waitcnt lgkmcnt(0)
	v_cmp_gt_f64_e32 vcc_lo, 0, v[148:149]
	v_cmp_gt_f64_e64 s0, 0, v[146:147]
	ds_read2_b64 v[161:164], v155 offset1:1
	v_xor_b32_e32 v166, 0x80000000, v147
	v_xor_b32_e32 v168, 0x80000000, v149
	v_mov_b32_e32 v165, v146
	v_mov_b32_e32 v167, v148
	v_add_nc_u32_e32 v155, 16, v155
	s_waitcnt lgkmcnt(0)
	v_xor_b32_e32 v170, 0x80000000, v164
	v_cndmask_b32_e64 v166, v147, v166, s0
	v_cndmask_b32_e32 v168, v149, v168, vcc_lo
	v_cmp_gt_f64_e32 vcc_lo, 0, v[163:164]
	v_cmp_gt_f64_e64 s0, 0, v[161:162]
	v_mov_b32_e32 v169, v163
	v_add_f64 v[165:166], v[165:166], v[167:168]
	v_xor_b32_e32 v168, 0x80000000, v162
	v_mov_b32_e32 v167, v161
	v_cndmask_b32_e32 v170, v164, v170, vcc_lo
	v_cndmask_b32_e64 v168, v162, v168, s0
	v_add_f64 v[167:168], v[167:168], v[169:170]
	v_cmp_lt_f64_e32 vcc_lo, v[165:166], v[167:168]
	v_cndmask_b32_e32 v147, v147, v162, vcc_lo
	v_cndmask_b32_e32 v146, v146, v161, vcc_lo
	;; [unrolled: 1-line block ×4, first 2 shown]
	v_cndmask_b32_e64 v154, v154, s1, vcc_lo
	s_add_i32 s1, s1, 1
	s_cmp_lg_u32 s18, s1
	s_cbranch_scc1 .LBB70_505
.LBB70_506:
	s_inst_prefetch 0x2
	s_waitcnt lgkmcnt(0)
	v_cmp_eq_f64_e32 vcc_lo, 0, v[146:147]
	v_cmp_eq_f64_e64 s0, 0, v[148:149]
	s_and_b32 s0, vcc_lo, s0
	s_and_saveexec_b32 s1, s0
	s_xor_b32 s0, exec_lo, s1
; %bb.507:
	v_cmp_ne_u32_e32 vcc_lo, 0, v159
	v_cndmask_b32_e32 v159, 25, v159, vcc_lo
; %bb.508:
	s_andn2_saveexec_b32 s0, s0
	s_cbranch_execz .LBB70_514
; %bb.509:
	v_cmp_ngt_f64_e64 s1, |v[146:147]|, |v[148:149]|
	s_and_saveexec_b32 s2, s1
	s_xor_b32 s1, exec_lo, s2
	s_cbranch_execz .LBB70_511
; %bb.510:
	v_div_scale_f64 v[161:162], null, v[148:149], v[148:149], v[146:147]
	v_div_scale_f64 v[167:168], vcc_lo, v[146:147], v[148:149], v[146:147]
	v_rcp_f64_e32 v[163:164], v[161:162]
	v_fma_f64 v[165:166], -v[161:162], v[163:164], 1.0
	v_fma_f64 v[163:164], v[163:164], v[165:166], v[163:164]
	v_fma_f64 v[165:166], -v[161:162], v[163:164], 1.0
	v_fma_f64 v[163:164], v[163:164], v[165:166], v[163:164]
	v_mul_f64 v[165:166], v[167:168], v[163:164]
	v_fma_f64 v[161:162], -v[161:162], v[165:166], v[167:168]
	v_div_fmas_f64 v[161:162], v[161:162], v[163:164], v[165:166]
	v_div_fixup_f64 v[161:162], v[161:162], v[148:149], v[146:147]
	v_fma_f64 v[146:147], v[146:147], v[161:162], v[148:149]
	v_div_scale_f64 v[148:149], null, v[146:147], v[146:147], 1.0
	v_rcp_f64_e32 v[163:164], v[148:149]
	v_fma_f64 v[165:166], -v[148:149], v[163:164], 1.0
	v_fma_f64 v[163:164], v[163:164], v[165:166], v[163:164]
	v_fma_f64 v[165:166], -v[148:149], v[163:164], 1.0
	v_fma_f64 v[163:164], v[163:164], v[165:166], v[163:164]
	v_div_scale_f64 v[165:166], vcc_lo, 1.0, v[146:147], 1.0
	v_mul_f64 v[167:168], v[165:166], v[163:164]
	v_fma_f64 v[148:149], -v[148:149], v[167:168], v[165:166]
	v_div_fmas_f64 v[148:149], v[148:149], v[163:164], v[167:168]
	v_div_fixup_f64 v[148:149], v[148:149], v[146:147], 1.0
	v_mul_f64 v[146:147], v[161:162], v[148:149]
	v_xor_b32_e32 v149, 0x80000000, v149
.LBB70_511:
	s_andn2_saveexec_b32 s1, s1
	s_cbranch_execz .LBB70_513
; %bb.512:
	v_div_scale_f64 v[161:162], null, v[146:147], v[146:147], v[148:149]
	v_div_scale_f64 v[167:168], vcc_lo, v[148:149], v[146:147], v[148:149]
	v_rcp_f64_e32 v[163:164], v[161:162]
	v_fma_f64 v[165:166], -v[161:162], v[163:164], 1.0
	v_fma_f64 v[163:164], v[163:164], v[165:166], v[163:164]
	v_fma_f64 v[165:166], -v[161:162], v[163:164], 1.0
	v_fma_f64 v[163:164], v[163:164], v[165:166], v[163:164]
	v_mul_f64 v[165:166], v[167:168], v[163:164]
	v_fma_f64 v[161:162], -v[161:162], v[165:166], v[167:168]
	v_div_fmas_f64 v[161:162], v[161:162], v[163:164], v[165:166]
	v_div_fixup_f64 v[161:162], v[161:162], v[146:147], v[148:149]
	v_fma_f64 v[146:147], v[148:149], v[161:162], v[146:147]
	v_div_scale_f64 v[148:149], null, v[146:147], v[146:147], 1.0
	v_rcp_f64_e32 v[163:164], v[148:149]
	v_fma_f64 v[165:166], -v[148:149], v[163:164], 1.0
	v_fma_f64 v[163:164], v[163:164], v[165:166], v[163:164]
	v_fma_f64 v[165:166], -v[148:149], v[163:164], 1.0
	v_fma_f64 v[163:164], v[163:164], v[165:166], v[163:164]
	v_div_scale_f64 v[165:166], vcc_lo, 1.0, v[146:147], 1.0
	v_mul_f64 v[167:168], v[165:166], v[163:164]
	v_fma_f64 v[148:149], -v[148:149], v[167:168], v[165:166]
	v_div_fmas_f64 v[148:149], v[148:149], v[163:164], v[167:168]
	v_div_fixup_f64 v[146:147], v[148:149], v[146:147], 1.0
	v_mul_f64 v[148:149], v[161:162], -v[146:147]
.LBB70_513:
	s_or_b32 exec_lo, exec_lo, s1
.LBB70_514:
	s_or_b32 exec_lo, exec_lo, s0
	s_mov_b32 s0, exec_lo
	v_cmpx_ne_u32_e64 v160, v154
	s_xor_b32 s0, exec_lo, s0
	s_cbranch_execz .LBB70_520
; %bb.515:
	s_mov_b32 s1, exec_lo
	v_cmpx_eq_u32_e32 24, v160
	s_cbranch_execz .LBB70_519
; %bb.516:
	v_cmp_ne_u32_e32 vcc_lo, 24, v154
	s_xor_b32 s2, s16, -1
	s_and_b32 s3, s2, vcc_lo
	s_and_saveexec_b32 s2, s3
	s_cbranch_execz .LBB70_518
; %bb.517:
	v_ashrrev_i32_e32 v155, 31, v154
	v_lshlrev_b64 v[160:161], 2, v[154:155]
	v_add_co_u32 v160, vcc_lo, v152, v160
	v_add_co_ci_u32_e64 v161, null, v153, v161, vcc_lo
	s_clause 0x1
	global_load_dword v0, v[160:161], off
	global_load_dword v155, v[152:153], off offset:96
	s_waitcnt vmcnt(1)
	global_store_dword v[152:153], v0, off offset:96
	s_waitcnt vmcnt(0)
	global_store_dword v[160:161], v155, off
.LBB70_518:
	s_or_b32 exec_lo, exec_lo, s2
	v_mov_b32_e32 v160, v154
	v_mov_b32_e32 v0, v154
.LBB70_519:
	s_or_b32 exec_lo, exec_lo, s1
.LBB70_520:
	s_andn2_saveexec_b32 s0, s0
	s_cbranch_execz .LBB70_522
; %bb.521:
	v_mov_b32_e32 v160, 24
	ds_write2_b64 v1, v[42:43], v[44:45] offset0:50 offset1:51
	ds_write2_b64 v1, v[38:39], v[40:41] offset0:52 offset1:53
	;; [unrolled: 1-line block ×11, first 2 shown]
.LBB70_522:
	s_or_b32 exec_lo, exec_lo, s0
	s_mov_b32 s0, exec_lo
	s_waitcnt lgkmcnt(0)
	s_waitcnt_vscnt null, 0x0
	s_barrier
	buffer_gl0_inv
	v_cmpx_lt_i32_e32 24, v160
	s_cbranch_execz .LBB70_524
; %bb.523:
	v_mul_f64 v[154:155], v[146:147], v[48:49]
	v_mul_f64 v[48:49], v[148:149], v[48:49]
	v_fma_f64 v[154:155], v[148:149], v[46:47], v[154:155]
	v_fma_f64 v[46:47], v[146:147], v[46:47], -v[48:49]
	ds_read2_b64 v[146:149], v1 offset0:50 offset1:51
	s_waitcnt lgkmcnt(0)
	v_mul_f64 v[48:49], v[148:149], v[154:155]
	v_fma_f64 v[48:49], v[146:147], v[46:47], -v[48:49]
	v_mul_f64 v[146:147], v[146:147], v[154:155]
	v_add_f64 v[42:43], v[42:43], -v[48:49]
	v_fma_f64 v[146:147], v[148:149], v[46:47], v[146:147]
	v_add_f64 v[44:45], v[44:45], -v[146:147]
	ds_read2_b64 v[146:149], v1 offset0:52 offset1:53
	s_waitcnt lgkmcnt(0)
	v_mul_f64 v[48:49], v[148:149], v[154:155]
	v_fma_f64 v[48:49], v[146:147], v[46:47], -v[48:49]
	v_mul_f64 v[146:147], v[146:147], v[154:155]
	v_add_f64 v[38:39], v[38:39], -v[48:49]
	v_fma_f64 v[146:147], v[148:149], v[46:47], v[146:147]
	v_add_f64 v[40:41], v[40:41], -v[146:147]
	;; [unrolled: 8-line block ×10, first 2 shown]
	ds_read2_b64 v[146:149], v1 offset0:70 offset1:71
	s_waitcnt lgkmcnt(0)
	v_mul_f64 v[48:49], v[148:149], v[154:155]
	v_fma_f64 v[48:49], v[146:147], v[46:47], -v[48:49]
	v_mul_f64 v[146:147], v[146:147], v[154:155]
	v_add_f64 v[2:3], v[2:3], -v[48:49]
	v_fma_f64 v[146:147], v[148:149], v[46:47], v[146:147]
	v_mov_b32_e32 v48, v154
	v_mov_b32_e32 v49, v155
	v_add_f64 v[4:5], v[4:5], -v[146:147]
.LBB70_524:
	s_or_b32 exec_lo, exec_lo, s0
	v_lshl_add_u32 v146, v160, 4, v1
	s_barrier
	buffer_gl0_inv
	v_mov_b32_e32 v154, 25
	ds_write2_b64 v146, v[42:43], v[44:45] offset1:1
	s_waitcnt lgkmcnt(0)
	s_barrier
	buffer_gl0_inv
	ds_read2_b64 v[146:149], v1 offset0:50 offset1:51
	s_cmp_lt_i32 s18, 27
	s_cbranch_scc1 .LBB70_527
; %bb.525:
	v_add3_u32 v155, v156, 0, 0x1a0
	v_mov_b32_e32 v154, 25
	s_mov_b32 s1, 26
	s_inst_prefetch 0x1
	.p2align	6
.LBB70_526:                             ; =>This Inner Loop Header: Depth=1
	s_waitcnt lgkmcnt(0)
	v_cmp_gt_f64_e32 vcc_lo, 0, v[148:149]
	v_cmp_gt_f64_e64 s0, 0, v[146:147]
	ds_read2_b64 v[161:164], v155 offset1:1
	v_xor_b32_e32 v166, 0x80000000, v147
	v_xor_b32_e32 v168, 0x80000000, v149
	v_mov_b32_e32 v165, v146
	v_mov_b32_e32 v167, v148
	v_add_nc_u32_e32 v155, 16, v155
	s_waitcnt lgkmcnt(0)
	v_xor_b32_e32 v170, 0x80000000, v164
	v_cndmask_b32_e64 v166, v147, v166, s0
	v_cndmask_b32_e32 v168, v149, v168, vcc_lo
	v_cmp_gt_f64_e32 vcc_lo, 0, v[163:164]
	v_cmp_gt_f64_e64 s0, 0, v[161:162]
	v_mov_b32_e32 v169, v163
	v_add_f64 v[165:166], v[165:166], v[167:168]
	v_xor_b32_e32 v168, 0x80000000, v162
	v_mov_b32_e32 v167, v161
	v_cndmask_b32_e32 v170, v164, v170, vcc_lo
	v_cndmask_b32_e64 v168, v162, v168, s0
	v_add_f64 v[167:168], v[167:168], v[169:170]
	v_cmp_lt_f64_e32 vcc_lo, v[165:166], v[167:168]
	v_cndmask_b32_e32 v147, v147, v162, vcc_lo
	v_cndmask_b32_e32 v146, v146, v161, vcc_lo
	;; [unrolled: 1-line block ×4, first 2 shown]
	v_cndmask_b32_e64 v154, v154, s1, vcc_lo
	s_add_i32 s1, s1, 1
	s_cmp_lg_u32 s18, s1
	s_cbranch_scc1 .LBB70_526
.LBB70_527:
	s_inst_prefetch 0x2
	s_waitcnt lgkmcnt(0)
	v_cmp_eq_f64_e32 vcc_lo, 0, v[146:147]
	v_cmp_eq_f64_e64 s0, 0, v[148:149]
	s_and_b32 s0, vcc_lo, s0
	s_and_saveexec_b32 s1, s0
	s_xor_b32 s0, exec_lo, s1
; %bb.528:
	v_cmp_ne_u32_e32 vcc_lo, 0, v159
	v_cndmask_b32_e32 v159, 26, v159, vcc_lo
; %bb.529:
	s_andn2_saveexec_b32 s0, s0
	s_cbranch_execz .LBB70_535
; %bb.530:
	v_cmp_ngt_f64_e64 s1, |v[146:147]|, |v[148:149]|
	s_and_saveexec_b32 s2, s1
	s_xor_b32 s1, exec_lo, s2
	s_cbranch_execz .LBB70_532
; %bb.531:
	v_div_scale_f64 v[161:162], null, v[148:149], v[148:149], v[146:147]
	v_div_scale_f64 v[167:168], vcc_lo, v[146:147], v[148:149], v[146:147]
	v_rcp_f64_e32 v[163:164], v[161:162]
	v_fma_f64 v[165:166], -v[161:162], v[163:164], 1.0
	v_fma_f64 v[163:164], v[163:164], v[165:166], v[163:164]
	v_fma_f64 v[165:166], -v[161:162], v[163:164], 1.0
	v_fma_f64 v[163:164], v[163:164], v[165:166], v[163:164]
	v_mul_f64 v[165:166], v[167:168], v[163:164]
	v_fma_f64 v[161:162], -v[161:162], v[165:166], v[167:168]
	v_div_fmas_f64 v[161:162], v[161:162], v[163:164], v[165:166]
	v_div_fixup_f64 v[161:162], v[161:162], v[148:149], v[146:147]
	v_fma_f64 v[146:147], v[146:147], v[161:162], v[148:149]
	v_div_scale_f64 v[148:149], null, v[146:147], v[146:147], 1.0
	v_rcp_f64_e32 v[163:164], v[148:149]
	v_fma_f64 v[165:166], -v[148:149], v[163:164], 1.0
	v_fma_f64 v[163:164], v[163:164], v[165:166], v[163:164]
	v_fma_f64 v[165:166], -v[148:149], v[163:164], 1.0
	v_fma_f64 v[163:164], v[163:164], v[165:166], v[163:164]
	v_div_scale_f64 v[165:166], vcc_lo, 1.0, v[146:147], 1.0
	v_mul_f64 v[167:168], v[165:166], v[163:164]
	v_fma_f64 v[148:149], -v[148:149], v[167:168], v[165:166]
	v_div_fmas_f64 v[148:149], v[148:149], v[163:164], v[167:168]
	v_div_fixup_f64 v[148:149], v[148:149], v[146:147], 1.0
	v_mul_f64 v[146:147], v[161:162], v[148:149]
	v_xor_b32_e32 v149, 0x80000000, v149
.LBB70_532:
	s_andn2_saveexec_b32 s1, s1
	s_cbranch_execz .LBB70_534
; %bb.533:
	v_div_scale_f64 v[161:162], null, v[146:147], v[146:147], v[148:149]
	v_div_scale_f64 v[167:168], vcc_lo, v[148:149], v[146:147], v[148:149]
	v_rcp_f64_e32 v[163:164], v[161:162]
	v_fma_f64 v[165:166], -v[161:162], v[163:164], 1.0
	v_fma_f64 v[163:164], v[163:164], v[165:166], v[163:164]
	v_fma_f64 v[165:166], -v[161:162], v[163:164], 1.0
	v_fma_f64 v[163:164], v[163:164], v[165:166], v[163:164]
	v_mul_f64 v[165:166], v[167:168], v[163:164]
	v_fma_f64 v[161:162], -v[161:162], v[165:166], v[167:168]
	v_div_fmas_f64 v[161:162], v[161:162], v[163:164], v[165:166]
	v_div_fixup_f64 v[161:162], v[161:162], v[146:147], v[148:149]
	v_fma_f64 v[146:147], v[148:149], v[161:162], v[146:147]
	v_div_scale_f64 v[148:149], null, v[146:147], v[146:147], 1.0
	v_rcp_f64_e32 v[163:164], v[148:149]
	v_fma_f64 v[165:166], -v[148:149], v[163:164], 1.0
	v_fma_f64 v[163:164], v[163:164], v[165:166], v[163:164]
	v_fma_f64 v[165:166], -v[148:149], v[163:164], 1.0
	v_fma_f64 v[163:164], v[163:164], v[165:166], v[163:164]
	v_div_scale_f64 v[165:166], vcc_lo, 1.0, v[146:147], 1.0
	v_mul_f64 v[167:168], v[165:166], v[163:164]
	v_fma_f64 v[148:149], -v[148:149], v[167:168], v[165:166]
	v_div_fmas_f64 v[148:149], v[148:149], v[163:164], v[167:168]
	v_div_fixup_f64 v[146:147], v[148:149], v[146:147], 1.0
	v_mul_f64 v[148:149], v[161:162], -v[146:147]
.LBB70_534:
	s_or_b32 exec_lo, exec_lo, s1
.LBB70_535:
	s_or_b32 exec_lo, exec_lo, s0
	s_mov_b32 s0, exec_lo
	v_cmpx_ne_u32_e64 v160, v154
	s_xor_b32 s0, exec_lo, s0
	s_cbranch_execz .LBB70_541
; %bb.536:
	s_mov_b32 s1, exec_lo
	v_cmpx_eq_u32_e32 25, v160
	s_cbranch_execz .LBB70_540
; %bb.537:
	v_cmp_ne_u32_e32 vcc_lo, 25, v154
	s_xor_b32 s2, s16, -1
	s_and_b32 s3, s2, vcc_lo
	s_and_saveexec_b32 s2, s3
	s_cbranch_execz .LBB70_539
; %bb.538:
	v_ashrrev_i32_e32 v155, 31, v154
	v_lshlrev_b64 v[160:161], 2, v[154:155]
	v_add_co_u32 v160, vcc_lo, v152, v160
	v_add_co_ci_u32_e64 v161, null, v153, v161, vcc_lo
	s_clause 0x1
	global_load_dword v0, v[160:161], off
	global_load_dword v155, v[152:153], off offset:100
	s_waitcnt vmcnt(1)
	global_store_dword v[152:153], v0, off offset:100
	s_waitcnt vmcnt(0)
	global_store_dword v[160:161], v155, off
.LBB70_539:
	s_or_b32 exec_lo, exec_lo, s2
	v_mov_b32_e32 v160, v154
	v_mov_b32_e32 v0, v154
.LBB70_540:
	s_or_b32 exec_lo, exec_lo, s1
.LBB70_541:
	s_andn2_saveexec_b32 s0, s0
	s_cbranch_execz .LBB70_543
; %bb.542:
	v_mov_b32_e32 v160, 25
	ds_write2_b64 v1, v[38:39], v[40:41] offset0:52 offset1:53
	ds_write2_b64 v1, v[34:35], v[36:37] offset0:54 offset1:55
	;; [unrolled: 1-line block ×10, first 2 shown]
.LBB70_543:
	s_or_b32 exec_lo, exec_lo, s0
	s_mov_b32 s0, exec_lo
	s_waitcnt lgkmcnt(0)
	s_waitcnt_vscnt null, 0x0
	s_barrier
	buffer_gl0_inv
	v_cmpx_lt_i32_e32 25, v160
	s_cbranch_execz .LBB70_545
; %bb.544:
	v_mul_f64 v[154:155], v[146:147], v[44:45]
	v_mul_f64 v[44:45], v[148:149], v[44:45]
	v_fma_f64 v[154:155], v[148:149], v[42:43], v[154:155]
	v_fma_f64 v[42:43], v[146:147], v[42:43], -v[44:45]
	ds_read2_b64 v[146:149], v1 offset0:52 offset1:53
	s_waitcnt lgkmcnt(0)
	v_mul_f64 v[44:45], v[148:149], v[154:155]
	v_fma_f64 v[44:45], v[146:147], v[42:43], -v[44:45]
	v_mul_f64 v[146:147], v[146:147], v[154:155]
	v_add_f64 v[38:39], v[38:39], -v[44:45]
	v_fma_f64 v[146:147], v[148:149], v[42:43], v[146:147]
	v_add_f64 v[40:41], v[40:41], -v[146:147]
	ds_read2_b64 v[146:149], v1 offset0:54 offset1:55
	s_waitcnt lgkmcnt(0)
	v_mul_f64 v[44:45], v[148:149], v[154:155]
	v_fma_f64 v[44:45], v[146:147], v[42:43], -v[44:45]
	v_mul_f64 v[146:147], v[146:147], v[154:155]
	v_add_f64 v[34:35], v[34:35], -v[44:45]
	v_fma_f64 v[146:147], v[148:149], v[42:43], v[146:147]
	v_add_f64 v[36:37], v[36:37], -v[146:147]
	;; [unrolled: 8-line block ×9, first 2 shown]
	ds_read2_b64 v[146:149], v1 offset0:70 offset1:71
	s_waitcnt lgkmcnt(0)
	v_mul_f64 v[44:45], v[148:149], v[154:155]
	v_fma_f64 v[44:45], v[146:147], v[42:43], -v[44:45]
	v_mul_f64 v[146:147], v[146:147], v[154:155]
	v_add_f64 v[2:3], v[2:3], -v[44:45]
	v_fma_f64 v[146:147], v[148:149], v[42:43], v[146:147]
	v_mov_b32_e32 v44, v154
	v_mov_b32_e32 v45, v155
	v_add_f64 v[4:5], v[4:5], -v[146:147]
.LBB70_545:
	s_or_b32 exec_lo, exec_lo, s0
	v_lshl_add_u32 v146, v160, 4, v1
	s_barrier
	buffer_gl0_inv
	v_mov_b32_e32 v154, 26
	ds_write2_b64 v146, v[38:39], v[40:41] offset1:1
	s_waitcnt lgkmcnt(0)
	s_barrier
	buffer_gl0_inv
	ds_read2_b64 v[146:149], v1 offset0:52 offset1:53
	s_cmp_lt_i32 s18, 28
	s_cbranch_scc1 .LBB70_548
; %bb.546:
	v_add3_u32 v155, v156, 0, 0x1b0
	v_mov_b32_e32 v154, 26
	s_mov_b32 s1, 27
	s_inst_prefetch 0x1
	.p2align	6
.LBB70_547:                             ; =>This Inner Loop Header: Depth=1
	s_waitcnt lgkmcnt(0)
	v_cmp_gt_f64_e32 vcc_lo, 0, v[148:149]
	v_cmp_gt_f64_e64 s0, 0, v[146:147]
	ds_read2_b64 v[161:164], v155 offset1:1
	v_xor_b32_e32 v166, 0x80000000, v147
	v_xor_b32_e32 v168, 0x80000000, v149
	v_mov_b32_e32 v165, v146
	v_mov_b32_e32 v167, v148
	v_add_nc_u32_e32 v155, 16, v155
	s_waitcnt lgkmcnt(0)
	v_xor_b32_e32 v170, 0x80000000, v164
	v_cndmask_b32_e64 v166, v147, v166, s0
	v_cndmask_b32_e32 v168, v149, v168, vcc_lo
	v_cmp_gt_f64_e32 vcc_lo, 0, v[163:164]
	v_cmp_gt_f64_e64 s0, 0, v[161:162]
	v_mov_b32_e32 v169, v163
	v_add_f64 v[165:166], v[165:166], v[167:168]
	v_xor_b32_e32 v168, 0x80000000, v162
	v_mov_b32_e32 v167, v161
	v_cndmask_b32_e32 v170, v164, v170, vcc_lo
	v_cndmask_b32_e64 v168, v162, v168, s0
	v_add_f64 v[167:168], v[167:168], v[169:170]
	v_cmp_lt_f64_e32 vcc_lo, v[165:166], v[167:168]
	v_cndmask_b32_e32 v147, v147, v162, vcc_lo
	v_cndmask_b32_e32 v146, v146, v161, vcc_lo
	;; [unrolled: 1-line block ×4, first 2 shown]
	v_cndmask_b32_e64 v154, v154, s1, vcc_lo
	s_add_i32 s1, s1, 1
	s_cmp_lg_u32 s18, s1
	s_cbranch_scc1 .LBB70_547
.LBB70_548:
	s_inst_prefetch 0x2
	s_waitcnt lgkmcnt(0)
	v_cmp_eq_f64_e32 vcc_lo, 0, v[146:147]
	v_cmp_eq_f64_e64 s0, 0, v[148:149]
	s_and_b32 s0, vcc_lo, s0
	s_and_saveexec_b32 s1, s0
	s_xor_b32 s0, exec_lo, s1
; %bb.549:
	v_cmp_ne_u32_e32 vcc_lo, 0, v159
	v_cndmask_b32_e32 v159, 27, v159, vcc_lo
; %bb.550:
	s_andn2_saveexec_b32 s0, s0
	s_cbranch_execz .LBB70_556
; %bb.551:
	v_cmp_ngt_f64_e64 s1, |v[146:147]|, |v[148:149]|
	s_and_saveexec_b32 s2, s1
	s_xor_b32 s1, exec_lo, s2
	s_cbranch_execz .LBB70_553
; %bb.552:
	v_div_scale_f64 v[161:162], null, v[148:149], v[148:149], v[146:147]
	v_div_scale_f64 v[167:168], vcc_lo, v[146:147], v[148:149], v[146:147]
	v_rcp_f64_e32 v[163:164], v[161:162]
	v_fma_f64 v[165:166], -v[161:162], v[163:164], 1.0
	v_fma_f64 v[163:164], v[163:164], v[165:166], v[163:164]
	v_fma_f64 v[165:166], -v[161:162], v[163:164], 1.0
	v_fma_f64 v[163:164], v[163:164], v[165:166], v[163:164]
	v_mul_f64 v[165:166], v[167:168], v[163:164]
	v_fma_f64 v[161:162], -v[161:162], v[165:166], v[167:168]
	v_div_fmas_f64 v[161:162], v[161:162], v[163:164], v[165:166]
	v_div_fixup_f64 v[161:162], v[161:162], v[148:149], v[146:147]
	v_fma_f64 v[146:147], v[146:147], v[161:162], v[148:149]
	v_div_scale_f64 v[148:149], null, v[146:147], v[146:147], 1.0
	v_rcp_f64_e32 v[163:164], v[148:149]
	v_fma_f64 v[165:166], -v[148:149], v[163:164], 1.0
	v_fma_f64 v[163:164], v[163:164], v[165:166], v[163:164]
	v_fma_f64 v[165:166], -v[148:149], v[163:164], 1.0
	v_fma_f64 v[163:164], v[163:164], v[165:166], v[163:164]
	v_div_scale_f64 v[165:166], vcc_lo, 1.0, v[146:147], 1.0
	v_mul_f64 v[167:168], v[165:166], v[163:164]
	v_fma_f64 v[148:149], -v[148:149], v[167:168], v[165:166]
	v_div_fmas_f64 v[148:149], v[148:149], v[163:164], v[167:168]
	v_div_fixup_f64 v[148:149], v[148:149], v[146:147], 1.0
	v_mul_f64 v[146:147], v[161:162], v[148:149]
	v_xor_b32_e32 v149, 0x80000000, v149
.LBB70_553:
	s_andn2_saveexec_b32 s1, s1
	s_cbranch_execz .LBB70_555
; %bb.554:
	v_div_scale_f64 v[161:162], null, v[146:147], v[146:147], v[148:149]
	v_div_scale_f64 v[167:168], vcc_lo, v[148:149], v[146:147], v[148:149]
	v_rcp_f64_e32 v[163:164], v[161:162]
	v_fma_f64 v[165:166], -v[161:162], v[163:164], 1.0
	v_fma_f64 v[163:164], v[163:164], v[165:166], v[163:164]
	v_fma_f64 v[165:166], -v[161:162], v[163:164], 1.0
	v_fma_f64 v[163:164], v[163:164], v[165:166], v[163:164]
	v_mul_f64 v[165:166], v[167:168], v[163:164]
	v_fma_f64 v[161:162], -v[161:162], v[165:166], v[167:168]
	v_div_fmas_f64 v[161:162], v[161:162], v[163:164], v[165:166]
	v_div_fixup_f64 v[161:162], v[161:162], v[146:147], v[148:149]
	v_fma_f64 v[146:147], v[148:149], v[161:162], v[146:147]
	v_div_scale_f64 v[148:149], null, v[146:147], v[146:147], 1.0
	v_rcp_f64_e32 v[163:164], v[148:149]
	v_fma_f64 v[165:166], -v[148:149], v[163:164], 1.0
	v_fma_f64 v[163:164], v[163:164], v[165:166], v[163:164]
	v_fma_f64 v[165:166], -v[148:149], v[163:164], 1.0
	v_fma_f64 v[163:164], v[163:164], v[165:166], v[163:164]
	v_div_scale_f64 v[165:166], vcc_lo, 1.0, v[146:147], 1.0
	v_mul_f64 v[167:168], v[165:166], v[163:164]
	v_fma_f64 v[148:149], -v[148:149], v[167:168], v[165:166]
	v_div_fmas_f64 v[148:149], v[148:149], v[163:164], v[167:168]
	v_div_fixup_f64 v[146:147], v[148:149], v[146:147], 1.0
	v_mul_f64 v[148:149], v[161:162], -v[146:147]
.LBB70_555:
	s_or_b32 exec_lo, exec_lo, s1
.LBB70_556:
	s_or_b32 exec_lo, exec_lo, s0
	s_mov_b32 s0, exec_lo
	v_cmpx_ne_u32_e64 v160, v154
	s_xor_b32 s0, exec_lo, s0
	s_cbranch_execz .LBB70_562
; %bb.557:
	s_mov_b32 s1, exec_lo
	v_cmpx_eq_u32_e32 26, v160
	s_cbranch_execz .LBB70_561
; %bb.558:
	v_cmp_ne_u32_e32 vcc_lo, 26, v154
	s_xor_b32 s2, s16, -1
	s_and_b32 s3, s2, vcc_lo
	s_and_saveexec_b32 s2, s3
	s_cbranch_execz .LBB70_560
; %bb.559:
	v_ashrrev_i32_e32 v155, 31, v154
	v_lshlrev_b64 v[160:161], 2, v[154:155]
	v_add_co_u32 v160, vcc_lo, v152, v160
	v_add_co_ci_u32_e64 v161, null, v153, v161, vcc_lo
	s_clause 0x1
	global_load_dword v0, v[160:161], off
	global_load_dword v155, v[152:153], off offset:104
	s_waitcnt vmcnt(1)
	global_store_dword v[152:153], v0, off offset:104
	s_waitcnt vmcnt(0)
	global_store_dword v[160:161], v155, off
.LBB70_560:
	s_or_b32 exec_lo, exec_lo, s2
	v_mov_b32_e32 v160, v154
	v_mov_b32_e32 v0, v154
.LBB70_561:
	s_or_b32 exec_lo, exec_lo, s1
.LBB70_562:
	s_andn2_saveexec_b32 s0, s0
	s_cbranch_execz .LBB70_564
; %bb.563:
	v_mov_b32_e32 v160, 26
	ds_write2_b64 v1, v[34:35], v[36:37] offset0:54 offset1:55
	ds_write2_b64 v1, v[30:31], v[32:33] offset0:56 offset1:57
	;; [unrolled: 1-line block ×9, first 2 shown]
.LBB70_564:
	s_or_b32 exec_lo, exec_lo, s0
	s_mov_b32 s0, exec_lo
	s_waitcnt lgkmcnt(0)
	s_waitcnt_vscnt null, 0x0
	s_barrier
	buffer_gl0_inv
	v_cmpx_lt_i32_e32 26, v160
	s_cbranch_execz .LBB70_566
; %bb.565:
	v_mul_f64 v[154:155], v[146:147], v[40:41]
	v_mul_f64 v[40:41], v[148:149], v[40:41]
	v_fma_f64 v[154:155], v[148:149], v[38:39], v[154:155]
	v_fma_f64 v[38:39], v[146:147], v[38:39], -v[40:41]
	ds_read2_b64 v[146:149], v1 offset0:54 offset1:55
	s_waitcnt lgkmcnt(0)
	v_mul_f64 v[40:41], v[148:149], v[154:155]
	v_fma_f64 v[40:41], v[146:147], v[38:39], -v[40:41]
	v_mul_f64 v[146:147], v[146:147], v[154:155]
	v_add_f64 v[34:35], v[34:35], -v[40:41]
	v_fma_f64 v[146:147], v[148:149], v[38:39], v[146:147]
	v_add_f64 v[36:37], v[36:37], -v[146:147]
	ds_read2_b64 v[146:149], v1 offset0:56 offset1:57
	s_waitcnt lgkmcnt(0)
	v_mul_f64 v[40:41], v[148:149], v[154:155]
	v_fma_f64 v[40:41], v[146:147], v[38:39], -v[40:41]
	v_mul_f64 v[146:147], v[146:147], v[154:155]
	v_add_f64 v[30:31], v[30:31], -v[40:41]
	v_fma_f64 v[146:147], v[148:149], v[38:39], v[146:147]
	v_add_f64 v[32:33], v[32:33], -v[146:147]
	;; [unrolled: 8-line block ×8, first 2 shown]
	ds_read2_b64 v[146:149], v1 offset0:70 offset1:71
	s_waitcnt lgkmcnt(0)
	v_mul_f64 v[40:41], v[148:149], v[154:155]
	v_fma_f64 v[40:41], v[146:147], v[38:39], -v[40:41]
	v_mul_f64 v[146:147], v[146:147], v[154:155]
	v_add_f64 v[2:3], v[2:3], -v[40:41]
	v_fma_f64 v[146:147], v[148:149], v[38:39], v[146:147]
	v_mov_b32_e32 v40, v154
	v_mov_b32_e32 v41, v155
	v_add_f64 v[4:5], v[4:5], -v[146:147]
.LBB70_566:
	s_or_b32 exec_lo, exec_lo, s0
	v_lshl_add_u32 v146, v160, 4, v1
	s_barrier
	buffer_gl0_inv
	v_mov_b32_e32 v154, 27
	ds_write2_b64 v146, v[34:35], v[36:37] offset1:1
	s_waitcnt lgkmcnt(0)
	s_barrier
	buffer_gl0_inv
	ds_read2_b64 v[146:149], v1 offset0:54 offset1:55
	s_cmp_lt_i32 s18, 29
	s_cbranch_scc1 .LBB70_569
; %bb.567:
	v_add3_u32 v155, v156, 0, 0x1c0
	v_mov_b32_e32 v154, 27
	s_mov_b32 s1, 28
	s_inst_prefetch 0x1
	.p2align	6
.LBB70_568:                             ; =>This Inner Loop Header: Depth=1
	s_waitcnt lgkmcnt(0)
	v_cmp_gt_f64_e32 vcc_lo, 0, v[148:149]
	v_cmp_gt_f64_e64 s0, 0, v[146:147]
	ds_read2_b64 v[161:164], v155 offset1:1
	v_xor_b32_e32 v166, 0x80000000, v147
	v_xor_b32_e32 v168, 0x80000000, v149
	v_mov_b32_e32 v165, v146
	v_mov_b32_e32 v167, v148
	v_add_nc_u32_e32 v155, 16, v155
	s_waitcnt lgkmcnt(0)
	v_xor_b32_e32 v170, 0x80000000, v164
	v_cndmask_b32_e64 v166, v147, v166, s0
	v_cndmask_b32_e32 v168, v149, v168, vcc_lo
	v_cmp_gt_f64_e32 vcc_lo, 0, v[163:164]
	v_cmp_gt_f64_e64 s0, 0, v[161:162]
	v_mov_b32_e32 v169, v163
	v_add_f64 v[165:166], v[165:166], v[167:168]
	v_xor_b32_e32 v168, 0x80000000, v162
	v_mov_b32_e32 v167, v161
	v_cndmask_b32_e32 v170, v164, v170, vcc_lo
	v_cndmask_b32_e64 v168, v162, v168, s0
	v_add_f64 v[167:168], v[167:168], v[169:170]
	v_cmp_lt_f64_e32 vcc_lo, v[165:166], v[167:168]
	v_cndmask_b32_e32 v147, v147, v162, vcc_lo
	v_cndmask_b32_e32 v146, v146, v161, vcc_lo
	;; [unrolled: 1-line block ×4, first 2 shown]
	v_cndmask_b32_e64 v154, v154, s1, vcc_lo
	s_add_i32 s1, s1, 1
	s_cmp_lg_u32 s18, s1
	s_cbranch_scc1 .LBB70_568
.LBB70_569:
	s_inst_prefetch 0x2
	s_waitcnt lgkmcnt(0)
	v_cmp_eq_f64_e32 vcc_lo, 0, v[146:147]
	v_cmp_eq_f64_e64 s0, 0, v[148:149]
	s_and_b32 s0, vcc_lo, s0
	s_and_saveexec_b32 s1, s0
	s_xor_b32 s0, exec_lo, s1
; %bb.570:
	v_cmp_ne_u32_e32 vcc_lo, 0, v159
	v_cndmask_b32_e32 v159, 28, v159, vcc_lo
; %bb.571:
	s_andn2_saveexec_b32 s0, s0
	s_cbranch_execz .LBB70_577
; %bb.572:
	v_cmp_ngt_f64_e64 s1, |v[146:147]|, |v[148:149]|
	s_and_saveexec_b32 s2, s1
	s_xor_b32 s1, exec_lo, s2
	s_cbranch_execz .LBB70_574
; %bb.573:
	v_div_scale_f64 v[161:162], null, v[148:149], v[148:149], v[146:147]
	v_div_scale_f64 v[167:168], vcc_lo, v[146:147], v[148:149], v[146:147]
	v_rcp_f64_e32 v[163:164], v[161:162]
	v_fma_f64 v[165:166], -v[161:162], v[163:164], 1.0
	v_fma_f64 v[163:164], v[163:164], v[165:166], v[163:164]
	v_fma_f64 v[165:166], -v[161:162], v[163:164], 1.0
	v_fma_f64 v[163:164], v[163:164], v[165:166], v[163:164]
	v_mul_f64 v[165:166], v[167:168], v[163:164]
	v_fma_f64 v[161:162], -v[161:162], v[165:166], v[167:168]
	v_div_fmas_f64 v[161:162], v[161:162], v[163:164], v[165:166]
	v_div_fixup_f64 v[161:162], v[161:162], v[148:149], v[146:147]
	v_fma_f64 v[146:147], v[146:147], v[161:162], v[148:149]
	v_div_scale_f64 v[148:149], null, v[146:147], v[146:147], 1.0
	v_rcp_f64_e32 v[163:164], v[148:149]
	v_fma_f64 v[165:166], -v[148:149], v[163:164], 1.0
	v_fma_f64 v[163:164], v[163:164], v[165:166], v[163:164]
	v_fma_f64 v[165:166], -v[148:149], v[163:164], 1.0
	v_fma_f64 v[163:164], v[163:164], v[165:166], v[163:164]
	v_div_scale_f64 v[165:166], vcc_lo, 1.0, v[146:147], 1.0
	v_mul_f64 v[167:168], v[165:166], v[163:164]
	v_fma_f64 v[148:149], -v[148:149], v[167:168], v[165:166]
	v_div_fmas_f64 v[148:149], v[148:149], v[163:164], v[167:168]
	v_div_fixup_f64 v[148:149], v[148:149], v[146:147], 1.0
	v_mul_f64 v[146:147], v[161:162], v[148:149]
	v_xor_b32_e32 v149, 0x80000000, v149
.LBB70_574:
	s_andn2_saveexec_b32 s1, s1
	s_cbranch_execz .LBB70_576
; %bb.575:
	v_div_scale_f64 v[161:162], null, v[146:147], v[146:147], v[148:149]
	v_div_scale_f64 v[167:168], vcc_lo, v[148:149], v[146:147], v[148:149]
	v_rcp_f64_e32 v[163:164], v[161:162]
	v_fma_f64 v[165:166], -v[161:162], v[163:164], 1.0
	v_fma_f64 v[163:164], v[163:164], v[165:166], v[163:164]
	v_fma_f64 v[165:166], -v[161:162], v[163:164], 1.0
	v_fma_f64 v[163:164], v[163:164], v[165:166], v[163:164]
	v_mul_f64 v[165:166], v[167:168], v[163:164]
	v_fma_f64 v[161:162], -v[161:162], v[165:166], v[167:168]
	v_div_fmas_f64 v[161:162], v[161:162], v[163:164], v[165:166]
	v_div_fixup_f64 v[161:162], v[161:162], v[146:147], v[148:149]
	v_fma_f64 v[146:147], v[148:149], v[161:162], v[146:147]
	v_div_scale_f64 v[148:149], null, v[146:147], v[146:147], 1.0
	v_rcp_f64_e32 v[163:164], v[148:149]
	v_fma_f64 v[165:166], -v[148:149], v[163:164], 1.0
	v_fma_f64 v[163:164], v[163:164], v[165:166], v[163:164]
	v_fma_f64 v[165:166], -v[148:149], v[163:164], 1.0
	v_fma_f64 v[163:164], v[163:164], v[165:166], v[163:164]
	v_div_scale_f64 v[165:166], vcc_lo, 1.0, v[146:147], 1.0
	v_mul_f64 v[167:168], v[165:166], v[163:164]
	v_fma_f64 v[148:149], -v[148:149], v[167:168], v[165:166]
	v_div_fmas_f64 v[148:149], v[148:149], v[163:164], v[167:168]
	v_div_fixup_f64 v[146:147], v[148:149], v[146:147], 1.0
	v_mul_f64 v[148:149], v[161:162], -v[146:147]
.LBB70_576:
	s_or_b32 exec_lo, exec_lo, s1
.LBB70_577:
	s_or_b32 exec_lo, exec_lo, s0
	s_mov_b32 s0, exec_lo
	v_cmpx_ne_u32_e64 v160, v154
	s_xor_b32 s0, exec_lo, s0
	s_cbranch_execz .LBB70_583
; %bb.578:
	s_mov_b32 s1, exec_lo
	v_cmpx_eq_u32_e32 27, v160
	s_cbranch_execz .LBB70_582
; %bb.579:
	v_cmp_ne_u32_e32 vcc_lo, 27, v154
	s_xor_b32 s2, s16, -1
	s_and_b32 s3, s2, vcc_lo
	s_and_saveexec_b32 s2, s3
	s_cbranch_execz .LBB70_581
; %bb.580:
	v_ashrrev_i32_e32 v155, 31, v154
	v_lshlrev_b64 v[160:161], 2, v[154:155]
	v_add_co_u32 v160, vcc_lo, v152, v160
	v_add_co_ci_u32_e64 v161, null, v153, v161, vcc_lo
	s_clause 0x1
	global_load_dword v0, v[160:161], off
	global_load_dword v155, v[152:153], off offset:108
	s_waitcnt vmcnt(1)
	global_store_dword v[152:153], v0, off offset:108
	s_waitcnt vmcnt(0)
	global_store_dword v[160:161], v155, off
.LBB70_581:
	s_or_b32 exec_lo, exec_lo, s2
	v_mov_b32_e32 v160, v154
	v_mov_b32_e32 v0, v154
.LBB70_582:
	s_or_b32 exec_lo, exec_lo, s1
.LBB70_583:
	s_andn2_saveexec_b32 s0, s0
	s_cbranch_execz .LBB70_585
; %bb.584:
	v_mov_b32_e32 v160, 27
	ds_write2_b64 v1, v[30:31], v[32:33] offset0:56 offset1:57
	ds_write2_b64 v1, v[26:27], v[28:29] offset0:58 offset1:59
	ds_write2_b64 v1, v[22:23], v[24:25] offset0:60 offset1:61
	ds_write2_b64 v1, v[18:19], v[20:21] offset0:62 offset1:63
	ds_write2_b64 v1, v[14:15], v[16:17] offset0:64 offset1:65
	ds_write2_b64 v1, v[10:11], v[12:13] offset0:66 offset1:67
	ds_write2_b64 v1, v[6:7], v[8:9] offset0:68 offset1:69
	ds_write2_b64 v1, v[2:3], v[4:5] offset0:70 offset1:71
.LBB70_585:
	s_or_b32 exec_lo, exec_lo, s0
	s_mov_b32 s0, exec_lo
	s_waitcnt lgkmcnt(0)
	s_waitcnt_vscnt null, 0x0
	s_barrier
	buffer_gl0_inv
	v_cmpx_lt_i32_e32 27, v160
	s_cbranch_execz .LBB70_587
; %bb.586:
	v_mul_f64 v[154:155], v[146:147], v[36:37]
	v_mul_f64 v[36:37], v[148:149], v[36:37]
	v_fma_f64 v[154:155], v[148:149], v[34:35], v[154:155]
	v_fma_f64 v[34:35], v[146:147], v[34:35], -v[36:37]
	ds_read2_b64 v[146:149], v1 offset0:56 offset1:57
	s_waitcnt lgkmcnt(0)
	v_mul_f64 v[36:37], v[148:149], v[154:155]
	v_fma_f64 v[36:37], v[146:147], v[34:35], -v[36:37]
	v_mul_f64 v[146:147], v[146:147], v[154:155]
	v_add_f64 v[30:31], v[30:31], -v[36:37]
	v_fma_f64 v[146:147], v[148:149], v[34:35], v[146:147]
	v_add_f64 v[32:33], v[32:33], -v[146:147]
	ds_read2_b64 v[146:149], v1 offset0:58 offset1:59
	s_waitcnt lgkmcnt(0)
	v_mul_f64 v[36:37], v[148:149], v[154:155]
	v_fma_f64 v[36:37], v[146:147], v[34:35], -v[36:37]
	v_mul_f64 v[146:147], v[146:147], v[154:155]
	v_add_f64 v[26:27], v[26:27], -v[36:37]
	v_fma_f64 v[146:147], v[148:149], v[34:35], v[146:147]
	v_add_f64 v[28:29], v[28:29], -v[146:147]
	;; [unrolled: 8-line block ×7, first 2 shown]
	ds_read2_b64 v[146:149], v1 offset0:70 offset1:71
	s_waitcnt lgkmcnt(0)
	v_mul_f64 v[36:37], v[148:149], v[154:155]
	v_fma_f64 v[36:37], v[146:147], v[34:35], -v[36:37]
	v_mul_f64 v[146:147], v[146:147], v[154:155]
	v_add_f64 v[2:3], v[2:3], -v[36:37]
	v_fma_f64 v[146:147], v[148:149], v[34:35], v[146:147]
	v_mov_b32_e32 v36, v154
	v_mov_b32_e32 v37, v155
	v_add_f64 v[4:5], v[4:5], -v[146:147]
.LBB70_587:
	s_or_b32 exec_lo, exec_lo, s0
	v_lshl_add_u32 v146, v160, 4, v1
	s_barrier
	buffer_gl0_inv
	v_mov_b32_e32 v154, 28
	ds_write2_b64 v146, v[30:31], v[32:33] offset1:1
	s_waitcnt lgkmcnt(0)
	s_barrier
	buffer_gl0_inv
	ds_read2_b64 v[146:149], v1 offset0:56 offset1:57
	s_cmp_lt_i32 s18, 30
	s_cbranch_scc1 .LBB70_590
; %bb.588:
	v_add3_u32 v155, v156, 0, 0x1d0
	v_mov_b32_e32 v154, 28
	s_mov_b32 s1, 29
	s_inst_prefetch 0x1
	.p2align	6
.LBB70_589:                             ; =>This Inner Loop Header: Depth=1
	s_waitcnt lgkmcnt(0)
	v_cmp_gt_f64_e32 vcc_lo, 0, v[148:149]
	v_cmp_gt_f64_e64 s0, 0, v[146:147]
	ds_read2_b64 v[161:164], v155 offset1:1
	v_xor_b32_e32 v166, 0x80000000, v147
	v_xor_b32_e32 v168, 0x80000000, v149
	v_mov_b32_e32 v165, v146
	v_mov_b32_e32 v167, v148
	v_add_nc_u32_e32 v155, 16, v155
	s_waitcnt lgkmcnt(0)
	v_xor_b32_e32 v170, 0x80000000, v164
	v_cndmask_b32_e64 v166, v147, v166, s0
	v_cndmask_b32_e32 v168, v149, v168, vcc_lo
	v_cmp_gt_f64_e32 vcc_lo, 0, v[163:164]
	v_cmp_gt_f64_e64 s0, 0, v[161:162]
	v_mov_b32_e32 v169, v163
	v_add_f64 v[165:166], v[165:166], v[167:168]
	v_xor_b32_e32 v168, 0x80000000, v162
	v_mov_b32_e32 v167, v161
	v_cndmask_b32_e32 v170, v164, v170, vcc_lo
	v_cndmask_b32_e64 v168, v162, v168, s0
	v_add_f64 v[167:168], v[167:168], v[169:170]
	v_cmp_lt_f64_e32 vcc_lo, v[165:166], v[167:168]
	v_cndmask_b32_e32 v147, v147, v162, vcc_lo
	v_cndmask_b32_e32 v146, v146, v161, vcc_lo
	;; [unrolled: 1-line block ×4, first 2 shown]
	v_cndmask_b32_e64 v154, v154, s1, vcc_lo
	s_add_i32 s1, s1, 1
	s_cmp_lg_u32 s18, s1
	s_cbranch_scc1 .LBB70_589
.LBB70_590:
	s_inst_prefetch 0x2
	s_waitcnt lgkmcnt(0)
	v_cmp_eq_f64_e32 vcc_lo, 0, v[146:147]
	v_cmp_eq_f64_e64 s0, 0, v[148:149]
	s_and_b32 s0, vcc_lo, s0
	s_and_saveexec_b32 s1, s0
	s_xor_b32 s0, exec_lo, s1
; %bb.591:
	v_cmp_ne_u32_e32 vcc_lo, 0, v159
	v_cndmask_b32_e32 v159, 29, v159, vcc_lo
; %bb.592:
	s_andn2_saveexec_b32 s0, s0
	s_cbranch_execz .LBB70_598
; %bb.593:
	v_cmp_ngt_f64_e64 s1, |v[146:147]|, |v[148:149]|
	s_and_saveexec_b32 s2, s1
	s_xor_b32 s1, exec_lo, s2
	s_cbranch_execz .LBB70_595
; %bb.594:
	v_div_scale_f64 v[161:162], null, v[148:149], v[148:149], v[146:147]
	v_div_scale_f64 v[167:168], vcc_lo, v[146:147], v[148:149], v[146:147]
	v_rcp_f64_e32 v[163:164], v[161:162]
	v_fma_f64 v[165:166], -v[161:162], v[163:164], 1.0
	v_fma_f64 v[163:164], v[163:164], v[165:166], v[163:164]
	v_fma_f64 v[165:166], -v[161:162], v[163:164], 1.0
	v_fma_f64 v[163:164], v[163:164], v[165:166], v[163:164]
	v_mul_f64 v[165:166], v[167:168], v[163:164]
	v_fma_f64 v[161:162], -v[161:162], v[165:166], v[167:168]
	v_div_fmas_f64 v[161:162], v[161:162], v[163:164], v[165:166]
	v_div_fixup_f64 v[161:162], v[161:162], v[148:149], v[146:147]
	v_fma_f64 v[146:147], v[146:147], v[161:162], v[148:149]
	v_div_scale_f64 v[148:149], null, v[146:147], v[146:147], 1.0
	v_rcp_f64_e32 v[163:164], v[148:149]
	v_fma_f64 v[165:166], -v[148:149], v[163:164], 1.0
	v_fma_f64 v[163:164], v[163:164], v[165:166], v[163:164]
	v_fma_f64 v[165:166], -v[148:149], v[163:164], 1.0
	v_fma_f64 v[163:164], v[163:164], v[165:166], v[163:164]
	v_div_scale_f64 v[165:166], vcc_lo, 1.0, v[146:147], 1.0
	v_mul_f64 v[167:168], v[165:166], v[163:164]
	v_fma_f64 v[148:149], -v[148:149], v[167:168], v[165:166]
	v_div_fmas_f64 v[148:149], v[148:149], v[163:164], v[167:168]
	v_div_fixup_f64 v[148:149], v[148:149], v[146:147], 1.0
	v_mul_f64 v[146:147], v[161:162], v[148:149]
	v_xor_b32_e32 v149, 0x80000000, v149
.LBB70_595:
	s_andn2_saveexec_b32 s1, s1
	s_cbranch_execz .LBB70_597
; %bb.596:
	v_div_scale_f64 v[161:162], null, v[146:147], v[146:147], v[148:149]
	v_div_scale_f64 v[167:168], vcc_lo, v[148:149], v[146:147], v[148:149]
	v_rcp_f64_e32 v[163:164], v[161:162]
	v_fma_f64 v[165:166], -v[161:162], v[163:164], 1.0
	v_fma_f64 v[163:164], v[163:164], v[165:166], v[163:164]
	v_fma_f64 v[165:166], -v[161:162], v[163:164], 1.0
	v_fma_f64 v[163:164], v[163:164], v[165:166], v[163:164]
	v_mul_f64 v[165:166], v[167:168], v[163:164]
	v_fma_f64 v[161:162], -v[161:162], v[165:166], v[167:168]
	v_div_fmas_f64 v[161:162], v[161:162], v[163:164], v[165:166]
	v_div_fixup_f64 v[161:162], v[161:162], v[146:147], v[148:149]
	v_fma_f64 v[146:147], v[148:149], v[161:162], v[146:147]
	v_div_scale_f64 v[148:149], null, v[146:147], v[146:147], 1.0
	v_rcp_f64_e32 v[163:164], v[148:149]
	v_fma_f64 v[165:166], -v[148:149], v[163:164], 1.0
	v_fma_f64 v[163:164], v[163:164], v[165:166], v[163:164]
	v_fma_f64 v[165:166], -v[148:149], v[163:164], 1.0
	v_fma_f64 v[163:164], v[163:164], v[165:166], v[163:164]
	v_div_scale_f64 v[165:166], vcc_lo, 1.0, v[146:147], 1.0
	v_mul_f64 v[167:168], v[165:166], v[163:164]
	v_fma_f64 v[148:149], -v[148:149], v[167:168], v[165:166]
	v_div_fmas_f64 v[148:149], v[148:149], v[163:164], v[167:168]
	v_div_fixup_f64 v[146:147], v[148:149], v[146:147], 1.0
	v_mul_f64 v[148:149], v[161:162], -v[146:147]
.LBB70_597:
	s_or_b32 exec_lo, exec_lo, s1
.LBB70_598:
	s_or_b32 exec_lo, exec_lo, s0
	s_mov_b32 s0, exec_lo
	v_cmpx_ne_u32_e64 v160, v154
	s_xor_b32 s0, exec_lo, s0
	s_cbranch_execz .LBB70_604
; %bb.599:
	s_mov_b32 s1, exec_lo
	v_cmpx_eq_u32_e32 28, v160
	s_cbranch_execz .LBB70_603
; %bb.600:
	v_cmp_ne_u32_e32 vcc_lo, 28, v154
	s_xor_b32 s2, s16, -1
	s_and_b32 s3, s2, vcc_lo
	s_and_saveexec_b32 s2, s3
	s_cbranch_execz .LBB70_602
; %bb.601:
	v_ashrrev_i32_e32 v155, 31, v154
	v_lshlrev_b64 v[160:161], 2, v[154:155]
	v_add_co_u32 v160, vcc_lo, v152, v160
	v_add_co_ci_u32_e64 v161, null, v153, v161, vcc_lo
	s_clause 0x1
	global_load_dword v0, v[160:161], off
	global_load_dword v155, v[152:153], off offset:112
	s_waitcnt vmcnt(1)
	global_store_dword v[152:153], v0, off offset:112
	s_waitcnt vmcnt(0)
	global_store_dword v[160:161], v155, off
.LBB70_602:
	s_or_b32 exec_lo, exec_lo, s2
	v_mov_b32_e32 v160, v154
	v_mov_b32_e32 v0, v154
.LBB70_603:
	s_or_b32 exec_lo, exec_lo, s1
.LBB70_604:
	s_andn2_saveexec_b32 s0, s0
	s_cbranch_execz .LBB70_606
; %bb.605:
	v_mov_b32_e32 v160, 28
	ds_write2_b64 v1, v[26:27], v[28:29] offset0:58 offset1:59
	ds_write2_b64 v1, v[22:23], v[24:25] offset0:60 offset1:61
	;; [unrolled: 1-line block ×7, first 2 shown]
.LBB70_606:
	s_or_b32 exec_lo, exec_lo, s0
	s_mov_b32 s0, exec_lo
	s_waitcnt lgkmcnt(0)
	s_waitcnt_vscnt null, 0x0
	s_barrier
	buffer_gl0_inv
	v_cmpx_lt_i32_e32 28, v160
	s_cbranch_execz .LBB70_608
; %bb.607:
	v_mul_f64 v[154:155], v[146:147], v[32:33]
	v_mul_f64 v[32:33], v[148:149], v[32:33]
	v_fma_f64 v[154:155], v[148:149], v[30:31], v[154:155]
	v_fma_f64 v[30:31], v[146:147], v[30:31], -v[32:33]
	ds_read2_b64 v[146:149], v1 offset0:58 offset1:59
	s_waitcnt lgkmcnt(0)
	v_mul_f64 v[32:33], v[148:149], v[154:155]
	v_fma_f64 v[32:33], v[146:147], v[30:31], -v[32:33]
	v_mul_f64 v[146:147], v[146:147], v[154:155]
	v_add_f64 v[26:27], v[26:27], -v[32:33]
	v_fma_f64 v[146:147], v[148:149], v[30:31], v[146:147]
	v_add_f64 v[28:29], v[28:29], -v[146:147]
	ds_read2_b64 v[146:149], v1 offset0:60 offset1:61
	s_waitcnt lgkmcnt(0)
	v_mul_f64 v[32:33], v[148:149], v[154:155]
	v_fma_f64 v[32:33], v[146:147], v[30:31], -v[32:33]
	v_mul_f64 v[146:147], v[146:147], v[154:155]
	v_add_f64 v[22:23], v[22:23], -v[32:33]
	v_fma_f64 v[146:147], v[148:149], v[30:31], v[146:147]
	v_add_f64 v[24:25], v[24:25], -v[146:147]
	;; [unrolled: 8-line block ×6, first 2 shown]
	ds_read2_b64 v[146:149], v1 offset0:70 offset1:71
	s_waitcnt lgkmcnt(0)
	v_mul_f64 v[32:33], v[148:149], v[154:155]
	v_fma_f64 v[32:33], v[146:147], v[30:31], -v[32:33]
	v_mul_f64 v[146:147], v[146:147], v[154:155]
	v_add_f64 v[2:3], v[2:3], -v[32:33]
	v_fma_f64 v[146:147], v[148:149], v[30:31], v[146:147]
	v_mov_b32_e32 v32, v154
	v_mov_b32_e32 v33, v155
	v_add_f64 v[4:5], v[4:5], -v[146:147]
.LBB70_608:
	s_or_b32 exec_lo, exec_lo, s0
	v_lshl_add_u32 v146, v160, 4, v1
	s_barrier
	buffer_gl0_inv
	v_mov_b32_e32 v154, 29
	ds_write2_b64 v146, v[26:27], v[28:29] offset1:1
	s_waitcnt lgkmcnt(0)
	s_barrier
	buffer_gl0_inv
	ds_read2_b64 v[146:149], v1 offset0:58 offset1:59
	s_cmp_lt_i32 s18, 31
	s_cbranch_scc1 .LBB70_611
; %bb.609:
	v_add3_u32 v155, v156, 0, 0x1e0
	v_mov_b32_e32 v154, 29
	s_mov_b32 s1, 30
	s_inst_prefetch 0x1
	.p2align	6
.LBB70_610:                             ; =>This Inner Loop Header: Depth=1
	s_waitcnt lgkmcnt(0)
	v_cmp_gt_f64_e32 vcc_lo, 0, v[148:149]
	v_cmp_gt_f64_e64 s0, 0, v[146:147]
	ds_read2_b64 v[161:164], v155 offset1:1
	v_xor_b32_e32 v166, 0x80000000, v147
	v_xor_b32_e32 v168, 0x80000000, v149
	v_mov_b32_e32 v165, v146
	v_mov_b32_e32 v167, v148
	v_add_nc_u32_e32 v155, 16, v155
	s_waitcnt lgkmcnt(0)
	v_xor_b32_e32 v170, 0x80000000, v164
	v_cndmask_b32_e64 v166, v147, v166, s0
	v_cndmask_b32_e32 v168, v149, v168, vcc_lo
	v_cmp_gt_f64_e32 vcc_lo, 0, v[163:164]
	v_cmp_gt_f64_e64 s0, 0, v[161:162]
	v_mov_b32_e32 v169, v163
	v_add_f64 v[165:166], v[165:166], v[167:168]
	v_xor_b32_e32 v168, 0x80000000, v162
	v_mov_b32_e32 v167, v161
	v_cndmask_b32_e32 v170, v164, v170, vcc_lo
	v_cndmask_b32_e64 v168, v162, v168, s0
	v_add_f64 v[167:168], v[167:168], v[169:170]
	v_cmp_lt_f64_e32 vcc_lo, v[165:166], v[167:168]
	v_cndmask_b32_e32 v147, v147, v162, vcc_lo
	v_cndmask_b32_e32 v146, v146, v161, vcc_lo
	;; [unrolled: 1-line block ×4, first 2 shown]
	v_cndmask_b32_e64 v154, v154, s1, vcc_lo
	s_add_i32 s1, s1, 1
	s_cmp_lg_u32 s18, s1
	s_cbranch_scc1 .LBB70_610
.LBB70_611:
	s_inst_prefetch 0x2
	s_waitcnt lgkmcnt(0)
	v_cmp_eq_f64_e32 vcc_lo, 0, v[146:147]
	v_cmp_eq_f64_e64 s0, 0, v[148:149]
	s_and_b32 s0, vcc_lo, s0
	s_and_saveexec_b32 s1, s0
	s_xor_b32 s0, exec_lo, s1
; %bb.612:
	v_cmp_ne_u32_e32 vcc_lo, 0, v159
	v_cndmask_b32_e32 v159, 30, v159, vcc_lo
; %bb.613:
	s_andn2_saveexec_b32 s0, s0
	s_cbranch_execz .LBB70_619
; %bb.614:
	v_cmp_ngt_f64_e64 s1, |v[146:147]|, |v[148:149]|
	s_and_saveexec_b32 s2, s1
	s_xor_b32 s1, exec_lo, s2
	s_cbranch_execz .LBB70_616
; %bb.615:
	v_div_scale_f64 v[161:162], null, v[148:149], v[148:149], v[146:147]
	v_div_scale_f64 v[167:168], vcc_lo, v[146:147], v[148:149], v[146:147]
	v_rcp_f64_e32 v[163:164], v[161:162]
	v_fma_f64 v[165:166], -v[161:162], v[163:164], 1.0
	v_fma_f64 v[163:164], v[163:164], v[165:166], v[163:164]
	v_fma_f64 v[165:166], -v[161:162], v[163:164], 1.0
	v_fma_f64 v[163:164], v[163:164], v[165:166], v[163:164]
	v_mul_f64 v[165:166], v[167:168], v[163:164]
	v_fma_f64 v[161:162], -v[161:162], v[165:166], v[167:168]
	v_div_fmas_f64 v[161:162], v[161:162], v[163:164], v[165:166]
	v_div_fixup_f64 v[161:162], v[161:162], v[148:149], v[146:147]
	v_fma_f64 v[146:147], v[146:147], v[161:162], v[148:149]
	v_div_scale_f64 v[148:149], null, v[146:147], v[146:147], 1.0
	v_rcp_f64_e32 v[163:164], v[148:149]
	v_fma_f64 v[165:166], -v[148:149], v[163:164], 1.0
	v_fma_f64 v[163:164], v[163:164], v[165:166], v[163:164]
	v_fma_f64 v[165:166], -v[148:149], v[163:164], 1.0
	v_fma_f64 v[163:164], v[163:164], v[165:166], v[163:164]
	v_div_scale_f64 v[165:166], vcc_lo, 1.0, v[146:147], 1.0
	v_mul_f64 v[167:168], v[165:166], v[163:164]
	v_fma_f64 v[148:149], -v[148:149], v[167:168], v[165:166]
	v_div_fmas_f64 v[148:149], v[148:149], v[163:164], v[167:168]
	v_div_fixup_f64 v[148:149], v[148:149], v[146:147], 1.0
	v_mul_f64 v[146:147], v[161:162], v[148:149]
	v_xor_b32_e32 v149, 0x80000000, v149
.LBB70_616:
	s_andn2_saveexec_b32 s1, s1
	s_cbranch_execz .LBB70_618
; %bb.617:
	v_div_scale_f64 v[161:162], null, v[146:147], v[146:147], v[148:149]
	v_div_scale_f64 v[167:168], vcc_lo, v[148:149], v[146:147], v[148:149]
	v_rcp_f64_e32 v[163:164], v[161:162]
	v_fma_f64 v[165:166], -v[161:162], v[163:164], 1.0
	v_fma_f64 v[163:164], v[163:164], v[165:166], v[163:164]
	v_fma_f64 v[165:166], -v[161:162], v[163:164], 1.0
	v_fma_f64 v[163:164], v[163:164], v[165:166], v[163:164]
	v_mul_f64 v[165:166], v[167:168], v[163:164]
	v_fma_f64 v[161:162], -v[161:162], v[165:166], v[167:168]
	v_div_fmas_f64 v[161:162], v[161:162], v[163:164], v[165:166]
	v_div_fixup_f64 v[161:162], v[161:162], v[146:147], v[148:149]
	v_fma_f64 v[146:147], v[148:149], v[161:162], v[146:147]
	v_div_scale_f64 v[148:149], null, v[146:147], v[146:147], 1.0
	v_rcp_f64_e32 v[163:164], v[148:149]
	v_fma_f64 v[165:166], -v[148:149], v[163:164], 1.0
	v_fma_f64 v[163:164], v[163:164], v[165:166], v[163:164]
	v_fma_f64 v[165:166], -v[148:149], v[163:164], 1.0
	v_fma_f64 v[163:164], v[163:164], v[165:166], v[163:164]
	v_div_scale_f64 v[165:166], vcc_lo, 1.0, v[146:147], 1.0
	v_mul_f64 v[167:168], v[165:166], v[163:164]
	v_fma_f64 v[148:149], -v[148:149], v[167:168], v[165:166]
	v_div_fmas_f64 v[148:149], v[148:149], v[163:164], v[167:168]
	v_div_fixup_f64 v[146:147], v[148:149], v[146:147], 1.0
	v_mul_f64 v[148:149], v[161:162], -v[146:147]
.LBB70_618:
	s_or_b32 exec_lo, exec_lo, s1
.LBB70_619:
	s_or_b32 exec_lo, exec_lo, s0
	s_mov_b32 s0, exec_lo
	v_cmpx_ne_u32_e64 v160, v154
	s_xor_b32 s0, exec_lo, s0
	s_cbranch_execz .LBB70_625
; %bb.620:
	s_mov_b32 s1, exec_lo
	v_cmpx_eq_u32_e32 29, v160
	s_cbranch_execz .LBB70_624
; %bb.621:
	v_cmp_ne_u32_e32 vcc_lo, 29, v154
	s_xor_b32 s2, s16, -1
	s_and_b32 s3, s2, vcc_lo
	s_and_saveexec_b32 s2, s3
	s_cbranch_execz .LBB70_623
; %bb.622:
	v_ashrrev_i32_e32 v155, 31, v154
	v_lshlrev_b64 v[160:161], 2, v[154:155]
	v_add_co_u32 v160, vcc_lo, v152, v160
	v_add_co_ci_u32_e64 v161, null, v153, v161, vcc_lo
	s_clause 0x1
	global_load_dword v0, v[160:161], off
	global_load_dword v155, v[152:153], off offset:116
	s_waitcnt vmcnt(1)
	global_store_dword v[152:153], v0, off offset:116
	s_waitcnt vmcnt(0)
	global_store_dword v[160:161], v155, off
.LBB70_623:
	s_or_b32 exec_lo, exec_lo, s2
	v_mov_b32_e32 v160, v154
	v_mov_b32_e32 v0, v154
.LBB70_624:
	s_or_b32 exec_lo, exec_lo, s1
.LBB70_625:
	s_andn2_saveexec_b32 s0, s0
	s_cbranch_execz .LBB70_627
; %bb.626:
	v_mov_b32_e32 v160, 29
	ds_write2_b64 v1, v[22:23], v[24:25] offset0:60 offset1:61
	ds_write2_b64 v1, v[18:19], v[20:21] offset0:62 offset1:63
	;; [unrolled: 1-line block ×6, first 2 shown]
.LBB70_627:
	s_or_b32 exec_lo, exec_lo, s0
	s_mov_b32 s0, exec_lo
	s_waitcnt lgkmcnt(0)
	s_waitcnt_vscnt null, 0x0
	s_barrier
	buffer_gl0_inv
	v_cmpx_lt_i32_e32 29, v160
	s_cbranch_execz .LBB70_629
; %bb.628:
	v_mul_f64 v[154:155], v[146:147], v[28:29]
	v_mul_f64 v[28:29], v[148:149], v[28:29]
	v_fma_f64 v[154:155], v[148:149], v[26:27], v[154:155]
	v_fma_f64 v[26:27], v[146:147], v[26:27], -v[28:29]
	ds_read2_b64 v[146:149], v1 offset0:60 offset1:61
	s_waitcnt lgkmcnt(0)
	v_mul_f64 v[28:29], v[148:149], v[154:155]
	v_fma_f64 v[28:29], v[146:147], v[26:27], -v[28:29]
	v_mul_f64 v[146:147], v[146:147], v[154:155]
	v_add_f64 v[22:23], v[22:23], -v[28:29]
	v_fma_f64 v[146:147], v[148:149], v[26:27], v[146:147]
	v_add_f64 v[24:25], v[24:25], -v[146:147]
	ds_read2_b64 v[146:149], v1 offset0:62 offset1:63
	s_waitcnt lgkmcnt(0)
	v_mul_f64 v[28:29], v[148:149], v[154:155]
	v_fma_f64 v[28:29], v[146:147], v[26:27], -v[28:29]
	v_mul_f64 v[146:147], v[146:147], v[154:155]
	v_add_f64 v[18:19], v[18:19], -v[28:29]
	v_fma_f64 v[146:147], v[148:149], v[26:27], v[146:147]
	v_add_f64 v[20:21], v[20:21], -v[146:147]
	;; [unrolled: 8-line block ×5, first 2 shown]
	ds_read2_b64 v[146:149], v1 offset0:70 offset1:71
	s_waitcnt lgkmcnt(0)
	v_mul_f64 v[28:29], v[148:149], v[154:155]
	v_fma_f64 v[28:29], v[146:147], v[26:27], -v[28:29]
	v_mul_f64 v[146:147], v[146:147], v[154:155]
	v_add_f64 v[2:3], v[2:3], -v[28:29]
	v_fma_f64 v[146:147], v[148:149], v[26:27], v[146:147]
	v_mov_b32_e32 v28, v154
	v_mov_b32_e32 v29, v155
	v_add_f64 v[4:5], v[4:5], -v[146:147]
.LBB70_629:
	s_or_b32 exec_lo, exec_lo, s0
	v_lshl_add_u32 v146, v160, 4, v1
	s_barrier
	buffer_gl0_inv
	v_mov_b32_e32 v154, 30
	ds_write2_b64 v146, v[22:23], v[24:25] offset1:1
	s_waitcnt lgkmcnt(0)
	s_barrier
	buffer_gl0_inv
	ds_read2_b64 v[146:149], v1 offset0:60 offset1:61
	s_cmp_lt_i32 s18, 32
	s_cbranch_scc1 .LBB70_632
; %bb.630:
	v_add3_u32 v155, v156, 0, 0x1f0
	v_mov_b32_e32 v154, 30
	s_mov_b32 s1, 31
	s_inst_prefetch 0x1
	.p2align	6
.LBB70_631:                             ; =>This Inner Loop Header: Depth=1
	s_waitcnt lgkmcnt(0)
	v_cmp_gt_f64_e32 vcc_lo, 0, v[148:149]
	v_cmp_gt_f64_e64 s0, 0, v[146:147]
	ds_read2_b64 v[161:164], v155 offset1:1
	v_xor_b32_e32 v166, 0x80000000, v147
	v_xor_b32_e32 v168, 0x80000000, v149
	v_mov_b32_e32 v165, v146
	v_mov_b32_e32 v167, v148
	v_add_nc_u32_e32 v155, 16, v155
	s_waitcnt lgkmcnt(0)
	v_xor_b32_e32 v170, 0x80000000, v164
	v_cndmask_b32_e64 v166, v147, v166, s0
	v_cndmask_b32_e32 v168, v149, v168, vcc_lo
	v_cmp_gt_f64_e32 vcc_lo, 0, v[163:164]
	v_cmp_gt_f64_e64 s0, 0, v[161:162]
	v_mov_b32_e32 v169, v163
	v_add_f64 v[165:166], v[165:166], v[167:168]
	v_xor_b32_e32 v168, 0x80000000, v162
	v_mov_b32_e32 v167, v161
	v_cndmask_b32_e32 v170, v164, v170, vcc_lo
	v_cndmask_b32_e64 v168, v162, v168, s0
	v_add_f64 v[167:168], v[167:168], v[169:170]
	v_cmp_lt_f64_e32 vcc_lo, v[165:166], v[167:168]
	v_cndmask_b32_e32 v147, v147, v162, vcc_lo
	v_cndmask_b32_e32 v146, v146, v161, vcc_lo
	;; [unrolled: 1-line block ×4, first 2 shown]
	v_cndmask_b32_e64 v154, v154, s1, vcc_lo
	s_add_i32 s1, s1, 1
	s_cmp_lg_u32 s18, s1
	s_cbranch_scc1 .LBB70_631
.LBB70_632:
	s_inst_prefetch 0x2
	s_waitcnt lgkmcnt(0)
	v_cmp_eq_f64_e32 vcc_lo, 0, v[146:147]
	v_cmp_eq_f64_e64 s0, 0, v[148:149]
	s_and_b32 s0, vcc_lo, s0
	s_and_saveexec_b32 s1, s0
	s_xor_b32 s0, exec_lo, s1
; %bb.633:
	v_cmp_ne_u32_e32 vcc_lo, 0, v159
	v_cndmask_b32_e32 v159, 31, v159, vcc_lo
; %bb.634:
	s_andn2_saveexec_b32 s0, s0
	s_cbranch_execz .LBB70_640
; %bb.635:
	v_cmp_ngt_f64_e64 s1, |v[146:147]|, |v[148:149]|
	s_and_saveexec_b32 s2, s1
	s_xor_b32 s1, exec_lo, s2
	s_cbranch_execz .LBB70_637
; %bb.636:
	v_div_scale_f64 v[161:162], null, v[148:149], v[148:149], v[146:147]
	v_div_scale_f64 v[167:168], vcc_lo, v[146:147], v[148:149], v[146:147]
	v_rcp_f64_e32 v[163:164], v[161:162]
	v_fma_f64 v[165:166], -v[161:162], v[163:164], 1.0
	v_fma_f64 v[163:164], v[163:164], v[165:166], v[163:164]
	v_fma_f64 v[165:166], -v[161:162], v[163:164], 1.0
	v_fma_f64 v[163:164], v[163:164], v[165:166], v[163:164]
	v_mul_f64 v[165:166], v[167:168], v[163:164]
	v_fma_f64 v[161:162], -v[161:162], v[165:166], v[167:168]
	v_div_fmas_f64 v[161:162], v[161:162], v[163:164], v[165:166]
	v_div_fixup_f64 v[161:162], v[161:162], v[148:149], v[146:147]
	v_fma_f64 v[146:147], v[146:147], v[161:162], v[148:149]
	v_div_scale_f64 v[148:149], null, v[146:147], v[146:147], 1.0
	v_rcp_f64_e32 v[163:164], v[148:149]
	v_fma_f64 v[165:166], -v[148:149], v[163:164], 1.0
	v_fma_f64 v[163:164], v[163:164], v[165:166], v[163:164]
	v_fma_f64 v[165:166], -v[148:149], v[163:164], 1.0
	v_fma_f64 v[163:164], v[163:164], v[165:166], v[163:164]
	v_div_scale_f64 v[165:166], vcc_lo, 1.0, v[146:147], 1.0
	v_mul_f64 v[167:168], v[165:166], v[163:164]
	v_fma_f64 v[148:149], -v[148:149], v[167:168], v[165:166]
	v_div_fmas_f64 v[148:149], v[148:149], v[163:164], v[167:168]
	v_div_fixup_f64 v[148:149], v[148:149], v[146:147], 1.0
	v_mul_f64 v[146:147], v[161:162], v[148:149]
	v_xor_b32_e32 v149, 0x80000000, v149
.LBB70_637:
	s_andn2_saveexec_b32 s1, s1
	s_cbranch_execz .LBB70_639
; %bb.638:
	v_div_scale_f64 v[161:162], null, v[146:147], v[146:147], v[148:149]
	v_div_scale_f64 v[167:168], vcc_lo, v[148:149], v[146:147], v[148:149]
	v_rcp_f64_e32 v[163:164], v[161:162]
	v_fma_f64 v[165:166], -v[161:162], v[163:164], 1.0
	v_fma_f64 v[163:164], v[163:164], v[165:166], v[163:164]
	v_fma_f64 v[165:166], -v[161:162], v[163:164], 1.0
	v_fma_f64 v[163:164], v[163:164], v[165:166], v[163:164]
	v_mul_f64 v[165:166], v[167:168], v[163:164]
	v_fma_f64 v[161:162], -v[161:162], v[165:166], v[167:168]
	v_div_fmas_f64 v[161:162], v[161:162], v[163:164], v[165:166]
	v_div_fixup_f64 v[161:162], v[161:162], v[146:147], v[148:149]
	v_fma_f64 v[146:147], v[148:149], v[161:162], v[146:147]
	v_div_scale_f64 v[148:149], null, v[146:147], v[146:147], 1.0
	v_rcp_f64_e32 v[163:164], v[148:149]
	v_fma_f64 v[165:166], -v[148:149], v[163:164], 1.0
	v_fma_f64 v[163:164], v[163:164], v[165:166], v[163:164]
	v_fma_f64 v[165:166], -v[148:149], v[163:164], 1.0
	v_fma_f64 v[163:164], v[163:164], v[165:166], v[163:164]
	v_div_scale_f64 v[165:166], vcc_lo, 1.0, v[146:147], 1.0
	v_mul_f64 v[167:168], v[165:166], v[163:164]
	v_fma_f64 v[148:149], -v[148:149], v[167:168], v[165:166]
	v_div_fmas_f64 v[148:149], v[148:149], v[163:164], v[167:168]
	v_div_fixup_f64 v[146:147], v[148:149], v[146:147], 1.0
	v_mul_f64 v[148:149], v[161:162], -v[146:147]
.LBB70_639:
	s_or_b32 exec_lo, exec_lo, s1
.LBB70_640:
	s_or_b32 exec_lo, exec_lo, s0
	s_mov_b32 s0, exec_lo
	v_cmpx_ne_u32_e64 v160, v154
	s_xor_b32 s0, exec_lo, s0
	s_cbranch_execz .LBB70_646
; %bb.641:
	s_mov_b32 s1, exec_lo
	v_cmpx_eq_u32_e32 30, v160
	s_cbranch_execz .LBB70_645
; %bb.642:
	v_cmp_ne_u32_e32 vcc_lo, 30, v154
	s_xor_b32 s2, s16, -1
	s_and_b32 s3, s2, vcc_lo
	s_and_saveexec_b32 s2, s3
	s_cbranch_execz .LBB70_644
; %bb.643:
	v_ashrrev_i32_e32 v155, 31, v154
	v_lshlrev_b64 v[160:161], 2, v[154:155]
	v_add_co_u32 v160, vcc_lo, v152, v160
	v_add_co_ci_u32_e64 v161, null, v153, v161, vcc_lo
	s_clause 0x1
	global_load_dword v0, v[160:161], off
	global_load_dword v155, v[152:153], off offset:120
	s_waitcnt vmcnt(1)
	global_store_dword v[152:153], v0, off offset:120
	s_waitcnt vmcnt(0)
	global_store_dword v[160:161], v155, off
.LBB70_644:
	s_or_b32 exec_lo, exec_lo, s2
	v_mov_b32_e32 v160, v154
	v_mov_b32_e32 v0, v154
.LBB70_645:
	s_or_b32 exec_lo, exec_lo, s1
.LBB70_646:
	s_andn2_saveexec_b32 s0, s0
	s_cbranch_execz .LBB70_648
; %bb.647:
	v_mov_b32_e32 v160, 30
	ds_write2_b64 v1, v[18:19], v[20:21] offset0:62 offset1:63
	ds_write2_b64 v1, v[14:15], v[16:17] offset0:64 offset1:65
	;; [unrolled: 1-line block ×5, first 2 shown]
.LBB70_648:
	s_or_b32 exec_lo, exec_lo, s0
	s_mov_b32 s0, exec_lo
	s_waitcnt lgkmcnt(0)
	s_waitcnt_vscnt null, 0x0
	s_barrier
	buffer_gl0_inv
	v_cmpx_lt_i32_e32 30, v160
	s_cbranch_execz .LBB70_650
; %bb.649:
	v_mul_f64 v[154:155], v[146:147], v[24:25]
	v_mul_f64 v[24:25], v[148:149], v[24:25]
	v_fma_f64 v[154:155], v[148:149], v[22:23], v[154:155]
	v_fma_f64 v[22:23], v[146:147], v[22:23], -v[24:25]
	ds_read2_b64 v[146:149], v1 offset0:62 offset1:63
	s_waitcnt lgkmcnt(0)
	v_mul_f64 v[24:25], v[148:149], v[154:155]
	v_fma_f64 v[24:25], v[146:147], v[22:23], -v[24:25]
	v_mul_f64 v[146:147], v[146:147], v[154:155]
	v_add_f64 v[18:19], v[18:19], -v[24:25]
	v_fma_f64 v[146:147], v[148:149], v[22:23], v[146:147]
	v_add_f64 v[20:21], v[20:21], -v[146:147]
	ds_read2_b64 v[146:149], v1 offset0:64 offset1:65
	s_waitcnt lgkmcnt(0)
	v_mul_f64 v[24:25], v[148:149], v[154:155]
	v_fma_f64 v[24:25], v[146:147], v[22:23], -v[24:25]
	v_mul_f64 v[146:147], v[146:147], v[154:155]
	v_add_f64 v[14:15], v[14:15], -v[24:25]
	v_fma_f64 v[146:147], v[148:149], v[22:23], v[146:147]
	v_add_f64 v[16:17], v[16:17], -v[146:147]
	;; [unrolled: 8-line block ×4, first 2 shown]
	ds_read2_b64 v[146:149], v1 offset0:70 offset1:71
	s_waitcnt lgkmcnt(0)
	v_mul_f64 v[24:25], v[148:149], v[154:155]
	v_fma_f64 v[24:25], v[146:147], v[22:23], -v[24:25]
	v_mul_f64 v[146:147], v[146:147], v[154:155]
	v_add_f64 v[2:3], v[2:3], -v[24:25]
	v_fma_f64 v[146:147], v[148:149], v[22:23], v[146:147]
	v_mov_b32_e32 v24, v154
	v_mov_b32_e32 v25, v155
	v_add_f64 v[4:5], v[4:5], -v[146:147]
.LBB70_650:
	s_or_b32 exec_lo, exec_lo, s0
	v_lshl_add_u32 v146, v160, 4, v1
	s_barrier
	buffer_gl0_inv
	v_mov_b32_e32 v154, 31
	ds_write2_b64 v146, v[18:19], v[20:21] offset1:1
	s_waitcnt lgkmcnt(0)
	s_barrier
	buffer_gl0_inv
	ds_read2_b64 v[146:149], v1 offset0:62 offset1:63
	s_cmp_lt_i32 s18, 33
	s_cbranch_scc1 .LBB70_653
; %bb.651:
	v_add3_u32 v155, v156, 0, 0x200
	v_mov_b32_e32 v154, 31
	s_mov_b32 s1, 32
	s_inst_prefetch 0x1
	.p2align	6
.LBB70_652:                             ; =>This Inner Loop Header: Depth=1
	s_waitcnt lgkmcnt(0)
	v_cmp_gt_f64_e32 vcc_lo, 0, v[148:149]
	v_cmp_gt_f64_e64 s0, 0, v[146:147]
	ds_read2_b64 v[161:164], v155 offset1:1
	v_xor_b32_e32 v166, 0x80000000, v147
	v_xor_b32_e32 v168, 0x80000000, v149
	v_mov_b32_e32 v165, v146
	v_mov_b32_e32 v167, v148
	v_add_nc_u32_e32 v155, 16, v155
	s_waitcnt lgkmcnt(0)
	v_xor_b32_e32 v170, 0x80000000, v164
	v_cndmask_b32_e64 v166, v147, v166, s0
	v_cndmask_b32_e32 v168, v149, v168, vcc_lo
	v_cmp_gt_f64_e32 vcc_lo, 0, v[163:164]
	v_cmp_gt_f64_e64 s0, 0, v[161:162]
	v_mov_b32_e32 v169, v163
	v_add_f64 v[165:166], v[165:166], v[167:168]
	v_xor_b32_e32 v168, 0x80000000, v162
	v_mov_b32_e32 v167, v161
	v_cndmask_b32_e32 v170, v164, v170, vcc_lo
	v_cndmask_b32_e64 v168, v162, v168, s0
	v_add_f64 v[167:168], v[167:168], v[169:170]
	v_cmp_lt_f64_e32 vcc_lo, v[165:166], v[167:168]
	v_cndmask_b32_e32 v147, v147, v162, vcc_lo
	v_cndmask_b32_e32 v146, v146, v161, vcc_lo
	;; [unrolled: 1-line block ×4, first 2 shown]
	v_cndmask_b32_e64 v154, v154, s1, vcc_lo
	s_add_i32 s1, s1, 1
	s_cmp_lg_u32 s18, s1
	s_cbranch_scc1 .LBB70_652
.LBB70_653:
	s_inst_prefetch 0x2
	s_waitcnt lgkmcnt(0)
	v_cmp_eq_f64_e32 vcc_lo, 0, v[146:147]
	v_cmp_eq_f64_e64 s0, 0, v[148:149]
	s_and_b32 s0, vcc_lo, s0
	s_and_saveexec_b32 s1, s0
	s_xor_b32 s0, exec_lo, s1
; %bb.654:
	v_cmp_ne_u32_e32 vcc_lo, 0, v159
	v_cndmask_b32_e32 v159, 32, v159, vcc_lo
; %bb.655:
	s_andn2_saveexec_b32 s0, s0
	s_cbranch_execz .LBB70_661
; %bb.656:
	v_cmp_ngt_f64_e64 s1, |v[146:147]|, |v[148:149]|
	s_and_saveexec_b32 s2, s1
	s_xor_b32 s1, exec_lo, s2
	s_cbranch_execz .LBB70_658
; %bb.657:
	v_div_scale_f64 v[161:162], null, v[148:149], v[148:149], v[146:147]
	v_div_scale_f64 v[167:168], vcc_lo, v[146:147], v[148:149], v[146:147]
	v_rcp_f64_e32 v[163:164], v[161:162]
	v_fma_f64 v[165:166], -v[161:162], v[163:164], 1.0
	v_fma_f64 v[163:164], v[163:164], v[165:166], v[163:164]
	v_fma_f64 v[165:166], -v[161:162], v[163:164], 1.0
	v_fma_f64 v[163:164], v[163:164], v[165:166], v[163:164]
	v_mul_f64 v[165:166], v[167:168], v[163:164]
	v_fma_f64 v[161:162], -v[161:162], v[165:166], v[167:168]
	v_div_fmas_f64 v[161:162], v[161:162], v[163:164], v[165:166]
	v_div_fixup_f64 v[161:162], v[161:162], v[148:149], v[146:147]
	v_fma_f64 v[146:147], v[146:147], v[161:162], v[148:149]
	v_div_scale_f64 v[148:149], null, v[146:147], v[146:147], 1.0
	v_rcp_f64_e32 v[163:164], v[148:149]
	v_fma_f64 v[165:166], -v[148:149], v[163:164], 1.0
	v_fma_f64 v[163:164], v[163:164], v[165:166], v[163:164]
	v_fma_f64 v[165:166], -v[148:149], v[163:164], 1.0
	v_fma_f64 v[163:164], v[163:164], v[165:166], v[163:164]
	v_div_scale_f64 v[165:166], vcc_lo, 1.0, v[146:147], 1.0
	v_mul_f64 v[167:168], v[165:166], v[163:164]
	v_fma_f64 v[148:149], -v[148:149], v[167:168], v[165:166]
	v_div_fmas_f64 v[148:149], v[148:149], v[163:164], v[167:168]
	v_div_fixup_f64 v[148:149], v[148:149], v[146:147], 1.0
	v_mul_f64 v[146:147], v[161:162], v[148:149]
	v_xor_b32_e32 v149, 0x80000000, v149
.LBB70_658:
	s_andn2_saveexec_b32 s1, s1
	s_cbranch_execz .LBB70_660
; %bb.659:
	v_div_scale_f64 v[161:162], null, v[146:147], v[146:147], v[148:149]
	v_div_scale_f64 v[167:168], vcc_lo, v[148:149], v[146:147], v[148:149]
	v_rcp_f64_e32 v[163:164], v[161:162]
	v_fma_f64 v[165:166], -v[161:162], v[163:164], 1.0
	v_fma_f64 v[163:164], v[163:164], v[165:166], v[163:164]
	v_fma_f64 v[165:166], -v[161:162], v[163:164], 1.0
	v_fma_f64 v[163:164], v[163:164], v[165:166], v[163:164]
	v_mul_f64 v[165:166], v[167:168], v[163:164]
	v_fma_f64 v[161:162], -v[161:162], v[165:166], v[167:168]
	v_div_fmas_f64 v[161:162], v[161:162], v[163:164], v[165:166]
	v_div_fixup_f64 v[161:162], v[161:162], v[146:147], v[148:149]
	v_fma_f64 v[146:147], v[148:149], v[161:162], v[146:147]
	v_div_scale_f64 v[148:149], null, v[146:147], v[146:147], 1.0
	v_rcp_f64_e32 v[163:164], v[148:149]
	v_fma_f64 v[165:166], -v[148:149], v[163:164], 1.0
	v_fma_f64 v[163:164], v[163:164], v[165:166], v[163:164]
	v_fma_f64 v[165:166], -v[148:149], v[163:164], 1.0
	v_fma_f64 v[163:164], v[163:164], v[165:166], v[163:164]
	v_div_scale_f64 v[165:166], vcc_lo, 1.0, v[146:147], 1.0
	v_mul_f64 v[167:168], v[165:166], v[163:164]
	v_fma_f64 v[148:149], -v[148:149], v[167:168], v[165:166]
	v_div_fmas_f64 v[148:149], v[148:149], v[163:164], v[167:168]
	v_div_fixup_f64 v[146:147], v[148:149], v[146:147], 1.0
	v_mul_f64 v[148:149], v[161:162], -v[146:147]
.LBB70_660:
	s_or_b32 exec_lo, exec_lo, s1
.LBB70_661:
	s_or_b32 exec_lo, exec_lo, s0
	s_mov_b32 s0, exec_lo
	v_cmpx_ne_u32_e64 v160, v154
	s_xor_b32 s0, exec_lo, s0
	s_cbranch_execz .LBB70_667
; %bb.662:
	s_mov_b32 s1, exec_lo
	v_cmpx_eq_u32_e32 31, v160
	s_cbranch_execz .LBB70_666
; %bb.663:
	v_cmp_ne_u32_e32 vcc_lo, 31, v154
	s_xor_b32 s2, s16, -1
	s_and_b32 s3, s2, vcc_lo
	s_and_saveexec_b32 s2, s3
	s_cbranch_execz .LBB70_665
; %bb.664:
	v_ashrrev_i32_e32 v155, 31, v154
	v_lshlrev_b64 v[160:161], 2, v[154:155]
	v_add_co_u32 v160, vcc_lo, v152, v160
	v_add_co_ci_u32_e64 v161, null, v153, v161, vcc_lo
	s_clause 0x1
	global_load_dword v0, v[160:161], off
	global_load_dword v155, v[152:153], off offset:124
	s_waitcnt vmcnt(1)
	global_store_dword v[152:153], v0, off offset:124
	s_waitcnt vmcnt(0)
	global_store_dword v[160:161], v155, off
.LBB70_665:
	s_or_b32 exec_lo, exec_lo, s2
	v_mov_b32_e32 v160, v154
	v_mov_b32_e32 v0, v154
.LBB70_666:
	s_or_b32 exec_lo, exec_lo, s1
.LBB70_667:
	s_andn2_saveexec_b32 s0, s0
	s_cbranch_execz .LBB70_669
; %bb.668:
	v_mov_b32_e32 v160, 31
	ds_write2_b64 v1, v[14:15], v[16:17] offset0:64 offset1:65
	ds_write2_b64 v1, v[10:11], v[12:13] offset0:66 offset1:67
	;; [unrolled: 1-line block ×4, first 2 shown]
.LBB70_669:
	s_or_b32 exec_lo, exec_lo, s0
	s_mov_b32 s0, exec_lo
	s_waitcnt lgkmcnt(0)
	s_waitcnt_vscnt null, 0x0
	s_barrier
	buffer_gl0_inv
	v_cmpx_lt_i32_e32 31, v160
	s_cbranch_execz .LBB70_671
; %bb.670:
	v_mul_f64 v[154:155], v[146:147], v[20:21]
	v_mul_f64 v[20:21], v[148:149], v[20:21]
	ds_read2_b64 v[161:164], v1 offset0:64 offset1:65
	ds_read2_b64 v[165:168], v1 offset0:66 offset1:67
	;; [unrolled: 1-line block ×4, first 2 shown]
	v_fma_f64 v[148:149], v[148:149], v[18:19], v[154:155]
	v_fma_f64 v[18:19], v[146:147], v[18:19], -v[20:21]
	s_waitcnt lgkmcnt(3)
	v_mul_f64 v[20:21], v[163:164], v[148:149]
	v_mul_f64 v[146:147], v[161:162], v[148:149]
	s_waitcnt lgkmcnt(2)
	v_mul_f64 v[154:155], v[167:168], v[148:149]
	v_mul_f64 v[177:178], v[165:166], v[148:149]
	;; [unrolled: 3-line block ×4, first 2 shown]
	v_fma_f64 v[20:21], v[161:162], v[18:19], -v[20:21]
	v_fma_f64 v[146:147], v[163:164], v[18:19], v[146:147]
	v_fma_f64 v[154:155], v[165:166], v[18:19], -v[154:155]
	v_fma_f64 v[161:162], v[167:168], v[18:19], v[177:178]
	;; [unrolled: 2-line block ×4, first 2 shown]
	v_add_f64 v[14:15], v[14:15], -v[20:21]
	v_add_f64 v[16:17], v[16:17], -v[146:147]
	;; [unrolled: 1-line block ×8, first 2 shown]
	v_mov_b32_e32 v20, v148
	v_mov_b32_e32 v21, v149
.LBB70_671:
	s_or_b32 exec_lo, exec_lo, s0
	v_lshl_add_u32 v146, v160, 4, v1
	s_barrier
	buffer_gl0_inv
	v_mov_b32_e32 v154, 32
	ds_write2_b64 v146, v[14:15], v[16:17] offset1:1
	s_waitcnt lgkmcnt(0)
	s_barrier
	buffer_gl0_inv
	ds_read2_b64 v[146:149], v1 offset0:64 offset1:65
	s_cmp_lt_i32 s18, 34
	s_cbranch_scc1 .LBB70_674
; %bb.672:
	v_add3_u32 v155, v156, 0, 0x210
	v_mov_b32_e32 v154, 32
	s_mov_b32 s1, 33
	s_inst_prefetch 0x1
	.p2align	6
.LBB70_673:                             ; =>This Inner Loop Header: Depth=1
	s_waitcnt lgkmcnt(0)
	v_cmp_gt_f64_e32 vcc_lo, 0, v[148:149]
	v_cmp_gt_f64_e64 s0, 0, v[146:147]
	ds_read2_b64 v[161:164], v155 offset1:1
	v_xor_b32_e32 v166, 0x80000000, v147
	v_xor_b32_e32 v168, 0x80000000, v149
	v_mov_b32_e32 v165, v146
	v_mov_b32_e32 v167, v148
	v_add_nc_u32_e32 v155, 16, v155
	s_waitcnt lgkmcnt(0)
	v_xor_b32_e32 v170, 0x80000000, v164
	v_cndmask_b32_e64 v166, v147, v166, s0
	v_cndmask_b32_e32 v168, v149, v168, vcc_lo
	v_cmp_gt_f64_e32 vcc_lo, 0, v[163:164]
	v_cmp_gt_f64_e64 s0, 0, v[161:162]
	v_mov_b32_e32 v169, v163
	v_add_f64 v[165:166], v[165:166], v[167:168]
	v_xor_b32_e32 v168, 0x80000000, v162
	v_mov_b32_e32 v167, v161
	v_cndmask_b32_e32 v170, v164, v170, vcc_lo
	v_cndmask_b32_e64 v168, v162, v168, s0
	v_add_f64 v[167:168], v[167:168], v[169:170]
	v_cmp_lt_f64_e32 vcc_lo, v[165:166], v[167:168]
	v_cndmask_b32_e32 v147, v147, v162, vcc_lo
	v_cndmask_b32_e32 v146, v146, v161, vcc_lo
	;; [unrolled: 1-line block ×4, first 2 shown]
	v_cndmask_b32_e64 v154, v154, s1, vcc_lo
	s_add_i32 s1, s1, 1
	s_cmp_lg_u32 s18, s1
	s_cbranch_scc1 .LBB70_673
.LBB70_674:
	s_inst_prefetch 0x2
	s_waitcnt lgkmcnt(0)
	v_cmp_eq_f64_e32 vcc_lo, 0, v[146:147]
	v_cmp_eq_f64_e64 s0, 0, v[148:149]
	s_and_b32 s0, vcc_lo, s0
	s_and_saveexec_b32 s1, s0
	s_xor_b32 s0, exec_lo, s1
; %bb.675:
	v_cmp_ne_u32_e32 vcc_lo, 0, v159
	v_cndmask_b32_e32 v159, 33, v159, vcc_lo
; %bb.676:
	s_andn2_saveexec_b32 s0, s0
	s_cbranch_execz .LBB70_682
; %bb.677:
	v_cmp_ngt_f64_e64 s1, |v[146:147]|, |v[148:149]|
	s_and_saveexec_b32 s2, s1
	s_xor_b32 s1, exec_lo, s2
	s_cbranch_execz .LBB70_679
; %bb.678:
	v_div_scale_f64 v[161:162], null, v[148:149], v[148:149], v[146:147]
	v_div_scale_f64 v[167:168], vcc_lo, v[146:147], v[148:149], v[146:147]
	v_rcp_f64_e32 v[163:164], v[161:162]
	v_fma_f64 v[165:166], -v[161:162], v[163:164], 1.0
	v_fma_f64 v[163:164], v[163:164], v[165:166], v[163:164]
	v_fma_f64 v[165:166], -v[161:162], v[163:164], 1.0
	v_fma_f64 v[163:164], v[163:164], v[165:166], v[163:164]
	v_mul_f64 v[165:166], v[167:168], v[163:164]
	v_fma_f64 v[161:162], -v[161:162], v[165:166], v[167:168]
	v_div_fmas_f64 v[161:162], v[161:162], v[163:164], v[165:166]
	v_div_fixup_f64 v[161:162], v[161:162], v[148:149], v[146:147]
	v_fma_f64 v[146:147], v[146:147], v[161:162], v[148:149]
	v_div_scale_f64 v[148:149], null, v[146:147], v[146:147], 1.0
	v_rcp_f64_e32 v[163:164], v[148:149]
	v_fma_f64 v[165:166], -v[148:149], v[163:164], 1.0
	v_fma_f64 v[163:164], v[163:164], v[165:166], v[163:164]
	v_fma_f64 v[165:166], -v[148:149], v[163:164], 1.0
	v_fma_f64 v[163:164], v[163:164], v[165:166], v[163:164]
	v_div_scale_f64 v[165:166], vcc_lo, 1.0, v[146:147], 1.0
	v_mul_f64 v[167:168], v[165:166], v[163:164]
	v_fma_f64 v[148:149], -v[148:149], v[167:168], v[165:166]
	v_div_fmas_f64 v[148:149], v[148:149], v[163:164], v[167:168]
	v_div_fixup_f64 v[148:149], v[148:149], v[146:147], 1.0
	v_mul_f64 v[146:147], v[161:162], v[148:149]
	v_xor_b32_e32 v149, 0x80000000, v149
.LBB70_679:
	s_andn2_saveexec_b32 s1, s1
	s_cbranch_execz .LBB70_681
; %bb.680:
	v_div_scale_f64 v[161:162], null, v[146:147], v[146:147], v[148:149]
	v_div_scale_f64 v[167:168], vcc_lo, v[148:149], v[146:147], v[148:149]
	v_rcp_f64_e32 v[163:164], v[161:162]
	v_fma_f64 v[165:166], -v[161:162], v[163:164], 1.0
	v_fma_f64 v[163:164], v[163:164], v[165:166], v[163:164]
	v_fma_f64 v[165:166], -v[161:162], v[163:164], 1.0
	v_fma_f64 v[163:164], v[163:164], v[165:166], v[163:164]
	v_mul_f64 v[165:166], v[167:168], v[163:164]
	v_fma_f64 v[161:162], -v[161:162], v[165:166], v[167:168]
	v_div_fmas_f64 v[161:162], v[161:162], v[163:164], v[165:166]
	v_div_fixup_f64 v[161:162], v[161:162], v[146:147], v[148:149]
	v_fma_f64 v[146:147], v[148:149], v[161:162], v[146:147]
	v_div_scale_f64 v[148:149], null, v[146:147], v[146:147], 1.0
	v_rcp_f64_e32 v[163:164], v[148:149]
	v_fma_f64 v[165:166], -v[148:149], v[163:164], 1.0
	v_fma_f64 v[163:164], v[163:164], v[165:166], v[163:164]
	v_fma_f64 v[165:166], -v[148:149], v[163:164], 1.0
	v_fma_f64 v[163:164], v[163:164], v[165:166], v[163:164]
	v_div_scale_f64 v[165:166], vcc_lo, 1.0, v[146:147], 1.0
	v_mul_f64 v[167:168], v[165:166], v[163:164]
	v_fma_f64 v[148:149], -v[148:149], v[167:168], v[165:166]
	v_div_fmas_f64 v[148:149], v[148:149], v[163:164], v[167:168]
	v_div_fixup_f64 v[146:147], v[148:149], v[146:147], 1.0
	v_mul_f64 v[148:149], v[161:162], -v[146:147]
.LBB70_681:
	s_or_b32 exec_lo, exec_lo, s1
.LBB70_682:
	s_or_b32 exec_lo, exec_lo, s0
	s_mov_b32 s0, exec_lo
	v_cmpx_ne_u32_e64 v160, v154
	s_xor_b32 s0, exec_lo, s0
	s_cbranch_execz .LBB70_688
; %bb.683:
	s_mov_b32 s1, exec_lo
	v_cmpx_eq_u32_e32 32, v160
	s_cbranch_execz .LBB70_687
; %bb.684:
	v_cmp_ne_u32_e32 vcc_lo, 32, v154
	s_xor_b32 s2, s16, -1
	s_and_b32 s3, s2, vcc_lo
	s_and_saveexec_b32 s2, s3
	s_cbranch_execz .LBB70_686
; %bb.685:
	v_ashrrev_i32_e32 v155, 31, v154
	v_lshlrev_b64 v[160:161], 2, v[154:155]
	v_add_co_u32 v160, vcc_lo, v152, v160
	v_add_co_ci_u32_e64 v161, null, v153, v161, vcc_lo
	s_clause 0x1
	global_load_dword v0, v[160:161], off
	global_load_dword v155, v[152:153], off offset:128
	s_waitcnt vmcnt(1)
	global_store_dword v[152:153], v0, off offset:128
	s_waitcnt vmcnt(0)
	global_store_dword v[160:161], v155, off
.LBB70_686:
	s_or_b32 exec_lo, exec_lo, s2
	v_mov_b32_e32 v160, v154
	v_mov_b32_e32 v0, v154
.LBB70_687:
	s_or_b32 exec_lo, exec_lo, s1
.LBB70_688:
	s_andn2_saveexec_b32 s0, s0
	s_cbranch_execz .LBB70_690
; %bb.689:
	v_mov_b32_e32 v160, 32
	ds_write2_b64 v1, v[10:11], v[12:13] offset0:66 offset1:67
	ds_write2_b64 v1, v[6:7], v[8:9] offset0:68 offset1:69
	;; [unrolled: 1-line block ×3, first 2 shown]
.LBB70_690:
	s_or_b32 exec_lo, exec_lo, s0
	s_mov_b32 s0, exec_lo
	s_waitcnt lgkmcnt(0)
	s_waitcnt_vscnt null, 0x0
	s_barrier
	buffer_gl0_inv
	v_cmpx_lt_i32_e32 32, v160
	s_cbranch_execz .LBB70_692
; %bb.691:
	v_mul_f64 v[154:155], v[146:147], v[16:17]
	v_mul_f64 v[16:17], v[148:149], v[16:17]
	ds_read2_b64 v[161:164], v1 offset0:66 offset1:67
	ds_read2_b64 v[165:168], v1 offset0:68 offset1:69
	;; [unrolled: 1-line block ×3, first 2 shown]
	v_fma_f64 v[148:149], v[148:149], v[14:15], v[154:155]
	v_fma_f64 v[14:15], v[146:147], v[14:15], -v[16:17]
	s_waitcnt lgkmcnt(2)
	v_mul_f64 v[16:17], v[163:164], v[148:149]
	v_mul_f64 v[146:147], v[161:162], v[148:149]
	s_waitcnt lgkmcnt(1)
	v_mul_f64 v[154:155], v[167:168], v[148:149]
	v_mul_f64 v[173:174], v[165:166], v[148:149]
	;; [unrolled: 3-line block ×3, first 2 shown]
	v_fma_f64 v[16:17], v[161:162], v[14:15], -v[16:17]
	v_fma_f64 v[146:147], v[163:164], v[14:15], v[146:147]
	v_fma_f64 v[154:155], v[165:166], v[14:15], -v[154:155]
	v_fma_f64 v[161:162], v[167:168], v[14:15], v[173:174]
	v_fma_f64 v[163:164], v[169:170], v[14:15], -v[175:176]
	v_fma_f64 v[165:166], v[171:172], v[14:15], v[177:178]
	v_add_f64 v[10:11], v[10:11], -v[16:17]
	v_add_f64 v[12:13], v[12:13], -v[146:147]
	;; [unrolled: 1-line block ×6, first 2 shown]
	v_mov_b32_e32 v16, v148
	v_mov_b32_e32 v17, v149
.LBB70_692:
	s_or_b32 exec_lo, exec_lo, s0
	v_lshl_add_u32 v146, v160, 4, v1
	s_barrier
	buffer_gl0_inv
	v_mov_b32_e32 v154, 33
	ds_write2_b64 v146, v[10:11], v[12:13] offset1:1
	s_waitcnt lgkmcnt(0)
	s_barrier
	buffer_gl0_inv
	ds_read2_b64 v[146:149], v1 offset0:66 offset1:67
	s_cmp_lt_i32 s18, 35
	s_cbranch_scc1 .LBB70_695
; %bb.693:
	v_add3_u32 v155, v156, 0, 0x220
	v_mov_b32_e32 v154, 33
	s_mov_b32 s1, 34
	s_inst_prefetch 0x1
	.p2align	6
.LBB70_694:                             ; =>This Inner Loop Header: Depth=1
	s_waitcnt lgkmcnt(0)
	v_cmp_gt_f64_e32 vcc_lo, 0, v[148:149]
	v_cmp_gt_f64_e64 s0, 0, v[146:147]
	ds_read2_b64 v[161:164], v155 offset1:1
	v_xor_b32_e32 v166, 0x80000000, v147
	v_xor_b32_e32 v168, 0x80000000, v149
	v_mov_b32_e32 v165, v146
	v_mov_b32_e32 v167, v148
	v_add_nc_u32_e32 v155, 16, v155
	s_waitcnt lgkmcnt(0)
	v_xor_b32_e32 v170, 0x80000000, v164
	v_cndmask_b32_e64 v166, v147, v166, s0
	v_cndmask_b32_e32 v168, v149, v168, vcc_lo
	v_cmp_gt_f64_e32 vcc_lo, 0, v[163:164]
	v_cmp_gt_f64_e64 s0, 0, v[161:162]
	v_mov_b32_e32 v169, v163
	v_add_f64 v[165:166], v[165:166], v[167:168]
	v_xor_b32_e32 v168, 0x80000000, v162
	v_mov_b32_e32 v167, v161
	v_cndmask_b32_e32 v170, v164, v170, vcc_lo
	v_cndmask_b32_e64 v168, v162, v168, s0
	v_add_f64 v[167:168], v[167:168], v[169:170]
	v_cmp_lt_f64_e32 vcc_lo, v[165:166], v[167:168]
	v_cndmask_b32_e32 v147, v147, v162, vcc_lo
	v_cndmask_b32_e32 v146, v146, v161, vcc_lo
	;; [unrolled: 1-line block ×4, first 2 shown]
	v_cndmask_b32_e64 v154, v154, s1, vcc_lo
	s_add_i32 s1, s1, 1
	s_cmp_lg_u32 s18, s1
	s_cbranch_scc1 .LBB70_694
.LBB70_695:
	s_inst_prefetch 0x2
	s_waitcnt lgkmcnt(0)
	v_cmp_eq_f64_e32 vcc_lo, 0, v[146:147]
	v_cmp_eq_f64_e64 s0, 0, v[148:149]
	s_and_b32 s0, vcc_lo, s0
	s_and_saveexec_b32 s1, s0
	s_xor_b32 s0, exec_lo, s1
; %bb.696:
	v_cmp_ne_u32_e32 vcc_lo, 0, v159
	v_cndmask_b32_e32 v159, 34, v159, vcc_lo
; %bb.697:
	s_andn2_saveexec_b32 s0, s0
	s_cbranch_execz .LBB70_703
; %bb.698:
	v_cmp_ngt_f64_e64 s1, |v[146:147]|, |v[148:149]|
	s_and_saveexec_b32 s2, s1
	s_xor_b32 s1, exec_lo, s2
	s_cbranch_execz .LBB70_700
; %bb.699:
	v_div_scale_f64 v[161:162], null, v[148:149], v[148:149], v[146:147]
	v_div_scale_f64 v[167:168], vcc_lo, v[146:147], v[148:149], v[146:147]
	v_rcp_f64_e32 v[163:164], v[161:162]
	v_fma_f64 v[165:166], -v[161:162], v[163:164], 1.0
	v_fma_f64 v[163:164], v[163:164], v[165:166], v[163:164]
	v_fma_f64 v[165:166], -v[161:162], v[163:164], 1.0
	v_fma_f64 v[163:164], v[163:164], v[165:166], v[163:164]
	v_mul_f64 v[165:166], v[167:168], v[163:164]
	v_fma_f64 v[161:162], -v[161:162], v[165:166], v[167:168]
	v_div_fmas_f64 v[161:162], v[161:162], v[163:164], v[165:166]
	v_div_fixup_f64 v[161:162], v[161:162], v[148:149], v[146:147]
	v_fma_f64 v[146:147], v[146:147], v[161:162], v[148:149]
	v_div_scale_f64 v[148:149], null, v[146:147], v[146:147], 1.0
	v_rcp_f64_e32 v[163:164], v[148:149]
	v_fma_f64 v[165:166], -v[148:149], v[163:164], 1.0
	v_fma_f64 v[163:164], v[163:164], v[165:166], v[163:164]
	v_fma_f64 v[165:166], -v[148:149], v[163:164], 1.0
	v_fma_f64 v[163:164], v[163:164], v[165:166], v[163:164]
	v_div_scale_f64 v[165:166], vcc_lo, 1.0, v[146:147], 1.0
	v_mul_f64 v[167:168], v[165:166], v[163:164]
	v_fma_f64 v[148:149], -v[148:149], v[167:168], v[165:166]
	v_div_fmas_f64 v[148:149], v[148:149], v[163:164], v[167:168]
	v_div_fixup_f64 v[148:149], v[148:149], v[146:147], 1.0
	v_mul_f64 v[146:147], v[161:162], v[148:149]
	v_xor_b32_e32 v149, 0x80000000, v149
.LBB70_700:
	s_andn2_saveexec_b32 s1, s1
	s_cbranch_execz .LBB70_702
; %bb.701:
	v_div_scale_f64 v[161:162], null, v[146:147], v[146:147], v[148:149]
	v_div_scale_f64 v[167:168], vcc_lo, v[148:149], v[146:147], v[148:149]
	v_rcp_f64_e32 v[163:164], v[161:162]
	v_fma_f64 v[165:166], -v[161:162], v[163:164], 1.0
	v_fma_f64 v[163:164], v[163:164], v[165:166], v[163:164]
	v_fma_f64 v[165:166], -v[161:162], v[163:164], 1.0
	v_fma_f64 v[163:164], v[163:164], v[165:166], v[163:164]
	v_mul_f64 v[165:166], v[167:168], v[163:164]
	v_fma_f64 v[161:162], -v[161:162], v[165:166], v[167:168]
	v_div_fmas_f64 v[161:162], v[161:162], v[163:164], v[165:166]
	v_div_fixup_f64 v[161:162], v[161:162], v[146:147], v[148:149]
	v_fma_f64 v[146:147], v[148:149], v[161:162], v[146:147]
	v_div_scale_f64 v[148:149], null, v[146:147], v[146:147], 1.0
	v_rcp_f64_e32 v[163:164], v[148:149]
	v_fma_f64 v[165:166], -v[148:149], v[163:164], 1.0
	v_fma_f64 v[163:164], v[163:164], v[165:166], v[163:164]
	v_fma_f64 v[165:166], -v[148:149], v[163:164], 1.0
	v_fma_f64 v[163:164], v[163:164], v[165:166], v[163:164]
	v_div_scale_f64 v[165:166], vcc_lo, 1.0, v[146:147], 1.0
	v_mul_f64 v[167:168], v[165:166], v[163:164]
	v_fma_f64 v[148:149], -v[148:149], v[167:168], v[165:166]
	v_div_fmas_f64 v[148:149], v[148:149], v[163:164], v[167:168]
	v_div_fixup_f64 v[146:147], v[148:149], v[146:147], 1.0
	v_mul_f64 v[148:149], v[161:162], -v[146:147]
.LBB70_702:
	s_or_b32 exec_lo, exec_lo, s1
.LBB70_703:
	s_or_b32 exec_lo, exec_lo, s0
	s_mov_b32 s0, exec_lo
	v_cmpx_ne_u32_e64 v160, v154
	s_xor_b32 s0, exec_lo, s0
	s_cbranch_execz .LBB70_709
; %bb.704:
	s_mov_b32 s1, exec_lo
	v_cmpx_eq_u32_e32 33, v160
	s_cbranch_execz .LBB70_708
; %bb.705:
	v_cmp_ne_u32_e32 vcc_lo, 33, v154
	s_xor_b32 s2, s16, -1
	s_and_b32 s3, s2, vcc_lo
	s_and_saveexec_b32 s2, s3
	s_cbranch_execz .LBB70_707
; %bb.706:
	v_ashrrev_i32_e32 v155, 31, v154
	v_lshlrev_b64 v[160:161], 2, v[154:155]
	v_add_co_u32 v160, vcc_lo, v152, v160
	v_add_co_ci_u32_e64 v161, null, v153, v161, vcc_lo
	s_clause 0x1
	global_load_dword v0, v[160:161], off
	global_load_dword v155, v[152:153], off offset:132
	s_waitcnt vmcnt(1)
	global_store_dword v[152:153], v0, off offset:132
	s_waitcnt vmcnt(0)
	global_store_dword v[160:161], v155, off
.LBB70_707:
	s_or_b32 exec_lo, exec_lo, s2
	v_mov_b32_e32 v160, v154
	v_mov_b32_e32 v0, v154
.LBB70_708:
	s_or_b32 exec_lo, exec_lo, s1
.LBB70_709:
	s_andn2_saveexec_b32 s0, s0
	s_cbranch_execz .LBB70_711
; %bb.710:
	v_mov_b32_e32 v160, 33
	ds_write2_b64 v1, v[6:7], v[8:9] offset0:68 offset1:69
	ds_write2_b64 v1, v[2:3], v[4:5] offset0:70 offset1:71
.LBB70_711:
	s_or_b32 exec_lo, exec_lo, s0
	s_mov_b32 s0, exec_lo
	s_waitcnt lgkmcnt(0)
	s_waitcnt_vscnt null, 0x0
	s_barrier
	buffer_gl0_inv
	v_cmpx_lt_i32_e32 33, v160
	s_cbranch_execz .LBB70_713
; %bb.712:
	v_mul_f64 v[154:155], v[146:147], v[12:13]
	v_mul_f64 v[12:13], v[148:149], v[12:13]
	ds_read2_b64 v[161:164], v1 offset0:68 offset1:69
	ds_read2_b64 v[165:168], v1 offset0:70 offset1:71
	v_fma_f64 v[148:149], v[148:149], v[10:11], v[154:155]
	v_fma_f64 v[10:11], v[146:147], v[10:11], -v[12:13]
	s_waitcnt lgkmcnt(1)
	v_mul_f64 v[12:13], v[163:164], v[148:149]
	v_mul_f64 v[146:147], v[161:162], v[148:149]
	s_waitcnt lgkmcnt(0)
	v_mul_f64 v[154:155], v[167:168], v[148:149]
	v_mul_f64 v[169:170], v[165:166], v[148:149]
	v_fma_f64 v[12:13], v[161:162], v[10:11], -v[12:13]
	v_fma_f64 v[146:147], v[163:164], v[10:11], v[146:147]
	v_fma_f64 v[154:155], v[165:166], v[10:11], -v[154:155]
	v_fma_f64 v[161:162], v[167:168], v[10:11], v[169:170]
	v_add_f64 v[6:7], v[6:7], -v[12:13]
	v_add_f64 v[8:9], v[8:9], -v[146:147]
	v_add_f64 v[2:3], v[2:3], -v[154:155]
	v_add_f64 v[4:5], v[4:5], -v[161:162]
	v_mov_b32_e32 v12, v148
	v_mov_b32_e32 v13, v149
.LBB70_713:
	s_or_b32 exec_lo, exec_lo, s0
	v_lshl_add_u32 v146, v160, 4, v1
	s_barrier
	buffer_gl0_inv
	v_mov_b32_e32 v154, 34
	ds_write2_b64 v146, v[6:7], v[8:9] offset1:1
	s_waitcnt lgkmcnt(0)
	s_barrier
	buffer_gl0_inv
	ds_read2_b64 v[146:149], v1 offset0:68 offset1:69
	s_cmp_lt_i32 s18, 36
	s_cbranch_scc1 .LBB70_716
; %bb.714:
	v_add3_u32 v155, v156, 0, 0x230
	v_mov_b32_e32 v154, 34
	s_mov_b32 s1, 35
	s_inst_prefetch 0x1
	.p2align	6
.LBB70_715:                             ; =>This Inner Loop Header: Depth=1
	s_waitcnt lgkmcnt(0)
	v_cmp_gt_f64_e32 vcc_lo, 0, v[148:149]
	v_cmp_gt_f64_e64 s0, 0, v[146:147]
	ds_read2_b64 v[161:164], v155 offset1:1
	v_xor_b32_e32 v166, 0x80000000, v147
	v_xor_b32_e32 v168, 0x80000000, v149
	v_mov_b32_e32 v165, v146
	v_mov_b32_e32 v167, v148
	v_add_nc_u32_e32 v155, 16, v155
	s_waitcnt lgkmcnt(0)
	v_xor_b32_e32 v170, 0x80000000, v164
	v_cndmask_b32_e64 v166, v147, v166, s0
	v_cndmask_b32_e32 v168, v149, v168, vcc_lo
	v_cmp_gt_f64_e32 vcc_lo, 0, v[163:164]
	v_cmp_gt_f64_e64 s0, 0, v[161:162]
	v_mov_b32_e32 v169, v163
	v_add_f64 v[165:166], v[165:166], v[167:168]
	v_xor_b32_e32 v168, 0x80000000, v162
	v_mov_b32_e32 v167, v161
	v_cndmask_b32_e32 v170, v164, v170, vcc_lo
	v_cndmask_b32_e64 v168, v162, v168, s0
	v_add_f64 v[167:168], v[167:168], v[169:170]
	v_cmp_lt_f64_e32 vcc_lo, v[165:166], v[167:168]
	v_cndmask_b32_e32 v147, v147, v162, vcc_lo
	v_cndmask_b32_e32 v146, v146, v161, vcc_lo
	;; [unrolled: 1-line block ×4, first 2 shown]
	v_cndmask_b32_e64 v154, v154, s1, vcc_lo
	s_add_i32 s1, s1, 1
	s_cmp_lg_u32 s18, s1
	s_cbranch_scc1 .LBB70_715
.LBB70_716:
	s_inst_prefetch 0x2
	s_waitcnt lgkmcnt(0)
	v_cmp_eq_f64_e32 vcc_lo, 0, v[146:147]
	v_cmp_eq_f64_e64 s0, 0, v[148:149]
	s_and_b32 s0, vcc_lo, s0
	s_and_saveexec_b32 s1, s0
	s_xor_b32 s0, exec_lo, s1
; %bb.717:
	v_cmp_ne_u32_e32 vcc_lo, 0, v159
	v_cndmask_b32_e32 v159, 35, v159, vcc_lo
; %bb.718:
	s_andn2_saveexec_b32 s0, s0
	s_cbranch_execz .LBB70_724
; %bb.719:
	v_cmp_ngt_f64_e64 s1, |v[146:147]|, |v[148:149]|
	s_and_saveexec_b32 s2, s1
	s_xor_b32 s1, exec_lo, s2
	s_cbranch_execz .LBB70_721
; %bb.720:
	v_div_scale_f64 v[161:162], null, v[148:149], v[148:149], v[146:147]
	v_div_scale_f64 v[167:168], vcc_lo, v[146:147], v[148:149], v[146:147]
	v_rcp_f64_e32 v[163:164], v[161:162]
	v_fma_f64 v[165:166], -v[161:162], v[163:164], 1.0
	v_fma_f64 v[163:164], v[163:164], v[165:166], v[163:164]
	v_fma_f64 v[165:166], -v[161:162], v[163:164], 1.0
	v_fma_f64 v[163:164], v[163:164], v[165:166], v[163:164]
	v_mul_f64 v[165:166], v[167:168], v[163:164]
	v_fma_f64 v[161:162], -v[161:162], v[165:166], v[167:168]
	v_div_fmas_f64 v[161:162], v[161:162], v[163:164], v[165:166]
	v_div_fixup_f64 v[161:162], v[161:162], v[148:149], v[146:147]
	v_fma_f64 v[146:147], v[146:147], v[161:162], v[148:149]
	v_div_scale_f64 v[148:149], null, v[146:147], v[146:147], 1.0
	v_rcp_f64_e32 v[163:164], v[148:149]
	v_fma_f64 v[165:166], -v[148:149], v[163:164], 1.0
	v_fma_f64 v[163:164], v[163:164], v[165:166], v[163:164]
	v_fma_f64 v[165:166], -v[148:149], v[163:164], 1.0
	v_fma_f64 v[163:164], v[163:164], v[165:166], v[163:164]
	v_div_scale_f64 v[165:166], vcc_lo, 1.0, v[146:147], 1.0
	v_mul_f64 v[167:168], v[165:166], v[163:164]
	v_fma_f64 v[148:149], -v[148:149], v[167:168], v[165:166]
	v_div_fmas_f64 v[148:149], v[148:149], v[163:164], v[167:168]
	v_div_fixup_f64 v[148:149], v[148:149], v[146:147], 1.0
	v_mul_f64 v[146:147], v[161:162], v[148:149]
	v_xor_b32_e32 v149, 0x80000000, v149
.LBB70_721:
	s_andn2_saveexec_b32 s1, s1
	s_cbranch_execz .LBB70_723
; %bb.722:
	v_div_scale_f64 v[161:162], null, v[146:147], v[146:147], v[148:149]
	v_div_scale_f64 v[167:168], vcc_lo, v[148:149], v[146:147], v[148:149]
	v_rcp_f64_e32 v[163:164], v[161:162]
	v_fma_f64 v[165:166], -v[161:162], v[163:164], 1.0
	v_fma_f64 v[163:164], v[163:164], v[165:166], v[163:164]
	v_fma_f64 v[165:166], -v[161:162], v[163:164], 1.0
	v_fma_f64 v[163:164], v[163:164], v[165:166], v[163:164]
	v_mul_f64 v[165:166], v[167:168], v[163:164]
	v_fma_f64 v[161:162], -v[161:162], v[165:166], v[167:168]
	v_div_fmas_f64 v[161:162], v[161:162], v[163:164], v[165:166]
	v_div_fixup_f64 v[161:162], v[161:162], v[146:147], v[148:149]
	v_fma_f64 v[146:147], v[148:149], v[161:162], v[146:147]
	v_div_scale_f64 v[148:149], null, v[146:147], v[146:147], 1.0
	v_rcp_f64_e32 v[163:164], v[148:149]
	v_fma_f64 v[165:166], -v[148:149], v[163:164], 1.0
	v_fma_f64 v[163:164], v[163:164], v[165:166], v[163:164]
	v_fma_f64 v[165:166], -v[148:149], v[163:164], 1.0
	v_fma_f64 v[163:164], v[163:164], v[165:166], v[163:164]
	v_div_scale_f64 v[165:166], vcc_lo, 1.0, v[146:147], 1.0
	v_mul_f64 v[167:168], v[165:166], v[163:164]
	v_fma_f64 v[148:149], -v[148:149], v[167:168], v[165:166]
	v_div_fmas_f64 v[148:149], v[148:149], v[163:164], v[167:168]
	v_div_fixup_f64 v[146:147], v[148:149], v[146:147], 1.0
	v_mul_f64 v[148:149], v[161:162], -v[146:147]
.LBB70_723:
	s_or_b32 exec_lo, exec_lo, s1
.LBB70_724:
	s_or_b32 exec_lo, exec_lo, s0
	s_mov_b32 s0, exec_lo
	v_cmpx_ne_u32_e64 v160, v154
	s_xor_b32 s0, exec_lo, s0
	s_cbranch_execz .LBB70_730
; %bb.725:
	s_mov_b32 s1, exec_lo
	v_cmpx_eq_u32_e32 34, v160
	s_cbranch_execz .LBB70_729
; %bb.726:
	v_cmp_ne_u32_e32 vcc_lo, 34, v154
	s_xor_b32 s2, s16, -1
	s_and_b32 s3, s2, vcc_lo
	s_and_saveexec_b32 s2, s3
	s_cbranch_execz .LBB70_728
; %bb.727:
	v_ashrrev_i32_e32 v155, 31, v154
	v_lshlrev_b64 v[160:161], 2, v[154:155]
	v_add_co_u32 v160, vcc_lo, v152, v160
	v_add_co_ci_u32_e64 v161, null, v153, v161, vcc_lo
	s_clause 0x1
	global_load_dword v0, v[160:161], off
	global_load_dword v155, v[152:153], off offset:136
	s_waitcnt vmcnt(1)
	global_store_dword v[152:153], v0, off offset:136
	s_waitcnt vmcnt(0)
	global_store_dword v[160:161], v155, off
.LBB70_728:
	s_or_b32 exec_lo, exec_lo, s2
	v_mov_b32_e32 v160, v154
	v_mov_b32_e32 v0, v154
.LBB70_729:
	s_or_b32 exec_lo, exec_lo, s1
.LBB70_730:
	s_andn2_saveexec_b32 s0, s0
; %bb.731:
	v_mov_b32_e32 v160, 34
	ds_write2_b64 v1, v[2:3], v[4:5] offset0:70 offset1:71
; %bb.732:
	s_or_b32 exec_lo, exec_lo, s0
	s_mov_b32 s0, exec_lo
	s_waitcnt lgkmcnt(0)
	s_waitcnt_vscnt null, 0x0
	s_barrier
	buffer_gl0_inv
	v_cmpx_lt_i32_e32 34, v160
	s_cbranch_execz .LBB70_734
; %bb.733:
	v_mul_f64 v[154:155], v[146:147], v[8:9]
	v_mul_f64 v[8:9], v[148:149], v[8:9]
	ds_read2_b64 v[161:164], v1 offset0:70 offset1:71
	v_fma_f64 v[148:149], v[148:149], v[6:7], v[154:155]
	v_fma_f64 v[6:7], v[146:147], v[6:7], -v[8:9]
	s_waitcnt lgkmcnt(0)
	v_mul_f64 v[8:9], v[163:164], v[148:149]
	v_mul_f64 v[146:147], v[161:162], v[148:149]
	v_fma_f64 v[8:9], v[161:162], v[6:7], -v[8:9]
	v_fma_f64 v[146:147], v[163:164], v[6:7], v[146:147]
	v_add_f64 v[2:3], v[2:3], -v[8:9]
	v_add_f64 v[4:5], v[4:5], -v[146:147]
	v_mov_b32_e32 v8, v148
	v_mov_b32_e32 v9, v149
.LBB70_734:
	s_or_b32 exec_lo, exec_lo, s0
	v_lshl_add_u32 v146, v160, 4, v1
	s_barrier
	buffer_gl0_inv
	v_mov_b32_e32 v154, 35
	ds_write2_b64 v146, v[2:3], v[4:5] offset1:1
	s_waitcnt lgkmcnt(0)
	s_barrier
	buffer_gl0_inv
	ds_read2_b64 v[146:149], v1 offset0:70 offset1:71
	s_cmp_lt_i32 s18, 37
	s_cbranch_scc1 .LBB70_737
; %bb.735:
	v_add3_u32 v1, v156, 0, 0x240
	v_mov_b32_e32 v154, 35
	s_mov_b32 s1, 36
	s_inst_prefetch 0x1
	.p2align	6
.LBB70_736:                             ; =>This Inner Loop Header: Depth=1
	s_waitcnt lgkmcnt(0)
	v_cmp_gt_f64_e32 vcc_lo, 0, v[148:149]
	v_cmp_gt_f64_e64 s0, 0, v[146:147]
	ds_read2_b64 v[161:164], v1 offset1:1
	v_xor_b32_e32 v156, 0x80000000, v147
	v_xor_b32_e32 v166, 0x80000000, v149
	v_mov_b32_e32 v155, v146
	v_mov_b32_e32 v165, v148
	v_add_nc_u32_e32 v1, 16, v1
	s_waitcnt lgkmcnt(0)
	v_xor_b32_e32 v168, 0x80000000, v164
	v_cndmask_b32_e64 v156, v147, v156, s0
	v_cndmask_b32_e32 v166, v149, v166, vcc_lo
	v_cmp_gt_f64_e32 vcc_lo, 0, v[163:164]
	v_cmp_gt_f64_e64 s0, 0, v[161:162]
	v_mov_b32_e32 v167, v163
	v_add_f64 v[155:156], v[155:156], v[165:166]
	v_xor_b32_e32 v166, 0x80000000, v162
	v_mov_b32_e32 v165, v161
	v_cndmask_b32_e32 v168, v164, v168, vcc_lo
	v_cndmask_b32_e64 v166, v162, v166, s0
	v_add_f64 v[165:166], v[165:166], v[167:168]
	v_cmp_lt_f64_e32 vcc_lo, v[155:156], v[165:166]
	v_cndmask_b32_e32 v147, v147, v162, vcc_lo
	v_cndmask_b32_e32 v146, v146, v161, vcc_lo
	;; [unrolled: 1-line block ×4, first 2 shown]
	v_cndmask_b32_e64 v154, v154, s1, vcc_lo
	s_add_i32 s1, s1, 1
	s_cmp_lg_u32 s18, s1
	s_cbranch_scc1 .LBB70_736
.LBB70_737:
	s_inst_prefetch 0x2
	s_waitcnt lgkmcnt(0)
	v_cmp_eq_f64_e32 vcc_lo, 0, v[146:147]
	v_cmp_eq_f64_e64 s0, 0, v[148:149]
	s_and_b32 s0, vcc_lo, s0
	s_and_saveexec_b32 s1, s0
	s_xor_b32 s0, exec_lo, s1
; %bb.738:
	v_cmp_ne_u32_e32 vcc_lo, 0, v159
	v_cndmask_b32_e32 v159, 36, v159, vcc_lo
; %bb.739:
	s_andn2_saveexec_b32 s0, s0
	s_cbranch_execz .LBB70_745
; %bb.740:
	v_cmp_ngt_f64_e64 s1, |v[146:147]|, |v[148:149]|
	s_and_saveexec_b32 s2, s1
	s_xor_b32 s1, exec_lo, s2
	s_cbranch_execz .LBB70_742
; %bb.741:
	v_div_scale_f64 v[155:156], null, v[148:149], v[148:149], v[146:147]
	v_div_scale_f64 v[165:166], vcc_lo, v[146:147], v[148:149], v[146:147]
	v_rcp_f64_e32 v[161:162], v[155:156]
	v_fma_f64 v[163:164], -v[155:156], v[161:162], 1.0
	v_fma_f64 v[161:162], v[161:162], v[163:164], v[161:162]
	v_fma_f64 v[163:164], -v[155:156], v[161:162], 1.0
	v_fma_f64 v[161:162], v[161:162], v[163:164], v[161:162]
	v_mul_f64 v[163:164], v[165:166], v[161:162]
	v_fma_f64 v[155:156], -v[155:156], v[163:164], v[165:166]
	v_div_fmas_f64 v[155:156], v[155:156], v[161:162], v[163:164]
	v_div_fixup_f64 v[155:156], v[155:156], v[148:149], v[146:147]
	v_fma_f64 v[146:147], v[146:147], v[155:156], v[148:149]
	v_div_scale_f64 v[148:149], null, v[146:147], v[146:147], 1.0
	v_rcp_f64_e32 v[161:162], v[148:149]
	v_fma_f64 v[163:164], -v[148:149], v[161:162], 1.0
	v_fma_f64 v[161:162], v[161:162], v[163:164], v[161:162]
	v_fma_f64 v[163:164], -v[148:149], v[161:162], 1.0
	v_fma_f64 v[161:162], v[161:162], v[163:164], v[161:162]
	v_div_scale_f64 v[163:164], vcc_lo, 1.0, v[146:147], 1.0
	v_mul_f64 v[165:166], v[163:164], v[161:162]
	v_fma_f64 v[148:149], -v[148:149], v[165:166], v[163:164]
	v_div_fmas_f64 v[148:149], v[148:149], v[161:162], v[165:166]
	v_div_fixup_f64 v[148:149], v[148:149], v[146:147], 1.0
	v_mul_f64 v[146:147], v[155:156], v[148:149]
	v_xor_b32_e32 v149, 0x80000000, v149
.LBB70_742:
	s_andn2_saveexec_b32 s1, s1
	s_cbranch_execz .LBB70_744
; %bb.743:
	v_div_scale_f64 v[155:156], null, v[146:147], v[146:147], v[148:149]
	v_div_scale_f64 v[165:166], vcc_lo, v[148:149], v[146:147], v[148:149]
	v_rcp_f64_e32 v[161:162], v[155:156]
	v_fma_f64 v[163:164], -v[155:156], v[161:162], 1.0
	v_fma_f64 v[161:162], v[161:162], v[163:164], v[161:162]
	v_fma_f64 v[163:164], -v[155:156], v[161:162], 1.0
	v_fma_f64 v[161:162], v[161:162], v[163:164], v[161:162]
	v_mul_f64 v[163:164], v[165:166], v[161:162]
	v_fma_f64 v[155:156], -v[155:156], v[163:164], v[165:166]
	v_div_fmas_f64 v[155:156], v[155:156], v[161:162], v[163:164]
	v_div_fixup_f64 v[155:156], v[155:156], v[146:147], v[148:149]
	v_fma_f64 v[146:147], v[148:149], v[155:156], v[146:147]
	v_div_scale_f64 v[148:149], null, v[146:147], v[146:147], 1.0
	v_rcp_f64_e32 v[161:162], v[148:149]
	v_fma_f64 v[163:164], -v[148:149], v[161:162], 1.0
	v_fma_f64 v[161:162], v[161:162], v[163:164], v[161:162]
	v_fma_f64 v[163:164], -v[148:149], v[161:162], 1.0
	v_fma_f64 v[161:162], v[161:162], v[163:164], v[161:162]
	v_div_scale_f64 v[163:164], vcc_lo, 1.0, v[146:147], 1.0
	v_mul_f64 v[165:166], v[163:164], v[161:162]
	v_fma_f64 v[148:149], -v[148:149], v[165:166], v[163:164]
	v_div_fmas_f64 v[148:149], v[148:149], v[161:162], v[165:166]
	v_div_fixup_f64 v[146:147], v[148:149], v[146:147], 1.0
	v_mul_f64 v[148:149], v[155:156], -v[146:147]
.LBB70_744:
	s_or_b32 exec_lo, exec_lo, s1
.LBB70_745:
	s_or_b32 exec_lo, exec_lo, s0
	v_mov_b32_e32 v155, 35
	s_mov_b32 s0, exec_lo
	v_cmpx_ne_u32_e64 v160, v154
	s_cbranch_execz .LBB70_751
; %bb.746:
	s_mov_b32 s1, exec_lo
	v_cmpx_eq_u32_e32 35, v160
	s_cbranch_execz .LBB70_750
; %bb.747:
	v_cmp_ne_u32_e32 vcc_lo, 35, v154
	s_xor_b32 s2, s16, -1
	s_and_b32 s3, s2, vcc_lo
	s_and_saveexec_b32 s2, s3
	s_cbranch_execz .LBB70_749
; %bb.748:
	v_ashrrev_i32_e32 v155, 31, v154
	v_lshlrev_b64 v[0:1], 2, v[154:155]
	v_add_co_u32 v0, vcc_lo, v152, v0
	v_add_co_ci_u32_e64 v1, null, v153, v1, vcc_lo
	s_clause 0x1
	global_load_dword v155, v[0:1], off
	global_load_dword v156, v[152:153], off offset:140
	s_waitcnt vmcnt(1)
	global_store_dword v[152:153], v155, off offset:140
	s_waitcnt vmcnt(0)
	global_store_dword v[0:1], v156, off
.LBB70_749:
	s_or_b32 exec_lo, exec_lo, s2
	v_mov_b32_e32 v160, v154
	v_mov_b32_e32 v0, v154
.LBB70_750:
	s_or_b32 exec_lo, exec_lo, s1
	v_mov_b32_e32 v155, v160
.LBB70_751:
	s_or_b32 exec_lo, exec_lo, s0
	s_mov_b32 s0, exec_lo
	s_waitcnt_vscnt null, 0x0
	s_barrier
	buffer_gl0_inv
	v_cmpx_lt_i32_e32 35, v155
	s_cbranch_execz .LBB70_753
; %bb.752:
	v_mul_f64 v[152:153], v[148:149], v[4:5]
	v_mul_f64 v[4:5], v[146:147], v[4:5]
	v_fma_f64 v[146:147], v[146:147], v[2:3], -v[152:153]
	v_fma_f64 v[4:5], v[148:149], v[2:3], v[4:5]
	v_mov_b32_e32 v2, v146
	v_mov_b32_e32 v3, v147
.LBB70_753:
	s_or_b32 exec_lo, exec_lo, s0
	v_ashrrev_i32_e32 v156, 31, v155
	s_mov_b32 s0, exec_lo
	s_barrier
	buffer_gl0_inv
	v_cmpx_gt_i32_e32 36, v155
	s_cbranch_execz .LBB70_755
; %bb.754:
	v_mul_lo_u32 v1, s15, v150
	v_mul_lo_u32 v148, s14, v151
	v_mad_u64_u32 v[146:147], null, s14, v150, 0
	s_lshl_b64 s[2:3], s[12:13], 2
	v_add3_u32 v0, v0, s17, 1
	v_add3_u32 v147, v147, v148, v1
	v_lshlrev_b64 v[146:147], 2, v[146:147]
	v_add_co_u32 v1, vcc_lo, s10, v146
	v_add_co_ci_u32_e64 v148, null, s11, v147, vcc_lo
	v_lshlrev_b64 v[146:147], 2, v[155:156]
	v_add_co_u32 v1, vcc_lo, v1, s2
	v_add_co_ci_u32_e64 v148, null, s3, v148, vcc_lo
	v_add_co_u32 v146, vcc_lo, v1, v146
	v_add_co_ci_u32_e64 v147, null, v148, v147, vcc_lo
	global_store_dword v[146:147], v0, off
.LBB70_755:
	s_or_b32 exec_lo, exec_lo, s0
	s_mov_b32 s1, exec_lo
	v_cmpx_eq_u32_e32 0, v155
	s_cbranch_execz .LBB70_758
; %bb.756:
	v_lshlrev_b64 v[0:1], 2, v[150:151]
	v_cmp_ne_u32_e64 s0, 0, v159
	v_add_co_u32 v0, vcc_lo, s4, v0
	v_add_co_ci_u32_e64 v1, null, s5, v1, vcc_lo
	global_load_dword v146, v[0:1], off
	s_waitcnt vmcnt(0)
	v_cmp_eq_u32_e32 vcc_lo, 0, v146
	s_and_b32 s0, vcc_lo, s0
	s_and_b32 exec_lo, exec_lo, s0
	s_cbranch_execz .LBB70_758
; %bb.757:
	v_add_nc_u32_e32 v146, s17, v159
	global_store_dword v[0:1], v146, off
.LBB70_758:
	s_or_b32 exec_lo, exec_lo, s1
	v_lshlrev_b64 v[146:147], 4, v[155:156]
	v_add3_u32 v0, s6, s6, v155
	v_add_nc_u32_e32 v148, s6, v0
	v_add_co_u32 v146, vcc_lo, v157, v146
	v_add_co_ci_u32_e64 v147, null, v158, v147, vcc_lo
	v_ashrrev_i32_e32 v1, 31, v0
	v_ashrrev_i32_e32 v149, 31, v148
	global_store_dwordx4 v[146:147], v[142:145], off
	v_add_co_u32 v142, vcc_lo, v146, s8
	v_add_nc_u32_e32 v146, s6, v148
	v_lshlrev_b64 v[0:1], 4, v[0:1]
	v_lshlrev_b64 v[144:145], 4, v[148:149]
	v_add_co_ci_u32_e64 v143, null, s9, v147, vcc_lo
	v_add_nc_u32_e32 v148, s6, v146
	v_ashrrev_i32_e32 v147, 31, v146
	v_add_co_u32 v0, vcc_lo, v157, v0
	v_add_co_ci_u32_e64 v1, null, v158, v1, vcc_lo
	v_add_co_u32 v144, vcc_lo, v157, v144
	global_store_dwordx4 v[142:143], v[130:133], off
	v_add_nc_u32_e32 v132, s6, v148
	v_add_co_ci_u32_e64 v145, null, v158, v145, vcc_lo
	v_ashrrev_i32_e32 v149, 31, v148
	v_lshlrev_b64 v[130:131], 4, v[146:147]
	global_store_dwordx4 v[0:1], v[138:141], off
	global_store_dwordx4 v[144:145], v[134:137], off
	v_add_nc_u32_e32 v134, s6, v132
	v_ashrrev_i32_e32 v133, 31, v132
	v_lshlrev_b64 v[0:1], 4, v[148:149]
	v_add_co_u32 v130, vcc_lo, v157, v130
	v_add_nc_u32_e32 v136, s6, v134
	v_add_co_ci_u32_e64 v131, null, v158, v131, vcc_lo
	v_add_co_u32 v0, vcc_lo, v157, v0
	v_ashrrev_i32_e32 v135, 31, v134
	v_add_co_ci_u32_e64 v1, null, v158, v1, vcc_lo
	v_ashrrev_i32_e32 v137, 31, v136
	v_lshlrev_b64 v[132:133], 4, v[132:133]
	global_store_dwordx4 v[130:131], v[126:129], off
	global_store_dwordx4 v[0:1], v[122:125], off
	v_lshlrev_b64 v[0:1], 4, v[134:135]
	v_add_nc_u32_e32 v126, s6, v136
	v_lshlrev_b64 v[124:125], 4, v[136:137]
	v_add_co_u32 v122, vcc_lo, v157, v132
	v_add_co_ci_u32_e64 v123, null, v158, v133, vcc_lo
	v_add_co_u32 v0, vcc_lo, v157, v0
	v_add_co_ci_u32_e64 v1, null, v158, v1, vcc_lo
	v_add_co_u32 v124, vcc_lo, v157, v124
	v_add_nc_u32_e32 v128, s6, v126
	v_add_co_ci_u32_e64 v125, null, v158, v125, vcc_lo
	v_ashrrev_i32_e32 v127, 31, v126
	global_store_dwordx4 v[122:123], v[118:121], off
	global_store_dwordx4 v[0:1], v[114:117], off
	global_store_dwordx4 v[124:125], v[110:113], off
	v_add_nc_u32_e32 v110, s6, v128
	v_ashrrev_i32_e32 v129, 31, v128
	v_lshlrev_b64 v[118:119], 4, v[126:127]
	v_add_nc_u32_e32 v114, s6, v110
	v_lshlrev_b64 v[0:1], 4, v[128:129]
	v_ashrrev_i32_e32 v111, 31, v110
	v_add_co_u32 v112, vcc_lo, v157, v118
	v_add_nc_u32_e32 v116, s6, v114
	v_add_co_ci_u32_e64 v113, null, v158, v119, vcc_lo
	v_add_co_u32 v0, vcc_lo, v157, v0
	v_ashrrev_i32_e32 v115, 31, v114
	v_add_co_ci_u32_e64 v1, null, v158, v1, vcc_lo
	v_ashrrev_i32_e32 v117, 31, v116
	v_lshlrev_b64 v[110:111], 4, v[110:111]
	global_store_dwordx4 v[112:113], v[106:109], off
	global_store_dwordx4 v[0:1], v[102:105], off
	v_lshlrev_b64 v[0:1], 4, v[114:115]
	v_add_nc_u32_e32 v106, s6, v116
	v_lshlrev_b64 v[104:105], 4, v[116:117]
	v_add_co_u32 v102, vcc_lo, v157, v110
	v_add_co_ci_u32_e64 v103, null, v158, v111, vcc_lo
	v_add_co_u32 v0, vcc_lo, v157, v0
	v_add_co_ci_u32_e64 v1, null, v158, v1, vcc_lo
	v_add_co_u32 v104, vcc_lo, v157, v104
	v_add_nc_u32_e32 v108, s6, v106
	v_add_co_ci_u32_e64 v105, null, v158, v105, vcc_lo
	v_ashrrev_i32_e32 v107, 31, v106
	global_store_dwordx4 v[102:103], v[98:101], off
	global_store_dwordx4 v[0:1], v[94:97], off
	global_store_dwordx4 v[104:105], v[90:93], off
	v_add_nc_u32_e32 v90, s6, v108
	v_ashrrev_i32_e32 v109, 31, v108
	v_lshlrev_b64 v[98:99], 4, v[106:107]
	v_add_nc_u32_e32 v94, s6, v90
	v_lshlrev_b64 v[0:1], 4, v[108:109]
	v_ashrrev_i32_e32 v91, 31, v90
	v_add_co_u32 v92, vcc_lo, v157, v98
	v_add_nc_u32_e32 v96, s6, v94
	v_add_co_ci_u32_e64 v93, null, v158, v99, vcc_lo
	v_add_co_u32 v0, vcc_lo, v157, v0
	v_ashrrev_i32_e32 v95, 31, v94
	v_add_co_ci_u32_e64 v1, null, v158, v1, vcc_lo
	v_ashrrev_i32_e32 v97, 31, v96
	v_lshlrev_b64 v[90:91], 4, v[90:91]
	global_store_dwordx4 v[92:93], v[86:89], off
	global_store_dwordx4 v[0:1], v[82:85], off
	v_lshlrev_b64 v[0:1], 4, v[94:95]
	v_add_nc_u32_e32 v86, s6, v96
	v_lshlrev_b64 v[84:85], 4, v[96:97]
	v_add_co_u32 v82, vcc_lo, v157, v90
	v_add_co_ci_u32_e64 v83, null, v158, v91, vcc_lo
	v_add_co_u32 v0, vcc_lo, v157, v0
	v_add_co_ci_u32_e64 v1, null, v158, v1, vcc_lo
	v_add_co_u32 v84, vcc_lo, v157, v84
	v_add_nc_u32_e32 v88, s6, v86
	v_add_co_ci_u32_e64 v85, null, v158, v85, vcc_lo
	v_ashrrev_i32_e32 v87, 31, v86
	global_store_dwordx4 v[82:83], v[78:81], off
	global_store_dwordx4 v[0:1], v[74:77], off
	global_store_dwordx4 v[84:85], v[70:73], off
	v_add_nc_u32_e32 v70, s6, v88
	v_ashrrev_i32_e32 v89, 31, v88
	v_lshlrev_b64 v[78:79], 4, v[86:87]
	v_add_nc_u32_e32 v74, s6, v70
	v_lshlrev_b64 v[0:1], 4, v[88:89]
	v_ashrrev_i32_e32 v71, 31, v70
	v_add_co_u32 v72, vcc_lo, v157, v78
	v_add_nc_u32_e32 v76, s6, v74
	v_add_co_ci_u32_e64 v73, null, v158, v79, vcc_lo
	v_add_co_u32 v0, vcc_lo, v157, v0
	v_ashrrev_i32_e32 v75, 31, v74
	v_add_co_ci_u32_e64 v1, null, v158, v1, vcc_lo
	v_ashrrev_i32_e32 v77, 31, v76
	v_lshlrev_b64 v[70:71], 4, v[70:71]
	global_store_dwordx4 v[72:73], v[66:69], off
	global_store_dwordx4 v[0:1], v[62:65], off
	v_lshlrev_b64 v[0:1], 4, v[74:75]
	v_add_nc_u32_e32 v66, s6, v76
	v_lshlrev_b64 v[64:65], 4, v[76:77]
	v_add_co_u32 v62, vcc_lo, v157, v70
	v_add_co_ci_u32_e64 v63, null, v158, v71, vcc_lo
	v_add_co_u32 v0, vcc_lo, v157, v0
	v_add_co_ci_u32_e64 v1, null, v158, v1, vcc_lo
	v_add_co_u32 v64, vcc_lo, v157, v64
	v_add_nc_u32_e32 v68, s6, v66
	v_add_co_ci_u32_e64 v65, null, v158, v65, vcc_lo
	v_ashrrev_i32_e32 v67, 31, v66
	global_store_dwordx4 v[62:63], v[58:61], off
	global_store_dwordx4 v[0:1], v[54:57], off
	global_store_dwordx4 v[64:65], v[50:53], off
	v_add_nc_u32_e32 v50, s6, v68
	v_ashrrev_i32_e32 v69, 31, v68
	v_lshlrev_b64 v[58:59], 4, v[66:67]
	v_add_nc_u32_e32 v54, s6, v50
	v_lshlrev_b64 v[0:1], 4, v[68:69]
	v_ashrrev_i32_e32 v51, 31, v50
	v_add_co_u32 v52, vcc_lo, v157, v58
	v_add_nc_u32_e32 v56, s6, v54
	v_add_co_ci_u32_e64 v53, null, v158, v59, vcc_lo
	v_add_co_u32 v0, vcc_lo, v157, v0
	v_ashrrev_i32_e32 v55, 31, v54
	v_add_co_ci_u32_e64 v1, null, v158, v1, vcc_lo
	v_ashrrev_i32_e32 v57, 31, v56
	v_lshlrev_b64 v[50:51], 4, v[50:51]
	global_store_dwordx4 v[52:53], v[46:49], off
	global_store_dwordx4 v[0:1], v[42:45], off
	v_lshlrev_b64 v[0:1], 4, v[54:55]
	v_add_nc_u32_e32 v46, s6, v56
	v_lshlrev_b64 v[44:45], 4, v[56:57]
	v_add_co_u32 v42, vcc_lo, v157, v50
	v_add_co_ci_u32_e64 v43, null, v158, v51, vcc_lo
	v_add_co_u32 v0, vcc_lo, v157, v0
	v_add_nc_u32_e32 v48, s6, v46
	v_add_co_ci_u32_e64 v1, null, v158, v1, vcc_lo
	v_add_co_u32 v44, vcc_lo, v157, v44
	v_ashrrev_i32_e32 v47, 31, v46
	v_add_co_ci_u32_e64 v45, null, v158, v45, vcc_lo
	v_ashrrev_i32_e32 v49, 31, v48
	global_store_dwordx4 v[42:43], v[38:41], off
	v_lshlrev_b64 v[38:39], 4, v[46:47]
	global_store_dwordx4 v[0:1], v[34:37], off
	global_store_dwordx4 v[44:45], v[30:33], off
	v_add_nc_u32_e32 v30, s6, v48
	v_lshlrev_b64 v[0:1], 4, v[48:49]
	v_add_co_u32 v32, vcc_lo, v157, v38
	v_add_nc_u32_e32 v34, s6, v30
	v_add_co_ci_u32_e64 v33, null, v158, v39, vcc_lo
	v_add_co_u32 v0, vcc_lo, v157, v0
	v_add_co_ci_u32_e64 v1, null, v158, v1, vcc_lo
	v_add_nc_u32_e32 v36, s6, v34
	v_ashrrev_i32_e32 v31, 31, v30
	global_store_dwordx4 v[32:33], v[26:29], off
	global_store_dwordx4 v[0:1], v[22:25], off
	v_ashrrev_i32_e32 v35, 31, v34
	v_add_nc_u32_e32 v22, s6, v36
	v_lshlrev_b64 v[26:27], 4, v[30:31]
	v_ashrrev_i32_e32 v37, 31, v36
	v_lshlrev_b64 v[0:1], 4, v[34:35]
	v_add_nc_u32_e32 v28, s6, v22
	v_ashrrev_i32_e32 v23, 31, v22
	v_add_co_u32 v24, vcc_lo, v157, v26
	v_add_co_ci_u32_e64 v25, null, v158, v27, vcc_lo
	v_ashrrev_i32_e32 v29, 31, v28
	v_lshlrev_b64 v[26:27], 4, v[36:37]
	v_lshlrev_b64 v[22:23], 4, v[22:23]
	v_add_co_u32 v0, vcc_lo, v157, v0
	v_lshlrev_b64 v[28:29], 4, v[28:29]
	v_add_co_ci_u32_e64 v1, null, v158, v1, vcc_lo
	v_add_co_u32 v26, vcc_lo, v157, v26
	v_add_co_ci_u32_e64 v27, null, v158, v27, vcc_lo
	v_add_co_u32 v22, vcc_lo, v157, v22
	;; [unrolled: 2-line block ×3, first 2 shown]
	v_add_co_ci_u32_e64 v29, null, v158, v29, vcc_lo
	global_store_dwordx4 v[24:25], v[18:21], off
	global_store_dwordx4 v[0:1], v[14:17], off
	;; [unrolled: 1-line block ×5, first 2 shown]
.LBB70_759:
	s_endpgm
	.section	.rodata,"a",@progbits
	.p2align	6, 0x0
	.amdhsa_kernel _ZN9rocsolver6v33100L18getf2_small_kernelILi36E19rocblas_complex_numIdEiiPS3_EEvT1_T3_lS5_lPS5_llPT2_S5_S5_S7_l
		.amdhsa_group_segment_fixed_size 0
		.amdhsa_private_segment_fixed_size 0
		.amdhsa_kernarg_size 352
		.amdhsa_user_sgpr_count 6
		.amdhsa_user_sgpr_private_segment_buffer 1
		.amdhsa_user_sgpr_dispatch_ptr 0
		.amdhsa_user_sgpr_queue_ptr 0
		.amdhsa_user_sgpr_kernarg_segment_ptr 1
		.amdhsa_user_sgpr_dispatch_id 0
		.amdhsa_user_sgpr_flat_scratch_init 0
		.amdhsa_user_sgpr_private_segment_size 0
		.amdhsa_wavefront_size32 1
		.amdhsa_uses_dynamic_stack 0
		.amdhsa_system_sgpr_private_segment_wavefront_offset 0
		.amdhsa_system_sgpr_workgroup_id_x 1
		.amdhsa_system_sgpr_workgroup_id_y 1
		.amdhsa_system_sgpr_workgroup_id_z 0
		.amdhsa_system_sgpr_workgroup_info 0
		.amdhsa_system_vgpr_workitem_id 1
		.amdhsa_next_free_vgpr 187
		.amdhsa_next_free_sgpr 19
		.amdhsa_reserve_vcc 1
		.amdhsa_reserve_flat_scratch 0
		.amdhsa_float_round_mode_32 0
		.amdhsa_float_round_mode_16_64 0
		.amdhsa_float_denorm_mode_32 3
		.amdhsa_float_denorm_mode_16_64 3
		.amdhsa_dx10_clamp 1
		.amdhsa_ieee_mode 1
		.amdhsa_fp16_overflow 0
		.amdhsa_workgroup_processor_mode 1
		.amdhsa_memory_ordered 1
		.amdhsa_forward_progress 1
		.amdhsa_shared_vgpr_count 0
		.amdhsa_exception_fp_ieee_invalid_op 0
		.amdhsa_exception_fp_denorm_src 0
		.amdhsa_exception_fp_ieee_div_zero 0
		.amdhsa_exception_fp_ieee_overflow 0
		.amdhsa_exception_fp_ieee_underflow 0
		.amdhsa_exception_fp_ieee_inexact 0
		.amdhsa_exception_int_div_zero 0
	.end_amdhsa_kernel
	.section	.text._ZN9rocsolver6v33100L18getf2_small_kernelILi36E19rocblas_complex_numIdEiiPS3_EEvT1_T3_lS5_lPS5_llPT2_S5_S5_S7_l,"axG",@progbits,_ZN9rocsolver6v33100L18getf2_small_kernelILi36E19rocblas_complex_numIdEiiPS3_EEvT1_T3_lS5_lPS5_llPT2_S5_S5_S7_l,comdat
.Lfunc_end70:
	.size	_ZN9rocsolver6v33100L18getf2_small_kernelILi36E19rocblas_complex_numIdEiiPS3_EEvT1_T3_lS5_lPS5_llPT2_S5_S5_S7_l, .Lfunc_end70-_ZN9rocsolver6v33100L18getf2_small_kernelILi36E19rocblas_complex_numIdEiiPS3_EEvT1_T3_lS5_lPS5_llPT2_S5_S5_S7_l
                                        ; -- End function
	.set _ZN9rocsolver6v33100L18getf2_small_kernelILi36E19rocblas_complex_numIdEiiPS3_EEvT1_T3_lS5_lPS5_llPT2_S5_S5_S7_l.num_vgpr, 187
	.set _ZN9rocsolver6v33100L18getf2_small_kernelILi36E19rocblas_complex_numIdEiiPS3_EEvT1_T3_lS5_lPS5_llPT2_S5_S5_S7_l.num_agpr, 0
	.set _ZN9rocsolver6v33100L18getf2_small_kernelILi36E19rocblas_complex_numIdEiiPS3_EEvT1_T3_lS5_lPS5_llPT2_S5_S5_S7_l.numbered_sgpr, 19
	.set _ZN9rocsolver6v33100L18getf2_small_kernelILi36E19rocblas_complex_numIdEiiPS3_EEvT1_T3_lS5_lPS5_llPT2_S5_S5_S7_l.num_named_barrier, 0
	.set _ZN9rocsolver6v33100L18getf2_small_kernelILi36E19rocblas_complex_numIdEiiPS3_EEvT1_T3_lS5_lPS5_llPT2_S5_S5_S7_l.private_seg_size, 0
	.set _ZN9rocsolver6v33100L18getf2_small_kernelILi36E19rocblas_complex_numIdEiiPS3_EEvT1_T3_lS5_lPS5_llPT2_S5_S5_S7_l.uses_vcc, 1
	.set _ZN9rocsolver6v33100L18getf2_small_kernelILi36E19rocblas_complex_numIdEiiPS3_EEvT1_T3_lS5_lPS5_llPT2_S5_S5_S7_l.uses_flat_scratch, 0
	.set _ZN9rocsolver6v33100L18getf2_small_kernelILi36E19rocblas_complex_numIdEiiPS3_EEvT1_T3_lS5_lPS5_llPT2_S5_S5_S7_l.has_dyn_sized_stack, 0
	.set _ZN9rocsolver6v33100L18getf2_small_kernelILi36E19rocblas_complex_numIdEiiPS3_EEvT1_T3_lS5_lPS5_llPT2_S5_S5_S7_l.has_recursion, 0
	.set _ZN9rocsolver6v33100L18getf2_small_kernelILi36E19rocblas_complex_numIdEiiPS3_EEvT1_T3_lS5_lPS5_llPT2_S5_S5_S7_l.has_indirect_call, 0
	.section	.AMDGPU.csdata,"",@progbits
; Kernel info:
; codeLenInByte = 81552
; TotalNumSgprs: 21
; NumVgprs: 187
; ScratchSize: 0
; MemoryBound: 0
; FloatMode: 240
; IeeeMode: 1
; LDSByteSize: 0 bytes/workgroup (compile time only)
; SGPRBlocks: 0
; VGPRBlocks: 23
; NumSGPRsForWavesPerEU: 21
; NumVGPRsForWavesPerEU: 187
; Occupancy: 5
; WaveLimiterHint : 0
; COMPUTE_PGM_RSRC2:SCRATCH_EN: 0
; COMPUTE_PGM_RSRC2:USER_SGPR: 6
; COMPUTE_PGM_RSRC2:TRAP_HANDLER: 0
; COMPUTE_PGM_RSRC2:TGID_X_EN: 1
; COMPUTE_PGM_RSRC2:TGID_Y_EN: 1
; COMPUTE_PGM_RSRC2:TGID_Z_EN: 0
; COMPUTE_PGM_RSRC2:TIDIG_COMP_CNT: 1
	.section	.text._ZN9rocsolver6v33100L23getf2_npvt_small_kernelILi36E19rocblas_complex_numIdEiiPS3_EEvT1_T3_lS5_lPT2_S5_S5_,"axG",@progbits,_ZN9rocsolver6v33100L23getf2_npvt_small_kernelILi36E19rocblas_complex_numIdEiiPS3_EEvT1_T3_lS5_lPT2_S5_S5_,comdat
	.globl	_ZN9rocsolver6v33100L23getf2_npvt_small_kernelILi36E19rocblas_complex_numIdEiiPS3_EEvT1_T3_lS5_lPT2_S5_S5_ ; -- Begin function _ZN9rocsolver6v33100L23getf2_npvt_small_kernelILi36E19rocblas_complex_numIdEiiPS3_EEvT1_T3_lS5_lPT2_S5_S5_
	.p2align	8
	.type	_ZN9rocsolver6v33100L23getf2_npvt_small_kernelILi36E19rocblas_complex_numIdEiiPS3_EEvT1_T3_lS5_lPT2_S5_S5_,@function
_ZN9rocsolver6v33100L23getf2_npvt_small_kernelILi36E19rocblas_complex_numIdEiiPS3_EEvT1_T3_lS5_lPT2_S5_S5_: ; @_ZN9rocsolver6v33100L23getf2_npvt_small_kernelILi36E19rocblas_complex_numIdEiiPS3_EEvT1_T3_lS5_lPT2_S5_S5_
; %bb.0:
	s_mov_b64 s[18:19], s[2:3]
	s_mov_b64 s[16:17], s[0:1]
	s_clause 0x1
	s_load_dword s0, s[4:5], 0x44
	s_load_dwordx2 s[12:13], s[4:5], 0x30
	s_add_u32 s16, s16, s8
	s_addc_u32 s17, s17, 0
	s_waitcnt lgkmcnt(0)
	s_lshr_b32 s14, s0, 16
	s_mov_b32 s0, exec_lo
	v_mad_u64_u32 v[235:236], null, s7, s14, v[1:2]
	v_cmpx_gt_i32_e64 s12, v235
	s_cbranch_execz .LBB71_329
; %bb.1:
	s_clause 0x2
	s_load_dwordx4 s[8:11], s[4:5], 0x20
	s_load_dword s6, s[4:5], 0x18
	s_load_dwordx4 s[0:3], s[4:5], 0x8
	v_ashrrev_i32_e32 v236, 31, v235
	v_lshlrev_b32_e32 v146, 4, v1
	s_mulk_i32 s14, 0x240
	v_mad_u32_u24 v184, 0x240, v1, 0
	v_add3_u32 v1, 0, s14, v146
	s_waitcnt lgkmcnt(0)
	v_mul_lo_u32 v5, s9, v235
	v_mul_lo_u32 v7, s8, v236
	v_mad_u64_u32 v[2:3], null, s8, v235, 0
	v_add3_u32 v4, s6, s6, v0
	s_lshl_b64 s[2:3], s[2:3], 4
	s_ashr_i32 s7, s6, 31
	v_add_nc_u32_e32 v6, s6, v4
	v_add3_u32 v3, v3, v7, v5
	v_ashrrev_i32_e32 v5, 31, v4
	v_add_nc_u32_e32 v8, s6, v6
	v_lshlrev_b64 v[2:3], 4, v[2:3]
	v_ashrrev_i32_e32 v7, 31, v6
	v_lshlrev_b64 v[4:5], 4, v[4:5]
	v_add_nc_u32_e32 v10, s6, v8
	v_ashrrev_i32_e32 v9, 31, v8
	v_add_co_u32 v2, vcc_lo, s0, v2
	v_add_co_ci_u32_e64 v3, null, s1, v3, vcc_lo
	v_add_nc_u32_e32 v12, s6, v10
	v_add_co_u32 v2, vcc_lo, v2, s2
	v_lshlrev_b64 v[6:7], 4, v[6:7]
	v_ashrrev_i32_e32 v11, 31, v10
	v_add_co_ci_u32_e64 v3, null, s3, v3, vcc_lo
	v_add_nc_u32_e32 v14, s6, v12
	v_lshlrev_b64 v[8:9], 4, v[8:9]
	v_ashrrev_i32_e32 v13, 31, v12
	v_add_co_u32 v189, vcc_lo, v2, v4
	v_lshlrev_b64 v[10:11], 4, v[10:11]
	v_add_co_ci_u32_e64 v190, null, v3, v5, vcc_lo
	v_add_co_u32 v191, vcc_lo, v2, v6
	v_add_nc_u32_e32 v6, s6, v14
	v_lshlrev_b64 v[4:5], 4, v[12:13]
	v_ashrrev_i32_e32 v15, 31, v14
	v_add_co_ci_u32_e64 v192, null, v3, v7, vcc_lo
	v_add_co_u32 v187, vcc_lo, v2, v8
	v_add_co_ci_u32_e64 v188, null, v3, v9, vcc_lo
	v_add_co_u32 v195, vcc_lo, v2, v10
	v_ashrrev_i32_e32 v7, 31, v6
	v_add_nc_u32_e32 v10, s6, v6
	v_lshlrev_b64 v[8:9], 4, v[14:15]
	v_add_co_ci_u32_e64 v196, null, v3, v11, vcc_lo
	v_add_co_u32 v193, vcc_lo, v2, v4
	v_add_co_ci_u32_e64 v194, null, v3, v5, vcc_lo
	v_lshlrev_b64 v[4:5], 4, v[6:7]
	v_ashrrev_i32_e32 v11, 31, v10
	v_add_nc_u32_e32 v6, s6, v10
	v_add_co_u32 v199, vcc_lo, v2, v8
	v_add_co_ci_u32_e64 v200, null, v3, v9, vcc_lo
	v_lshlrev_b64 v[8:9], 4, v[10:11]
	v_ashrrev_i32_e32 v7, 31, v6
	v_add_nc_u32_e32 v10, s6, v6
	v_add_co_u32 v197, vcc_lo, v2, v4
	v_add_co_ci_u32_e64 v198, null, v3, v5, vcc_lo
	v_lshlrev_b64 v[4:5], 4, v[6:7]
	v_ashrrev_i32_e32 v11, 31, v10
	v_add_nc_u32_e32 v6, s6, v10
	v_add_co_u32 v254, vcc_lo, v2, v8
	v_add_co_ci_u32_e64 v255, null, v3, v9, vcc_lo
	v_lshlrev_b64 v[8:9], 4, v[10:11]
	v_ashrrev_i32_e32 v7, 31, v6
	v_add_nc_u32_e32 v10, s6, v6
	v_add_co_u32 v203, vcc_lo, v2, v4
	v_add_co_ci_u32_e64 v204, null, v3, v5, vcc_lo
	v_lshlrev_b64 v[4:5], 4, v[6:7]
	v_ashrrev_i32_e32 v11, 31, v10
	v_add_nc_u32_e32 v6, s6, v10
	v_add_co_u32 v201, vcc_lo, v2, v8
	v_add_co_ci_u32_e64 v202, null, v3, v9, vcc_lo
	v_lshlrev_b64 v[8:9], 4, v[10:11]
	v_ashrrev_i32_e32 v7, 31, v6
	v_add_nc_u32_e32 v10, s6, v6
	v_add_co_u32 v207, vcc_lo, v2, v4
	v_add_co_ci_u32_e64 v208, null, v3, v5, vcc_lo
	v_lshlrev_b64 v[4:5], 4, v[6:7]
	v_ashrrev_i32_e32 v11, 31, v10
	v_add_nc_u32_e32 v6, s6, v10
	v_add_co_u32 v205, vcc_lo, v2, v8
	v_add_co_ci_u32_e64 v206, null, v3, v9, vcc_lo
	v_lshlrev_b64 v[8:9], 4, v[10:11]
	v_ashrrev_i32_e32 v7, 31, v6
	v_add_nc_u32_e32 v10, s6, v6
	v_add_co_u32 v211, vcc_lo, v2, v4
	v_add_co_ci_u32_e64 v212, null, v3, v5, vcc_lo
	v_lshlrev_b64 v[4:5], 4, v[6:7]
	v_ashrrev_i32_e32 v11, 31, v10
	v_add_nc_u32_e32 v6, s6, v10
	v_add_co_u32 v209, vcc_lo, v2, v8
	v_add_co_ci_u32_e64 v210, null, v3, v9, vcc_lo
	v_lshlrev_b64 v[8:9], 4, v[10:11]
	v_ashrrev_i32_e32 v7, 31, v6
	v_add_nc_u32_e32 v10, s6, v6
	v_add_co_u32 v215, vcc_lo, v2, v4
	v_add_co_ci_u32_e64 v216, null, v3, v5, vcc_lo
	v_lshlrev_b64 v[4:5], 4, v[6:7]
	v_ashrrev_i32_e32 v11, 31, v10
	v_add_nc_u32_e32 v6, s6, v10
	v_add_co_u32 v213, vcc_lo, v2, v8
	v_add_co_ci_u32_e64 v214, null, v3, v9, vcc_lo
	v_lshlrev_b64 v[8:9], 4, v[10:11]
	v_ashrrev_i32_e32 v7, 31, v6
	v_add_nc_u32_e32 v10, s6, v6
	v_add_co_u32 v219, vcc_lo, v2, v4
	v_add_co_ci_u32_e64 v220, null, v3, v5, vcc_lo
	v_lshlrev_b64 v[4:5], 4, v[6:7]
	v_ashrrev_i32_e32 v11, 31, v10
	v_add_nc_u32_e32 v6, s6, v10
	v_add_co_u32 v217, vcc_lo, v2, v8
	v_add_co_ci_u32_e64 v218, null, v3, v9, vcc_lo
	v_lshlrev_b64 v[8:9], 4, v[10:11]
	v_ashrrev_i32_e32 v7, 31, v6
	v_add_nc_u32_e32 v10, s6, v6
	v_add_co_u32 v223, vcc_lo, v2, v4
	v_add_co_ci_u32_e64 v224, null, v3, v5, vcc_lo
	v_lshlrev_b64 v[4:5], 4, v[6:7]
	v_ashrrev_i32_e32 v11, 31, v10
	v_add_nc_u32_e32 v6, s6, v10
	v_add_co_u32 v221, vcc_lo, v2, v8
	v_add_co_ci_u32_e64 v222, null, v3, v9, vcc_lo
	v_lshlrev_b64 v[8:9], 4, v[10:11]
	v_ashrrev_i32_e32 v7, 31, v6
	v_add_nc_u32_e32 v10, s6, v6
	v_add_co_u32 v227, vcc_lo, v2, v4
	v_add_co_ci_u32_e64 v228, null, v3, v5, vcc_lo
	v_lshlrev_b64 v[4:5], 4, v[6:7]
	v_ashrrev_i32_e32 v11, 31, v10
	v_add_nc_u32_e32 v6, s6, v10
	v_add_co_u32 v225, vcc_lo, v2, v8
	v_add_co_ci_u32_e64 v226, null, v3, v9, vcc_lo
	v_lshlrev_b64 v[8:9], 4, v[10:11]
	v_ashrrev_i32_e32 v7, 31, v6
	v_add_nc_u32_e32 v10, s6, v6
	v_add_co_u32 v231, vcc_lo, v2, v4
	v_add_co_ci_u32_e64 v232, null, v3, v5, vcc_lo
	v_lshlrev_b64 v[4:5], 4, v[6:7]
	v_ashrrev_i32_e32 v11, 31, v10
	v_add_nc_u32_e32 v6, s6, v10
	v_add_co_u32 v229, vcc_lo, v2, v8
	v_add_co_ci_u32_e64 v230, null, v3, v9, vcc_lo
	v_lshlrev_b64 v[8:9], 4, v[10:11]
	v_ashrrev_i32_e32 v7, 31, v6
	v_add_nc_u32_e32 v10, s6, v6
	v_add_co_u32 v233, vcc_lo, v2, v4
	v_add_co_ci_u32_e64 v234, null, v3, v5, vcc_lo
	v_lshlrev_b64 v[4:5], 4, v[6:7]
	v_ashrrev_i32_e32 v11, 31, v10
	v_add_nc_u32_e32 v6, s6, v10
	v_add_co_u32 v239, vcc_lo, v2, v8
	v_add_co_ci_u32_e64 v240, null, v3, v9, vcc_lo
	v_lshlrev_b64 v[8:9], 4, v[10:11]
	v_ashrrev_i32_e32 v7, 31, v6
	v_add_nc_u32_e32 v10, s6, v6
	v_add_co_u32 v237, vcc_lo, v2, v4
	v_add_co_ci_u32_e64 v238, null, v3, v5, vcc_lo
	v_lshlrev_b64 v[4:5], 4, v[6:7]
	v_ashrrev_i32_e32 v11, 31, v10
	v_add_nc_u32_e32 v6, s6, v10
	v_add_co_u32 v243, vcc_lo, v2, v8
	v_add_co_ci_u32_e64 v244, null, v3, v9, vcc_lo
	v_lshlrev_b64 v[8:9], 4, v[10:11]
	v_ashrrev_i32_e32 v7, 31, v6
	v_add_nc_u32_e32 v10, s6, v6
	v_add_co_u32 v241, vcc_lo, v2, v4
	v_add_co_ci_u32_e64 v242, null, v3, v5, vcc_lo
	v_lshlrev_b64 v[4:5], 4, v[6:7]
	v_add_nc_u32_e32 v6, s6, v10
	v_ashrrev_i32_e32 v11, 31, v10
	v_add_co_u32 v245, vcc_lo, v2, v8
	v_add_co_ci_u32_e64 v246, null, v3, v9, vcc_lo
	v_ashrrev_i32_e32 v7, 31, v6
	v_lshlrev_b64 v[8:9], 4, v[10:11]
	v_add_co_u32 v247, vcc_lo, v2, v4
	v_add_co_ci_u32_e64 v248, null, v3, v5, vcc_lo
	v_lshlrev_b64 v[4:5], 4, v[6:7]
	v_add_nc_u32_e32 v6, s6, v6
	v_add_co_u32 v251, vcc_lo, v2, v8
	v_lshlrev_b32_e32 v8, 4, v0
	v_add_co_ci_u32_e64 v252, null, v3, v9, vcc_lo
	v_add_co_u32 v249, vcc_lo, v2, v4
	v_ashrrev_i32_e32 v7, 31, v6
	v_add_co_ci_u32_e64 v250, null, v3, v5, vcc_lo
	v_add_co_u32 v8, vcc_lo, v2, v8
	v_add_co_ci_u32_e64 v9, null, 0, v3, vcc_lo
	s_lshl_b64 s[0:1], s[6:7], 4
	v_lshlrev_b64 v[4:5], 4, v[6:7]
	v_add_co_u32 v6, vcc_lo, v8, s0
	v_add_co_ci_u32_e64 v7, null, s1, v9, vcc_lo
	buffer_store_dword v8, off, s[16:19], 0 offset:8 ; 4-byte Folded Spill
	buffer_store_dword v9, off, s[16:19], 0 offset:12 ; 4-byte Folded Spill
	v_add_co_u32 v185, vcc_lo, v2, v4
	v_add_co_ci_u32_e64 v186, null, v3, v5, vcc_lo
	v_cmp_ne_u32_e64 s1, 0, v0
	v_cmp_eq_u32_e64 s0, 0, v0
	global_load_dwordx4 v[142:145], v[8:9], off
	buffer_store_dword v6, off, s[16:19], 0 ; 4-byte Folded Spill
	buffer_store_dword v7, off, s[16:19], 0 offset:4 ; 4-byte Folded Spill
	s_clause 0x22
	global_load_dwordx4 v[138:141], v[6:7], off
	global_load_dwordx4 v[134:137], v[189:190], off
	;; [unrolled: 1-line block ×35, first 2 shown]
	s_and_saveexec_b32 s3, s0
	s_cbranch_execz .LBB71_8
; %bb.2:
	s_waitcnt vmcnt(35)
	ds_write2_b64 v1, v[142:143], v[144:145] offset1:1
	s_waitcnt vmcnt(34)
	ds_write2_b64 v184, v[138:139], v[140:141] offset0:2 offset1:3
	s_waitcnt vmcnt(33)
	ds_write2_b64 v184, v[134:135], v[136:137] offset0:4 offset1:5
	;; [unrolled: 2-line block ×35, first 2 shown]
	ds_read2_b64 v[146:149], v1 offset1:1
	s_waitcnt lgkmcnt(0)
	v_cmp_neq_f64_e32 vcc_lo, 0, v[146:147]
	v_cmp_neq_f64_e64 s2, 0, v[148:149]
	s_or_b32 s2, vcc_lo, s2
	s_and_b32 exec_lo, exec_lo, s2
	s_cbranch_execz .LBB71_8
; %bb.3:
	v_cmp_ngt_f64_e64 s2, |v[146:147]|, |v[148:149]|
                                        ; implicit-def: $vgpr150_vgpr151
	s_and_saveexec_b32 s4, s2
	s_xor_b32 s2, exec_lo, s4
                                        ; implicit-def: $vgpr152_vgpr153
	s_cbranch_execz .LBB71_5
; %bb.4:
	v_div_scale_f64 v[150:151], null, v[148:149], v[148:149], v[146:147]
	v_div_scale_f64 v[156:157], vcc_lo, v[146:147], v[148:149], v[146:147]
	v_rcp_f64_e32 v[152:153], v[150:151]
	v_fma_f64 v[154:155], -v[150:151], v[152:153], 1.0
	v_fma_f64 v[152:153], v[152:153], v[154:155], v[152:153]
	v_fma_f64 v[154:155], -v[150:151], v[152:153], 1.0
	v_fma_f64 v[152:153], v[152:153], v[154:155], v[152:153]
	v_mul_f64 v[154:155], v[156:157], v[152:153]
	v_fma_f64 v[150:151], -v[150:151], v[154:155], v[156:157]
	v_div_fmas_f64 v[150:151], v[150:151], v[152:153], v[154:155]
	v_div_fixup_f64 v[150:151], v[150:151], v[148:149], v[146:147]
	v_fma_f64 v[146:147], v[146:147], v[150:151], v[148:149]
	v_div_scale_f64 v[148:149], null, v[146:147], v[146:147], 1.0
	v_rcp_f64_e32 v[152:153], v[148:149]
	v_fma_f64 v[154:155], -v[148:149], v[152:153], 1.0
	v_fma_f64 v[152:153], v[152:153], v[154:155], v[152:153]
	v_fma_f64 v[154:155], -v[148:149], v[152:153], 1.0
	v_fma_f64 v[152:153], v[152:153], v[154:155], v[152:153]
	v_div_scale_f64 v[154:155], vcc_lo, 1.0, v[146:147], 1.0
	v_mul_f64 v[156:157], v[154:155], v[152:153]
	v_fma_f64 v[148:149], -v[148:149], v[156:157], v[154:155]
	v_div_fmas_f64 v[148:149], v[148:149], v[152:153], v[156:157]
	v_div_fixup_f64 v[152:153], v[148:149], v[146:147], 1.0
                                        ; implicit-def: $vgpr146_vgpr147
	v_mul_f64 v[150:151], v[150:151], v[152:153]
	v_xor_b32_e32 v153, 0x80000000, v153
.LBB71_5:
	s_andn2_saveexec_b32 s2, s2
	s_cbranch_execz .LBB71_7
; %bb.6:
	v_div_scale_f64 v[150:151], null, v[146:147], v[146:147], v[148:149]
	v_div_scale_f64 v[156:157], vcc_lo, v[148:149], v[146:147], v[148:149]
	v_rcp_f64_e32 v[152:153], v[150:151]
	v_fma_f64 v[154:155], -v[150:151], v[152:153], 1.0
	v_fma_f64 v[152:153], v[152:153], v[154:155], v[152:153]
	v_fma_f64 v[154:155], -v[150:151], v[152:153], 1.0
	v_fma_f64 v[152:153], v[152:153], v[154:155], v[152:153]
	v_mul_f64 v[154:155], v[156:157], v[152:153]
	v_fma_f64 v[150:151], -v[150:151], v[154:155], v[156:157]
	v_div_fmas_f64 v[150:151], v[150:151], v[152:153], v[154:155]
	v_div_fixup_f64 v[152:153], v[150:151], v[146:147], v[148:149]
	v_fma_f64 v[146:147], v[148:149], v[152:153], v[146:147]
	v_div_scale_f64 v[148:149], null, v[146:147], v[146:147], 1.0
	v_rcp_f64_e32 v[150:151], v[148:149]
	v_fma_f64 v[154:155], -v[148:149], v[150:151], 1.0
	v_fma_f64 v[150:151], v[150:151], v[154:155], v[150:151]
	v_fma_f64 v[154:155], -v[148:149], v[150:151], 1.0
	v_fma_f64 v[150:151], v[150:151], v[154:155], v[150:151]
	v_div_scale_f64 v[154:155], vcc_lo, 1.0, v[146:147], 1.0
	v_mul_f64 v[156:157], v[154:155], v[150:151]
	v_fma_f64 v[148:149], -v[148:149], v[156:157], v[154:155]
	v_div_fmas_f64 v[148:149], v[148:149], v[150:151], v[156:157]
	v_div_fixup_f64 v[150:151], v[148:149], v[146:147], 1.0
	v_mul_f64 v[152:153], v[152:153], -v[150:151]
.LBB71_7:
	s_or_b32 exec_lo, exec_lo, s2
	ds_write2_b64 v1, v[150:151], v[152:153] offset1:1
.LBB71_8:
	s_or_b32 exec_lo, exec_lo, s3
	s_waitcnt vmcnt(0) lgkmcnt(0)
	s_waitcnt_vscnt null, 0x0
	s_barrier
	buffer_gl0_inv
	ds_read2_b64 v[146:149], v1 offset1:1
	s_waitcnt lgkmcnt(0)
	buffer_store_dword v146, off, s[16:19], 0 offset:16 ; 4-byte Folded Spill
	buffer_store_dword v147, off, s[16:19], 0 offset:20 ; 4-byte Folded Spill
	;; [unrolled: 1-line block ×4, first 2 shown]
	s_and_saveexec_b32 s2, s1
	s_cbranch_execz .LBB71_10
; %bb.9:
	s_clause 0x3
	buffer_load_dword v148, off, s[16:19], 0 offset:16
	buffer_load_dword v149, off, s[16:19], 0 offset:20
	;; [unrolled: 1-line block ×4, first 2 shown]
	s_waitcnt vmcnt(0)
	v_mul_f64 v[146:147], v[150:151], v[144:145]
	v_mul_f64 v[144:145], v[148:149], v[144:145]
	v_fma_f64 v[146:147], v[148:149], v[142:143], -v[146:147]
	v_fma_f64 v[144:145], v[150:151], v[142:143], v[144:145]
	ds_read2_b64 v[148:151], v184 offset0:2 offset1:3
	s_waitcnt lgkmcnt(0)
	v_mul_f64 v[142:143], v[150:151], v[144:145]
	v_fma_f64 v[142:143], v[148:149], v[146:147], -v[142:143]
	v_mul_f64 v[148:149], v[148:149], v[144:145]
	v_add_f64 v[138:139], v[138:139], -v[142:143]
	v_fma_f64 v[148:149], v[150:151], v[146:147], v[148:149]
	v_add_f64 v[140:141], v[140:141], -v[148:149]
	ds_read2_b64 v[148:151], v184 offset0:4 offset1:5
	s_waitcnt lgkmcnt(0)
	v_mul_f64 v[142:143], v[150:151], v[144:145]
	v_fma_f64 v[142:143], v[148:149], v[146:147], -v[142:143]
	v_mul_f64 v[148:149], v[148:149], v[144:145]
	v_add_f64 v[134:135], v[134:135], -v[142:143]
	v_fma_f64 v[148:149], v[150:151], v[146:147], v[148:149]
	v_add_f64 v[136:137], v[136:137], -v[148:149]
	;; [unrolled: 8-line block ×34, first 2 shown]
	ds_read2_b64 v[148:151], v184 offset0:70 offset1:71
	s_waitcnt lgkmcnt(0)
	v_mul_f64 v[142:143], v[150:151], v[144:145]
	v_fma_f64 v[142:143], v[148:149], v[146:147], -v[142:143]
	v_mul_f64 v[148:149], v[148:149], v[144:145]
	v_add_f64 v[2:3], v[2:3], -v[142:143]
	v_fma_f64 v[148:149], v[150:151], v[146:147], v[148:149]
	v_mov_b32_e32 v142, v146
	v_mov_b32_e32 v143, v147
	v_add_f64 v[4:5], v[4:5], -v[148:149]
.LBB71_10:
	s_or_b32 exec_lo, exec_lo, s2
	s_mov_b32 s2, exec_lo
	s_waitcnt_vscnt null, 0x0
	s_barrier
	buffer_gl0_inv
	v_cmpx_eq_u32_e32 1, v0
	s_cbranch_execz .LBB71_17
; %bb.11:
	ds_write2_b64 v1, v[138:139], v[140:141] offset1:1
	ds_write2_b64 v184, v[134:135], v[136:137] offset0:4 offset1:5
	ds_write2_b64 v184, v[130:131], v[132:133] offset0:6 offset1:7
	;; [unrolled: 1-line block ×34, first 2 shown]
	ds_read2_b64 v[146:149], v1 offset1:1
	s_waitcnt lgkmcnt(0)
	v_cmp_neq_f64_e32 vcc_lo, 0, v[146:147]
	v_cmp_neq_f64_e64 s1, 0, v[148:149]
	s_or_b32 s1, vcc_lo, s1
	s_and_b32 exec_lo, exec_lo, s1
	s_cbranch_execz .LBB71_17
; %bb.12:
	v_cmp_ngt_f64_e64 s1, |v[146:147]|, |v[148:149]|
                                        ; implicit-def: $vgpr150_vgpr151
	s_and_saveexec_b32 s3, s1
	s_xor_b32 s1, exec_lo, s3
                                        ; implicit-def: $vgpr152_vgpr153
	s_cbranch_execz .LBB71_14
; %bb.13:
	v_div_scale_f64 v[150:151], null, v[148:149], v[148:149], v[146:147]
	v_div_scale_f64 v[156:157], vcc_lo, v[146:147], v[148:149], v[146:147]
	v_rcp_f64_e32 v[152:153], v[150:151]
	v_fma_f64 v[154:155], -v[150:151], v[152:153], 1.0
	v_fma_f64 v[152:153], v[152:153], v[154:155], v[152:153]
	v_fma_f64 v[154:155], -v[150:151], v[152:153], 1.0
	v_fma_f64 v[152:153], v[152:153], v[154:155], v[152:153]
	v_mul_f64 v[154:155], v[156:157], v[152:153]
	v_fma_f64 v[150:151], -v[150:151], v[154:155], v[156:157]
	v_div_fmas_f64 v[150:151], v[150:151], v[152:153], v[154:155]
	v_div_fixup_f64 v[150:151], v[150:151], v[148:149], v[146:147]
	v_fma_f64 v[146:147], v[146:147], v[150:151], v[148:149]
	v_div_scale_f64 v[148:149], null, v[146:147], v[146:147], 1.0
	v_rcp_f64_e32 v[152:153], v[148:149]
	v_fma_f64 v[154:155], -v[148:149], v[152:153], 1.0
	v_fma_f64 v[152:153], v[152:153], v[154:155], v[152:153]
	v_fma_f64 v[154:155], -v[148:149], v[152:153], 1.0
	v_fma_f64 v[152:153], v[152:153], v[154:155], v[152:153]
	v_div_scale_f64 v[154:155], vcc_lo, 1.0, v[146:147], 1.0
	v_mul_f64 v[156:157], v[154:155], v[152:153]
	v_fma_f64 v[148:149], -v[148:149], v[156:157], v[154:155]
	v_div_fmas_f64 v[148:149], v[148:149], v[152:153], v[156:157]
	v_div_fixup_f64 v[152:153], v[148:149], v[146:147], 1.0
                                        ; implicit-def: $vgpr146_vgpr147
	v_mul_f64 v[150:151], v[150:151], v[152:153]
	v_xor_b32_e32 v153, 0x80000000, v153
.LBB71_14:
	s_andn2_saveexec_b32 s1, s1
	s_cbranch_execz .LBB71_16
; %bb.15:
	v_div_scale_f64 v[150:151], null, v[146:147], v[146:147], v[148:149]
	v_div_scale_f64 v[156:157], vcc_lo, v[148:149], v[146:147], v[148:149]
	v_rcp_f64_e32 v[152:153], v[150:151]
	v_fma_f64 v[154:155], -v[150:151], v[152:153], 1.0
	v_fma_f64 v[152:153], v[152:153], v[154:155], v[152:153]
	v_fma_f64 v[154:155], -v[150:151], v[152:153], 1.0
	v_fma_f64 v[152:153], v[152:153], v[154:155], v[152:153]
	v_mul_f64 v[154:155], v[156:157], v[152:153]
	v_fma_f64 v[150:151], -v[150:151], v[154:155], v[156:157]
	v_div_fmas_f64 v[150:151], v[150:151], v[152:153], v[154:155]
	v_div_fixup_f64 v[152:153], v[150:151], v[146:147], v[148:149]
	v_fma_f64 v[146:147], v[148:149], v[152:153], v[146:147]
	v_div_scale_f64 v[148:149], null, v[146:147], v[146:147], 1.0
	v_rcp_f64_e32 v[150:151], v[148:149]
	v_fma_f64 v[154:155], -v[148:149], v[150:151], 1.0
	v_fma_f64 v[150:151], v[150:151], v[154:155], v[150:151]
	v_fma_f64 v[154:155], -v[148:149], v[150:151], 1.0
	v_fma_f64 v[150:151], v[150:151], v[154:155], v[150:151]
	v_div_scale_f64 v[154:155], vcc_lo, 1.0, v[146:147], 1.0
	v_mul_f64 v[156:157], v[154:155], v[150:151]
	v_fma_f64 v[148:149], -v[148:149], v[156:157], v[154:155]
	v_div_fmas_f64 v[148:149], v[148:149], v[150:151], v[156:157]
	v_div_fixup_f64 v[150:151], v[148:149], v[146:147], 1.0
	v_mul_f64 v[152:153], v[152:153], -v[150:151]
.LBB71_16:
	s_or_b32 exec_lo, exec_lo, s1
	ds_write2_b64 v1, v[150:151], v[152:153] offset1:1
.LBB71_17:
	s_or_b32 exec_lo, exec_lo, s2
	s_waitcnt lgkmcnt(0)
	s_barrier
	buffer_gl0_inv
	ds_read2_b64 v[146:149], v1 offset1:1
	s_mov_b32 s1, exec_lo
	s_waitcnt lgkmcnt(0)
	buffer_store_dword v146, off, s[16:19], 0 offset:32 ; 4-byte Folded Spill
	buffer_store_dword v147, off, s[16:19], 0 offset:36 ; 4-byte Folded Spill
	;; [unrolled: 1-line block ×4, first 2 shown]
	v_cmpx_lt_u32_e32 1, v0
	s_cbranch_execz .LBB71_19
; %bb.18:
	s_clause 0x3
	buffer_load_dword v148, off, s[16:19], 0 offset:32
	buffer_load_dword v149, off, s[16:19], 0 offset:36
	;; [unrolled: 1-line block ×4, first 2 shown]
	s_waitcnt vmcnt(0)
	v_mul_f64 v[146:147], v[150:151], v[140:141]
	v_mul_f64 v[140:141], v[148:149], v[140:141]
	v_fma_f64 v[146:147], v[148:149], v[138:139], -v[146:147]
	v_fma_f64 v[140:141], v[150:151], v[138:139], v[140:141]
	ds_read2_b64 v[148:151], v184 offset0:4 offset1:5
	s_waitcnt lgkmcnt(0)
	v_mul_f64 v[138:139], v[150:151], v[140:141]
	v_fma_f64 v[138:139], v[148:149], v[146:147], -v[138:139]
	v_mul_f64 v[148:149], v[148:149], v[140:141]
	v_add_f64 v[134:135], v[134:135], -v[138:139]
	v_fma_f64 v[148:149], v[150:151], v[146:147], v[148:149]
	v_add_f64 v[136:137], v[136:137], -v[148:149]
	ds_read2_b64 v[148:151], v184 offset0:6 offset1:7
	s_waitcnt lgkmcnt(0)
	v_mul_f64 v[138:139], v[150:151], v[140:141]
	v_fma_f64 v[138:139], v[148:149], v[146:147], -v[138:139]
	v_mul_f64 v[148:149], v[148:149], v[140:141]
	v_add_f64 v[130:131], v[130:131], -v[138:139]
	v_fma_f64 v[148:149], v[150:151], v[146:147], v[148:149]
	v_add_f64 v[132:133], v[132:133], -v[148:149]
	;; [unrolled: 8-line block ×33, first 2 shown]
	ds_read2_b64 v[148:151], v184 offset0:70 offset1:71
	s_waitcnt lgkmcnt(0)
	v_mul_f64 v[138:139], v[150:151], v[140:141]
	v_fma_f64 v[138:139], v[148:149], v[146:147], -v[138:139]
	v_mul_f64 v[148:149], v[148:149], v[140:141]
	v_add_f64 v[2:3], v[2:3], -v[138:139]
	v_fma_f64 v[148:149], v[150:151], v[146:147], v[148:149]
	v_mov_b32_e32 v138, v146
	v_mov_b32_e32 v139, v147
	v_add_f64 v[4:5], v[4:5], -v[148:149]
.LBB71_19:
	s_or_b32 exec_lo, exec_lo, s1
	s_mov_b32 s2, exec_lo
	s_waitcnt_vscnt null, 0x0
	s_barrier
	buffer_gl0_inv
	v_cmpx_eq_u32_e32 2, v0
	s_cbranch_execz .LBB71_26
; %bb.20:
	ds_write2_b64 v1, v[134:135], v[136:137] offset1:1
	ds_write2_b64 v184, v[130:131], v[132:133] offset0:6 offset1:7
	ds_write2_b64 v184, v[126:127], v[128:129] offset0:8 offset1:9
	;; [unrolled: 1-line block ×33, first 2 shown]
	ds_read2_b64 v[146:149], v1 offset1:1
	s_waitcnt lgkmcnt(0)
	v_cmp_neq_f64_e32 vcc_lo, 0, v[146:147]
	v_cmp_neq_f64_e64 s1, 0, v[148:149]
	s_or_b32 s1, vcc_lo, s1
	s_and_b32 exec_lo, exec_lo, s1
	s_cbranch_execz .LBB71_26
; %bb.21:
	v_cmp_ngt_f64_e64 s1, |v[146:147]|, |v[148:149]|
                                        ; implicit-def: $vgpr150_vgpr151
	s_and_saveexec_b32 s3, s1
	s_xor_b32 s1, exec_lo, s3
                                        ; implicit-def: $vgpr152_vgpr153
	s_cbranch_execz .LBB71_23
; %bb.22:
	v_div_scale_f64 v[150:151], null, v[148:149], v[148:149], v[146:147]
	v_div_scale_f64 v[156:157], vcc_lo, v[146:147], v[148:149], v[146:147]
	v_rcp_f64_e32 v[152:153], v[150:151]
	v_fma_f64 v[154:155], -v[150:151], v[152:153], 1.0
	v_fma_f64 v[152:153], v[152:153], v[154:155], v[152:153]
	v_fma_f64 v[154:155], -v[150:151], v[152:153], 1.0
	v_fma_f64 v[152:153], v[152:153], v[154:155], v[152:153]
	v_mul_f64 v[154:155], v[156:157], v[152:153]
	v_fma_f64 v[150:151], -v[150:151], v[154:155], v[156:157]
	v_div_fmas_f64 v[150:151], v[150:151], v[152:153], v[154:155]
	v_div_fixup_f64 v[150:151], v[150:151], v[148:149], v[146:147]
	v_fma_f64 v[146:147], v[146:147], v[150:151], v[148:149]
	v_div_scale_f64 v[148:149], null, v[146:147], v[146:147], 1.0
	v_rcp_f64_e32 v[152:153], v[148:149]
	v_fma_f64 v[154:155], -v[148:149], v[152:153], 1.0
	v_fma_f64 v[152:153], v[152:153], v[154:155], v[152:153]
	v_fma_f64 v[154:155], -v[148:149], v[152:153], 1.0
	v_fma_f64 v[152:153], v[152:153], v[154:155], v[152:153]
	v_div_scale_f64 v[154:155], vcc_lo, 1.0, v[146:147], 1.0
	v_mul_f64 v[156:157], v[154:155], v[152:153]
	v_fma_f64 v[148:149], -v[148:149], v[156:157], v[154:155]
	v_div_fmas_f64 v[148:149], v[148:149], v[152:153], v[156:157]
	v_div_fixup_f64 v[152:153], v[148:149], v[146:147], 1.0
                                        ; implicit-def: $vgpr146_vgpr147
	v_mul_f64 v[150:151], v[150:151], v[152:153]
	v_xor_b32_e32 v153, 0x80000000, v153
.LBB71_23:
	s_andn2_saveexec_b32 s1, s1
	s_cbranch_execz .LBB71_25
; %bb.24:
	v_div_scale_f64 v[150:151], null, v[146:147], v[146:147], v[148:149]
	v_div_scale_f64 v[156:157], vcc_lo, v[148:149], v[146:147], v[148:149]
	v_rcp_f64_e32 v[152:153], v[150:151]
	v_fma_f64 v[154:155], -v[150:151], v[152:153], 1.0
	v_fma_f64 v[152:153], v[152:153], v[154:155], v[152:153]
	v_fma_f64 v[154:155], -v[150:151], v[152:153], 1.0
	v_fma_f64 v[152:153], v[152:153], v[154:155], v[152:153]
	v_mul_f64 v[154:155], v[156:157], v[152:153]
	v_fma_f64 v[150:151], -v[150:151], v[154:155], v[156:157]
	v_div_fmas_f64 v[150:151], v[150:151], v[152:153], v[154:155]
	v_div_fixup_f64 v[152:153], v[150:151], v[146:147], v[148:149]
	v_fma_f64 v[146:147], v[148:149], v[152:153], v[146:147]
	v_div_scale_f64 v[148:149], null, v[146:147], v[146:147], 1.0
	v_rcp_f64_e32 v[150:151], v[148:149]
	v_fma_f64 v[154:155], -v[148:149], v[150:151], 1.0
	v_fma_f64 v[150:151], v[150:151], v[154:155], v[150:151]
	v_fma_f64 v[154:155], -v[148:149], v[150:151], 1.0
	v_fma_f64 v[150:151], v[150:151], v[154:155], v[150:151]
	v_div_scale_f64 v[154:155], vcc_lo, 1.0, v[146:147], 1.0
	v_mul_f64 v[156:157], v[154:155], v[150:151]
	v_fma_f64 v[148:149], -v[148:149], v[156:157], v[154:155]
	v_div_fmas_f64 v[148:149], v[148:149], v[150:151], v[156:157]
	v_div_fixup_f64 v[150:151], v[148:149], v[146:147], 1.0
	v_mul_f64 v[152:153], v[152:153], -v[150:151]
.LBB71_25:
	s_or_b32 exec_lo, exec_lo, s1
	ds_write2_b64 v1, v[150:151], v[152:153] offset1:1
.LBB71_26:
	s_or_b32 exec_lo, exec_lo, s2
	s_waitcnt lgkmcnt(0)
	s_barrier
	buffer_gl0_inv
	ds_read2_b64 v[146:149], v1 offset1:1
	s_mov_b32 s1, exec_lo
	s_waitcnt lgkmcnt(0)
	buffer_store_dword v146, off, s[16:19], 0 offset:48 ; 4-byte Folded Spill
	buffer_store_dword v147, off, s[16:19], 0 offset:52 ; 4-byte Folded Spill
	;; [unrolled: 1-line block ×4, first 2 shown]
	v_cmpx_lt_u32_e32 2, v0
	s_cbranch_execz .LBB71_28
; %bb.27:
	s_clause 0x3
	buffer_load_dword v148, off, s[16:19], 0 offset:48
	buffer_load_dword v149, off, s[16:19], 0 offset:52
	;; [unrolled: 1-line block ×4, first 2 shown]
	s_waitcnt vmcnt(0)
	v_mul_f64 v[146:147], v[150:151], v[136:137]
	v_mul_f64 v[136:137], v[148:149], v[136:137]
	v_fma_f64 v[146:147], v[148:149], v[134:135], -v[146:147]
	v_fma_f64 v[136:137], v[150:151], v[134:135], v[136:137]
	ds_read2_b64 v[148:151], v184 offset0:6 offset1:7
	s_waitcnt lgkmcnt(0)
	v_mul_f64 v[134:135], v[150:151], v[136:137]
	v_fma_f64 v[134:135], v[148:149], v[146:147], -v[134:135]
	v_mul_f64 v[148:149], v[148:149], v[136:137]
	v_add_f64 v[130:131], v[130:131], -v[134:135]
	v_fma_f64 v[148:149], v[150:151], v[146:147], v[148:149]
	v_add_f64 v[132:133], v[132:133], -v[148:149]
	ds_read2_b64 v[148:151], v184 offset0:8 offset1:9
	s_waitcnt lgkmcnt(0)
	v_mul_f64 v[134:135], v[150:151], v[136:137]
	v_fma_f64 v[134:135], v[148:149], v[146:147], -v[134:135]
	v_mul_f64 v[148:149], v[148:149], v[136:137]
	v_add_f64 v[126:127], v[126:127], -v[134:135]
	v_fma_f64 v[148:149], v[150:151], v[146:147], v[148:149]
	v_add_f64 v[128:129], v[128:129], -v[148:149]
	ds_read2_b64 v[148:151], v184 offset0:10 offset1:11
	s_waitcnt lgkmcnt(0)
	v_mul_f64 v[134:135], v[150:151], v[136:137]
	v_fma_f64 v[134:135], v[148:149], v[146:147], -v[134:135]
	v_mul_f64 v[148:149], v[148:149], v[136:137]
	v_add_f64 v[122:123], v[122:123], -v[134:135]
	v_fma_f64 v[148:149], v[150:151], v[146:147], v[148:149]
	v_add_f64 v[124:125], v[124:125], -v[148:149]
	ds_read2_b64 v[148:151], v184 offset0:12 offset1:13
	s_waitcnt lgkmcnt(0)
	v_mul_f64 v[134:135], v[150:151], v[136:137]
	v_fma_f64 v[134:135], v[148:149], v[146:147], -v[134:135]
	v_mul_f64 v[148:149], v[148:149], v[136:137]
	v_add_f64 v[118:119], v[118:119], -v[134:135]
	v_fma_f64 v[148:149], v[150:151], v[146:147], v[148:149]
	v_add_f64 v[120:121], v[120:121], -v[148:149]
	ds_read2_b64 v[148:151], v184 offset0:14 offset1:15
	s_waitcnt lgkmcnt(0)
	v_mul_f64 v[134:135], v[150:151], v[136:137]
	v_fma_f64 v[134:135], v[148:149], v[146:147], -v[134:135]
	v_mul_f64 v[148:149], v[148:149], v[136:137]
	v_add_f64 v[114:115], v[114:115], -v[134:135]
	v_fma_f64 v[148:149], v[150:151], v[146:147], v[148:149]
	v_add_f64 v[116:117], v[116:117], -v[148:149]
	ds_read2_b64 v[148:151], v184 offset0:16 offset1:17
	s_waitcnt lgkmcnt(0)
	v_mul_f64 v[134:135], v[150:151], v[136:137]
	v_fma_f64 v[134:135], v[148:149], v[146:147], -v[134:135]
	v_mul_f64 v[148:149], v[148:149], v[136:137]
	v_add_f64 v[110:111], v[110:111], -v[134:135]
	v_fma_f64 v[148:149], v[150:151], v[146:147], v[148:149]
	v_add_f64 v[112:113], v[112:113], -v[148:149]
	ds_read2_b64 v[148:151], v184 offset0:18 offset1:19
	s_waitcnt lgkmcnt(0)
	v_mul_f64 v[134:135], v[150:151], v[136:137]
	v_fma_f64 v[134:135], v[148:149], v[146:147], -v[134:135]
	v_mul_f64 v[148:149], v[148:149], v[136:137]
	v_add_f64 v[106:107], v[106:107], -v[134:135]
	v_fma_f64 v[148:149], v[150:151], v[146:147], v[148:149]
	v_add_f64 v[108:109], v[108:109], -v[148:149]
	ds_read2_b64 v[148:151], v184 offset0:20 offset1:21
	s_waitcnt lgkmcnt(0)
	v_mul_f64 v[134:135], v[150:151], v[136:137]
	v_fma_f64 v[134:135], v[148:149], v[146:147], -v[134:135]
	v_mul_f64 v[148:149], v[148:149], v[136:137]
	v_add_f64 v[102:103], v[102:103], -v[134:135]
	v_fma_f64 v[148:149], v[150:151], v[146:147], v[148:149]
	v_add_f64 v[104:105], v[104:105], -v[148:149]
	ds_read2_b64 v[148:151], v184 offset0:22 offset1:23
	s_waitcnt lgkmcnt(0)
	v_mul_f64 v[134:135], v[150:151], v[136:137]
	v_fma_f64 v[134:135], v[148:149], v[146:147], -v[134:135]
	v_mul_f64 v[148:149], v[148:149], v[136:137]
	v_add_f64 v[98:99], v[98:99], -v[134:135]
	v_fma_f64 v[148:149], v[150:151], v[146:147], v[148:149]
	v_add_f64 v[100:101], v[100:101], -v[148:149]
	ds_read2_b64 v[148:151], v184 offset0:24 offset1:25
	s_waitcnt lgkmcnt(0)
	v_mul_f64 v[134:135], v[150:151], v[136:137]
	v_fma_f64 v[134:135], v[148:149], v[146:147], -v[134:135]
	v_mul_f64 v[148:149], v[148:149], v[136:137]
	v_add_f64 v[94:95], v[94:95], -v[134:135]
	v_fma_f64 v[148:149], v[150:151], v[146:147], v[148:149]
	v_add_f64 v[96:97], v[96:97], -v[148:149]
	ds_read2_b64 v[148:151], v184 offset0:26 offset1:27
	s_waitcnt lgkmcnt(0)
	v_mul_f64 v[134:135], v[150:151], v[136:137]
	v_fma_f64 v[134:135], v[148:149], v[146:147], -v[134:135]
	v_mul_f64 v[148:149], v[148:149], v[136:137]
	v_add_f64 v[90:91], v[90:91], -v[134:135]
	v_fma_f64 v[148:149], v[150:151], v[146:147], v[148:149]
	v_add_f64 v[92:93], v[92:93], -v[148:149]
	ds_read2_b64 v[148:151], v184 offset0:28 offset1:29
	s_waitcnt lgkmcnt(0)
	v_mul_f64 v[134:135], v[150:151], v[136:137]
	v_fma_f64 v[134:135], v[148:149], v[146:147], -v[134:135]
	v_mul_f64 v[148:149], v[148:149], v[136:137]
	v_add_f64 v[86:87], v[86:87], -v[134:135]
	v_fma_f64 v[148:149], v[150:151], v[146:147], v[148:149]
	v_add_f64 v[88:89], v[88:89], -v[148:149]
	ds_read2_b64 v[148:151], v184 offset0:30 offset1:31
	s_waitcnt lgkmcnt(0)
	v_mul_f64 v[134:135], v[150:151], v[136:137]
	v_fma_f64 v[134:135], v[148:149], v[146:147], -v[134:135]
	v_mul_f64 v[148:149], v[148:149], v[136:137]
	v_add_f64 v[82:83], v[82:83], -v[134:135]
	v_fma_f64 v[148:149], v[150:151], v[146:147], v[148:149]
	v_add_f64 v[84:85], v[84:85], -v[148:149]
	ds_read2_b64 v[148:151], v184 offset0:32 offset1:33
	s_waitcnt lgkmcnt(0)
	v_mul_f64 v[134:135], v[150:151], v[136:137]
	v_fma_f64 v[134:135], v[148:149], v[146:147], -v[134:135]
	v_mul_f64 v[148:149], v[148:149], v[136:137]
	v_add_f64 v[78:79], v[78:79], -v[134:135]
	v_fma_f64 v[148:149], v[150:151], v[146:147], v[148:149]
	v_add_f64 v[80:81], v[80:81], -v[148:149]
	ds_read2_b64 v[148:151], v184 offset0:34 offset1:35
	s_waitcnt lgkmcnt(0)
	v_mul_f64 v[134:135], v[150:151], v[136:137]
	v_fma_f64 v[134:135], v[148:149], v[146:147], -v[134:135]
	v_mul_f64 v[148:149], v[148:149], v[136:137]
	v_add_f64 v[74:75], v[74:75], -v[134:135]
	v_fma_f64 v[148:149], v[150:151], v[146:147], v[148:149]
	v_add_f64 v[76:77], v[76:77], -v[148:149]
	ds_read2_b64 v[148:151], v184 offset0:36 offset1:37
	s_waitcnt lgkmcnt(0)
	v_mul_f64 v[134:135], v[150:151], v[136:137]
	v_fma_f64 v[134:135], v[148:149], v[146:147], -v[134:135]
	v_mul_f64 v[148:149], v[148:149], v[136:137]
	v_add_f64 v[70:71], v[70:71], -v[134:135]
	v_fma_f64 v[148:149], v[150:151], v[146:147], v[148:149]
	v_add_f64 v[72:73], v[72:73], -v[148:149]
	ds_read2_b64 v[148:151], v184 offset0:38 offset1:39
	s_waitcnt lgkmcnt(0)
	v_mul_f64 v[134:135], v[150:151], v[136:137]
	v_fma_f64 v[134:135], v[148:149], v[146:147], -v[134:135]
	v_mul_f64 v[148:149], v[148:149], v[136:137]
	v_add_f64 v[66:67], v[66:67], -v[134:135]
	v_fma_f64 v[148:149], v[150:151], v[146:147], v[148:149]
	v_add_f64 v[68:69], v[68:69], -v[148:149]
	ds_read2_b64 v[148:151], v184 offset0:40 offset1:41
	s_waitcnt lgkmcnt(0)
	v_mul_f64 v[134:135], v[150:151], v[136:137]
	v_fma_f64 v[134:135], v[148:149], v[146:147], -v[134:135]
	v_mul_f64 v[148:149], v[148:149], v[136:137]
	v_add_f64 v[62:63], v[62:63], -v[134:135]
	v_fma_f64 v[148:149], v[150:151], v[146:147], v[148:149]
	v_add_f64 v[64:65], v[64:65], -v[148:149]
	ds_read2_b64 v[148:151], v184 offset0:42 offset1:43
	s_waitcnt lgkmcnt(0)
	v_mul_f64 v[134:135], v[150:151], v[136:137]
	v_fma_f64 v[134:135], v[148:149], v[146:147], -v[134:135]
	v_mul_f64 v[148:149], v[148:149], v[136:137]
	v_add_f64 v[58:59], v[58:59], -v[134:135]
	v_fma_f64 v[148:149], v[150:151], v[146:147], v[148:149]
	v_add_f64 v[60:61], v[60:61], -v[148:149]
	ds_read2_b64 v[148:151], v184 offset0:44 offset1:45
	s_waitcnt lgkmcnt(0)
	v_mul_f64 v[134:135], v[150:151], v[136:137]
	v_fma_f64 v[134:135], v[148:149], v[146:147], -v[134:135]
	v_mul_f64 v[148:149], v[148:149], v[136:137]
	v_add_f64 v[54:55], v[54:55], -v[134:135]
	v_fma_f64 v[148:149], v[150:151], v[146:147], v[148:149]
	v_add_f64 v[56:57], v[56:57], -v[148:149]
	ds_read2_b64 v[148:151], v184 offset0:46 offset1:47
	s_waitcnt lgkmcnt(0)
	v_mul_f64 v[134:135], v[150:151], v[136:137]
	v_fma_f64 v[134:135], v[148:149], v[146:147], -v[134:135]
	v_mul_f64 v[148:149], v[148:149], v[136:137]
	v_add_f64 v[50:51], v[50:51], -v[134:135]
	v_fma_f64 v[148:149], v[150:151], v[146:147], v[148:149]
	v_add_f64 v[52:53], v[52:53], -v[148:149]
	ds_read2_b64 v[148:151], v184 offset0:48 offset1:49
	s_waitcnt lgkmcnt(0)
	v_mul_f64 v[134:135], v[150:151], v[136:137]
	v_fma_f64 v[134:135], v[148:149], v[146:147], -v[134:135]
	v_mul_f64 v[148:149], v[148:149], v[136:137]
	v_add_f64 v[46:47], v[46:47], -v[134:135]
	v_fma_f64 v[148:149], v[150:151], v[146:147], v[148:149]
	v_add_f64 v[48:49], v[48:49], -v[148:149]
	ds_read2_b64 v[148:151], v184 offset0:50 offset1:51
	s_waitcnt lgkmcnt(0)
	v_mul_f64 v[134:135], v[150:151], v[136:137]
	v_fma_f64 v[134:135], v[148:149], v[146:147], -v[134:135]
	v_mul_f64 v[148:149], v[148:149], v[136:137]
	v_add_f64 v[42:43], v[42:43], -v[134:135]
	v_fma_f64 v[148:149], v[150:151], v[146:147], v[148:149]
	v_add_f64 v[44:45], v[44:45], -v[148:149]
	ds_read2_b64 v[148:151], v184 offset0:52 offset1:53
	s_waitcnt lgkmcnt(0)
	v_mul_f64 v[134:135], v[150:151], v[136:137]
	v_fma_f64 v[134:135], v[148:149], v[146:147], -v[134:135]
	v_mul_f64 v[148:149], v[148:149], v[136:137]
	v_add_f64 v[38:39], v[38:39], -v[134:135]
	v_fma_f64 v[148:149], v[150:151], v[146:147], v[148:149]
	v_add_f64 v[40:41], v[40:41], -v[148:149]
	ds_read2_b64 v[148:151], v184 offset0:54 offset1:55
	s_waitcnt lgkmcnt(0)
	v_mul_f64 v[134:135], v[150:151], v[136:137]
	v_fma_f64 v[134:135], v[148:149], v[146:147], -v[134:135]
	v_mul_f64 v[148:149], v[148:149], v[136:137]
	v_add_f64 v[34:35], v[34:35], -v[134:135]
	v_fma_f64 v[148:149], v[150:151], v[146:147], v[148:149]
	v_add_f64 v[36:37], v[36:37], -v[148:149]
	ds_read2_b64 v[148:151], v184 offset0:56 offset1:57
	s_waitcnt lgkmcnt(0)
	v_mul_f64 v[134:135], v[150:151], v[136:137]
	v_fma_f64 v[134:135], v[148:149], v[146:147], -v[134:135]
	v_mul_f64 v[148:149], v[148:149], v[136:137]
	v_add_f64 v[30:31], v[30:31], -v[134:135]
	v_fma_f64 v[148:149], v[150:151], v[146:147], v[148:149]
	v_add_f64 v[32:33], v[32:33], -v[148:149]
	ds_read2_b64 v[148:151], v184 offset0:58 offset1:59
	s_waitcnt lgkmcnt(0)
	v_mul_f64 v[134:135], v[150:151], v[136:137]
	v_fma_f64 v[134:135], v[148:149], v[146:147], -v[134:135]
	v_mul_f64 v[148:149], v[148:149], v[136:137]
	v_add_f64 v[26:27], v[26:27], -v[134:135]
	v_fma_f64 v[148:149], v[150:151], v[146:147], v[148:149]
	v_add_f64 v[28:29], v[28:29], -v[148:149]
	ds_read2_b64 v[148:151], v184 offset0:60 offset1:61
	s_waitcnt lgkmcnt(0)
	v_mul_f64 v[134:135], v[150:151], v[136:137]
	v_fma_f64 v[134:135], v[148:149], v[146:147], -v[134:135]
	v_mul_f64 v[148:149], v[148:149], v[136:137]
	v_add_f64 v[22:23], v[22:23], -v[134:135]
	v_fma_f64 v[148:149], v[150:151], v[146:147], v[148:149]
	v_add_f64 v[24:25], v[24:25], -v[148:149]
	ds_read2_b64 v[148:151], v184 offset0:62 offset1:63
	s_waitcnt lgkmcnt(0)
	v_mul_f64 v[134:135], v[150:151], v[136:137]
	v_fma_f64 v[134:135], v[148:149], v[146:147], -v[134:135]
	v_mul_f64 v[148:149], v[148:149], v[136:137]
	v_add_f64 v[18:19], v[18:19], -v[134:135]
	v_fma_f64 v[148:149], v[150:151], v[146:147], v[148:149]
	v_add_f64 v[20:21], v[20:21], -v[148:149]
	ds_read2_b64 v[148:151], v184 offset0:64 offset1:65
	s_waitcnt lgkmcnt(0)
	v_mul_f64 v[134:135], v[150:151], v[136:137]
	v_fma_f64 v[134:135], v[148:149], v[146:147], -v[134:135]
	v_mul_f64 v[148:149], v[148:149], v[136:137]
	v_add_f64 v[14:15], v[14:15], -v[134:135]
	v_fma_f64 v[148:149], v[150:151], v[146:147], v[148:149]
	v_add_f64 v[16:17], v[16:17], -v[148:149]
	ds_read2_b64 v[148:151], v184 offset0:66 offset1:67
	s_waitcnt lgkmcnt(0)
	v_mul_f64 v[134:135], v[150:151], v[136:137]
	v_fma_f64 v[134:135], v[148:149], v[146:147], -v[134:135]
	v_mul_f64 v[148:149], v[148:149], v[136:137]
	v_add_f64 v[10:11], v[10:11], -v[134:135]
	v_fma_f64 v[148:149], v[150:151], v[146:147], v[148:149]
	v_add_f64 v[12:13], v[12:13], -v[148:149]
	ds_read2_b64 v[148:151], v184 offset0:68 offset1:69
	s_waitcnt lgkmcnt(0)
	v_mul_f64 v[134:135], v[150:151], v[136:137]
	v_fma_f64 v[134:135], v[148:149], v[146:147], -v[134:135]
	v_mul_f64 v[148:149], v[148:149], v[136:137]
	v_add_f64 v[6:7], v[6:7], -v[134:135]
	v_fma_f64 v[148:149], v[150:151], v[146:147], v[148:149]
	v_add_f64 v[8:9], v[8:9], -v[148:149]
	ds_read2_b64 v[148:151], v184 offset0:70 offset1:71
	s_waitcnt lgkmcnt(0)
	v_mul_f64 v[134:135], v[150:151], v[136:137]
	v_fma_f64 v[134:135], v[148:149], v[146:147], -v[134:135]
	v_mul_f64 v[148:149], v[148:149], v[136:137]
	v_add_f64 v[2:3], v[2:3], -v[134:135]
	v_fma_f64 v[148:149], v[150:151], v[146:147], v[148:149]
	v_mov_b32_e32 v134, v146
	v_mov_b32_e32 v135, v147
	v_add_f64 v[4:5], v[4:5], -v[148:149]
.LBB71_28:
	s_or_b32 exec_lo, exec_lo, s1
	s_mov_b32 s2, exec_lo
	s_waitcnt_vscnt null, 0x0
	s_barrier
	buffer_gl0_inv
	v_cmpx_eq_u32_e32 3, v0
	s_cbranch_execz .LBB71_35
; %bb.29:
	ds_write2_b64 v1, v[130:131], v[132:133] offset1:1
	ds_write2_b64 v184, v[126:127], v[128:129] offset0:8 offset1:9
	ds_write2_b64 v184, v[122:123], v[124:125] offset0:10 offset1:11
	;; [unrolled: 1-line block ×32, first 2 shown]
	ds_read2_b64 v[146:149], v1 offset1:1
	s_waitcnt lgkmcnt(0)
	v_cmp_neq_f64_e32 vcc_lo, 0, v[146:147]
	v_cmp_neq_f64_e64 s1, 0, v[148:149]
	s_or_b32 s1, vcc_lo, s1
	s_and_b32 exec_lo, exec_lo, s1
	s_cbranch_execz .LBB71_35
; %bb.30:
	v_cmp_ngt_f64_e64 s1, |v[146:147]|, |v[148:149]|
                                        ; implicit-def: $vgpr150_vgpr151
	s_and_saveexec_b32 s3, s1
	s_xor_b32 s1, exec_lo, s3
                                        ; implicit-def: $vgpr152_vgpr153
	s_cbranch_execz .LBB71_32
; %bb.31:
	v_div_scale_f64 v[150:151], null, v[148:149], v[148:149], v[146:147]
	v_div_scale_f64 v[156:157], vcc_lo, v[146:147], v[148:149], v[146:147]
	v_rcp_f64_e32 v[152:153], v[150:151]
	v_fma_f64 v[154:155], -v[150:151], v[152:153], 1.0
	v_fma_f64 v[152:153], v[152:153], v[154:155], v[152:153]
	v_fma_f64 v[154:155], -v[150:151], v[152:153], 1.0
	v_fma_f64 v[152:153], v[152:153], v[154:155], v[152:153]
	v_mul_f64 v[154:155], v[156:157], v[152:153]
	v_fma_f64 v[150:151], -v[150:151], v[154:155], v[156:157]
	v_div_fmas_f64 v[150:151], v[150:151], v[152:153], v[154:155]
	v_div_fixup_f64 v[150:151], v[150:151], v[148:149], v[146:147]
	v_fma_f64 v[146:147], v[146:147], v[150:151], v[148:149]
	v_div_scale_f64 v[148:149], null, v[146:147], v[146:147], 1.0
	v_rcp_f64_e32 v[152:153], v[148:149]
	v_fma_f64 v[154:155], -v[148:149], v[152:153], 1.0
	v_fma_f64 v[152:153], v[152:153], v[154:155], v[152:153]
	v_fma_f64 v[154:155], -v[148:149], v[152:153], 1.0
	v_fma_f64 v[152:153], v[152:153], v[154:155], v[152:153]
	v_div_scale_f64 v[154:155], vcc_lo, 1.0, v[146:147], 1.0
	v_mul_f64 v[156:157], v[154:155], v[152:153]
	v_fma_f64 v[148:149], -v[148:149], v[156:157], v[154:155]
	v_div_fmas_f64 v[148:149], v[148:149], v[152:153], v[156:157]
	v_div_fixup_f64 v[152:153], v[148:149], v[146:147], 1.0
                                        ; implicit-def: $vgpr146_vgpr147
	v_mul_f64 v[150:151], v[150:151], v[152:153]
	v_xor_b32_e32 v153, 0x80000000, v153
.LBB71_32:
	s_andn2_saveexec_b32 s1, s1
	s_cbranch_execz .LBB71_34
; %bb.33:
	v_div_scale_f64 v[150:151], null, v[146:147], v[146:147], v[148:149]
	v_div_scale_f64 v[156:157], vcc_lo, v[148:149], v[146:147], v[148:149]
	v_rcp_f64_e32 v[152:153], v[150:151]
	v_fma_f64 v[154:155], -v[150:151], v[152:153], 1.0
	v_fma_f64 v[152:153], v[152:153], v[154:155], v[152:153]
	v_fma_f64 v[154:155], -v[150:151], v[152:153], 1.0
	v_fma_f64 v[152:153], v[152:153], v[154:155], v[152:153]
	v_mul_f64 v[154:155], v[156:157], v[152:153]
	v_fma_f64 v[150:151], -v[150:151], v[154:155], v[156:157]
	v_div_fmas_f64 v[150:151], v[150:151], v[152:153], v[154:155]
	v_div_fixup_f64 v[152:153], v[150:151], v[146:147], v[148:149]
	v_fma_f64 v[146:147], v[148:149], v[152:153], v[146:147]
	v_div_scale_f64 v[148:149], null, v[146:147], v[146:147], 1.0
	v_rcp_f64_e32 v[150:151], v[148:149]
	v_fma_f64 v[154:155], -v[148:149], v[150:151], 1.0
	v_fma_f64 v[150:151], v[150:151], v[154:155], v[150:151]
	v_fma_f64 v[154:155], -v[148:149], v[150:151], 1.0
	v_fma_f64 v[150:151], v[150:151], v[154:155], v[150:151]
	v_div_scale_f64 v[154:155], vcc_lo, 1.0, v[146:147], 1.0
	v_mul_f64 v[156:157], v[154:155], v[150:151]
	v_fma_f64 v[148:149], -v[148:149], v[156:157], v[154:155]
	v_div_fmas_f64 v[148:149], v[148:149], v[150:151], v[156:157]
	v_div_fixup_f64 v[150:151], v[148:149], v[146:147], 1.0
	v_mul_f64 v[152:153], v[152:153], -v[150:151]
.LBB71_34:
	s_or_b32 exec_lo, exec_lo, s1
	ds_write2_b64 v1, v[150:151], v[152:153] offset1:1
.LBB71_35:
	s_or_b32 exec_lo, exec_lo, s2
	s_waitcnt lgkmcnt(0)
	s_barrier
	buffer_gl0_inv
	ds_read2_b64 v[146:149], v1 offset1:1
	s_mov_b32 s1, exec_lo
	s_waitcnt lgkmcnt(0)
	buffer_store_dword v146, off, s[16:19], 0 offset:64 ; 4-byte Folded Spill
	buffer_store_dword v147, off, s[16:19], 0 offset:68 ; 4-byte Folded Spill
	;; [unrolled: 1-line block ×4, first 2 shown]
	v_cmpx_lt_u32_e32 3, v0
	s_cbranch_execz .LBB71_37
; %bb.36:
	s_clause 0x3
	buffer_load_dword v148, off, s[16:19], 0 offset:64
	buffer_load_dword v149, off, s[16:19], 0 offset:68
	buffer_load_dword v150, off, s[16:19], 0 offset:72
	buffer_load_dword v151, off, s[16:19], 0 offset:76
	s_waitcnt vmcnt(0)
	v_mul_f64 v[146:147], v[150:151], v[132:133]
	v_mul_f64 v[132:133], v[148:149], v[132:133]
	v_fma_f64 v[146:147], v[148:149], v[130:131], -v[146:147]
	v_fma_f64 v[132:133], v[150:151], v[130:131], v[132:133]
	ds_read2_b64 v[148:151], v184 offset0:8 offset1:9
	s_waitcnt lgkmcnt(0)
	v_mul_f64 v[130:131], v[150:151], v[132:133]
	v_fma_f64 v[130:131], v[148:149], v[146:147], -v[130:131]
	v_mul_f64 v[148:149], v[148:149], v[132:133]
	v_add_f64 v[126:127], v[126:127], -v[130:131]
	v_fma_f64 v[148:149], v[150:151], v[146:147], v[148:149]
	v_add_f64 v[128:129], v[128:129], -v[148:149]
	ds_read2_b64 v[148:151], v184 offset0:10 offset1:11
	s_waitcnt lgkmcnt(0)
	v_mul_f64 v[130:131], v[150:151], v[132:133]
	v_fma_f64 v[130:131], v[148:149], v[146:147], -v[130:131]
	v_mul_f64 v[148:149], v[148:149], v[132:133]
	v_add_f64 v[122:123], v[122:123], -v[130:131]
	v_fma_f64 v[148:149], v[150:151], v[146:147], v[148:149]
	v_add_f64 v[124:125], v[124:125], -v[148:149]
	;; [unrolled: 8-line block ×31, first 2 shown]
	ds_read2_b64 v[148:151], v184 offset0:70 offset1:71
	s_waitcnt lgkmcnt(0)
	v_mul_f64 v[130:131], v[150:151], v[132:133]
	v_fma_f64 v[130:131], v[148:149], v[146:147], -v[130:131]
	v_mul_f64 v[148:149], v[148:149], v[132:133]
	v_add_f64 v[2:3], v[2:3], -v[130:131]
	v_fma_f64 v[148:149], v[150:151], v[146:147], v[148:149]
	v_mov_b32_e32 v130, v146
	v_mov_b32_e32 v131, v147
	v_add_f64 v[4:5], v[4:5], -v[148:149]
.LBB71_37:
	s_or_b32 exec_lo, exec_lo, s1
	s_mov_b32 s2, exec_lo
	s_waitcnt_vscnt null, 0x0
	s_barrier
	buffer_gl0_inv
	v_cmpx_eq_u32_e32 4, v0
	s_cbranch_execz .LBB71_44
; %bb.38:
	ds_write2_b64 v1, v[126:127], v[128:129] offset1:1
	ds_write2_b64 v184, v[122:123], v[124:125] offset0:10 offset1:11
	ds_write2_b64 v184, v[118:119], v[120:121] offset0:12 offset1:13
	;; [unrolled: 1-line block ×31, first 2 shown]
	ds_read2_b64 v[146:149], v1 offset1:1
	s_waitcnt lgkmcnt(0)
	v_cmp_neq_f64_e32 vcc_lo, 0, v[146:147]
	v_cmp_neq_f64_e64 s1, 0, v[148:149]
	s_or_b32 s1, vcc_lo, s1
	s_and_b32 exec_lo, exec_lo, s1
	s_cbranch_execz .LBB71_44
; %bb.39:
	v_cmp_ngt_f64_e64 s1, |v[146:147]|, |v[148:149]|
                                        ; implicit-def: $vgpr150_vgpr151
	s_and_saveexec_b32 s3, s1
	s_xor_b32 s1, exec_lo, s3
                                        ; implicit-def: $vgpr152_vgpr153
	s_cbranch_execz .LBB71_41
; %bb.40:
	v_div_scale_f64 v[150:151], null, v[148:149], v[148:149], v[146:147]
	v_div_scale_f64 v[156:157], vcc_lo, v[146:147], v[148:149], v[146:147]
	v_rcp_f64_e32 v[152:153], v[150:151]
	v_fma_f64 v[154:155], -v[150:151], v[152:153], 1.0
	v_fma_f64 v[152:153], v[152:153], v[154:155], v[152:153]
	v_fma_f64 v[154:155], -v[150:151], v[152:153], 1.0
	v_fma_f64 v[152:153], v[152:153], v[154:155], v[152:153]
	v_mul_f64 v[154:155], v[156:157], v[152:153]
	v_fma_f64 v[150:151], -v[150:151], v[154:155], v[156:157]
	v_div_fmas_f64 v[150:151], v[150:151], v[152:153], v[154:155]
	v_div_fixup_f64 v[150:151], v[150:151], v[148:149], v[146:147]
	v_fma_f64 v[146:147], v[146:147], v[150:151], v[148:149]
	v_div_scale_f64 v[148:149], null, v[146:147], v[146:147], 1.0
	v_rcp_f64_e32 v[152:153], v[148:149]
	v_fma_f64 v[154:155], -v[148:149], v[152:153], 1.0
	v_fma_f64 v[152:153], v[152:153], v[154:155], v[152:153]
	v_fma_f64 v[154:155], -v[148:149], v[152:153], 1.0
	v_fma_f64 v[152:153], v[152:153], v[154:155], v[152:153]
	v_div_scale_f64 v[154:155], vcc_lo, 1.0, v[146:147], 1.0
	v_mul_f64 v[156:157], v[154:155], v[152:153]
	v_fma_f64 v[148:149], -v[148:149], v[156:157], v[154:155]
	v_div_fmas_f64 v[148:149], v[148:149], v[152:153], v[156:157]
	v_div_fixup_f64 v[152:153], v[148:149], v[146:147], 1.0
                                        ; implicit-def: $vgpr146_vgpr147
	v_mul_f64 v[150:151], v[150:151], v[152:153]
	v_xor_b32_e32 v153, 0x80000000, v153
.LBB71_41:
	s_andn2_saveexec_b32 s1, s1
	s_cbranch_execz .LBB71_43
; %bb.42:
	v_div_scale_f64 v[150:151], null, v[146:147], v[146:147], v[148:149]
	v_div_scale_f64 v[156:157], vcc_lo, v[148:149], v[146:147], v[148:149]
	v_rcp_f64_e32 v[152:153], v[150:151]
	v_fma_f64 v[154:155], -v[150:151], v[152:153], 1.0
	v_fma_f64 v[152:153], v[152:153], v[154:155], v[152:153]
	v_fma_f64 v[154:155], -v[150:151], v[152:153], 1.0
	v_fma_f64 v[152:153], v[152:153], v[154:155], v[152:153]
	v_mul_f64 v[154:155], v[156:157], v[152:153]
	v_fma_f64 v[150:151], -v[150:151], v[154:155], v[156:157]
	v_div_fmas_f64 v[150:151], v[150:151], v[152:153], v[154:155]
	v_div_fixup_f64 v[152:153], v[150:151], v[146:147], v[148:149]
	v_fma_f64 v[146:147], v[148:149], v[152:153], v[146:147]
	v_div_scale_f64 v[148:149], null, v[146:147], v[146:147], 1.0
	v_rcp_f64_e32 v[150:151], v[148:149]
	v_fma_f64 v[154:155], -v[148:149], v[150:151], 1.0
	v_fma_f64 v[150:151], v[150:151], v[154:155], v[150:151]
	v_fma_f64 v[154:155], -v[148:149], v[150:151], 1.0
	v_fma_f64 v[150:151], v[150:151], v[154:155], v[150:151]
	v_div_scale_f64 v[154:155], vcc_lo, 1.0, v[146:147], 1.0
	v_mul_f64 v[156:157], v[154:155], v[150:151]
	v_fma_f64 v[148:149], -v[148:149], v[156:157], v[154:155]
	v_div_fmas_f64 v[148:149], v[148:149], v[150:151], v[156:157]
	v_div_fixup_f64 v[150:151], v[148:149], v[146:147], 1.0
	v_mul_f64 v[152:153], v[152:153], -v[150:151]
.LBB71_43:
	s_or_b32 exec_lo, exec_lo, s1
	ds_write2_b64 v1, v[150:151], v[152:153] offset1:1
.LBB71_44:
	s_or_b32 exec_lo, exec_lo, s2
	s_waitcnt lgkmcnt(0)
	s_barrier
	buffer_gl0_inv
	ds_read2_b64 v[146:149], v1 offset1:1
	s_mov_b32 s1, exec_lo
	s_waitcnt lgkmcnt(0)
	buffer_store_dword v146, off, s[16:19], 0 offset:80 ; 4-byte Folded Spill
	buffer_store_dword v147, off, s[16:19], 0 offset:84 ; 4-byte Folded Spill
	;; [unrolled: 1-line block ×4, first 2 shown]
	v_cmpx_lt_u32_e32 4, v0
	s_cbranch_execz .LBB71_46
; %bb.45:
	s_clause 0x3
	buffer_load_dword v148, off, s[16:19], 0 offset:80
	buffer_load_dword v149, off, s[16:19], 0 offset:84
	;; [unrolled: 1-line block ×4, first 2 shown]
	s_waitcnt vmcnt(0)
	v_mul_f64 v[146:147], v[150:151], v[128:129]
	v_mul_f64 v[128:129], v[148:149], v[128:129]
	v_fma_f64 v[146:147], v[148:149], v[126:127], -v[146:147]
	v_fma_f64 v[128:129], v[150:151], v[126:127], v[128:129]
	ds_read2_b64 v[148:151], v184 offset0:10 offset1:11
	s_waitcnt lgkmcnt(0)
	v_mul_f64 v[126:127], v[150:151], v[128:129]
	v_fma_f64 v[126:127], v[148:149], v[146:147], -v[126:127]
	v_mul_f64 v[148:149], v[148:149], v[128:129]
	v_add_f64 v[122:123], v[122:123], -v[126:127]
	v_fma_f64 v[148:149], v[150:151], v[146:147], v[148:149]
	v_add_f64 v[124:125], v[124:125], -v[148:149]
	ds_read2_b64 v[148:151], v184 offset0:12 offset1:13
	s_waitcnt lgkmcnt(0)
	v_mul_f64 v[126:127], v[150:151], v[128:129]
	v_fma_f64 v[126:127], v[148:149], v[146:147], -v[126:127]
	v_mul_f64 v[148:149], v[148:149], v[128:129]
	v_add_f64 v[118:119], v[118:119], -v[126:127]
	v_fma_f64 v[148:149], v[150:151], v[146:147], v[148:149]
	v_add_f64 v[120:121], v[120:121], -v[148:149]
	ds_read2_b64 v[148:151], v184 offset0:14 offset1:15
	s_waitcnt lgkmcnt(0)
	v_mul_f64 v[126:127], v[150:151], v[128:129]
	v_fma_f64 v[126:127], v[148:149], v[146:147], -v[126:127]
	v_mul_f64 v[148:149], v[148:149], v[128:129]
	v_add_f64 v[114:115], v[114:115], -v[126:127]
	v_fma_f64 v[148:149], v[150:151], v[146:147], v[148:149]
	v_add_f64 v[116:117], v[116:117], -v[148:149]
	ds_read2_b64 v[148:151], v184 offset0:16 offset1:17
	s_waitcnt lgkmcnt(0)
	v_mul_f64 v[126:127], v[150:151], v[128:129]
	v_fma_f64 v[126:127], v[148:149], v[146:147], -v[126:127]
	v_mul_f64 v[148:149], v[148:149], v[128:129]
	v_add_f64 v[110:111], v[110:111], -v[126:127]
	v_fma_f64 v[148:149], v[150:151], v[146:147], v[148:149]
	v_add_f64 v[112:113], v[112:113], -v[148:149]
	ds_read2_b64 v[148:151], v184 offset0:18 offset1:19
	s_waitcnt lgkmcnt(0)
	v_mul_f64 v[126:127], v[150:151], v[128:129]
	v_fma_f64 v[126:127], v[148:149], v[146:147], -v[126:127]
	v_mul_f64 v[148:149], v[148:149], v[128:129]
	v_add_f64 v[106:107], v[106:107], -v[126:127]
	v_fma_f64 v[148:149], v[150:151], v[146:147], v[148:149]
	v_add_f64 v[108:109], v[108:109], -v[148:149]
	ds_read2_b64 v[148:151], v184 offset0:20 offset1:21
	s_waitcnt lgkmcnt(0)
	v_mul_f64 v[126:127], v[150:151], v[128:129]
	v_fma_f64 v[126:127], v[148:149], v[146:147], -v[126:127]
	v_mul_f64 v[148:149], v[148:149], v[128:129]
	v_add_f64 v[102:103], v[102:103], -v[126:127]
	v_fma_f64 v[148:149], v[150:151], v[146:147], v[148:149]
	v_add_f64 v[104:105], v[104:105], -v[148:149]
	ds_read2_b64 v[148:151], v184 offset0:22 offset1:23
	s_waitcnt lgkmcnt(0)
	v_mul_f64 v[126:127], v[150:151], v[128:129]
	v_fma_f64 v[126:127], v[148:149], v[146:147], -v[126:127]
	v_mul_f64 v[148:149], v[148:149], v[128:129]
	v_add_f64 v[98:99], v[98:99], -v[126:127]
	v_fma_f64 v[148:149], v[150:151], v[146:147], v[148:149]
	v_add_f64 v[100:101], v[100:101], -v[148:149]
	ds_read2_b64 v[148:151], v184 offset0:24 offset1:25
	s_waitcnt lgkmcnt(0)
	v_mul_f64 v[126:127], v[150:151], v[128:129]
	v_fma_f64 v[126:127], v[148:149], v[146:147], -v[126:127]
	v_mul_f64 v[148:149], v[148:149], v[128:129]
	v_add_f64 v[94:95], v[94:95], -v[126:127]
	v_fma_f64 v[148:149], v[150:151], v[146:147], v[148:149]
	v_add_f64 v[96:97], v[96:97], -v[148:149]
	ds_read2_b64 v[148:151], v184 offset0:26 offset1:27
	s_waitcnt lgkmcnt(0)
	v_mul_f64 v[126:127], v[150:151], v[128:129]
	v_fma_f64 v[126:127], v[148:149], v[146:147], -v[126:127]
	v_mul_f64 v[148:149], v[148:149], v[128:129]
	v_add_f64 v[90:91], v[90:91], -v[126:127]
	v_fma_f64 v[148:149], v[150:151], v[146:147], v[148:149]
	v_add_f64 v[92:93], v[92:93], -v[148:149]
	ds_read2_b64 v[148:151], v184 offset0:28 offset1:29
	s_waitcnt lgkmcnt(0)
	v_mul_f64 v[126:127], v[150:151], v[128:129]
	v_fma_f64 v[126:127], v[148:149], v[146:147], -v[126:127]
	v_mul_f64 v[148:149], v[148:149], v[128:129]
	v_add_f64 v[86:87], v[86:87], -v[126:127]
	v_fma_f64 v[148:149], v[150:151], v[146:147], v[148:149]
	v_add_f64 v[88:89], v[88:89], -v[148:149]
	ds_read2_b64 v[148:151], v184 offset0:30 offset1:31
	s_waitcnt lgkmcnt(0)
	v_mul_f64 v[126:127], v[150:151], v[128:129]
	v_fma_f64 v[126:127], v[148:149], v[146:147], -v[126:127]
	v_mul_f64 v[148:149], v[148:149], v[128:129]
	v_add_f64 v[82:83], v[82:83], -v[126:127]
	v_fma_f64 v[148:149], v[150:151], v[146:147], v[148:149]
	v_add_f64 v[84:85], v[84:85], -v[148:149]
	ds_read2_b64 v[148:151], v184 offset0:32 offset1:33
	s_waitcnt lgkmcnt(0)
	v_mul_f64 v[126:127], v[150:151], v[128:129]
	v_fma_f64 v[126:127], v[148:149], v[146:147], -v[126:127]
	v_mul_f64 v[148:149], v[148:149], v[128:129]
	v_add_f64 v[78:79], v[78:79], -v[126:127]
	v_fma_f64 v[148:149], v[150:151], v[146:147], v[148:149]
	v_add_f64 v[80:81], v[80:81], -v[148:149]
	ds_read2_b64 v[148:151], v184 offset0:34 offset1:35
	s_waitcnt lgkmcnt(0)
	v_mul_f64 v[126:127], v[150:151], v[128:129]
	v_fma_f64 v[126:127], v[148:149], v[146:147], -v[126:127]
	v_mul_f64 v[148:149], v[148:149], v[128:129]
	v_add_f64 v[74:75], v[74:75], -v[126:127]
	v_fma_f64 v[148:149], v[150:151], v[146:147], v[148:149]
	v_add_f64 v[76:77], v[76:77], -v[148:149]
	ds_read2_b64 v[148:151], v184 offset0:36 offset1:37
	s_waitcnt lgkmcnt(0)
	v_mul_f64 v[126:127], v[150:151], v[128:129]
	v_fma_f64 v[126:127], v[148:149], v[146:147], -v[126:127]
	v_mul_f64 v[148:149], v[148:149], v[128:129]
	v_add_f64 v[70:71], v[70:71], -v[126:127]
	v_fma_f64 v[148:149], v[150:151], v[146:147], v[148:149]
	v_add_f64 v[72:73], v[72:73], -v[148:149]
	ds_read2_b64 v[148:151], v184 offset0:38 offset1:39
	s_waitcnt lgkmcnt(0)
	v_mul_f64 v[126:127], v[150:151], v[128:129]
	v_fma_f64 v[126:127], v[148:149], v[146:147], -v[126:127]
	v_mul_f64 v[148:149], v[148:149], v[128:129]
	v_add_f64 v[66:67], v[66:67], -v[126:127]
	v_fma_f64 v[148:149], v[150:151], v[146:147], v[148:149]
	v_add_f64 v[68:69], v[68:69], -v[148:149]
	ds_read2_b64 v[148:151], v184 offset0:40 offset1:41
	s_waitcnt lgkmcnt(0)
	v_mul_f64 v[126:127], v[150:151], v[128:129]
	v_fma_f64 v[126:127], v[148:149], v[146:147], -v[126:127]
	v_mul_f64 v[148:149], v[148:149], v[128:129]
	v_add_f64 v[62:63], v[62:63], -v[126:127]
	v_fma_f64 v[148:149], v[150:151], v[146:147], v[148:149]
	v_add_f64 v[64:65], v[64:65], -v[148:149]
	ds_read2_b64 v[148:151], v184 offset0:42 offset1:43
	s_waitcnt lgkmcnt(0)
	v_mul_f64 v[126:127], v[150:151], v[128:129]
	v_fma_f64 v[126:127], v[148:149], v[146:147], -v[126:127]
	v_mul_f64 v[148:149], v[148:149], v[128:129]
	v_add_f64 v[58:59], v[58:59], -v[126:127]
	v_fma_f64 v[148:149], v[150:151], v[146:147], v[148:149]
	v_add_f64 v[60:61], v[60:61], -v[148:149]
	ds_read2_b64 v[148:151], v184 offset0:44 offset1:45
	s_waitcnt lgkmcnt(0)
	v_mul_f64 v[126:127], v[150:151], v[128:129]
	v_fma_f64 v[126:127], v[148:149], v[146:147], -v[126:127]
	v_mul_f64 v[148:149], v[148:149], v[128:129]
	v_add_f64 v[54:55], v[54:55], -v[126:127]
	v_fma_f64 v[148:149], v[150:151], v[146:147], v[148:149]
	v_add_f64 v[56:57], v[56:57], -v[148:149]
	ds_read2_b64 v[148:151], v184 offset0:46 offset1:47
	s_waitcnt lgkmcnt(0)
	v_mul_f64 v[126:127], v[150:151], v[128:129]
	v_fma_f64 v[126:127], v[148:149], v[146:147], -v[126:127]
	v_mul_f64 v[148:149], v[148:149], v[128:129]
	v_add_f64 v[50:51], v[50:51], -v[126:127]
	v_fma_f64 v[148:149], v[150:151], v[146:147], v[148:149]
	v_add_f64 v[52:53], v[52:53], -v[148:149]
	ds_read2_b64 v[148:151], v184 offset0:48 offset1:49
	s_waitcnt lgkmcnt(0)
	v_mul_f64 v[126:127], v[150:151], v[128:129]
	v_fma_f64 v[126:127], v[148:149], v[146:147], -v[126:127]
	v_mul_f64 v[148:149], v[148:149], v[128:129]
	v_add_f64 v[46:47], v[46:47], -v[126:127]
	v_fma_f64 v[148:149], v[150:151], v[146:147], v[148:149]
	v_add_f64 v[48:49], v[48:49], -v[148:149]
	ds_read2_b64 v[148:151], v184 offset0:50 offset1:51
	s_waitcnt lgkmcnt(0)
	v_mul_f64 v[126:127], v[150:151], v[128:129]
	v_fma_f64 v[126:127], v[148:149], v[146:147], -v[126:127]
	v_mul_f64 v[148:149], v[148:149], v[128:129]
	v_add_f64 v[42:43], v[42:43], -v[126:127]
	v_fma_f64 v[148:149], v[150:151], v[146:147], v[148:149]
	v_add_f64 v[44:45], v[44:45], -v[148:149]
	ds_read2_b64 v[148:151], v184 offset0:52 offset1:53
	s_waitcnt lgkmcnt(0)
	v_mul_f64 v[126:127], v[150:151], v[128:129]
	v_fma_f64 v[126:127], v[148:149], v[146:147], -v[126:127]
	v_mul_f64 v[148:149], v[148:149], v[128:129]
	v_add_f64 v[38:39], v[38:39], -v[126:127]
	v_fma_f64 v[148:149], v[150:151], v[146:147], v[148:149]
	v_add_f64 v[40:41], v[40:41], -v[148:149]
	ds_read2_b64 v[148:151], v184 offset0:54 offset1:55
	s_waitcnt lgkmcnt(0)
	v_mul_f64 v[126:127], v[150:151], v[128:129]
	v_fma_f64 v[126:127], v[148:149], v[146:147], -v[126:127]
	v_mul_f64 v[148:149], v[148:149], v[128:129]
	v_add_f64 v[34:35], v[34:35], -v[126:127]
	v_fma_f64 v[148:149], v[150:151], v[146:147], v[148:149]
	v_add_f64 v[36:37], v[36:37], -v[148:149]
	ds_read2_b64 v[148:151], v184 offset0:56 offset1:57
	s_waitcnt lgkmcnt(0)
	v_mul_f64 v[126:127], v[150:151], v[128:129]
	v_fma_f64 v[126:127], v[148:149], v[146:147], -v[126:127]
	v_mul_f64 v[148:149], v[148:149], v[128:129]
	v_add_f64 v[30:31], v[30:31], -v[126:127]
	v_fma_f64 v[148:149], v[150:151], v[146:147], v[148:149]
	v_add_f64 v[32:33], v[32:33], -v[148:149]
	ds_read2_b64 v[148:151], v184 offset0:58 offset1:59
	s_waitcnt lgkmcnt(0)
	v_mul_f64 v[126:127], v[150:151], v[128:129]
	v_fma_f64 v[126:127], v[148:149], v[146:147], -v[126:127]
	v_mul_f64 v[148:149], v[148:149], v[128:129]
	v_add_f64 v[26:27], v[26:27], -v[126:127]
	v_fma_f64 v[148:149], v[150:151], v[146:147], v[148:149]
	v_add_f64 v[28:29], v[28:29], -v[148:149]
	ds_read2_b64 v[148:151], v184 offset0:60 offset1:61
	s_waitcnt lgkmcnt(0)
	v_mul_f64 v[126:127], v[150:151], v[128:129]
	v_fma_f64 v[126:127], v[148:149], v[146:147], -v[126:127]
	v_mul_f64 v[148:149], v[148:149], v[128:129]
	v_add_f64 v[22:23], v[22:23], -v[126:127]
	v_fma_f64 v[148:149], v[150:151], v[146:147], v[148:149]
	v_add_f64 v[24:25], v[24:25], -v[148:149]
	ds_read2_b64 v[148:151], v184 offset0:62 offset1:63
	s_waitcnt lgkmcnt(0)
	v_mul_f64 v[126:127], v[150:151], v[128:129]
	v_fma_f64 v[126:127], v[148:149], v[146:147], -v[126:127]
	v_mul_f64 v[148:149], v[148:149], v[128:129]
	v_add_f64 v[18:19], v[18:19], -v[126:127]
	v_fma_f64 v[148:149], v[150:151], v[146:147], v[148:149]
	v_add_f64 v[20:21], v[20:21], -v[148:149]
	ds_read2_b64 v[148:151], v184 offset0:64 offset1:65
	s_waitcnt lgkmcnt(0)
	v_mul_f64 v[126:127], v[150:151], v[128:129]
	v_fma_f64 v[126:127], v[148:149], v[146:147], -v[126:127]
	v_mul_f64 v[148:149], v[148:149], v[128:129]
	v_add_f64 v[14:15], v[14:15], -v[126:127]
	v_fma_f64 v[148:149], v[150:151], v[146:147], v[148:149]
	v_add_f64 v[16:17], v[16:17], -v[148:149]
	ds_read2_b64 v[148:151], v184 offset0:66 offset1:67
	s_waitcnt lgkmcnt(0)
	v_mul_f64 v[126:127], v[150:151], v[128:129]
	v_fma_f64 v[126:127], v[148:149], v[146:147], -v[126:127]
	v_mul_f64 v[148:149], v[148:149], v[128:129]
	v_add_f64 v[10:11], v[10:11], -v[126:127]
	v_fma_f64 v[148:149], v[150:151], v[146:147], v[148:149]
	v_add_f64 v[12:13], v[12:13], -v[148:149]
	ds_read2_b64 v[148:151], v184 offset0:68 offset1:69
	s_waitcnt lgkmcnt(0)
	v_mul_f64 v[126:127], v[150:151], v[128:129]
	v_fma_f64 v[126:127], v[148:149], v[146:147], -v[126:127]
	v_mul_f64 v[148:149], v[148:149], v[128:129]
	v_add_f64 v[6:7], v[6:7], -v[126:127]
	v_fma_f64 v[148:149], v[150:151], v[146:147], v[148:149]
	v_add_f64 v[8:9], v[8:9], -v[148:149]
	ds_read2_b64 v[148:151], v184 offset0:70 offset1:71
	s_waitcnt lgkmcnt(0)
	v_mul_f64 v[126:127], v[150:151], v[128:129]
	v_fma_f64 v[126:127], v[148:149], v[146:147], -v[126:127]
	v_mul_f64 v[148:149], v[148:149], v[128:129]
	v_add_f64 v[2:3], v[2:3], -v[126:127]
	v_fma_f64 v[148:149], v[150:151], v[146:147], v[148:149]
	v_mov_b32_e32 v126, v146
	v_mov_b32_e32 v127, v147
	v_add_f64 v[4:5], v[4:5], -v[148:149]
.LBB71_46:
	s_or_b32 exec_lo, exec_lo, s1
	s_mov_b32 s2, exec_lo
	s_waitcnt_vscnt null, 0x0
	s_barrier
	buffer_gl0_inv
	v_cmpx_eq_u32_e32 5, v0
	s_cbranch_execz .LBB71_53
; %bb.47:
	ds_write2_b64 v1, v[122:123], v[124:125] offset1:1
	ds_write2_b64 v184, v[118:119], v[120:121] offset0:12 offset1:13
	ds_write2_b64 v184, v[114:115], v[116:117] offset0:14 offset1:15
	;; [unrolled: 1-line block ×30, first 2 shown]
	ds_read2_b64 v[146:149], v1 offset1:1
	s_waitcnt lgkmcnt(0)
	v_cmp_neq_f64_e32 vcc_lo, 0, v[146:147]
	v_cmp_neq_f64_e64 s1, 0, v[148:149]
	s_or_b32 s1, vcc_lo, s1
	s_and_b32 exec_lo, exec_lo, s1
	s_cbranch_execz .LBB71_53
; %bb.48:
	v_cmp_ngt_f64_e64 s1, |v[146:147]|, |v[148:149]|
                                        ; implicit-def: $vgpr150_vgpr151
	s_and_saveexec_b32 s3, s1
	s_xor_b32 s1, exec_lo, s3
                                        ; implicit-def: $vgpr152_vgpr153
	s_cbranch_execz .LBB71_50
; %bb.49:
	v_div_scale_f64 v[150:151], null, v[148:149], v[148:149], v[146:147]
	v_div_scale_f64 v[156:157], vcc_lo, v[146:147], v[148:149], v[146:147]
	v_rcp_f64_e32 v[152:153], v[150:151]
	v_fma_f64 v[154:155], -v[150:151], v[152:153], 1.0
	v_fma_f64 v[152:153], v[152:153], v[154:155], v[152:153]
	v_fma_f64 v[154:155], -v[150:151], v[152:153], 1.0
	v_fma_f64 v[152:153], v[152:153], v[154:155], v[152:153]
	v_mul_f64 v[154:155], v[156:157], v[152:153]
	v_fma_f64 v[150:151], -v[150:151], v[154:155], v[156:157]
	v_div_fmas_f64 v[150:151], v[150:151], v[152:153], v[154:155]
	v_div_fixup_f64 v[150:151], v[150:151], v[148:149], v[146:147]
	v_fma_f64 v[146:147], v[146:147], v[150:151], v[148:149]
	v_div_scale_f64 v[148:149], null, v[146:147], v[146:147], 1.0
	v_rcp_f64_e32 v[152:153], v[148:149]
	v_fma_f64 v[154:155], -v[148:149], v[152:153], 1.0
	v_fma_f64 v[152:153], v[152:153], v[154:155], v[152:153]
	v_fma_f64 v[154:155], -v[148:149], v[152:153], 1.0
	v_fma_f64 v[152:153], v[152:153], v[154:155], v[152:153]
	v_div_scale_f64 v[154:155], vcc_lo, 1.0, v[146:147], 1.0
	v_mul_f64 v[156:157], v[154:155], v[152:153]
	v_fma_f64 v[148:149], -v[148:149], v[156:157], v[154:155]
	v_div_fmas_f64 v[148:149], v[148:149], v[152:153], v[156:157]
	v_div_fixup_f64 v[152:153], v[148:149], v[146:147], 1.0
                                        ; implicit-def: $vgpr146_vgpr147
	v_mul_f64 v[150:151], v[150:151], v[152:153]
	v_xor_b32_e32 v153, 0x80000000, v153
.LBB71_50:
	s_andn2_saveexec_b32 s1, s1
	s_cbranch_execz .LBB71_52
; %bb.51:
	v_div_scale_f64 v[150:151], null, v[146:147], v[146:147], v[148:149]
	v_div_scale_f64 v[156:157], vcc_lo, v[148:149], v[146:147], v[148:149]
	v_rcp_f64_e32 v[152:153], v[150:151]
	v_fma_f64 v[154:155], -v[150:151], v[152:153], 1.0
	v_fma_f64 v[152:153], v[152:153], v[154:155], v[152:153]
	v_fma_f64 v[154:155], -v[150:151], v[152:153], 1.0
	v_fma_f64 v[152:153], v[152:153], v[154:155], v[152:153]
	v_mul_f64 v[154:155], v[156:157], v[152:153]
	v_fma_f64 v[150:151], -v[150:151], v[154:155], v[156:157]
	v_div_fmas_f64 v[150:151], v[150:151], v[152:153], v[154:155]
	v_div_fixup_f64 v[152:153], v[150:151], v[146:147], v[148:149]
	v_fma_f64 v[146:147], v[148:149], v[152:153], v[146:147]
	v_div_scale_f64 v[148:149], null, v[146:147], v[146:147], 1.0
	v_rcp_f64_e32 v[150:151], v[148:149]
	v_fma_f64 v[154:155], -v[148:149], v[150:151], 1.0
	v_fma_f64 v[150:151], v[150:151], v[154:155], v[150:151]
	v_fma_f64 v[154:155], -v[148:149], v[150:151], 1.0
	v_fma_f64 v[150:151], v[150:151], v[154:155], v[150:151]
	v_div_scale_f64 v[154:155], vcc_lo, 1.0, v[146:147], 1.0
	v_mul_f64 v[156:157], v[154:155], v[150:151]
	v_fma_f64 v[148:149], -v[148:149], v[156:157], v[154:155]
	v_div_fmas_f64 v[148:149], v[148:149], v[150:151], v[156:157]
	v_div_fixup_f64 v[150:151], v[148:149], v[146:147], 1.0
	v_mul_f64 v[152:153], v[152:153], -v[150:151]
.LBB71_52:
	s_or_b32 exec_lo, exec_lo, s1
	ds_write2_b64 v1, v[150:151], v[152:153] offset1:1
.LBB71_53:
	s_or_b32 exec_lo, exec_lo, s2
	s_waitcnt lgkmcnt(0)
	s_barrier
	buffer_gl0_inv
	ds_read2_b64 v[146:149], v1 offset1:1
	s_mov_b32 s1, exec_lo
	s_waitcnt lgkmcnt(0)
	buffer_store_dword v146, off, s[16:19], 0 offset:96 ; 4-byte Folded Spill
	buffer_store_dword v147, off, s[16:19], 0 offset:100 ; 4-byte Folded Spill
	;; [unrolled: 1-line block ×4, first 2 shown]
	v_cmpx_lt_u32_e32 5, v0
	s_cbranch_execz .LBB71_55
; %bb.54:
	s_clause 0x3
	buffer_load_dword v148, off, s[16:19], 0 offset:96
	buffer_load_dword v149, off, s[16:19], 0 offset:100
	;; [unrolled: 1-line block ×4, first 2 shown]
	s_waitcnt vmcnt(0)
	v_mul_f64 v[146:147], v[150:151], v[124:125]
	v_mul_f64 v[124:125], v[148:149], v[124:125]
	v_fma_f64 v[146:147], v[148:149], v[122:123], -v[146:147]
	v_fma_f64 v[124:125], v[150:151], v[122:123], v[124:125]
	ds_read2_b64 v[148:151], v184 offset0:12 offset1:13
	s_waitcnt lgkmcnt(0)
	v_mul_f64 v[122:123], v[150:151], v[124:125]
	v_fma_f64 v[122:123], v[148:149], v[146:147], -v[122:123]
	v_mul_f64 v[148:149], v[148:149], v[124:125]
	v_add_f64 v[118:119], v[118:119], -v[122:123]
	v_fma_f64 v[148:149], v[150:151], v[146:147], v[148:149]
	v_add_f64 v[120:121], v[120:121], -v[148:149]
	ds_read2_b64 v[148:151], v184 offset0:14 offset1:15
	s_waitcnt lgkmcnt(0)
	v_mul_f64 v[122:123], v[150:151], v[124:125]
	v_fma_f64 v[122:123], v[148:149], v[146:147], -v[122:123]
	v_mul_f64 v[148:149], v[148:149], v[124:125]
	v_add_f64 v[114:115], v[114:115], -v[122:123]
	v_fma_f64 v[148:149], v[150:151], v[146:147], v[148:149]
	v_add_f64 v[116:117], v[116:117], -v[148:149]
	;; [unrolled: 8-line block ×29, first 2 shown]
	ds_read2_b64 v[148:151], v184 offset0:70 offset1:71
	s_waitcnt lgkmcnt(0)
	v_mul_f64 v[122:123], v[150:151], v[124:125]
	v_fma_f64 v[122:123], v[148:149], v[146:147], -v[122:123]
	v_mul_f64 v[148:149], v[148:149], v[124:125]
	v_add_f64 v[2:3], v[2:3], -v[122:123]
	v_fma_f64 v[148:149], v[150:151], v[146:147], v[148:149]
	v_mov_b32_e32 v122, v146
	v_mov_b32_e32 v123, v147
	v_add_f64 v[4:5], v[4:5], -v[148:149]
.LBB71_55:
	s_or_b32 exec_lo, exec_lo, s1
	s_mov_b32 s2, exec_lo
	s_waitcnt_vscnt null, 0x0
	s_barrier
	buffer_gl0_inv
	v_cmpx_eq_u32_e32 6, v0
	s_cbranch_execz .LBB71_62
; %bb.56:
	ds_write2_b64 v1, v[118:119], v[120:121] offset1:1
	ds_write2_b64 v184, v[114:115], v[116:117] offset0:14 offset1:15
	ds_write2_b64 v184, v[110:111], v[112:113] offset0:16 offset1:17
	;; [unrolled: 1-line block ×29, first 2 shown]
	ds_read2_b64 v[146:149], v1 offset1:1
	s_waitcnt lgkmcnt(0)
	v_cmp_neq_f64_e32 vcc_lo, 0, v[146:147]
	v_cmp_neq_f64_e64 s1, 0, v[148:149]
	s_or_b32 s1, vcc_lo, s1
	s_and_b32 exec_lo, exec_lo, s1
	s_cbranch_execz .LBB71_62
; %bb.57:
	v_cmp_ngt_f64_e64 s1, |v[146:147]|, |v[148:149]|
                                        ; implicit-def: $vgpr150_vgpr151
	s_and_saveexec_b32 s3, s1
	s_xor_b32 s1, exec_lo, s3
                                        ; implicit-def: $vgpr152_vgpr153
	s_cbranch_execz .LBB71_59
; %bb.58:
	v_div_scale_f64 v[150:151], null, v[148:149], v[148:149], v[146:147]
	v_div_scale_f64 v[156:157], vcc_lo, v[146:147], v[148:149], v[146:147]
	v_rcp_f64_e32 v[152:153], v[150:151]
	v_fma_f64 v[154:155], -v[150:151], v[152:153], 1.0
	v_fma_f64 v[152:153], v[152:153], v[154:155], v[152:153]
	v_fma_f64 v[154:155], -v[150:151], v[152:153], 1.0
	v_fma_f64 v[152:153], v[152:153], v[154:155], v[152:153]
	v_mul_f64 v[154:155], v[156:157], v[152:153]
	v_fma_f64 v[150:151], -v[150:151], v[154:155], v[156:157]
	v_div_fmas_f64 v[150:151], v[150:151], v[152:153], v[154:155]
	v_div_fixup_f64 v[150:151], v[150:151], v[148:149], v[146:147]
	v_fma_f64 v[146:147], v[146:147], v[150:151], v[148:149]
	v_div_scale_f64 v[148:149], null, v[146:147], v[146:147], 1.0
	v_rcp_f64_e32 v[152:153], v[148:149]
	v_fma_f64 v[154:155], -v[148:149], v[152:153], 1.0
	v_fma_f64 v[152:153], v[152:153], v[154:155], v[152:153]
	v_fma_f64 v[154:155], -v[148:149], v[152:153], 1.0
	v_fma_f64 v[152:153], v[152:153], v[154:155], v[152:153]
	v_div_scale_f64 v[154:155], vcc_lo, 1.0, v[146:147], 1.0
	v_mul_f64 v[156:157], v[154:155], v[152:153]
	v_fma_f64 v[148:149], -v[148:149], v[156:157], v[154:155]
	v_div_fmas_f64 v[148:149], v[148:149], v[152:153], v[156:157]
	v_div_fixup_f64 v[152:153], v[148:149], v[146:147], 1.0
                                        ; implicit-def: $vgpr146_vgpr147
	v_mul_f64 v[150:151], v[150:151], v[152:153]
	v_xor_b32_e32 v153, 0x80000000, v153
.LBB71_59:
	s_andn2_saveexec_b32 s1, s1
	s_cbranch_execz .LBB71_61
; %bb.60:
	v_div_scale_f64 v[150:151], null, v[146:147], v[146:147], v[148:149]
	v_div_scale_f64 v[156:157], vcc_lo, v[148:149], v[146:147], v[148:149]
	v_rcp_f64_e32 v[152:153], v[150:151]
	v_fma_f64 v[154:155], -v[150:151], v[152:153], 1.0
	v_fma_f64 v[152:153], v[152:153], v[154:155], v[152:153]
	v_fma_f64 v[154:155], -v[150:151], v[152:153], 1.0
	v_fma_f64 v[152:153], v[152:153], v[154:155], v[152:153]
	v_mul_f64 v[154:155], v[156:157], v[152:153]
	v_fma_f64 v[150:151], -v[150:151], v[154:155], v[156:157]
	v_div_fmas_f64 v[150:151], v[150:151], v[152:153], v[154:155]
	v_div_fixup_f64 v[152:153], v[150:151], v[146:147], v[148:149]
	v_fma_f64 v[146:147], v[148:149], v[152:153], v[146:147]
	v_div_scale_f64 v[148:149], null, v[146:147], v[146:147], 1.0
	v_rcp_f64_e32 v[150:151], v[148:149]
	v_fma_f64 v[154:155], -v[148:149], v[150:151], 1.0
	v_fma_f64 v[150:151], v[150:151], v[154:155], v[150:151]
	v_fma_f64 v[154:155], -v[148:149], v[150:151], 1.0
	v_fma_f64 v[150:151], v[150:151], v[154:155], v[150:151]
	v_div_scale_f64 v[154:155], vcc_lo, 1.0, v[146:147], 1.0
	v_mul_f64 v[156:157], v[154:155], v[150:151]
	v_fma_f64 v[148:149], -v[148:149], v[156:157], v[154:155]
	v_div_fmas_f64 v[148:149], v[148:149], v[150:151], v[156:157]
	v_div_fixup_f64 v[150:151], v[148:149], v[146:147], 1.0
	v_mul_f64 v[152:153], v[152:153], -v[150:151]
.LBB71_61:
	s_or_b32 exec_lo, exec_lo, s1
	ds_write2_b64 v1, v[150:151], v[152:153] offset1:1
.LBB71_62:
	s_or_b32 exec_lo, exec_lo, s2
	s_waitcnt lgkmcnt(0)
	s_barrier
	buffer_gl0_inv
	ds_read2_b64 v[146:149], v1 offset1:1
	s_mov_b32 s1, exec_lo
	s_waitcnt lgkmcnt(0)
	buffer_store_dword v146, off, s[16:19], 0 offset:112 ; 4-byte Folded Spill
	buffer_store_dword v147, off, s[16:19], 0 offset:116 ; 4-byte Folded Spill
	;; [unrolled: 1-line block ×4, first 2 shown]
	v_cmpx_lt_u32_e32 6, v0
	s_cbranch_execz .LBB71_64
; %bb.63:
	s_clause 0x3
	buffer_load_dword v148, off, s[16:19], 0 offset:112
	buffer_load_dword v149, off, s[16:19], 0 offset:116
	;; [unrolled: 1-line block ×4, first 2 shown]
	s_waitcnt vmcnt(0)
	v_mul_f64 v[146:147], v[150:151], v[120:121]
	v_mul_f64 v[120:121], v[148:149], v[120:121]
	v_fma_f64 v[146:147], v[148:149], v[118:119], -v[146:147]
	v_fma_f64 v[120:121], v[150:151], v[118:119], v[120:121]
	ds_read2_b64 v[148:151], v184 offset0:14 offset1:15
	s_waitcnt lgkmcnt(0)
	v_mul_f64 v[118:119], v[150:151], v[120:121]
	v_fma_f64 v[118:119], v[148:149], v[146:147], -v[118:119]
	v_mul_f64 v[148:149], v[148:149], v[120:121]
	v_add_f64 v[114:115], v[114:115], -v[118:119]
	v_fma_f64 v[148:149], v[150:151], v[146:147], v[148:149]
	v_add_f64 v[116:117], v[116:117], -v[148:149]
	ds_read2_b64 v[148:151], v184 offset0:16 offset1:17
	s_waitcnt lgkmcnt(0)
	v_mul_f64 v[118:119], v[150:151], v[120:121]
	v_fma_f64 v[118:119], v[148:149], v[146:147], -v[118:119]
	v_mul_f64 v[148:149], v[148:149], v[120:121]
	v_add_f64 v[110:111], v[110:111], -v[118:119]
	v_fma_f64 v[148:149], v[150:151], v[146:147], v[148:149]
	v_add_f64 v[112:113], v[112:113], -v[148:149]
	;; [unrolled: 8-line block ×28, first 2 shown]
	ds_read2_b64 v[148:151], v184 offset0:70 offset1:71
	s_waitcnt lgkmcnt(0)
	v_mul_f64 v[118:119], v[150:151], v[120:121]
	v_fma_f64 v[118:119], v[148:149], v[146:147], -v[118:119]
	v_mul_f64 v[148:149], v[148:149], v[120:121]
	v_add_f64 v[2:3], v[2:3], -v[118:119]
	v_fma_f64 v[148:149], v[150:151], v[146:147], v[148:149]
	v_mov_b32_e32 v118, v146
	v_mov_b32_e32 v119, v147
	v_add_f64 v[4:5], v[4:5], -v[148:149]
.LBB71_64:
	s_or_b32 exec_lo, exec_lo, s1
	s_mov_b32 s2, exec_lo
	s_waitcnt_vscnt null, 0x0
	s_barrier
	buffer_gl0_inv
	v_cmpx_eq_u32_e32 7, v0
	s_cbranch_execz .LBB71_71
; %bb.65:
	ds_write2_b64 v1, v[114:115], v[116:117] offset1:1
	ds_write2_b64 v184, v[110:111], v[112:113] offset0:16 offset1:17
	ds_write2_b64 v184, v[106:107], v[108:109] offset0:18 offset1:19
	;; [unrolled: 1-line block ×28, first 2 shown]
	ds_read2_b64 v[146:149], v1 offset1:1
	s_waitcnt lgkmcnt(0)
	v_cmp_neq_f64_e32 vcc_lo, 0, v[146:147]
	v_cmp_neq_f64_e64 s1, 0, v[148:149]
	s_or_b32 s1, vcc_lo, s1
	s_and_b32 exec_lo, exec_lo, s1
	s_cbranch_execz .LBB71_71
; %bb.66:
	v_cmp_ngt_f64_e64 s1, |v[146:147]|, |v[148:149]|
                                        ; implicit-def: $vgpr150_vgpr151
	s_and_saveexec_b32 s3, s1
	s_xor_b32 s1, exec_lo, s3
                                        ; implicit-def: $vgpr152_vgpr153
	s_cbranch_execz .LBB71_68
; %bb.67:
	v_div_scale_f64 v[150:151], null, v[148:149], v[148:149], v[146:147]
	v_div_scale_f64 v[156:157], vcc_lo, v[146:147], v[148:149], v[146:147]
	v_rcp_f64_e32 v[152:153], v[150:151]
	v_fma_f64 v[154:155], -v[150:151], v[152:153], 1.0
	v_fma_f64 v[152:153], v[152:153], v[154:155], v[152:153]
	v_fma_f64 v[154:155], -v[150:151], v[152:153], 1.0
	v_fma_f64 v[152:153], v[152:153], v[154:155], v[152:153]
	v_mul_f64 v[154:155], v[156:157], v[152:153]
	v_fma_f64 v[150:151], -v[150:151], v[154:155], v[156:157]
	v_div_fmas_f64 v[150:151], v[150:151], v[152:153], v[154:155]
	v_div_fixup_f64 v[150:151], v[150:151], v[148:149], v[146:147]
	v_fma_f64 v[146:147], v[146:147], v[150:151], v[148:149]
	v_div_scale_f64 v[148:149], null, v[146:147], v[146:147], 1.0
	v_rcp_f64_e32 v[152:153], v[148:149]
	v_fma_f64 v[154:155], -v[148:149], v[152:153], 1.0
	v_fma_f64 v[152:153], v[152:153], v[154:155], v[152:153]
	v_fma_f64 v[154:155], -v[148:149], v[152:153], 1.0
	v_fma_f64 v[152:153], v[152:153], v[154:155], v[152:153]
	v_div_scale_f64 v[154:155], vcc_lo, 1.0, v[146:147], 1.0
	v_mul_f64 v[156:157], v[154:155], v[152:153]
	v_fma_f64 v[148:149], -v[148:149], v[156:157], v[154:155]
	v_div_fmas_f64 v[148:149], v[148:149], v[152:153], v[156:157]
	v_div_fixup_f64 v[152:153], v[148:149], v[146:147], 1.0
                                        ; implicit-def: $vgpr146_vgpr147
	v_mul_f64 v[150:151], v[150:151], v[152:153]
	v_xor_b32_e32 v153, 0x80000000, v153
.LBB71_68:
	s_andn2_saveexec_b32 s1, s1
	s_cbranch_execz .LBB71_70
; %bb.69:
	v_div_scale_f64 v[150:151], null, v[146:147], v[146:147], v[148:149]
	v_div_scale_f64 v[156:157], vcc_lo, v[148:149], v[146:147], v[148:149]
	v_rcp_f64_e32 v[152:153], v[150:151]
	v_fma_f64 v[154:155], -v[150:151], v[152:153], 1.0
	v_fma_f64 v[152:153], v[152:153], v[154:155], v[152:153]
	v_fma_f64 v[154:155], -v[150:151], v[152:153], 1.0
	v_fma_f64 v[152:153], v[152:153], v[154:155], v[152:153]
	v_mul_f64 v[154:155], v[156:157], v[152:153]
	v_fma_f64 v[150:151], -v[150:151], v[154:155], v[156:157]
	v_div_fmas_f64 v[150:151], v[150:151], v[152:153], v[154:155]
	v_div_fixup_f64 v[152:153], v[150:151], v[146:147], v[148:149]
	v_fma_f64 v[146:147], v[148:149], v[152:153], v[146:147]
	v_div_scale_f64 v[148:149], null, v[146:147], v[146:147], 1.0
	v_rcp_f64_e32 v[150:151], v[148:149]
	v_fma_f64 v[154:155], -v[148:149], v[150:151], 1.0
	v_fma_f64 v[150:151], v[150:151], v[154:155], v[150:151]
	v_fma_f64 v[154:155], -v[148:149], v[150:151], 1.0
	v_fma_f64 v[150:151], v[150:151], v[154:155], v[150:151]
	v_div_scale_f64 v[154:155], vcc_lo, 1.0, v[146:147], 1.0
	v_mul_f64 v[156:157], v[154:155], v[150:151]
	v_fma_f64 v[148:149], -v[148:149], v[156:157], v[154:155]
	v_div_fmas_f64 v[148:149], v[148:149], v[150:151], v[156:157]
	v_div_fixup_f64 v[150:151], v[148:149], v[146:147], 1.0
	v_mul_f64 v[152:153], v[152:153], -v[150:151]
.LBB71_70:
	s_or_b32 exec_lo, exec_lo, s1
	ds_write2_b64 v1, v[150:151], v[152:153] offset1:1
.LBB71_71:
	s_or_b32 exec_lo, exec_lo, s2
	s_waitcnt lgkmcnt(0)
	s_barrier
	buffer_gl0_inv
	ds_read2_b64 v[146:149], v1 offset1:1
	s_mov_b32 s1, exec_lo
	s_waitcnt lgkmcnt(0)
	buffer_store_dword v146, off, s[16:19], 0 offset:128 ; 4-byte Folded Spill
	buffer_store_dword v147, off, s[16:19], 0 offset:132 ; 4-byte Folded Spill
	;; [unrolled: 1-line block ×4, first 2 shown]
	v_cmpx_lt_u32_e32 7, v0
	s_cbranch_execz .LBB71_73
; %bb.72:
	s_clause 0x3
	buffer_load_dword v148, off, s[16:19], 0 offset:128
	buffer_load_dword v149, off, s[16:19], 0 offset:132
	;; [unrolled: 1-line block ×4, first 2 shown]
	s_waitcnt vmcnt(0)
	v_mul_f64 v[146:147], v[150:151], v[116:117]
	v_mul_f64 v[116:117], v[148:149], v[116:117]
	v_fma_f64 v[146:147], v[148:149], v[114:115], -v[146:147]
	v_fma_f64 v[116:117], v[150:151], v[114:115], v[116:117]
	ds_read2_b64 v[148:151], v184 offset0:16 offset1:17
	s_waitcnt lgkmcnt(0)
	v_mul_f64 v[114:115], v[150:151], v[116:117]
	v_fma_f64 v[114:115], v[148:149], v[146:147], -v[114:115]
	v_mul_f64 v[148:149], v[148:149], v[116:117]
	v_add_f64 v[110:111], v[110:111], -v[114:115]
	v_fma_f64 v[148:149], v[150:151], v[146:147], v[148:149]
	v_add_f64 v[112:113], v[112:113], -v[148:149]
	ds_read2_b64 v[148:151], v184 offset0:18 offset1:19
	s_waitcnt lgkmcnt(0)
	v_mul_f64 v[114:115], v[150:151], v[116:117]
	v_fma_f64 v[114:115], v[148:149], v[146:147], -v[114:115]
	v_mul_f64 v[148:149], v[148:149], v[116:117]
	v_add_f64 v[106:107], v[106:107], -v[114:115]
	v_fma_f64 v[148:149], v[150:151], v[146:147], v[148:149]
	v_add_f64 v[108:109], v[108:109], -v[148:149]
	;; [unrolled: 8-line block ×27, first 2 shown]
	ds_read2_b64 v[148:151], v184 offset0:70 offset1:71
	s_waitcnt lgkmcnt(0)
	v_mul_f64 v[114:115], v[150:151], v[116:117]
	v_fma_f64 v[114:115], v[148:149], v[146:147], -v[114:115]
	v_mul_f64 v[148:149], v[148:149], v[116:117]
	v_add_f64 v[2:3], v[2:3], -v[114:115]
	v_fma_f64 v[148:149], v[150:151], v[146:147], v[148:149]
	v_mov_b32_e32 v114, v146
	v_mov_b32_e32 v115, v147
	v_add_f64 v[4:5], v[4:5], -v[148:149]
.LBB71_73:
	s_or_b32 exec_lo, exec_lo, s1
	s_mov_b32 s2, exec_lo
	s_waitcnt_vscnt null, 0x0
	s_barrier
	buffer_gl0_inv
	v_cmpx_eq_u32_e32 8, v0
	s_cbranch_execz .LBB71_80
; %bb.74:
	ds_write2_b64 v1, v[110:111], v[112:113] offset1:1
	ds_write2_b64 v184, v[106:107], v[108:109] offset0:18 offset1:19
	ds_write2_b64 v184, v[102:103], v[104:105] offset0:20 offset1:21
	;; [unrolled: 1-line block ×27, first 2 shown]
	ds_read2_b64 v[146:149], v1 offset1:1
	s_waitcnt lgkmcnt(0)
	v_cmp_neq_f64_e32 vcc_lo, 0, v[146:147]
	v_cmp_neq_f64_e64 s1, 0, v[148:149]
	s_or_b32 s1, vcc_lo, s1
	s_and_b32 exec_lo, exec_lo, s1
	s_cbranch_execz .LBB71_80
; %bb.75:
	v_cmp_ngt_f64_e64 s1, |v[146:147]|, |v[148:149]|
                                        ; implicit-def: $vgpr150_vgpr151
	s_and_saveexec_b32 s3, s1
	s_xor_b32 s1, exec_lo, s3
                                        ; implicit-def: $vgpr152_vgpr153
	s_cbranch_execz .LBB71_77
; %bb.76:
	v_div_scale_f64 v[150:151], null, v[148:149], v[148:149], v[146:147]
	v_div_scale_f64 v[156:157], vcc_lo, v[146:147], v[148:149], v[146:147]
	v_rcp_f64_e32 v[152:153], v[150:151]
	v_fma_f64 v[154:155], -v[150:151], v[152:153], 1.0
	v_fma_f64 v[152:153], v[152:153], v[154:155], v[152:153]
	v_fma_f64 v[154:155], -v[150:151], v[152:153], 1.0
	v_fma_f64 v[152:153], v[152:153], v[154:155], v[152:153]
	v_mul_f64 v[154:155], v[156:157], v[152:153]
	v_fma_f64 v[150:151], -v[150:151], v[154:155], v[156:157]
	v_div_fmas_f64 v[150:151], v[150:151], v[152:153], v[154:155]
	v_div_fixup_f64 v[150:151], v[150:151], v[148:149], v[146:147]
	v_fma_f64 v[146:147], v[146:147], v[150:151], v[148:149]
	v_div_scale_f64 v[148:149], null, v[146:147], v[146:147], 1.0
	v_rcp_f64_e32 v[152:153], v[148:149]
	v_fma_f64 v[154:155], -v[148:149], v[152:153], 1.0
	v_fma_f64 v[152:153], v[152:153], v[154:155], v[152:153]
	v_fma_f64 v[154:155], -v[148:149], v[152:153], 1.0
	v_fma_f64 v[152:153], v[152:153], v[154:155], v[152:153]
	v_div_scale_f64 v[154:155], vcc_lo, 1.0, v[146:147], 1.0
	v_mul_f64 v[156:157], v[154:155], v[152:153]
	v_fma_f64 v[148:149], -v[148:149], v[156:157], v[154:155]
	v_div_fmas_f64 v[148:149], v[148:149], v[152:153], v[156:157]
	v_div_fixup_f64 v[152:153], v[148:149], v[146:147], 1.0
                                        ; implicit-def: $vgpr146_vgpr147
	v_mul_f64 v[150:151], v[150:151], v[152:153]
	v_xor_b32_e32 v153, 0x80000000, v153
.LBB71_77:
	s_andn2_saveexec_b32 s1, s1
	s_cbranch_execz .LBB71_79
; %bb.78:
	v_div_scale_f64 v[150:151], null, v[146:147], v[146:147], v[148:149]
	v_div_scale_f64 v[156:157], vcc_lo, v[148:149], v[146:147], v[148:149]
	v_rcp_f64_e32 v[152:153], v[150:151]
	v_fma_f64 v[154:155], -v[150:151], v[152:153], 1.0
	v_fma_f64 v[152:153], v[152:153], v[154:155], v[152:153]
	v_fma_f64 v[154:155], -v[150:151], v[152:153], 1.0
	v_fma_f64 v[152:153], v[152:153], v[154:155], v[152:153]
	v_mul_f64 v[154:155], v[156:157], v[152:153]
	v_fma_f64 v[150:151], -v[150:151], v[154:155], v[156:157]
	v_div_fmas_f64 v[150:151], v[150:151], v[152:153], v[154:155]
	v_div_fixup_f64 v[152:153], v[150:151], v[146:147], v[148:149]
	v_fma_f64 v[146:147], v[148:149], v[152:153], v[146:147]
	v_div_scale_f64 v[148:149], null, v[146:147], v[146:147], 1.0
	v_rcp_f64_e32 v[150:151], v[148:149]
	v_fma_f64 v[154:155], -v[148:149], v[150:151], 1.0
	v_fma_f64 v[150:151], v[150:151], v[154:155], v[150:151]
	v_fma_f64 v[154:155], -v[148:149], v[150:151], 1.0
	v_fma_f64 v[150:151], v[150:151], v[154:155], v[150:151]
	v_div_scale_f64 v[154:155], vcc_lo, 1.0, v[146:147], 1.0
	v_mul_f64 v[156:157], v[154:155], v[150:151]
	v_fma_f64 v[148:149], -v[148:149], v[156:157], v[154:155]
	v_div_fmas_f64 v[148:149], v[148:149], v[150:151], v[156:157]
	v_div_fixup_f64 v[150:151], v[148:149], v[146:147], 1.0
	v_mul_f64 v[152:153], v[152:153], -v[150:151]
.LBB71_79:
	s_or_b32 exec_lo, exec_lo, s1
	ds_write2_b64 v1, v[150:151], v[152:153] offset1:1
.LBB71_80:
	s_or_b32 exec_lo, exec_lo, s2
	s_waitcnt lgkmcnt(0)
	s_barrier
	buffer_gl0_inv
	ds_read2_b64 v[146:149], v1 offset1:1
	s_mov_b32 s1, exec_lo
	s_waitcnt lgkmcnt(0)
	buffer_store_dword v146, off, s[16:19], 0 offset:144 ; 4-byte Folded Spill
	buffer_store_dword v147, off, s[16:19], 0 offset:148 ; 4-byte Folded Spill
	;; [unrolled: 1-line block ×4, first 2 shown]
	v_cmpx_lt_u32_e32 8, v0
	s_cbranch_execz .LBB71_82
; %bb.81:
	s_clause 0x3
	buffer_load_dword v148, off, s[16:19], 0 offset:144
	buffer_load_dword v149, off, s[16:19], 0 offset:148
	;; [unrolled: 1-line block ×4, first 2 shown]
	s_waitcnt vmcnt(0)
	v_mul_f64 v[146:147], v[150:151], v[112:113]
	v_mul_f64 v[112:113], v[148:149], v[112:113]
	v_fma_f64 v[146:147], v[148:149], v[110:111], -v[146:147]
	v_fma_f64 v[112:113], v[150:151], v[110:111], v[112:113]
	ds_read2_b64 v[148:151], v184 offset0:18 offset1:19
	s_waitcnt lgkmcnt(0)
	v_mul_f64 v[110:111], v[150:151], v[112:113]
	v_fma_f64 v[110:111], v[148:149], v[146:147], -v[110:111]
	v_mul_f64 v[148:149], v[148:149], v[112:113]
	v_add_f64 v[106:107], v[106:107], -v[110:111]
	v_fma_f64 v[148:149], v[150:151], v[146:147], v[148:149]
	v_add_f64 v[108:109], v[108:109], -v[148:149]
	ds_read2_b64 v[148:151], v184 offset0:20 offset1:21
	s_waitcnt lgkmcnt(0)
	v_mul_f64 v[110:111], v[150:151], v[112:113]
	v_fma_f64 v[110:111], v[148:149], v[146:147], -v[110:111]
	v_mul_f64 v[148:149], v[148:149], v[112:113]
	v_add_f64 v[102:103], v[102:103], -v[110:111]
	v_fma_f64 v[148:149], v[150:151], v[146:147], v[148:149]
	v_add_f64 v[104:105], v[104:105], -v[148:149]
	;; [unrolled: 8-line block ×26, first 2 shown]
	ds_read2_b64 v[148:151], v184 offset0:70 offset1:71
	s_waitcnt lgkmcnt(0)
	v_mul_f64 v[110:111], v[150:151], v[112:113]
	v_fma_f64 v[110:111], v[148:149], v[146:147], -v[110:111]
	v_mul_f64 v[148:149], v[148:149], v[112:113]
	v_add_f64 v[2:3], v[2:3], -v[110:111]
	v_fma_f64 v[148:149], v[150:151], v[146:147], v[148:149]
	v_mov_b32_e32 v110, v146
	v_mov_b32_e32 v111, v147
	v_add_f64 v[4:5], v[4:5], -v[148:149]
.LBB71_82:
	s_or_b32 exec_lo, exec_lo, s1
	s_mov_b32 s2, exec_lo
	s_waitcnt_vscnt null, 0x0
	s_barrier
	buffer_gl0_inv
	v_cmpx_eq_u32_e32 9, v0
	s_cbranch_execz .LBB71_89
; %bb.83:
	ds_write2_b64 v1, v[106:107], v[108:109] offset1:1
	ds_write2_b64 v184, v[102:103], v[104:105] offset0:20 offset1:21
	ds_write2_b64 v184, v[98:99], v[100:101] offset0:22 offset1:23
	;; [unrolled: 1-line block ×26, first 2 shown]
	ds_read2_b64 v[146:149], v1 offset1:1
	s_waitcnt lgkmcnt(0)
	v_cmp_neq_f64_e32 vcc_lo, 0, v[146:147]
	v_cmp_neq_f64_e64 s1, 0, v[148:149]
	s_or_b32 s1, vcc_lo, s1
	s_and_b32 exec_lo, exec_lo, s1
	s_cbranch_execz .LBB71_89
; %bb.84:
	v_cmp_ngt_f64_e64 s1, |v[146:147]|, |v[148:149]|
                                        ; implicit-def: $vgpr150_vgpr151
	s_and_saveexec_b32 s3, s1
	s_xor_b32 s1, exec_lo, s3
                                        ; implicit-def: $vgpr152_vgpr153
	s_cbranch_execz .LBB71_86
; %bb.85:
	v_div_scale_f64 v[150:151], null, v[148:149], v[148:149], v[146:147]
	v_div_scale_f64 v[156:157], vcc_lo, v[146:147], v[148:149], v[146:147]
	v_rcp_f64_e32 v[152:153], v[150:151]
	v_fma_f64 v[154:155], -v[150:151], v[152:153], 1.0
	v_fma_f64 v[152:153], v[152:153], v[154:155], v[152:153]
	v_fma_f64 v[154:155], -v[150:151], v[152:153], 1.0
	v_fma_f64 v[152:153], v[152:153], v[154:155], v[152:153]
	v_mul_f64 v[154:155], v[156:157], v[152:153]
	v_fma_f64 v[150:151], -v[150:151], v[154:155], v[156:157]
	v_div_fmas_f64 v[150:151], v[150:151], v[152:153], v[154:155]
	v_div_fixup_f64 v[150:151], v[150:151], v[148:149], v[146:147]
	v_fma_f64 v[146:147], v[146:147], v[150:151], v[148:149]
	v_div_scale_f64 v[148:149], null, v[146:147], v[146:147], 1.0
	v_rcp_f64_e32 v[152:153], v[148:149]
	v_fma_f64 v[154:155], -v[148:149], v[152:153], 1.0
	v_fma_f64 v[152:153], v[152:153], v[154:155], v[152:153]
	v_fma_f64 v[154:155], -v[148:149], v[152:153], 1.0
	v_fma_f64 v[152:153], v[152:153], v[154:155], v[152:153]
	v_div_scale_f64 v[154:155], vcc_lo, 1.0, v[146:147], 1.0
	v_mul_f64 v[156:157], v[154:155], v[152:153]
	v_fma_f64 v[148:149], -v[148:149], v[156:157], v[154:155]
	v_div_fmas_f64 v[148:149], v[148:149], v[152:153], v[156:157]
	v_div_fixup_f64 v[152:153], v[148:149], v[146:147], 1.0
                                        ; implicit-def: $vgpr146_vgpr147
	v_mul_f64 v[150:151], v[150:151], v[152:153]
	v_xor_b32_e32 v153, 0x80000000, v153
.LBB71_86:
	s_andn2_saveexec_b32 s1, s1
	s_cbranch_execz .LBB71_88
; %bb.87:
	v_div_scale_f64 v[150:151], null, v[146:147], v[146:147], v[148:149]
	v_div_scale_f64 v[156:157], vcc_lo, v[148:149], v[146:147], v[148:149]
	v_rcp_f64_e32 v[152:153], v[150:151]
	v_fma_f64 v[154:155], -v[150:151], v[152:153], 1.0
	v_fma_f64 v[152:153], v[152:153], v[154:155], v[152:153]
	v_fma_f64 v[154:155], -v[150:151], v[152:153], 1.0
	v_fma_f64 v[152:153], v[152:153], v[154:155], v[152:153]
	v_mul_f64 v[154:155], v[156:157], v[152:153]
	v_fma_f64 v[150:151], -v[150:151], v[154:155], v[156:157]
	v_div_fmas_f64 v[150:151], v[150:151], v[152:153], v[154:155]
	v_div_fixup_f64 v[152:153], v[150:151], v[146:147], v[148:149]
	v_fma_f64 v[146:147], v[148:149], v[152:153], v[146:147]
	v_div_scale_f64 v[148:149], null, v[146:147], v[146:147], 1.0
	v_rcp_f64_e32 v[150:151], v[148:149]
	v_fma_f64 v[154:155], -v[148:149], v[150:151], 1.0
	v_fma_f64 v[150:151], v[150:151], v[154:155], v[150:151]
	v_fma_f64 v[154:155], -v[148:149], v[150:151], 1.0
	v_fma_f64 v[150:151], v[150:151], v[154:155], v[150:151]
	v_div_scale_f64 v[154:155], vcc_lo, 1.0, v[146:147], 1.0
	v_mul_f64 v[156:157], v[154:155], v[150:151]
	v_fma_f64 v[148:149], -v[148:149], v[156:157], v[154:155]
	v_div_fmas_f64 v[148:149], v[148:149], v[150:151], v[156:157]
	v_div_fixup_f64 v[150:151], v[148:149], v[146:147], 1.0
	v_mul_f64 v[152:153], v[152:153], -v[150:151]
.LBB71_88:
	s_or_b32 exec_lo, exec_lo, s1
	ds_write2_b64 v1, v[150:151], v[152:153] offset1:1
.LBB71_89:
	s_or_b32 exec_lo, exec_lo, s2
	s_waitcnt lgkmcnt(0)
	s_barrier
	buffer_gl0_inv
	ds_read2_b64 v[146:149], v1 offset1:1
	s_mov_b32 s1, exec_lo
	s_waitcnt lgkmcnt(0)
	buffer_store_dword v146, off, s[16:19], 0 offset:160 ; 4-byte Folded Spill
	buffer_store_dword v147, off, s[16:19], 0 offset:164 ; 4-byte Folded Spill
	;; [unrolled: 1-line block ×4, first 2 shown]
	v_cmpx_lt_u32_e32 9, v0
	s_cbranch_execz .LBB71_91
; %bb.90:
	s_clause 0x3
	buffer_load_dword v148, off, s[16:19], 0 offset:160
	buffer_load_dword v149, off, s[16:19], 0 offset:164
	;; [unrolled: 1-line block ×4, first 2 shown]
	s_waitcnt vmcnt(0)
	v_mul_f64 v[146:147], v[150:151], v[108:109]
	v_mul_f64 v[108:109], v[148:149], v[108:109]
	v_fma_f64 v[146:147], v[148:149], v[106:107], -v[146:147]
	v_fma_f64 v[108:109], v[150:151], v[106:107], v[108:109]
	ds_read2_b64 v[148:151], v184 offset0:20 offset1:21
	s_waitcnt lgkmcnt(0)
	v_mul_f64 v[106:107], v[150:151], v[108:109]
	v_fma_f64 v[106:107], v[148:149], v[146:147], -v[106:107]
	v_mul_f64 v[148:149], v[148:149], v[108:109]
	v_add_f64 v[102:103], v[102:103], -v[106:107]
	v_fma_f64 v[148:149], v[150:151], v[146:147], v[148:149]
	v_add_f64 v[104:105], v[104:105], -v[148:149]
	ds_read2_b64 v[148:151], v184 offset0:22 offset1:23
	s_waitcnt lgkmcnt(0)
	v_mul_f64 v[106:107], v[150:151], v[108:109]
	v_fma_f64 v[106:107], v[148:149], v[146:147], -v[106:107]
	v_mul_f64 v[148:149], v[148:149], v[108:109]
	v_add_f64 v[98:99], v[98:99], -v[106:107]
	v_fma_f64 v[148:149], v[150:151], v[146:147], v[148:149]
	v_add_f64 v[100:101], v[100:101], -v[148:149]
	;; [unrolled: 8-line block ×25, first 2 shown]
	ds_read2_b64 v[148:151], v184 offset0:70 offset1:71
	s_waitcnt lgkmcnt(0)
	v_mul_f64 v[106:107], v[150:151], v[108:109]
	v_fma_f64 v[106:107], v[148:149], v[146:147], -v[106:107]
	v_mul_f64 v[148:149], v[148:149], v[108:109]
	v_add_f64 v[2:3], v[2:3], -v[106:107]
	v_fma_f64 v[148:149], v[150:151], v[146:147], v[148:149]
	v_mov_b32_e32 v106, v146
	v_mov_b32_e32 v107, v147
	v_add_f64 v[4:5], v[4:5], -v[148:149]
.LBB71_91:
	s_or_b32 exec_lo, exec_lo, s1
	s_mov_b32 s2, exec_lo
	s_waitcnt_vscnt null, 0x0
	s_barrier
	buffer_gl0_inv
	v_cmpx_eq_u32_e32 10, v0
	s_cbranch_execz .LBB71_98
; %bb.92:
	ds_write2_b64 v1, v[102:103], v[104:105] offset1:1
	ds_write2_b64 v184, v[98:99], v[100:101] offset0:22 offset1:23
	ds_write2_b64 v184, v[94:95], v[96:97] offset0:24 offset1:25
	;; [unrolled: 1-line block ×25, first 2 shown]
	ds_read2_b64 v[146:149], v1 offset1:1
	s_waitcnt lgkmcnt(0)
	v_cmp_neq_f64_e32 vcc_lo, 0, v[146:147]
	v_cmp_neq_f64_e64 s1, 0, v[148:149]
	s_or_b32 s1, vcc_lo, s1
	s_and_b32 exec_lo, exec_lo, s1
	s_cbranch_execz .LBB71_98
; %bb.93:
	v_cmp_ngt_f64_e64 s1, |v[146:147]|, |v[148:149]|
                                        ; implicit-def: $vgpr150_vgpr151
	s_and_saveexec_b32 s3, s1
	s_xor_b32 s1, exec_lo, s3
                                        ; implicit-def: $vgpr152_vgpr153
	s_cbranch_execz .LBB71_95
; %bb.94:
	v_div_scale_f64 v[150:151], null, v[148:149], v[148:149], v[146:147]
	v_div_scale_f64 v[156:157], vcc_lo, v[146:147], v[148:149], v[146:147]
	v_rcp_f64_e32 v[152:153], v[150:151]
	v_fma_f64 v[154:155], -v[150:151], v[152:153], 1.0
	v_fma_f64 v[152:153], v[152:153], v[154:155], v[152:153]
	v_fma_f64 v[154:155], -v[150:151], v[152:153], 1.0
	v_fma_f64 v[152:153], v[152:153], v[154:155], v[152:153]
	v_mul_f64 v[154:155], v[156:157], v[152:153]
	v_fma_f64 v[150:151], -v[150:151], v[154:155], v[156:157]
	v_div_fmas_f64 v[150:151], v[150:151], v[152:153], v[154:155]
	v_div_fixup_f64 v[150:151], v[150:151], v[148:149], v[146:147]
	v_fma_f64 v[146:147], v[146:147], v[150:151], v[148:149]
	v_div_scale_f64 v[148:149], null, v[146:147], v[146:147], 1.0
	v_rcp_f64_e32 v[152:153], v[148:149]
	v_fma_f64 v[154:155], -v[148:149], v[152:153], 1.0
	v_fma_f64 v[152:153], v[152:153], v[154:155], v[152:153]
	v_fma_f64 v[154:155], -v[148:149], v[152:153], 1.0
	v_fma_f64 v[152:153], v[152:153], v[154:155], v[152:153]
	v_div_scale_f64 v[154:155], vcc_lo, 1.0, v[146:147], 1.0
	v_mul_f64 v[156:157], v[154:155], v[152:153]
	v_fma_f64 v[148:149], -v[148:149], v[156:157], v[154:155]
	v_div_fmas_f64 v[148:149], v[148:149], v[152:153], v[156:157]
	v_div_fixup_f64 v[152:153], v[148:149], v[146:147], 1.0
                                        ; implicit-def: $vgpr146_vgpr147
	v_mul_f64 v[150:151], v[150:151], v[152:153]
	v_xor_b32_e32 v153, 0x80000000, v153
.LBB71_95:
	s_andn2_saveexec_b32 s1, s1
	s_cbranch_execz .LBB71_97
; %bb.96:
	v_div_scale_f64 v[150:151], null, v[146:147], v[146:147], v[148:149]
	v_div_scale_f64 v[156:157], vcc_lo, v[148:149], v[146:147], v[148:149]
	v_rcp_f64_e32 v[152:153], v[150:151]
	v_fma_f64 v[154:155], -v[150:151], v[152:153], 1.0
	v_fma_f64 v[152:153], v[152:153], v[154:155], v[152:153]
	v_fma_f64 v[154:155], -v[150:151], v[152:153], 1.0
	v_fma_f64 v[152:153], v[152:153], v[154:155], v[152:153]
	v_mul_f64 v[154:155], v[156:157], v[152:153]
	v_fma_f64 v[150:151], -v[150:151], v[154:155], v[156:157]
	v_div_fmas_f64 v[150:151], v[150:151], v[152:153], v[154:155]
	v_div_fixup_f64 v[152:153], v[150:151], v[146:147], v[148:149]
	v_fma_f64 v[146:147], v[148:149], v[152:153], v[146:147]
	v_div_scale_f64 v[148:149], null, v[146:147], v[146:147], 1.0
	v_rcp_f64_e32 v[150:151], v[148:149]
	v_fma_f64 v[154:155], -v[148:149], v[150:151], 1.0
	v_fma_f64 v[150:151], v[150:151], v[154:155], v[150:151]
	v_fma_f64 v[154:155], -v[148:149], v[150:151], 1.0
	v_fma_f64 v[150:151], v[150:151], v[154:155], v[150:151]
	v_div_scale_f64 v[154:155], vcc_lo, 1.0, v[146:147], 1.0
	v_mul_f64 v[156:157], v[154:155], v[150:151]
	v_fma_f64 v[148:149], -v[148:149], v[156:157], v[154:155]
	v_div_fmas_f64 v[148:149], v[148:149], v[150:151], v[156:157]
	v_div_fixup_f64 v[150:151], v[148:149], v[146:147], 1.0
	v_mul_f64 v[152:153], v[152:153], -v[150:151]
.LBB71_97:
	s_or_b32 exec_lo, exec_lo, s1
	ds_write2_b64 v1, v[150:151], v[152:153] offset1:1
.LBB71_98:
	s_or_b32 exec_lo, exec_lo, s2
	s_waitcnt lgkmcnt(0)
	s_barrier
	buffer_gl0_inv
	ds_read2_b64 v[146:149], v1 offset1:1
	s_mov_b32 s1, exec_lo
	s_waitcnt lgkmcnt(0)
	buffer_store_dword v146, off, s[16:19], 0 offset:176 ; 4-byte Folded Spill
	buffer_store_dword v147, off, s[16:19], 0 offset:180 ; 4-byte Folded Spill
	;; [unrolled: 1-line block ×4, first 2 shown]
	v_cmpx_lt_u32_e32 10, v0
	s_cbranch_execz .LBB71_100
; %bb.99:
	s_clause 0x3
	buffer_load_dword v148, off, s[16:19], 0 offset:176
	buffer_load_dword v149, off, s[16:19], 0 offset:180
	;; [unrolled: 1-line block ×4, first 2 shown]
	s_waitcnt vmcnt(0)
	v_mul_f64 v[146:147], v[150:151], v[104:105]
	v_mul_f64 v[104:105], v[148:149], v[104:105]
	v_fma_f64 v[146:147], v[148:149], v[102:103], -v[146:147]
	v_fma_f64 v[104:105], v[150:151], v[102:103], v[104:105]
	ds_read2_b64 v[148:151], v184 offset0:22 offset1:23
	s_waitcnt lgkmcnt(0)
	v_mul_f64 v[102:103], v[150:151], v[104:105]
	v_fma_f64 v[102:103], v[148:149], v[146:147], -v[102:103]
	v_mul_f64 v[148:149], v[148:149], v[104:105]
	v_add_f64 v[98:99], v[98:99], -v[102:103]
	v_fma_f64 v[148:149], v[150:151], v[146:147], v[148:149]
	v_add_f64 v[100:101], v[100:101], -v[148:149]
	ds_read2_b64 v[148:151], v184 offset0:24 offset1:25
	s_waitcnt lgkmcnt(0)
	v_mul_f64 v[102:103], v[150:151], v[104:105]
	v_fma_f64 v[102:103], v[148:149], v[146:147], -v[102:103]
	v_mul_f64 v[148:149], v[148:149], v[104:105]
	v_add_f64 v[94:95], v[94:95], -v[102:103]
	v_fma_f64 v[148:149], v[150:151], v[146:147], v[148:149]
	v_add_f64 v[96:97], v[96:97], -v[148:149]
	;; [unrolled: 8-line block ×24, first 2 shown]
	ds_read2_b64 v[148:151], v184 offset0:70 offset1:71
	s_waitcnt lgkmcnt(0)
	v_mul_f64 v[102:103], v[150:151], v[104:105]
	v_fma_f64 v[102:103], v[148:149], v[146:147], -v[102:103]
	v_mul_f64 v[148:149], v[148:149], v[104:105]
	v_add_f64 v[2:3], v[2:3], -v[102:103]
	v_fma_f64 v[148:149], v[150:151], v[146:147], v[148:149]
	v_mov_b32_e32 v102, v146
	v_mov_b32_e32 v103, v147
	v_add_f64 v[4:5], v[4:5], -v[148:149]
.LBB71_100:
	s_or_b32 exec_lo, exec_lo, s1
	s_mov_b32 s2, exec_lo
	s_waitcnt_vscnt null, 0x0
	s_barrier
	buffer_gl0_inv
	v_cmpx_eq_u32_e32 11, v0
	s_cbranch_execz .LBB71_107
; %bb.101:
	ds_write2_b64 v1, v[98:99], v[100:101] offset1:1
	ds_write2_b64 v184, v[94:95], v[96:97] offset0:24 offset1:25
	ds_write2_b64 v184, v[90:91], v[92:93] offset0:26 offset1:27
	;; [unrolled: 1-line block ×24, first 2 shown]
	ds_read2_b64 v[146:149], v1 offset1:1
	s_waitcnt lgkmcnt(0)
	v_cmp_neq_f64_e32 vcc_lo, 0, v[146:147]
	v_cmp_neq_f64_e64 s1, 0, v[148:149]
	s_or_b32 s1, vcc_lo, s1
	s_and_b32 exec_lo, exec_lo, s1
	s_cbranch_execz .LBB71_107
; %bb.102:
	v_cmp_ngt_f64_e64 s1, |v[146:147]|, |v[148:149]|
                                        ; implicit-def: $vgpr150_vgpr151
	s_and_saveexec_b32 s3, s1
	s_xor_b32 s1, exec_lo, s3
                                        ; implicit-def: $vgpr152_vgpr153
	s_cbranch_execz .LBB71_104
; %bb.103:
	v_div_scale_f64 v[150:151], null, v[148:149], v[148:149], v[146:147]
	v_div_scale_f64 v[156:157], vcc_lo, v[146:147], v[148:149], v[146:147]
	v_rcp_f64_e32 v[152:153], v[150:151]
	v_fma_f64 v[154:155], -v[150:151], v[152:153], 1.0
	v_fma_f64 v[152:153], v[152:153], v[154:155], v[152:153]
	v_fma_f64 v[154:155], -v[150:151], v[152:153], 1.0
	v_fma_f64 v[152:153], v[152:153], v[154:155], v[152:153]
	v_mul_f64 v[154:155], v[156:157], v[152:153]
	v_fma_f64 v[150:151], -v[150:151], v[154:155], v[156:157]
	v_div_fmas_f64 v[150:151], v[150:151], v[152:153], v[154:155]
	v_div_fixup_f64 v[150:151], v[150:151], v[148:149], v[146:147]
	v_fma_f64 v[146:147], v[146:147], v[150:151], v[148:149]
	v_div_scale_f64 v[148:149], null, v[146:147], v[146:147], 1.0
	v_rcp_f64_e32 v[152:153], v[148:149]
	v_fma_f64 v[154:155], -v[148:149], v[152:153], 1.0
	v_fma_f64 v[152:153], v[152:153], v[154:155], v[152:153]
	v_fma_f64 v[154:155], -v[148:149], v[152:153], 1.0
	v_fma_f64 v[152:153], v[152:153], v[154:155], v[152:153]
	v_div_scale_f64 v[154:155], vcc_lo, 1.0, v[146:147], 1.0
	v_mul_f64 v[156:157], v[154:155], v[152:153]
	v_fma_f64 v[148:149], -v[148:149], v[156:157], v[154:155]
	v_div_fmas_f64 v[148:149], v[148:149], v[152:153], v[156:157]
	v_div_fixup_f64 v[152:153], v[148:149], v[146:147], 1.0
                                        ; implicit-def: $vgpr146_vgpr147
	v_mul_f64 v[150:151], v[150:151], v[152:153]
	v_xor_b32_e32 v153, 0x80000000, v153
.LBB71_104:
	s_andn2_saveexec_b32 s1, s1
	s_cbranch_execz .LBB71_106
; %bb.105:
	v_div_scale_f64 v[150:151], null, v[146:147], v[146:147], v[148:149]
	v_div_scale_f64 v[156:157], vcc_lo, v[148:149], v[146:147], v[148:149]
	v_rcp_f64_e32 v[152:153], v[150:151]
	v_fma_f64 v[154:155], -v[150:151], v[152:153], 1.0
	v_fma_f64 v[152:153], v[152:153], v[154:155], v[152:153]
	v_fma_f64 v[154:155], -v[150:151], v[152:153], 1.0
	v_fma_f64 v[152:153], v[152:153], v[154:155], v[152:153]
	v_mul_f64 v[154:155], v[156:157], v[152:153]
	v_fma_f64 v[150:151], -v[150:151], v[154:155], v[156:157]
	v_div_fmas_f64 v[150:151], v[150:151], v[152:153], v[154:155]
	v_div_fixup_f64 v[152:153], v[150:151], v[146:147], v[148:149]
	v_fma_f64 v[146:147], v[148:149], v[152:153], v[146:147]
	v_div_scale_f64 v[148:149], null, v[146:147], v[146:147], 1.0
	v_rcp_f64_e32 v[150:151], v[148:149]
	v_fma_f64 v[154:155], -v[148:149], v[150:151], 1.0
	v_fma_f64 v[150:151], v[150:151], v[154:155], v[150:151]
	v_fma_f64 v[154:155], -v[148:149], v[150:151], 1.0
	v_fma_f64 v[150:151], v[150:151], v[154:155], v[150:151]
	v_div_scale_f64 v[154:155], vcc_lo, 1.0, v[146:147], 1.0
	v_mul_f64 v[156:157], v[154:155], v[150:151]
	v_fma_f64 v[148:149], -v[148:149], v[156:157], v[154:155]
	v_div_fmas_f64 v[148:149], v[148:149], v[150:151], v[156:157]
	v_div_fixup_f64 v[150:151], v[148:149], v[146:147], 1.0
	v_mul_f64 v[152:153], v[152:153], -v[150:151]
.LBB71_106:
	s_or_b32 exec_lo, exec_lo, s1
	ds_write2_b64 v1, v[150:151], v[152:153] offset1:1
.LBB71_107:
	s_or_b32 exec_lo, exec_lo, s2
	s_waitcnt lgkmcnt(0)
	s_barrier
	buffer_gl0_inv
	ds_read2_b64 v[146:149], v1 offset1:1
	s_mov_b32 s1, exec_lo
	s_waitcnt lgkmcnt(0)
	buffer_store_dword v146, off, s[16:19], 0 offset:192 ; 4-byte Folded Spill
	buffer_store_dword v147, off, s[16:19], 0 offset:196 ; 4-byte Folded Spill
	;; [unrolled: 1-line block ×4, first 2 shown]
	v_cmpx_lt_u32_e32 11, v0
	s_cbranch_execz .LBB71_109
; %bb.108:
	s_clause 0x3
	buffer_load_dword v148, off, s[16:19], 0 offset:192
	buffer_load_dword v149, off, s[16:19], 0 offset:196
	;; [unrolled: 1-line block ×4, first 2 shown]
	s_waitcnt vmcnt(0)
	v_mul_f64 v[146:147], v[150:151], v[100:101]
	v_mul_f64 v[100:101], v[148:149], v[100:101]
	v_fma_f64 v[146:147], v[148:149], v[98:99], -v[146:147]
	v_fma_f64 v[100:101], v[150:151], v[98:99], v[100:101]
	ds_read2_b64 v[148:151], v184 offset0:24 offset1:25
	s_waitcnt lgkmcnt(0)
	v_mul_f64 v[98:99], v[150:151], v[100:101]
	v_fma_f64 v[98:99], v[148:149], v[146:147], -v[98:99]
	v_mul_f64 v[148:149], v[148:149], v[100:101]
	v_add_f64 v[94:95], v[94:95], -v[98:99]
	v_fma_f64 v[148:149], v[150:151], v[146:147], v[148:149]
	v_add_f64 v[96:97], v[96:97], -v[148:149]
	ds_read2_b64 v[148:151], v184 offset0:26 offset1:27
	s_waitcnt lgkmcnt(0)
	v_mul_f64 v[98:99], v[150:151], v[100:101]
	v_fma_f64 v[98:99], v[148:149], v[146:147], -v[98:99]
	v_mul_f64 v[148:149], v[148:149], v[100:101]
	v_add_f64 v[90:91], v[90:91], -v[98:99]
	v_fma_f64 v[148:149], v[150:151], v[146:147], v[148:149]
	v_add_f64 v[92:93], v[92:93], -v[148:149]
	;; [unrolled: 8-line block ×23, first 2 shown]
	ds_read2_b64 v[148:151], v184 offset0:70 offset1:71
	s_waitcnt lgkmcnt(0)
	v_mul_f64 v[98:99], v[150:151], v[100:101]
	v_fma_f64 v[98:99], v[148:149], v[146:147], -v[98:99]
	v_mul_f64 v[148:149], v[148:149], v[100:101]
	v_add_f64 v[2:3], v[2:3], -v[98:99]
	v_fma_f64 v[148:149], v[150:151], v[146:147], v[148:149]
	v_mov_b32_e32 v98, v146
	v_mov_b32_e32 v99, v147
	v_add_f64 v[4:5], v[4:5], -v[148:149]
.LBB71_109:
	s_or_b32 exec_lo, exec_lo, s1
	s_mov_b32 s2, exec_lo
	s_waitcnt_vscnt null, 0x0
	s_barrier
	buffer_gl0_inv
	v_cmpx_eq_u32_e32 12, v0
	s_cbranch_execz .LBB71_116
; %bb.110:
	ds_write2_b64 v1, v[94:95], v[96:97] offset1:1
	ds_write2_b64 v184, v[90:91], v[92:93] offset0:26 offset1:27
	ds_write2_b64 v184, v[86:87], v[88:89] offset0:28 offset1:29
	;; [unrolled: 1-line block ×23, first 2 shown]
	ds_read2_b64 v[146:149], v1 offset1:1
	s_waitcnt lgkmcnt(0)
	v_cmp_neq_f64_e32 vcc_lo, 0, v[146:147]
	v_cmp_neq_f64_e64 s1, 0, v[148:149]
	s_or_b32 s1, vcc_lo, s1
	s_and_b32 exec_lo, exec_lo, s1
	s_cbranch_execz .LBB71_116
; %bb.111:
	v_cmp_ngt_f64_e64 s1, |v[146:147]|, |v[148:149]|
                                        ; implicit-def: $vgpr150_vgpr151
	s_and_saveexec_b32 s3, s1
	s_xor_b32 s1, exec_lo, s3
                                        ; implicit-def: $vgpr152_vgpr153
	s_cbranch_execz .LBB71_113
; %bb.112:
	v_div_scale_f64 v[150:151], null, v[148:149], v[148:149], v[146:147]
	v_div_scale_f64 v[156:157], vcc_lo, v[146:147], v[148:149], v[146:147]
	v_rcp_f64_e32 v[152:153], v[150:151]
	v_fma_f64 v[154:155], -v[150:151], v[152:153], 1.0
	v_fma_f64 v[152:153], v[152:153], v[154:155], v[152:153]
	v_fma_f64 v[154:155], -v[150:151], v[152:153], 1.0
	v_fma_f64 v[152:153], v[152:153], v[154:155], v[152:153]
	v_mul_f64 v[154:155], v[156:157], v[152:153]
	v_fma_f64 v[150:151], -v[150:151], v[154:155], v[156:157]
	v_div_fmas_f64 v[150:151], v[150:151], v[152:153], v[154:155]
	v_div_fixup_f64 v[150:151], v[150:151], v[148:149], v[146:147]
	v_fma_f64 v[146:147], v[146:147], v[150:151], v[148:149]
	v_div_scale_f64 v[148:149], null, v[146:147], v[146:147], 1.0
	v_rcp_f64_e32 v[152:153], v[148:149]
	v_fma_f64 v[154:155], -v[148:149], v[152:153], 1.0
	v_fma_f64 v[152:153], v[152:153], v[154:155], v[152:153]
	v_fma_f64 v[154:155], -v[148:149], v[152:153], 1.0
	v_fma_f64 v[152:153], v[152:153], v[154:155], v[152:153]
	v_div_scale_f64 v[154:155], vcc_lo, 1.0, v[146:147], 1.0
	v_mul_f64 v[156:157], v[154:155], v[152:153]
	v_fma_f64 v[148:149], -v[148:149], v[156:157], v[154:155]
	v_div_fmas_f64 v[148:149], v[148:149], v[152:153], v[156:157]
	v_div_fixup_f64 v[152:153], v[148:149], v[146:147], 1.0
                                        ; implicit-def: $vgpr146_vgpr147
	v_mul_f64 v[150:151], v[150:151], v[152:153]
	v_xor_b32_e32 v153, 0x80000000, v153
.LBB71_113:
	s_andn2_saveexec_b32 s1, s1
	s_cbranch_execz .LBB71_115
; %bb.114:
	v_div_scale_f64 v[150:151], null, v[146:147], v[146:147], v[148:149]
	v_div_scale_f64 v[156:157], vcc_lo, v[148:149], v[146:147], v[148:149]
	v_rcp_f64_e32 v[152:153], v[150:151]
	v_fma_f64 v[154:155], -v[150:151], v[152:153], 1.0
	v_fma_f64 v[152:153], v[152:153], v[154:155], v[152:153]
	v_fma_f64 v[154:155], -v[150:151], v[152:153], 1.0
	v_fma_f64 v[152:153], v[152:153], v[154:155], v[152:153]
	v_mul_f64 v[154:155], v[156:157], v[152:153]
	v_fma_f64 v[150:151], -v[150:151], v[154:155], v[156:157]
	v_div_fmas_f64 v[150:151], v[150:151], v[152:153], v[154:155]
	v_div_fixup_f64 v[152:153], v[150:151], v[146:147], v[148:149]
	v_fma_f64 v[146:147], v[148:149], v[152:153], v[146:147]
	v_div_scale_f64 v[148:149], null, v[146:147], v[146:147], 1.0
	v_rcp_f64_e32 v[150:151], v[148:149]
	v_fma_f64 v[154:155], -v[148:149], v[150:151], 1.0
	v_fma_f64 v[150:151], v[150:151], v[154:155], v[150:151]
	v_fma_f64 v[154:155], -v[148:149], v[150:151], 1.0
	v_fma_f64 v[150:151], v[150:151], v[154:155], v[150:151]
	v_div_scale_f64 v[154:155], vcc_lo, 1.0, v[146:147], 1.0
	v_mul_f64 v[156:157], v[154:155], v[150:151]
	v_fma_f64 v[148:149], -v[148:149], v[156:157], v[154:155]
	v_div_fmas_f64 v[148:149], v[148:149], v[150:151], v[156:157]
	v_div_fixup_f64 v[150:151], v[148:149], v[146:147], 1.0
	v_mul_f64 v[152:153], v[152:153], -v[150:151]
.LBB71_115:
	s_or_b32 exec_lo, exec_lo, s1
	ds_write2_b64 v1, v[150:151], v[152:153] offset1:1
.LBB71_116:
	s_or_b32 exec_lo, exec_lo, s2
	s_waitcnt lgkmcnt(0)
	s_barrier
	buffer_gl0_inv
	ds_read2_b64 v[146:149], v1 offset1:1
	s_mov_b32 s1, exec_lo
	s_waitcnt lgkmcnt(0)
	buffer_store_dword v146, off, s[16:19], 0 offset:208 ; 4-byte Folded Spill
	buffer_store_dword v147, off, s[16:19], 0 offset:212 ; 4-byte Folded Spill
	;; [unrolled: 1-line block ×4, first 2 shown]
	v_cmpx_lt_u32_e32 12, v0
	s_cbranch_execz .LBB71_118
; %bb.117:
	s_clause 0x3
	buffer_load_dword v148, off, s[16:19], 0 offset:208
	buffer_load_dword v149, off, s[16:19], 0 offset:212
	;; [unrolled: 1-line block ×4, first 2 shown]
	s_waitcnt vmcnt(0)
	v_mul_f64 v[146:147], v[150:151], v[96:97]
	v_mul_f64 v[96:97], v[148:149], v[96:97]
	v_fma_f64 v[146:147], v[148:149], v[94:95], -v[146:147]
	v_fma_f64 v[96:97], v[150:151], v[94:95], v[96:97]
	ds_read2_b64 v[148:151], v184 offset0:26 offset1:27
	s_waitcnt lgkmcnt(0)
	v_mul_f64 v[94:95], v[150:151], v[96:97]
	v_fma_f64 v[94:95], v[148:149], v[146:147], -v[94:95]
	v_mul_f64 v[148:149], v[148:149], v[96:97]
	v_add_f64 v[90:91], v[90:91], -v[94:95]
	v_fma_f64 v[148:149], v[150:151], v[146:147], v[148:149]
	v_add_f64 v[92:93], v[92:93], -v[148:149]
	ds_read2_b64 v[148:151], v184 offset0:28 offset1:29
	s_waitcnt lgkmcnt(0)
	v_mul_f64 v[94:95], v[150:151], v[96:97]
	v_fma_f64 v[94:95], v[148:149], v[146:147], -v[94:95]
	v_mul_f64 v[148:149], v[148:149], v[96:97]
	v_add_f64 v[86:87], v[86:87], -v[94:95]
	v_fma_f64 v[148:149], v[150:151], v[146:147], v[148:149]
	v_add_f64 v[88:89], v[88:89], -v[148:149]
	;; [unrolled: 8-line block ×22, first 2 shown]
	ds_read2_b64 v[148:151], v184 offset0:70 offset1:71
	s_waitcnt lgkmcnt(0)
	v_mul_f64 v[94:95], v[150:151], v[96:97]
	v_fma_f64 v[94:95], v[148:149], v[146:147], -v[94:95]
	v_mul_f64 v[148:149], v[148:149], v[96:97]
	v_add_f64 v[2:3], v[2:3], -v[94:95]
	v_fma_f64 v[148:149], v[150:151], v[146:147], v[148:149]
	v_mov_b32_e32 v94, v146
	v_mov_b32_e32 v95, v147
	v_add_f64 v[4:5], v[4:5], -v[148:149]
.LBB71_118:
	s_or_b32 exec_lo, exec_lo, s1
	s_mov_b32 s2, exec_lo
	s_waitcnt_vscnt null, 0x0
	s_barrier
	buffer_gl0_inv
	v_cmpx_eq_u32_e32 13, v0
	s_cbranch_execz .LBB71_125
; %bb.119:
	ds_write2_b64 v1, v[90:91], v[92:93] offset1:1
	ds_write2_b64 v184, v[86:87], v[88:89] offset0:28 offset1:29
	ds_write2_b64 v184, v[82:83], v[84:85] offset0:30 offset1:31
	;; [unrolled: 1-line block ×22, first 2 shown]
	ds_read2_b64 v[146:149], v1 offset1:1
	s_waitcnt lgkmcnt(0)
	v_cmp_neq_f64_e32 vcc_lo, 0, v[146:147]
	v_cmp_neq_f64_e64 s1, 0, v[148:149]
	s_or_b32 s1, vcc_lo, s1
	s_and_b32 exec_lo, exec_lo, s1
	s_cbranch_execz .LBB71_125
; %bb.120:
	v_cmp_ngt_f64_e64 s1, |v[146:147]|, |v[148:149]|
                                        ; implicit-def: $vgpr150_vgpr151
	s_and_saveexec_b32 s3, s1
	s_xor_b32 s1, exec_lo, s3
                                        ; implicit-def: $vgpr152_vgpr153
	s_cbranch_execz .LBB71_122
; %bb.121:
	v_div_scale_f64 v[150:151], null, v[148:149], v[148:149], v[146:147]
	v_div_scale_f64 v[156:157], vcc_lo, v[146:147], v[148:149], v[146:147]
	v_rcp_f64_e32 v[152:153], v[150:151]
	v_fma_f64 v[154:155], -v[150:151], v[152:153], 1.0
	v_fma_f64 v[152:153], v[152:153], v[154:155], v[152:153]
	v_fma_f64 v[154:155], -v[150:151], v[152:153], 1.0
	v_fma_f64 v[152:153], v[152:153], v[154:155], v[152:153]
	v_mul_f64 v[154:155], v[156:157], v[152:153]
	v_fma_f64 v[150:151], -v[150:151], v[154:155], v[156:157]
	v_div_fmas_f64 v[150:151], v[150:151], v[152:153], v[154:155]
	v_div_fixup_f64 v[150:151], v[150:151], v[148:149], v[146:147]
	v_fma_f64 v[146:147], v[146:147], v[150:151], v[148:149]
	v_div_scale_f64 v[148:149], null, v[146:147], v[146:147], 1.0
	v_rcp_f64_e32 v[152:153], v[148:149]
	v_fma_f64 v[154:155], -v[148:149], v[152:153], 1.0
	v_fma_f64 v[152:153], v[152:153], v[154:155], v[152:153]
	v_fma_f64 v[154:155], -v[148:149], v[152:153], 1.0
	v_fma_f64 v[152:153], v[152:153], v[154:155], v[152:153]
	v_div_scale_f64 v[154:155], vcc_lo, 1.0, v[146:147], 1.0
	v_mul_f64 v[156:157], v[154:155], v[152:153]
	v_fma_f64 v[148:149], -v[148:149], v[156:157], v[154:155]
	v_div_fmas_f64 v[148:149], v[148:149], v[152:153], v[156:157]
	v_div_fixup_f64 v[152:153], v[148:149], v[146:147], 1.0
                                        ; implicit-def: $vgpr146_vgpr147
	v_mul_f64 v[150:151], v[150:151], v[152:153]
	v_xor_b32_e32 v153, 0x80000000, v153
.LBB71_122:
	s_andn2_saveexec_b32 s1, s1
	s_cbranch_execz .LBB71_124
; %bb.123:
	v_div_scale_f64 v[150:151], null, v[146:147], v[146:147], v[148:149]
	v_div_scale_f64 v[156:157], vcc_lo, v[148:149], v[146:147], v[148:149]
	v_rcp_f64_e32 v[152:153], v[150:151]
	v_fma_f64 v[154:155], -v[150:151], v[152:153], 1.0
	v_fma_f64 v[152:153], v[152:153], v[154:155], v[152:153]
	v_fma_f64 v[154:155], -v[150:151], v[152:153], 1.0
	v_fma_f64 v[152:153], v[152:153], v[154:155], v[152:153]
	v_mul_f64 v[154:155], v[156:157], v[152:153]
	v_fma_f64 v[150:151], -v[150:151], v[154:155], v[156:157]
	v_div_fmas_f64 v[150:151], v[150:151], v[152:153], v[154:155]
	v_div_fixup_f64 v[152:153], v[150:151], v[146:147], v[148:149]
	v_fma_f64 v[146:147], v[148:149], v[152:153], v[146:147]
	v_div_scale_f64 v[148:149], null, v[146:147], v[146:147], 1.0
	v_rcp_f64_e32 v[150:151], v[148:149]
	v_fma_f64 v[154:155], -v[148:149], v[150:151], 1.0
	v_fma_f64 v[150:151], v[150:151], v[154:155], v[150:151]
	v_fma_f64 v[154:155], -v[148:149], v[150:151], 1.0
	v_fma_f64 v[150:151], v[150:151], v[154:155], v[150:151]
	v_div_scale_f64 v[154:155], vcc_lo, 1.0, v[146:147], 1.0
	v_mul_f64 v[156:157], v[154:155], v[150:151]
	v_fma_f64 v[148:149], -v[148:149], v[156:157], v[154:155]
	v_div_fmas_f64 v[148:149], v[148:149], v[150:151], v[156:157]
	v_div_fixup_f64 v[150:151], v[148:149], v[146:147], 1.0
	v_mul_f64 v[152:153], v[152:153], -v[150:151]
.LBB71_124:
	s_or_b32 exec_lo, exec_lo, s1
	ds_write2_b64 v1, v[150:151], v[152:153] offset1:1
.LBB71_125:
	s_or_b32 exec_lo, exec_lo, s2
	s_waitcnt lgkmcnt(0)
	s_barrier
	buffer_gl0_inv
	ds_read2_b64 v[146:149], v1 offset1:1
	s_mov_b32 s1, exec_lo
	s_waitcnt lgkmcnt(0)
	buffer_store_dword v146, off, s[16:19], 0 offset:224 ; 4-byte Folded Spill
	buffer_store_dword v147, off, s[16:19], 0 offset:228 ; 4-byte Folded Spill
	;; [unrolled: 1-line block ×4, first 2 shown]
	v_cmpx_lt_u32_e32 13, v0
	s_cbranch_execz .LBB71_127
; %bb.126:
	s_clause 0x3
	buffer_load_dword v148, off, s[16:19], 0 offset:224
	buffer_load_dword v149, off, s[16:19], 0 offset:228
	;; [unrolled: 1-line block ×4, first 2 shown]
	s_waitcnt vmcnt(0)
	v_mul_f64 v[146:147], v[150:151], v[92:93]
	v_mul_f64 v[92:93], v[148:149], v[92:93]
	v_fma_f64 v[146:147], v[148:149], v[90:91], -v[146:147]
	v_fma_f64 v[92:93], v[150:151], v[90:91], v[92:93]
	ds_read2_b64 v[148:151], v184 offset0:28 offset1:29
	s_waitcnt lgkmcnt(0)
	v_mul_f64 v[90:91], v[150:151], v[92:93]
	v_fma_f64 v[90:91], v[148:149], v[146:147], -v[90:91]
	v_mul_f64 v[148:149], v[148:149], v[92:93]
	v_add_f64 v[86:87], v[86:87], -v[90:91]
	v_fma_f64 v[148:149], v[150:151], v[146:147], v[148:149]
	v_add_f64 v[88:89], v[88:89], -v[148:149]
	ds_read2_b64 v[148:151], v184 offset0:30 offset1:31
	s_waitcnt lgkmcnt(0)
	v_mul_f64 v[90:91], v[150:151], v[92:93]
	v_fma_f64 v[90:91], v[148:149], v[146:147], -v[90:91]
	v_mul_f64 v[148:149], v[148:149], v[92:93]
	v_add_f64 v[82:83], v[82:83], -v[90:91]
	v_fma_f64 v[148:149], v[150:151], v[146:147], v[148:149]
	v_add_f64 v[84:85], v[84:85], -v[148:149]
	;; [unrolled: 8-line block ×21, first 2 shown]
	ds_read2_b64 v[148:151], v184 offset0:70 offset1:71
	s_waitcnt lgkmcnt(0)
	v_mul_f64 v[90:91], v[150:151], v[92:93]
	v_fma_f64 v[90:91], v[148:149], v[146:147], -v[90:91]
	v_mul_f64 v[148:149], v[148:149], v[92:93]
	v_add_f64 v[2:3], v[2:3], -v[90:91]
	v_fma_f64 v[148:149], v[150:151], v[146:147], v[148:149]
	v_mov_b32_e32 v90, v146
	v_mov_b32_e32 v91, v147
	v_add_f64 v[4:5], v[4:5], -v[148:149]
.LBB71_127:
	s_or_b32 exec_lo, exec_lo, s1
	s_mov_b32 s2, exec_lo
	s_waitcnt_vscnt null, 0x0
	s_barrier
	buffer_gl0_inv
	v_cmpx_eq_u32_e32 14, v0
	s_cbranch_execz .LBB71_134
; %bb.128:
	ds_write2_b64 v1, v[86:87], v[88:89] offset1:1
	ds_write2_b64 v184, v[82:83], v[84:85] offset0:30 offset1:31
	ds_write2_b64 v184, v[78:79], v[80:81] offset0:32 offset1:33
	;; [unrolled: 1-line block ×21, first 2 shown]
	ds_read2_b64 v[146:149], v1 offset1:1
	s_waitcnt lgkmcnt(0)
	v_cmp_neq_f64_e32 vcc_lo, 0, v[146:147]
	v_cmp_neq_f64_e64 s1, 0, v[148:149]
	s_or_b32 s1, vcc_lo, s1
	s_and_b32 exec_lo, exec_lo, s1
	s_cbranch_execz .LBB71_134
; %bb.129:
	v_cmp_ngt_f64_e64 s1, |v[146:147]|, |v[148:149]|
                                        ; implicit-def: $vgpr150_vgpr151
	s_and_saveexec_b32 s3, s1
	s_xor_b32 s1, exec_lo, s3
                                        ; implicit-def: $vgpr152_vgpr153
	s_cbranch_execz .LBB71_131
; %bb.130:
	v_div_scale_f64 v[150:151], null, v[148:149], v[148:149], v[146:147]
	v_div_scale_f64 v[156:157], vcc_lo, v[146:147], v[148:149], v[146:147]
	v_rcp_f64_e32 v[152:153], v[150:151]
	v_fma_f64 v[154:155], -v[150:151], v[152:153], 1.0
	v_fma_f64 v[152:153], v[152:153], v[154:155], v[152:153]
	v_fma_f64 v[154:155], -v[150:151], v[152:153], 1.0
	v_fma_f64 v[152:153], v[152:153], v[154:155], v[152:153]
	v_mul_f64 v[154:155], v[156:157], v[152:153]
	v_fma_f64 v[150:151], -v[150:151], v[154:155], v[156:157]
	v_div_fmas_f64 v[150:151], v[150:151], v[152:153], v[154:155]
	v_div_fixup_f64 v[150:151], v[150:151], v[148:149], v[146:147]
	v_fma_f64 v[146:147], v[146:147], v[150:151], v[148:149]
	v_div_scale_f64 v[148:149], null, v[146:147], v[146:147], 1.0
	v_rcp_f64_e32 v[152:153], v[148:149]
	v_fma_f64 v[154:155], -v[148:149], v[152:153], 1.0
	v_fma_f64 v[152:153], v[152:153], v[154:155], v[152:153]
	v_fma_f64 v[154:155], -v[148:149], v[152:153], 1.0
	v_fma_f64 v[152:153], v[152:153], v[154:155], v[152:153]
	v_div_scale_f64 v[154:155], vcc_lo, 1.0, v[146:147], 1.0
	v_mul_f64 v[156:157], v[154:155], v[152:153]
	v_fma_f64 v[148:149], -v[148:149], v[156:157], v[154:155]
	v_div_fmas_f64 v[148:149], v[148:149], v[152:153], v[156:157]
	v_div_fixup_f64 v[152:153], v[148:149], v[146:147], 1.0
                                        ; implicit-def: $vgpr146_vgpr147
	v_mul_f64 v[150:151], v[150:151], v[152:153]
	v_xor_b32_e32 v153, 0x80000000, v153
.LBB71_131:
	s_andn2_saveexec_b32 s1, s1
	s_cbranch_execz .LBB71_133
; %bb.132:
	v_div_scale_f64 v[150:151], null, v[146:147], v[146:147], v[148:149]
	v_div_scale_f64 v[156:157], vcc_lo, v[148:149], v[146:147], v[148:149]
	v_rcp_f64_e32 v[152:153], v[150:151]
	v_fma_f64 v[154:155], -v[150:151], v[152:153], 1.0
	v_fma_f64 v[152:153], v[152:153], v[154:155], v[152:153]
	v_fma_f64 v[154:155], -v[150:151], v[152:153], 1.0
	v_fma_f64 v[152:153], v[152:153], v[154:155], v[152:153]
	v_mul_f64 v[154:155], v[156:157], v[152:153]
	v_fma_f64 v[150:151], -v[150:151], v[154:155], v[156:157]
	v_div_fmas_f64 v[150:151], v[150:151], v[152:153], v[154:155]
	v_div_fixup_f64 v[152:153], v[150:151], v[146:147], v[148:149]
	v_fma_f64 v[146:147], v[148:149], v[152:153], v[146:147]
	v_div_scale_f64 v[148:149], null, v[146:147], v[146:147], 1.0
	v_rcp_f64_e32 v[150:151], v[148:149]
	v_fma_f64 v[154:155], -v[148:149], v[150:151], 1.0
	v_fma_f64 v[150:151], v[150:151], v[154:155], v[150:151]
	v_fma_f64 v[154:155], -v[148:149], v[150:151], 1.0
	v_fma_f64 v[150:151], v[150:151], v[154:155], v[150:151]
	v_div_scale_f64 v[154:155], vcc_lo, 1.0, v[146:147], 1.0
	v_mul_f64 v[156:157], v[154:155], v[150:151]
	v_fma_f64 v[148:149], -v[148:149], v[156:157], v[154:155]
	v_div_fmas_f64 v[148:149], v[148:149], v[150:151], v[156:157]
	v_div_fixup_f64 v[150:151], v[148:149], v[146:147], 1.0
	v_mul_f64 v[152:153], v[152:153], -v[150:151]
.LBB71_133:
	s_or_b32 exec_lo, exec_lo, s1
	ds_write2_b64 v1, v[150:151], v[152:153] offset1:1
.LBB71_134:
	s_or_b32 exec_lo, exec_lo, s2
	s_waitcnt lgkmcnt(0)
	s_barrier
	buffer_gl0_inv
	ds_read2_b64 v[146:149], v1 offset1:1
	s_mov_b32 s1, exec_lo
	s_waitcnt lgkmcnt(0)
	buffer_store_dword v146, off, s[16:19], 0 offset:240 ; 4-byte Folded Spill
	buffer_store_dword v147, off, s[16:19], 0 offset:244 ; 4-byte Folded Spill
	;; [unrolled: 1-line block ×4, first 2 shown]
	v_cmpx_lt_u32_e32 14, v0
	s_cbranch_execz .LBB71_136
; %bb.135:
	s_clause 0x3
	buffer_load_dword v148, off, s[16:19], 0 offset:240
	buffer_load_dword v149, off, s[16:19], 0 offset:244
	;; [unrolled: 1-line block ×4, first 2 shown]
	s_waitcnt vmcnt(0)
	v_mul_f64 v[146:147], v[150:151], v[88:89]
	v_mul_f64 v[88:89], v[148:149], v[88:89]
	v_fma_f64 v[146:147], v[148:149], v[86:87], -v[146:147]
	v_fma_f64 v[88:89], v[150:151], v[86:87], v[88:89]
	ds_read2_b64 v[148:151], v184 offset0:30 offset1:31
	s_waitcnt lgkmcnt(0)
	v_mul_f64 v[86:87], v[150:151], v[88:89]
	v_fma_f64 v[86:87], v[148:149], v[146:147], -v[86:87]
	v_mul_f64 v[148:149], v[148:149], v[88:89]
	v_add_f64 v[82:83], v[82:83], -v[86:87]
	v_fma_f64 v[148:149], v[150:151], v[146:147], v[148:149]
	v_add_f64 v[84:85], v[84:85], -v[148:149]
	ds_read2_b64 v[148:151], v184 offset0:32 offset1:33
	s_waitcnt lgkmcnt(0)
	v_mul_f64 v[86:87], v[150:151], v[88:89]
	v_fma_f64 v[86:87], v[148:149], v[146:147], -v[86:87]
	v_mul_f64 v[148:149], v[148:149], v[88:89]
	v_add_f64 v[78:79], v[78:79], -v[86:87]
	v_fma_f64 v[148:149], v[150:151], v[146:147], v[148:149]
	v_add_f64 v[80:81], v[80:81], -v[148:149]
	;; [unrolled: 8-line block ×20, first 2 shown]
	ds_read2_b64 v[148:151], v184 offset0:70 offset1:71
	s_waitcnt lgkmcnt(0)
	v_mul_f64 v[86:87], v[150:151], v[88:89]
	v_fma_f64 v[86:87], v[148:149], v[146:147], -v[86:87]
	v_mul_f64 v[148:149], v[148:149], v[88:89]
	v_add_f64 v[2:3], v[2:3], -v[86:87]
	v_fma_f64 v[148:149], v[150:151], v[146:147], v[148:149]
	v_mov_b32_e32 v86, v146
	v_mov_b32_e32 v87, v147
	v_add_f64 v[4:5], v[4:5], -v[148:149]
.LBB71_136:
	s_or_b32 exec_lo, exec_lo, s1
	s_mov_b32 s2, exec_lo
	s_waitcnt_vscnt null, 0x0
	s_barrier
	buffer_gl0_inv
	v_cmpx_eq_u32_e32 15, v0
	s_cbranch_execz .LBB71_143
; %bb.137:
	ds_write2_b64 v1, v[82:83], v[84:85] offset1:1
	ds_write2_b64 v184, v[78:79], v[80:81] offset0:32 offset1:33
	ds_write2_b64 v184, v[74:75], v[76:77] offset0:34 offset1:35
	;; [unrolled: 1-line block ×20, first 2 shown]
	ds_read2_b64 v[146:149], v1 offset1:1
	s_waitcnt lgkmcnt(0)
	v_cmp_neq_f64_e32 vcc_lo, 0, v[146:147]
	v_cmp_neq_f64_e64 s1, 0, v[148:149]
	s_or_b32 s1, vcc_lo, s1
	s_and_b32 exec_lo, exec_lo, s1
	s_cbranch_execz .LBB71_143
; %bb.138:
	v_cmp_ngt_f64_e64 s1, |v[146:147]|, |v[148:149]|
                                        ; implicit-def: $vgpr150_vgpr151
	s_and_saveexec_b32 s3, s1
	s_xor_b32 s1, exec_lo, s3
                                        ; implicit-def: $vgpr152_vgpr153
	s_cbranch_execz .LBB71_140
; %bb.139:
	v_div_scale_f64 v[150:151], null, v[148:149], v[148:149], v[146:147]
	v_div_scale_f64 v[156:157], vcc_lo, v[146:147], v[148:149], v[146:147]
	v_rcp_f64_e32 v[152:153], v[150:151]
	v_fma_f64 v[154:155], -v[150:151], v[152:153], 1.0
	v_fma_f64 v[152:153], v[152:153], v[154:155], v[152:153]
	v_fma_f64 v[154:155], -v[150:151], v[152:153], 1.0
	v_fma_f64 v[152:153], v[152:153], v[154:155], v[152:153]
	v_mul_f64 v[154:155], v[156:157], v[152:153]
	v_fma_f64 v[150:151], -v[150:151], v[154:155], v[156:157]
	v_div_fmas_f64 v[150:151], v[150:151], v[152:153], v[154:155]
	v_div_fixup_f64 v[150:151], v[150:151], v[148:149], v[146:147]
	v_fma_f64 v[146:147], v[146:147], v[150:151], v[148:149]
	v_div_scale_f64 v[148:149], null, v[146:147], v[146:147], 1.0
	v_rcp_f64_e32 v[152:153], v[148:149]
	v_fma_f64 v[154:155], -v[148:149], v[152:153], 1.0
	v_fma_f64 v[152:153], v[152:153], v[154:155], v[152:153]
	v_fma_f64 v[154:155], -v[148:149], v[152:153], 1.0
	v_fma_f64 v[152:153], v[152:153], v[154:155], v[152:153]
	v_div_scale_f64 v[154:155], vcc_lo, 1.0, v[146:147], 1.0
	v_mul_f64 v[156:157], v[154:155], v[152:153]
	v_fma_f64 v[148:149], -v[148:149], v[156:157], v[154:155]
	v_div_fmas_f64 v[148:149], v[148:149], v[152:153], v[156:157]
	v_div_fixup_f64 v[152:153], v[148:149], v[146:147], 1.0
                                        ; implicit-def: $vgpr146_vgpr147
	v_mul_f64 v[150:151], v[150:151], v[152:153]
	v_xor_b32_e32 v153, 0x80000000, v153
.LBB71_140:
	s_andn2_saveexec_b32 s1, s1
	s_cbranch_execz .LBB71_142
; %bb.141:
	v_div_scale_f64 v[150:151], null, v[146:147], v[146:147], v[148:149]
	v_div_scale_f64 v[156:157], vcc_lo, v[148:149], v[146:147], v[148:149]
	v_rcp_f64_e32 v[152:153], v[150:151]
	v_fma_f64 v[154:155], -v[150:151], v[152:153], 1.0
	v_fma_f64 v[152:153], v[152:153], v[154:155], v[152:153]
	v_fma_f64 v[154:155], -v[150:151], v[152:153], 1.0
	v_fma_f64 v[152:153], v[152:153], v[154:155], v[152:153]
	v_mul_f64 v[154:155], v[156:157], v[152:153]
	v_fma_f64 v[150:151], -v[150:151], v[154:155], v[156:157]
	v_div_fmas_f64 v[150:151], v[150:151], v[152:153], v[154:155]
	v_div_fixup_f64 v[152:153], v[150:151], v[146:147], v[148:149]
	v_fma_f64 v[146:147], v[148:149], v[152:153], v[146:147]
	v_div_scale_f64 v[148:149], null, v[146:147], v[146:147], 1.0
	v_rcp_f64_e32 v[150:151], v[148:149]
	v_fma_f64 v[154:155], -v[148:149], v[150:151], 1.0
	v_fma_f64 v[150:151], v[150:151], v[154:155], v[150:151]
	v_fma_f64 v[154:155], -v[148:149], v[150:151], 1.0
	v_fma_f64 v[150:151], v[150:151], v[154:155], v[150:151]
	v_div_scale_f64 v[154:155], vcc_lo, 1.0, v[146:147], 1.0
	v_mul_f64 v[156:157], v[154:155], v[150:151]
	v_fma_f64 v[148:149], -v[148:149], v[156:157], v[154:155]
	v_div_fmas_f64 v[148:149], v[148:149], v[150:151], v[156:157]
	v_div_fixup_f64 v[150:151], v[148:149], v[146:147], 1.0
	v_mul_f64 v[152:153], v[152:153], -v[150:151]
.LBB71_142:
	s_or_b32 exec_lo, exec_lo, s1
	ds_write2_b64 v1, v[150:151], v[152:153] offset1:1
.LBB71_143:
	s_or_b32 exec_lo, exec_lo, s2
	s_waitcnt lgkmcnt(0)
	s_barrier
	buffer_gl0_inv
	ds_read2_b64 v[146:149], v1 offset1:1
	s_mov_b32 s1, exec_lo
	s_waitcnt lgkmcnt(0)
	buffer_store_dword v146, off, s[16:19], 0 offset:256 ; 4-byte Folded Spill
	buffer_store_dword v147, off, s[16:19], 0 offset:260 ; 4-byte Folded Spill
	;; [unrolled: 1-line block ×4, first 2 shown]
	v_cmpx_lt_u32_e32 15, v0
	s_cbranch_execz .LBB71_145
; %bb.144:
	s_clause 0x3
	buffer_load_dword v148, off, s[16:19], 0 offset:256
	buffer_load_dword v149, off, s[16:19], 0 offset:260
	;; [unrolled: 1-line block ×4, first 2 shown]
	s_waitcnt vmcnt(0)
	v_mul_f64 v[146:147], v[150:151], v[84:85]
	v_mul_f64 v[84:85], v[148:149], v[84:85]
	v_fma_f64 v[146:147], v[148:149], v[82:83], -v[146:147]
	v_fma_f64 v[84:85], v[150:151], v[82:83], v[84:85]
	ds_read2_b64 v[148:151], v184 offset0:32 offset1:33
	s_waitcnt lgkmcnt(0)
	v_mul_f64 v[82:83], v[150:151], v[84:85]
	v_fma_f64 v[82:83], v[148:149], v[146:147], -v[82:83]
	v_mul_f64 v[148:149], v[148:149], v[84:85]
	v_add_f64 v[78:79], v[78:79], -v[82:83]
	v_fma_f64 v[148:149], v[150:151], v[146:147], v[148:149]
	v_add_f64 v[80:81], v[80:81], -v[148:149]
	ds_read2_b64 v[148:151], v184 offset0:34 offset1:35
	s_waitcnt lgkmcnt(0)
	v_mul_f64 v[82:83], v[150:151], v[84:85]
	v_fma_f64 v[82:83], v[148:149], v[146:147], -v[82:83]
	v_mul_f64 v[148:149], v[148:149], v[84:85]
	v_add_f64 v[74:75], v[74:75], -v[82:83]
	v_fma_f64 v[148:149], v[150:151], v[146:147], v[148:149]
	v_add_f64 v[76:77], v[76:77], -v[148:149]
	;; [unrolled: 8-line block ×19, first 2 shown]
	ds_read2_b64 v[148:151], v184 offset0:70 offset1:71
	s_waitcnt lgkmcnt(0)
	v_mul_f64 v[82:83], v[150:151], v[84:85]
	v_fma_f64 v[82:83], v[148:149], v[146:147], -v[82:83]
	v_mul_f64 v[148:149], v[148:149], v[84:85]
	v_add_f64 v[2:3], v[2:3], -v[82:83]
	v_fma_f64 v[148:149], v[150:151], v[146:147], v[148:149]
	v_mov_b32_e32 v82, v146
	v_mov_b32_e32 v83, v147
	v_add_f64 v[4:5], v[4:5], -v[148:149]
.LBB71_145:
	s_or_b32 exec_lo, exec_lo, s1
	s_mov_b32 s2, exec_lo
	s_waitcnt_vscnt null, 0x0
	s_barrier
	buffer_gl0_inv
	v_cmpx_eq_u32_e32 16, v0
	s_cbranch_execz .LBB71_152
; %bb.146:
	ds_write2_b64 v1, v[78:79], v[80:81] offset1:1
	ds_write2_b64 v184, v[74:75], v[76:77] offset0:34 offset1:35
	ds_write2_b64 v184, v[70:71], v[72:73] offset0:36 offset1:37
	;; [unrolled: 1-line block ×19, first 2 shown]
	ds_read2_b64 v[146:149], v1 offset1:1
	s_waitcnt lgkmcnt(0)
	v_cmp_neq_f64_e32 vcc_lo, 0, v[146:147]
	v_cmp_neq_f64_e64 s1, 0, v[148:149]
	s_or_b32 s1, vcc_lo, s1
	s_and_b32 exec_lo, exec_lo, s1
	s_cbranch_execz .LBB71_152
; %bb.147:
	v_cmp_ngt_f64_e64 s1, |v[146:147]|, |v[148:149]|
                                        ; implicit-def: $vgpr150_vgpr151
	s_and_saveexec_b32 s3, s1
	s_xor_b32 s1, exec_lo, s3
                                        ; implicit-def: $vgpr152_vgpr153
	s_cbranch_execz .LBB71_149
; %bb.148:
	v_div_scale_f64 v[150:151], null, v[148:149], v[148:149], v[146:147]
	v_div_scale_f64 v[156:157], vcc_lo, v[146:147], v[148:149], v[146:147]
	v_rcp_f64_e32 v[152:153], v[150:151]
	v_fma_f64 v[154:155], -v[150:151], v[152:153], 1.0
	v_fma_f64 v[152:153], v[152:153], v[154:155], v[152:153]
	v_fma_f64 v[154:155], -v[150:151], v[152:153], 1.0
	v_fma_f64 v[152:153], v[152:153], v[154:155], v[152:153]
	v_mul_f64 v[154:155], v[156:157], v[152:153]
	v_fma_f64 v[150:151], -v[150:151], v[154:155], v[156:157]
	v_div_fmas_f64 v[150:151], v[150:151], v[152:153], v[154:155]
	v_div_fixup_f64 v[150:151], v[150:151], v[148:149], v[146:147]
	v_fma_f64 v[146:147], v[146:147], v[150:151], v[148:149]
	v_div_scale_f64 v[148:149], null, v[146:147], v[146:147], 1.0
	v_rcp_f64_e32 v[152:153], v[148:149]
	v_fma_f64 v[154:155], -v[148:149], v[152:153], 1.0
	v_fma_f64 v[152:153], v[152:153], v[154:155], v[152:153]
	v_fma_f64 v[154:155], -v[148:149], v[152:153], 1.0
	v_fma_f64 v[152:153], v[152:153], v[154:155], v[152:153]
	v_div_scale_f64 v[154:155], vcc_lo, 1.0, v[146:147], 1.0
	v_mul_f64 v[156:157], v[154:155], v[152:153]
	v_fma_f64 v[148:149], -v[148:149], v[156:157], v[154:155]
	v_div_fmas_f64 v[148:149], v[148:149], v[152:153], v[156:157]
	v_div_fixup_f64 v[152:153], v[148:149], v[146:147], 1.0
                                        ; implicit-def: $vgpr146_vgpr147
	v_mul_f64 v[150:151], v[150:151], v[152:153]
	v_xor_b32_e32 v153, 0x80000000, v153
.LBB71_149:
	s_andn2_saveexec_b32 s1, s1
	s_cbranch_execz .LBB71_151
; %bb.150:
	v_div_scale_f64 v[150:151], null, v[146:147], v[146:147], v[148:149]
	v_div_scale_f64 v[156:157], vcc_lo, v[148:149], v[146:147], v[148:149]
	v_rcp_f64_e32 v[152:153], v[150:151]
	v_fma_f64 v[154:155], -v[150:151], v[152:153], 1.0
	v_fma_f64 v[152:153], v[152:153], v[154:155], v[152:153]
	v_fma_f64 v[154:155], -v[150:151], v[152:153], 1.0
	v_fma_f64 v[152:153], v[152:153], v[154:155], v[152:153]
	v_mul_f64 v[154:155], v[156:157], v[152:153]
	v_fma_f64 v[150:151], -v[150:151], v[154:155], v[156:157]
	v_div_fmas_f64 v[150:151], v[150:151], v[152:153], v[154:155]
	v_div_fixup_f64 v[152:153], v[150:151], v[146:147], v[148:149]
	v_fma_f64 v[146:147], v[148:149], v[152:153], v[146:147]
	v_div_scale_f64 v[148:149], null, v[146:147], v[146:147], 1.0
	v_rcp_f64_e32 v[150:151], v[148:149]
	v_fma_f64 v[154:155], -v[148:149], v[150:151], 1.0
	v_fma_f64 v[150:151], v[150:151], v[154:155], v[150:151]
	v_fma_f64 v[154:155], -v[148:149], v[150:151], 1.0
	v_fma_f64 v[150:151], v[150:151], v[154:155], v[150:151]
	v_div_scale_f64 v[154:155], vcc_lo, 1.0, v[146:147], 1.0
	v_mul_f64 v[156:157], v[154:155], v[150:151]
	v_fma_f64 v[148:149], -v[148:149], v[156:157], v[154:155]
	v_div_fmas_f64 v[148:149], v[148:149], v[150:151], v[156:157]
	v_div_fixup_f64 v[150:151], v[148:149], v[146:147], 1.0
	v_mul_f64 v[152:153], v[152:153], -v[150:151]
.LBB71_151:
	s_or_b32 exec_lo, exec_lo, s1
	ds_write2_b64 v1, v[150:151], v[152:153] offset1:1
.LBB71_152:
	s_or_b32 exec_lo, exec_lo, s2
	s_waitcnt lgkmcnt(0)
	s_barrier
	buffer_gl0_inv
	ds_read2_b64 v[146:149], v1 offset1:1
	s_mov_b32 s1, exec_lo
	s_waitcnt lgkmcnt(0)
	buffer_store_dword v146, off, s[16:19], 0 offset:272 ; 4-byte Folded Spill
	buffer_store_dword v147, off, s[16:19], 0 offset:276 ; 4-byte Folded Spill
	;; [unrolled: 1-line block ×4, first 2 shown]
	v_cmpx_lt_u32_e32 16, v0
	s_cbranch_execz .LBB71_154
; %bb.153:
	s_clause 0x3
	buffer_load_dword v148, off, s[16:19], 0 offset:272
	buffer_load_dword v149, off, s[16:19], 0 offset:276
	;; [unrolled: 1-line block ×4, first 2 shown]
	s_waitcnt vmcnt(0)
	v_mul_f64 v[146:147], v[150:151], v[80:81]
	v_mul_f64 v[80:81], v[148:149], v[80:81]
	v_fma_f64 v[146:147], v[148:149], v[78:79], -v[146:147]
	v_fma_f64 v[80:81], v[150:151], v[78:79], v[80:81]
	ds_read2_b64 v[148:151], v184 offset0:34 offset1:35
	s_waitcnt lgkmcnt(0)
	v_mul_f64 v[78:79], v[150:151], v[80:81]
	v_fma_f64 v[78:79], v[148:149], v[146:147], -v[78:79]
	v_mul_f64 v[148:149], v[148:149], v[80:81]
	v_add_f64 v[74:75], v[74:75], -v[78:79]
	v_fma_f64 v[148:149], v[150:151], v[146:147], v[148:149]
	v_add_f64 v[76:77], v[76:77], -v[148:149]
	ds_read2_b64 v[148:151], v184 offset0:36 offset1:37
	s_waitcnt lgkmcnt(0)
	v_mul_f64 v[78:79], v[150:151], v[80:81]
	v_fma_f64 v[78:79], v[148:149], v[146:147], -v[78:79]
	v_mul_f64 v[148:149], v[148:149], v[80:81]
	v_add_f64 v[70:71], v[70:71], -v[78:79]
	v_fma_f64 v[148:149], v[150:151], v[146:147], v[148:149]
	v_add_f64 v[72:73], v[72:73], -v[148:149]
	;; [unrolled: 8-line block ×18, first 2 shown]
	ds_read2_b64 v[148:151], v184 offset0:70 offset1:71
	s_waitcnt lgkmcnt(0)
	v_mul_f64 v[78:79], v[150:151], v[80:81]
	v_fma_f64 v[78:79], v[148:149], v[146:147], -v[78:79]
	v_mul_f64 v[148:149], v[148:149], v[80:81]
	v_add_f64 v[2:3], v[2:3], -v[78:79]
	v_fma_f64 v[148:149], v[150:151], v[146:147], v[148:149]
	v_mov_b32_e32 v78, v146
	v_mov_b32_e32 v79, v147
	v_add_f64 v[4:5], v[4:5], -v[148:149]
.LBB71_154:
	s_or_b32 exec_lo, exec_lo, s1
	s_mov_b32 s2, exec_lo
	s_waitcnt_vscnt null, 0x0
	s_barrier
	buffer_gl0_inv
	v_cmpx_eq_u32_e32 17, v0
	s_cbranch_execz .LBB71_161
; %bb.155:
	ds_write2_b64 v1, v[74:75], v[76:77] offset1:1
	ds_write2_b64 v184, v[70:71], v[72:73] offset0:36 offset1:37
	ds_write2_b64 v184, v[66:67], v[68:69] offset0:38 offset1:39
	ds_write2_b64 v184, v[62:63], v[64:65] offset0:40 offset1:41
	ds_write2_b64 v184, v[58:59], v[60:61] offset0:42 offset1:43
	ds_write2_b64 v184, v[54:55], v[56:57] offset0:44 offset1:45
	ds_write2_b64 v184, v[50:51], v[52:53] offset0:46 offset1:47
	ds_write2_b64 v184, v[46:47], v[48:49] offset0:48 offset1:49
	ds_write2_b64 v184, v[42:43], v[44:45] offset0:50 offset1:51
	ds_write2_b64 v184, v[38:39], v[40:41] offset0:52 offset1:53
	ds_write2_b64 v184, v[34:35], v[36:37] offset0:54 offset1:55
	ds_write2_b64 v184, v[30:31], v[32:33] offset0:56 offset1:57
	ds_write2_b64 v184, v[26:27], v[28:29] offset0:58 offset1:59
	ds_write2_b64 v184, v[22:23], v[24:25] offset0:60 offset1:61
	ds_write2_b64 v184, v[18:19], v[20:21] offset0:62 offset1:63
	ds_write2_b64 v184, v[14:15], v[16:17] offset0:64 offset1:65
	ds_write2_b64 v184, v[10:11], v[12:13] offset0:66 offset1:67
	ds_write2_b64 v184, v[6:7], v[8:9] offset0:68 offset1:69
	ds_write2_b64 v184, v[2:3], v[4:5] offset0:70 offset1:71
	ds_read2_b64 v[146:149], v1 offset1:1
	s_waitcnt lgkmcnt(0)
	v_cmp_neq_f64_e32 vcc_lo, 0, v[146:147]
	v_cmp_neq_f64_e64 s1, 0, v[148:149]
	s_or_b32 s1, vcc_lo, s1
	s_and_b32 exec_lo, exec_lo, s1
	s_cbranch_execz .LBB71_161
; %bb.156:
	v_cmp_ngt_f64_e64 s1, |v[146:147]|, |v[148:149]|
                                        ; implicit-def: $vgpr150_vgpr151
	s_and_saveexec_b32 s3, s1
	s_xor_b32 s1, exec_lo, s3
                                        ; implicit-def: $vgpr152_vgpr153
	s_cbranch_execz .LBB71_158
; %bb.157:
	v_div_scale_f64 v[150:151], null, v[148:149], v[148:149], v[146:147]
	v_div_scale_f64 v[156:157], vcc_lo, v[146:147], v[148:149], v[146:147]
	v_rcp_f64_e32 v[152:153], v[150:151]
	v_fma_f64 v[154:155], -v[150:151], v[152:153], 1.0
	v_fma_f64 v[152:153], v[152:153], v[154:155], v[152:153]
	v_fma_f64 v[154:155], -v[150:151], v[152:153], 1.0
	v_fma_f64 v[152:153], v[152:153], v[154:155], v[152:153]
	v_mul_f64 v[154:155], v[156:157], v[152:153]
	v_fma_f64 v[150:151], -v[150:151], v[154:155], v[156:157]
	v_div_fmas_f64 v[150:151], v[150:151], v[152:153], v[154:155]
	v_div_fixup_f64 v[150:151], v[150:151], v[148:149], v[146:147]
	v_fma_f64 v[146:147], v[146:147], v[150:151], v[148:149]
	v_div_scale_f64 v[148:149], null, v[146:147], v[146:147], 1.0
	v_rcp_f64_e32 v[152:153], v[148:149]
	v_fma_f64 v[154:155], -v[148:149], v[152:153], 1.0
	v_fma_f64 v[152:153], v[152:153], v[154:155], v[152:153]
	v_fma_f64 v[154:155], -v[148:149], v[152:153], 1.0
	v_fma_f64 v[152:153], v[152:153], v[154:155], v[152:153]
	v_div_scale_f64 v[154:155], vcc_lo, 1.0, v[146:147], 1.0
	v_mul_f64 v[156:157], v[154:155], v[152:153]
	v_fma_f64 v[148:149], -v[148:149], v[156:157], v[154:155]
	v_div_fmas_f64 v[148:149], v[148:149], v[152:153], v[156:157]
	v_div_fixup_f64 v[152:153], v[148:149], v[146:147], 1.0
                                        ; implicit-def: $vgpr146_vgpr147
	v_mul_f64 v[150:151], v[150:151], v[152:153]
	v_xor_b32_e32 v153, 0x80000000, v153
.LBB71_158:
	s_andn2_saveexec_b32 s1, s1
	s_cbranch_execz .LBB71_160
; %bb.159:
	v_div_scale_f64 v[150:151], null, v[146:147], v[146:147], v[148:149]
	v_div_scale_f64 v[156:157], vcc_lo, v[148:149], v[146:147], v[148:149]
	v_rcp_f64_e32 v[152:153], v[150:151]
	v_fma_f64 v[154:155], -v[150:151], v[152:153], 1.0
	v_fma_f64 v[152:153], v[152:153], v[154:155], v[152:153]
	v_fma_f64 v[154:155], -v[150:151], v[152:153], 1.0
	v_fma_f64 v[152:153], v[152:153], v[154:155], v[152:153]
	v_mul_f64 v[154:155], v[156:157], v[152:153]
	v_fma_f64 v[150:151], -v[150:151], v[154:155], v[156:157]
	v_div_fmas_f64 v[150:151], v[150:151], v[152:153], v[154:155]
	v_div_fixup_f64 v[152:153], v[150:151], v[146:147], v[148:149]
	v_fma_f64 v[146:147], v[148:149], v[152:153], v[146:147]
	v_div_scale_f64 v[148:149], null, v[146:147], v[146:147], 1.0
	v_rcp_f64_e32 v[150:151], v[148:149]
	v_fma_f64 v[154:155], -v[148:149], v[150:151], 1.0
	v_fma_f64 v[150:151], v[150:151], v[154:155], v[150:151]
	v_fma_f64 v[154:155], -v[148:149], v[150:151], 1.0
	v_fma_f64 v[150:151], v[150:151], v[154:155], v[150:151]
	v_div_scale_f64 v[154:155], vcc_lo, 1.0, v[146:147], 1.0
	v_mul_f64 v[156:157], v[154:155], v[150:151]
	v_fma_f64 v[148:149], -v[148:149], v[156:157], v[154:155]
	v_div_fmas_f64 v[148:149], v[148:149], v[150:151], v[156:157]
	v_div_fixup_f64 v[150:151], v[148:149], v[146:147], 1.0
	v_mul_f64 v[152:153], v[152:153], -v[150:151]
.LBB71_160:
	s_or_b32 exec_lo, exec_lo, s1
	ds_write2_b64 v1, v[150:151], v[152:153] offset1:1
.LBB71_161:
	s_or_b32 exec_lo, exec_lo, s2
	s_waitcnt lgkmcnt(0)
	s_barrier
	buffer_gl0_inv
	ds_read2_b64 v[146:149], v1 offset1:1
	s_mov_b32 s1, exec_lo
	s_waitcnt lgkmcnt(0)
	buffer_store_dword v146, off, s[16:19], 0 offset:288 ; 4-byte Folded Spill
	buffer_store_dword v147, off, s[16:19], 0 offset:292 ; 4-byte Folded Spill
	;; [unrolled: 1-line block ×4, first 2 shown]
	v_cmpx_lt_u32_e32 17, v0
	s_cbranch_execz .LBB71_163
; %bb.162:
	s_clause 0x3
	buffer_load_dword v148, off, s[16:19], 0 offset:288
	buffer_load_dword v149, off, s[16:19], 0 offset:292
	;; [unrolled: 1-line block ×4, first 2 shown]
	s_waitcnt vmcnt(0)
	v_mul_f64 v[146:147], v[150:151], v[76:77]
	v_mul_f64 v[76:77], v[148:149], v[76:77]
	v_fma_f64 v[146:147], v[148:149], v[74:75], -v[146:147]
	v_fma_f64 v[76:77], v[150:151], v[74:75], v[76:77]
	ds_read2_b64 v[148:151], v184 offset0:36 offset1:37
	s_waitcnt lgkmcnt(0)
	v_mul_f64 v[74:75], v[150:151], v[76:77]
	v_fma_f64 v[74:75], v[148:149], v[146:147], -v[74:75]
	v_mul_f64 v[148:149], v[148:149], v[76:77]
	v_add_f64 v[70:71], v[70:71], -v[74:75]
	v_fma_f64 v[148:149], v[150:151], v[146:147], v[148:149]
	v_add_f64 v[72:73], v[72:73], -v[148:149]
	ds_read2_b64 v[148:151], v184 offset0:38 offset1:39
	s_waitcnt lgkmcnt(0)
	v_mul_f64 v[74:75], v[150:151], v[76:77]
	v_fma_f64 v[74:75], v[148:149], v[146:147], -v[74:75]
	v_mul_f64 v[148:149], v[148:149], v[76:77]
	v_add_f64 v[66:67], v[66:67], -v[74:75]
	v_fma_f64 v[148:149], v[150:151], v[146:147], v[148:149]
	v_add_f64 v[68:69], v[68:69], -v[148:149]
	;; [unrolled: 8-line block ×17, first 2 shown]
	ds_read2_b64 v[148:151], v184 offset0:70 offset1:71
	s_waitcnt lgkmcnt(0)
	v_mul_f64 v[74:75], v[150:151], v[76:77]
	v_fma_f64 v[74:75], v[148:149], v[146:147], -v[74:75]
	v_mul_f64 v[148:149], v[148:149], v[76:77]
	v_add_f64 v[2:3], v[2:3], -v[74:75]
	v_fma_f64 v[148:149], v[150:151], v[146:147], v[148:149]
	v_mov_b32_e32 v74, v146
	v_mov_b32_e32 v75, v147
	v_add_f64 v[4:5], v[4:5], -v[148:149]
.LBB71_163:
	s_or_b32 exec_lo, exec_lo, s1
	s_mov_b32 s2, exec_lo
	s_waitcnt_vscnt null, 0x0
	s_barrier
	buffer_gl0_inv
	v_cmpx_eq_u32_e32 18, v0
	s_cbranch_execz .LBB71_170
; %bb.164:
	ds_write2_b64 v1, v[70:71], v[72:73] offset1:1
	ds_write2_b64 v184, v[66:67], v[68:69] offset0:38 offset1:39
	ds_write2_b64 v184, v[62:63], v[64:65] offset0:40 offset1:41
	;; [unrolled: 1-line block ×17, first 2 shown]
	ds_read2_b64 v[146:149], v1 offset1:1
	s_waitcnt lgkmcnt(0)
	v_cmp_neq_f64_e32 vcc_lo, 0, v[146:147]
	v_cmp_neq_f64_e64 s1, 0, v[148:149]
	s_or_b32 s1, vcc_lo, s1
	s_and_b32 exec_lo, exec_lo, s1
	s_cbranch_execz .LBB71_170
; %bb.165:
	v_cmp_ngt_f64_e64 s1, |v[146:147]|, |v[148:149]|
                                        ; implicit-def: $vgpr150_vgpr151
	s_and_saveexec_b32 s3, s1
	s_xor_b32 s1, exec_lo, s3
                                        ; implicit-def: $vgpr152_vgpr153
	s_cbranch_execz .LBB71_167
; %bb.166:
	v_div_scale_f64 v[150:151], null, v[148:149], v[148:149], v[146:147]
	v_div_scale_f64 v[156:157], vcc_lo, v[146:147], v[148:149], v[146:147]
	v_rcp_f64_e32 v[152:153], v[150:151]
	v_fma_f64 v[154:155], -v[150:151], v[152:153], 1.0
	v_fma_f64 v[152:153], v[152:153], v[154:155], v[152:153]
	v_fma_f64 v[154:155], -v[150:151], v[152:153], 1.0
	v_fma_f64 v[152:153], v[152:153], v[154:155], v[152:153]
	v_mul_f64 v[154:155], v[156:157], v[152:153]
	v_fma_f64 v[150:151], -v[150:151], v[154:155], v[156:157]
	v_div_fmas_f64 v[150:151], v[150:151], v[152:153], v[154:155]
	v_div_fixup_f64 v[150:151], v[150:151], v[148:149], v[146:147]
	v_fma_f64 v[146:147], v[146:147], v[150:151], v[148:149]
	v_div_scale_f64 v[148:149], null, v[146:147], v[146:147], 1.0
	v_rcp_f64_e32 v[152:153], v[148:149]
	v_fma_f64 v[154:155], -v[148:149], v[152:153], 1.0
	v_fma_f64 v[152:153], v[152:153], v[154:155], v[152:153]
	v_fma_f64 v[154:155], -v[148:149], v[152:153], 1.0
	v_fma_f64 v[152:153], v[152:153], v[154:155], v[152:153]
	v_div_scale_f64 v[154:155], vcc_lo, 1.0, v[146:147], 1.0
	v_mul_f64 v[156:157], v[154:155], v[152:153]
	v_fma_f64 v[148:149], -v[148:149], v[156:157], v[154:155]
	v_div_fmas_f64 v[148:149], v[148:149], v[152:153], v[156:157]
	v_div_fixup_f64 v[152:153], v[148:149], v[146:147], 1.0
                                        ; implicit-def: $vgpr146_vgpr147
	v_mul_f64 v[150:151], v[150:151], v[152:153]
	v_xor_b32_e32 v153, 0x80000000, v153
.LBB71_167:
	s_andn2_saveexec_b32 s1, s1
	s_cbranch_execz .LBB71_169
; %bb.168:
	v_div_scale_f64 v[150:151], null, v[146:147], v[146:147], v[148:149]
	v_div_scale_f64 v[156:157], vcc_lo, v[148:149], v[146:147], v[148:149]
	v_rcp_f64_e32 v[152:153], v[150:151]
	v_fma_f64 v[154:155], -v[150:151], v[152:153], 1.0
	v_fma_f64 v[152:153], v[152:153], v[154:155], v[152:153]
	v_fma_f64 v[154:155], -v[150:151], v[152:153], 1.0
	v_fma_f64 v[152:153], v[152:153], v[154:155], v[152:153]
	v_mul_f64 v[154:155], v[156:157], v[152:153]
	v_fma_f64 v[150:151], -v[150:151], v[154:155], v[156:157]
	v_div_fmas_f64 v[150:151], v[150:151], v[152:153], v[154:155]
	v_div_fixup_f64 v[152:153], v[150:151], v[146:147], v[148:149]
	v_fma_f64 v[146:147], v[148:149], v[152:153], v[146:147]
	v_div_scale_f64 v[148:149], null, v[146:147], v[146:147], 1.0
	v_rcp_f64_e32 v[150:151], v[148:149]
	v_fma_f64 v[154:155], -v[148:149], v[150:151], 1.0
	v_fma_f64 v[150:151], v[150:151], v[154:155], v[150:151]
	v_fma_f64 v[154:155], -v[148:149], v[150:151], 1.0
	v_fma_f64 v[150:151], v[150:151], v[154:155], v[150:151]
	v_div_scale_f64 v[154:155], vcc_lo, 1.0, v[146:147], 1.0
	v_mul_f64 v[156:157], v[154:155], v[150:151]
	v_fma_f64 v[148:149], -v[148:149], v[156:157], v[154:155]
	v_div_fmas_f64 v[148:149], v[148:149], v[150:151], v[156:157]
	v_div_fixup_f64 v[150:151], v[148:149], v[146:147], 1.0
	v_mul_f64 v[152:153], v[152:153], -v[150:151]
.LBB71_169:
	s_or_b32 exec_lo, exec_lo, s1
	ds_write2_b64 v1, v[150:151], v[152:153] offset1:1
.LBB71_170:
	s_or_b32 exec_lo, exec_lo, s2
	s_waitcnt lgkmcnt(0)
	s_barrier
	buffer_gl0_inv
	ds_read2_b64 v[146:149], v1 offset1:1
	s_mov_b32 s1, exec_lo
	s_waitcnt lgkmcnt(0)
	buffer_store_dword v146, off, s[16:19], 0 offset:304 ; 4-byte Folded Spill
	buffer_store_dword v147, off, s[16:19], 0 offset:308 ; 4-byte Folded Spill
	buffer_store_dword v148, off, s[16:19], 0 offset:312 ; 4-byte Folded Spill
	buffer_store_dword v149, off, s[16:19], 0 offset:316 ; 4-byte Folded Spill
	v_cmpx_lt_u32_e32 18, v0
	s_cbranch_execz .LBB71_172
; %bb.171:
	s_clause 0x3
	buffer_load_dword v148, off, s[16:19], 0 offset:304
	buffer_load_dword v149, off, s[16:19], 0 offset:308
	;; [unrolled: 1-line block ×4, first 2 shown]
	s_waitcnt vmcnt(0)
	v_mul_f64 v[146:147], v[150:151], v[72:73]
	v_mul_f64 v[72:73], v[148:149], v[72:73]
	v_fma_f64 v[146:147], v[148:149], v[70:71], -v[146:147]
	v_fma_f64 v[72:73], v[150:151], v[70:71], v[72:73]
	ds_read2_b64 v[148:151], v184 offset0:38 offset1:39
	s_waitcnt lgkmcnt(0)
	v_mul_f64 v[70:71], v[150:151], v[72:73]
	v_fma_f64 v[70:71], v[148:149], v[146:147], -v[70:71]
	v_mul_f64 v[148:149], v[148:149], v[72:73]
	v_add_f64 v[66:67], v[66:67], -v[70:71]
	v_fma_f64 v[148:149], v[150:151], v[146:147], v[148:149]
	v_add_f64 v[68:69], v[68:69], -v[148:149]
	ds_read2_b64 v[148:151], v184 offset0:40 offset1:41
	s_waitcnt lgkmcnt(0)
	v_mul_f64 v[70:71], v[150:151], v[72:73]
	v_fma_f64 v[70:71], v[148:149], v[146:147], -v[70:71]
	v_mul_f64 v[148:149], v[148:149], v[72:73]
	v_add_f64 v[62:63], v[62:63], -v[70:71]
	v_fma_f64 v[148:149], v[150:151], v[146:147], v[148:149]
	v_add_f64 v[64:65], v[64:65], -v[148:149]
	;; [unrolled: 8-line block ×16, first 2 shown]
	ds_read2_b64 v[148:151], v184 offset0:70 offset1:71
	s_waitcnt lgkmcnt(0)
	v_mul_f64 v[70:71], v[150:151], v[72:73]
	v_fma_f64 v[70:71], v[148:149], v[146:147], -v[70:71]
	v_mul_f64 v[148:149], v[148:149], v[72:73]
	v_add_f64 v[2:3], v[2:3], -v[70:71]
	v_fma_f64 v[148:149], v[150:151], v[146:147], v[148:149]
	v_mov_b32_e32 v70, v146
	v_mov_b32_e32 v71, v147
	v_add_f64 v[4:5], v[4:5], -v[148:149]
.LBB71_172:
	s_or_b32 exec_lo, exec_lo, s1
	s_mov_b32 s2, exec_lo
	s_waitcnt_vscnt null, 0x0
	s_barrier
	buffer_gl0_inv
	v_cmpx_eq_u32_e32 19, v0
	s_cbranch_execz .LBB71_179
; %bb.173:
	ds_write2_b64 v1, v[66:67], v[68:69] offset1:1
	ds_write2_b64 v184, v[62:63], v[64:65] offset0:40 offset1:41
	ds_write2_b64 v184, v[58:59], v[60:61] offset0:42 offset1:43
	;; [unrolled: 1-line block ×16, first 2 shown]
	ds_read2_b64 v[146:149], v1 offset1:1
	s_waitcnt lgkmcnt(0)
	v_cmp_neq_f64_e32 vcc_lo, 0, v[146:147]
	v_cmp_neq_f64_e64 s1, 0, v[148:149]
	s_or_b32 s1, vcc_lo, s1
	s_and_b32 exec_lo, exec_lo, s1
	s_cbranch_execz .LBB71_179
; %bb.174:
	v_cmp_ngt_f64_e64 s1, |v[146:147]|, |v[148:149]|
                                        ; implicit-def: $vgpr150_vgpr151
	s_and_saveexec_b32 s3, s1
	s_xor_b32 s1, exec_lo, s3
                                        ; implicit-def: $vgpr152_vgpr153
	s_cbranch_execz .LBB71_176
; %bb.175:
	v_div_scale_f64 v[150:151], null, v[148:149], v[148:149], v[146:147]
	v_div_scale_f64 v[156:157], vcc_lo, v[146:147], v[148:149], v[146:147]
	v_rcp_f64_e32 v[152:153], v[150:151]
	v_fma_f64 v[154:155], -v[150:151], v[152:153], 1.0
	v_fma_f64 v[152:153], v[152:153], v[154:155], v[152:153]
	v_fma_f64 v[154:155], -v[150:151], v[152:153], 1.0
	v_fma_f64 v[152:153], v[152:153], v[154:155], v[152:153]
	v_mul_f64 v[154:155], v[156:157], v[152:153]
	v_fma_f64 v[150:151], -v[150:151], v[154:155], v[156:157]
	v_div_fmas_f64 v[150:151], v[150:151], v[152:153], v[154:155]
	v_div_fixup_f64 v[150:151], v[150:151], v[148:149], v[146:147]
	v_fma_f64 v[146:147], v[146:147], v[150:151], v[148:149]
	v_div_scale_f64 v[148:149], null, v[146:147], v[146:147], 1.0
	v_rcp_f64_e32 v[152:153], v[148:149]
	v_fma_f64 v[154:155], -v[148:149], v[152:153], 1.0
	v_fma_f64 v[152:153], v[152:153], v[154:155], v[152:153]
	v_fma_f64 v[154:155], -v[148:149], v[152:153], 1.0
	v_fma_f64 v[152:153], v[152:153], v[154:155], v[152:153]
	v_div_scale_f64 v[154:155], vcc_lo, 1.0, v[146:147], 1.0
	v_mul_f64 v[156:157], v[154:155], v[152:153]
	v_fma_f64 v[148:149], -v[148:149], v[156:157], v[154:155]
	v_div_fmas_f64 v[148:149], v[148:149], v[152:153], v[156:157]
	v_div_fixup_f64 v[152:153], v[148:149], v[146:147], 1.0
                                        ; implicit-def: $vgpr146_vgpr147
	v_mul_f64 v[150:151], v[150:151], v[152:153]
	v_xor_b32_e32 v153, 0x80000000, v153
.LBB71_176:
	s_andn2_saveexec_b32 s1, s1
	s_cbranch_execz .LBB71_178
; %bb.177:
	v_div_scale_f64 v[150:151], null, v[146:147], v[146:147], v[148:149]
	v_div_scale_f64 v[156:157], vcc_lo, v[148:149], v[146:147], v[148:149]
	v_rcp_f64_e32 v[152:153], v[150:151]
	v_fma_f64 v[154:155], -v[150:151], v[152:153], 1.0
	v_fma_f64 v[152:153], v[152:153], v[154:155], v[152:153]
	v_fma_f64 v[154:155], -v[150:151], v[152:153], 1.0
	v_fma_f64 v[152:153], v[152:153], v[154:155], v[152:153]
	v_mul_f64 v[154:155], v[156:157], v[152:153]
	v_fma_f64 v[150:151], -v[150:151], v[154:155], v[156:157]
	v_div_fmas_f64 v[150:151], v[150:151], v[152:153], v[154:155]
	v_div_fixup_f64 v[152:153], v[150:151], v[146:147], v[148:149]
	v_fma_f64 v[146:147], v[148:149], v[152:153], v[146:147]
	v_div_scale_f64 v[148:149], null, v[146:147], v[146:147], 1.0
	v_rcp_f64_e32 v[150:151], v[148:149]
	v_fma_f64 v[154:155], -v[148:149], v[150:151], 1.0
	v_fma_f64 v[150:151], v[150:151], v[154:155], v[150:151]
	v_fma_f64 v[154:155], -v[148:149], v[150:151], 1.0
	v_fma_f64 v[150:151], v[150:151], v[154:155], v[150:151]
	v_div_scale_f64 v[154:155], vcc_lo, 1.0, v[146:147], 1.0
	v_mul_f64 v[156:157], v[154:155], v[150:151]
	v_fma_f64 v[148:149], -v[148:149], v[156:157], v[154:155]
	v_div_fmas_f64 v[148:149], v[148:149], v[150:151], v[156:157]
	v_div_fixup_f64 v[150:151], v[148:149], v[146:147], 1.0
	v_mul_f64 v[152:153], v[152:153], -v[150:151]
.LBB71_178:
	s_or_b32 exec_lo, exec_lo, s1
	ds_write2_b64 v1, v[150:151], v[152:153] offset1:1
.LBB71_179:
	s_or_b32 exec_lo, exec_lo, s2
	s_waitcnt lgkmcnt(0)
	s_barrier
	buffer_gl0_inv
	ds_read2_b64 v[146:149], v1 offset1:1
	s_mov_b32 s1, exec_lo
	s_waitcnt lgkmcnt(0)
	buffer_store_dword v146, off, s[16:19], 0 offset:320 ; 4-byte Folded Spill
	buffer_store_dword v147, off, s[16:19], 0 offset:324 ; 4-byte Folded Spill
	;; [unrolled: 1-line block ×4, first 2 shown]
	v_cmpx_lt_u32_e32 19, v0
	s_cbranch_execz .LBB71_181
; %bb.180:
	s_clause 0x3
	buffer_load_dword v148, off, s[16:19], 0 offset:320
	buffer_load_dword v149, off, s[16:19], 0 offset:324
	buffer_load_dword v150, off, s[16:19], 0 offset:328
	buffer_load_dword v151, off, s[16:19], 0 offset:332
	s_waitcnt vmcnt(2)
	v_mul_f64 v[146:147], v[148:149], v[68:69]
	s_waitcnt vmcnt(0)
	v_mul_f64 v[68:69], v[150:151], v[68:69]
	v_fma_f64 v[146:147], v[150:151], v[66:67], v[146:147]
	v_fma_f64 v[66:67], v[148:149], v[66:67], -v[68:69]
	ds_read2_b64 v[148:151], v184 offset0:40 offset1:41
	s_waitcnt lgkmcnt(0)
	v_mul_f64 v[68:69], v[150:151], v[146:147]
	v_fma_f64 v[68:69], v[148:149], v[66:67], -v[68:69]
	v_mul_f64 v[148:149], v[148:149], v[146:147]
	v_add_f64 v[62:63], v[62:63], -v[68:69]
	v_fma_f64 v[148:149], v[150:151], v[66:67], v[148:149]
	v_add_f64 v[64:65], v[64:65], -v[148:149]
	ds_read2_b64 v[148:151], v184 offset0:42 offset1:43
	s_waitcnt lgkmcnt(0)
	v_mul_f64 v[68:69], v[150:151], v[146:147]
	v_fma_f64 v[68:69], v[148:149], v[66:67], -v[68:69]
	v_mul_f64 v[148:149], v[148:149], v[146:147]
	v_add_f64 v[58:59], v[58:59], -v[68:69]
	v_fma_f64 v[148:149], v[150:151], v[66:67], v[148:149]
	v_add_f64 v[60:61], v[60:61], -v[148:149]
	ds_read2_b64 v[148:151], v184 offset0:44 offset1:45
	s_waitcnt lgkmcnt(0)
	v_mul_f64 v[68:69], v[150:151], v[146:147]
	v_fma_f64 v[68:69], v[148:149], v[66:67], -v[68:69]
	v_mul_f64 v[148:149], v[148:149], v[146:147]
	v_add_f64 v[54:55], v[54:55], -v[68:69]
	v_fma_f64 v[148:149], v[150:151], v[66:67], v[148:149]
	v_add_f64 v[56:57], v[56:57], -v[148:149]
	ds_read2_b64 v[148:151], v184 offset0:46 offset1:47
	s_waitcnt lgkmcnt(0)
	v_mul_f64 v[68:69], v[150:151], v[146:147]
	v_fma_f64 v[68:69], v[148:149], v[66:67], -v[68:69]
	v_mul_f64 v[148:149], v[148:149], v[146:147]
	v_add_f64 v[50:51], v[50:51], -v[68:69]
	v_fma_f64 v[148:149], v[150:151], v[66:67], v[148:149]
	v_add_f64 v[52:53], v[52:53], -v[148:149]
	ds_read2_b64 v[148:151], v184 offset0:48 offset1:49
	s_waitcnt lgkmcnt(0)
	v_mul_f64 v[68:69], v[150:151], v[146:147]
	v_fma_f64 v[68:69], v[148:149], v[66:67], -v[68:69]
	v_mul_f64 v[148:149], v[148:149], v[146:147]
	v_add_f64 v[46:47], v[46:47], -v[68:69]
	v_fma_f64 v[148:149], v[150:151], v[66:67], v[148:149]
	v_add_f64 v[48:49], v[48:49], -v[148:149]
	ds_read2_b64 v[148:151], v184 offset0:50 offset1:51
	s_waitcnt lgkmcnt(0)
	v_mul_f64 v[68:69], v[150:151], v[146:147]
	v_fma_f64 v[68:69], v[148:149], v[66:67], -v[68:69]
	v_mul_f64 v[148:149], v[148:149], v[146:147]
	v_add_f64 v[42:43], v[42:43], -v[68:69]
	v_fma_f64 v[148:149], v[150:151], v[66:67], v[148:149]
	v_add_f64 v[44:45], v[44:45], -v[148:149]
	ds_read2_b64 v[148:151], v184 offset0:52 offset1:53
	s_waitcnt lgkmcnt(0)
	v_mul_f64 v[68:69], v[150:151], v[146:147]
	v_fma_f64 v[68:69], v[148:149], v[66:67], -v[68:69]
	v_mul_f64 v[148:149], v[148:149], v[146:147]
	v_add_f64 v[38:39], v[38:39], -v[68:69]
	v_fma_f64 v[148:149], v[150:151], v[66:67], v[148:149]
	v_add_f64 v[40:41], v[40:41], -v[148:149]
	ds_read2_b64 v[148:151], v184 offset0:54 offset1:55
	s_waitcnt lgkmcnt(0)
	v_mul_f64 v[68:69], v[150:151], v[146:147]
	v_fma_f64 v[68:69], v[148:149], v[66:67], -v[68:69]
	v_mul_f64 v[148:149], v[148:149], v[146:147]
	v_add_f64 v[34:35], v[34:35], -v[68:69]
	v_fma_f64 v[148:149], v[150:151], v[66:67], v[148:149]
	v_add_f64 v[36:37], v[36:37], -v[148:149]
	ds_read2_b64 v[148:151], v184 offset0:56 offset1:57
	s_waitcnt lgkmcnt(0)
	v_mul_f64 v[68:69], v[150:151], v[146:147]
	v_fma_f64 v[68:69], v[148:149], v[66:67], -v[68:69]
	v_mul_f64 v[148:149], v[148:149], v[146:147]
	v_add_f64 v[30:31], v[30:31], -v[68:69]
	v_fma_f64 v[148:149], v[150:151], v[66:67], v[148:149]
	v_add_f64 v[32:33], v[32:33], -v[148:149]
	ds_read2_b64 v[148:151], v184 offset0:58 offset1:59
	s_waitcnt lgkmcnt(0)
	v_mul_f64 v[68:69], v[150:151], v[146:147]
	v_fma_f64 v[68:69], v[148:149], v[66:67], -v[68:69]
	v_mul_f64 v[148:149], v[148:149], v[146:147]
	v_add_f64 v[26:27], v[26:27], -v[68:69]
	v_fma_f64 v[148:149], v[150:151], v[66:67], v[148:149]
	v_add_f64 v[28:29], v[28:29], -v[148:149]
	ds_read2_b64 v[148:151], v184 offset0:60 offset1:61
	s_waitcnt lgkmcnt(0)
	v_mul_f64 v[68:69], v[150:151], v[146:147]
	v_fma_f64 v[68:69], v[148:149], v[66:67], -v[68:69]
	v_mul_f64 v[148:149], v[148:149], v[146:147]
	v_add_f64 v[22:23], v[22:23], -v[68:69]
	v_fma_f64 v[148:149], v[150:151], v[66:67], v[148:149]
	v_add_f64 v[24:25], v[24:25], -v[148:149]
	ds_read2_b64 v[148:151], v184 offset0:62 offset1:63
	s_waitcnt lgkmcnt(0)
	v_mul_f64 v[68:69], v[150:151], v[146:147]
	v_fma_f64 v[68:69], v[148:149], v[66:67], -v[68:69]
	v_mul_f64 v[148:149], v[148:149], v[146:147]
	v_add_f64 v[18:19], v[18:19], -v[68:69]
	v_fma_f64 v[148:149], v[150:151], v[66:67], v[148:149]
	v_add_f64 v[20:21], v[20:21], -v[148:149]
	ds_read2_b64 v[148:151], v184 offset0:64 offset1:65
	s_waitcnt lgkmcnt(0)
	v_mul_f64 v[68:69], v[150:151], v[146:147]
	v_fma_f64 v[68:69], v[148:149], v[66:67], -v[68:69]
	v_mul_f64 v[148:149], v[148:149], v[146:147]
	v_add_f64 v[14:15], v[14:15], -v[68:69]
	v_fma_f64 v[148:149], v[150:151], v[66:67], v[148:149]
	v_add_f64 v[16:17], v[16:17], -v[148:149]
	ds_read2_b64 v[148:151], v184 offset0:66 offset1:67
	s_waitcnt lgkmcnt(0)
	v_mul_f64 v[68:69], v[150:151], v[146:147]
	v_fma_f64 v[68:69], v[148:149], v[66:67], -v[68:69]
	v_mul_f64 v[148:149], v[148:149], v[146:147]
	v_add_f64 v[10:11], v[10:11], -v[68:69]
	v_fma_f64 v[148:149], v[150:151], v[66:67], v[148:149]
	v_add_f64 v[12:13], v[12:13], -v[148:149]
	ds_read2_b64 v[148:151], v184 offset0:68 offset1:69
	s_waitcnt lgkmcnt(0)
	v_mul_f64 v[68:69], v[150:151], v[146:147]
	v_fma_f64 v[68:69], v[148:149], v[66:67], -v[68:69]
	v_mul_f64 v[148:149], v[148:149], v[146:147]
	v_add_f64 v[6:7], v[6:7], -v[68:69]
	v_fma_f64 v[148:149], v[150:151], v[66:67], v[148:149]
	v_add_f64 v[8:9], v[8:9], -v[148:149]
	ds_read2_b64 v[148:151], v184 offset0:70 offset1:71
	s_waitcnt lgkmcnt(0)
	v_mul_f64 v[68:69], v[150:151], v[146:147]
	v_fma_f64 v[68:69], v[148:149], v[66:67], -v[68:69]
	v_mul_f64 v[148:149], v[148:149], v[146:147]
	v_add_f64 v[2:3], v[2:3], -v[68:69]
	v_fma_f64 v[148:149], v[150:151], v[66:67], v[148:149]
	v_mov_b32_e32 v68, v146
	v_mov_b32_e32 v69, v147
	v_add_f64 v[4:5], v[4:5], -v[148:149]
.LBB71_181:
	s_or_b32 exec_lo, exec_lo, s1
	s_mov_b32 s2, exec_lo
	s_waitcnt_vscnt null, 0x0
	s_barrier
	buffer_gl0_inv
	v_cmpx_eq_u32_e32 20, v0
	s_cbranch_execz .LBB71_188
; %bb.182:
	ds_write2_b64 v1, v[62:63], v[64:65] offset1:1
	ds_write2_b64 v184, v[58:59], v[60:61] offset0:42 offset1:43
	ds_write2_b64 v184, v[54:55], v[56:57] offset0:44 offset1:45
	;; [unrolled: 1-line block ×15, first 2 shown]
	ds_read2_b64 v[146:149], v1 offset1:1
	s_waitcnt lgkmcnt(0)
	v_cmp_neq_f64_e32 vcc_lo, 0, v[146:147]
	v_cmp_neq_f64_e64 s1, 0, v[148:149]
	s_or_b32 s1, vcc_lo, s1
	s_and_b32 exec_lo, exec_lo, s1
	s_cbranch_execz .LBB71_188
; %bb.183:
	v_cmp_ngt_f64_e64 s1, |v[146:147]|, |v[148:149]|
                                        ; implicit-def: $vgpr150_vgpr151
	s_and_saveexec_b32 s3, s1
	s_xor_b32 s1, exec_lo, s3
                                        ; implicit-def: $vgpr152_vgpr153
	s_cbranch_execz .LBB71_185
; %bb.184:
	v_div_scale_f64 v[150:151], null, v[148:149], v[148:149], v[146:147]
	v_div_scale_f64 v[156:157], vcc_lo, v[146:147], v[148:149], v[146:147]
	v_rcp_f64_e32 v[152:153], v[150:151]
	v_fma_f64 v[154:155], -v[150:151], v[152:153], 1.0
	v_fma_f64 v[152:153], v[152:153], v[154:155], v[152:153]
	v_fma_f64 v[154:155], -v[150:151], v[152:153], 1.0
	v_fma_f64 v[152:153], v[152:153], v[154:155], v[152:153]
	v_mul_f64 v[154:155], v[156:157], v[152:153]
	v_fma_f64 v[150:151], -v[150:151], v[154:155], v[156:157]
	v_div_fmas_f64 v[150:151], v[150:151], v[152:153], v[154:155]
	v_div_fixup_f64 v[150:151], v[150:151], v[148:149], v[146:147]
	v_fma_f64 v[146:147], v[146:147], v[150:151], v[148:149]
	v_div_scale_f64 v[148:149], null, v[146:147], v[146:147], 1.0
	v_rcp_f64_e32 v[152:153], v[148:149]
	v_fma_f64 v[154:155], -v[148:149], v[152:153], 1.0
	v_fma_f64 v[152:153], v[152:153], v[154:155], v[152:153]
	v_fma_f64 v[154:155], -v[148:149], v[152:153], 1.0
	v_fma_f64 v[152:153], v[152:153], v[154:155], v[152:153]
	v_div_scale_f64 v[154:155], vcc_lo, 1.0, v[146:147], 1.0
	v_mul_f64 v[156:157], v[154:155], v[152:153]
	v_fma_f64 v[148:149], -v[148:149], v[156:157], v[154:155]
	v_div_fmas_f64 v[148:149], v[148:149], v[152:153], v[156:157]
	v_div_fixup_f64 v[152:153], v[148:149], v[146:147], 1.0
                                        ; implicit-def: $vgpr146_vgpr147
	v_mul_f64 v[150:151], v[150:151], v[152:153]
	v_xor_b32_e32 v153, 0x80000000, v153
.LBB71_185:
	s_andn2_saveexec_b32 s1, s1
	s_cbranch_execz .LBB71_187
; %bb.186:
	v_div_scale_f64 v[150:151], null, v[146:147], v[146:147], v[148:149]
	v_div_scale_f64 v[156:157], vcc_lo, v[148:149], v[146:147], v[148:149]
	v_rcp_f64_e32 v[152:153], v[150:151]
	v_fma_f64 v[154:155], -v[150:151], v[152:153], 1.0
	v_fma_f64 v[152:153], v[152:153], v[154:155], v[152:153]
	v_fma_f64 v[154:155], -v[150:151], v[152:153], 1.0
	v_fma_f64 v[152:153], v[152:153], v[154:155], v[152:153]
	v_mul_f64 v[154:155], v[156:157], v[152:153]
	v_fma_f64 v[150:151], -v[150:151], v[154:155], v[156:157]
	v_div_fmas_f64 v[150:151], v[150:151], v[152:153], v[154:155]
	v_div_fixup_f64 v[152:153], v[150:151], v[146:147], v[148:149]
	v_fma_f64 v[146:147], v[148:149], v[152:153], v[146:147]
	v_div_scale_f64 v[148:149], null, v[146:147], v[146:147], 1.0
	v_rcp_f64_e32 v[150:151], v[148:149]
	v_fma_f64 v[154:155], -v[148:149], v[150:151], 1.0
	v_fma_f64 v[150:151], v[150:151], v[154:155], v[150:151]
	v_fma_f64 v[154:155], -v[148:149], v[150:151], 1.0
	v_fma_f64 v[150:151], v[150:151], v[154:155], v[150:151]
	v_div_scale_f64 v[154:155], vcc_lo, 1.0, v[146:147], 1.0
	v_mul_f64 v[156:157], v[154:155], v[150:151]
	v_fma_f64 v[148:149], -v[148:149], v[156:157], v[154:155]
	v_div_fmas_f64 v[148:149], v[148:149], v[150:151], v[156:157]
	v_div_fixup_f64 v[150:151], v[148:149], v[146:147], 1.0
	v_mul_f64 v[152:153], v[152:153], -v[150:151]
.LBB71_187:
	s_or_b32 exec_lo, exec_lo, s1
	ds_write2_b64 v1, v[150:151], v[152:153] offset1:1
.LBB71_188:
	s_or_b32 exec_lo, exec_lo, s2
	s_waitcnt lgkmcnt(0)
	s_barrier
	buffer_gl0_inv
	ds_read2_b64 v[146:149], v1 offset1:1
	s_mov_b32 s1, exec_lo
	s_waitcnt lgkmcnt(0)
	buffer_store_dword v146, off, s[16:19], 0 offset:336 ; 4-byte Folded Spill
	buffer_store_dword v147, off, s[16:19], 0 offset:340 ; 4-byte Folded Spill
	;; [unrolled: 1-line block ×4, first 2 shown]
	v_cmpx_lt_u32_e32 20, v0
	s_cbranch_execz .LBB71_190
; %bb.189:
	s_clause 0x3
	buffer_load_dword v148, off, s[16:19], 0 offset:336
	buffer_load_dword v149, off, s[16:19], 0 offset:340
	;; [unrolled: 1-line block ×4, first 2 shown]
	s_waitcnt vmcnt(2)
	v_mul_f64 v[146:147], v[148:149], v[64:65]
	s_waitcnt vmcnt(0)
	v_mul_f64 v[64:65], v[150:151], v[64:65]
	v_fma_f64 v[146:147], v[150:151], v[62:63], v[146:147]
	v_fma_f64 v[62:63], v[148:149], v[62:63], -v[64:65]
	ds_read2_b64 v[148:151], v184 offset0:42 offset1:43
	s_waitcnt lgkmcnt(0)
	v_mul_f64 v[64:65], v[150:151], v[146:147]
	v_fma_f64 v[64:65], v[148:149], v[62:63], -v[64:65]
	v_mul_f64 v[148:149], v[148:149], v[146:147]
	v_add_f64 v[58:59], v[58:59], -v[64:65]
	v_fma_f64 v[148:149], v[150:151], v[62:63], v[148:149]
	v_add_f64 v[60:61], v[60:61], -v[148:149]
	ds_read2_b64 v[148:151], v184 offset0:44 offset1:45
	s_waitcnt lgkmcnt(0)
	v_mul_f64 v[64:65], v[150:151], v[146:147]
	v_fma_f64 v[64:65], v[148:149], v[62:63], -v[64:65]
	v_mul_f64 v[148:149], v[148:149], v[146:147]
	v_add_f64 v[54:55], v[54:55], -v[64:65]
	v_fma_f64 v[148:149], v[150:151], v[62:63], v[148:149]
	v_add_f64 v[56:57], v[56:57], -v[148:149]
	;; [unrolled: 8-line block ×14, first 2 shown]
	ds_read2_b64 v[148:151], v184 offset0:70 offset1:71
	s_waitcnt lgkmcnt(0)
	v_mul_f64 v[64:65], v[150:151], v[146:147]
	v_fma_f64 v[64:65], v[148:149], v[62:63], -v[64:65]
	v_mul_f64 v[148:149], v[148:149], v[146:147]
	v_add_f64 v[2:3], v[2:3], -v[64:65]
	v_fma_f64 v[148:149], v[150:151], v[62:63], v[148:149]
	v_mov_b32_e32 v64, v146
	v_mov_b32_e32 v65, v147
	v_add_f64 v[4:5], v[4:5], -v[148:149]
.LBB71_190:
	s_or_b32 exec_lo, exec_lo, s1
	s_mov_b32 s2, exec_lo
	s_waitcnt_vscnt null, 0x0
	s_barrier
	buffer_gl0_inv
	v_cmpx_eq_u32_e32 21, v0
	s_cbranch_execz .LBB71_197
; %bb.191:
	ds_write2_b64 v1, v[58:59], v[60:61] offset1:1
	ds_write2_b64 v184, v[54:55], v[56:57] offset0:44 offset1:45
	ds_write2_b64 v184, v[50:51], v[52:53] offset0:46 offset1:47
	;; [unrolled: 1-line block ×14, first 2 shown]
	ds_read2_b64 v[146:149], v1 offset1:1
	s_waitcnt lgkmcnt(0)
	v_cmp_neq_f64_e32 vcc_lo, 0, v[146:147]
	v_cmp_neq_f64_e64 s1, 0, v[148:149]
	s_or_b32 s1, vcc_lo, s1
	s_and_b32 exec_lo, exec_lo, s1
	s_cbranch_execz .LBB71_197
; %bb.192:
	v_cmp_ngt_f64_e64 s1, |v[146:147]|, |v[148:149]|
                                        ; implicit-def: $vgpr150_vgpr151
	s_and_saveexec_b32 s3, s1
	s_xor_b32 s1, exec_lo, s3
                                        ; implicit-def: $vgpr152_vgpr153
	s_cbranch_execz .LBB71_194
; %bb.193:
	v_div_scale_f64 v[150:151], null, v[148:149], v[148:149], v[146:147]
	v_div_scale_f64 v[156:157], vcc_lo, v[146:147], v[148:149], v[146:147]
	v_rcp_f64_e32 v[152:153], v[150:151]
	v_fma_f64 v[154:155], -v[150:151], v[152:153], 1.0
	v_fma_f64 v[152:153], v[152:153], v[154:155], v[152:153]
	v_fma_f64 v[154:155], -v[150:151], v[152:153], 1.0
	v_fma_f64 v[152:153], v[152:153], v[154:155], v[152:153]
	v_mul_f64 v[154:155], v[156:157], v[152:153]
	v_fma_f64 v[150:151], -v[150:151], v[154:155], v[156:157]
	v_div_fmas_f64 v[150:151], v[150:151], v[152:153], v[154:155]
	v_div_fixup_f64 v[150:151], v[150:151], v[148:149], v[146:147]
	v_fma_f64 v[146:147], v[146:147], v[150:151], v[148:149]
	v_div_scale_f64 v[148:149], null, v[146:147], v[146:147], 1.0
	v_rcp_f64_e32 v[152:153], v[148:149]
	v_fma_f64 v[154:155], -v[148:149], v[152:153], 1.0
	v_fma_f64 v[152:153], v[152:153], v[154:155], v[152:153]
	v_fma_f64 v[154:155], -v[148:149], v[152:153], 1.0
	v_fma_f64 v[152:153], v[152:153], v[154:155], v[152:153]
	v_div_scale_f64 v[154:155], vcc_lo, 1.0, v[146:147], 1.0
	v_mul_f64 v[156:157], v[154:155], v[152:153]
	v_fma_f64 v[148:149], -v[148:149], v[156:157], v[154:155]
	v_div_fmas_f64 v[148:149], v[148:149], v[152:153], v[156:157]
	v_div_fixup_f64 v[152:153], v[148:149], v[146:147], 1.0
                                        ; implicit-def: $vgpr146_vgpr147
	v_mul_f64 v[150:151], v[150:151], v[152:153]
	v_xor_b32_e32 v153, 0x80000000, v153
.LBB71_194:
	s_andn2_saveexec_b32 s1, s1
	s_cbranch_execz .LBB71_196
; %bb.195:
	v_div_scale_f64 v[150:151], null, v[146:147], v[146:147], v[148:149]
	v_div_scale_f64 v[156:157], vcc_lo, v[148:149], v[146:147], v[148:149]
	v_rcp_f64_e32 v[152:153], v[150:151]
	v_fma_f64 v[154:155], -v[150:151], v[152:153], 1.0
	v_fma_f64 v[152:153], v[152:153], v[154:155], v[152:153]
	v_fma_f64 v[154:155], -v[150:151], v[152:153], 1.0
	v_fma_f64 v[152:153], v[152:153], v[154:155], v[152:153]
	v_mul_f64 v[154:155], v[156:157], v[152:153]
	v_fma_f64 v[150:151], -v[150:151], v[154:155], v[156:157]
	v_div_fmas_f64 v[150:151], v[150:151], v[152:153], v[154:155]
	v_div_fixup_f64 v[152:153], v[150:151], v[146:147], v[148:149]
	v_fma_f64 v[146:147], v[148:149], v[152:153], v[146:147]
	v_div_scale_f64 v[148:149], null, v[146:147], v[146:147], 1.0
	v_rcp_f64_e32 v[150:151], v[148:149]
	v_fma_f64 v[154:155], -v[148:149], v[150:151], 1.0
	v_fma_f64 v[150:151], v[150:151], v[154:155], v[150:151]
	v_fma_f64 v[154:155], -v[148:149], v[150:151], 1.0
	v_fma_f64 v[150:151], v[150:151], v[154:155], v[150:151]
	v_div_scale_f64 v[154:155], vcc_lo, 1.0, v[146:147], 1.0
	v_mul_f64 v[156:157], v[154:155], v[150:151]
	v_fma_f64 v[148:149], -v[148:149], v[156:157], v[154:155]
	v_div_fmas_f64 v[148:149], v[148:149], v[150:151], v[156:157]
	v_div_fixup_f64 v[150:151], v[148:149], v[146:147], 1.0
	v_mul_f64 v[152:153], v[152:153], -v[150:151]
.LBB71_196:
	s_or_b32 exec_lo, exec_lo, s1
	ds_write2_b64 v1, v[150:151], v[152:153] offset1:1
.LBB71_197:
	s_or_b32 exec_lo, exec_lo, s2
	s_waitcnt lgkmcnt(0)
	s_barrier
	buffer_gl0_inv
	ds_read2_b64 v[146:149], v1 offset1:1
	s_mov_b32 s1, exec_lo
	s_waitcnt lgkmcnt(0)
	buffer_store_dword v146, off, s[16:19], 0 offset:352 ; 4-byte Folded Spill
	buffer_store_dword v147, off, s[16:19], 0 offset:356 ; 4-byte Folded Spill
	;; [unrolled: 1-line block ×4, first 2 shown]
	v_cmpx_lt_u32_e32 21, v0
	s_cbranch_execz .LBB71_199
; %bb.198:
	s_clause 0x3
	buffer_load_dword v148, off, s[16:19], 0 offset:352
	buffer_load_dword v149, off, s[16:19], 0 offset:356
	;; [unrolled: 1-line block ×4, first 2 shown]
	s_waitcnt vmcnt(2)
	v_mul_f64 v[146:147], v[148:149], v[60:61]
	s_waitcnt vmcnt(0)
	v_mul_f64 v[60:61], v[150:151], v[60:61]
	v_fma_f64 v[146:147], v[150:151], v[58:59], v[146:147]
	v_fma_f64 v[58:59], v[148:149], v[58:59], -v[60:61]
	ds_read2_b64 v[148:151], v184 offset0:44 offset1:45
	s_waitcnt lgkmcnt(0)
	v_mul_f64 v[60:61], v[150:151], v[146:147]
	v_fma_f64 v[60:61], v[148:149], v[58:59], -v[60:61]
	v_mul_f64 v[148:149], v[148:149], v[146:147]
	v_add_f64 v[54:55], v[54:55], -v[60:61]
	v_fma_f64 v[148:149], v[150:151], v[58:59], v[148:149]
	v_add_f64 v[56:57], v[56:57], -v[148:149]
	ds_read2_b64 v[148:151], v184 offset0:46 offset1:47
	s_waitcnt lgkmcnt(0)
	v_mul_f64 v[60:61], v[150:151], v[146:147]
	v_fma_f64 v[60:61], v[148:149], v[58:59], -v[60:61]
	v_mul_f64 v[148:149], v[148:149], v[146:147]
	v_add_f64 v[50:51], v[50:51], -v[60:61]
	v_fma_f64 v[148:149], v[150:151], v[58:59], v[148:149]
	v_add_f64 v[52:53], v[52:53], -v[148:149]
	;; [unrolled: 8-line block ×13, first 2 shown]
	ds_read2_b64 v[148:151], v184 offset0:70 offset1:71
	s_waitcnt lgkmcnt(0)
	v_mul_f64 v[60:61], v[150:151], v[146:147]
	v_fma_f64 v[60:61], v[148:149], v[58:59], -v[60:61]
	v_mul_f64 v[148:149], v[148:149], v[146:147]
	v_add_f64 v[2:3], v[2:3], -v[60:61]
	v_fma_f64 v[148:149], v[150:151], v[58:59], v[148:149]
	v_mov_b32_e32 v60, v146
	v_mov_b32_e32 v61, v147
	v_add_f64 v[4:5], v[4:5], -v[148:149]
.LBB71_199:
	s_or_b32 exec_lo, exec_lo, s1
	s_mov_b32 s2, exec_lo
	s_waitcnt_vscnt null, 0x0
	s_barrier
	buffer_gl0_inv
	v_cmpx_eq_u32_e32 22, v0
	s_cbranch_execz .LBB71_206
; %bb.200:
	ds_write2_b64 v1, v[54:55], v[56:57] offset1:1
	ds_write2_b64 v184, v[50:51], v[52:53] offset0:46 offset1:47
	ds_write2_b64 v184, v[46:47], v[48:49] offset0:48 offset1:49
	;; [unrolled: 1-line block ×13, first 2 shown]
	ds_read2_b64 v[146:149], v1 offset1:1
	s_waitcnt lgkmcnt(0)
	v_cmp_neq_f64_e32 vcc_lo, 0, v[146:147]
	v_cmp_neq_f64_e64 s1, 0, v[148:149]
	s_or_b32 s1, vcc_lo, s1
	s_and_b32 exec_lo, exec_lo, s1
	s_cbranch_execz .LBB71_206
; %bb.201:
	v_cmp_ngt_f64_e64 s1, |v[146:147]|, |v[148:149]|
                                        ; implicit-def: $vgpr150_vgpr151
	s_and_saveexec_b32 s3, s1
	s_xor_b32 s1, exec_lo, s3
                                        ; implicit-def: $vgpr152_vgpr153
	s_cbranch_execz .LBB71_203
; %bb.202:
	v_div_scale_f64 v[150:151], null, v[148:149], v[148:149], v[146:147]
	v_div_scale_f64 v[156:157], vcc_lo, v[146:147], v[148:149], v[146:147]
	v_rcp_f64_e32 v[152:153], v[150:151]
	v_fma_f64 v[154:155], -v[150:151], v[152:153], 1.0
	v_fma_f64 v[152:153], v[152:153], v[154:155], v[152:153]
	v_fma_f64 v[154:155], -v[150:151], v[152:153], 1.0
	v_fma_f64 v[152:153], v[152:153], v[154:155], v[152:153]
	v_mul_f64 v[154:155], v[156:157], v[152:153]
	v_fma_f64 v[150:151], -v[150:151], v[154:155], v[156:157]
	v_div_fmas_f64 v[150:151], v[150:151], v[152:153], v[154:155]
	v_div_fixup_f64 v[150:151], v[150:151], v[148:149], v[146:147]
	v_fma_f64 v[146:147], v[146:147], v[150:151], v[148:149]
	v_div_scale_f64 v[148:149], null, v[146:147], v[146:147], 1.0
	v_rcp_f64_e32 v[152:153], v[148:149]
	v_fma_f64 v[154:155], -v[148:149], v[152:153], 1.0
	v_fma_f64 v[152:153], v[152:153], v[154:155], v[152:153]
	v_fma_f64 v[154:155], -v[148:149], v[152:153], 1.0
	v_fma_f64 v[152:153], v[152:153], v[154:155], v[152:153]
	v_div_scale_f64 v[154:155], vcc_lo, 1.0, v[146:147], 1.0
	v_mul_f64 v[156:157], v[154:155], v[152:153]
	v_fma_f64 v[148:149], -v[148:149], v[156:157], v[154:155]
	v_div_fmas_f64 v[148:149], v[148:149], v[152:153], v[156:157]
	v_div_fixup_f64 v[152:153], v[148:149], v[146:147], 1.0
                                        ; implicit-def: $vgpr146_vgpr147
	v_mul_f64 v[150:151], v[150:151], v[152:153]
	v_xor_b32_e32 v153, 0x80000000, v153
.LBB71_203:
	s_andn2_saveexec_b32 s1, s1
	s_cbranch_execz .LBB71_205
; %bb.204:
	v_div_scale_f64 v[150:151], null, v[146:147], v[146:147], v[148:149]
	v_div_scale_f64 v[156:157], vcc_lo, v[148:149], v[146:147], v[148:149]
	v_rcp_f64_e32 v[152:153], v[150:151]
	v_fma_f64 v[154:155], -v[150:151], v[152:153], 1.0
	v_fma_f64 v[152:153], v[152:153], v[154:155], v[152:153]
	v_fma_f64 v[154:155], -v[150:151], v[152:153], 1.0
	v_fma_f64 v[152:153], v[152:153], v[154:155], v[152:153]
	v_mul_f64 v[154:155], v[156:157], v[152:153]
	v_fma_f64 v[150:151], -v[150:151], v[154:155], v[156:157]
	v_div_fmas_f64 v[150:151], v[150:151], v[152:153], v[154:155]
	v_div_fixup_f64 v[152:153], v[150:151], v[146:147], v[148:149]
	v_fma_f64 v[146:147], v[148:149], v[152:153], v[146:147]
	v_div_scale_f64 v[148:149], null, v[146:147], v[146:147], 1.0
	v_rcp_f64_e32 v[150:151], v[148:149]
	v_fma_f64 v[154:155], -v[148:149], v[150:151], 1.0
	v_fma_f64 v[150:151], v[150:151], v[154:155], v[150:151]
	v_fma_f64 v[154:155], -v[148:149], v[150:151], 1.0
	v_fma_f64 v[150:151], v[150:151], v[154:155], v[150:151]
	v_div_scale_f64 v[154:155], vcc_lo, 1.0, v[146:147], 1.0
	v_mul_f64 v[156:157], v[154:155], v[150:151]
	v_fma_f64 v[148:149], -v[148:149], v[156:157], v[154:155]
	v_div_fmas_f64 v[148:149], v[148:149], v[150:151], v[156:157]
	v_div_fixup_f64 v[150:151], v[148:149], v[146:147], 1.0
	v_mul_f64 v[152:153], v[152:153], -v[150:151]
.LBB71_205:
	s_or_b32 exec_lo, exec_lo, s1
	ds_write2_b64 v1, v[150:151], v[152:153] offset1:1
.LBB71_206:
	s_or_b32 exec_lo, exec_lo, s2
	s_waitcnt lgkmcnt(0)
	s_barrier
	buffer_gl0_inv
	ds_read2_b64 v[146:149], v1 offset1:1
	s_mov_b32 s1, exec_lo
	s_waitcnt lgkmcnt(0)
	buffer_store_dword v146, off, s[16:19], 0 offset:368 ; 4-byte Folded Spill
	buffer_store_dword v147, off, s[16:19], 0 offset:372 ; 4-byte Folded Spill
	buffer_store_dword v148, off, s[16:19], 0 offset:376 ; 4-byte Folded Spill
	buffer_store_dword v149, off, s[16:19], 0 offset:380 ; 4-byte Folded Spill
	v_cmpx_lt_u32_e32 22, v0
	s_cbranch_execz .LBB71_208
; %bb.207:
	s_clause 0x3
	buffer_load_dword v148, off, s[16:19], 0 offset:368
	buffer_load_dword v149, off, s[16:19], 0 offset:372
	;; [unrolled: 1-line block ×4, first 2 shown]
	s_waitcnt vmcnt(2)
	v_mul_f64 v[146:147], v[148:149], v[56:57]
	s_waitcnt vmcnt(0)
	v_mul_f64 v[56:57], v[150:151], v[56:57]
	v_fma_f64 v[146:147], v[150:151], v[54:55], v[146:147]
	v_fma_f64 v[54:55], v[148:149], v[54:55], -v[56:57]
	ds_read2_b64 v[148:151], v184 offset0:46 offset1:47
	s_waitcnt lgkmcnt(0)
	v_mul_f64 v[56:57], v[150:151], v[146:147]
	v_fma_f64 v[56:57], v[148:149], v[54:55], -v[56:57]
	v_mul_f64 v[148:149], v[148:149], v[146:147]
	v_add_f64 v[50:51], v[50:51], -v[56:57]
	v_fma_f64 v[148:149], v[150:151], v[54:55], v[148:149]
	v_add_f64 v[52:53], v[52:53], -v[148:149]
	ds_read2_b64 v[148:151], v184 offset0:48 offset1:49
	s_waitcnt lgkmcnt(0)
	v_mul_f64 v[56:57], v[150:151], v[146:147]
	v_fma_f64 v[56:57], v[148:149], v[54:55], -v[56:57]
	v_mul_f64 v[148:149], v[148:149], v[146:147]
	v_add_f64 v[46:47], v[46:47], -v[56:57]
	v_fma_f64 v[148:149], v[150:151], v[54:55], v[148:149]
	v_add_f64 v[48:49], v[48:49], -v[148:149]
	;; [unrolled: 8-line block ×12, first 2 shown]
	ds_read2_b64 v[148:151], v184 offset0:70 offset1:71
	s_waitcnt lgkmcnt(0)
	v_mul_f64 v[56:57], v[150:151], v[146:147]
	v_fma_f64 v[56:57], v[148:149], v[54:55], -v[56:57]
	v_mul_f64 v[148:149], v[148:149], v[146:147]
	v_add_f64 v[2:3], v[2:3], -v[56:57]
	v_fma_f64 v[148:149], v[150:151], v[54:55], v[148:149]
	v_mov_b32_e32 v56, v146
	v_mov_b32_e32 v57, v147
	v_add_f64 v[4:5], v[4:5], -v[148:149]
.LBB71_208:
	s_or_b32 exec_lo, exec_lo, s1
	s_mov_b32 s2, exec_lo
	s_waitcnt_vscnt null, 0x0
	s_barrier
	buffer_gl0_inv
	v_cmpx_eq_u32_e32 23, v0
	s_cbranch_execz .LBB71_215
; %bb.209:
	ds_write2_b64 v1, v[50:51], v[52:53] offset1:1
	ds_write2_b64 v184, v[46:47], v[48:49] offset0:48 offset1:49
	ds_write2_b64 v184, v[42:43], v[44:45] offset0:50 offset1:51
	;; [unrolled: 1-line block ×12, first 2 shown]
	ds_read2_b64 v[146:149], v1 offset1:1
	s_waitcnt lgkmcnt(0)
	v_cmp_neq_f64_e32 vcc_lo, 0, v[146:147]
	v_cmp_neq_f64_e64 s1, 0, v[148:149]
	s_or_b32 s1, vcc_lo, s1
	s_and_b32 exec_lo, exec_lo, s1
	s_cbranch_execz .LBB71_215
; %bb.210:
	v_cmp_ngt_f64_e64 s1, |v[146:147]|, |v[148:149]|
                                        ; implicit-def: $vgpr150_vgpr151
	s_and_saveexec_b32 s3, s1
	s_xor_b32 s1, exec_lo, s3
                                        ; implicit-def: $vgpr152_vgpr153
	s_cbranch_execz .LBB71_212
; %bb.211:
	v_div_scale_f64 v[150:151], null, v[148:149], v[148:149], v[146:147]
	v_div_scale_f64 v[156:157], vcc_lo, v[146:147], v[148:149], v[146:147]
	v_rcp_f64_e32 v[152:153], v[150:151]
	v_fma_f64 v[154:155], -v[150:151], v[152:153], 1.0
	v_fma_f64 v[152:153], v[152:153], v[154:155], v[152:153]
	v_fma_f64 v[154:155], -v[150:151], v[152:153], 1.0
	v_fma_f64 v[152:153], v[152:153], v[154:155], v[152:153]
	v_mul_f64 v[154:155], v[156:157], v[152:153]
	v_fma_f64 v[150:151], -v[150:151], v[154:155], v[156:157]
	v_div_fmas_f64 v[150:151], v[150:151], v[152:153], v[154:155]
	v_div_fixup_f64 v[150:151], v[150:151], v[148:149], v[146:147]
	v_fma_f64 v[146:147], v[146:147], v[150:151], v[148:149]
	v_div_scale_f64 v[148:149], null, v[146:147], v[146:147], 1.0
	v_rcp_f64_e32 v[152:153], v[148:149]
	v_fma_f64 v[154:155], -v[148:149], v[152:153], 1.0
	v_fma_f64 v[152:153], v[152:153], v[154:155], v[152:153]
	v_fma_f64 v[154:155], -v[148:149], v[152:153], 1.0
	v_fma_f64 v[152:153], v[152:153], v[154:155], v[152:153]
	v_div_scale_f64 v[154:155], vcc_lo, 1.0, v[146:147], 1.0
	v_mul_f64 v[156:157], v[154:155], v[152:153]
	v_fma_f64 v[148:149], -v[148:149], v[156:157], v[154:155]
	v_div_fmas_f64 v[148:149], v[148:149], v[152:153], v[156:157]
	v_div_fixup_f64 v[152:153], v[148:149], v[146:147], 1.0
                                        ; implicit-def: $vgpr146_vgpr147
	v_mul_f64 v[150:151], v[150:151], v[152:153]
	v_xor_b32_e32 v153, 0x80000000, v153
.LBB71_212:
	s_andn2_saveexec_b32 s1, s1
	s_cbranch_execz .LBB71_214
; %bb.213:
	v_div_scale_f64 v[150:151], null, v[146:147], v[146:147], v[148:149]
	v_div_scale_f64 v[156:157], vcc_lo, v[148:149], v[146:147], v[148:149]
	v_rcp_f64_e32 v[152:153], v[150:151]
	v_fma_f64 v[154:155], -v[150:151], v[152:153], 1.0
	v_fma_f64 v[152:153], v[152:153], v[154:155], v[152:153]
	v_fma_f64 v[154:155], -v[150:151], v[152:153], 1.0
	v_fma_f64 v[152:153], v[152:153], v[154:155], v[152:153]
	v_mul_f64 v[154:155], v[156:157], v[152:153]
	v_fma_f64 v[150:151], -v[150:151], v[154:155], v[156:157]
	v_div_fmas_f64 v[150:151], v[150:151], v[152:153], v[154:155]
	v_div_fixup_f64 v[152:153], v[150:151], v[146:147], v[148:149]
	v_fma_f64 v[146:147], v[148:149], v[152:153], v[146:147]
	v_div_scale_f64 v[148:149], null, v[146:147], v[146:147], 1.0
	v_rcp_f64_e32 v[150:151], v[148:149]
	v_fma_f64 v[154:155], -v[148:149], v[150:151], 1.0
	v_fma_f64 v[150:151], v[150:151], v[154:155], v[150:151]
	v_fma_f64 v[154:155], -v[148:149], v[150:151], 1.0
	v_fma_f64 v[150:151], v[150:151], v[154:155], v[150:151]
	v_div_scale_f64 v[154:155], vcc_lo, 1.0, v[146:147], 1.0
	v_mul_f64 v[156:157], v[154:155], v[150:151]
	v_fma_f64 v[148:149], -v[148:149], v[156:157], v[154:155]
	v_div_fmas_f64 v[148:149], v[148:149], v[150:151], v[156:157]
	v_div_fixup_f64 v[150:151], v[148:149], v[146:147], 1.0
	v_mul_f64 v[152:153], v[152:153], -v[150:151]
.LBB71_214:
	s_or_b32 exec_lo, exec_lo, s1
	ds_write2_b64 v1, v[150:151], v[152:153] offset1:1
.LBB71_215:
	s_or_b32 exec_lo, exec_lo, s2
	s_waitcnt lgkmcnt(0)
	s_barrier
	buffer_gl0_inv
	ds_read2_b64 v[146:149], v1 offset1:1
	s_mov_b32 s1, exec_lo
	s_waitcnt lgkmcnt(0)
	buffer_store_dword v146, off, s[16:19], 0 offset:384 ; 4-byte Folded Spill
	buffer_store_dword v147, off, s[16:19], 0 offset:388 ; 4-byte Folded Spill
	buffer_store_dword v148, off, s[16:19], 0 offset:392 ; 4-byte Folded Spill
	buffer_store_dword v149, off, s[16:19], 0 offset:396 ; 4-byte Folded Spill
	v_cmpx_lt_u32_e32 23, v0
	s_cbranch_execz .LBB71_217
; %bb.216:
	s_clause 0x3
	buffer_load_dword v152, off, s[16:19], 0 offset:384
	buffer_load_dword v153, off, s[16:19], 0 offset:388
	;; [unrolled: 1-line block ×4, first 2 shown]
	s_waitcnt vmcnt(2)
	v_mul_f64 v[146:147], v[152:153], v[52:53]
	s_waitcnt vmcnt(0)
	v_mul_f64 v[52:53], v[154:155], v[52:53]
	v_fma_f64 v[150:151], v[154:155], v[50:51], v[146:147]
	ds_read2_b64 v[146:149], v184 offset0:48 offset1:49
	v_fma_f64 v[50:51], v[152:153], v[50:51], -v[52:53]
	s_waitcnt lgkmcnt(0)
	v_mul_f64 v[52:53], v[148:149], v[150:151]
	v_fma_f64 v[52:53], v[146:147], v[50:51], -v[52:53]
	v_mul_f64 v[146:147], v[146:147], v[150:151]
	v_add_f64 v[46:47], v[46:47], -v[52:53]
	v_fma_f64 v[146:147], v[148:149], v[50:51], v[146:147]
	v_add_f64 v[48:49], v[48:49], -v[146:147]
	ds_read2_b64 v[146:149], v184 offset0:50 offset1:51
	s_waitcnt lgkmcnt(0)
	v_mul_f64 v[52:53], v[148:149], v[150:151]
	v_fma_f64 v[52:53], v[146:147], v[50:51], -v[52:53]
	v_mul_f64 v[146:147], v[146:147], v[150:151]
	v_add_f64 v[42:43], v[42:43], -v[52:53]
	v_fma_f64 v[146:147], v[148:149], v[50:51], v[146:147]
	v_add_f64 v[44:45], v[44:45], -v[146:147]
	ds_read2_b64 v[146:149], v184 offset0:52 offset1:53
	;; [unrolled: 8-line block ×11, first 2 shown]
	s_waitcnt lgkmcnt(0)
	v_mul_f64 v[52:53], v[148:149], v[150:151]
	v_fma_f64 v[52:53], v[146:147], v[50:51], -v[52:53]
	v_mul_f64 v[146:147], v[146:147], v[150:151]
	v_add_f64 v[2:3], v[2:3], -v[52:53]
	v_fma_f64 v[146:147], v[148:149], v[50:51], v[146:147]
	v_mov_b32_e32 v52, v150
	v_mov_b32_e32 v53, v151
	v_add_f64 v[4:5], v[4:5], -v[146:147]
.LBB71_217:
	s_or_b32 exec_lo, exec_lo, s1
	s_mov_b32 s2, exec_lo
	s_waitcnt_vscnt null, 0x0
	s_barrier
	buffer_gl0_inv
	v_cmpx_eq_u32_e32 24, v0
	s_cbranch_execz .LBB71_224
; %bb.218:
	ds_write2_b64 v1, v[46:47], v[48:49] offset1:1
	ds_write2_b64 v184, v[42:43], v[44:45] offset0:50 offset1:51
	ds_write2_b64 v184, v[38:39], v[40:41] offset0:52 offset1:53
	;; [unrolled: 1-line block ×11, first 2 shown]
	ds_read2_b64 v[146:149], v1 offset1:1
	s_waitcnt lgkmcnt(0)
	v_cmp_neq_f64_e32 vcc_lo, 0, v[146:147]
	v_cmp_neq_f64_e64 s1, 0, v[148:149]
	s_or_b32 s1, vcc_lo, s1
	s_and_b32 exec_lo, exec_lo, s1
	s_cbranch_execz .LBB71_224
; %bb.219:
	v_cmp_ngt_f64_e64 s1, |v[146:147]|, |v[148:149]|
                                        ; implicit-def: $vgpr150_vgpr151
	s_and_saveexec_b32 s3, s1
	s_xor_b32 s1, exec_lo, s3
                                        ; implicit-def: $vgpr152_vgpr153
	s_cbranch_execz .LBB71_221
; %bb.220:
	v_div_scale_f64 v[150:151], null, v[148:149], v[148:149], v[146:147]
	v_div_scale_f64 v[156:157], vcc_lo, v[146:147], v[148:149], v[146:147]
	v_rcp_f64_e32 v[152:153], v[150:151]
	v_fma_f64 v[154:155], -v[150:151], v[152:153], 1.0
	v_fma_f64 v[152:153], v[152:153], v[154:155], v[152:153]
	v_fma_f64 v[154:155], -v[150:151], v[152:153], 1.0
	v_fma_f64 v[152:153], v[152:153], v[154:155], v[152:153]
	v_mul_f64 v[154:155], v[156:157], v[152:153]
	v_fma_f64 v[150:151], -v[150:151], v[154:155], v[156:157]
	v_div_fmas_f64 v[150:151], v[150:151], v[152:153], v[154:155]
	v_div_fixup_f64 v[150:151], v[150:151], v[148:149], v[146:147]
	v_fma_f64 v[146:147], v[146:147], v[150:151], v[148:149]
	v_div_scale_f64 v[148:149], null, v[146:147], v[146:147], 1.0
	v_rcp_f64_e32 v[152:153], v[148:149]
	v_fma_f64 v[154:155], -v[148:149], v[152:153], 1.0
	v_fma_f64 v[152:153], v[152:153], v[154:155], v[152:153]
	v_fma_f64 v[154:155], -v[148:149], v[152:153], 1.0
	v_fma_f64 v[152:153], v[152:153], v[154:155], v[152:153]
	v_div_scale_f64 v[154:155], vcc_lo, 1.0, v[146:147], 1.0
	v_mul_f64 v[156:157], v[154:155], v[152:153]
	v_fma_f64 v[148:149], -v[148:149], v[156:157], v[154:155]
	v_div_fmas_f64 v[148:149], v[148:149], v[152:153], v[156:157]
	v_div_fixup_f64 v[152:153], v[148:149], v[146:147], 1.0
                                        ; implicit-def: $vgpr146_vgpr147
	v_mul_f64 v[150:151], v[150:151], v[152:153]
	v_xor_b32_e32 v153, 0x80000000, v153
.LBB71_221:
	s_andn2_saveexec_b32 s1, s1
	s_cbranch_execz .LBB71_223
; %bb.222:
	v_div_scale_f64 v[150:151], null, v[146:147], v[146:147], v[148:149]
	v_div_scale_f64 v[156:157], vcc_lo, v[148:149], v[146:147], v[148:149]
	v_rcp_f64_e32 v[152:153], v[150:151]
	v_fma_f64 v[154:155], -v[150:151], v[152:153], 1.0
	v_fma_f64 v[152:153], v[152:153], v[154:155], v[152:153]
	v_fma_f64 v[154:155], -v[150:151], v[152:153], 1.0
	v_fma_f64 v[152:153], v[152:153], v[154:155], v[152:153]
	v_mul_f64 v[154:155], v[156:157], v[152:153]
	v_fma_f64 v[150:151], -v[150:151], v[154:155], v[156:157]
	v_div_fmas_f64 v[150:151], v[150:151], v[152:153], v[154:155]
	v_div_fixup_f64 v[152:153], v[150:151], v[146:147], v[148:149]
	v_fma_f64 v[146:147], v[148:149], v[152:153], v[146:147]
	v_div_scale_f64 v[148:149], null, v[146:147], v[146:147], 1.0
	v_rcp_f64_e32 v[150:151], v[148:149]
	v_fma_f64 v[154:155], -v[148:149], v[150:151], 1.0
	v_fma_f64 v[150:151], v[150:151], v[154:155], v[150:151]
	v_fma_f64 v[154:155], -v[148:149], v[150:151], 1.0
	v_fma_f64 v[150:151], v[150:151], v[154:155], v[150:151]
	v_div_scale_f64 v[154:155], vcc_lo, 1.0, v[146:147], 1.0
	v_mul_f64 v[156:157], v[154:155], v[150:151]
	v_fma_f64 v[148:149], -v[148:149], v[156:157], v[154:155]
	v_div_fmas_f64 v[148:149], v[148:149], v[150:151], v[156:157]
	v_div_fixup_f64 v[150:151], v[148:149], v[146:147], 1.0
	v_mul_f64 v[152:153], v[152:153], -v[150:151]
.LBB71_223:
	s_or_b32 exec_lo, exec_lo, s1
	ds_write2_b64 v1, v[150:151], v[152:153] offset1:1
.LBB71_224:
	s_or_b32 exec_lo, exec_lo, s2
	s_waitcnt lgkmcnt(0)
	s_barrier
	buffer_gl0_inv
	ds_read2_b64 v[146:149], v1 offset1:1
	s_mov_b32 s1, exec_lo
	s_waitcnt lgkmcnt(0)
	buffer_store_dword v146, off, s[16:19], 0 offset:400 ; 4-byte Folded Spill
	buffer_store_dword v147, off, s[16:19], 0 offset:404 ; 4-byte Folded Spill
	;; [unrolled: 1-line block ×4, first 2 shown]
	v_cmpx_lt_u32_e32 24, v0
	s_cbranch_execz .LBB71_226
; %bb.225:
	s_clause 0x3
	buffer_load_dword v152, off, s[16:19], 0 offset:400
	buffer_load_dword v153, off, s[16:19], 0 offset:404
	buffer_load_dword v154, off, s[16:19], 0 offset:408
	buffer_load_dword v155, off, s[16:19], 0 offset:412
	s_waitcnt vmcnt(2)
	v_mul_f64 v[146:147], v[152:153], v[48:49]
	s_waitcnt vmcnt(0)
	v_mul_f64 v[48:49], v[154:155], v[48:49]
	v_fma_f64 v[150:151], v[154:155], v[46:47], v[146:147]
	ds_read2_b64 v[146:149], v184 offset0:50 offset1:51
	v_fma_f64 v[46:47], v[152:153], v[46:47], -v[48:49]
	s_waitcnt lgkmcnt(0)
	v_mul_f64 v[48:49], v[148:149], v[150:151]
	v_fma_f64 v[48:49], v[146:147], v[46:47], -v[48:49]
	v_mul_f64 v[146:147], v[146:147], v[150:151]
	v_add_f64 v[42:43], v[42:43], -v[48:49]
	v_fma_f64 v[146:147], v[148:149], v[46:47], v[146:147]
	v_add_f64 v[44:45], v[44:45], -v[146:147]
	ds_read2_b64 v[146:149], v184 offset0:52 offset1:53
	s_waitcnt lgkmcnt(0)
	v_mul_f64 v[48:49], v[148:149], v[150:151]
	v_fma_f64 v[48:49], v[146:147], v[46:47], -v[48:49]
	v_mul_f64 v[146:147], v[146:147], v[150:151]
	v_add_f64 v[38:39], v[38:39], -v[48:49]
	v_fma_f64 v[146:147], v[148:149], v[46:47], v[146:147]
	v_add_f64 v[40:41], v[40:41], -v[146:147]
	ds_read2_b64 v[146:149], v184 offset0:54 offset1:55
	;; [unrolled: 8-line block ×10, first 2 shown]
	s_waitcnt lgkmcnt(0)
	v_mul_f64 v[48:49], v[148:149], v[150:151]
	v_fma_f64 v[48:49], v[146:147], v[46:47], -v[48:49]
	v_mul_f64 v[146:147], v[146:147], v[150:151]
	v_add_f64 v[2:3], v[2:3], -v[48:49]
	v_fma_f64 v[146:147], v[148:149], v[46:47], v[146:147]
	v_mov_b32_e32 v48, v150
	v_mov_b32_e32 v49, v151
	v_add_f64 v[4:5], v[4:5], -v[146:147]
.LBB71_226:
	s_or_b32 exec_lo, exec_lo, s1
	s_mov_b32 s2, exec_lo
	s_waitcnt_vscnt null, 0x0
	s_barrier
	buffer_gl0_inv
	v_cmpx_eq_u32_e32 25, v0
	s_cbranch_execz .LBB71_233
; %bb.227:
	ds_write2_b64 v1, v[42:43], v[44:45] offset1:1
	ds_write2_b64 v184, v[38:39], v[40:41] offset0:52 offset1:53
	ds_write2_b64 v184, v[34:35], v[36:37] offset0:54 offset1:55
	;; [unrolled: 1-line block ×10, first 2 shown]
	ds_read2_b64 v[146:149], v1 offset1:1
	s_waitcnt lgkmcnt(0)
	v_cmp_neq_f64_e32 vcc_lo, 0, v[146:147]
	v_cmp_neq_f64_e64 s1, 0, v[148:149]
	s_or_b32 s1, vcc_lo, s1
	s_and_b32 exec_lo, exec_lo, s1
	s_cbranch_execz .LBB71_233
; %bb.228:
	v_cmp_ngt_f64_e64 s1, |v[146:147]|, |v[148:149]|
                                        ; implicit-def: $vgpr150_vgpr151
	s_and_saveexec_b32 s3, s1
	s_xor_b32 s1, exec_lo, s3
                                        ; implicit-def: $vgpr152_vgpr153
	s_cbranch_execz .LBB71_230
; %bb.229:
	v_div_scale_f64 v[150:151], null, v[148:149], v[148:149], v[146:147]
	v_div_scale_f64 v[156:157], vcc_lo, v[146:147], v[148:149], v[146:147]
	v_rcp_f64_e32 v[152:153], v[150:151]
	v_fma_f64 v[154:155], -v[150:151], v[152:153], 1.0
	v_fma_f64 v[152:153], v[152:153], v[154:155], v[152:153]
	v_fma_f64 v[154:155], -v[150:151], v[152:153], 1.0
	v_fma_f64 v[152:153], v[152:153], v[154:155], v[152:153]
	v_mul_f64 v[154:155], v[156:157], v[152:153]
	v_fma_f64 v[150:151], -v[150:151], v[154:155], v[156:157]
	v_div_fmas_f64 v[150:151], v[150:151], v[152:153], v[154:155]
	v_div_fixup_f64 v[150:151], v[150:151], v[148:149], v[146:147]
	v_fma_f64 v[146:147], v[146:147], v[150:151], v[148:149]
	v_div_scale_f64 v[148:149], null, v[146:147], v[146:147], 1.0
	v_rcp_f64_e32 v[152:153], v[148:149]
	v_fma_f64 v[154:155], -v[148:149], v[152:153], 1.0
	v_fma_f64 v[152:153], v[152:153], v[154:155], v[152:153]
	v_fma_f64 v[154:155], -v[148:149], v[152:153], 1.0
	v_fma_f64 v[152:153], v[152:153], v[154:155], v[152:153]
	v_div_scale_f64 v[154:155], vcc_lo, 1.0, v[146:147], 1.0
	v_mul_f64 v[156:157], v[154:155], v[152:153]
	v_fma_f64 v[148:149], -v[148:149], v[156:157], v[154:155]
	v_div_fmas_f64 v[148:149], v[148:149], v[152:153], v[156:157]
	v_div_fixup_f64 v[152:153], v[148:149], v[146:147], 1.0
                                        ; implicit-def: $vgpr146_vgpr147
	v_mul_f64 v[150:151], v[150:151], v[152:153]
	v_xor_b32_e32 v153, 0x80000000, v153
.LBB71_230:
	s_andn2_saveexec_b32 s1, s1
	s_cbranch_execz .LBB71_232
; %bb.231:
	v_div_scale_f64 v[150:151], null, v[146:147], v[146:147], v[148:149]
	v_div_scale_f64 v[156:157], vcc_lo, v[148:149], v[146:147], v[148:149]
	v_rcp_f64_e32 v[152:153], v[150:151]
	v_fma_f64 v[154:155], -v[150:151], v[152:153], 1.0
	v_fma_f64 v[152:153], v[152:153], v[154:155], v[152:153]
	v_fma_f64 v[154:155], -v[150:151], v[152:153], 1.0
	v_fma_f64 v[152:153], v[152:153], v[154:155], v[152:153]
	v_mul_f64 v[154:155], v[156:157], v[152:153]
	v_fma_f64 v[150:151], -v[150:151], v[154:155], v[156:157]
	v_div_fmas_f64 v[150:151], v[150:151], v[152:153], v[154:155]
	v_div_fixup_f64 v[152:153], v[150:151], v[146:147], v[148:149]
	v_fma_f64 v[146:147], v[148:149], v[152:153], v[146:147]
	v_div_scale_f64 v[148:149], null, v[146:147], v[146:147], 1.0
	v_rcp_f64_e32 v[150:151], v[148:149]
	v_fma_f64 v[154:155], -v[148:149], v[150:151], 1.0
	v_fma_f64 v[150:151], v[150:151], v[154:155], v[150:151]
	v_fma_f64 v[154:155], -v[148:149], v[150:151], 1.0
	v_fma_f64 v[150:151], v[150:151], v[154:155], v[150:151]
	v_div_scale_f64 v[154:155], vcc_lo, 1.0, v[146:147], 1.0
	v_mul_f64 v[156:157], v[154:155], v[150:151]
	v_fma_f64 v[148:149], -v[148:149], v[156:157], v[154:155]
	v_div_fmas_f64 v[148:149], v[148:149], v[150:151], v[156:157]
	v_div_fixup_f64 v[150:151], v[148:149], v[146:147], 1.0
	v_mul_f64 v[152:153], v[152:153], -v[150:151]
.LBB71_232:
	s_or_b32 exec_lo, exec_lo, s1
	ds_write2_b64 v1, v[150:151], v[152:153] offset1:1
.LBB71_233:
	s_or_b32 exec_lo, exec_lo, s2
	s_waitcnt lgkmcnt(0)
	s_barrier
	buffer_gl0_inv
	ds_read2_b64 v[146:149], v1 offset1:1
	s_mov_b32 s1, exec_lo
	s_waitcnt lgkmcnt(0)
	buffer_store_dword v146, off, s[16:19], 0 offset:416 ; 4-byte Folded Spill
	buffer_store_dword v147, off, s[16:19], 0 offset:420 ; 4-byte Folded Spill
	;; [unrolled: 1-line block ×4, first 2 shown]
	v_cmpx_lt_u32_e32 25, v0
	s_cbranch_execz .LBB71_235
; %bb.234:
	s_clause 0x3
	buffer_load_dword v152, off, s[16:19], 0 offset:416
	buffer_load_dword v153, off, s[16:19], 0 offset:420
	;; [unrolled: 1-line block ×4, first 2 shown]
	s_waitcnt vmcnt(2)
	v_mul_f64 v[146:147], v[152:153], v[44:45]
	s_waitcnt vmcnt(0)
	v_mul_f64 v[44:45], v[154:155], v[44:45]
	v_fma_f64 v[150:151], v[154:155], v[42:43], v[146:147]
	ds_read2_b64 v[146:149], v184 offset0:52 offset1:53
	v_fma_f64 v[42:43], v[152:153], v[42:43], -v[44:45]
	s_waitcnt lgkmcnt(0)
	v_mul_f64 v[44:45], v[148:149], v[150:151]
	v_fma_f64 v[44:45], v[146:147], v[42:43], -v[44:45]
	v_mul_f64 v[146:147], v[146:147], v[150:151]
	v_add_f64 v[38:39], v[38:39], -v[44:45]
	v_fma_f64 v[146:147], v[148:149], v[42:43], v[146:147]
	v_add_f64 v[40:41], v[40:41], -v[146:147]
	ds_read2_b64 v[146:149], v184 offset0:54 offset1:55
	s_waitcnt lgkmcnt(0)
	v_mul_f64 v[44:45], v[148:149], v[150:151]
	v_fma_f64 v[44:45], v[146:147], v[42:43], -v[44:45]
	v_mul_f64 v[146:147], v[146:147], v[150:151]
	v_add_f64 v[34:35], v[34:35], -v[44:45]
	v_fma_f64 v[146:147], v[148:149], v[42:43], v[146:147]
	v_add_f64 v[36:37], v[36:37], -v[146:147]
	ds_read2_b64 v[146:149], v184 offset0:56 offset1:57
	;; [unrolled: 8-line block ×9, first 2 shown]
	s_waitcnt lgkmcnt(0)
	v_mul_f64 v[44:45], v[148:149], v[150:151]
	v_fma_f64 v[44:45], v[146:147], v[42:43], -v[44:45]
	v_mul_f64 v[146:147], v[146:147], v[150:151]
	v_add_f64 v[2:3], v[2:3], -v[44:45]
	v_fma_f64 v[146:147], v[148:149], v[42:43], v[146:147]
	v_mov_b32_e32 v44, v150
	v_mov_b32_e32 v45, v151
	v_add_f64 v[4:5], v[4:5], -v[146:147]
.LBB71_235:
	s_or_b32 exec_lo, exec_lo, s1
	s_mov_b32 s2, exec_lo
	s_waitcnt_vscnt null, 0x0
	s_barrier
	buffer_gl0_inv
	v_cmpx_eq_u32_e32 26, v0
	s_cbranch_execz .LBB71_242
; %bb.236:
	ds_write2_b64 v1, v[38:39], v[40:41] offset1:1
	ds_write2_b64 v184, v[34:35], v[36:37] offset0:54 offset1:55
	ds_write2_b64 v184, v[30:31], v[32:33] offset0:56 offset1:57
	ds_write2_b64 v184, v[26:27], v[28:29] offset0:58 offset1:59
	ds_write2_b64 v184, v[22:23], v[24:25] offset0:60 offset1:61
	ds_write2_b64 v184, v[18:19], v[20:21] offset0:62 offset1:63
	ds_write2_b64 v184, v[14:15], v[16:17] offset0:64 offset1:65
	ds_write2_b64 v184, v[10:11], v[12:13] offset0:66 offset1:67
	ds_write2_b64 v184, v[6:7], v[8:9] offset0:68 offset1:69
	ds_write2_b64 v184, v[2:3], v[4:5] offset0:70 offset1:71
	ds_read2_b64 v[146:149], v1 offset1:1
	s_waitcnt lgkmcnt(0)
	v_cmp_neq_f64_e32 vcc_lo, 0, v[146:147]
	v_cmp_neq_f64_e64 s1, 0, v[148:149]
	s_or_b32 s1, vcc_lo, s1
	s_and_b32 exec_lo, exec_lo, s1
	s_cbranch_execz .LBB71_242
; %bb.237:
	v_cmp_ngt_f64_e64 s1, |v[146:147]|, |v[148:149]|
                                        ; implicit-def: $vgpr150_vgpr151
	s_and_saveexec_b32 s3, s1
	s_xor_b32 s1, exec_lo, s3
                                        ; implicit-def: $vgpr152_vgpr153
	s_cbranch_execz .LBB71_239
; %bb.238:
	v_div_scale_f64 v[150:151], null, v[148:149], v[148:149], v[146:147]
	v_div_scale_f64 v[156:157], vcc_lo, v[146:147], v[148:149], v[146:147]
	v_rcp_f64_e32 v[152:153], v[150:151]
	v_fma_f64 v[154:155], -v[150:151], v[152:153], 1.0
	v_fma_f64 v[152:153], v[152:153], v[154:155], v[152:153]
	v_fma_f64 v[154:155], -v[150:151], v[152:153], 1.0
	v_fma_f64 v[152:153], v[152:153], v[154:155], v[152:153]
	v_mul_f64 v[154:155], v[156:157], v[152:153]
	v_fma_f64 v[150:151], -v[150:151], v[154:155], v[156:157]
	v_div_fmas_f64 v[150:151], v[150:151], v[152:153], v[154:155]
	v_div_fixup_f64 v[150:151], v[150:151], v[148:149], v[146:147]
	v_fma_f64 v[146:147], v[146:147], v[150:151], v[148:149]
	v_div_scale_f64 v[148:149], null, v[146:147], v[146:147], 1.0
	v_rcp_f64_e32 v[152:153], v[148:149]
	v_fma_f64 v[154:155], -v[148:149], v[152:153], 1.0
	v_fma_f64 v[152:153], v[152:153], v[154:155], v[152:153]
	v_fma_f64 v[154:155], -v[148:149], v[152:153], 1.0
	v_fma_f64 v[152:153], v[152:153], v[154:155], v[152:153]
	v_div_scale_f64 v[154:155], vcc_lo, 1.0, v[146:147], 1.0
	v_mul_f64 v[156:157], v[154:155], v[152:153]
	v_fma_f64 v[148:149], -v[148:149], v[156:157], v[154:155]
	v_div_fmas_f64 v[148:149], v[148:149], v[152:153], v[156:157]
	v_div_fixup_f64 v[152:153], v[148:149], v[146:147], 1.0
                                        ; implicit-def: $vgpr146_vgpr147
	v_mul_f64 v[150:151], v[150:151], v[152:153]
	v_xor_b32_e32 v153, 0x80000000, v153
.LBB71_239:
	s_andn2_saveexec_b32 s1, s1
	s_cbranch_execz .LBB71_241
; %bb.240:
	v_div_scale_f64 v[150:151], null, v[146:147], v[146:147], v[148:149]
	v_div_scale_f64 v[156:157], vcc_lo, v[148:149], v[146:147], v[148:149]
	v_rcp_f64_e32 v[152:153], v[150:151]
	v_fma_f64 v[154:155], -v[150:151], v[152:153], 1.0
	v_fma_f64 v[152:153], v[152:153], v[154:155], v[152:153]
	v_fma_f64 v[154:155], -v[150:151], v[152:153], 1.0
	v_fma_f64 v[152:153], v[152:153], v[154:155], v[152:153]
	v_mul_f64 v[154:155], v[156:157], v[152:153]
	v_fma_f64 v[150:151], -v[150:151], v[154:155], v[156:157]
	v_div_fmas_f64 v[150:151], v[150:151], v[152:153], v[154:155]
	v_div_fixup_f64 v[152:153], v[150:151], v[146:147], v[148:149]
	v_fma_f64 v[146:147], v[148:149], v[152:153], v[146:147]
	v_div_scale_f64 v[148:149], null, v[146:147], v[146:147], 1.0
	v_rcp_f64_e32 v[150:151], v[148:149]
	v_fma_f64 v[154:155], -v[148:149], v[150:151], 1.0
	v_fma_f64 v[150:151], v[150:151], v[154:155], v[150:151]
	v_fma_f64 v[154:155], -v[148:149], v[150:151], 1.0
	v_fma_f64 v[150:151], v[150:151], v[154:155], v[150:151]
	v_div_scale_f64 v[154:155], vcc_lo, 1.0, v[146:147], 1.0
	v_mul_f64 v[156:157], v[154:155], v[150:151]
	v_fma_f64 v[148:149], -v[148:149], v[156:157], v[154:155]
	v_div_fmas_f64 v[148:149], v[148:149], v[150:151], v[156:157]
	v_div_fixup_f64 v[150:151], v[148:149], v[146:147], 1.0
	v_mul_f64 v[152:153], v[152:153], -v[150:151]
.LBB71_241:
	s_or_b32 exec_lo, exec_lo, s1
	ds_write2_b64 v1, v[150:151], v[152:153] offset1:1
.LBB71_242:
	s_or_b32 exec_lo, exec_lo, s2
	s_waitcnt lgkmcnt(0)
	s_barrier
	buffer_gl0_inv
	ds_read2_b64 v[146:149], v1 offset1:1
	s_mov_b32 s1, exec_lo
	s_waitcnt lgkmcnt(0)
	buffer_store_dword v146, off, s[16:19], 0 offset:432 ; 4-byte Folded Spill
	buffer_store_dword v147, off, s[16:19], 0 offset:436 ; 4-byte Folded Spill
	;; [unrolled: 1-line block ×4, first 2 shown]
	v_cmpx_lt_u32_e32 26, v0
	s_cbranch_execz .LBB71_244
; %bb.243:
	s_clause 0x3
	buffer_load_dword v152, off, s[16:19], 0 offset:432
	buffer_load_dword v153, off, s[16:19], 0 offset:436
	;; [unrolled: 1-line block ×4, first 2 shown]
	s_waitcnt vmcnt(2)
	v_mul_f64 v[146:147], v[152:153], v[40:41]
	s_waitcnt vmcnt(0)
	v_mul_f64 v[40:41], v[154:155], v[40:41]
	v_fma_f64 v[150:151], v[154:155], v[38:39], v[146:147]
	ds_read2_b64 v[146:149], v184 offset0:54 offset1:55
	v_fma_f64 v[38:39], v[152:153], v[38:39], -v[40:41]
	s_waitcnt lgkmcnt(0)
	v_mul_f64 v[40:41], v[148:149], v[150:151]
	v_fma_f64 v[40:41], v[146:147], v[38:39], -v[40:41]
	v_mul_f64 v[146:147], v[146:147], v[150:151]
	v_add_f64 v[34:35], v[34:35], -v[40:41]
	v_fma_f64 v[146:147], v[148:149], v[38:39], v[146:147]
	v_add_f64 v[36:37], v[36:37], -v[146:147]
	ds_read2_b64 v[146:149], v184 offset0:56 offset1:57
	s_waitcnt lgkmcnt(0)
	v_mul_f64 v[40:41], v[148:149], v[150:151]
	v_fma_f64 v[40:41], v[146:147], v[38:39], -v[40:41]
	v_mul_f64 v[146:147], v[146:147], v[150:151]
	v_add_f64 v[30:31], v[30:31], -v[40:41]
	v_fma_f64 v[146:147], v[148:149], v[38:39], v[146:147]
	v_add_f64 v[32:33], v[32:33], -v[146:147]
	ds_read2_b64 v[146:149], v184 offset0:58 offset1:59
	;; [unrolled: 8-line block ×8, first 2 shown]
	s_waitcnt lgkmcnt(0)
	v_mul_f64 v[40:41], v[148:149], v[150:151]
	v_fma_f64 v[40:41], v[146:147], v[38:39], -v[40:41]
	v_mul_f64 v[146:147], v[146:147], v[150:151]
	v_add_f64 v[2:3], v[2:3], -v[40:41]
	v_fma_f64 v[146:147], v[148:149], v[38:39], v[146:147]
	v_mov_b32_e32 v40, v150
	v_mov_b32_e32 v41, v151
	v_add_f64 v[4:5], v[4:5], -v[146:147]
.LBB71_244:
	s_or_b32 exec_lo, exec_lo, s1
	s_mov_b32 s2, exec_lo
	s_waitcnt_vscnt null, 0x0
	s_barrier
	buffer_gl0_inv
	v_cmpx_eq_u32_e32 27, v0
	s_cbranch_execz .LBB71_251
; %bb.245:
	ds_write2_b64 v1, v[34:35], v[36:37] offset1:1
	ds_write2_b64 v184, v[30:31], v[32:33] offset0:56 offset1:57
	ds_write2_b64 v184, v[26:27], v[28:29] offset0:58 offset1:59
	;; [unrolled: 1-line block ×8, first 2 shown]
	ds_read2_b64 v[146:149], v1 offset1:1
	s_waitcnt lgkmcnt(0)
	v_cmp_neq_f64_e32 vcc_lo, 0, v[146:147]
	v_cmp_neq_f64_e64 s1, 0, v[148:149]
	s_or_b32 s1, vcc_lo, s1
	s_and_b32 exec_lo, exec_lo, s1
	s_cbranch_execz .LBB71_251
; %bb.246:
	v_cmp_ngt_f64_e64 s1, |v[146:147]|, |v[148:149]|
                                        ; implicit-def: $vgpr150_vgpr151
	s_and_saveexec_b32 s3, s1
	s_xor_b32 s1, exec_lo, s3
                                        ; implicit-def: $vgpr152_vgpr153
	s_cbranch_execz .LBB71_248
; %bb.247:
	v_div_scale_f64 v[150:151], null, v[148:149], v[148:149], v[146:147]
	v_div_scale_f64 v[156:157], vcc_lo, v[146:147], v[148:149], v[146:147]
	v_rcp_f64_e32 v[152:153], v[150:151]
	v_fma_f64 v[154:155], -v[150:151], v[152:153], 1.0
	v_fma_f64 v[152:153], v[152:153], v[154:155], v[152:153]
	v_fma_f64 v[154:155], -v[150:151], v[152:153], 1.0
	v_fma_f64 v[152:153], v[152:153], v[154:155], v[152:153]
	v_mul_f64 v[154:155], v[156:157], v[152:153]
	v_fma_f64 v[150:151], -v[150:151], v[154:155], v[156:157]
	v_div_fmas_f64 v[150:151], v[150:151], v[152:153], v[154:155]
	v_div_fixup_f64 v[150:151], v[150:151], v[148:149], v[146:147]
	v_fma_f64 v[146:147], v[146:147], v[150:151], v[148:149]
	v_div_scale_f64 v[148:149], null, v[146:147], v[146:147], 1.0
	v_rcp_f64_e32 v[152:153], v[148:149]
	v_fma_f64 v[154:155], -v[148:149], v[152:153], 1.0
	v_fma_f64 v[152:153], v[152:153], v[154:155], v[152:153]
	v_fma_f64 v[154:155], -v[148:149], v[152:153], 1.0
	v_fma_f64 v[152:153], v[152:153], v[154:155], v[152:153]
	v_div_scale_f64 v[154:155], vcc_lo, 1.0, v[146:147], 1.0
	v_mul_f64 v[156:157], v[154:155], v[152:153]
	v_fma_f64 v[148:149], -v[148:149], v[156:157], v[154:155]
	v_div_fmas_f64 v[148:149], v[148:149], v[152:153], v[156:157]
	v_div_fixup_f64 v[152:153], v[148:149], v[146:147], 1.0
                                        ; implicit-def: $vgpr146_vgpr147
	v_mul_f64 v[150:151], v[150:151], v[152:153]
	v_xor_b32_e32 v153, 0x80000000, v153
.LBB71_248:
	s_andn2_saveexec_b32 s1, s1
	s_cbranch_execz .LBB71_250
; %bb.249:
	v_div_scale_f64 v[150:151], null, v[146:147], v[146:147], v[148:149]
	v_div_scale_f64 v[156:157], vcc_lo, v[148:149], v[146:147], v[148:149]
	v_rcp_f64_e32 v[152:153], v[150:151]
	v_fma_f64 v[154:155], -v[150:151], v[152:153], 1.0
	v_fma_f64 v[152:153], v[152:153], v[154:155], v[152:153]
	v_fma_f64 v[154:155], -v[150:151], v[152:153], 1.0
	v_fma_f64 v[152:153], v[152:153], v[154:155], v[152:153]
	v_mul_f64 v[154:155], v[156:157], v[152:153]
	v_fma_f64 v[150:151], -v[150:151], v[154:155], v[156:157]
	v_div_fmas_f64 v[150:151], v[150:151], v[152:153], v[154:155]
	v_div_fixup_f64 v[152:153], v[150:151], v[146:147], v[148:149]
	v_fma_f64 v[146:147], v[148:149], v[152:153], v[146:147]
	v_div_scale_f64 v[148:149], null, v[146:147], v[146:147], 1.0
	v_rcp_f64_e32 v[150:151], v[148:149]
	v_fma_f64 v[154:155], -v[148:149], v[150:151], 1.0
	v_fma_f64 v[150:151], v[150:151], v[154:155], v[150:151]
	v_fma_f64 v[154:155], -v[148:149], v[150:151], 1.0
	v_fma_f64 v[150:151], v[150:151], v[154:155], v[150:151]
	v_div_scale_f64 v[154:155], vcc_lo, 1.0, v[146:147], 1.0
	v_mul_f64 v[156:157], v[154:155], v[150:151]
	v_fma_f64 v[148:149], -v[148:149], v[156:157], v[154:155]
	v_div_fmas_f64 v[148:149], v[148:149], v[150:151], v[156:157]
	v_div_fixup_f64 v[150:151], v[148:149], v[146:147], 1.0
	v_mul_f64 v[152:153], v[152:153], -v[150:151]
.LBB71_250:
	s_or_b32 exec_lo, exec_lo, s1
	ds_write2_b64 v1, v[150:151], v[152:153] offset1:1
.LBB71_251:
	s_or_b32 exec_lo, exec_lo, s2
	s_waitcnt lgkmcnt(0)
	s_barrier
	buffer_gl0_inv
	ds_read2_b64 v[146:149], v1 offset1:1
	s_mov_b32 s1, exec_lo
	s_waitcnt lgkmcnt(0)
	buffer_store_dword v146, off, s[16:19], 0 offset:448 ; 4-byte Folded Spill
	buffer_store_dword v147, off, s[16:19], 0 offset:452 ; 4-byte Folded Spill
	;; [unrolled: 1-line block ×4, first 2 shown]
	v_cmpx_lt_u32_e32 27, v0
	s_cbranch_execz .LBB71_253
; %bb.252:
	s_clause 0x3
	buffer_load_dword v146, off, s[16:19], 0 offset:448
	buffer_load_dword v147, off, s[16:19], 0 offset:452
	;; [unrolled: 1-line block ×4, first 2 shown]
	s_waitcnt vmcnt(2)
	v_mul_f64 v[150:151], v[146:147], v[36:37]
	s_waitcnt vmcnt(0)
	v_mul_f64 v[36:37], v[148:149], v[36:37]
	v_fma_f64 v[154:155], v[148:149], v[34:35], v[150:151]
	ds_read2_b64 v[150:153], v184 offset0:56 offset1:57
	v_fma_f64 v[34:35], v[146:147], v[34:35], -v[36:37]
	s_waitcnt lgkmcnt(0)
	v_mul_f64 v[36:37], v[152:153], v[154:155]
	v_fma_f64 v[36:37], v[150:151], v[34:35], -v[36:37]
	v_mul_f64 v[150:151], v[150:151], v[154:155]
	v_add_f64 v[30:31], v[30:31], -v[36:37]
	v_fma_f64 v[150:151], v[152:153], v[34:35], v[150:151]
	v_add_f64 v[32:33], v[32:33], -v[150:151]
	ds_read2_b64 v[150:153], v184 offset0:58 offset1:59
	s_waitcnt lgkmcnt(0)
	v_mul_f64 v[36:37], v[152:153], v[154:155]
	v_fma_f64 v[36:37], v[150:151], v[34:35], -v[36:37]
	v_mul_f64 v[150:151], v[150:151], v[154:155]
	v_add_f64 v[26:27], v[26:27], -v[36:37]
	v_fma_f64 v[150:151], v[152:153], v[34:35], v[150:151]
	v_add_f64 v[28:29], v[28:29], -v[150:151]
	ds_read2_b64 v[150:153], v184 offset0:60 offset1:61
	;; [unrolled: 8-line block ×7, first 2 shown]
	s_waitcnt lgkmcnt(0)
	v_mul_f64 v[36:37], v[152:153], v[154:155]
	v_fma_f64 v[36:37], v[150:151], v[34:35], -v[36:37]
	v_mul_f64 v[150:151], v[150:151], v[154:155]
	v_add_f64 v[2:3], v[2:3], -v[36:37]
	v_fma_f64 v[150:151], v[152:153], v[34:35], v[150:151]
	v_mov_b32_e32 v36, v154
	v_mov_b32_e32 v37, v155
	v_add_f64 v[4:5], v[4:5], -v[150:151]
.LBB71_253:
	s_or_b32 exec_lo, exec_lo, s1
	s_mov_b32 s2, exec_lo
	s_waitcnt_vscnt null, 0x0
	s_barrier
	buffer_gl0_inv
	v_cmpx_eq_u32_e32 28, v0
	s_cbranch_execz .LBB71_260
; %bb.254:
	ds_write2_b64 v1, v[30:31], v[32:33] offset1:1
	ds_write2_b64 v184, v[26:27], v[28:29] offset0:58 offset1:59
	ds_write2_b64 v184, v[22:23], v[24:25] offset0:60 offset1:61
	;; [unrolled: 1-line block ×7, first 2 shown]
	ds_read2_b64 v[150:153], v1 offset1:1
	s_waitcnt lgkmcnt(0)
	v_cmp_neq_f64_e32 vcc_lo, 0, v[150:151]
	v_cmp_neq_f64_e64 s1, 0, v[152:153]
	s_or_b32 s1, vcc_lo, s1
	s_and_b32 exec_lo, exec_lo, s1
	s_cbranch_execz .LBB71_260
; %bb.255:
	v_cmp_ngt_f64_e64 s1, |v[150:151]|, |v[152:153]|
                                        ; implicit-def: $vgpr154_vgpr155
	s_and_saveexec_b32 s3, s1
	s_xor_b32 s1, exec_lo, s3
                                        ; implicit-def: $vgpr156_vgpr157
	s_cbranch_execz .LBB71_257
; %bb.256:
	v_div_scale_f64 v[154:155], null, v[152:153], v[152:153], v[150:151]
	v_div_scale_f64 v[160:161], vcc_lo, v[150:151], v[152:153], v[150:151]
	v_rcp_f64_e32 v[156:157], v[154:155]
	v_fma_f64 v[158:159], -v[154:155], v[156:157], 1.0
	v_fma_f64 v[156:157], v[156:157], v[158:159], v[156:157]
	v_fma_f64 v[158:159], -v[154:155], v[156:157], 1.0
	v_fma_f64 v[156:157], v[156:157], v[158:159], v[156:157]
	v_mul_f64 v[158:159], v[160:161], v[156:157]
	v_fma_f64 v[154:155], -v[154:155], v[158:159], v[160:161]
	v_div_fmas_f64 v[154:155], v[154:155], v[156:157], v[158:159]
	v_div_fixup_f64 v[154:155], v[154:155], v[152:153], v[150:151]
	v_fma_f64 v[150:151], v[150:151], v[154:155], v[152:153]
	v_div_scale_f64 v[152:153], null, v[150:151], v[150:151], 1.0
	v_rcp_f64_e32 v[156:157], v[152:153]
	v_fma_f64 v[158:159], -v[152:153], v[156:157], 1.0
	v_fma_f64 v[156:157], v[156:157], v[158:159], v[156:157]
	v_fma_f64 v[158:159], -v[152:153], v[156:157], 1.0
	v_fma_f64 v[156:157], v[156:157], v[158:159], v[156:157]
	v_div_scale_f64 v[158:159], vcc_lo, 1.0, v[150:151], 1.0
	v_mul_f64 v[160:161], v[158:159], v[156:157]
	v_fma_f64 v[152:153], -v[152:153], v[160:161], v[158:159]
	v_div_fmas_f64 v[152:153], v[152:153], v[156:157], v[160:161]
	v_div_fixup_f64 v[156:157], v[152:153], v[150:151], 1.0
                                        ; implicit-def: $vgpr150_vgpr151
	v_mul_f64 v[154:155], v[154:155], v[156:157]
	v_xor_b32_e32 v157, 0x80000000, v157
.LBB71_257:
	s_andn2_saveexec_b32 s1, s1
	s_cbranch_execz .LBB71_259
; %bb.258:
	v_div_scale_f64 v[154:155], null, v[150:151], v[150:151], v[152:153]
	v_div_scale_f64 v[160:161], vcc_lo, v[152:153], v[150:151], v[152:153]
	v_rcp_f64_e32 v[156:157], v[154:155]
	v_fma_f64 v[158:159], -v[154:155], v[156:157], 1.0
	v_fma_f64 v[156:157], v[156:157], v[158:159], v[156:157]
	v_fma_f64 v[158:159], -v[154:155], v[156:157], 1.0
	v_fma_f64 v[156:157], v[156:157], v[158:159], v[156:157]
	v_mul_f64 v[158:159], v[160:161], v[156:157]
	v_fma_f64 v[154:155], -v[154:155], v[158:159], v[160:161]
	v_div_fmas_f64 v[154:155], v[154:155], v[156:157], v[158:159]
	v_div_fixup_f64 v[156:157], v[154:155], v[150:151], v[152:153]
	v_fma_f64 v[150:151], v[152:153], v[156:157], v[150:151]
	v_div_scale_f64 v[152:153], null, v[150:151], v[150:151], 1.0
	v_rcp_f64_e32 v[154:155], v[152:153]
	v_fma_f64 v[158:159], -v[152:153], v[154:155], 1.0
	v_fma_f64 v[154:155], v[154:155], v[158:159], v[154:155]
	v_fma_f64 v[158:159], -v[152:153], v[154:155], 1.0
	v_fma_f64 v[154:155], v[154:155], v[158:159], v[154:155]
	v_div_scale_f64 v[158:159], vcc_lo, 1.0, v[150:151], 1.0
	v_mul_f64 v[160:161], v[158:159], v[154:155]
	v_fma_f64 v[152:153], -v[152:153], v[160:161], v[158:159]
	v_div_fmas_f64 v[152:153], v[152:153], v[154:155], v[160:161]
	v_div_fixup_f64 v[154:155], v[152:153], v[150:151], 1.0
	v_mul_f64 v[156:157], v[156:157], -v[154:155]
.LBB71_259:
	s_or_b32 exec_lo, exec_lo, s1
	ds_write2_b64 v1, v[154:155], v[156:157] offset1:1
.LBB71_260:
	s_or_b32 exec_lo, exec_lo, s2
	s_waitcnt lgkmcnt(0)
	s_barrier
	buffer_gl0_inv
	ds_read2_b64 v[150:153], v1 offset1:1
	s_mov_b32 s1, exec_lo
	v_cmpx_lt_u32_e32 28, v0
	s_cbranch_execz .LBB71_262
; %bb.261:
	s_waitcnt lgkmcnt(0)
	v_mul_f64 v[154:155], v[150:151], v[32:33]
	v_mul_f64 v[32:33], v[152:153], v[32:33]
	v_fma_f64 v[158:159], v[152:153], v[30:31], v[154:155]
	ds_read2_b64 v[154:157], v184 offset0:58 offset1:59
	v_fma_f64 v[30:31], v[150:151], v[30:31], -v[32:33]
	s_waitcnt lgkmcnt(0)
	v_mul_f64 v[32:33], v[156:157], v[158:159]
	v_fma_f64 v[32:33], v[154:155], v[30:31], -v[32:33]
	v_mul_f64 v[154:155], v[154:155], v[158:159]
	v_add_f64 v[26:27], v[26:27], -v[32:33]
	v_fma_f64 v[154:155], v[156:157], v[30:31], v[154:155]
	v_add_f64 v[28:29], v[28:29], -v[154:155]
	ds_read2_b64 v[154:157], v184 offset0:60 offset1:61
	s_waitcnt lgkmcnt(0)
	v_mul_f64 v[32:33], v[156:157], v[158:159]
	v_fma_f64 v[32:33], v[154:155], v[30:31], -v[32:33]
	v_mul_f64 v[154:155], v[154:155], v[158:159]
	v_add_f64 v[22:23], v[22:23], -v[32:33]
	v_fma_f64 v[154:155], v[156:157], v[30:31], v[154:155]
	v_add_f64 v[24:25], v[24:25], -v[154:155]
	ds_read2_b64 v[154:157], v184 offset0:62 offset1:63
	;; [unrolled: 8-line block ×6, first 2 shown]
	s_waitcnt lgkmcnt(0)
	v_mul_f64 v[32:33], v[156:157], v[158:159]
	v_fma_f64 v[32:33], v[154:155], v[30:31], -v[32:33]
	v_mul_f64 v[154:155], v[154:155], v[158:159]
	v_add_f64 v[2:3], v[2:3], -v[32:33]
	v_fma_f64 v[154:155], v[156:157], v[30:31], v[154:155]
	v_mov_b32_e32 v32, v158
	v_mov_b32_e32 v33, v159
	v_add_f64 v[4:5], v[4:5], -v[154:155]
.LBB71_262:
	s_or_b32 exec_lo, exec_lo, s1
	s_mov_b32 s2, exec_lo
	s_waitcnt lgkmcnt(0)
	s_barrier
	buffer_gl0_inv
	v_cmpx_eq_u32_e32 29, v0
	s_cbranch_execz .LBB71_269
; %bb.263:
	ds_write2_b64 v1, v[26:27], v[28:29] offset1:1
	ds_write2_b64 v184, v[22:23], v[24:25] offset0:60 offset1:61
	ds_write2_b64 v184, v[18:19], v[20:21] offset0:62 offset1:63
	ds_write2_b64 v184, v[14:15], v[16:17] offset0:64 offset1:65
	ds_write2_b64 v184, v[10:11], v[12:13] offset0:66 offset1:67
	ds_write2_b64 v184, v[6:7], v[8:9] offset0:68 offset1:69
	ds_write2_b64 v184, v[2:3], v[4:5] offset0:70 offset1:71
	ds_read2_b64 v[154:157], v1 offset1:1
	s_waitcnt lgkmcnt(0)
	v_cmp_neq_f64_e32 vcc_lo, 0, v[154:155]
	v_cmp_neq_f64_e64 s1, 0, v[156:157]
	s_or_b32 s1, vcc_lo, s1
	s_and_b32 exec_lo, exec_lo, s1
	s_cbranch_execz .LBB71_269
; %bb.264:
	v_cmp_ngt_f64_e64 s1, |v[154:155]|, |v[156:157]|
                                        ; implicit-def: $vgpr158_vgpr159
	s_and_saveexec_b32 s3, s1
	s_xor_b32 s1, exec_lo, s3
                                        ; implicit-def: $vgpr160_vgpr161
	s_cbranch_execz .LBB71_266
; %bb.265:
	v_div_scale_f64 v[158:159], null, v[156:157], v[156:157], v[154:155]
	v_div_scale_f64 v[164:165], vcc_lo, v[154:155], v[156:157], v[154:155]
	v_rcp_f64_e32 v[160:161], v[158:159]
	v_fma_f64 v[162:163], -v[158:159], v[160:161], 1.0
	v_fma_f64 v[160:161], v[160:161], v[162:163], v[160:161]
	v_fma_f64 v[162:163], -v[158:159], v[160:161], 1.0
	v_fma_f64 v[160:161], v[160:161], v[162:163], v[160:161]
	v_mul_f64 v[162:163], v[164:165], v[160:161]
	v_fma_f64 v[158:159], -v[158:159], v[162:163], v[164:165]
	v_div_fmas_f64 v[158:159], v[158:159], v[160:161], v[162:163]
	v_div_fixup_f64 v[158:159], v[158:159], v[156:157], v[154:155]
	v_fma_f64 v[154:155], v[154:155], v[158:159], v[156:157]
	v_div_scale_f64 v[156:157], null, v[154:155], v[154:155], 1.0
	v_rcp_f64_e32 v[160:161], v[156:157]
	v_fma_f64 v[162:163], -v[156:157], v[160:161], 1.0
	v_fma_f64 v[160:161], v[160:161], v[162:163], v[160:161]
	v_fma_f64 v[162:163], -v[156:157], v[160:161], 1.0
	v_fma_f64 v[160:161], v[160:161], v[162:163], v[160:161]
	v_div_scale_f64 v[162:163], vcc_lo, 1.0, v[154:155], 1.0
	v_mul_f64 v[164:165], v[162:163], v[160:161]
	v_fma_f64 v[156:157], -v[156:157], v[164:165], v[162:163]
	v_div_fmas_f64 v[156:157], v[156:157], v[160:161], v[164:165]
	v_div_fixup_f64 v[160:161], v[156:157], v[154:155], 1.0
                                        ; implicit-def: $vgpr154_vgpr155
	v_mul_f64 v[158:159], v[158:159], v[160:161]
	v_xor_b32_e32 v161, 0x80000000, v161
.LBB71_266:
	s_andn2_saveexec_b32 s1, s1
	s_cbranch_execz .LBB71_268
; %bb.267:
	v_div_scale_f64 v[158:159], null, v[154:155], v[154:155], v[156:157]
	v_div_scale_f64 v[164:165], vcc_lo, v[156:157], v[154:155], v[156:157]
	v_rcp_f64_e32 v[160:161], v[158:159]
	v_fma_f64 v[162:163], -v[158:159], v[160:161], 1.0
	v_fma_f64 v[160:161], v[160:161], v[162:163], v[160:161]
	v_fma_f64 v[162:163], -v[158:159], v[160:161], 1.0
	v_fma_f64 v[160:161], v[160:161], v[162:163], v[160:161]
	v_mul_f64 v[162:163], v[164:165], v[160:161]
	v_fma_f64 v[158:159], -v[158:159], v[162:163], v[164:165]
	v_div_fmas_f64 v[158:159], v[158:159], v[160:161], v[162:163]
	v_div_fixup_f64 v[160:161], v[158:159], v[154:155], v[156:157]
	v_fma_f64 v[154:155], v[156:157], v[160:161], v[154:155]
	v_div_scale_f64 v[156:157], null, v[154:155], v[154:155], 1.0
	v_rcp_f64_e32 v[158:159], v[156:157]
	v_fma_f64 v[162:163], -v[156:157], v[158:159], 1.0
	v_fma_f64 v[158:159], v[158:159], v[162:163], v[158:159]
	v_fma_f64 v[162:163], -v[156:157], v[158:159], 1.0
	v_fma_f64 v[158:159], v[158:159], v[162:163], v[158:159]
	v_div_scale_f64 v[162:163], vcc_lo, 1.0, v[154:155], 1.0
	v_mul_f64 v[164:165], v[162:163], v[158:159]
	v_fma_f64 v[156:157], -v[156:157], v[164:165], v[162:163]
	v_div_fmas_f64 v[156:157], v[156:157], v[158:159], v[164:165]
	v_div_fixup_f64 v[158:159], v[156:157], v[154:155], 1.0
	v_mul_f64 v[160:161], v[160:161], -v[158:159]
.LBB71_268:
	s_or_b32 exec_lo, exec_lo, s1
	ds_write2_b64 v1, v[158:159], v[160:161] offset1:1
.LBB71_269:
	s_or_b32 exec_lo, exec_lo, s2
	s_waitcnt lgkmcnt(0)
	s_barrier
	buffer_gl0_inv
	ds_read2_b64 v[154:157], v1 offset1:1
	s_mov_b32 s1, exec_lo
	v_cmpx_lt_u32_e32 29, v0
	s_cbranch_execz .LBB71_271
; %bb.270:
	s_waitcnt lgkmcnt(0)
	v_mul_f64 v[158:159], v[154:155], v[28:29]
	v_mul_f64 v[28:29], v[156:157], v[28:29]
	v_fma_f64 v[162:163], v[156:157], v[26:27], v[158:159]
	ds_read2_b64 v[158:161], v184 offset0:60 offset1:61
	v_fma_f64 v[26:27], v[154:155], v[26:27], -v[28:29]
	s_waitcnt lgkmcnt(0)
	v_mul_f64 v[28:29], v[160:161], v[162:163]
	v_fma_f64 v[28:29], v[158:159], v[26:27], -v[28:29]
	v_mul_f64 v[158:159], v[158:159], v[162:163]
	v_add_f64 v[22:23], v[22:23], -v[28:29]
	v_fma_f64 v[158:159], v[160:161], v[26:27], v[158:159]
	v_add_f64 v[24:25], v[24:25], -v[158:159]
	ds_read2_b64 v[158:161], v184 offset0:62 offset1:63
	s_waitcnt lgkmcnt(0)
	v_mul_f64 v[28:29], v[160:161], v[162:163]
	v_fma_f64 v[28:29], v[158:159], v[26:27], -v[28:29]
	v_mul_f64 v[158:159], v[158:159], v[162:163]
	v_add_f64 v[18:19], v[18:19], -v[28:29]
	v_fma_f64 v[158:159], v[160:161], v[26:27], v[158:159]
	v_add_f64 v[20:21], v[20:21], -v[158:159]
	ds_read2_b64 v[158:161], v184 offset0:64 offset1:65
	;; [unrolled: 8-line block ×5, first 2 shown]
	s_waitcnt lgkmcnt(0)
	v_mul_f64 v[28:29], v[160:161], v[162:163]
	v_fma_f64 v[28:29], v[158:159], v[26:27], -v[28:29]
	v_mul_f64 v[158:159], v[158:159], v[162:163]
	v_add_f64 v[2:3], v[2:3], -v[28:29]
	v_fma_f64 v[158:159], v[160:161], v[26:27], v[158:159]
	v_mov_b32_e32 v28, v162
	v_mov_b32_e32 v29, v163
	v_add_f64 v[4:5], v[4:5], -v[158:159]
.LBB71_271:
	s_or_b32 exec_lo, exec_lo, s1
	s_mov_b32 s2, exec_lo
	s_waitcnt lgkmcnt(0)
	s_barrier
	buffer_gl0_inv
	v_cmpx_eq_u32_e32 30, v0
	s_cbranch_execz .LBB71_278
; %bb.272:
	ds_write2_b64 v1, v[22:23], v[24:25] offset1:1
	ds_write2_b64 v184, v[18:19], v[20:21] offset0:62 offset1:63
	ds_write2_b64 v184, v[14:15], v[16:17] offset0:64 offset1:65
	;; [unrolled: 1-line block ×5, first 2 shown]
	ds_read2_b64 v[158:161], v1 offset1:1
	s_waitcnt lgkmcnt(0)
	v_cmp_neq_f64_e32 vcc_lo, 0, v[158:159]
	v_cmp_neq_f64_e64 s1, 0, v[160:161]
	s_or_b32 s1, vcc_lo, s1
	s_and_b32 exec_lo, exec_lo, s1
	s_cbranch_execz .LBB71_278
; %bb.273:
	v_cmp_ngt_f64_e64 s1, |v[158:159]|, |v[160:161]|
                                        ; implicit-def: $vgpr162_vgpr163
	s_and_saveexec_b32 s3, s1
	s_xor_b32 s1, exec_lo, s3
                                        ; implicit-def: $vgpr164_vgpr165
	s_cbranch_execz .LBB71_275
; %bb.274:
	v_div_scale_f64 v[162:163], null, v[160:161], v[160:161], v[158:159]
	v_div_scale_f64 v[168:169], vcc_lo, v[158:159], v[160:161], v[158:159]
	v_rcp_f64_e32 v[164:165], v[162:163]
	v_fma_f64 v[166:167], -v[162:163], v[164:165], 1.0
	v_fma_f64 v[164:165], v[164:165], v[166:167], v[164:165]
	v_fma_f64 v[166:167], -v[162:163], v[164:165], 1.0
	v_fma_f64 v[164:165], v[164:165], v[166:167], v[164:165]
	v_mul_f64 v[166:167], v[168:169], v[164:165]
	v_fma_f64 v[162:163], -v[162:163], v[166:167], v[168:169]
	v_div_fmas_f64 v[162:163], v[162:163], v[164:165], v[166:167]
	v_div_fixup_f64 v[162:163], v[162:163], v[160:161], v[158:159]
	v_fma_f64 v[158:159], v[158:159], v[162:163], v[160:161]
	v_div_scale_f64 v[160:161], null, v[158:159], v[158:159], 1.0
	v_rcp_f64_e32 v[164:165], v[160:161]
	v_fma_f64 v[166:167], -v[160:161], v[164:165], 1.0
	v_fma_f64 v[164:165], v[164:165], v[166:167], v[164:165]
	v_fma_f64 v[166:167], -v[160:161], v[164:165], 1.0
	v_fma_f64 v[164:165], v[164:165], v[166:167], v[164:165]
	v_div_scale_f64 v[166:167], vcc_lo, 1.0, v[158:159], 1.0
	v_mul_f64 v[168:169], v[166:167], v[164:165]
	v_fma_f64 v[160:161], -v[160:161], v[168:169], v[166:167]
	v_div_fmas_f64 v[160:161], v[160:161], v[164:165], v[168:169]
	v_div_fixup_f64 v[164:165], v[160:161], v[158:159], 1.0
                                        ; implicit-def: $vgpr158_vgpr159
	v_mul_f64 v[162:163], v[162:163], v[164:165]
	v_xor_b32_e32 v165, 0x80000000, v165
.LBB71_275:
	s_andn2_saveexec_b32 s1, s1
	s_cbranch_execz .LBB71_277
; %bb.276:
	v_div_scale_f64 v[162:163], null, v[158:159], v[158:159], v[160:161]
	v_div_scale_f64 v[168:169], vcc_lo, v[160:161], v[158:159], v[160:161]
	v_rcp_f64_e32 v[164:165], v[162:163]
	v_fma_f64 v[166:167], -v[162:163], v[164:165], 1.0
	v_fma_f64 v[164:165], v[164:165], v[166:167], v[164:165]
	v_fma_f64 v[166:167], -v[162:163], v[164:165], 1.0
	v_fma_f64 v[164:165], v[164:165], v[166:167], v[164:165]
	v_mul_f64 v[166:167], v[168:169], v[164:165]
	v_fma_f64 v[162:163], -v[162:163], v[166:167], v[168:169]
	v_div_fmas_f64 v[162:163], v[162:163], v[164:165], v[166:167]
	v_div_fixup_f64 v[164:165], v[162:163], v[158:159], v[160:161]
	v_fma_f64 v[158:159], v[160:161], v[164:165], v[158:159]
	v_div_scale_f64 v[160:161], null, v[158:159], v[158:159], 1.0
	v_rcp_f64_e32 v[162:163], v[160:161]
	v_fma_f64 v[166:167], -v[160:161], v[162:163], 1.0
	v_fma_f64 v[162:163], v[162:163], v[166:167], v[162:163]
	v_fma_f64 v[166:167], -v[160:161], v[162:163], 1.0
	v_fma_f64 v[162:163], v[162:163], v[166:167], v[162:163]
	v_div_scale_f64 v[166:167], vcc_lo, 1.0, v[158:159], 1.0
	v_mul_f64 v[168:169], v[166:167], v[162:163]
	v_fma_f64 v[160:161], -v[160:161], v[168:169], v[166:167]
	v_div_fmas_f64 v[160:161], v[160:161], v[162:163], v[168:169]
	v_div_fixup_f64 v[162:163], v[160:161], v[158:159], 1.0
	v_mul_f64 v[164:165], v[164:165], -v[162:163]
.LBB71_277:
	s_or_b32 exec_lo, exec_lo, s1
	ds_write2_b64 v1, v[162:163], v[164:165] offset1:1
.LBB71_278:
	s_or_b32 exec_lo, exec_lo, s2
	s_waitcnt lgkmcnt(0)
	s_barrier
	buffer_gl0_inv
	ds_read2_b64 v[158:161], v1 offset1:1
	s_mov_b32 s1, exec_lo
	v_cmpx_lt_u32_e32 30, v0
	s_cbranch_execz .LBB71_280
; %bb.279:
	s_waitcnt lgkmcnt(0)
	v_mul_f64 v[162:163], v[158:159], v[24:25]
	v_mul_f64 v[24:25], v[160:161], v[24:25]
	v_fma_f64 v[166:167], v[160:161], v[22:23], v[162:163]
	ds_read2_b64 v[162:165], v184 offset0:62 offset1:63
	v_fma_f64 v[22:23], v[158:159], v[22:23], -v[24:25]
	s_waitcnt lgkmcnt(0)
	v_mul_f64 v[24:25], v[164:165], v[166:167]
	v_fma_f64 v[24:25], v[162:163], v[22:23], -v[24:25]
	v_mul_f64 v[162:163], v[162:163], v[166:167]
	v_add_f64 v[18:19], v[18:19], -v[24:25]
	v_fma_f64 v[162:163], v[164:165], v[22:23], v[162:163]
	v_add_f64 v[20:21], v[20:21], -v[162:163]
	ds_read2_b64 v[162:165], v184 offset0:64 offset1:65
	s_waitcnt lgkmcnt(0)
	v_mul_f64 v[24:25], v[164:165], v[166:167]
	v_fma_f64 v[24:25], v[162:163], v[22:23], -v[24:25]
	v_mul_f64 v[162:163], v[162:163], v[166:167]
	v_add_f64 v[14:15], v[14:15], -v[24:25]
	v_fma_f64 v[162:163], v[164:165], v[22:23], v[162:163]
	v_add_f64 v[16:17], v[16:17], -v[162:163]
	ds_read2_b64 v[162:165], v184 offset0:66 offset1:67
	;; [unrolled: 8-line block ×4, first 2 shown]
	s_waitcnt lgkmcnt(0)
	v_mul_f64 v[24:25], v[164:165], v[166:167]
	v_fma_f64 v[24:25], v[162:163], v[22:23], -v[24:25]
	v_mul_f64 v[162:163], v[162:163], v[166:167]
	v_add_f64 v[2:3], v[2:3], -v[24:25]
	v_fma_f64 v[162:163], v[164:165], v[22:23], v[162:163]
	v_mov_b32_e32 v24, v166
	v_mov_b32_e32 v25, v167
	v_add_f64 v[4:5], v[4:5], -v[162:163]
.LBB71_280:
	s_or_b32 exec_lo, exec_lo, s1
	s_mov_b32 s2, exec_lo
	s_waitcnt lgkmcnt(0)
	s_barrier
	buffer_gl0_inv
	v_cmpx_eq_u32_e32 31, v0
	s_cbranch_execz .LBB71_287
; %bb.281:
	ds_write2_b64 v1, v[18:19], v[20:21] offset1:1
	ds_write2_b64 v184, v[14:15], v[16:17] offset0:64 offset1:65
	ds_write2_b64 v184, v[10:11], v[12:13] offset0:66 offset1:67
	;; [unrolled: 1-line block ×4, first 2 shown]
	ds_read2_b64 v[162:165], v1 offset1:1
	s_waitcnt lgkmcnt(0)
	v_cmp_neq_f64_e32 vcc_lo, 0, v[162:163]
	v_cmp_neq_f64_e64 s1, 0, v[164:165]
	s_or_b32 s1, vcc_lo, s1
	s_and_b32 exec_lo, exec_lo, s1
	s_cbranch_execz .LBB71_287
; %bb.282:
	v_cmp_ngt_f64_e64 s1, |v[162:163]|, |v[164:165]|
                                        ; implicit-def: $vgpr166_vgpr167
	s_and_saveexec_b32 s3, s1
	s_xor_b32 s1, exec_lo, s3
                                        ; implicit-def: $vgpr168_vgpr169
	s_cbranch_execz .LBB71_284
; %bb.283:
	v_div_scale_f64 v[166:167], null, v[164:165], v[164:165], v[162:163]
	v_div_scale_f64 v[172:173], vcc_lo, v[162:163], v[164:165], v[162:163]
	v_rcp_f64_e32 v[168:169], v[166:167]
	v_fma_f64 v[170:171], -v[166:167], v[168:169], 1.0
	v_fma_f64 v[168:169], v[168:169], v[170:171], v[168:169]
	v_fma_f64 v[170:171], -v[166:167], v[168:169], 1.0
	v_fma_f64 v[168:169], v[168:169], v[170:171], v[168:169]
	v_mul_f64 v[170:171], v[172:173], v[168:169]
	v_fma_f64 v[166:167], -v[166:167], v[170:171], v[172:173]
	v_div_fmas_f64 v[166:167], v[166:167], v[168:169], v[170:171]
	v_div_fixup_f64 v[166:167], v[166:167], v[164:165], v[162:163]
	v_fma_f64 v[162:163], v[162:163], v[166:167], v[164:165]
	v_div_scale_f64 v[164:165], null, v[162:163], v[162:163], 1.0
	v_rcp_f64_e32 v[168:169], v[164:165]
	v_fma_f64 v[170:171], -v[164:165], v[168:169], 1.0
	v_fma_f64 v[168:169], v[168:169], v[170:171], v[168:169]
	v_fma_f64 v[170:171], -v[164:165], v[168:169], 1.0
	v_fma_f64 v[168:169], v[168:169], v[170:171], v[168:169]
	v_div_scale_f64 v[170:171], vcc_lo, 1.0, v[162:163], 1.0
	v_mul_f64 v[172:173], v[170:171], v[168:169]
	v_fma_f64 v[164:165], -v[164:165], v[172:173], v[170:171]
	v_div_fmas_f64 v[164:165], v[164:165], v[168:169], v[172:173]
	v_div_fixup_f64 v[168:169], v[164:165], v[162:163], 1.0
                                        ; implicit-def: $vgpr162_vgpr163
	v_mul_f64 v[166:167], v[166:167], v[168:169]
	v_xor_b32_e32 v169, 0x80000000, v169
.LBB71_284:
	s_andn2_saveexec_b32 s1, s1
	s_cbranch_execz .LBB71_286
; %bb.285:
	v_div_scale_f64 v[166:167], null, v[162:163], v[162:163], v[164:165]
	v_div_scale_f64 v[172:173], vcc_lo, v[164:165], v[162:163], v[164:165]
	v_rcp_f64_e32 v[168:169], v[166:167]
	v_fma_f64 v[170:171], -v[166:167], v[168:169], 1.0
	v_fma_f64 v[168:169], v[168:169], v[170:171], v[168:169]
	v_fma_f64 v[170:171], -v[166:167], v[168:169], 1.0
	v_fma_f64 v[168:169], v[168:169], v[170:171], v[168:169]
	v_mul_f64 v[170:171], v[172:173], v[168:169]
	v_fma_f64 v[166:167], -v[166:167], v[170:171], v[172:173]
	v_div_fmas_f64 v[166:167], v[166:167], v[168:169], v[170:171]
	v_div_fixup_f64 v[168:169], v[166:167], v[162:163], v[164:165]
	v_fma_f64 v[162:163], v[164:165], v[168:169], v[162:163]
	v_div_scale_f64 v[164:165], null, v[162:163], v[162:163], 1.0
	v_rcp_f64_e32 v[166:167], v[164:165]
	v_fma_f64 v[170:171], -v[164:165], v[166:167], 1.0
	v_fma_f64 v[166:167], v[166:167], v[170:171], v[166:167]
	v_fma_f64 v[170:171], -v[164:165], v[166:167], 1.0
	v_fma_f64 v[166:167], v[166:167], v[170:171], v[166:167]
	v_div_scale_f64 v[170:171], vcc_lo, 1.0, v[162:163], 1.0
	v_mul_f64 v[172:173], v[170:171], v[166:167]
	v_fma_f64 v[164:165], -v[164:165], v[172:173], v[170:171]
	v_div_fmas_f64 v[164:165], v[164:165], v[166:167], v[172:173]
	v_div_fixup_f64 v[166:167], v[164:165], v[162:163], 1.0
	v_mul_f64 v[168:169], v[168:169], -v[166:167]
.LBB71_286:
	s_or_b32 exec_lo, exec_lo, s1
	ds_write2_b64 v1, v[166:167], v[168:169] offset1:1
.LBB71_287:
	s_or_b32 exec_lo, exec_lo, s2
	s_waitcnt lgkmcnt(0)
	s_barrier
	buffer_gl0_inv
	ds_read2_b64 v[162:165], v1 offset1:1
	s_mov_b32 s1, exec_lo
	v_cmpx_lt_u32_e32 31, v0
	s_cbranch_execz .LBB71_289
; %bb.288:
	s_waitcnt lgkmcnt(0)
	v_mul_f64 v[166:167], v[162:163], v[20:21]
	v_mul_f64 v[20:21], v[164:165], v[20:21]
	v_fma_f64 v[170:171], v[164:165], v[18:19], v[166:167]
	ds_read2_b64 v[166:169], v184 offset0:64 offset1:65
	v_fma_f64 v[18:19], v[162:163], v[18:19], -v[20:21]
	s_waitcnt lgkmcnt(0)
	v_mul_f64 v[20:21], v[168:169], v[170:171]
	v_fma_f64 v[20:21], v[166:167], v[18:19], -v[20:21]
	v_mul_f64 v[166:167], v[166:167], v[170:171]
	v_add_f64 v[14:15], v[14:15], -v[20:21]
	v_fma_f64 v[166:167], v[168:169], v[18:19], v[166:167]
	v_add_f64 v[16:17], v[16:17], -v[166:167]
	ds_read2_b64 v[166:169], v184 offset0:66 offset1:67
	s_waitcnt lgkmcnt(0)
	v_mul_f64 v[20:21], v[168:169], v[170:171]
	v_fma_f64 v[20:21], v[166:167], v[18:19], -v[20:21]
	v_mul_f64 v[166:167], v[166:167], v[170:171]
	v_add_f64 v[10:11], v[10:11], -v[20:21]
	v_fma_f64 v[166:167], v[168:169], v[18:19], v[166:167]
	v_add_f64 v[12:13], v[12:13], -v[166:167]
	ds_read2_b64 v[166:169], v184 offset0:68 offset1:69
	s_waitcnt lgkmcnt(0)
	v_mul_f64 v[20:21], v[168:169], v[170:171]
	v_fma_f64 v[20:21], v[166:167], v[18:19], -v[20:21]
	v_mul_f64 v[166:167], v[166:167], v[170:171]
	v_add_f64 v[6:7], v[6:7], -v[20:21]
	v_fma_f64 v[166:167], v[168:169], v[18:19], v[166:167]
	v_add_f64 v[8:9], v[8:9], -v[166:167]
	ds_read2_b64 v[166:169], v184 offset0:70 offset1:71
	s_waitcnt lgkmcnt(0)
	v_mul_f64 v[20:21], v[168:169], v[170:171]
	v_fma_f64 v[20:21], v[166:167], v[18:19], -v[20:21]
	v_mul_f64 v[166:167], v[166:167], v[170:171]
	v_add_f64 v[2:3], v[2:3], -v[20:21]
	v_fma_f64 v[166:167], v[168:169], v[18:19], v[166:167]
	v_mov_b32_e32 v20, v170
	v_mov_b32_e32 v21, v171
	v_add_f64 v[4:5], v[4:5], -v[166:167]
.LBB71_289:
	s_or_b32 exec_lo, exec_lo, s1
	s_mov_b32 s2, exec_lo
	s_waitcnt lgkmcnt(0)
	s_barrier
	buffer_gl0_inv
	v_cmpx_eq_u32_e32 32, v0
	s_cbranch_execz .LBB71_296
; %bb.290:
	ds_write2_b64 v1, v[14:15], v[16:17] offset1:1
	ds_write2_b64 v184, v[10:11], v[12:13] offset0:66 offset1:67
	ds_write2_b64 v184, v[6:7], v[8:9] offset0:68 offset1:69
	;; [unrolled: 1-line block ×3, first 2 shown]
	ds_read2_b64 v[166:169], v1 offset1:1
	s_waitcnt lgkmcnt(0)
	v_cmp_neq_f64_e32 vcc_lo, 0, v[166:167]
	v_cmp_neq_f64_e64 s1, 0, v[168:169]
	s_or_b32 s1, vcc_lo, s1
	s_and_b32 exec_lo, exec_lo, s1
	s_cbranch_execz .LBB71_296
; %bb.291:
	v_cmp_ngt_f64_e64 s1, |v[166:167]|, |v[168:169]|
                                        ; implicit-def: $vgpr170_vgpr171
	s_and_saveexec_b32 s3, s1
	s_xor_b32 s1, exec_lo, s3
                                        ; implicit-def: $vgpr172_vgpr173
	s_cbranch_execz .LBB71_293
; %bb.292:
	v_div_scale_f64 v[170:171], null, v[168:169], v[168:169], v[166:167]
	v_div_scale_f64 v[176:177], vcc_lo, v[166:167], v[168:169], v[166:167]
	v_rcp_f64_e32 v[172:173], v[170:171]
	v_fma_f64 v[174:175], -v[170:171], v[172:173], 1.0
	v_fma_f64 v[172:173], v[172:173], v[174:175], v[172:173]
	v_fma_f64 v[174:175], -v[170:171], v[172:173], 1.0
	v_fma_f64 v[172:173], v[172:173], v[174:175], v[172:173]
	v_mul_f64 v[174:175], v[176:177], v[172:173]
	v_fma_f64 v[170:171], -v[170:171], v[174:175], v[176:177]
	v_div_fmas_f64 v[170:171], v[170:171], v[172:173], v[174:175]
	v_div_fixup_f64 v[170:171], v[170:171], v[168:169], v[166:167]
	v_fma_f64 v[166:167], v[166:167], v[170:171], v[168:169]
	v_div_scale_f64 v[168:169], null, v[166:167], v[166:167], 1.0
	v_rcp_f64_e32 v[172:173], v[168:169]
	v_fma_f64 v[174:175], -v[168:169], v[172:173], 1.0
	v_fma_f64 v[172:173], v[172:173], v[174:175], v[172:173]
	v_fma_f64 v[174:175], -v[168:169], v[172:173], 1.0
	v_fma_f64 v[172:173], v[172:173], v[174:175], v[172:173]
	v_div_scale_f64 v[174:175], vcc_lo, 1.0, v[166:167], 1.0
	v_mul_f64 v[176:177], v[174:175], v[172:173]
	v_fma_f64 v[168:169], -v[168:169], v[176:177], v[174:175]
	v_div_fmas_f64 v[168:169], v[168:169], v[172:173], v[176:177]
	v_div_fixup_f64 v[172:173], v[168:169], v[166:167], 1.0
                                        ; implicit-def: $vgpr166_vgpr167
	v_mul_f64 v[170:171], v[170:171], v[172:173]
	v_xor_b32_e32 v173, 0x80000000, v173
.LBB71_293:
	s_andn2_saveexec_b32 s1, s1
	s_cbranch_execz .LBB71_295
; %bb.294:
	v_div_scale_f64 v[170:171], null, v[166:167], v[166:167], v[168:169]
	v_div_scale_f64 v[176:177], vcc_lo, v[168:169], v[166:167], v[168:169]
	v_rcp_f64_e32 v[172:173], v[170:171]
	v_fma_f64 v[174:175], -v[170:171], v[172:173], 1.0
	v_fma_f64 v[172:173], v[172:173], v[174:175], v[172:173]
	v_fma_f64 v[174:175], -v[170:171], v[172:173], 1.0
	v_fma_f64 v[172:173], v[172:173], v[174:175], v[172:173]
	v_mul_f64 v[174:175], v[176:177], v[172:173]
	v_fma_f64 v[170:171], -v[170:171], v[174:175], v[176:177]
	v_div_fmas_f64 v[170:171], v[170:171], v[172:173], v[174:175]
	v_div_fixup_f64 v[172:173], v[170:171], v[166:167], v[168:169]
	v_fma_f64 v[166:167], v[168:169], v[172:173], v[166:167]
	v_div_scale_f64 v[168:169], null, v[166:167], v[166:167], 1.0
	v_rcp_f64_e32 v[170:171], v[168:169]
	v_fma_f64 v[174:175], -v[168:169], v[170:171], 1.0
	v_fma_f64 v[170:171], v[170:171], v[174:175], v[170:171]
	v_fma_f64 v[174:175], -v[168:169], v[170:171], 1.0
	v_fma_f64 v[170:171], v[170:171], v[174:175], v[170:171]
	v_div_scale_f64 v[174:175], vcc_lo, 1.0, v[166:167], 1.0
	v_mul_f64 v[176:177], v[174:175], v[170:171]
	v_fma_f64 v[168:169], -v[168:169], v[176:177], v[174:175]
	v_div_fmas_f64 v[168:169], v[168:169], v[170:171], v[176:177]
	v_div_fixup_f64 v[170:171], v[168:169], v[166:167], 1.0
	v_mul_f64 v[172:173], v[172:173], -v[170:171]
.LBB71_295:
	s_or_b32 exec_lo, exec_lo, s1
	ds_write2_b64 v1, v[170:171], v[172:173] offset1:1
.LBB71_296:
	s_or_b32 exec_lo, exec_lo, s2
	s_waitcnt lgkmcnt(0)
	s_barrier
	buffer_gl0_inv
	ds_read2_b64 v[166:169], v1 offset1:1
	s_mov_b32 s1, exec_lo
	v_cmpx_lt_u32_e32 32, v0
	s_cbranch_execz .LBB71_298
; %bb.297:
	s_waitcnt lgkmcnt(0)
	v_mul_f64 v[170:171], v[166:167], v[16:17]
	v_mul_f64 v[16:17], v[168:169], v[16:17]
	v_fma_f64 v[174:175], v[168:169], v[14:15], v[170:171]
	ds_read2_b64 v[170:173], v184 offset0:66 offset1:67
	v_fma_f64 v[14:15], v[166:167], v[14:15], -v[16:17]
	s_waitcnt lgkmcnt(0)
	v_mul_f64 v[16:17], v[172:173], v[174:175]
	v_fma_f64 v[16:17], v[170:171], v[14:15], -v[16:17]
	v_mul_f64 v[170:171], v[170:171], v[174:175]
	v_add_f64 v[10:11], v[10:11], -v[16:17]
	v_fma_f64 v[170:171], v[172:173], v[14:15], v[170:171]
	v_add_f64 v[12:13], v[12:13], -v[170:171]
	ds_read2_b64 v[170:173], v184 offset0:68 offset1:69
	s_waitcnt lgkmcnt(0)
	v_mul_f64 v[16:17], v[172:173], v[174:175]
	v_fma_f64 v[16:17], v[170:171], v[14:15], -v[16:17]
	v_mul_f64 v[170:171], v[170:171], v[174:175]
	v_add_f64 v[6:7], v[6:7], -v[16:17]
	v_fma_f64 v[170:171], v[172:173], v[14:15], v[170:171]
	v_add_f64 v[8:9], v[8:9], -v[170:171]
	ds_read2_b64 v[170:173], v184 offset0:70 offset1:71
	s_waitcnt lgkmcnt(0)
	v_mul_f64 v[16:17], v[172:173], v[174:175]
	v_fma_f64 v[16:17], v[170:171], v[14:15], -v[16:17]
	v_mul_f64 v[170:171], v[170:171], v[174:175]
	v_add_f64 v[2:3], v[2:3], -v[16:17]
	v_fma_f64 v[170:171], v[172:173], v[14:15], v[170:171]
	v_mov_b32_e32 v16, v174
	v_mov_b32_e32 v17, v175
	v_add_f64 v[4:5], v[4:5], -v[170:171]
.LBB71_298:
	s_or_b32 exec_lo, exec_lo, s1
	s_mov_b32 s2, exec_lo
	s_waitcnt lgkmcnt(0)
	s_barrier
	buffer_gl0_inv
	v_cmpx_eq_u32_e32 33, v0
	s_cbranch_execz .LBB71_305
; %bb.299:
	ds_write2_b64 v1, v[10:11], v[12:13] offset1:1
	ds_write2_b64 v184, v[6:7], v[8:9] offset0:68 offset1:69
	ds_write2_b64 v184, v[2:3], v[4:5] offset0:70 offset1:71
	ds_read2_b64 v[170:173], v1 offset1:1
	s_waitcnt lgkmcnt(0)
	v_cmp_neq_f64_e32 vcc_lo, 0, v[170:171]
	v_cmp_neq_f64_e64 s1, 0, v[172:173]
	s_or_b32 s1, vcc_lo, s1
	s_and_b32 exec_lo, exec_lo, s1
	s_cbranch_execz .LBB71_305
; %bb.300:
	v_cmp_ngt_f64_e64 s1, |v[170:171]|, |v[172:173]|
                                        ; implicit-def: $vgpr174_vgpr175
	s_and_saveexec_b32 s3, s1
	s_xor_b32 s1, exec_lo, s3
                                        ; implicit-def: $vgpr176_vgpr177
	s_cbranch_execz .LBB71_302
; %bb.301:
	v_div_scale_f64 v[174:175], null, v[172:173], v[172:173], v[170:171]
	v_div_scale_f64 v[180:181], vcc_lo, v[170:171], v[172:173], v[170:171]
	v_rcp_f64_e32 v[176:177], v[174:175]
	v_fma_f64 v[178:179], -v[174:175], v[176:177], 1.0
	v_fma_f64 v[176:177], v[176:177], v[178:179], v[176:177]
	v_fma_f64 v[178:179], -v[174:175], v[176:177], 1.0
	v_fma_f64 v[176:177], v[176:177], v[178:179], v[176:177]
	v_mul_f64 v[178:179], v[180:181], v[176:177]
	v_fma_f64 v[174:175], -v[174:175], v[178:179], v[180:181]
	v_div_fmas_f64 v[174:175], v[174:175], v[176:177], v[178:179]
	v_div_fixup_f64 v[174:175], v[174:175], v[172:173], v[170:171]
	v_fma_f64 v[170:171], v[170:171], v[174:175], v[172:173]
	v_div_scale_f64 v[172:173], null, v[170:171], v[170:171], 1.0
	v_rcp_f64_e32 v[176:177], v[172:173]
	v_fma_f64 v[178:179], -v[172:173], v[176:177], 1.0
	v_fma_f64 v[176:177], v[176:177], v[178:179], v[176:177]
	v_fma_f64 v[178:179], -v[172:173], v[176:177], 1.0
	v_fma_f64 v[176:177], v[176:177], v[178:179], v[176:177]
	v_div_scale_f64 v[178:179], vcc_lo, 1.0, v[170:171], 1.0
	v_mul_f64 v[180:181], v[178:179], v[176:177]
	v_fma_f64 v[172:173], -v[172:173], v[180:181], v[178:179]
	v_div_fmas_f64 v[172:173], v[172:173], v[176:177], v[180:181]
	v_div_fixup_f64 v[176:177], v[172:173], v[170:171], 1.0
                                        ; implicit-def: $vgpr170_vgpr171
	v_mul_f64 v[174:175], v[174:175], v[176:177]
	v_xor_b32_e32 v177, 0x80000000, v177
.LBB71_302:
	s_andn2_saveexec_b32 s1, s1
	s_cbranch_execz .LBB71_304
; %bb.303:
	v_div_scale_f64 v[174:175], null, v[170:171], v[170:171], v[172:173]
	v_div_scale_f64 v[180:181], vcc_lo, v[172:173], v[170:171], v[172:173]
	v_rcp_f64_e32 v[176:177], v[174:175]
	v_fma_f64 v[178:179], -v[174:175], v[176:177], 1.0
	v_fma_f64 v[176:177], v[176:177], v[178:179], v[176:177]
	v_fma_f64 v[178:179], -v[174:175], v[176:177], 1.0
	v_fma_f64 v[176:177], v[176:177], v[178:179], v[176:177]
	v_mul_f64 v[178:179], v[180:181], v[176:177]
	v_fma_f64 v[174:175], -v[174:175], v[178:179], v[180:181]
	v_div_fmas_f64 v[174:175], v[174:175], v[176:177], v[178:179]
	v_div_fixup_f64 v[176:177], v[174:175], v[170:171], v[172:173]
	v_fma_f64 v[170:171], v[172:173], v[176:177], v[170:171]
	v_div_scale_f64 v[172:173], null, v[170:171], v[170:171], 1.0
	v_rcp_f64_e32 v[174:175], v[172:173]
	v_fma_f64 v[178:179], -v[172:173], v[174:175], 1.0
	v_fma_f64 v[174:175], v[174:175], v[178:179], v[174:175]
	v_fma_f64 v[178:179], -v[172:173], v[174:175], 1.0
	v_fma_f64 v[174:175], v[174:175], v[178:179], v[174:175]
	v_div_scale_f64 v[178:179], vcc_lo, 1.0, v[170:171], 1.0
	v_mul_f64 v[180:181], v[178:179], v[174:175]
	v_fma_f64 v[172:173], -v[172:173], v[180:181], v[178:179]
	v_div_fmas_f64 v[172:173], v[172:173], v[174:175], v[180:181]
	v_div_fixup_f64 v[174:175], v[172:173], v[170:171], 1.0
	v_mul_f64 v[176:177], v[176:177], -v[174:175]
.LBB71_304:
	s_or_b32 exec_lo, exec_lo, s1
	ds_write2_b64 v1, v[174:175], v[176:177] offset1:1
.LBB71_305:
	s_or_b32 exec_lo, exec_lo, s2
	s_waitcnt lgkmcnt(0)
	s_barrier
	buffer_gl0_inv
	ds_read2_b64 v[170:173], v1 offset1:1
	s_mov_b32 s1, exec_lo
	v_cmpx_lt_u32_e32 33, v0
	s_cbranch_execz .LBB71_307
; %bb.306:
	s_waitcnt lgkmcnt(0)
	v_mul_f64 v[174:175], v[170:171], v[12:13]
	v_mul_f64 v[12:13], v[172:173], v[12:13]
	v_fma_f64 v[178:179], v[172:173], v[10:11], v[174:175]
	ds_read2_b64 v[174:177], v184 offset0:68 offset1:69
	v_fma_f64 v[10:11], v[170:171], v[10:11], -v[12:13]
	s_waitcnt lgkmcnt(0)
	v_mul_f64 v[12:13], v[176:177], v[178:179]
	v_fma_f64 v[12:13], v[174:175], v[10:11], -v[12:13]
	v_mul_f64 v[174:175], v[174:175], v[178:179]
	v_add_f64 v[6:7], v[6:7], -v[12:13]
	v_fma_f64 v[174:175], v[176:177], v[10:11], v[174:175]
	v_add_f64 v[8:9], v[8:9], -v[174:175]
	ds_read2_b64 v[174:177], v184 offset0:70 offset1:71
	s_waitcnt lgkmcnt(0)
	v_mul_f64 v[12:13], v[176:177], v[178:179]
	v_fma_f64 v[12:13], v[174:175], v[10:11], -v[12:13]
	v_mul_f64 v[174:175], v[174:175], v[178:179]
	v_add_f64 v[2:3], v[2:3], -v[12:13]
	v_fma_f64 v[174:175], v[176:177], v[10:11], v[174:175]
	v_mov_b32_e32 v12, v178
	v_mov_b32_e32 v13, v179
	v_add_f64 v[4:5], v[4:5], -v[174:175]
.LBB71_307:
	s_or_b32 exec_lo, exec_lo, s1
	s_mov_b32 s2, exec_lo
	s_waitcnt lgkmcnt(0)
	s_barrier
	buffer_gl0_inv
	v_cmpx_eq_u32_e32 34, v0
	s_cbranch_execz .LBB71_314
; %bb.308:
	ds_write2_b64 v1, v[6:7], v[8:9] offset1:1
	ds_write2_b64 v184, v[2:3], v[4:5] offset0:70 offset1:71
	ds_read2_b64 v[174:177], v1 offset1:1
	s_waitcnt lgkmcnt(0)
	v_cmp_neq_f64_e32 vcc_lo, 0, v[174:175]
	v_cmp_neq_f64_e64 s1, 0, v[176:177]
	s_or_b32 s1, vcc_lo, s1
	s_and_b32 exec_lo, exec_lo, s1
	s_cbranch_execz .LBB71_314
; %bb.309:
	v_cmp_ngt_f64_e64 s1, |v[174:175]|, |v[176:177]|
                                        ; implicit-def: $vgpr178_vgpr179
	s_and_saveexec_b32 s3, s1
	s_xor_b32 s1, exec_lo, s3
                                        ; implicit-def: $vgpr180_vgpr181
	s_cbranch_execz .LBB71_311
; %bb.310:
	v_div_scale_f64 v[178:179], null, v[176:177], v[176:177], v[174:175]
	v_mov_b32_e32 v146, v185
	v_mov_b32_e32 v147, v186
	v_div_scale_f64 v[185:186], vcc_lo, v[174:175], v[176:177], v[174:175]
	v_rcp_f64_e32 v[180:181], v[178:179]
	v_fma_f64 v[182:183], -v[178:179], v[180:181], 1.0
	v_fma_f64 v[180:181], v[180:181], v[182:183], v[180:181]
	v_fma_f64 v[182:183], -v[178:179], v[180:181], 1.0
	v_fma_f64 v[180:181], v[180:181], v[182:183], v[180:181]
	v_mul_f64 v[182:183], v[185:186], v[180:181]
	v_fma_f64 v[178:179], -v[178:179], v[182:183], v[185:186]
	v_div_fmas_f64 v[178:179], v[178:179], v[180:181], v[182:183]
	v_div_fixup_f64 v[178:179], v[178:179], v[176:177], v[174:175]
	v_fma_f64 v[174:175], v[174:175], v[178:179], v[176:177]
	v_div_scale_f64 v[176:177], null, v[174:175], v[174:175], 1.0
	v_rcp_f64_e32 v[180:181], v[176:177]
	v_fma_f64 v[182:183], -v[176:177], v[180:181], 1.0
	v_fma_f64 v[180:181], v[180:181], v[182:183], v[180:181]
	v_fma_f64 v[182:183], -v[176:177], v[180:181], 1.0
	v_fma_f64 v[180:181], v[180:181], v[182:183], v[180:181]
	v_div_scale_f64 v[182:183], vcc_lo, 1.0, v[174:175], 1.0
	v_mul_f64 v[185:186], v[182:183], v[180:181]
	v_fma_f64 v[176:177], -v[176:177], v[185:186], v[182:183]
	v_div_fmas_f64 v[176:177], v[176:177], v[180:181], v[185:186]
	v_mov_b32_e32 v186, v147
	v_mov_b32_e32 v185, v146
	v_div_fixup_f64 v[180:181], v[176:177], v[174:175], 1.0
                                        ; implicit-def: $vgpr174_vgpr175
	v_mul_f64 v[178:179], v[178:179], v[180:181]
	v_xor_b32_e32 v181, 0x80000000, v181
.LBB71_311:
	s_andn2_saveexec_b32 s1, s1
	s_cbranch_execz .LBB71_313
; %bb.312:
	v_div_scale_f64 v[178:179], null, v[174:175], v[174:175], v[176:177]
	v_mov_b32_e32 v146, v185
	v_mov_b32_e32 v147, v186
	v_div_scale_f64 v[185:186], vcc_lo, v[176:177], v[174:175], v[176:177]
	v_rcp_f64_e32 v[180:181], v[178:179]
	v_fma_f64 v[182:183], -v[178:179], v[180:181], 1.0
	v_fma_f64 v[180:181], v[180:181], v[182:183], v[180:181]
	v_fma_f64 v[182:183], -v[178:179], v[180:181], 1.0
	v_fma_f64 v[180:181], v[180:181], v[182:183], v[180:181]
	v_mul_f64 v[182:183], v[185:186], v[180:181]
	v_fma_f64 v[178:179], -v[178:179], v[182:183], v[185:186]
	v_div_fmas_f64 v[178:179], v[178:179], v[180:181], v[182:183]
	v_div_fixup_f64 v[180:181], v[178:179], v[174:175], v[176:177]
	v_fma_f64 v[174:175], v[176:177], v[180:181], v[174:175]
	v_div_scale_f64 v[176:177], null, v[174:175], v[174:175], 1.0
	v_rcp_f64_e32 v[178:179], v[176:177]
	v_fma_f64 v[182:183], -v[176:177], v[178:179], 1.0
	v_fma_f64 v[178:179], v[178:179], v[182:183], v[178:179]
	v_fma_f64 v[182:183], -v[176:177], v[178:179], 1.0
	v_fma_f64 v[178:179], v[178:179], v[182:183], v[178:179]
	v_div_scale_f64 v[182:183], vcc_lo, 1.0, v[174:175], 1.0
	v_mul_f64 v[185:186], v[182:183], v[178:179]
	v_fma_f64 v[176:177], -v[176:177], v[185:186], v[182:183]
	v_div_fmas_f64 v[176:177], v[176:177], v[178:179], v[185:186]
	v_mov_b32_e32 v186, v147
	v_mov_b32_e32 v185, v146
	v_div_fixup_f64 v[178:179], v[176:177], v[174:175], 1.0
	v_mul_f64 v[180:181], v[180:181], -v[178:179]
.LBB71_313:
	s_or_b32 exec_lo, exec_lo, s1
	ds_write2_b64 v1, v[178:179], v[180:181] offset1:1
.LBB71_314:
	s_or_b32 exec_lo, exec_lo, s2
	s_waitcnt lgkmcnt(0)
	s_barrier
	buffer_gl0_inv
	ds_read2_b64 v[174:177], v1 offset1:1
	s_mov_b32 s1, exec_lo
	v_cmpx_lt_u32_e32 34, v0
	s_cbranch_execz .LBB71_316
; %bb.315:
	s_waitcnt lgkmcnt(0)
	v_mul_f64 v[178:179], v[174:175], v[8:9]
	v_mul_f64 v[8:9], v[176:177], v[8:9]
	v_fma_f64 v[182:183], v[176:177], v[6:7], v[178:179]
	ds_read2_b64 v[178:181], v184 offset0:70 offset1:71
	v_fma_f64 v[6:7], v[174:175], v[6:7], -v[8:9]
	s_waitcnt lgkmcnt(0)
	v_mul_f64 v[8:9], v[180:181], v[182:183]
	v_fma_f64 v[8:9], v[178:179], v[6:7], -v[8:9]
	v_mul_f64 v[178:179], v[178:179], v[182:183]
	v_add_f64 v[2:3], v[2:3], -v[8:9]
	v_fma_f64 v[178:179], v[180:181], v[6:7], v[178:179]
	v_mov_b32_e32 v8, v182
	v_mov_b32_e32 v9, v183
	v_add_f64 v[4:5], v[4:5], -v[178:179]
.LBB71_316:
	s_or_b32 exec_lo, exec_lo, s1
	s_mov_b32 s2, exec_lo
	s_waitcnt lgkmcnt(0)
	s_barrier
	buffer_gl0_inv
	v_cmpx_eq_u32_e32 35, v0
	s_cbranch_execz .LBB71_323
; %bb.317:
	v_cmp_neq_f64_e32 vcc_lo, 0, v[2:3]
	v_cmp_neq_f64_e64 s1, 0, v[4:5]
	ds_write2_b64 v1, v[2:3], v[4:5] offset1:1
	s_or_b32 s1, vcc_lo, s1
	s_and_b32 exec_lo, exec_lo, s1
	s_cbranch_execz .LBB71_323
; %bb.318:
	v_cmp_ngt_f64_e64 s1, |v[2:3]|, |v[4:5]|
                                        ; implicit-def: $vgpr178_vgpr179
	s_and_saveexec_b32 s3, s1
	s_xor_b32 s1, exec_lo, s3
                                        ; implicit-def: $vgpr180_vgpr181
	s_cbranch_execz .LBB71_320
; %bb.319:
	v_div_scale_f64 v[178:179], null, v[4:5], v[4:5], v[2:3]
	v_mov_b32_e32 v148, v185
	v_mov_b32_e32 v149, v186
	v_div_scale_f64 v[184:185], vcc_lo, v[2:3], v[4:5], v[2:3]
	v_mov_b32_e32 v146, v251
	v_mov_b32_e32 v147, v252
	;; [unrolled: 1-line block ×16, first 2 shown]
	v_rcp_f64_e32 v[180:181], v[178:179]
	v_mov_b32_e32 v239, v236
	v_mov_b32_e32 v238, v235
	;; [unrolled: 1-line block ×23, first 2 shown]
	v_fma_f64 v[182:183], -v[178:179], v[180:181], 1.0
	v_mov_b32_e32 v216, v213
	v_mov_b32_e32 v215, v212
	;; [unrolled: 1-line block ×21, first 2 shown]
	v_fma_f64 v[180:181], v[180:181], v[182:183], v[180:181]
	v_mov_b32_e32 v197, v194
	v_mov_b32_e32 v196, v193
	;; [unrolled: 1-line block ×8, first 2 shown]
	v_fma_f64 v[182:183], -v[178:179], v[180:181], 1.0
	v_fma_f64 v[180:181], v[180:181], v[182:183], v[180:181]
	v_mul_f64 v[182:183], v[184:185], v[180:181]
	v_fma_f64 v[178:179], -v[178:179], v[182:183], v[184:185]
	v_div_fmas_f64 v[178:179], v[178:179], v[180:181], v[182:183]
	v_div_fixup_f64 v[178:179], v[178:179], v[4:5], v[2:3]
	v_fma_f64 v[180:181], v[2:3], v[178:179], v[4:5]
	v_div_scale_f64 v[182:183], null, v[180:181], v[180:181], 1.0
	v_rcp_f64_e32 v[184:185], v[182:183]
	v_fma_f64 v[186:187], -v[182:183], v[184:185], 1.0
	v_fma_f64 v[184:185], v[184:185], v[186:187], v[184:185]
	v_fma_f64 v[186:187], -v[182:183], v[184:185], 1.0
	v_fma_f64 v[184:185], v[184:185], v[186:187], v[184:185]
	v_div_scale_f64 v[186:187], vcc_lo, 1.0, v[180:181], 1.0
	v_mul_f64 v[188:189], v[186:187], v[184:185]
	v_fma_f64 v[182:183], -v[182:183], v[188:189], v[186:187]
	v_div_fmas_f64 v[182:183], v[182:183], v[184:185], v[188:189]
	v_mov_b32_e32 v187, v190
	v_mov_b32_e32 v188, v191
	;; [unrolled: 1-line block ×21, first 2 shown]
	v_div_fixup_f64 v[180:181], v[182:183], v[180:181], 1.0
	v_mov_b32_e32 v206, v209
	v_mov_b32_e32 v207, v210
	;; [unrolled: 1-line block ×21, first 2 shown]
	v_mul_f64 v[178:179], v[178:179], v[180:181]
	v_mov_b32_e32 v227, v230
	v_mov_b32_e32 v228, v231
	;; [unrolled: 1-line block ×28, first 2 shown]
	v_xor_b32_e32 v181, 0x80000000, v181
.LBB71_320:
	s_andn2_saveexec_b32 s1, s1
	s_cbranch_execz .LBB71_322
; %bb.321:
	v_div_scale_f64 v[178:179], null, v[2:3], v[2:3], v[4:5]
	v_mov_b32_e32 v148, v185
	v_mov_b32_e32 v149, v186
	v_div_scale_f64 v[184:185], vcc_lo, v[4:5], v[2:3], v[4:5]
	v_mov_b32_e32 v146, v251
	v_mov_b32_e32 v147, v252
	v_mov_b32_e32 v253, v250
	v_mov_b32_e32 v252, v249
	v_mov_b32_e32 v251, v248
	v_mov_b32_e32 v250, v247
	v_mov_b32_e32 v249, v246
	v_mov_b32_e32 v248, v245
	v_mov_b32_e32 v247, v244
	v_mov_b32_e32 v246, v243
	v_mov_b32_e32 v245, v242
	v_mov_b32_e32 v244, v241
	v_mov_b32_e32 v243, v240
	v_mov_b32_e32 v242, v239
	v_mov_b32_e32 v241, v238
	v_mov_b32_e32 v240, v237
	v_rcp_f64_e32 v[180:181], v[178:179]
	v_mov_b32_e32 v239, v236
	v_mov_b32_e32 v238, v235
	;; [unrolled: 1-line block ×23, first 2 shown]
	v_fma_f64 v[182:183], -v[178:179], v[180:181], 1.0
	v_mov_b32_e32 v216, v213
	v_mov_b32_e32 v215, v212
	;; [unrolled: 1-line block ×21, first 2 shown]
	v_fma_f64 v[180:181], v[180:181], v[182:183], v[180:181]
	v_mov_b32_e32 v197, v194
	v_mov_b32_e32 v196, v193
	;; [unrolled: 1-line block ×8, first 2 shown]
	v_fma_f64 v[182:183], -v[178:179], v[180:181], 1.0
	v_fma_f64 v[180:181], v[180:181], v[182:183], v[180:181]
	v_mul_f64 v[182:183], v[184:185], v[180:181]
	v_fma_f64 v[178:179], -v[178:179], v[182:183], v[184:185]
	v_div_fmas_f64 v[178:179], v[178:179], v[180:181], v[182:183]
	v_div_fixup_f64 v[180:181], v[178:179], v[2:3], v[4:5]
	v_fma_f64 v[178:179], v[4:5], v[180:181], v[2:3]
	v_div_scale_f64 v[182:183], null, v[178:179], v[178:179], 1.0
	v_rcp_f64_e32 v[184:185], v[182:183]
	v_fma_f64 v[186:187], -v[182:183], v[184:185], 1.0
	v_fma_f64 v[184:185], v[184:185], v[186:187], v[184:185]
	v_fma_f64 v[186:187], -v[182:183], v[184:185], 1.0
	v_fma_f64 v[184:185], v[184:185], v[186:187], v[184:185]
	v_div_scale_f64 v[186:187], vcc_lo, 1.0, v[178:179], 1.0
	v_mul_f64 v[188:189], v[186:187], v[184:185]
	v_fma_f64 v[182:183], -v[182:183], v[188:189], v[186:187]
	v_div_fmas_f64 v[182:183], v[182:183], v[184:185], v[188:189]
	v_mov_b32_e32 v187, v190
	v_mov_b32_e32 v188, v191
	;; [unrolled: 1-line block ×21, first 2 shown]
	v_div_fixup_f64 v[178:179], v[182:183], v[178:179], 1.0
	v_mov_b32_e32 v206, v209
	v_mov_b32_e32 v207, v210
	;; [unrolled: 1-line block ×21, first 2 shown]
	v_mul_f64 v[180:181], v[180:181], -v[178:179]
	v_mov_b32_e32 v227, v230
	v_mov_b32_e32 v228, v231
	;; [unrolled: 1-line block ×28, first 2 shown]
.LBB71_322:
	s_or_b32 exec_lo, exec_lo, s1
	ds_write2_b64 v1, v[178:179], v[180:181] offset1:1
.LBB71_323:
	s_or_b32 exec_lo, exec_lo, s2
	s_waitcnt lgkmcnt(0)
	s_barrier
	buffer_gl0_inv
	ds_read2_b64 v[178:181], v1 offset1:1
	s_mov_b32 s1, exec_lo
	v_cmpx_lt_u32_e32 35, v0
	s_cbranch_execz .LBB71_325
; %bb.324:
	s_waitcnt lgkmcnt(0)
	v_mul_f64 v[0:1], v[180:181], v[4:5]
	v_mul_f64 v[4:5], v[178:179], v[4:5]
	v_fma_f64 v[0:1], v[178:179], v[2:3], -v[0:1]
	v_fma_f64 v[4:5], v[180:181], v[2:3], v[4:5]
	v_mov_b32_e32 v3, v1
	v_mov_b32_e32 v2, v0
.LBB71_325:
	s_or_b32 exec_lo, exec_lo, s1
	s_waitcnt lgkmcnt(0)
	s_barrier
	buffer_gl0_inv
	s_and_saveexec_b32 s7, s0
	s_cbranch_execz .LBB71_328
; %bb.326:
	s_clause 0x3
	buffer_load_dword v146, off, s[16:19], 0 offset:16
	buffer_load_dword v147, off, s[16:19], 0 offset:20
	;; [unrolled: 1-line block ×4, first 2 shown]
	s_waitcnt vmcnt(2)
	v_cmp_eq_f64_e32 vcc_lo, 0, v[146:147]
	s_waitcnt vmcnt(0)
	v_cmp_eq_f64_e64 s0, 0, v[148:149]
	s_clause 0x3
	buffer_load_dword v146, off, s[16:19], 0 offset:32
	buffer_load_dword v147, off, s[16:19], 0 offset:36
	;; [unrolled: 1-line block ×4, first 2 shown]
	s_and_b32 s0, vcc_lo, s0
	v_cndmask_b32_e64 v0, 0, 1, s0
	s_waitcnt vmcnt(2)
	v_cmp_neq_f64_e64 s1, 0, v[146:147]
	s_waitcnt vmcnt(0)
	v_cmp_neq_f64_e64 s2, 0, v[148:149]
	s_clause 0x3
	buffer_load_dword v146, off, s[16:19], 0 offset:48
	buffer_load_dword v147, off, s[16:19], 0 offset:52
	;; [unrolled: 1-line block ×4, first 2 shown]
	s_or_b32 s1, s1, s2
	s_or_b32 s0, s1, s0
	v_cndmask_b32_e64 v0, 2, v0, s0
	v_cmp_eq_u32_e64 s0, 0, v0
	s_waitcnt vmcnt(2)
	v_cmp_eq_f64_e64 s3, 0, v[146:147]
	s_waitcnt vmcnt(0)
	v_cmp_eq_f64_e64 s4, 0, v[148:149]
	s_clause 0x3
	buffer_load_dword v146, off, s[16:19], 0 offset:64
	buffer_load_dword v147, off, s[16:19], 0 offset:68
	;; [unrolled: 1-line block ×4, first 2 shown]
	s_and_b32 s3, s3, s4
	s_and_b32 s0, s3, s0
	v_cndmask_b32_e64 v0, v0, 3, s0
	v_cmp_eq_u32_e64 s0, 0, v0
	s_waitcnt vmcnt(2)
	v_cmp_eq_f64_e64 s5, 0, v[146:147]
	s_waitcnt vmcnt(0)
	v_cmp_eq_f64_e32 vcc_lo, 0, v[148:149]
	s_clause 0x3
	buffer_load_dword v146, off, s[16:19], 0 offset:80
	buffer_load_dword v147, off, s[16:19], 0 offset:84
	;; [unrolled: 1-line block ×4, first 2 shown]
	s_and_b32 s5, s5, vcc_lo
	s_and_b32 s0, s5, s0
	v_cndmask_b32_e64 v0, v0, 4, s0
	v_cmp_eq_u32_e32 vcc_lo, 0, v0
	s_waitcnt vmcnt(2)
	v_cmp_eq_f64_e64 s1, 0, v[146:147]
	s_waitcnt vmcnt(0)
	v_cmp_eq_f64_e64 s2, 0, v[148:149]
	s_clause 0x3
	buffer_load_dword v146, off, s[16:19], 0 offset:96
	buffer_load_dword v147, off, s[16:19], 0 offset:100
	buffer_load_dword v148, off, s[16:19], 0 offset:104
	buffer_load_dword v149, off, s[16:19], 0 offset:108
	s_and_b32 s0, s1, s2
	s_and_b32 s0, s0, vcc_lo
	v_cndmask_b32_e64 v0, v0, 5, s0
	v_cmp_eq_u32_e64 s1, 0, v0
	s_waitcnt vmcnt(2)
	v_cmp_eq_f64_e64 s3, 0, v[146:147]
	s_waitcnt vmcnt(0)
	v_cmp_eq_f64_e64 s4, 0, v[148:149]
	s_clause 0x3
	buffer_load_dword v146, off, s[16:19], 0 offset:112
	buffer_load_dword v147, off, s[16:19], 0 offset:116
	buffer_load_dword v148, off, s[16:19], 0 offset:120
	buffer_load_dword v149, off, s[16:19], 0 offset:124
	s_and_b32 s2, s3, s4
	s_and_b32 s1, s2, s1
	v_cndmask_b32_e64 v182, v0, 6, s1
	v_lshlrev_b64 v[0:1], 2, v[235:236]
	v_cmp_eq_u32_e64 s3, 0, v182
	v_add_co_u32 v0, s4, s10, v0
	v_add_co_ci_u32_e64 v1, null, s11, v1, s4
	s_waitcnt vmcnt(2)
	v_cmp_eq_f64_e64 s5, 0, v[146:147]
	s_waitcnt vmcnt(0)
	v_cmp_eq_f64_e64 s6, 0, v[148:149]
	s_clause 0x3
	buffer_load_dword v146, off, s[16:19], 0 offset:128
	buffer_load_dword v147, off, s[16:19], 0 offset:132
	;; [unrolled: 1-line block ×4, first 2 shown]
	s_and_b32 s5, s5, s6
	s_and_b32 s3, s5, s3
	v_cndmask_b32_e64 v182, v182, 7, s3
	v_cmp_eq_u32_e64 s3, 0, v182
	s_waitcnt vmcnt(2)
	v_cmp_eq_f64_e32 vcc_lo, 0, v[146:147]
	s_waitcnt vmcnt(0)
	v_cmp_eq_f64_e64 s0, 0, v[148:149]
	s_clause 0x3
	buffer_load_dword v146, off, s[16:19], 0 offset:144
	buffer_load_dword v147, off, s[16:19], 0 offset:148
	buffer_load_dword v148, off, s[16:19], 0 offset:152
	buffer_load_dword v149, off, s[16:19], 0 offset:156
	global_load_dword v183, v[0:1], off
	s_and_b32 s0, vcc_lo, s0
	s_and_b32 s0, s0, s3
	v_cndmask_b32_e64 v182, v182, 8, s0
	v_cmp_eq_u32_e32 vcc_lo, 0, v182
	s_waitcnt vmcnt(3)
	v_cmp_eq_f64_e64 s1, 0, v[146:147]
	s_waitcnt vmcnt(1)
	v_cmp_eq_f64_e64 s2, 0, v[148:149]
	s_clause 0x3
	buffer_load_dword v146, off, s[16:19], 0 offset:160
	buffer_load_dword v147, off, s[16:19], 0 offset:164
	buffer_load_dword v148, off, s[16:19], 0 offset:168
	buffer_load_dword v149, off, s[16:19], 0 offset:172
	s_and_b32 s1, s1, s2
	s_and_b32 s1, s1, vcc_lo
	v_cndmask_b32_e64 v182, v182, 9, s1
	v_cmp_eq_u32_e32 vcc_lo, 0, v182
	s_waitcnt vmcnt(2)
	v_cmp_eq_f64_e64 s4, 0, v[146:147]
	s_waitcnt vmcnt(0)
	v_cmp_eq_f64_e64 s5, 0, v[148:149]
	s_clause 0x3
	buffer_load_dword v146, off, s[16:19], 0 offset:176
	buffer_load_dword v147, off, s[16:19], 0 offset:180
	buffer_load_dword v148, off, s[16:19], 0 offset:184
	buffer_load_dword v149, off, s[16:19], 0 offset:188
	s_and_b32 s4, s4, s5
	s_and_b32 s4, s4, vcc_lo
	;; [unrolled: 13-line block ×17, first 2 shown]
	v_cndmask_b32_e64 v182, v182, 25, s4
	v_cmp_eq_u32_e32 vcc_lo, 0, v182
	s_waitcnt vmcnt(2)
	v_cmp_eq_f64_e64 s0, 0, v[146:147]
	s_waitcnt vmcnt(0)
	v_cmp_eq_f64_e64 s3, 0, v[148:149]
	s_clause 0x3
	buffer_load_dword v146, off, s[16:19], 0 offset:432
	buffer_load_dword v147, off, s[16:19], 0 offset:436
	;; [unrolled: 1-line block ×4, first 2 shown]
	s_and_b32 s0, s0, s3
	v_cmp_eq_f64_e64 s3, 0, v[152:153]
	s_and_b32 s0, s0, vcc_lo
	s_waitcnt vmcnt(2)
	v_cmp_eq_f64_e64 s1, 0, v[146:147]
	s_waitcnt vmcnt(0)
	v_cmp_eq_f64_e64 s2, 0, v[148:149]
	s_clause 0x3
	buffer_load_dword v146, off, s[16:19], 0 offset:448
	buffer_load_dword v147, off, s[16:19], 0 offset:452
	;; [unrolled: 1-line block ×4, first 2 shown]
	s_and_b32 s1, s1, s2
	v_cmp_eq_f64_e64 s2, 0, v[156:157]
	s_waitcnt vmcnt(2)
	v_cmp_eq_f64_e64 s4, 0, v[146:147]
	v_cndmask_b32_e64 v146, v182, 26, s0
	s_waitcnt vmcnt(0)
	v_cmp_eq_f64_e64 s5, 0, v[148:149]
	v_cmp_eq_f64_e64 s0, 0, v[150:151]
	v_cmp_eq_u32_e32 vcc_lo, 0, v146
	s_and_b32 s1, s1, vcc_lo
	v_cndmask_b32_e64 v146, v146, 27, s1
	v_cmp_eq_f64_e64 s1, 0, v[154:155]
	v_cmp_eq_u32_e32 vcc_lo, 0, v146
	s_and_b32 s4, s4, s5
	s_and_b32 s0, s0, s3
	s_and_b32 s4, s4, vcc_lo
	v_cmp_eq_f64_e64 s5, 0, v[160:161]
	v_cndmask_b32_e64 v146, v146, 28, s4
	v_cmp_eq_f64_e64 s4, 0, v[158:159]
	v_cmp_eq_f64_e64 s3, 0, v[164:165]
	v_cmp_eq_u32_e32 vcc_lo, 0, v146
	s_and_b32 s1, s1, s2
	v_cmp_eq_f64_e64 s2, 0, v[168:169]
	s_and_b32 s0, s0, vcc_lo
	v_cndmask_b32_e64 v146, v146, 29, s0
	v_cmp_eq_f64_e64 s0, 0, v[162:163]
	v_cmp_eq_u32_e32 vcc_lo, 0, v146
	s_and_b32 s1, s1, vcc_lo
	s_and_b32 s4, s4, s5
	v_cndmask_b32_e64 v146, v146, 30, s1
	v_cmp_eq_f64_e64 s1, 0, v[166:167]
	v_cmp_eq_f64_e64 s5, 0, v[172:173]
	v_cmp_eq_u32_e32 vcc_lo, 0, v146
	s_and_b32 s4, s4, vcc_lo
	s_and_b32 s0, s0, s3
	v_cndmask_b32_e64 v146, v146, 31, s4
	v_cmp_eq_f64_e64 s4, 0, v[170:171]
	;; [unrolled: 6-line block ×4, first 2 shown]
	v_cmp_eq_u32_e32 vcc_lo, 0, v146
	s_and_b32 s4, s4, vcc_lo
	s_and_b32 s0, s0, s3
	v_cndmask_b32_e64 v146, v146, 34, s4
	v_cmp_eq_u32_e32 vcc_lo, 0, v146
	s_and_b32 s0, s0, vcc_lo
	v_cndmask_b32_e64 v146, v146, 35, s0
	s_and_b32 s0, s1, s2
	v_cmp_eq_u32_e32 vcc_lo, 0, v146
	s_and_b32 s0, s0, vcc_lo
	v_cmp_eq_u32_e32 vcc_lo, 0, v183
	v_cndmask_b32_e64 v146, v146, 36, s0
	v_cmp_ne_u32_e64 s0, 0, v146
	s_and_b32 s0, vcc_lo, s0
	s_and_b32 exec_lo, exec_lo, s0
	s_cbranch_execz .LBB71_328
; %bb.327:
	v_add_nc_u32_e32 v146, s13, v146
	global_store_dword v[0:1], v146, off
.LBB71_328:
	s_or_b32 exec_lo, exec_lo, s7
	s_clause 0x1
	buffer_load_dword v0, off, s[16:19], 0 offset:8
	buffer_load_dword v1, off, s[16:19], 0 offset:12
	s_waitcnt vmcnt(0)
	global_store_dwordx4 v[0:1], v[142:145], off
	s_clause 0x1
	buffer_load_dword v0, off, s[16:19], 0
	buffer_load_dword v1, off, s[16:19], 0 offset:4
	s_waitcnt vmcnt(0)
	global_store_dwordx4 v[0:1], v[138:141], off
	global_store_dwordx4 v[189:190], v[134:137], off
	;; [unrolled: 1-line block ×35, first 2 shown]
.LBB71_329:
	s_endpgm
	.section	.rodata,"a",@progbits
	.p2align	6, 0x0
	.amdhsa_kernel _ZN9rocsolver6v33100L23getf2_npvt_small_kernelILi36E19rocblas_complex_numIdEiiPS3_EEvT1_T3_lS5_lPT2_S5_S5_
		.amdhsa_group_segment_fixed_size 0
		.amdhsa_private_segment_fixed_size 468
		.amdhsa_kernarg_size 312
		.amdhsa_user_sgpr_count 6
		.amdhsa_user_sgpr_private_segment_buffer 1
		.amdhsa_user_sgpr_dispatch_ptr 0
		.amdhsa_user_sgpr_queue_ptr 0
		.amdhsa_user_sgpr_kernarg_segment_ptr 1
		.amdhsa_user_sgpr_dispatch_id 0
		.amdhsa_user_sgpr_flat_scratch_init 0
		.amdhsa_user_sgpr_private_segment_size 0
		.amdhsa_wavefront_size32 1
		.amdhsa_uses_dynamic_stack 0
		.amdhsa_system_sgpr_private_segment_wavefront_offset 1
		.amdhsa_system_sgpr_workgroup_id_x 1
		.amdhsa_system_sgpr_workgroup_id_y 1
		.amdhsa_system_sgpr_workgroup_id_z 0
		.amdhsa_system_sgpr_workgroup_info 0
		.amdhsa_system_vgpr_workitem_id 1
		.amdhsa_next_free_vgpr 256
		.amdhsa_next_free_sgpr 20
		.amdhsa_reserve_vcc 1
		.amdhsa_reserve_flat_scratch 0
		.amdhsa_float_round_mode_32 0
		.amdhsa_float_round_mode_16_64 0
		.amdhsa_float_denorm_mode_32 3
		.amdhsa_float_denorm_mode_16_64 3
		.amdhsa_dx10_clamp 1
		.amdhsa_ieee_mode 1
		.amdhsa_fp16_overflow 0
		.amdhsa_workgroup_processor_mode 1
		.amdhsa_memory_ordered 1
		.amdhsa_forward_progress 1
		.amdhsa_shared_vgpr_count 0
		.amdhsa_exception_fp_ieee_invalid_op 0
		.amdhsa_exception_fp_denorm_src 0
		.amdhsa_exception_fp_ieee_div_zero 0
		.amdhsa_exception_fp_ieee_overflow 0
		.amdhsa_exception_fp_ieee_underflow 0
		.amdhsa_exception_fp_ieee_inexact 0
		.amdhsa_exception_int_div_zero 0
	.end_amdhsa_kernel
	.section	.text._ZN9rocsolver6v33100L23getf2_npvt_small_kernelILi36E19rocblas_complex_numIdEiiPS3_EEvT1_T3_lS5_lPT2_S5_S5_,"axG",@progbits,_ZN9rocsolver6v33100L23getf2_npvt_small_kernelILi36E19rocblas_complex_numIdEiiPS3_EEvT1_T3_lS5_lPT2_S5_S5_,comdat
.Lfunc_end71:
	.size	_ZN9rocsolver6v33100L23getf2_npvt_small_kernelILi36E19rocblas_complex_numIdEiiPS3_EEvT1_T3_lS5_lPT2_S5_S5_, .Lfunc_end71-_ZN9rocsolver6v33100L23getf2_npvt_small_kernelILi36E19rocblas_complex_numIdEiiPS3_EEvT1_T3_lS5_lPT2_S5_S5_
                                        ; -- End function
	.set _ZN9rocsolver6v33100L23getf2_npvt_small_kernelILi36E19rocblas_complex_numIdEiiPS3_EEvT1_T3_lS5_lPT2_S5_S5_.num_vgpr, 256
	.set _ZN9rocsolver6v33100L23getf2_npvt_small_kernelILi36E19rocblas_complex_numIdEiiPS3_EEvT1_T3_lS5_lPT2_S5_S5_.num_agpr, 0
	.set _ZN9rocsolver6v33100L23getf2_npvt_small_kernelILi36E19rocblas_complex_numIdEiiPS3_EEvT1_T3_lS5_lPT2_S5_S5_.numbered_sgpr, 20
	.set _ZN9rocsolver6v33100L23getf2_npvt_small_kernelILi36E19rocblas_complex_numIdEiiPS3_EEvT1_T3_lS5_lPT2_S5_S5_.num_named_barrier, 0
	.set _ZN9rocsolver6v33100L23getf2_npvt_small_kernelILi36E19rocblas_complex_numIdEiiPS3_EEvT1_T3_lS5_lPT2_S5_S5_.private_seg_size, 468
	.set _ZN9rocsolver6v33100L23getf2_npvt_small_kernelILi36E19rocblas_complex_numIdEiiPS3_EEvT1_T3_lS5_lPT2_S5_S5_.uses_vcc, 1
	.set _ZN9rocsolver6v33100L23getf2_npvt_small_kernelILi36E19rocblas_complex_numIdEiiPS3_EEvT1_T3_lS5_lPT2_S5_S5_.uses_flat_scratch, 0
	.set _ZN9rocsolver6v33100L23getf2_npvt_small_kernelILi36E19rocblas_complex_numIdEiiPS3_EEvT1_T3_lS5_lPT2_S5_S5_.has_dyn_sized_stack, 0
	.set _ZN9rocsolver6v33100L23getf2_npvt_small_kernelILi36E19rocblas_complex_numIdEiiPS3_EEvT1_T3_lS5_lPT2_S5_S5_.has_recursion, 0
	.set _ZN9rocsolver6v33100L23getf2_npvt_small_kernelILi36E19rocblas_complex_numIdEiiPS3_EEvT1_T3_lS5_lPT2_S5_S5_.has_indirect_call, 0
	.section	.AMDGPU.csdata,"",@progbits
; Kernel info:
; codeLenInByte = 71536
; TotalNumSgprs: 22
; NumVgprs: 256
; ScratchSize: 468
; MemoryBound: 1
; FloatMode: 240
; IeeeMode: 1
; LDSByteSize: 0 bytes/workgroup (compile time only)
; SGPRBlocks: 0
; VGPRBlocks: 31
; NumSGPRsForWavesPerEU: 22
; NumVGPRsForWavesPerEU: 256
; Occupancy: 4
; WaveLimiterHint : 0
; COMPUTE_PGM_RSRC2:SCRATCH_EN: 1
; COMPUTE_PGM_RSRC2:USER_SGPR: 6
; COMPUTE_PGM_RSRC2:TRAP_HANDLER: 0
; COMPUTE_PGM_RSRC2:TGID_X_EN: 1
; COMPUTE_PGM_RSRC2:TGID_Y_EN: 1
; COMPUTE_PGM_RSRC2:TGID_Z_EN: 0
; COMPUTE_PGM_RSRC2:TIDIG_COMP_CNT: 1
	.section	.text._ZN9rocsolver6v33100L18getf2_small_kernelILi37E19rocblas_complex_numIdEiiPS3_EEvT1_T3_lS5_lPS5_llPT2_S5_S5_S7_l,"axG",@progbits,_ZN9rocsolver6v33100L18getf2_small_kernelILi37E19rocblas_complex_numIdEiiPS3_EEvT1_T3_lS5_lPS5_llPT2_S5_S5_S7_l,comdat
	.globl	_ZN9rocsolver6v33100L18getf2_small_kernelILi37E19rocblas_complex_numIdEiiPS3_EEvT1_T3_lS5_lPS5_llPT2_S5_S5_S7_l ; -- Begin function _ZN9rocsolver6v33100L18getf2_small_kernelILi37E19rocblas_complex_numIdEiiPS3_EEvT1_T3_lS5_lPS5_llPT2_S5_S5_S7_l
	.p2align	8
	.type	_ZN9rocsolver6v33100L18getf2_small_kernelILi37E19rocblas_complex_numIdEiiPS3_EEvT1_T3_lS5_lPS5_llPT2_S5_S5_S7_l,@function
_ZN9rocsolver6v33100L18getf2_small_kernelILi37E19rocblas_complex_numIdEiiPS3_EEvT1_T3_lS5_lPS5_llPT2_S5_S5_S7_l: ; @_ZN9rocsolver6v33100L18getf2_small_kernelILi37E19rocblas_complex_numIdEiiPS3_EEvT1_T3_lS5_lPS5_llPT2_S5_S5_S7_l
; %bb.0:
	s_clause 0x1
	s_load_dword s0, s[4:5], 0x6c
	s_load_dwordx2 s[16:17], s[4:5], 0x48
	s_waitcnt lgkmcnt(0)
	s_lshr_b32 s0, s0, 16
	v_mad_u64_u32 v[154:155], null, s7, s0, v[1:2]
	s_mov_b32 s0, exec_lo
	v_cmpx_gt_i32_e64 s16, v154
	s_cbranch_execz .LBB72_780
; %bb.1:
	s_load_dwordx4 s[0:3], s[4:5], 0x50
	v_mov_b32_e32 v156, 0
	v_ashrrev_i32_e32 v155, 31, v154
	v_mov_b32_e32 v157, 0
	s_waitcnt lgkmcnt(0)
	s_cmp_eq_u64 s[0:1], 0
	s_cselect_b32 s16, -1, 0
	s_and_b32 vcc_lo, exec_lo, s16
	s_cbranch_vccnz .LBB72_3
; %bb.2:
	v_mul_lo_u32 v4, s3, v154
	v_mul_lo_u32 v5, s2, v155
	v_mad_u64_u32 v[2:3], null, s2, v154, 0
	v_add3_u32 v3, v3, v5, v4
	v_lshlrev_b64 v[2:3], 2, v[2:3]
	v_add_co_u32 v156, vcc_lo, s0, v2
	v_add_co_ci_u32_e64 v157, null, s1, v3, vcc_lo
.LBB72_3:
	s_clause 0x2
	s_load_dwordx8 s[8:15], s[4:5], 0x20
	s_load_dword s2, s[4:5], 0x18
	s_load_dwordx4 s[20:23], s[4:5], 0x8
	v_lshlrev_b32_e32 v152, 4, v0
	s_clause 0x1
	s_load_dword s1, s[4:5], 0x0
	s_load_dwordx2 s[4:5], s[4:5], 0x40
	s_waitcnt lgkmcnt(0)
	v_mul_lo_u32 v5, s9, v154
	v_add3_u32 v4, s2, s2, v0
	v_mul_lo_u32 v7, s8, v155
	v_mad_u64_u32 v[2:3], null, s8, v154, 0
	s_lshl_b64 s[8:9], s[22:23], 4
	v_add_nc_u32_e32 v6, s2, v4
	s_ashr_i32 s3, s2, 31
	s_max_i32 s0, s1, 37
	s_lshl_b64 s[6:7], s[2:3], 4
	v_mul_lo_u32 v158, s0, v1
	v_add3_u32 v3, v3, v7, v5
	v_add_nc_u32_e32 v8, s2, v6
	v_ashrrev_i32_e32 v5, 31, v4
	v_ashrrev_i32_e32 v7, 31, v6
	s_cmp_lt_i32 s1, 2
	v_lshlrev_b64 v[2:3], 4, v[2:3]
	v_add_nc_u32_e32 v10, s2, v8
	v_ashrrev_i32_e32 v9, 31, v8
	v_lshlrev_b64 v[4:5], 4, v[4:5]
	v_lshlrev_b64 v[6:7], 4, v[6:7]
	v_lshl_add_u32 v1, v158, 4, 0
	v_add_co_u32 v12, vcc_lo, s20, v2
	v_add_nc_u32_e32 v2, s2, v10
	v_add_co_ci_u32_e64 v3, null, s21, v3, vcc_lo
	v_add_co_u32 v161, vcc_lo, v12, s8
	v_add_nc_u32_e32 v12, s2, v2
	v_ashrrev_i32_e32 v11, 31, v10
	v_add_co_ci_u32_e64 v162, null, s9, v3, vcc_lo
	v_lshlrev_b64 v[8:9], 4, v[8:9]
	v_add_co_u32 v14, vcc_lo, v161, v152
	v_add_nc_u32_e32 v16, s2, v12
	v_ashrrev_i32_e32 v3, 31, v2
	v_lshlrev_b64 v[10:11], 4, v[10:11]
	v_add_co_ci_u32_e64 v15, null, 0, v162, vcc_lo
	v_add_co_u32 v4, vcc_lo, v161, v4
	v_ashrrev_i32_e32 v13, 31, v12
	v_add_co_ci_u32_e64 v5, null, v162, v5, vcc_lo
	v_add_co_u32 v6, vcc_lo, v161, v6
	v_add_nc_u32_e32 v18, s2, v16
	v_lshlrev_b64 v[2:3], 4, v[2:3]
	v_add_co_ci_u32_e64 v7, null, v162, v7, vcc_lo
	v_add_co_u32 v8, vcc_lo, v161, v8
	v_add_co_ci_u32_e64 v9, null, v162, v9, vcc_lo
	v_add_co_u32 v10, vcc_lo, v161, v10
	v_lshlrev_b64 v[12:13], 4, v[12:13]
	v_add_co_ci_u32_e64 v11, null, v162, v11, vcc_lo
	v_ashrrev_i32_e32 v17, 31, v16
	v_add_co_u32 v20, vcc_lo, v14, s6
	s_clause 0x1
	global_load_dwordx4 v[134:137], v[4:5], off
	global_load_dwordx4 v[130:133], v[6:7], off
	v_add_nc_u32_e32 v6, s2, v18
	v_add_co_ci_u32_e64 v21, null, s7, v15, vcc_lo
	v_add_co_u32 v2, vcc_lo, v161, v2
	v_ashrrev_i32_e32 v19, 31, v18
	v_add_co_ci_u32_e64 v3, null, v162, v3, vcc_lo
	s_clause 0x1
	global_load_dwordx4 v[138:141], v[8:9], off
	global_load_dwordx4 v[122:125], v[10:11], off
	v_add_co_u32 v8, vcc_lo, v161, v12
	v_lshlrev_b64 v[4:5], 4, v[16:17]
	v_ashrrev_i32_e32 v7, 31, v6
	v_add_nc_u32_e32 v12, s2, v6
	v_add_co_ci_u32_e64 v9, null, v162, v13, vcc_lo
	v_lshlrev_b64 v[10:11], 4, v[18:19]
	s_clause 0x3
	global_load_dwordx4 v[142:145], v[14:15], off
	global_load_dwordx4 v[146:149], v[20:21], off
	;; [unrolled: 1-line block ×4, first 2 shown]
	v_lshlrev_b64 v[2:3], 4, v[6:7]
	v_ashrrev_i32_e32 v13, 31, v12
	v_add_nc_u32_e32 v6, s2, v12
	v_add_co_u32 v4, vcc_lo, v161, v4
	v_add_co_ci_u32_e64 v5, null, v162, v5, vcc_lo
	v_add_co_u32 v8, vcc_lo, v161, v10
	v_add_co_ci_u32_e64 v9, null, v162, v11, vcc_lo
	v_lshlrev_b64 v[10:11], 4, v[12:13]
	v_ashrrev_i32_e32 v7, 31, v6
	v_add_nc_u32_e32 v12, s2, v6
	s_clause 0x1
	global_load_dwordx4 v[118:121], v[4:5], off
	global_load_dwordx4 v[114:117], v[8:9], off
	v_add_co_u32 v2, vcc_lo, v161, v2
	v_lshlrev_b64 v[4:5], 4, v[6:7]
	v_ashrrev_i32_e32 v13, 31, v12
	v_add_nc_u32_e32 v6, s2, v12
	v_add_co_ci_u32_e64 v3, null, v162, v3, vcc_lo
	v_add_co_u32 v8, vcc_lo, v161, v10
	v_add_co_ci_u32_e64 v9, null, v162, v11, vcc_lo
	v_lshlrev_b64 v[10:11], 4, v[12:13]
	v_ashrrev_i32_e32 v7, 31, v6
	v_add_nc_u32_e32 v12, s2, v6
	s_clause 0x1
	global_load_dwordx4 v[106:109], v[2:3], off
	global_load_dwordx4 v[102:105], v[8:9], off
	v_add_co_u32 v4, vcc_lo, v161, v4
	v_lshlrev_b64 v[2:3], 4, v[6:7]
	v_ashrrev_i32_e32 v13, 31, v12
	v_add_nc_u32_e32 v6, s2, v12
	;; [unrolled: 13-line block ×11, first 2 shown]
	v_add_co_ci_u32_e64 v3, null, v162, v3, vcc_lo
	v_add_co_u32 v8, vcc_lo, v161, v10
	v_add_co_ci_u32_e64 v9, null, v162, v11, vcc_lo
	v_lshlrev_b64 v[10:11], 4, v[12:13]
	v_ashrrev_i32_e32 v7, 31, v6
	v_add_nc_u32_e32 v12, s2, v6
	s_clause 0x1
	global_load_dwordx4 v[26:29], v[2:3], off
	global_load_dwordx4 v[22:25], v[8:9], off
	v_add_co_u32 v4, vcc_lo, v161, v4
	v_lshlrev_b64 v[2:3], 4, v[6:7]
	v_add_nc_u32_e32 v6, s2, v12
	v_ashrrev_i32_e32 v13, 31, v12
	v_add_co_ci_u32_e64 v5, null, v162, v5, vcc_lo
	v_add_co_u32 v10, vcc_lo, v161, v10
	v_ashrrev_i32_e32 v7, 31, v6
	v_lshlrev_b64 v[8:9], 4, v[12:13]
	v_add_co_ci_u32_e64 v11, null, v162, v11, vcc_lo
	v_add_co_u32 v2, vcc_lo, v161, v2
	v_lshlrev_b64 v[6:7], 4, v[6:7]
	v_add_co_ci_u32_e64 v3, null, v162, v3, vcc_lo
	v_add_co_u32 v12, vcc_lo, v161, v8
	v_add_co_ci_u32_e64 v13, null, v162, v9, vcc_lo
	v_add_co_u32 v150, vcc_lo, v161, v6
	v_add_co_ci_u32_e64 v151, null, v162, v7, vcc_lo
	s_clause 0x4
	global_load_dwordx4 v[6:9], v[4:5], off
	global_load_dwordx4 v[18:21], v[10:11], off
	;; [unrolled: 1-line block ×5, first 2 shown]
	v_add_nc_u32_e32 v150, v1, v152
	v_lshlrev_b32_e32 v160, 4, v158
	v_mov_b32_e32 v158, 0
	s_waitcnt vmcnt(32)
	ds_write2_b64 v150, v[142:143], v[144:145] offset1:1
	s_waitcnt vmcnt(0) lgkmcnt(0)
	s_barrier
	buffer_gl0_inv
	ds_read2_b64 v[150:153], v1 offset1:1
	s_cbranch_scc1 .LBB72_6
; %bb.4:
	v_add3_u32 v159, v160, 0, 16
	v_mov_b32_e32 v158, 0
	s_mov_b32 s3, 1
	s_inst_prefetch 0x1
	.p2align	6
.LBB72_5:                               ; =>This Inner Loop Header: Depth=1
	s_waitcnt lgkmcnt(0)
	v_cmp_gt_f64_e32 vcc_lo, 0, v[152:153]
	v_cmp_gt_f64_e64 s0, 0, v[150:151]
	ds_read2_b64 v[163:166], v159 offset1:1
	v_xor_b32_e32 v168, 0x80000000, v151
	v_xor_b32_e32 v170, 0x80000000, v153
	v_mov_b32_e32 v167, v150
	v_mov_b32_e32 v169, v152
	v_add_nc_u32_e32 v159, 16, v159
	s_waitcnt lgkmcnt(0)
	v_xor_b32_e32 v172, 0x80000000, v166
	v_cndmask_b32_e64 v168, v151, v168, s0
	v_cndmask_b32_e32 v170, v153, v170, vcc_lo
	v_cmp_gt_f64_e32 vcc_lo, 0, v[165:166]
	v_cmp_gt_f64_e64 s0, 0, v[163:164]
	v_mov_b32_e32 v171, v165
	v_add_f64 v[167:168], v[167:168], v[169:170]
	v_xor_b32_e32 v170, 0x80000000, v164
	v_mov_b32_e32 v169, v163
	v_cndmask_b32_e32 v172, v166, v172, vcc_lo
	v_cndmask_b32_e64 v170, v164, v170, s0
	v_add_f64 v[169:170], v[169:170], v[171:172]
	v_cmp_lt_f64_e32 vcc_lo, v[167:168], v[169:170]
	v_cndmask_b32_e32 v151, v151, v164, vcc_lo
	v_cndmask_b32_e32 v150, v150, v163, vcc_lo
	;; [unrolled: 1-line block ×4, first 2 shown]
	v_cndmask_b32_e64 v158, v158, s3, vcc_lo
	s_add_i32 s3, s3, 1
	s_cmp_eq_u32 s1, s3
	s_cbranch_scc0 .LBB72_5
.LBB72_6:
	s_inst_prefetch 0x2
	s_waitcnt lgkmcnt(0)
	v_cmp_neq_f64_e32 vcc_lo, 0, v[150:151]
	v_cmp_neq_f64_e64 s0, 0, v[152:153]
	v_mov_b32_e32 v163, 1
	v_mov_b32_e32 v165, 1
	s_or_b32 s3, vcc_lo, s0
	s_and_saveexec_b32 s0, s3
	s_cbranch_execz .LBB72_12
; %bb.7:
	v_cmp_ngt_f64_e64 s3, |v[150:151]|, |v[152:153]|
	s_and_saveexec_b32 s8, s3
	s_xor_b32 s3, exec_lo, s8
	s_cbranch_execz .LBB72_9
; %bb.8:
	v_div_scale_f64 v[163:164], null, v[152:153], v[152:153], v[150:151]
	v_div_scale_f64 v[169:170], vcc_lo, v[150:151], v[152:153], v[150:151]
	v_rcp_f64_e32 v[165:166], v[163:164]
	v_fma_f64 v[167:168], -v[163:164], v[165:166], 1.0
	v_fma_f64 v[165:166], v[165:166], v[167:168], v[165:166]
	v_fma_f64 v[167:168], -v[163:164], v[165:166], 1.0
	v_fma_f64 v[165:166], v[165:166], v[167:168], v[165:166]
	v_mul_f64 v[167:168], v[169:170], v[165:166]
	v_fma_f64 v[163:164], -v[163:164], v[167:168], v[169:170]
	v_div_fmas_f64 v[163:164], v[163:164], v[165:166], v[167:168]
	v_div_fixup_f64 v[163:164], v[163:164], v[152:153], v[150:151]
	v_fma_f64 v[150:151], v[150:151], v[163:164], v[152:153]
	v_div_scale_f64 v[152:153], null, v[150:151], v[150:151], 1.0
	v_rcp_f64_e32 v[165:166], v[152:153]
	v_fma_f64 v[167:168], -v[152:153], v[165:166], 1.0
	v_fma_f64 v[165:166], v[165:166], v[167:168], v[165:166]
	v_fma_f64 v[167:168], -v[152:153], v[165:166], 1.0
	v_fma_f64 v[165:166], v[165:166], v[167:168], v[165:166]
	v_div_scale_f64 v[167:168], vcc_lo, 1.0, v[150:151], 1.0
	v_mul_f64 v[169:170], v[167:168], v[165:166]
	v_fma_f64 v[152:153], -v[152:153], v[169:170], v[167:168]
	v_div_fmas_f64 v[152:153], v[152:153], v[165:166], v[169:170]
	v_div_fixup_f64 v[152:153], v[152:153], v[150:151], 1.0
	v_mul_f64 v[150:151], v[163:164], v[152:153]
	v_xor_b32_e32 v153, 0x80000000, v153
.LBB72_9:
	s_andn2_saveexec_b32 s3, s3
	s_cbranch_execz .LBB72_11
; %bb.10:
	v_div_scale_f64 v[163:164], null, v[150:151], v[150:151], v[152:153]
	v_div_scale_f64 v[169:170], vcc_lo, v[152:153], v[150:151], v[152:153]
	v_rcp_f64_e32 v[165:166], v[163:164]
	v_fma_f64 v[167:168], -v[163:164], v[165:166], 1.0
	v_fma_f64 v[165:166], v[165:166], v[167:168], v[165:166]
	v_fma_f64 v[167:168], -v[163:164], v[165:166], 1.0
	v_fma_f64 v[165:166], v[165:166], v[167:168], v[165:166]
	v_mul_f64 v[167:168], v[169:170], v[165:166]
	v_fma_f64 v[163:164], -v[163:164], v[167:168], v[169:170]
	v_div_fmas_f64 v[163:164], v[163:164], v[165:166], v[167:168]
	v_div_fixup_f64 v[163:164], v[163:164], v[150:151], v[152:153]
	v_fma_f64 v[150:151], v[152:153], v[163:164], v[150:151]
	v_div_scale_f64 v[152:153], null, v[150:151], v[150:151], 1.0
	v_rcp_f64_e32 v[165:166], v[152:153]
	v_fma_f64 v[167:168], -v[152:153], v[165:166], 1.0
	v_fma_f64 v[165:166], v[165:166], v[167:168], v[165:166]
	v_fma_f64 v[167:168], -v[152:153], v[165:166], 1.0
	v_fma_f64 v[165:166], v[165:166], v[167:168], v[165:166]
	v_div_scale_f64 v[167:168], vcc_lo, 1.0, v[150:151], 1.0
	v_mul_f64 v[169:170], v[167:168], v[165:166]
	v_fma_f64 v[152:153], -v[152:153], v[169:170], v[167:168]
	v_div_fmas_f64 v[152:153], v[152:153], v[165:166], v[169:170]
	v_div_fixup_f64 v[150:151], v[152:153], v[150:151], 1.0
	v_mul_f64 v[152:153], v[163:164], -v[150:151]
.LBB72_11:
	s_or_b32 exec_lo, exec_lo, s3
	v_mov_b32_e32 v165, 0
	v_mov_b32_e32 v163, 2
.LBB72_12:
	s_or_b32 exec_lo, exec_lo, s0
	s_mov_b32 s0, exec_lo
	v_cmpx_ne_u32_e64 v0, v158
	s_xor_b32 s0, exec_lo, s0
	s_cbranch_execz .LBB72_18
; %bb.13:
	s_mov_b32 s3, exec_lo
	v_cmpx_eq_u32_e32 0, v0
	s_cbranch_execz .LBB72_17
; %bb.14:
	v_cmp_ne_u32_e32 vcc_lo, 0, v158
	s_xor_b32 s8, s16, -1
	s_and_b32 s9, s8, vcc_lo
	s_and_saveexec_b32 s8, s9
	s_cbranch_execz .LBB72_16
; %bb.15:
	v_ashrrev_i32_e32 v159, 31, v158
	v_lshlrev_b64 v[166:167], 2, v[158:159]
	v_add_co_u32 v166, vcc_lo, v156, v166
	v_add_co_ci_u32_e64 v167, null, v157, v167, vcc_lo
	s_clause 0x1
	global_load_dword v0, v[166:167], off
	global_load_dword v159, v[156:157], off
	s_waitcnt vmcnt(1)
	global_store_dword v[156:157], v0, off
	s_waitcnt vmcnt(0)
	global_store_dword v[166:167], v159, off
.LBB72_16:
	s_or_b32 exec_lo, exec_lo, s8
	v_mov_b32_e32 v0, v158
.LBB72_17:
	s_or_b32 exec_lo, exec_lo, s3
.LBB72_18:
	s_or_saveexec_b32 s0, s0
	v_mov_b32_e32 v164, v0
	s_xor_b32 exec_lo, exec_lo, s0
	s_cbranch_execz .LBB72_20
; %bb.19:
	v_mov_b32_e32 v164, 0
	ds_write2_b64 v1, v[146:147], v[148:149] offset0:2 offset1:3
	ds_write2_b64 v1, v[134:135], v[136:137] offset0:4 offset1:5
	;; [unrolled: 1-line block ×36, first 2 shown]
.LBB72_20:
	s_or_b32 exec_lo, exec_lo, s0
	s_mov_b32 s0, exec_lo
	s_waitcnt lgkmcnt(0)
	s_waitcnt_vscnt null, 0x0
	s_barrier
	buffer_gl0_inv
	v_cmpx_lt_i32_e32 0, v164
	s_cbranch_execz .LBB72_22
; %bb.21:
	v_mul_f64 v[158:159], v[152:153], v[144:145]
	v_mul_f64 v[144:145], v[150:151], v[144:145]
	v_fma_f64 v[158:159], v[150:151], v[142:143], -v[158:159]
	v_fma_f64 v[144:145], v[152:153], v[142:143], v[144:145]
	ds_read2_b64 v[150:153], v1 offset0:2 offset1:3
	s_waitcnt lgkmcnt(0)
	v_mul_f64 v[142:143], v[152:153], v[144:145]
	v_fma_f64 v[142:143], v[150:151], v[158:159], -v[142:143]
	v_mul_f64 v[150:151], v[150:151], v[144:145]
	v_add_f64 v[146:147], v[146:147], -v[142:143]
	v_fma_f64 v[150:151], v[152:153], v[158:159], v[150:151]
	v_add_f64 v[148:149], v[148:149], -v[150:151]
	ds_read2_b64 v[150:153], v1 offset0:4 offset1:5
	s_waitcnt lgkmcnt(0)
	v_mul_f64 v[142:143], v[152:153], v[144:145]
	v_fma_f64 v[142:143], v[150:151], v[158:159], -v[142:143]
	v_mul_f64 v[150:151], v[150:151], v[144:145]
	v_add_f64 v[134:135], v[134:135], -v[142:143]
	v_fma_f64 v[150:151], v[152:153], v[158:159], v[150:151]
	v_add_f64 v[136:137], v[136:137], -v[150:151]
	;; [unrolled: 8-line block ×35, first 2 shown]
	ds_read2_b64 v[150:153], v1 offset0:72 offset1:73
	s_waitcnt lgkmcnt(0)
	v_mul_f64 v[142:143], v[152:153], v[144:145]
	v_fma_f64 v[142:143], v[150:151], v[158:159], -v[142:143]
	v_mul_f64 v[150:151], v[150:151], v[144:145]
	v_add_f64 v[2:3], v[2:3], -v[142:143]
	v_fma_f64 v[150:151], v[152:153], v[158:159], v[150:151]
	v_mov_b32_e32 v142, v158
	v_mov_b32_e32 v143, v159
	v_add_f64 v[4:5], v[4:5], -v[150:151]
.LBB72_22:
	s_or_b32 exec_lo, exec_lo, s0
	v_lshl_add_u32 v150, v164, 4, v1
	s_barrier
	buffer_gl0_inv
	v_mov_b32_e32 v158, 1
	ds_write2_b64 v150, v[146:147], v[148:149] offset1:1
	s_waitcnt lgkmcnt(0)
	s_barrier
	buffer_gl0_inv
	ds_read2_b64 v[150:153], v1 offset0:2 offset1:3
	s_cmp_lt_i32 s1, 3
	s_cbranch_scc1 .LBB72_25
; %bb.23:
	v_add3_u32 v159, v160, 0, 32
	v_mov_b32_e32 v158, 1
	s_mov_b32 s3, 2
	s_inst_prefetch 0x1
	.p2align	6
.LBB72_24:                              ; =>This Inner Loop Header: Depth=1
	s_waitcnt lgkmcnt(0)
	v_cmp_gt_f64_e32 vcc_lo, 0, v[152:153]
	v_cmp_gt_f64_e64 s0, 0, v[150:151]
	ds_read2_b64 v[166:169], v159 offset1:1
	v_xor_b32_e32 v171, 0x80000000, v151
	v_xor_b32_e32 v173, 0x80000000, v153
	v_mov_b32_e32 v170, v150
	v_mov_b32_e32 v172, v152
	v_add_nc_u32_e32 v159, 16, v159
	s_waitcnt lgkmcnt(0)
	v_xor_b32_e32 v175, 0x80000000, v169
	v_cndmask_b32_e64 v171, v151, v171, s0
	v_cndmask_b32_e32 v173, v153, v173, vcc_lo
	v_cmp_gt_f64_e32 vcc_lo, 0, v[168:169]
	v_cmp_gt_f64_e64 s0, 0, v[166:167]
	v_mov_b32_e32 v174, v168
	v_add_f64 v[170:171], v[170:171], v[172:173]
	v_xor_b32_e32 v173, 0x80000000, v167
	v_mov_b32_e32 v172, v166
	v_cndmask_b32_e32 v175, v169, v175, vcc_lo
	v_cndmask_b32_e64 v173, v167, v173, s0
	v_add_f64 v[172:173], v[172:173], v[174:175]
	v_cmp_lt_f64_e32 vcc_lo, v[170:171], v[172:173]
	v_cndmask_b32_e32 v151, v151, v167, vcc_lo
	v_cndmask_b32_e32 v150, v150, v166, vcc_lo
	v_cndmask_b32_e32 v153, v153, v169, vcc_lo
	v_cndmask_b32_e32 v152, v152, v168, vcc_lo
	v_cndmask_b32_e64 v158, v158, s3, vcc_lo
	s_add_i32 s3, s3, 1
	s_cmp_lg_u32 s1, s3
	s_cbranch_scc1 .LBB72_24
.LBB72_25:
	s_inst_prefetch 0x2
	s_waitcnt lgkmcnt(0)
	v_cmp_neq_f64_e32 vcc_lo, 0, v[150:151]
	v_cmp_neq_f64_e64 s0, 0, v[152:153]
	s_or_b32 s3, vcc_lo, s0
	s_and_saveexec_b32 s0, s3
	s_cbranch_execz .LBB72_31
; %bb.26:
	v_cmp_ngt_f64_e64 s3, |v[150:151]|, |v[152:153]|
	s_and_saveexec_b32 s8, s3
	s_xor_b32 s3, exec_lo, s8
	s_cbranch_execz .LBB72_28
; %bb.27:
	v_div_scale_f64 v[166:167], null, v[152:153], v[152:153], v[150:151]
	v_div_scale_f64 v[172:173], vcc_lo, v[150:151], v[152:153], v[150:151]
	v_rcp_f64_e32 v[168:169], v[166:167]
	v_fma_f64 v[170:171], -v[166:167], v[168:169], 1.0
	v_fma_f64 v[168:169], v[168:169], v[170:171], v[168:169]
	v_fma_f64 v[170:171], -v[166:167], v[168:169], 1.0
	v_fma_f64 v[168:169], v[168:169], v[170:171], v[168:169]
	v_mul_f64 v[170:171], v[172:173], v[168:169]
	v_fma_f64 v[166:167], -v[166:167], v[170:171], v[172:173]
	v_div_fmas_f64 v[166:167], v[166:167], v[168:169], v[170:171]
	v_div_fixup_f64 v[166:167], v[166:167], v[152:153], v[150:151]
	v_fma_f64 v[150:151], v[150:151], v[166:167], v[152:153]
	v_div_scale_f64 v[152:153], null, v[150:151], v[150:151], 1.0
	v_rcp_f64_e32 v[168:169], v[152:153]
	v_fma_f64 v[170:171], -v[152:153], v[168:169], 1.0
	v_fma_f64 v[168:169], v[168:169], v[170:171], v[168:169]
	v_fma_f64 v[170:171], -v[152:153], v[168:169], 1.0
	v_fma_f64 v[168:169], v[168:169], v[170:171], v[168:169]
	v_div_scale_f64 v[170:171], vcc_lo, 1.0, v[150:151], 1.0
	v_mul_f64 v[172:173], v[170:171], v[168:169]
	v_fma_f64 v[152:153], -v[152:153], v[172:173], v[170:171]
	v_div_fmas_f64 v[152:153], v[152:153], v[168:169], v[172:173]
	v_div_fixup_f64 v[152:153], v[152:153], v[150:151], 1.0
	v_mul_f64 v[150:151], v[166:167], v[152:153]
	v_xor_b32_e32 v153, 0x80000000, v153
.LBB72_28:
	s_andn2_saveexec_b32 s3, s3
	s_cbranch_execz .LBB72_30
; %bb.29:
	v_div_scale_f64 v[166:167], null, v[150:151], v[150:151], v[152:153]
	v_div_scale_f64 v[172:173], vcc_lo, v[152:153], v[150:151], v[152:153]
	v_rcp_f64_e32 v[168:169], v[166:167]
	v_fma_f64 v[170:171], -v[166:167], v[168:169], 1.0
	v_fma_f64 v[168:169], v[168:169], v[170:171], v[168:169]
	v_fma_f64 v[170:171], -v[166:167], v[168:169], 1.0
	v_fma_f64 v[168:169], v[168:169], v[170:171], v[168:169]
	v_mul_f64 v[170:171], v[172:173], v[168:169]
	v_fma_f64 v[166:167], -v[166:167], v[170:171], v[172:173]
	v_div_fmas_f64 v[166:167], v[166:167], v[168:169], v[170:171]
	v_div_fixup_f64 v[166:167], v[166:167], v[150:151], v[152:153]
	v_fma_f64 v[150:151], v[152:153], v[166:167], v[150:151]
	v_div_scale_f64 v[152:153], null, v[150:151], v[150:151], 1.0
	v_rcp_f64_e32 v[168:169], v[152:153]
	v_fma_f64 v[170:171], -v[152:153], v[168:169], 1.0
	v_fma_f64 v[168:169], v[168:169], v[170:171], v[168:169]
	v_fma_f64 v[170:171], -v[152:153], v[168:169], 1.0
	v_fma_f64 v[168:169], v[168:169], v[170:171], v[168:169]
	v_div_scale_f64 v[170:171], vcc_lo, 1.0, v[150:151], 1.0
	v_mul_f64 v[172:173], v[170:171], v[168:169]
	v_fma_f64 v[152:153], -v[152:153], v[172:173], v[170:171]
	v_div_fmas_f64 v[152:153], v[152:153], v[168:169], v[172:173]
	v_div_fixup_f64 v[150:151], v[152:153], v[150:151], 1.0
	v_mul_f64 v[152:153], v[166:167], -v[150:151]
.LBB72_30:
	s_or_b32 exec_lo, exec_lo, s3
	v_mov_b32_e32 v163, v165
.LBB72_31:
	s_or_b32 exec_lo, exec_lo, s0
	s_mov_b32 s0, exec_lo
	v_cmpx_ne_u32_e64 v164, v158
	s_xor_b32 s0, exec_lo, s0
	s_cbranch_execz .LBB72_37
; %bb.32:
	s_mov_b32 s3, exec_lo
	v_cmpx_eq_u32_e32 1, v164
	s_cbranch_execz .LBB72_36
; %bb.33:
	v_cmp_ne_u32_e32 vcc_lo, 1, v158
	s_xor_b32 s8, s16, -1
	s_and_b32 s9, s8, vcc_lo
	s_and_saveexec_b32 s8, s9
	s_cbranch_execz .LBB72_35
; %bb.34:
	v_ashrrev_i32_e32 v159, 31, v158
	v_lshlrev_b64 v[164:165], 2, v[158:159]
	v_add_co_u32 v164, vcc_lo, v156, v164
	v_add_co_ci_u32_e64 v165, null, v157, v165, vcc_lo
	s_clause 0x1
	global_load_dword v0, v[164:165], off
	global_load_dword v159, v[156:157], off offset:4
	s_waitcnt vmcnt(1)
	global_store_dword v[156:157], v0, off offset:4
	s_waitcnt vmcnt(0)
	global_store_dword v[164:165], v159, off
.LBB72_35:
	s_or_b32 exec_lo, exec_lo, s8
	v_mov_b32_e32 v164, v158
	v_mov_b32_e32 v0, v158
.LBB72_36:
	s_or_b32 exec_lo, exec_lo, s3
.LBB72_37:
	s_andn2_saveexec_b32 s0, s0
	s_cbranch_execz .LBB72_39
; %bb.38:
	v_mov_b32_e32 v164, 1
	ds_write2_b64 v1, v[134:135], v[136:137] offset0:4 offset1:5
	ds_write2_b64 v1, v[130:131], v[132:133] offset0:6 offset1:7
	;; [unrolled: 1-line block ×35, first 2 shown]
.LBB72_39:
	s_or_b32 exec_lo, exec_lo, s0
	s_mov_b32 s0, exec_lo
	s_waitcnt lgkmcnt(0)
	s_waitcnt_vscnt null, 0x0
	s_barrier
	buffer_gl0_inv
	v_cmpx_lt_i32_e32 1, v164
	s_cbranch_execz .LBB72_41
; %bb.40:
	v_mul_f64 v[158:159], v[152:153], v[148:149]
	v_mul_f64 v[148:149], v[150:151], v[148:149]
	v_fma_f64 v[158:159], v[150:151], v[146:147], -v[158:159]
	v_fma_f64 v[148:149], v[152:153], v[146:147], v[148:149]
	ds_read2_b64 v[150:153], v1 offset0:4 offset1:5
	s_waitcnt lgkmcnt(0)
	v_mul_f64 v[146:147], v[152:153], v[148:149]
	v_fma_f64 v[146:147], v[150:151], v[158:159], -v[146:147]
	v_mul_f64 v[150:151], v[150:151], v[148:149]
	v_add_f64 v[134:135], v[134:135], -v[146:147]
	v_fma_f64 v[150:151], v[152:153], v[158:159], v[150:151]
	v_add_f64 v[136:137], v[136:137], -v[150:151]
	ds_read2_b64 v[150:153], v1 offset0:6 offset1:7
	s_waitcnt lgkmcnt(0)
	v_mul_f64 v[146:147], v[152:153], v[148:149]
	v_fma_f64 v[146:147], v[150:151], v[158:159], -v[146:147]
	v_mul_f64 v[150:151], v[150:151], v[148:149]
	v_add_f64 v[130:131], v[130:131], -v[146:147]
	v_fma_f64 v[150:151], v[152:153], v[158:159], v[150:151]
	v_add_f64 v[132:133], v[132:133], -v[150:151]
	;; [unrolled: 8-line block ×34, first 2 shown]
	ds_read2_b64 v[150:153], v1 offset0:72 offset1:73
	s_waitcnt lgkmcnt(0)
	v_mul_f64 v[146:147], v[152:153], v[148:149]
	v_fma_f64 v[146:147], v[150:151], v[158:159], -v[146:147]
	v_mul_f64 v[150:151], v[150:151], v[148:149]
	v_add_f64 v[2:3], v[2:3], -v[146:147]
	v_fma_f64 v[150:151], v[152:153], v[158:159], v[150:151]
	v_mov_b32_e32 v146, v158
	v_mov_b32_e32 v147, v159
	v_add_f64 v[4:5], v[4:5], -v[150:151]
.LBB72_41:
	s_or_b32 exec_lo, exec_lo, s0
	v_lshl_add_u32 v150, v164, 4, v1
	s_barrier
	buffer_gl0_inv
	v_mov_b32_e32 v158, 2
	ds_write2_b64 v150, v[134:135], v[136:137] offset1:1
	s_waitcnt lgkmcnt(0)
	s_barrier
	buffer_gl0_inv
	ds_read2_b64 v[150:153], v1 offset0:4 offset1:5
	s_cmp_lt_i32 s1, 4
	s_cbranch_scc1 .LBB72_44
; %bb.42:
	v_add3_u32 v159, v160, 0, 48
	v_mov_b32_e32 v158, 2
	s_mov_b32 s3, 3
	s_inst_prefetch 0x1
	.p2align	6
.LBB72_43:                              ; =>This Inner Loop Header: Depth=1
	s_waitcnt lgkmcnt(0)
	v_cmp_gt_f64_e32 vcc_lo, 0, v[152:153]
	v_cmp_gt_f64_e64 s0, 0, v[150:151]
	ds_read2_b64 v[165:168], v159 offset1:1
	v_xor_b32_e32 v170, 0x80000000, v151
	v_xor_b32_e32 v172, 0x80000000, v153
	v_mov_b32_e32 v169, v150
	v_mov_b32_e32 v171, v152
	v_add_nc_u32_e32 v159, 16, v159
	s_waitcnt lgkmcnt(0)
	v_xor_b32_e32 v174, 0x80000000, v168
	v_cndmask_b32_e64 v170, v151, v170, s0
	v_cndmask_b32_e32 v172, v153, v172, vcc_lo
	v_cmp_gt_f64_e32 vcc_lo, 0, v[167:168]
	v_cmp_gt_f64_e64 s0, 0, v[165:166]
	v_mov_b32_e32 v173, v167
	v_add_f64 v[169:170], v[169:170], v[171:172]
	v_xor_b32_e32 v172, 0x80000000, v166
	v_mov_b32_e32 v171, v165
	v_cndmask_b32_e32 v174, v168, v174, vcc_lo
	v_cndmask_b32_e64 v172, v166, v172, s0
	v_add_f64 v[171:172], v[171:172], v[173:174]
	v_cmp_lt_f64_e32 vcc_lo, v[169:170], v[171:172]
	v_cndmask_b32_e32 v151, v151, v166, vcc_lo
	v_cndmask_b32_e32 v150, v150, v165, vcc_lo
	;; [unrolled: 1-line block ×4, first 2 shown]
	v_cndmask_b32_e64 v158, v158, s3, vcc_lo
	s_add_i32 s3, s3, 1
	s_cmp_lg_u32 s1, s3
	s_cbranch_scc1 .LBB72_43
.LBB72_44:
	s_inst_prefetch 0x2
	s_waitcnt lgkmcnt(0)
	v_cmp_eq_f64_e32 vcc_lo, 0, v[150:151]
	v_cmp_eq_f64_e64 s0, 0, v[152:153]
	s_and_b32 s0, vcc_lo, s0
	s_and_saveexec_b32 s3, s0
	s_xor_b32 s0, exec_lo, s3
; %bb.45:
	v_cmp_ne_u32_e32 vcc_lo, 0, v163
	v_cndmask_b32_e32 v163, 3, v163, vcc_lo
; %bb.46:
	s_andn2_saveexec_b32 s0, s0
	s_cbranch_execz .LBB72_52
; %bb.47:
	v_cmp_ngt_f64_e64 s3, |v[150:151]|, |v[152:153]|
	s_and_saveexec_b32 s8, s3
	s_xor_b32 s3, exec_lo, s8
	s_cbranch_execz .LBB72_49
; %bb.48:
	v_div_scale_f64 v[165:166], null, v[152:153], v[152:153], v[150:151]
	v_div_scale_f64 v[171:172], vcc_lo, v[150:151], v[152:153], v[150:151]
	v_rcp_f64_e32 v[167:168], v[165:166]
	v_fma_f64 v[169:170], -v[165:166], v[167:168], 1.0
	v_fma_f64 v[167:168], v[167:168], v[169:170], v[167:168]
	v_fma_f64 v[169:170], -v[165:166], v[167:168], 1.0
	v_fma_f64 v[167:168], v[167:168], v[169:170], v[167:168]
	v_mul_f64 v[169:170], v[171:172], v[167:168]
	v_fma_f64 v[165:166], -v[165:166], v[169:170], v[171:172]
	v_div_fmas_f64 v[165:166], v[165:166], v[167:168], v[169:170]
	v_div_fixup_f64 v[165:166], v[165:166], v[152:153], v[150:151]
	v_fma_f64 v[150:151], v[150:151], v[165:166], v[152:153]
	v_div_scale_f64 v[152:153], null, v[150:151], v[150:151], 1.0
	v_rcp_f64_e32 v[167:168], v[152:153]
	v_fma_f64 v[169:170], -v[152:153], v[167:168], 1.0
	v_fma_f64 v[167:168], v[167:168], v[169:170], v[167:168]
	v_fma_f64 v[169:170], -v[152:153], v[167:168], 1.0
	v_fma_f64 v[167:168], v[167:168], v[169:170], v[167:168]
	v_div_scale_f64 v[169:170], vcc_lo, 1.0, v[150:151], 1.0
	v_mul_f64 v[171:172], v[169:170], v[167:168]
	v_fma_f64 v[152:153], -v[152:153], v[171:172], v[169:170]
	v_div_fmas_f64 v[152:153], v[152:153], v[167:168], v[171:172]
	v_div_fixup_f64 v[152:153], v[152:153], v[150:151], 1.0
	v_mul_f64 v[150:151], v[165:166], v[152:153]
	v_xor_b32_e32 v153, 0x80000000, v153
.LBB72_49:
	s_andn2_saveexec_b32 s3, s3
	s_cbranch_execz .LBB72_51
; %bb.50:
	v_div_scale_f64 v[165:166], null, v[150:151], v[150:151], v[152:153]
	v_div_scale_f64 v[171:172], vcc_lo, v[152:153], v[150:151], v[152:153]
	v_rcp_f64_e32 v[167:168], v[165:166]
	v_fma_f64 v[169:170], -v[165:166], v[167:168], 1.0
	v_fma_f64 v[167:168], v[167:168], v[169:170], v[167:168]
	v_fma_f64 v[169:170], -v[165:166], v[167:168], 1.0
	v_fma_f64 v[167:168], v[167:168], v[169:170], v[167:168]
	v_mul_f64 v[169:170], v[171:172], v[167:168]
	v_fma_f64 v[165:166], -v[165:166], v[169:170], v[171:172]
	v_div_fmas_f64 v[165:166], v[165:166], v[167:168], v[169:170]
	v_div_fixup_f64 v[165:166], v[165:166], v[150:151], v[152:153]
	v_fma_f64 v[150:151], v[152:153], v[165:166], v[150:151]
	v_div_scale_f64 v[152:153], null, v[150:151], v[150:151], 1.0
	v_rcp_f64_e32 v[167:168], v[152:153]
	v_fma_f64 v[169:170], -v[152:153], v[167:168], 1.0
	v_fma_f64 v[167:168], v[167:168], v[169:170], v[167:168]
	v_fma_f64 v[169:170], -v[152:153], v[167:168], 1.0
	v_fma_f64 v[167:168], v[167:168], v[169:170], v[167:168]
	v_div_scale_f64 v[169:170], vcc_lo, 1.0, v[150:151], 1.0
	v_mul_f64 v[171:172], v[169:170], v[167:168]
	v_fma_f64 v[152:153], -v[152:153], v[171:172], v[169:170]
	v_div_fmas_f64 v[152:153], v[152:153], v[167:168], v[171:172]
	v_div_fixup_f64 v[150:151], v[152:153], v[150:151], 1.0
	v_mul_f64 v[152:153], v[165:166], -v[150:151]
.LBB72_51:
	s_or_b32 exec_lo, exec_lo, s3
.LBB72_52:
	s_or_b32 exec_lo, exec_lo, s0
	s_mov_b32 s0, exec_lo
	v_cmpx_ne_u32_e64 v164, v158
	s_xor_b32 s0, exec_lo, s0
	s_cbranch_execz .LBB72_58
; %bb.53:
	s_mov_b32 s3, exec_lo
	v_cmpx_eq_u32_e32 2, v164
	s_cbranch_execz .LBB72_57
; %bb.54:
	v_cmp_ne_u32_e32 vcc_lo, 2, v158
	s_xor_b32 s8, s16, -1
	s_and_b32 s9, s8, vcc_lo
	s_and_saveexec_b32 s8, s9
	s_cbranch_execz .LBB72_56
; %bb.55:
	v_ashrrev_i32_e32 v159, 31, v158
	v_lshlrev_b64 v[164:165], 2, v[158:159]
	v_add_co_u32 v164, vcc_lo, v156, v164
	v_add_co_ci_u32_e64 v165, null, v157, v165, vcc_lo
	s_clause 0x1
	global_load_dword v0, v[164:165], off
	global_load_dword v159, v[156:157], off offset:8
	s_waitcnt vmcnt(1)
	global_store_dword v[156:157], v0, off offset:8
	s_waitcnt vmcnt(0)
	global_store_dword v[164:165], v159, off
.LBB72_56:
	s_or_b32 exec_lo, exec_lo, s8
	v_mov_b32_e32 v164, v158
	v_mov_b32_e32 v0, v158
.LBB72_57:
	s_or_b32 exec_lo, exec_lo, s3
.LBB72_58:
	s_andn2_saveexec_b32 s0, s0
	s_cbranch_execz .LBB72_60
; %bb.59:
	v_mov_b32_e32 v164, 2
	ds_write2_b64 v1, v[130:131], v[132:133] offset0:6 offset1:7
	ds_write2_b64 v1, v[138:139], v[140:141] offset0:8 offset1:9
	;; [unrolled: 1-line block ×34, first 2 shown]
.LBB72_60:
	s_or_b32 exec_lo, exec_lo, s0
	s_mov_b32 s0, exec_lo
	s_waitcnt lgkmcnt(0)
	s_waitcnt_vscnt null, 0x0
	s_barrier
	buffer_gl0_inv
	v_cmpx_lt_i32_e32 2, v164
	s_cbranch_execz .LBB72_62
; %bb.61:
	v_mul_f64 v[158:159], v[152:153], v[136:137]
	v_mul_f64 v[136:137], v[150:151], v[136:137]
	v_fma_f64 v[158:159], v[150:151], v[134:135], -v[158:159]
	v_fma_f64 v[136:137], v[152:153], v[134:135], v[136:137]
	ds_read2_b64 v[150:153], v1 offset0:6 offset1:7
	s_waitcnt lgkmcnt(0)
	v_mul_f64 v[134:135], v[152:153], v[136:137]
	v_fma_f64 v[134:135], v[150:151], v[158:159], -v[134:135]
	v_mul_f64 v[150:151], v[150:151], v[136:137]
	v_add_f64 v[130:131], v[130:131], -v[134:135]
	v_fma_f64 v[150:151], v[152:153], v[158:159], v[150:151]
	v_add_f64 v[132:133], v[132:133], -v[150:151]
	ds_read2_b64 v[150:153], v1 offset0:8 offset1:9
	s_waitcnt lgkmcnt(0)
	v_mul_f64 v[134:135], v[152:153], v[136:137]
	v_fma_f64 v[134:135], v[150:151], v[158:159], -v[134:135]
	v_mul_f64 v[150:151], v[150:151], v[136:137]
	v_add_f64 v[138:139], v[138:139], -v[134:135]
	v_fma_f64 v[150:151], v[152:153], v[158:159], v[150:151]
	v_add_f64 v[140:141], v[140:141], -v[150:151]
	;; [unrolled: 8-line block ×33, first 2 shown]
	ds_read2_b64 v[150:153], v1 offset0:72 offset1:73
	s_waitcnt lgkmcnt(0)
	v_mul_f64 v[134:135], v[152:153], v[136:137]
	v_fma_f64 v[134:135], v[150:151], v[158:159], -v[134:135]
	v_mul_f64 v[150:151], v[150:151], v[136:137]
	v_add_f64 v[2:3], v[2:3], -v[134:135]
	v_fma_f64 v[150:151], v[152:153], v[158:159], v[150:151]
	v_mov_b32_e32 v134, v158
	v_mov_b32_e32 v135, v159
	v_add_f64 v[4:5], v[4:5], -v[150:151]
.LBB72_62:
	s_or_b32 exec_lo, exec_lo, s0
	v_lshl_add_u32 v150, v164, 4, v1
	s_barrier
	buffer_gl0_inv
	v_mov_b32_e32 v158, 3
	ds_write2_b64 v150, v[130:131], v[132:133] offset1:1
	s_waitcnt lgkmcnt(0)
	s_barrier
	buffer_gl0_inv
	ds_read2_b64 v[150:153], v1 offset0:6 offset1:7
	s_cmp_lt_i32 s1, 5
	s_mov_b32 s3, 4
	s_cbranch_scc1 .LBB72_65
; %bb.63:
	v_add3_u32 v159, v160, 0, 64
	v_mov_b32_e32 v158, 3
	s_inst_prefetch 0x1
	.p2align	6
.LBB72_64:                              ; =>This Inner Loop Header: Depth=1
	s_waitcnt lgkmcnt(0)
	v_cmp_gt_f64_e32 vcc_lo, 0, v[152:153]
	v_cmp_gt_f64_e64 s0, 0, v[150:151]
	ds_read2_b64 v[165:168], v159 offset1:1
	v_xor_b32_e32 v170, 0x80000000, v151
	v_xor_b32_e32 v172, 0x80000000, v153
	v_mov_b32_e32 v169, v150
	v_mov_b32_e32 v171, v152
	v_add_nc_u32_e32 v159, 16, v159
	s_waitcnt lgkmcnt(0)
	v_xor_b32_e32 v174, 0x80000000, v168
	v_cndmask_b32_e64 v170, v151, v170, s0
	v_cndmask_b32_e32 v172, v153, v172, vcc_lo
	v_cmp_gt_f64_e32 vcc_lo, 0, v[167:168]
	v_cmp_gt_f64_e64 s0, 0, v[165:166]
	v_mov_b32_e32 v173, v167
	v_add_f64 v[169:170], v[169:170], v[171:172]
	v_xor_b32_e32 v172, 0x80000000, v166
	v_mov_b32_e32 v171, v165
	v_cndmask_b32_e32 v174, v168, v174, vcc_lo
	v_cndmask_b32_e64 v172, v166, v172, s0
	v_add_f64 v[171:172], v[171:172], v[173:174]
	v_cmp_lt_f64_e32 vcc_lo, v[169:170], v[171:172]
	v_cndmask_b32_e32 v151, v151, v166, vcc_lo
	v_cndmask_b32_e32 v150, v150, v165, vcc_lo
	;; [unrolled: 1-line block ×4, first 2 shown]
	v_cndmask_b32_e64 v158, v158, s3, vcc_lo
	s_add_i32 s3, s3, 1
	s_cmp_lg_u32 s1, s3
	s_cbranch_scc1 .LBB72_64
.LBB72_65:
	s_inst_prefetch 0x2
	s_waitcnt lgkmcnt(0)
	v_cmp_eq_f64_e32 vcc_lo, 0, v[150:151]
	v_cmp_eq_f64_e64 s0, 0, v[152:153]
	s_and_b32 s0, vcc_lo, s0
	s_and_saveexec_b32 s3, s0
	s_xor_b32 s0, exec_lo, s3
; %bb.66:
	v_cmp_ne_u32_e32 vcc_lo, 0, v163
	v_cndmask_b32_e32 v163, 4, v163, vcc_lo
; %bb.67:
	s_andn2_saveexec_b32 s0, s0
	s_cbranch_execz .LBB72_73
; %bb.68:
	v_cmp_ngt_f64_e64 s3, |v[150:151]|, |v[152:153]|
	s_and_saveexec_b32 s8, s3
	s_xor_b32 s3, exec_lo, s8
	s_cbranch_execz .LBB72_70
; %bb.69:
	v_div_scale_f64 v[165:166], null, v[152:153], v[152:153], v[150:151]
	v_div_scale_f64 v[171:172], vcc_lo, v[150:151], v[152:153], v[150:151]
	v_rcp_f64_e32 v[167:168], v[165:166]
	v_fma_f64 v[169:170], -v[165:166], v[167:168], 1.0
	v_fma_f64 v[167:168], v[167:168], v[169:170], v[167:168]
	v_fma_f64 v[169:170], -v[165:166], v[167:168], 1.0
	v_fma_f64 v[167:168], v[167:168], v[169:170], v[167:168]
	v_mul_f64 v[169:170], v[171:172], v[167:168]
	v_fma_f64 v[165:166], -v[165:166], v[169:170], v[171:172]
	v_div_fmas_f64 v[165:166], v[165:166], v[167:168], v[169:170]
	v_div_fixup_f64 v[165:166], v[165:166], v[152:153], v[150:151]
	v_fma_f64 v[150:151], v[150:151], v[165:166], v[152:153]
	v_div_scale_f64 v[152:153], null, v[150:151], v[150:151], 1.0
	v_rcp_f64_e32 v[167:168], v[152:153]
	v_fma_f64 v[169:170], -v[152:153], v[167:168], 1.0
	v_fma_f64 v[167:168], v[167:168], v[169:170], v[167:168]
	v_fma_f64 v[169:170], -v[152:153], v[167:168], 1.0
	v_fma_f64 v[167:168], v[167:168], v[169:170], v[167:168]
	v_div_scale_f64 v[169:170], vcc_lo, 1.0, v[150:151], 1.0
	v_mul_f64 v[171:172], v[169:170], v[167:168]
	v_fma_f64 v[152:153], -v[152:153], v[171:172], v[169:170]
	v_div_fmas_f64 v[152:153], v[152:153], v[167:168], v[171:172]
	v_div_fixup_f64 v[152:153], v[152:153], v[150:151], 1.0
	v_mul_f64 v[150:151], v[165:166], v[152:153]
	v_xor_b32_e32 v153, 0x80000000, v153
.LBB72_70:
	s_andn2_saveexec_b32 s3, s3
	s_cbranch_execz .LBB72_72
; %bb.71:
	v_div_scale_f64 v[165:166], null, v[150:151], v[150:151], v[152:153]
	v_div_scale_f64 v[171:172], vcc_lo, v[152:153], v[150:151], v[152:153]
	v_rcp_f64_e32 v[167:168], v[165:166]
	v_fma_f64 v[169:170], -v[165:166], v[167:168], 1.0
	v_fma_f64 v[167:168], v[167:168], v[169:170], v[167:168]
	v_fma_f64 v[169:170], -v[165:166], v[167:168], 1.0
	v_fma_f64 v[167:168], v[167:168], v[169:170], v[167:168]
	v_mul_f64 v[169:170], v[171:172], v[167:168]
	v_fma_f64 v[165:166], -v[165:166], v[169:170], v[171:172]
	v_div_fmas_f64 v[165:166], v[165:166], v[167:168], v[169:170]
	v_div_fixup_f64 v[165:166], v[165:166], v[150:151], v[152:153]
	v_fma_f64 v[150:151], v[152:153], v[165:166], v[150:151]
	v_div_scale_f64 v[152:153], null, v[150:151], v[150:151], 1.0
	v_rcp_f64_e32 v[167:168], v[152:153]
	v_fma_f64 v[169:170], -v[152:153], v[167:168], 1.0
	v_fma_f64 v[167:168], v[167:168], v[169:170], v[167:168]
	v_fma_f64 v[169:170], -v[152:153], v[167:168], 1.0
	v_fma_f64 v[167:168], v[167:168], v[169:170], v[167:168]
	v_div_scale_f64 v[169:170], vcc_lo, 1.0, v[150:151], 1.0
	v_mul_f64 v[171:172], v[169:170], v[167:168]
	v_fma_f64 v[152:153], -v[152:153], v[171:172], v[169:170]
	v_div_fmas_f64 v[152:153], v[152:153], v[167:168], v[171:172]
	v_div_fixup_f64 v[150:151], v[152:153], v[150:151], 1.0
	v_mul_f64 v[152:153], v[165:166], -v[150:151]
.LBB72_72:
	s_or_b32 exec_lo, exec_lo, s3
.LBB72_73:
	s_or_b32 exec_lo, exec_lo, s0
	s_mov_b32 s0, exec_lo
	v_cmpx_ne_u32_e64 v164, v158
	s_xor_b32 s0, exec_lo, s0
	s_cbranch_execz .LBB72_79
; %bb.74:
	s_mov_b32 s3, exec_lo
	v_cmpx_eq_u32_e32 3, v164
	s_cbranch_execz .LBB72_78
; %bb.75:
	v_cmp_ne_u32_e32 vcc_lo, 3, v158
	s_xor_b32 s8, s16, -1
	s_and_b32 s9, s8, vcc_lo
	s_and_saveexec_b32 s8, s9
	s_cbranch_execz .LBB72_77
; %bb.76:
	v_ashrrev_i32_e32 v159, 31, v158
	v_lshlrev_b64 v[164:165], 2, v[158:159]
	v_add_co_u32 v164, vcc_lo, v156, v164
	v_add_co_ci_u32_e64 v165, null, v157, v165, vcc_lo
	s_clause 0x1
	global_load_dword v0, v[164:165], off
	global_load_dword v159, v[156:157], off offset:12
	s_waitcnt vmcnt(1)
	global_store_dword v[156:157], v0, off offset:12
	s_waitcnt vmcnt(0)
	global_store_dword v[164:165], v159, off
.LBB72_77:
	s_or_b32 exec_lo, exec_lo, s8
	v_mov_b32_e32 v164, v158
	v_mov_b32_e32 v0, v158
.LBB72_78:
	s_or_b32 exec_lo, exec_lo, s3
.LBB72_79:
	s_andn2_saveexec_b32 s0, s0
	s_cbranch_execz .LBB72_81
; %bb.80:
	v_mov_b32_e32 v164, 3
	ds_write2_b64 v1, v[138:139], v[140:141] offset0:8 offset1:9
	ds_write2_b64 v1, v[122:123], v[124:125] offset0:10 offset1:11
	;; [unrolled: 1-line block ×33, first 2 shown]
.LBB72_81:
	s_or_b32 exec_lo, exec_lo, s0
	s_mov_b32 s0, exec_lo
	s_waitcnt lgkmcnt(0)
	s_waitcnt_vscnt null, 0x0
	s_barrier
	buffer_gl0_inv
	v_cmpx_lt_i32_e32 3, v164
	s_cbranch_execz .LBB72_83
; %bb.82:
	v_mul_f64 v[158:159], v[152:153], v[132:133]
	v_mul_f64 v[132:133], v[150:151], v[132:133]
	v_fma_f64 v[158:159], v[150:151], v[130:131], -v[158:159]
	v_fma_f64 v[132:133], v[152:153], v[130:131], v[132:133]
	ds_read2_b64 v[150:153], v1 offset0:8 offset1:9
	s_waitcnt lgkmcnt(0)
	v_mul_f64 v[130:131], v[152:153], v[132:133]
	v_fma_f64 v[130:131], v[150:151], v[158:159], -v[130:131]
	v_mul_f64 v[150:151], v[150:151], v[132:133]
	v_add_f64 v[138:139], v[138:139], -v[130:131]
	v_fma_f64 v[150:151], v[152:153], v[158:159], v[150:151]
	v_add_f64 v[140:141], v[140:141], -v[150:151]
	ds_read2_b64 v[150:153], v1 offset0:10 offset1:11
	s_waitcnt lgkmcnt(0)
	v_mul_f64 v[130:131], v[152:153], v[132:133]
	v_fma_f64 v[130:131], v[150:151], v[158:159], -v[130:131]
	v_mul_f64 v[150:151], v[150:151], v[132:133]
	v_add_f64 v[122:123], v[122:123], -v[130:131]
	v_fma_f64 v[150:151], v[152:153], v[158:159], v[150:151]
	v_add_f64 v[124:125], v[124:125], -v[150:151]
	;; [unrolled: 8-line block ×32, first 2 shown]
	ds_read2_b64 v[150:153], v1 offset0:72 offset1:73
	s_waitcnt lgkmcnt(0)
	v_mul_f64 v[130:131], v[152:153], v[132:133]
	v_fma_f64 v[130:131], v[150:151], v[158:159], -v[130:131]
	v_mul_f64 v[150:151], v[150:151], v[132:133]
	v_add_f64 v[2:3], v[2:3], -v[130:131]
	v_fma_f64 v[150:151], v[152:153], v[158:159], v[150:151]
	v_mov_b32_e32 v130, v158
	v_mov_b32_e32 v131, v159
	v_add_f64 v[4:5], v[4:5], -v[150:151]
.LBB72_83:
	s_or_b32 exec_lo, exec_lo, s0
	v_lshl_add_u32 v150, v164, 4, v1
	s_barrier
	buffer_gl0_inv
	v_mov_b32_e32 v158, 4
	ds_write2_b64 v150, v[138:139], v[140:141] offset1:1
	s_waitcnt lgkmcnt(0)
	s_barrier
	buffer_gl0_inv
	ds_read2_b64 v[150:153], v1 offset0:8 offset1:9
	s_cmp_lt_i32 s1, 6
	s_cbranch_scc1 .LBB72_86
; %bb.84:
	v_mov_b32_e32 v158, 4
	v_add3_u32 v159, v160, 0, 0x50
	s_mov_b32 s3, 5
	s_inst_prefetch 0x1
	.p2align	6
.LBB72_85:                              ; =>This Inner Loop Header: Depth=1
	s_waitcnt lgkmcnt(0)
	v_cmp_gt_f64_e32 vcc_lo, 0, v[152:153]
	v_cmp_gt_f64_e64 s0, 0, v[150:151]
	ds_read2_b64 v[165:168], v159 offset1:1
	v_xor_b32_e32 v170, 0x80000000, v151
	v_xor_b32_e32 v172, 0x80000000, v153
	v_mov_b32_e32 v169, v150
	v_mov_b32_e32 v171, v152
	v_add_nc_u32_e32 v159, 16, v159
	s_waitcnt lgkmcnt(0)
	v_xor_b32_e32 v174, 0x80000000, v168
	v_cndmask_b32_e64 v170, v151, v170, s0
	v_cndmask_b32_e32 v172, v153, v172, vcc_lo
	v_cmp_gt_f64_e32 vcc_lo, 0, v[167:168]
	v_cmp_gt_f64_e64 s0, 0, v[165:166]
	v_mov_b32_e32 v173, v167
	v_add_f64 v[169:170], v[169:170], v[171:172]
	v_xor_b32_e32 v172, 0x80000000, v166
	v_mov_b32_e32 v171, v165
	v_cndmask_b32_e32 v174, v168, v174, vcc_lo
	v_cndmask_b32_e64 v172, v166, v172, s0
	v_add_f64 v[171:172], v[171:172], v[173:174]
	v_cmp_lt_f64_e32 vcc_lo, v[169:170], v[171:172]
	v_cndmask_b32_e32 v151, v151, v166, vcc_lo
	v_cndmask_b32_e32 v150, v150, v165, vcc_lo
	;; [unrolled: 1-line block ×4, first 2 shown]
	v_cndmask_b32_e64 v158, v158, s3, vcc_lo
	s_add_i32 s3, s3, 1
	s_cmp_lg_u32 s1, s3
	s_cbranch_scc1 .LBB72_85
.LBB72_86:
	s_inst_prefetch 0x2
	s_waitcnt lgkmcnt(0)
	v_cmp_eq_f64_e32 vcc_lo, 0, v[150:151]
	v_cmp_eq_f64_e64 s0, 0, v[152:153]
	s_and_b32 s0, vcc_lo, s0
	s_and_saveexec_b32 s3, s0
	s_xor_b32 s0, exec_lo, s3
; %bb.87:
	v_cmp_ne_u32_e32 vcc_lo, 0, v163
	v_cndmask_b32_e32 v163, 5, v163, vcc_lo
; %bb.88:
	s_andn2_saveexec_b32 s0, s0
	s_cbranch_execz .LBB72_94
; %bb.89:
	v_cmp_ngt_f64_e64 s3, |v[150:151]|, |v[152:153]|
	s_and_saveexec_b32 s8, s3
	s_xor_b32 s3, exec_lo, s8
	s_cbranch_execz .LBB72_91
; %bb.90:
	v_div_scale_f64 v[165:166], null, v[152:153], v[152:153], v[150:151]
	v_div_scale_f64 v[171:172], vcc_lo, v[150:151], v[152:153], v[150:151]
	v_rcp_f64_e32 v[167:168], v[165:166]
	v_fma_f64 v[169:170], -v[165:166], v[167:168], 1.0
	v_fma_f64 v[167:168], v[167:168], v[169:170], v[167:168]
	v_fma_f64 v[169:170], -v[165:166], v[167:168], 1.0
	v_fma_f64 v[167:168], v[167:168], v[169:170], v[167:168]
	v_mul_f64 v[169:170], v[171:172], v[167:168]
	v_fma_f64 v[165:166], -v[165:166], v[169:170], v[171:172]
	v_div_fmas_f64 v[165:166], v[165:166], v[167:168], v[169:170]
	v_div_fixup_f64 v[165:166], v[165:166], v[152:153], v[150:151]
	v_fma_f64 v[150:151], v[150:151], v[165:166], v[152:153]
	v_div_scale_f64 v[152:153], null, v[150:151], v[150:151], 1.0
	v_rcp_f64_e32 v[167:168], v[152:153]
	v_fma_f64 v[169:170], -v[152:153], v[167:168], 1.0
	v_fma_f64 v[167:168], v[167:168], v[169:170], v[167:168]
	v_fma_f64 v[169:170], -v[152:153], v[167:168], 1.0
	v_fma_f64 v[167:168], v[167:168], v[169:170], v[167:168]
	v_div_scale_f64 v[169:170], vcc_lo, 1.0, v[150:151], 1.0
	v_mul_f64 v[171:172], v[169:170], v[167:168]
	v_fma_f64 v[152:153], -v[152:153], v[171:172], v[169:170]
	v_div_fmas_f64 v[152:153], v[152:153], v[167:168], v[171:172]
	v_div_fixup_f64 v[152:153], v[152:153], v[150:151], 1.0
	v_mul_f64 v[150:151], v[165:166], v[152:153]
	v_xor_b32_e32 v153, 0x80000000, v153
.LBB72_91:
	s_andn2_saveexec_b32 s3, s3
	s_cbranch_execz .LBB72_93
; %bb.92:
	v_div_scale_f64 v[165:166], null, v[150:151], v[150:151], v[152:153]
	v_div_scale_f64 v[171:172], vcc_lo, v[152:153], v[150:151], v[152:153]
	v_rcp_f64_e32 v[167:168], v[165:166]
	v_fma_f64 v[169:170], -v[165:166], v[167:168], 1.0
	v_fma_f64 v[167:168], v[167:168], v[169:170], v[167:168]
	v_fma_f64 v[169:170], -v[165:166], v[167:168], 1.0
	v_fma_f64 v[167:168], v[167:168], v[169:170], v[167:168]
	v_mul_f64 v[169:170], v[171:172], v[167:168]
	v_fma_f64 v[165:166], -v[165:166], v[169:170], v[171:172]
	v_div_fmas_f64 v[165:166], v[165:166], v[167:168], v[169:170]
	v_div_fixup_f64 v[165:166], v[165:166], v[150:151], v[152:153]
	v_fma_f64 v[150:151], v[152:153], v[165:166], v[150:151]
	v_div_scale_f64 v[152:153], null, v[150:151], v[150:151], 1.0
	v_rcp_f64_e32 v[167:168], v[152:153]
	v_fma_f64 v[169:170], -v[152:153], v[167:168], 1.0
	v_fma_f64 v[167:168], v[167:168], v[169:170], v[167:168]
	v_fma_f64 v[169:170], -v[152:153], v[167:168], 1.0
	v_fma_f64 v[167:168], v[167:168], v[169:170], v[167:168]
	v_div_scale_f64 v[169:170], vcc_lo, 1.0, v[150:151], 1.0
	v_mul_f64 v[171:172], v[169:170], v[167:168]
	v_fma_f64 v[152:153], -v[152:153], v[171:172], v[169:170]
	v_div_fmas_f64 v[152:153], v[152:153], v[167:168], v[171:172]
	v_div_fixup_f64 v[150:151], v[152:153], v[150:151], 1.0
	v_mul_f64 v[152:153], v[165:166], -v[150:151]
.LBB72_93:
	s_or_b32 exec_lo, exec_lo, s3
.LBB72_94:
	s_or_b32 exec_lo, exec_lo, s0
	s_mov_b32 s0, exec_lo
	v_cmpx_ne_u32_e64 v164, v158
	s_xor_b32 s0, exec_lo, s0
	s_cbranch_execz .LBB72_100
; %bb.95:
	s_mov_b32 s3, exec_lo
	v_cmpx_eq_u32_e32 4, v164
	s_cbranch_execz .LBB72_99
; %bb.96:
	v_cmp_ne_u32_e32 vcc_lo, 4, v158
	s_xor_b32 s8, s16, -1
	s_and_b32 s9, s8, vcc_lo
	s_and_saveexec_b32 s8, s9
	s_cbranch_execz .LBB72_98
; %bb.97:
	v_ashrrev_i32_e32 v159, 31, v158
	v_lshlrev_b64 v[164:165], 2, v[158:159]
	v_add_co_u32 v164, vcc_lo, v156, v164
	v_add_co_ci_u32_e64 v165, null, v157, v165, vcc_lo
	s_clause 0x1
	global_load_dword v0, v[164:165], off
	global_load_dword v159, v[156:157], off offset:16
	s_waitcnt vmcnt(1)
	global_store_dword v[156:157], v0, off offset:16
	s_waitcnt vmcnt(0)
	global_store_dword v[164:165], v159, off
.LBB72_98:
	s_or_b32 exec_lo, exec_lo, s8
	v_mov_b32_e32 v164, v158
	v_mov_b32_e32 v0, v158
.LBB72_99:
	s_or_b32 exec_lo, exec_lo, s3
.LBB72_100:
	s_andn2_saveexec_b32 s0, s0
	s_cbranch_execz .LBB72_102
; %bb.101:
	v_mov_b32_e32 v164, 4
	ds_write2_b64 v1, v[122:123], v[124:125] offset0:10 offset1:11
	ds_write2_b64 v1, v[126:127], v[128:129] offset0:12 offset1:13
	;; [unrolled: 1-line block ×32, first 2 shown]
.LBB72_102:
	s_or_b32 exec_lo, exec_lo, s0
	s_mov_b32 s0, exec_lo
	s_waitcnt lgkmcnt(0)
	s_waitcnt_vscnt null, 0x0
	s_barrier
	buffer_gl0_inv
	v_cmpx_lt_i32_e32 4, v164
	s_cbranch_execz .LBB72_104
; %bb.103:
	v_mul_f64 v[158:159], v[152:153], v[140:141]
	v_mul_f64 v[140:141], v[150:151], v[140:141]
	v_fma_f64 v[158:159], v[150:151], v[138:139], -v[158:159]
	v_fma_f64 v[140:141], v[152:153], v[138:139], v[140:141]
	ds_read2_b64 v[150:153], v1 offset0:10 offset1:11
	s_waitcnt lgkmcnt(0)
	v_mul_f64 v[138:139], v[152:153], v[140:141]
	v_fma_f64 v[138:139], v[150:151], v[158:159], -v[138:139]
	v_mul_f64 v[150:151], v[150:151], v[140:141]
	v_add_f64 v[122:123], v[122:123], -v[138:139]
	v_fma_f64 v[150:151], v[152:153], v[158:159], v[150:151]
	v_add_f64 v[124:125], v[124:125], -v[150:151]
	ds_read2_b64 v[150:153], v1 offset0:12 offset1:13
	s_waitcnt lgkmcnt(0)
	v_mul_f64 v[138:139], v[152:153], v[140:141]
	v_fma_f64 v[138:139], v[150:151], v[158:159], -v[138:139]
	v_mul_f64 v[150:151], v[150:151], v[140:141]
	v_add_f64 v[126:127], v[126:127], -v[138:139]
	v_fma_f64 v[150:151], v[152:153], v[158:159], v[150:151]
	v_add_f64 v[128:129], v[128:129], -v[150:151]
	;; [unrolled: 8-line block ×31, first 2 shown]
	ds_read2_b64 v[150:153], v1 offset0:72 offset1:73
	s_waitcnt lgkmcnt(0)
	v_mul_f64 v[138:139], v[152:153], v[140:141]
	v_fma_f64 v[138:139], v[150:151], v[158:159], -v[138:139]
	v_mul_f64 v[150:151], v[150:151], v[140:141]
	v_add_f64 v[2:3], v[2:3], -v[138:139]
	v_fma_f64 v[150:151], v[152:153], v[158:159], v[150:151]
	v_mov_b32_e32 v138, v158
	v_mov_b32_e32 v139, v159
	v_add_f64 v[4:5], v[4:5], -v[150:151]
.LBB72_104:
	s_or_b32 exec_lo, exec_lo, s0
	v_lshl_add_u32 v150, v164, 4, v1
	s_barrier
	buffer_gl0_inv
	v_mov_b32_e32 v158, 5
	ds_write2_b64 v150, v[122:123], v[124:125] offset1:1
	s_waitcnt lgkmcnt(0)
	s_barrier
	buffer_gl0_inv
	ds_read2_b64 v[150:153], v1 offset0:10 offset1:11
	s_cmp_lt_i32 s1, 7
	s_cbranch_scc1 .LBB72_107
; %bb.105:
	v_add3_u32 v159, v160, 0, 0x60
	v_mov_b32_e32 v158, 5
	s_mov_b32 s3, 6
	s_inst_prefetch 0x1
	.p2align	6
.LBB72_106:                             ; =>This Inner Loop Header: Depth=1
	s_waitcnt lgkmcnt(0)
	v_cmp_gt_f64_e32 vcc_lo, 0, v[152:153]
	v_cmp_gt_f64_e64 s0, 0, v[150:151]
	ds_read2_b64 v[165:168], v159 offset1:1
	v_xor_b32_e32 v170, 0x80000000, v151
	v_xor_b32_e32 v172, 0x80000000, v153
	v_mov_b32_e32 v169, v150
	v_mov_b32_e32 v171, v152
	v_add_nc_u32_e32 v159, 16, v159
	s_waitcnt lgkmcnt(0)
	v_xor_b32_e32 v174, 0x80000000, v168
	v_cndmask_b32_e64 v170, v151, v170, s0
	v_cndmask_b32_e32 v172, v153, v172, vcc_lo
	v_cmp_gt_f64_e32 vcc_lo, 0, v[167:168]
	v_cmp_gt_f64_e64 s0, 0, v[165:166]
	v_mov_b32_e32 v173, v167
	v_add_f64 v[169:170], v[169:170], v[171:172]
	v_xor_b32_e32 v172, 0x80000000, v166
	v_mov_b32_e32 v171, v165
	v_cndmask_b32_e32 v174, v168, v174, vcc_lo
	v_cndmask_b32_e64 v172, v166, v172, s0
	v_add_f64 v[171:172], v[171:172], v[173:174]
	v_cmp_lt_f64_e32 vcc_lo, v[169:170], v[171:172]
	v_cndmask_b32_e32 v151, v151, v166, vcc_lo
	v_cndmask_b32_e32 v150, v150, v165, vcc_lo
	;; [unrolled: 1-line block ×4, first 2 shown]
	v_cndmask_b32_e64 v158, v158, s3, vcc_lo
	s_add_i32 s3, s3, 1
	s_cmp_lg_u32 s1, s3
	s_cbranch_scc1 .LBB72_106
.LBB72_107:
	s_inst_prefetch 0x2
	s_waitcnt lgkmcnt(0)
	v_cmp_eq_f64_e32 vcc_lo, 0, v[150:151]
	v_cmp_eq_f64_e64 s0, 0, v[152:153]
	s_and_b32 s0, vcc_lo, s0
	s_and_saveexec_b32 s3, s0
	s_xor_b32 s0, exec_lo, s3
; %bb.108:
	v_cmp_ne_u32_e32 vcc_lo, 0, v163
	v_cndmask_b32_e32 v163, 6, v163, vcc_lo
; %bb.109:
	s_andn2_saveexec_b32 s0, s0
	s_cbranch_execz .LBB72_115
; %bb.110:
	v_cmp_ngt_f64_e64 s3, |v[150:151]|, |v[152:153]|
	s_and_saveexec_b32 s8, s3
	s_xor_b32 s3, exec_lo, s8
	s_cbranch_execz .LBB72_112
; %bb.111:
	v_div_scale_f64 v[165:166], null, v[152:153], v[152:153], v[150:151]
	v_div_scale_f64 v[171:172], vcc_lo, v[150:151], v[152:153], v[150:151]
	v_rcp_f64_e32 v[167:168], v[165:166]
	v_fma_f64 v[169:170], -v[165:166], v[167:168], 1.0
	v_fma_f64 v[167:168], v[167:168], v[169:170], v[167:168]
	v_fma_f64 v[169:170], -v[165:166], v[167:168], 1.0
	v_fma_f64 v[167:168], v[167:168], v[169:170], v[167:168]
	v_mul_f64 v[169:170], v[171:172], v[167:168]
	v_fma_f64 v[165:166], -v[165:166], v[169:170], v[171:172]
	v_div_fmas_f64 v[165:166], v[165:166], v[167:168], v[169:170]
	v_div_fixup_f64 v[165:166], v[165:166], v[152:153], v[150:151]
	v_fma_f64 v[150:151], v[150:151], v[165:166], v[152:153]
	v_div_scale_f64 v[152:153], null, v[150:151], v[150:151], 1.0
	v_rcp_f64_e32 v[167:168], v[152:153]
	v_fma_f64 v[169:170], -v[152:153], v[167:168], 1.0
	v_fma_f64 v[167:168], v[167:168], v[169:170], v[167:168]
	v_fma_f64 v[169:170], -v[152:153], v[167:168], 1.0
	v_fma_f64 v[167:168], v[167:168], v[169:170], v[167:168]
	v_div_scale_f64 v[169:170], vcc_lo, 1.0, v[150:151], 1.0
	v_mul_f64 v[171:172], v[169:170], v[167:168]
	v_fma_f64 v[152:153], -v[152:153], v[171:172], v[169:170]
	v_div_fmas_f64 v[152:153], v[152:153], v[167:168], v[171:172]
	v_div_fixup_f64 v[152:153], v[152:153], v[150:151], 1.0
	v_mul_f64 v[150:151], v[165:166], v[152:153]
	v_xor_b32_e32 v153, 0x80000000, v153
.LBB72_112:
	s_andn2_saveexec_b32 s3, s3
	s_cbranch_execz .LBB72_114
; %bb.113:
	v_div_scale_f64 v[165:166], null, v[150:151], v[150:151], v[152:153]
	v_div_scale_f64 v[171:172], vcc_lo, v[152:153], v[150:151], v[152:153]
	v_rcp_f64_e32 v[167:168], v[165:166]
	v_fma_f64 v[169:170], -v[165:166], v[167:168], 1.0
	v_fma_f64 v[167:168], v[167:168], v[169:170], v[167:168]
	v_fma_f64 v[169:170], -v[165:166], v[167:168], 1.0
	v_fma_f64 v[167:168], v[167:168], v[169:170], v[167:168]
	v_mul_f64 v[169:170], v[171:172], v[167:168]
	v_fma_f64 v[165:166], -v[165:166], v[169:170], v[171:172]
	v_div_fmas_f64 v[165:166], v[165:166], v[167:168], v[169:170]
	v_div_fixup_f64 v[165:166], v[165:166], v[150:151], v[152:153]
	v_fma_f64 v[150:151], v[152:153], v[165:166], v[150:151]
	v_div_scale_f64 v[152:153], null, v[150:151], v[150:151], 1.0
	v_rcp_f64_e32 v[167:168], v[152:153]
	v_fma_f64 v[169:170], -v[152:153], v[167:168], 1.0
	v_fma_f64 v[167:168], v[167:168], v[169:170], v[167:168]
	v_fma_f64 v[169:170], -v[152:153], v[167:168], 1.0
	v_fma_f64 v[167:168], v[167:168], v[169:170], v[167:168]
	v_div_scale_f64 v[169:170], vcc_lo, 1.0, v[150:151], 1.0
	v_mul_f64 v[171:172], v[169:170], v[167:168]
	v_fma_f64 v[152:153], -v[152:153], v[171:172], v[169:170]
	v_div_fmas_f64 v[152:153], v[152:153], v[167:168], v[171:172]
	v_div_fixup_f64 v[150:151], v[152:153], v[150:151], 1.0
	v_mul_f64 v[152:153], v[165:166], -v[150:151]
.LBB72_114:
	s_or_b32 exec_lo, exec_lo, s3
.LBB72_115:
	s_or_b32 exec_lo, exec_lo, s0
	s_mov_b32 s0, exec_lo
	v_cmpx_ne_u32_e64 v164, v158
	s_xor_b32 s0, exec_lo, s0
	s_cbranch_execz .LBB72_121
; %bb.116:
	s_mov_b32 s3, exec_lo
	v_cmpx_eq_u32_e32 5, v164
	s_cbranch_execz .LBB72_120
; %bb.117:
	v_cmp_ne_u32_e32 vcc_lo, 5, v158
	s_xor_b32 s8, s16, -1
	s_and_b32 s9, s8, vcc_lo
	s_and_saveexec_b32 s8, s9
	s_cbranch_execz .LBB72_119
; %bb.118:
	v_ashrrev_i32_e32 v159, 31, v158
	v_lshlrev_b64 v[164:165], 2, v[158:159]
	v_add_co_u32 v164, vcc_lo, v156, v164
	v_add_co_ci_u32_e64 v165, null, v157, v165, vcc_lo
	s_clause 0x1
	global_load_dword v0, v[164:165], off
	global_load_dword v159, v[156:157], off offset:20
	s_waitcnt vmcnt(1)
	global_store_dword v[156:157], v0, off offset:20
	s_waitcnt vmcnt(0)
	global_store_dword v[164:165], v159, off
.LBB72_119:
	s_or_b32 exec_lo, exec_lo, s8
	v_mov_b32_e32 v164, v158
	v_mov_b32_e32 v0, v158
.LBB72_120:
	s_or_b32 exec_lo, exec_lo, s3
.LBB72_121:
	s_andn2_saveexec_b32 s0, s0
	s_cbranch_execz .LBB72_123
; %bb.122:
	v_mov_b32_e32 v164, 5
	ds_write2_b64 v1, v[126:127], v[128:129] offset0:12 offset1:13
	ds_write2_b64 v1, v[110:111], v[112:113] offset0:14 offset1:15
	;; [unrolled: 1-line block ×31, first 2 shown]
.LBB72_123:
	s_or_b32 exec_lo, exec_lo, s0
	s_mov_b32 s0, exec_lo
	s_waitcnt lgkmcnt(0)
	s_waitcnt_vscnt null, 0x0
	s_barrier
	buffer_gl0_inv
	v_cmpx_lt_i32_e32 5, v164
	s_cbranch_execz .LBB72_125
; %bb.124:
	v_mul_f64 v[158:159], v[152:153], v[124:125]
	v_mul_f64 v[124:125], v[150:151], v[124:125]
	v_fma_f64 v[158:159], v[150:151], v[122:123], -v[158:159]
	v_fma_f64 v[124:125], v[152:153], v[122:123], v[124:125]
	ds_read2_b64 v[150:153], v1 offset0:12 offset1:13
	s_waitcnt lgkmcnt(0)
	v_mul_f64 v[122:123], v[152:153], v[124:125]
	v_fma_f64 v[122:123], v[150:151], v[158:159], -v[122:123]
	v_mul_f64 v[150:151], v[150:151], v[124:125]
	v_add_f64 v[126:127], v[126:127], -v[122:123]
	v_fma_f64 v[150:151], v[152:153], v[158:159], v[150:151]
	v_add_f64 v[128:129], v[128:129], -v[150:151]
	ds_read2_b64 v[150:153], v1 offset0:14 offset1:15
	s_waitcnt lgkmcnt(0)
	v_mul_f64 v[122:123], v[152:153], v[124:125]
	v_fma_f64 v[122:123], v[150:151], v[158:159], -v[122:123]
	v_mul_f64 v[150:151], v[150:151], v[124:125]
	v_add_f64 v[110:111], v[110:111], -v[122:123]
	v_fma_f64 v[150:151], v[152:153], v[158:159], v[150:151]
	v_add_f64 v[112:113], v[112:113], -v[150:151]
	;; [unrolled: 8-line block ×30, first 2 shown]
	ds_read2_b64 v[150:153], v1 offset0:72 offset1:73
	s_waitcnt lgkmcnt(0)
	v_mul_f64 v[122:123], v[152:153], v[124:125]
	v_fma_f64 v[122:123], v[150:151], v[158:159], -v[122:123]
	v_mul_f64 v[150:151], v[150:151], v[124:125]
	v_add_f64 v[2:3], v[2:3], -v[122:123]
	v_fma_f64 v[150:151], v[152:153], v[158:159], v[150:151]
	v_mov_b32_e32 v122, v158
	v_mov_b32_e32 v123, v159
	v_add_f64 v[4:5], v[4:5], -v[150:151]
.LBB72_125:
	s_or_b32 exec_lo, exec_lo, s0
	v_lshl_add_u32 v150, v164, 4, v1
	s_barrier
	buffer_gl0_inv
	v_mov_b32_e32 v158, 6
	ds_write2_b64 v150, v[126:127], v[128:129] offset1:1
	s_waitcnt lgkmcnt(0)
	s_barrier
	buffer_gl0_inv
	ds_read2_b64 v[150:153], v1 offset0:12 offset1:13
	s_cmp_lt_i32 s1, 8
	s_cbranch_scc1 .LBB72_128
; %bb.126:
	v_add3_u32 v159, v160, 0, 0x70
	v_mov_b32_e32 v158, 6
	s_mov_b32 s3, 7
	s_inst_prefetch 0x1
	.p2align	6
.LBB72_127:                             ; =>This Inner Loop Header: Depth=1
	s_waitcnt lgkmcnt(0)
	v_cmp_gt_f64_e32 vcc_lo, 0, v[152:153]
	v_cmp_gt_f64_e64 s0, 0, v[150:151]
	ds_read2_b64 v[165:168], v159 offset1:1
	v_xor_b32_e32 v170, 0x80000000, v151
	v_xor_b32_e32 v172, 0x80000000, v153
	v_mov_b32_e32 v169, v150
	v_mov_b32_e32 v171, v152
	v_add_nc_u32_e32 v159, 16, v159
	s_waitcnt lgkmcnt(0)
	v_xor_b32_e32 v174, 0x80000000, v168
	v_cndmask_b32_e64 v170, v151, v170, s0
	v_cndmask_b32_e32 v172, v153, v172, vcc_lo
	v_cmp_gt_f64_e32 vcc_lo, 0, v[167:168]
	v_cmp_gt_f64_e64 s0, 0, v[165:166]
	v_mov_b32_e32 v173, v167
	v_add_f64 v[169:170], v[169:170], v[171:172]
	v_xor_b32_e32 v172, 0x80000000, v166
	v_mov_b32_e32 v171, v165
	v_cndmask_b32_e32 v174, v168, v174, vcc_lo
	v_cndmask_b32_e64 v172, v166, v172, s0
	v_add_f64 v[171:172], v[171:172], v[173:174]
	v_cmp_lt_f64_e32 vcc_lo, v[169:170], v[171:172]
	v_cndmask_b32_e32 v151, v151, v166, vcc_lo
	v_cndmask_b32_e32 v150, v150, v165, vcc_lo
	;; [unrolled: 1-line block ×4, first 2 shown]
	v_cndmask_b32_e64 v158, v158, s3, vcc_lo
	s_add_i32 s3, s3, 1
	s_cmp_lg_u32 s1, s3
	s_cbranch_scc1 .LBB72_127
.LBB72_128:
	s_inst_prefetch 0x2
	s_waitcnt lgkmcnt(0)
	v_cmp_eq_f64_e32 vcc_lo, 0, v[150:151]
	v_cmp_eq_f64_e64 s0, 0, v[152:153]
	s_and_b32 s0, vcc_lo, s0
	s_and_saveexec_b32 s3, s0
	s_xor_b32 s0, exec_lo, s3
; %bb.129:
	v_cmp_ne_u32_e32 vcc_lo, 0, v163
	v_cndmask_b32_e32 v163, 7, v163, vcc_lo
; %bb.130:
	s_andn2_saveexec_b32 s0, s0
	s_cbranch_execz .LBB72_136
; %bb.131:
	v_cmp_ngt_f64_e64 s3, |v[150:151]|, |v[152:153]|
	s_and_saveexec_b32 s8, s3
	s_xor_b32 s3, exec_lo, s8
	s_cbranch_execz .LBB72_133
; %bb.132:
	v_div_scale_f64 v[165:166], null, v[152:153], v[152:153], v[150:151]
	v_div_scale_f64 v[171:172], vcc_lo, v[150:151], v[152:153], v[150:151]
	v_rcp_f64_e32 v[167:168], v[165:166]
	v_fma_f64 v[169:170], -v[165:166], v[167:168], 1.0
	v_fma_f64 v[167:168], v[167:168], v[169:170], v[167:168]
	v_fma_f64 v[169:170], -v[165:166], v[167:168], 1.0
	v_fma_f64 v[167:168], v[167:168], v[169:170], v[167:168]
	v_mul_f64 v[169:170], v[171:172], v[167:168]
	v_fma_f64 v[165:166], -v[165:166], v[169:170], v[171:172]
	v_div_fmas_f64 v[165:166], v[165:166], v[167:168], v[169:170]
	v_div_fixup_f64 v[165:166], v[165:166], v[152:153], v[150:151]
	v_fma_f64 v[150:151], v[150:151], v[165:166], v[152:153]
	v_div_scale_f64 v[152:153], null, v[150:151], v[150:151], 1.0
	v_rcp_f64_e32 v[167:168], v[152:153]
	v_fma_f64 v[169:170], -v[152:153], v[167:168], 1.0
	v_fma_f64 v[167:168], v[167:168], v[169:170], v[167:168]
	v_fma_f64 v[169:170], -v[152:153], v[167:168], 1.0
	v_fma_f64 v[167:168], v[167:168], v[169:170], v[167:168]
	v_div_scale_f64 v[169:170], vcc_lo, 1.0, v[150:151], 1.0
	v_mul_f64 v[171:172], v[169:170], v[167:168]
	v_fma_f64 v[152:153], -v[152:153], v[171:172], v[169:170]
	v_div_fmas_f64 v[152:153], v[152:153], v[167:168], v[171:172]
	v_div_fixup_f64 v[152:153], v[152:153], v[150:151], 1.0
	v_mul_f64 v[150:151], v[165:166], v[152:153]
	v_xor_b32_e32 v153, 0x80000000, v153
.LBB72_133:
	s_andn2_saveexec_b32 s3, s3
	s_cbranch_execz .LBB72_135
; %bb.134:
	v_div_scale_f64 v[165:166], null, v[150:151], v[150:151], v[152:153]
	v_div_scale_f64 v[171:172], vcc_lo, v[152:153], v[150:151], v[152:153]
	v_rcp_f64_e32 v[167:168], v[165:166]
	v_fma_f64 v[169:170], -v[165:166], v[167:168], 1.0
	v_fma_f64 v[167:168], v[167:168], v[169:170], v[167:168]
	v_fma_f64 v[169:170], -v[165:166], v[167:168], 1.0
	v_fma_f64 v[167:168], v[167:168], v[169:170], v[167:168]
	v_mul_f64 v[169:170], v[171:172], v[167:168]
	v_fma_f64 v[165:166], -v[165:166], v[169:170], v[171:172]
	v_div_fmas_f64 v[165:166], v[165:166], v[167:168], v[169:170]
	v_div_fixup_f64 v[165:166], v[165:166], v[150:151], v[152:153]
	v_fma_f64 v[150:151], v[152:153], v[165:166], v[150:151]
	v_div_scale_f64 v[152:153], null, v[150:151], v[150:151], 1.0
	v_rcp_f64_e32 v[167:168], v[152:153]
	v_fma_f64 v[169:170], -v[152:153], v[167:168], 1.0
	v_fma_f64 v[167:168], v[167:168], v[169:170], v[167:168]
	v_fma_f64 v[169:170], -v[152:153], v[167:168], 1.0
	v_fma_f64 v[167:168], v[167:168], v[169:170], v[167:168]
	v_div_scale_f64 v[169:170], vcc_lo, 1.0, v[150:151], 1.0
	v_mul_f64 v[171:172], v[169:170], v[167:168]
	v_fma_f64 v[152:153], -v[152:153], v[171:172], v[169:170]
	v_div_fmas_f64 v[152:153], v[152:153], v[167:168], v[171:172]
	v_div_fixup_f64 v[150:151], v[152:153], v[150:151], 1.0
	v_mul_f64 v[152:153], v[165:166], -v[150:151]
.LBB72_135:
	s_or_b32 exec_lo, exec_lo, s3
.LBB72_136:
	s_or_b32 exec_lo, exec_lo, s0
	s_mov_b32 s0, exec_lo
	v_cmpx_ne_u32_e64 v164, v158
	s_xor_b32 s0, exec_lo, s0
	s_cbranch_execz .LBB72_142
; %bb.137:
	s_mov_b32 s3, exec_lo
	v_cmpx_eq_u32_e32 6, v164
	s_cbranch_execz .LBB72_141
; %bb.138:
	v_cmp_ne_u32_e32 vcc_lo, 6, v158
	s_xor_b32 s8, s16, -1
	s_and_b32 s9, s8, vcc_lo
	s_and_saveexec_b32 s8, s9
	s_cbranch_execz .LBB72_140
; %bb.139:
	v_ashrrev_i32_e32 v159, 31, v158
	v_lshlrev_b64 v[164:165], 2, v[158:159]
	v_add_co_u32 v164, vcc_lo, v156, v164
	v_add_co_ci_u32_e64 v165, null, v157, v165, vcc_lo
	s_clause 0x1
	global_load_dword v0, v[164:165], off
	global_load_dword v159, v[156:157], off offset:24
	s_waitcnt vmcnt(1)
	global_store_dword v[156:157], v0, off offset:24
	s_waitcnt vmcnt(0)
	global_store_dword v[164:165], v159, off
.LBB72_140:
	s_or_b32 exec_lo, exec_lo, s8
	v_mov_b32_e32 v164, v158
	v_mov_b32_e32 v0, v158
.LBB72_141:
	s_or_b32 exec_lo, exec_lo, s3
.LBB72_142:
	s_andn2_saveexec_b32 s0, s0
	s_cbranch_execz .LBB72_144
; %bb.143:
	v_mov_b32_e32 v164, 6
	ds_write2_b64 v1, v[110:111], v[112:113] offset0:14 offset1:15
	ds_write2_b64 v1, v[118:119], v[120:121] offset0:16 offset1:17
	;; [unrolled: 1-line block ×30, first 2 shown]
.LBB72_144:
	s_or_b32 exec_lo, exec_lo, s0
	s_mov_b32 s0, exec_lo
	s_waitcnt lgkmcnt(0)
	s_waitcnt_vscnt null, 0x0
	s_barrier
	buffer_gl0_inv
	v_cmpx_lt_i32_e32 6, v164
	s_cbranch_execz .LBB72_146
; %bb.145:
	v_mul_f64 v[158:159], v[152:153], v[128:129]
	v_mul_f64 v[128:129], v[150:151], v[128:129]
	v_fma_f64 v[158:159], v[150:151], v[126:127], -v[158:159]
	v_fma_f64 v[128:129], v[152:153], v[126:127], v[128:129]
	ds_read2_b64 v[150:153], v1 offset0:14 offset1:15
	s_waitcnt lgkmcnt(0)
	v_mul_f64 v[126:127], v[152:153], v[128:129]
	v_fma_f64 v[126:127], v[150:151], v[158:159], -v[126:127]
	v_mul_f64 v[150:151], v[150:151], v[128:129]
	v_add_f64 v[110:111], v[110:111], -v[126:127]
	v_fma_f64 v[150:151], v[152:153], v[158:159], v[150:151]
	v_add_f64 v[112:113], v[112:113], -v[150:151]
	ds_read2_b64 v[150:153], v1 offset0:16 offset1:17
	s_waitcnt lgkmcnt(0)
	v_mul_f64 v[126:127], v[152:153], v[128:129]
	v_fma_f64 v[126:127], v[150:151], v[158:159], -v[126:127]
	v_mul_f64 v[150:151], v[150:151], v[128:129]
	v_add_f64 v[118:119], v[118:119], -v[126:127]
	v_fma_f64 v[150:151], v[152:153], v[158:159], v[150:151]
	v_add_f64 v[120:121], v[120:121], -v[150:151]
	;; [unrolled: 8-line block ×29, first 2 shown]
	ds_read2_b64 v[150:153], v1 offset0:72 offset1:73
	s_waitcnt lgkmcnt(0)
	v_mul_f64 v[126:127], v[152:153], v[128:129]
	v_fma_f64 v[126:127], v[150:151], v[158:159], -v[126:127]
	v_mul_f64 v[150:151], v[150:151], v[128:129]
	v_add_f64 v[2:3], v[2:3], -v[126:127]
	v_fma_f64 v[150:151], v[152:153], v[158:159], v[150:151]
	v_mov_b32_e32 v126, v158
	v_mov_b32_e32 v127, v159
	v_add_f64 v[4:5], v[4:5], -v[150:151]
.LBB72_146:
	s_or_b32 exec_lo, exec_lo, s0
	v_lshl_add_u32 v150, v164, 4, v1
	s_barrier
	buffer_gl0_inv
	v_mov_b32_e32 v158, 7
	ds_write2_b64 v150, v[110:111], v[112:113] offset1:1
	s_waitcnt lgkmcnt(0)
	s_barrier
	buffer_gl0_inv
	ds_read2_b64 v[150:153], v1 offset0:14 offset1:15
	s_cmp_lt_i32 s1, 9
	s_cbranch_scc1 .LBB72_149
; %bb.147:
	v_add3_u32 v159, v160, 0, 0x80
	v_mov_b32_e32 v158, 7
	s_mov_b32 s3, 8
	s_inst_prefetch 0x1
	.p2align	6
.LBB72_148:                             ; =>This Inner Loop Header: Depth=1
	s_waitcnt lgkmcnt(0)
	v_cmp_gt_f64_e32 vcc_lo, 0, v[152:153]
	v_cmp_gt_f64_e64 s0, 0, v[150:151]
	ds_read2_b64 v[165:168], v159 offset1:1
	v_xor_b32_e32 v170, 0x80000000, v151
	v_xor_b32_e32 v172, 0x80000000, v153
	v_mov_b32_e32 v169, v150
	v_mov_b32_e32 v171, v152
	v_add_nc_u32_e32 v159, 16, v159
	s_waitcnt lgkmcnt(0)
	v_xor_b32_e32 v174, 0x80000000, v168
	v_cndmask_b32_e64 v170, v151, v170, s0
	v_cndmask_b32_e32 v172, v153, v172, vcc_lo
	v_cmp_gt_f64_e32 vcc_lo, 0, v[167:168]
	v_cmp_gt_f64_e64 s0, 0, v[165:166]
	v_mov_b32_e32 v173, v167
	v_add_f64 v[169:170], v[169:170], v[171:172]
	v_xor_b32_e32 v172, 0x80000000, v166
	v_mov_b32_e32 v171, v165
	v_cndmask_b32_e32 v174, v168, v174, vcc_lo
	v_cndmask_b32_e64 v172, v166, v172, s0
	v_add_f64 v[171:172], v[171:172], v[173:174]
	v_cmp_lt_f64_e32 vcc_lo, v[169:170], v[171:172]
	v_cndmask_b32_e32 v151, v151, v166, vcc_lo
	v_cndmask_b32_e32 v150, v150, v165, vcc_lo
	;; [unrolled: 1-line block ×4, first 2 shown]
	v_cndmask_b32_e64 v158, v158, s3, vcc_lo
	s_add_i32 s3, s3, 1
	s_cmp_lg_u32 s1, s3
	s_cbranch_scc1 .LBB72_148
.LBB72_149:
	s_inst_prefetch 0x2
	s_waitcnt lgkmcnt(0)
	v_cmp_eq_f64_e32 vcc_lo, 0, v[150:151]
	v_cmp_eq_f64_e64 s0, 0, v[152:153]
	s_and_b32 s0, vcc_lo, s0
	s_and_saveexec_b32 s3, s0
	s_xor_b32 s0, exec_lo, s3
; %bb.150:
	v_cmp_ne_u32_e32 vcc_lo, 0, v163
	v_cndmask_b32_e32 v163, 8, v163, vcc_lo
; %bb.151:
	s_andn2_saveexec_b32 s0, s0
	s_cbranch_execz .LBB72_157
; %bb.152:
	v_cmp_ngt_f64_e64 s3, |v[150:151]|, |v[152:153]|
	s_and_saveexec_b32 s8, s3
	s_xor_b32 s3, exec_lo, s8
	s_cbranch_execz .LBB72_154
; %bb.153:
	v_div_scale_f64 v[165:166], null, v[152:153], v[152:153], v[150:151]
	v_div_scale_f64 v[171:172], vcc_lo, v[150:151], v[152:153], v[150:151]
	v_rcp_f64_e32 v[167:168], v[165:166]
	v_fma_f64 v[169:170], -v[165:166], v[167:168], 1.0
	v_fma_f64 v[167:168], v[167:168], v[169:170], v[167:168]
	v_fma_f64 v[169:170], -v[165:166], v[167:168], 1.0
	v_fma_f64 v[167:168], v[167:168], v[169:170], v[167:168]
	v_mul_f64 v[169:170], v[171:172], v[167:168]
	v_fma_f64 v[165:166], -v[165:166], v[169:170], v[171:172]
	v_div_fmas_f64 v[165:166], v[165:166], v[167:168], v[169:170]
	v_div_fixup_f64 v[165:166], v[165:166], v[152:153], v[150:151]
	v_fma_f64 v[150:151], v[150:151], v[165:166], v[152:153]
	v_div_scale_f64 v[152:153], null, v[150:151], v[150:151], 1.0
	v_rcp_f64_e32 v[167:168], v[152:153]
	v_fma_f64 v[169:170], -v[152:153], v[167:168], 1.0
	v_fma_f64 v[167:168], v[167:168], v[169:170], v[167:168]
	v_fma_f64 v[169:170], -v[152:153], v[167:168], 1.0
	v_fma_f64 v[167:168], v[167:168], v[169:170], v[167:168]
	v_div_scale_f64 v[169:170], vcc_lo, 1.0, v[150:151], 1.0
	v_mul_f64 v[171:172], v[169:170], v[167:168]
	v_fma_f64 v[152:153], -v[152:153], v[171:172], v[169:170]
	v_div_fmas_f64 v[152:153], v[152:153], v[167:168], v[171:172]
	v_div_fixup_f64 v[152:153], v[152:153], v[150:151], 1.0
	v_mul_f64 v[150:151], v[165:166], v[152:153]
	v_xor_b32_e32 v153, 0x80000000, v153
.LBB72_154:
	s_andn2_saveexec_b32 s3, s3
	s_cbranch_execz .LBB72_156
; %bb.155:
	v_div_scale_f64 v[165:166], null, v[150:151], v[150:151], v[152:153]
	v_div_scale_f64 v[171:172], vcc_lo, v[152:153], v[150:151], v[152:153]
	v_rcp_f64_e32 v[167:168], v[165:166]
	v_fma_f64 v[169:170], -v[165:166], v[167:168], 1.0
	v_fma_f64 v[167:168], v[167:168], v[169:170], v[167:168]
	v_fma_f64 v[169:170], -v[165:166], v[167:168], 1.0
	v_fma_f64 v[167:168], v[167:168], v[169:170], v[167:168]
	v_mul_f64 v[169:170], v[171:172], v[167:168]
	v_fma_f64 v[165:166], -v[165:166], v[169:170], v[171:172]
	v_div_fmas_f64 v[165:166], v[165:166], v[167:168], v[169:170]
	v_div_fixup_f64 v[165:166], v[165:166], v[150:151], v[152:153]
	v_fma_f64 v[150:151], v[152:153], v[165:166], v[150:151]
	v_div_scale_f64 v[152:153], null, v[150:151], v[150:151], 1.0
	v_rcp_f64_e32 v[167:168], v[152:153]
	v_fma_f64 v[169:170], -v[152:153], v[167:168], 1.0
	v_fma_f64 v[167:168], v[167:168], v[169:170], v[167:168]
	v_fma_f64 v[169:170], -v[152:153], v[167:168], 1.0
	v_fma_f64 v[167:168], v[167:168], v[169:170], v[167:168]
	v_div_scale_f64 v[169:170], vcc_lo, 1.0, v[150:151], 1.0
	v_mul_f64 v[171:172], v[169:170], v[167:168]
	v_fma_f64 v[152:153], -v[152:153], v[171:172], v[169:170]
	v_div_fmas_f64 v[152:153], v[152:153], v[167:168], v[171:172]
	v_div_fixup_f64 v[150:151], v[152:153], v[150:151], 1.0
	v_mul_f64 v[152:153], v[165:166], -v[150:151]
.LBB72_156:
	s_or_b32 exec_lo, exec_lo, s3
.LBB72_157:
	s_or_b32 exec_lo, exec_lo, s0
	s_mov_b32 s0, exec_lo
	v_cmpx_ne_u32_e64 v164, v158
	s_xor_b32 s0, exec_lo, s0
	s_cbranch_execz .LBB72_163
; %bb.158:
	s_mov_b32 s3, exec_lo
	v_cmpx_eq_u32_e32 7, v164
	s_cbranch_execz .LBB72_162
; %bb.159:
	v_cmp_ne_u32_e32 vcc_lo, 7, v158
	s_xor_b32 s8, s16, -1
	s_and_b32 s9, s8, vcc_lo
	s_and_saveexec_b32 s8, s9
	s_cbranch_execz .LBB72_161
; %bb.160:
	v_ashrrev_i32_e32 v159, 31, v158
	v_lshlrev_b64 v[164:165], 2, v[158:159]
	v_add_co_u32 v164, vcc_lo, v156, v164
	v_add_co_ci_u32_e64 v165, null, v157, v165, vcc_lo
	s_clause 0x1
	global_load_dword v0, v[164:165], off
	global_load_dword v159, v[156:157], off offset:28
	s_waitcnt vmcnt(1)
	global_store_dword v[156:157], v0, off offset:28
	s_waitcnt vmcnt(0)
	global_store_dword v[164:165], v159, off
.LBB72_161:
	s_or_b32 exec_lo, exec_lo, s8
	v_mov_b32_e32 v164, v158
	v_mov_b32_e32 v0, v158
.LBB72_162:
	s_or_b32 exec_lo, exec_lo, s3
.LBB72_163:
	s_andn2_saveexec_b32 s0, s0
	s_cbranch_execz .LBB72_165
; %bb.164:
	v_mov_b32_e32 v164, 7
	ds_write2_b64 v1, v[118:119], v[120:121] offset0:16 offset1:17
	ds_write2_b64 v1, v[114:115], v[116:117] offset0:18 offset1:19
	;; [unrolled: 1-line block ×29, first 2 shown]
.LBB72_165:
	s_or_b32 exec_lo, exec_lo, s0
	s_mov_b32 s0, exec_lo
	s_waitcnt lgkmcnt(0)
	s_waitcnt_vscnt null, 0x0
	s_barrier
	buffer_gl0_inv
	v_cmpx_lt_i32_e32 7, v164
	s_cbranch_execz .LBB72_167
; %bb.166:
	v_mul_f64 v[158:159], v[152:153], v[112:113]
	v_mul_f64 v[112:113], v[150:151], v[112:113]
	v_fma_f64 v[158:159], v[150:151], v[110:111], -v[158:159]
	v_fma_f64 v[112:113], v[152:153], v[110:111], v[112:113]
	ds_read2_b64 v[150:153], v1 offset0:16 offset1:17
	s_waitcnt lgkmcnt(0)
	v_mul_f64 v[110:111], v[152:153], v[112:113]
	v_fma_f64 v[110:111], v[150:151], v[158:159], -v[110:111]
	v_mul_f64 v[150:151], v[150:151], v[112:113]
	v_add_f64 v[118:119], v[118:119], -v[110:111]
	v_fma_f64 v[150:151], v[152:153], v[158:159], v[150:151]
	v_add_f64 v[120:121], v[120:121], -v[150:151]
	ds_read2_b64 v[150:153], v1 offset0:18 offset1:19
	s_waitcnt lgkmcnt(0)
	v_mul_f64 v[110:111], v[152:153], v[112:113]
	v_fma_f64 v[110:111], v[150:151], v[158:159], -v[110:111]
	v_mul_f64 v[150:151], v[150:151], v[112:113]
	v_add_f64 v[114:115], v[114:115], -v[110:111]
	v_fma_f64 v[150:151], v[152:153], v[158:159], v[150:151]
	v_add_f64 v[116:117], v[116:117], -v[150:151]
	;; [unrolled: 8-line block ×28, first 2 shown]
	ds_read2_b64 v[150:153], v1 offset0:72 offset1:73
	s_waitcnt lgkmcnt(0)
	v_mul_f64 v[110:111], v[152:153], v[112:113]
	v_fma_f64 v[110:111], v[150:151], v[158:159], -v[110:111]
	v_mul_f64 v[150:151], v[150:151], v[112:113]
	v_add_f64 v[2:3], v[2:3], -v[110:111]
	v_fma_f64 v[150:151], v[152:153], v[158:159], v[150:151]
	v_mov_b32_e32 v110, v158
	v_mov_b32_e32 v111, v159
	v_add_f64 v[4:5], v[4:5], -v[150:151]
.LBB72_167:
	s_or_b32 exec_lo, exec_lo, s0
	v_lshl_add_u32 v150, v164, 4, v1
	s_barrier
	buffer_gl0_inv
	v_mov_b32_e32 v158, 8
	ds_write2_b64 v150, v[118:119], v[120:121] offset1:1
	s_waitcnt lgkmcnt(0)
	s_barrier
	buffer_gl0_inv
	ds_read2_b64 v[150:153], v1 offset0:16 offset1:17
	s_cmp_lt_i32 s1, 10
	s_cbranch_scc1 .LBB72_170
; %bb.168:
	v_add3_u32 v159, v160, 0, 0x90
	v_mov_b32_e32 v158, 8
	s_mov_b32 s3, 9
	s_inst_prefetch 0x1
	.p2align	6
.LBB72_169:                             ; =>This Inner Loop Header: Depth=1
	s_waitcnt lgkmcnt(0)
	v_cmp_gt_f64_e32 vcc_lo, 0, v[152:153]
	v_cmp_gt_f64_e64 s0, 0, v[150:151]
	ds_read2_b64 v[165:168], v159 offset1:1
	v_xor_b32_e32 v170, 0x80000000, v151
	v_xor_b32_e32 v172, 0x80000000, v153
	v_mov_b32_e32 v169, v150
	v_mov_b32_e32 v171, v152
	v_add_nc_u32_e32 v159, 16, v159
	s_waitcnt lgkmcnt(0)
	v_xor_b32_e32 v174, 0x80000000, v168
	v_cndmask_b32_e64 v170, v151, v170, s0
	v_cndmask_b32_e32 v172, v153, v172, vcc_lo
	v_cmp_gt_f64_e32 vcc_lo, 0, v[167:168]
	v_cmp_gt_f64_e64 s0, 0, v[165:166]
	v_mov_b32_e32 v173, v167
	v_add_f64 v[169:170], v[169:170], v[171:172]
	v_xor_b32_e32 v172, 0x80000000, v166
	v_mov_b32_e32 v171, v165
	v_cndmask_b32_e32 v174, v168, v174, vcc_lo
	v_cndmask_b32_e64 v172, v166, v172, s0
	v_add_f64 v[171:172], v[171:172], v[173:174]
	v_cmp_lt_f64_e32 vcc_lo, v[169:170], v[171:172]
	v_cndmask_b32_e32 v151, v151, v166, vcc_lo
	v_cndmask_b32_e32 v150, v150, v165, vcc_lo
	v_cndmask_b32_e32 v153, v153, v168, vcc_lo
	v_cndmask_b32_e32 v152, v152, v167, vcc_lo
	v_cndmask_b32_e64 v158, v158, s3, vcc_lo
	s_add_i32 s3, s3, 1
	s_cmp_lg_u32 s1, s3
	s_cbranch_scc1 .LBB72_169
.LBB72_170:
	s_inst_prefetch 0x2
	s_waitcnt lgkmcnt(0)
	v_cmp_eq_f64_e32 vcc_lo, 0, v[150:151]
	v_cmp_eq_f64_e64 s0, 0, v[152:153]
	s_and_b32 s0, vcc_lo, s0
	s_and_saveexec_b32 s3, s0
	s_xor_b32 s0, exec_lo, s3
; %bb.171:
	v_cmp_ne_u32_e32 vcc_lo, 0, v163
	v_cndmask_b32_e32 v163, 9, v163, vcc_lo
; %bb.172:
	s_andn2_saveexec_b32 s0, s0
	s_cbranch_execz .LBB72_178
; %bb.173:
	v_cmp_ngt_f64_e64 s3, |v[150:151]|, |v[152:153]|
	s_and_saveexec_b32 s8, s3
	s_xor_b32 s3, exec_lo, s8
	s_cbranch_execz .LBB72_175
; %bb.174:
	v_div_scale_f64 v[165:166], null, v[152:153], v[152:153], v[150:151]
	v_div_scale_f64 v[171:172], vcc_lo, v[150:151], v[152:153], v[150:151]
	v_rcp_f64_e32 v[167:168], v[165:166]
	v_fma_f64 v[169:170], -v[165:166], v[167:168], 1.0
	v_fma_f64 v[167:168], v[167:168], v[169:170], v[167:168]
	v_fma_f64 v[169:170], -v[165:166], v[167:168], 1.0
	v_fma_f64 v[167:168], v[167:168], v[169:170], v[167:168]
	v_mul_f64 v[169:170], v[171:172], v[167:168]
	v_fma_f64 v[165:166], -v[165:166], v[169:170], v[171:172]
	v_div_fmas_f64 v[165:166], v[165:166], v[167:168], v[169:170]
	v_div_fixup_f64 v[165:166], v[165:166], v[152:153], v[150:151]
	v_fma_f64 v[150:151], v[150:151], v[165:166], v[152:153]
	v_div_scale_f64 v[152:153], null, v[150:151], v[150:151], 1.0
	v_rcp_f64_e32 v[167:168], v[152:153]
	v_fma_f64 v[169:170], -v[152:153], v[167:168], 1.0
	v_fma_f64 v[167:168], v[167:168], v[169:170], v[167:168]
	v_fma_f64 v[169:170], -v[152:153], v[167:168], 1.0
	v_fma_f64 v[167:168], v[167:168], v[169:170], v[167:168]
	v_div_scale_f64 v[169:170], vcc_lo, 1.0, v[150:151], 1.0
	v_mul_f64 v[171:172], v[169:170], v[167:168]
	v_fma_f64 v[152:153], -v[152:153], v[171:172], v[169:170]
	v_div_fmas_f64 v[152:153], v[152:153], v[167:168], v[171:172]
	v_div_fixup_f64 v[152:153], v[152:153], v[150:151], 1.0
	v_mul_f64 v[150:151], v[165:166], v[152:153]
	v_xor_b32_e32 v153, 0x80000000, v153
.LBB72_175:
	s_andn2_saveexec_b32 s3, s3
	s_cbranch_execz .LBB72_177
; %bb.176:
	v_div_scale_f64 v[165:166], null, v[150:151], v[150:151], v[152:153]
	v_div_scale_f64 v[171:172], vcc_lo, v[152:153], v[150:151], v[152:153]
	v_rcp_f64_e32 v[167:168], v[165:166]
	v_fma_f64 v[169:170], -v[165:166], v[167:168], 1.0
	v_fma_f64 v[167:168], v[167:168], v[169:170], v[167:168]
	v_fma_f64 v[169:170], -v[165:166], v[167:168], 1.0
	v_fma_f64 v[167:168], v[167:168], v[169:170], v[167:168]
	v_mul_f64 v[169:170], v[171:172], v[167:168]
	v_fma_f64 v[165:166], -v[165:166], v[169:170], v[171:172]
	v_div_fmas_f64 v[165:166], v[165:166], v[167:168], v[169:170]
	v_div_fixup_f64 v[165:166], v[165:166], v[150:151], v[152:153]
	v_fma_f64 v[150:151], v[152:153], v[165:166], v[150:151]
	v_div_scale_f64 v[152:153], null, v[150:151], v[150:151], 1.0
	v_rcp_f64_e32 v[167:168], v[152:153]
	v_fma_f64 v[169:170], -v[152:153], v[167:168], 1.0
	v_fma_f64 v[167:168], v[167:168], v[169:170], v[167:168]
	v_fma_f64 v[169:170], -v[152:153], v[167:168], 1.0
	v_fma_f64 v[167:168], v[167:168], v[169:170], v[167:168]
	v_div_scale_f64 v[169:170], vcc_lo, 1.0, v[150:151], 1.0
	v_mul_f64 v[171:172], v[169:170], v[167:168]
	v_fma_f64 v[152:153], -v[152:153], v[171:172], v[169:170]
	v_div_fmas_f64 v[152:153], v[152:153], v[167:168], v[171:172]
	v_div_fixup_f64 v[150:151], v[152:153], v[150:151], 1.0
	v_mul_f64 v[152:153], v[165:166], -v[150:151]
.LBB72_177:
	s_or_b32 exec_lo, exec_lo, s3
.LBB72_178:
	s_or_b32 exec_lo, exec_lo, s0
	s_mov_b32 s0, exec_lo
	v_cmpx_ne_u32_e64 v164, v158
	s_xor_b32 s0, exec_lo, s0
	s_cbranch_execz .LBB72_184
; %bb.179:
	s_mov_b32 s3, exec_lo
	v_cmpx_eq_u32_e32 8, v164
	s_cbranch_execz .LBB72_183
; %bb.180:
	v_cmp_ne_u32_e32 vcc_lo, 8, v158
	s_xor_b32 s8, s16, -1
	s_and_b32 s9, s8, vcc_lo
	s_and_saveexec_b32 s8, s9
	s_cbranch_execz .LBB72_182
; %bb.181:
	v_ashrrev_i32_e32 v159, 31, v158
	v_lshlrev_b64 v[164:165], 2, v[158:159]
	v_add_co_u32 v164, vcc_lo, v156, v164
	v_add_co_ci_u32_e64 v165, null, v157, v165, vcc_lo
	s_clause 0x1
	global_load_dword v0, v[164:165], off
	global_load_dword v159, v[156:157], off offset:32
	s_waitcnt vmcnt(1)
	global_store_dword v[156:157], v0, off offset:32
	s_waitcnt vmcnt(0)
	global_store_dword v[164:165], v159, off
.LBB72_182:
	s_or_b32 exec_lo, exec_lo, s8
	v_mov_b32_e32 v164, v158
	v_mov_b32_e32 v0, v158
.LBB72_183:
	s_or_b32 exec_lo, exec_lo, s3
.LBB72_184:
	s_andn2_saveexec_b32 s0, s0
	s_cbranch_execz .LBB72_186
; %bb.185:
	v_mov_b32_e32 v164, 8
	ds_write2_b64 v1, v[114:115], v[116:117] offset0:18 offset1:19
	ds_write2_b64 v1, v[106:107], v[108:109] offset0:20 offset1:21
	;; [unrolled: 1-line block ×28, first 2 shown]
.LBB72_186:
	s_or_b32 exec_lo, exec_lo, s0
	s_mov_b32 s0, exec_lo
	s_waitcnt lgkmcnt(0)
	s_waitcnt_vscnt null, 0x0
	s_barrier
	buffer_gl0_inv
	v_cmpx_lt_i32_e32 8, v164
	s_cbranch_execz .LBB72_188
; %bb.187:
	v_mul_f64 v[158:159], v[152:153], v[120:121]
	v_mul_f64 v[120:121], v[150:151], v[120:121]
	v_fma_f64 v[158:159], v[150:151], v[118:119], -v[158:159]
	v_fma_f64 v[120:121], v[152:153], v[118:119], v[120:121]
	ds_read2_b64 v[150:153], v1 offset0:18 offset1:19
	s_waitcnt lgkmcnt(0)
	v_mul_f64 v[118:119], v[152:153], v[120:121]
	v_fma_f64 v[118:119], v[150:151], v[158:159], -v[118:119]
	v_mul_f64 v[150:151], v[150:151], v[120:121]
	v_add_f64 v[114:115], v[114:115], -v[118:119]
	v_fma_f64 v[150:151], v[152:153], v[158:159], v[150:151]
	v_add_f64 v[116:117], v[116:117], -v[150:151]
	ds_read2_b64 v[150:153], v1 offset0:20 offset1:21
	s_waitcnt lgkmcnt(0)
	v_mul_f64 v[118:119], v[152:153], v[120:121]
	v_fma_f64 v[118:119], v[150:151], v[158:159], -v[118:119]
	v_mul_f64 v[150:151], v[150:151], v[120:121]
	v_add_f64 v[106:107], v[106:107], -v[118:119]
	v_fma_f64 v[150:151], v[152:153], v[158:159], v[150:151]
	v_add_f64 v[108:109], v[108:109], -v[150:151]
	;; [unrolled: 8-line block ×27, first 2 shown]
	ds_read2_b64 v[150:153], v1 offset0:72 offset1:73
	s_waitcnt lgkmcnt(0)
	v_mul_f64 v[118:119], v[152:153], v[120:121]
	v_fma_f64 v[118:119], v[150:151], v[158:159], -v[118:119]
	v_mul_f64 v[150:151], v[150:151], v[120:121]
	v_add_f64 v[2:3], v[2:3], -v[118:119]
	v_fma_f64 v[150:151], v[152:153], v[158:159], v[150:151]
	v_mov_b32_e32 v118, v158
	v_mov_b32_e32 v119, v159
	v_add_f64 v[4:5], v[4:5], -v[150:151]
.LBB72_188:
	s_or_b32 exec_lo, exec_lo, s0
	v_lshl_add_u32 v150, v164, 4, v1
	s_barrier
	buffer_gl0_inv
	v_mov_b32_e32 v158, 9
	ds_write2_b64 v150, v[114:115], v[116:117] offset1:1
	s_waitcnt lgkmcnt(0)
	s_barrier
	buffer_gl0_inv
	ds_read2_b64 v[150:153], v1 offset0:18 offset1:19
	s_cmp_lt_i32 s1, 11
	s_cbranch_scc1 .LBB72_191
; %bb.189:
	v_add3_u32 v159, v160, 0, 0xa0
	v_mov_b32_e32 v158, 9
	s_mov_b32 s3, 10
	s_inst_prefetch 0x1
	.p2align	6
.LBB72_190:                             ; =>This Inner Loop Header: Depth=1
	s_waitcnt lgkmcnt(0)
	v_cmp_gt_f64_e32 vcc_lo, 0, v[152:153]
	v_cmp_gt_f64_e64 s0, 0, v[150:151]
	ds_read2_b64 v[165:168], v159 offset1:1
	v_xor_b32_e32 v170, 0x80000000, v151
	v_xor_b32_e32 v172, 0x80000000, v153
	v_mov_b32_e32 v169, v150
	v_mov_b32_e32 v171, v152
	v_add_nc_u32_e32 v159, 16, v159
	s_waitcnt lgkmcnt(0)
	v_xor_b32_e32 v174, 0x80000000, v168
	v_cndmask_b32_e64 v170, v151, v170, s0
	v_cndmask_b32_e32 v172, v153, v172, vcc_lo
	v_cmp_gt_f64_e32 vcc_lo, 0, v[167:168]
	v_cmp_gt_f64_e64 s0, 0, v[165:166]
	v_mov_b32_e32 v173, v167
	v_add_f64 v[169:170], v[169:170], v[171:172]
	v_xor_b32_e32 v172, 0x80000000, v166
	v_mov_b32_e32 v171, v165
	v_cndmask_b32_e32 v174, v168, v174, vcc_lo
	v_cndmask_b32_e64 v172, v166, v172, s0
	v_add_f64 v[171:172], v[171:172], v[173:174]
	v_cmp_lt_f64_e32 vcc_lo, v[169:170], v[171:172]
	v_cndmask_b32_e32 v151, v151, v166, vcc_lo
	v_cndmask_b32_e32 v150, v150, v165, vcc_lo
	;; [unrolled: 1-line block ×4, first 2 shown]
	v_cndmask_b32_e64 v158, v158, s3, vcc_lo
	s_add_i32 s3, s3, 1
	s_cmp_lg_u32 s1, s3
	s_cbranch_scc1 .LBB72_190
.LBB72_191:
	s_inst_prefetch 0x2
	s_waitcnt lgkmcnt(0)
	v_cmp_eq_f64_e32 vcc_lo, 0, v[150:151]
	v_cmp_eq_f64_e64 s0, 0, v[152:153]
	s_and_b32 s0, vcc_lo, s0
	s_and_saveexec_b32 s3, s0
	s_xor_b32 s0, exec_lo, s3
; %bb.192:
	v_cmp_ne_u32_e32 vcc_lo, 0, v163
	v_cndmask_b32_e32 v163, 10, v163, vcc_lo
; %bb.193:
	s_andn2_saveexec_b32 s0, s0
	s_cbranch_execz .LBB72_199
; %bb.194:
	v_cmp_ngt_f64_e64 s3, |v[150:151]|, |v[152:153]|
	s_and_saveexec_b32 s8, s3
	s_xor_b32 s3, exec_lo, s8
	s_cbranch_execz .LBB72_196
; %bb.195:
	v_div_scale_f64 v[165:166], null, v[152:153], v[152:153], v[150:151]
	v_div_scale_f64 v[171:172], vcc_lo, v[150:151], v[152:153], v[150:151]
	v_rcp_f64_e32 v[167:168], v[165:166]
	v_fma_f64 v[169:170], -v[165:166], v[167:168], 1.0
	v_fma_f64 v[167:168], v[167:168], v[169:170], v[167:168]
	v_fma_f64 v[169:170], -v[165:166], v[167:168], 1.0
	v_fma_f64 v[167:168], v[167:168], v[169:170], v[167:168]
	v_mul_f64 v[169:170], v[171:172], v[167:168]
	v_fma_f64 v[165:166], -v[165:166], v[169:170], v[171:172]
	v_div_fmas_f64 v[165:166], v[165:166], v[167:168], v[169:170]
	v_div_fixup_f64 v[165:166], v[165:166], v[152:153], v[150:151]
	v_fma_f64 v[150:151], v[150:151], v[165:166], v[152:153]
	v_div_scale_f64 v[152:153], null, v[150:151], v[150:151], 1.0
	v_rcp_f64_e32 v[167:168], v[152:153]
	v_fma_f64 v[169:170], -v[152:153], v[167:168], 1.0
	v_fma_f64 v[167:168], v[167:168], v[169:170], v[167:168]
	v_fma_f64 v[169:170], -v[152:153], v[167:168], 1.0
	v_fma_f64 v[167:168], v[167:168], v[169:170], v[167:168]
	v_div_scale_f64 v[169:170], vcc_lo, 1.0, v[150:151], 1.0
	v_mul_f64 v[171:172], v[169:170], v[167:168]
	v_fma_f64 v[152:153], -v[152:153], v[171:172], v[169:170]
	v_div_fmas_f64 v[152:153], v[152:153], v[167:168], v[171:172]
	v_div_fixup_f64 v[152:153], v[152:153], v[150:151], 1.0
	v_mul_f64 v[150:151], v[165:166], v[152:153]
	v_xor_b32_e32 v153, 0x80000000, v153
.LBB72_196:
	s_andn2_saveexec_b32 s3, s3
	s_cbranch_execz .LBB72_198
; %bb.197:
	v_div_scale_f64 v[165:166], null, v[150:151], v[150:151], v[152:153]
	v_div_scale_f64 v[171:172], vcc_lo, v[152:153], v[150:151], v[152:153]
	v_rcp_f64_e32 v[167:168], v[165:166]
	v_fma_f64 v[169:170], -v[165:166], v[167:168], 1.0
	v_fma_f64 v[167:168], v[167:168], v[169:170], v[167:168]
	v_fma_f64 v[169:170], -v[165:166], v[167:168], 1.0
	v_fma_f64 v[167:168], v[167:168], v[169:170], v[167:168]
	v_mul_f64 v[169:170], v[171:172], v[167:168]
	v_fma_f64 v[165:166], -v[165:166], v[169:170], v[171:172]
	v_div_fmas_f64 v[165:166], v[165:166], v[167:168], v[169:170]
	v_div_fixup_f64 v[165:166], v[165:166], v[150:151], v[152:153]
	v_fma_f64 v[150:151], v[152:153], v[165:166], v[150:151]
	v_div_scale_f64 v[152:153], null, v[150:151], v[150:151], 1.0
	v_rcp_f64_e32 v[167:168], v[152:153]
	v_fma_f64 v[169:170], -v[152:153], v[167:168], 1.0
	v_fma_f64 v[167:168], v[167:168], v[169:170], v[167:168]
	v_fma_f64 v[169:170], -v[152:153], v[167:168], 1.0
	v_fma_f64 v[167:168], v[167:168], v[169:170], v[167:168]
	v_div_scale_f64 v[169:170], vcc_lo, 1.0, v[150:151], 1.0
	v_mul_f64 v[171:172], v[169:170], v[167:168]
	v_fma_f64 v[152:153], -v[152:153], v[171:172], v[169:170]
	v_div_fmas_f64 v[152:153], v[152:153], v[167:168], v[171:172]
	v_div_fixup_f64 v[150:151], v[152:153], v[150:151], 1.0
	v_mul_f64 v[152:153], v[165:166], -v[150:151]
.LBB72_198:
	s_or_b32 exec_lo, exec_lo, s3
.LBB72_199:
	s_or_b32 exec_lo, exec_lo, s0
	s_mov_b32 s0, exec_lo
	v_cmpx_ne_u32_e64 v164, v158
	s_xor_b32 s0, exec_lo, s0
	s_cbranch_execz .LBB72_205
; %bb.200:
	s_mov_b32 s3, exec_lo
	v_cmpx_eq_u32_e32 9, v164
	s_cbranch_execz .LBB72_204
; %bb.201:
	v_cmp_ne_u32_e32 vcc_lo, 9, v158
	s_xor_b32 s8, s16, -1
	s_and_b32 s9, s8, vcc_lo
	s_and_saveexec_b32 s8, s9
	s_cbranch_execz .LBB72_203
; %bb.202:
	v_ashrrev_i32_e32 v159, 31, v158
	v_lshlrev_b64 v[164:165], 2, v[158:159]
	v_add_co_u32 v164, vcc_lo, v156, v164
	v_add_co_ci_u32_e64 v165, null, v157, v165, vcc_lo
	s_clause 0x1
	global_load_dword v0, v[164:165], off
	global_load_dword v159, v[156:157], off offset:36
	s_waitcnt vmcnt(1)
	global_store_dword v[156:157], v0, off offset:36
	s_waitcnt vmcnt(0)
	global_store_dword v[164:165], v159, off
.LBB72_203:
	s_or_b32 exec_lo, exec_lo, s8
	v_mov_b32_e32 v164, v158
	v_mov_b32_e32 v0, v158
.LBB72_204:
	s_or_b32 exec_lo, exec_lo, s3
.LBB72_205:
	s_andn2_saveexec_b32 s0, s0
	s_cbranch_execz .LBB72_207
; %bb.206:
	v_mov_b32_e32 v164, 9
	ds_write2_b64 v1, v[106:107], v[108:109] offset0:20 offset1:21
	ds_write2_b64 v1, v[102:103], v[104:105] offset0:22 offset1:23
	;; [unrolled: 1-line block ×27, first 2 shown]
.LBB72_207:
	s_or_b32 exec_lo, exec_lo, s0
	s_mov_b32 s0, exec_lo
	s_waitcnt lgkmcnt(0)
	s_waitcnt_vscnt null, 0x0
	s_barrier
	buffer_gl0_inv
	v_cmpx_lt_i32_e32 9, v164
	s_cbranch_execz .LBB72_209
; %bb.208:
	v_mul_f64 v[158:159], v[152:153], v[116:117]
	v_mul_f64 v[116:117], v[150:151], v[116:117]
	v_fma_f64 v[158:159], v[150:151], v[114:115], -v[158:159]
	v_fma_f64 v[116:117], v[152:153], v[114:115], v[116:117]
	ds_read2_b64 v[150:153], v1 offset0:20 offset1:21
	s_waitcnt lgkmcnt(0)
	v_mul_f64 v[114:115], v[152:153], v[116:117]
	v_fma_f64 v[114:115], v[150:151], v[158:159], -v[114:115]
	v_mul_f64 v[150:151], v[150:151], v[116:117]
	v_add_f64 v[106:107], v[106:107], -v[114:115]
	v_fma_f64 v[150:151], v[152:153], v[158:159], v[150:151]
	v_add_f64 v[108:109], v[108:109], -v[150:151]
	ds_read2_b64 v[150:153], v1 offset0:22 offset1:23
	s_waitcnt lgkmcnt(0)
	v_mul_f64 v[114:115], v[152:153], v[116:117]
	v_fma_f64 v[114:115], v[150:151], v[158:159], -v[114:115]
	v_mul_f64 v[150:151], v[150:151], v[116:117]
	v_add_f64 v[102:103], v[102:103], -v[114:115]
	v_fma_f64 v[150:151], v[152:153], v[158:159], v[150:151]
	v_add_f64 v[104:105], v[104:105], -v[150:151]
	;; [unrolled: 8-line block ×26, first 2 shown]
	ds_read2_b64 v[150:153], v1 offset0:72 offset1:73
	s_waitcnt lgkmcnt(0)
	v_mul_f64 v[114:115], v[152:153], v[116:117]
	v_fma_f64 v[114:115], v[150:151], v[158:159], -v[114:115]
	v_mul_f64 v[150:151], v[150:151], v[116:117]
	v_add_f64 v[2:3], v[2:3], -v[114:115]
	v_fma_f64 v[150:151], v[152:153], v[158:159], v[150:151]
	v_mov_b32_e32 v114, v158
	v_mov_b32_e32 v115, v159
	v_add_f64 v[4:5], v[4:5], -v[150:151]
.LBB72_209:
	s_or_b32 exec_lo, exec_lo, s0
	v_lshl_add_u32 v150, v164, 4, v1
	s_barrier
	buffer_gl0_inv
	v_mov_b32_e32 v158, 10
	ds_write2_b64 v150, v[106:107], v[108:109] offset1:1
	s_waitcnt lgkmcnt(0)
	s_barrier
	buffer_gl0_inv
	ds_read2_b64 v[150:153], v1 offset0:20 offset1:21
	s_cmp_lt_i32 s1, 12
	s_cbranch_scc1 .LBB72_212
; %bb.210:
	v_add3_u32 v159, v160, 0, 0xb0
	v_mov_b32_e32 v158, 10
	s_mov_b32 s3, 11
	s_inst_prefetch 0x1
	.p2align	6
.LBB72_211:                             ; =>This Inner Loop Header: Depth=1
	s_waitcnt lgkmcnt(0)
	v_cmp_gt_f64_e32 vcc_lo, 0, v[152:153]
	v_cmp_gt_f64_e64 s0, 0, v[150:151]
	ds_read2_b64 v[165:168], v159 offset1:1
	v_xor_b32_e32 v170, 0x80000000, v151
	v_xor_b32_e32 v172, 0x80000000, v153
	v_mov_b32_e32 v169, v150
	v_mov_b32_e32 v171, v152
	v_add_nc_u32_e32 v159, 16, v159
	s_waitcnt lgkmcnt(0)
	v_xor_b32_e32 v174, 0x80000000, v168
	v_cndmask_b32_e64 v170, v151, v170, s0
	v_cndmask_b32_e32 v172, v153, v172, vcc_lo
	v_cmp_gt_f64_e32 vcc_lo, 0, v[167:168]
	v_cmp_gt_f64_e64 s0, 0, v[165:166]
	v_mov_b32_e32 v173, v167
	v_add_f64 v[169:170], v[169:170], v[171:172]
	v_xor_b32_e32 v172, 0x80000000, v166
	v_mov_b32_e32 v171, v165
	v_cndmask_b32_e32 v174, v168, v174, vcc_lo
	v_cndmask_b32_e64 v172, v166, v172, s0
	v_add_f64 v[171:172], v[171:172], v[173:174]
	v_cmp_lt_f64_e32 vcc_lo, v[169:170], v[171:172]
	v_cndmask_b32_e32 v151, v151, v166, vcc_lo
	v_cndmask_b32_e32 v150, v150, v165, vcc_lo
	;; [unrolled: 1-line block ×4, first 2 shown]
	v_cndmask_b32_e64 v158, v158, s3, vcc_lo
	s_add_i32 s3, s3, 1
	s_cmp_lg_u32 s1, s3
	s_cbranch_scc1 .LBB72_211
.LBB72_212:
	s_inst_prefetch 0x2
	s_waitcnt lgkmcnt(0)
	v_cmp_eq_f64_e32 vcc_lo, 0, v[150:151]
	v_cmp_eq_f64_e64 s0, 0, v[152:153]
	s_and_b32 s0, vcc_lo, s0
	s_and_saveexec_b32 s3, s0
	s_xor_b32 s0, exec_lo, s3
; %bb.213:
	v_cmp_ne_u32_e32 vcc_lo, 0, v163
	v_cndmask_b32_e32 v163, 11, v163, vcc_lo
; %bb.214:
	s_andn2_saveexec_b32 s0, s0
	s_cbranch_execz .LBB72_220
; %bb.215:
	v_cmp_ngt_f64_e64 s3, |v[150:151]|, |v[152:153]|
	s_and_saveexec_b32 s8, s3
	s_xor_b32 s3, exec_lo, s8
	s_cbranch_execz .LBB72_217
; %bb.216:
	v_div_scale_f64 v[165:166], null, v[152:153], v[152:153], v[150:151]
	v_div_scale_f64 v[171:172], vcc_lo, v[150:151], v[152:153], v[150:151]
	v_rcp_f64_e32 v[167:168], v[165:166]
	v_fma_f64 v[169:170], -v[165:166], v[167:168], 1.0
	v_fma_f64 v[167:168], v[167:168], v[169:170], v[167:168]
	v_fma_f64 v[169:170], -v[165:166], v[167:168], 1.0
	v_fma_f64 v[167:168], v[167:168], v[169:170], v[167:168]
	v_mul_f64 v[169:170], v[171:172], v[167:168]
	v_fma_f64 v[165:166], -v[165:166], v[169:170], v[171:172]
	v_div_fmas_f64 v[165:166], v[165:166], v[167:168], v[169:170]
	v_div_fixup_f64 v[165:166], v[165:166], v[152:153], v[150:151]
	v_fma_f64 v[150:151], v[150:151], v[165:166], v[152:153]
	v_div_scale_f64 v[152:153], null, v[150:151], v[150:151], 1.0
	v_rcp_f64_e32 v[167:168], v[152:153]
	v_fma_f64 v[169:170], -v[152:153], v[167:168], 1.0
	v_fma_f64 v[167:168], v[167:168], v[169:170], v[167:168]
	v_fma_f64 v[169:170], -v[152:153], v[167:168], 1.0
	v_fma_f64 v[167:168], v[167:168], v[169:170], v[167:168]
	v_div_scale_f64 v[169:170], vcc_lo, 1.0, v[150:151], 1.0
	v_mul_f64 v[171:172], v[169:170], v[167:168]
	v_fma_f64 v[152:153], -v[152:153], v[171:172], v[169:170]
	v_div_fmas_f64 v[152:153], v[152:153], v[167:168], v[171:172]
	v_div_fixup_f64 v[152:153], v[152:153], v[150:151], 1.0
	v_mul_f64 v[150:151], v[165:166], v[152:153]
	v_xor_b32_e32 v153, 0x80000000, v153
.LBB72_217:
	s_andn2_saveexec_b32 s3, s3
	s_cbranch_execz .LBB72_219
; %bb.218:
	v_div_scale_f64 v[165:166], null, v[150:151], v[150:151], v[152:153]
	v_div_scale_f64 v[171:172], vcc_lo, v[152:153], v[150:151], v[152:153]
	v_rcp_f64_e32 v[167:168], v[165:166]
	v_fma_f64 v[169:170], -v[165:166], v[167:168], 1.0
	v_fma_f64 v[167:168], v[167:168], v[169:170], v[167:168]
	v_fma_f64 v[169:170], -v[165:166], v[167:168], 1.0
	v_fma_f64 v[167:168], v[167:168], v[169:170], v[167:168]
	v_mul_f64 v[169:170], v[171:172], v[167:168]
	v_fma_f64 v[165:166], -v[165:166], v[169:170], v[171:172]
	v_div_fmas_f64 v[165:166], v[165:166], v[167:168], v[169:170]
	v_div_fixup_f64 v[165:166], v[165:166], v[150:151], v[152:153]
	v_fma_f64 v[150:151], v[152:153], v[165:166], v[150:151]
	v_div_scale_f64 v[152:153], null, v[150:151], v[150:151], 1.0
	v_rcp_f64_e32 v[167:168], v[152:153]
	v_fma_f64 v[169:170], -v[152:153], v[167:168], 1.0
	v_fma_f64 v[167:168], v[167:168], v[169:170], v[167:168]
	v_fma_f64 v[169:170], -v[152:153], v[167:168], 1.0
	v_fma_f64 v[167:168], v[167:168], v[169:170], v[167:168]
	v_div_scale_f64 v[169:170], vcc_lo, 1.0, v[150:151], 1.0
	v_mul_f64 v[171:172], v[169:170], v[167:168]
	v_fma_f64 v[152:153], -v[152:153], v[171:172], v[169:170]
	v_div_fmas_f64 v[152:153], v[152:153], v[167:168], v[171:172]
	v_div_fixup_f64 v[150:151], v[152:153], v[150:151], 1.0
	v_mul_f64 v[152:153], v[165:166], -v[150:151]
.LBB72_219:
	s_or_b32 exec_lo, exec_lo, s3
.LBB72_220:
	s_or_b32 exec_lo, exec_lo, s0
	s_mov_b32 s0, exec_lo
	v_cmpx_ne_u32_e64 v164, v158
	s_xor_b32 s0, exec_lo, s0
	s_cbranch_execz .LBB72_226
; %bb.221:
	s_mov_b32 s3, exec_lo
	v_cmpx_eq_u32_e32 10, v164
	s_cbranch_execz .LBB72_225
; %bb.222:
	v_cmp_ne_u32_e32 vcc_lo, 10, v158
	s_xor_b32 s8, s16, -1
	s_and_b32 s9, s8, vcc_lo
	s_and_saveexec_b32 s8, s9
	s_cbranch_execz .LBB72_224
; %bb.223:
	v_ashrrev_i32_e32 v159, 31, v158
	v_lshlrev_b64 v[164:165], 2, v[158:159]
	v_add_co_u32 v164, vcc_lo, v156, v164
	v_add_co_ci_u32_e64 v165, null, v157, v165, vcc_lo
	s_clause 0x1
	global_load_dword v0, v[164:165], off
	global_load_dword v159, v[156:157], off offset:40
	s_waitcnt vmcnt(1)
	global_store_dword v[156:157], v0, off offset:40
	s_waitcnt vmcnt(0)
	global_store_dword v[164:165], v159, off
.LBB72_224:
	s_or_b32 exec_lo, exec_lo, s8
	v_mov_b32_e32 v164, v158
	v_mov_b32_e32 v0, v158
.LBB72_225:
	s_or_b32 exec_lo, exec_lo, s3
.LBB72_226:
	s_andn2_saveexec_b32 s0, s0
	s_cbranch_execz .LBB72_228
; %bb.227:
	v_mov_b32_e32 v164, 10
	ds_write2_b64 v1, v[102:103], v[104:105] offset0:22 offset1:23
	ds_write2_b64 v1, v[94:95], v[96:97] offset0:24 offset1:25
	ds_write2_b64 v1, v[90:91], v[92:93] offset0:26 offset1:27
	ds_write2_b64 v1, v[98:99], v[100:101] offset0:28 offset1:29
	ds_write2_b64 v1, v[82:83], v[84:85] offset0:30 offset1:31
	ds_write2_b64 v1, v[86:87], v[88:89] offset0:32 offset1:33
	ds_write2_b64 v1, v[70:71], v[72:73] offset0:34 offset1:35
	ds_write2_b64 v1, v[78:79], v[80:81] offset0:36 offset1:37
	ds_write2_b64 v1, v[74:75], v[76:77] offset0:38 offset1:39
	ds_write2_b64 v1, v[66:67], v[68:69] offset0:40 offset1:41
	ds_write2_b64 v1, v[62:63], v[64:65] offset0:42 offset1:43
	ds_write2_b64 v1, v[54:55], v[56:57] offset0:44 offset1:45
	ds_write2_b64 v1, v[50:51], v[52:53] offset0:46 offset1:47
	ds_write2_b64 v1, v[58:59], v[60:61] offset0:48 offset1:49
	ds_write2_b64 v1, v[42:43], v[44:45] offset0:50 offset1:51
	ds_write2_b64 v1, v[46:47], v[48:49] offset0:52 offset1:53
	ds_write2_b64 v1, v[30:31], v[32:33] offset0:54 offset1:55
	ds_write2_b64 v1, v[38:39], v[40:41] offset0:56 offset1:57
	ds_write2_b64 v1, v[34:35], v[36:37] offset0:58 offset1:59
	ds_write2_b64 v1, v[26:27], v[28:29] offset0:60 offset1:61
	ds_write2_b64 v1, v[22:23], v[24:25] offset0:62 offset1:63
	ds_write2_b64 v1, v[6:7], v[8:9] offset0:64 offset1:65
	ds_write2_b64 v1, v[18:19], v[20:21] offset0:66 offset1:67
	ds_write2_b64 v1, v[14:15], v[16:17] offset0:68 offset1:69
	ds_write2_b64 v1, v[10:11], v[12:13] offset0:70 offset1:71
	ds_write2_b64 v1, v[2:3], v[4:5] offset0:72 offset1:73
.LBB72_228:
	s_or_b32 exec_lo, exec_lo, s0
	s_mov_b32 s0, exec_lo
	s_waitcnt lgkmcnt(0)
	s_waitcnt_vscnt null, 0x0
	s_barrier
	buffer_gl0_inv
	v_cmpx_lt_i32_e32 10, v164
	s_cbranch_execz .LBB72_230
; %bb.229:
	v_mul_f64 v[158:159], v[152:153], v[108:109]
	v_mul_f64 v[108:109], v[150:151], v[108:109]
	v_fma_f64 v[158:159], v[150:151], v[106:107], -v[158:159]
	v_fma_f64 v[108:109], v[152:153], v[106:107], v[108:109]
	ds_read2_b64 v[150:153], v1 offset0:22 offset1:23
	s_waitcnt lgkmcnt(0)
	v_mul_f64 v[106:107], v[152:153], v[108:109]
	v_fma_f64 v[106:107], v[150:151], v[158:159], -v[106:107]
	v_mul_f64 v[150:151], v[150:151], v[108:109]
	v_add_f64 v[102:103], v[102:103], -v[106:107]
	v_fma_f64 v[150:151], v[152:153], v[158:159], v[150:151]
	v_add_f64 v[104:105], v[104:105], -v[150:151]
	ds_read2_b64 v[150:153], v1 offset0:24 offset1:25
	s_waitcnt lgkmcnt(0)
	v_mul_f64 v[106:107], v[152:153], v[108:109]
	v_fma_f64 v[106:107], v[150:151], v[158:159], -v[106:107]
	v_mul_f64 v[150:151], v[150:151], v[108:109]
	v_add_f64 v[94:95], v[94:95], -v[106:107]
	v_fma_f64 v[150:151], v[152:153], v[158:159], v[150:151]
	v_add_f64 v[96:97], v[96:97], -v[150:151]
	;; [unrolled: 8-line block ×25, first 2 shown]
	ds_read2_b64 v[150:153], v1 offset0:72 offset1:73
	s_waitcnt lgkmcnt(0)
	v_mul_f64 v[106:107], v[152:153], v[108:109]
	v_fma_f64 v[106:107], v[150:151], v[158:159], -v[106:107]
	v_mul_f64 v[150:151], v[150:151], v[108:109]
	v_add_f64 v[2:3], v[2:3], -v[106:107]
	v_fma_f64 v[150:151], v[152:153], v[158:159], v[150:151]
	v_mov_b32_e32 v106, v158
	v_mov_b32_e32 v107, v159
	v_add_f64 v[4:5], v[4:5], -v[150:151]
.LBB72_230:
	s_or_b32 exec_lo, exec_lo, s0
	v_lshl_add_u32 v150, v164, 4, v1
	s_barrier
	buffer_gl0_inv
	v_mov_b32_e32 v158, 11
	ds_write2_b64 v150, v[102:103], v[104:105] offset1:1
	s_waitcnt lgkmcnt(0)
	s_barrier
	buffer_gl0_inv
	ds_read2_b64 v[150:153], v1 offset0:22 offset1:23
	s_cmp_lt_i32 s1, 13
	s_cbranch_scc1 .LBB72_233
; %bb.231:
	v_add3_u32 v159, v160, 0, 0xc0
	v_mov_b32_e32 v158, 11
	s_mov_b32 s3, 12
	s_inst_prefetch 0x1
	.p2align	6
.LBB72_232:                             ; =>This Inner Loop Header: Depth=1
	s_waitcnt lgkmcnt(0)
	v_cmp_gt_f64_e32 vcc_lo, 0, v[152:153]
	v_cmp_gt_f64_e64 s0, 0, v[150:151]
	ds_read2_b64 v[165:168], v159 offset1:1
	v_xor_b32_e32 v170, 0x80000000, v151
	v_xor_b32_e32 v172, 0x80000000, v153
	v_mov_b32_e32 v169, v150
	v_mov_b32_e32 v171, v152
	v_add_nc_u32_e32 v159, 16, v159
	s_waitcnt lgkmcnt(0)
	v_xor_b32_e32 v174, 0x80000000, v168
	v_cndmask_b32_e64 v170, v151, v170, s0
	v_cndmask_b32_e32 v172, v153, v172, vcc_lo
	v_cmp_gt_f64_e32 vcc_lo, 0, v[167:168]
	v_cmp_gt_f64_e64 s0, 0, v[165:166]
	v_mov_b32_e32 v173, v167
	v_add_f64 v[169:170], v[169:170], v[171:172]
	v_xor_b32_e32 v172, 0x80000000, v166
	v_mov_b32_e32 v171, v165
	v_cndmask_b32_e32 v174, v168, v174, vcc_lo
	v_cndmask_b32_e64 v172, v166, v172, s0
	v_add_f64 v[171:172], v[171:172], v[173:174]
	v_cmp_lt_f64_e32 vcc_lo, v[169:170], v[171:172]
	v_cndmask_b32_e32 v151, v151, v166, vcc_lo
	v_cndmask_b32_e32 v150, v150, v165, vcc_lo
	;; [unrolled: 1-line block ×4, first 2 shown]
	v_cndmask_b32_e64 v158, v158, s3, vcc_lo
	s_add_i32 s3, s3, 1
	s_cmp_lg_u32 s1, s3
	s_cbranch_scc1 .LBB72_232
.LBB72_233:
	s_inst_prefetch 0x2
	s_waitcnt lgkmcnt(0)
	v_cmp_eq_f64_e32 vcc_lo, 0, v[150:151]
	v_cmp_eq_f64_e64 s0, 0, v[152:153]
	s_and_b32 s0, vcc_lo, s0
	s_and_saveexec_b32 s3, s0
	s_xor_b32 s0, exec_lo, s3
; %bb.234:
	v_cmp_ne_u32_e32 vcc_lo, 0, v163
	v_cndmask_b32_e32 v163, 12, v163, vcc_lo
; %bb.235:
	s_andn2_saveexec_b32 s0, s0
	s_cbranch_execz .LBB72_241
; %bb.236:
	v_cmp_ngt_f64_e64 s3, |v[150:151]|, |v[152:153]|
	s_and_saveexec_b32 s8, s3
	s_xor_b32 s3, exec_lo, s8
	s_cbranch_execz .LBB72_238
; %bb.237:
	v_div_scale_f64 v[165:166], null, v[152:153], v[152:153], v[150:151]
	v_div_scale_f64 v[171:172], vcc_lo, v[150:151], v[152:153], v[150:151]
	v_rcp_f64_e32 v[167:168], v[165:166]
	v_fma_f64 v[169:170], -v[165:166], v[167:168], 1.0
	v_fma_f64 v[167:168], v[167:168], v[169:170], v[167:168]
	v_fma_f64 v[169:170], -v[165:166], v[167:168], 1.0
	v_fma_f64 v[167:168], v[167:168], v[169:170], v[167:168]
	v_mul_f64 v[169:170], v[171:172], v[167:168]
	v_fma_f64 v[165:166], -v[165:166], v[169:170], v[171:172]
	v_div_fmas_f64 v[165:166], v[165:166], v[167:168], v[169:170]
	v_div_fixup_f64 v[165:166], v[165:166], v[152:153], v[150:151]
	v_fma_f64 v[150:151], v[150:151], v[165:166], v[152:153]
	v_div_scale_f64 v[152:153], null, v[150:151], v[150:151], 1.0
	v_rcp_f64_e32 v[167:168], v[152:153]
	v_fma_f64 v[169:170], -v[152:153], v[167:168], 1.0
	v_fma_f64 v[167:168], v[167:168], v[169:170], v[167:168]
	v_fma_f64 v[169:170], -v[152:153], v[167:168], 1.0
	v_fma_f64 v[167:168], v[167:168], v[169:170], v[167:168]
	v_div_scale_f64 v[169:170], vcc_lo, 1.0, v[150:151], 1.0
	v_mul_f64 v[171:172], v[169:170], v[167:168]
	v_fma_f64 v[152:153], -v[152:153], v[171:172], v[169:170]
	v_div_fmas_f64 v[152:153], v[152:153], v[167:168], v[171:172]
	v_div_fixup_f64 v[152:153], v[152:153], v[150:151], 1.0
	v_mul_f64 v[150:151], v[165:166], v[152:153]
	v_xor_b32_e32 v153, 0x80000000, v153
.LBB72_238:
	s_andn2_saveexec_b32 s3, s3
	s_cbranch_execz .LBB72_240
; %bb.239:
	v_div_scale_f64 v[165:166], null, v[150:151], v[150:151], v[152:153]
	v_div_scale_f64 v[171:172], vcc_lo, v[152:153], v[150:151], v[152:153]
	v_rcp_f64_e32 v[167:168], v[165:166]
	v_fma_f64 v[169:170], -v[165:166], v[167:168], 1.0
	v_fma_f64 v[167:168], v[167:168], v[169:170], v[167:168]
	v_fma_f64 v[169:170], -v[165:166], v[167:168], 1.0
	v_fma_f64 v[167:168], v[167:168], v[169:170], v[167:168]
	v_mul_f64 v[169:170], v[171:172], v[167:168]
	v_fma_f64 v[165:166], -v[165:166], v[169:170], v[171:172]
	v_div_fmas_f64 v[165:166], v[165:166], v[167:168], v[169:170]
	v_div_fixup_f64 v[165:166], v[165:166], v[150:151], v[152:153]
	v_fma_f64 v[150:151], v[152:153], v[165:166], v[150:151]
	v_div_scale_f64 v[152:153], null, v[150:151], v[150:151], 1.0
	v_rcp_f64_e32 v[167:168], v[152:153]
	v_fma_f64 v[169:170], -v[152:153], v[167:168], 1.0
	v_fma_f64 v[167:168], v[167:168], v[169:170], v[167:168]
	v_fma_f64 v[169:170], -v[152:153], v[167:168], 1.0
	v_fma_f64 v[167:168], v[167:168], v[169:170], v[167:168]
	v_div_scale_f64 v[169:170], vcc_lo, 1.0, v[150:151], 1.0
	v_mul_f64 v[171:172], v[169:170], v[167:168]
	v_fma_f64 v[152:153], -v[152:153], v[171:172], v[169:170]
	v_div_fmas_f64 v[152:153], v[152:153], v[167:168], v[171:172]
	v_div_fixup_f64 v[150:151], v[152:153], v[150:151], 1.0
	v_mul_f64 v[152:153], v[165:166], -v[150:151]
.LBB72_240:
	s_or_b32 exec_lo, exec_lo, s3
.LBB72_241:
	s_or_b32 exec_lo, exec_lo, s0
	s_mov_b32 s0, exec_lo
	v_cmpx_ne_u32_e64 v164, v158
	s_xor_b32 s0, exec_lo, s0
	s_cbranch_execz .LBB72_247
; %bb.242:
	s_mov_b32 s3, exec_lo
	v_cmpx_eq_u32_e32 11, v164
	s_cbranch_execz .LBB72_246
; %bb.243:
	v_cmp_ne_u32_e32 vcc_lo, 11, v158
	s_xor_b32 s8, s16, -1
	s_and_b32 s9, s8, vcc_lo
	s_and_saveexec_b32 s8, s9
	s_cbranch_execz .LBB72_245
; %bb.244:
	v_ashrrev_i32_e32 v159, 31, v158
	v_lshlrev_b64 v[164:165], 2, v[158:159]
	v_add_co_u32 v164, vcc_lo, v156, v164
	v_add_co_ci_u32_e64 v165, null, v157, v165, vcc_lo
	s_clause 0x1
	global_load_dword v0, v[164:165], off
	global_load_dword v159, v[156:157], off offset:44
	s_waitcnt vmcnt(1)
	global_store_dword v[156:157], v0, off offset:44
	s_waitcnt vmcnt(0)
	global_store_dword v[164:165], v159, off
.LBB72_245:
	s_or_b32 exec_lo, exec_lo, s8
	v_mov_b32_e32 v164, v158
	v_mov_b32_e32 v0, v158
.LBB72_246:
	s_or_b32 exec_lo, exec_lo, s3
.LBB72_247:
	s_andn2_saveexec_b32 s0, s0
	s_cbranch_execz .LBB72_249
; %bb.248:
	v_mov_b32_e32 v164, 11
	ds_write2_b64 v1, v[94:95], v[96:97] offset0:24 offset1:25
	ds_write2_b64 v1, v[90:91], v[92:93] offset0:26 offset1:27
	;; [unrolled: 1-line block ×25, first 2 shown]
.LBB72_249:
	s_or_b32 exec_lo, exec_lo, s0
	s_mov_b32 s0, exec_lo
	s_waitcnt lgkmcnt(0)
	s_waitcnt_vscnt null, 0x0
	s_barrier
	buffer_gl0_inv
	v_cmpx_lt_i32_e32 11, v164
	s_cbranch_execz .LBB72_251
; %bb.250:
	v_mul_f64 v[158:159], v[152:153], v[104:105]
	v_mul_f64 v[104:105], v[150:151], v[104:105]
	v_fma_f64 v[158:159], v[150:151], v[102:103], -v[158:159]
	v_fma_f64 v[104:105], v[152:153], v[102:103], v[104:105]
	ds_read2_b64 v[150:153], v1 offset0:24 offset1:25
	s_waitcnt lgkmcnt(0)
	v_mul_f64 v[102:103], v[152:153], v[104:105]
	v_fma_f64 v[102:103], v[150:151], v[158:159], -v[102:103]
	v_mul_f64 v[150:151], v[150:151], v[104:105]
	v_add_f64 v[94:95], v[94:95], -v[102:103]
	v_fma_f64 v[150:151], v[152:153], v[158:159], v[150:151]
	v_add_f64 v[96:97], v[96:97], -v[150:151]
	ds_read2_b64 v[150:153], v1 offset0:26 offset1:27
	s_waitcnt lgkmcnt(0)
	v_mul_f64 v[102:103], v[152:153], v[104:105]
	v_fma_f64 v[102:103], v[150:151], v[158:159], -v[102:103]
	v_mul_f64 v[150:151], v[150:151], v[104:105]
	v_add_f64 v[90:91], v[90:91], -v[102:103]
	v_fma_f64 v[150:151], v[152:153], v[158:159], v[150:151]
	v_add_f64 v[92:93], v[92:93], -v[150:151]
	;; [unrolled: 8-line block ×24, first 2 shown]
	ds_read2_b64 v[150:153], v1 offset0:72 offset1:73
	s_waitcnt lgkmcnt(0)
	v_mul_f64 v[102:103], v[152:153], v[104:105]
	v_fma_f64 v[102:103], v[150:151], v[158:159], -v[102:103]
	v_mul_f64 v[150:151], v[150:151], v[104:105]
	v_add_f64 v[2:3], v[2:3], -v[102:103]
	v_fma_f64 v[150:151], v[152:153], v[158:159], v[150:151]
	v_mov_b32_e32 v102, v158
	v_mov_b32_e32 v103, v159
	v_add_f64 v[4:5], v[4:5], -v[150:151]
.LBB72_251:
	s_or_b32 exec_lo, exec_lo, s0
	v_lshl_add_u32 v150, v164, 4, v1
	s_barrier
	buffer_gl0_inv
	v_mov_b32_e32 v158, 12
	ds_write2_b64 v150, v[94:95], v[96:97] offset1:1
	s_waitcnt lgkmcnt(0)
	s_barrier
	buffer_gl0_inv
	ds_read2_b64 v[150:153], v1 offset0:24 offset1:25
	s_cmp_lt_i32 s1, 14
	s_cbranch_scc1 .LBB72_254
; %bb.252:
	v_add3_u32 v159, v160, 0, 0xd0
	v_mov_b32_e32 v158, 12
	s_mov_b32 s3, 13
	s_inst_prefetch 0x1
	.p2align	6
.LBB72_253:                             ; =>This Inner Loop Header: Depth=1
	s_waitcnt lgkmcnt(0)
	v_cmp_gt_f64_e32 vcc_lo, 0, v[152:153]
	v_cmp_gt_f64_e64 s0, 0, v[150:151]
	ds_read2_b64 v[165:168], v159 offset1:1
	v_xor_b32_e32 v170, 0x80000000, v151
	v_xor_b32_e32 v172, 0x80000000, v153
	v_mov_b32_e32 v169, v150
	v_mov_b32_e32 v171, v152
	v_add_nc_u32_e32 v159, 16, v159
	s_waitcnt lgkmcnt(0)
	v_xor_b32_e32 v174, 0x80000000, v168
	v_cndmask_b32_e64 v170, v151, v170, s0
	v_cndmask_b32_e32 v172, v153, v172, vcc_lo
	v_cmp_gt_f64_e32 vcc_lo, 0, v[167:168]
	v_cmp_gt_f64_e64 s0, 0, v[165:166]
	v_mov_b32_e32 v173, v167
	v_add_f64 v[169:170], v[169:170], v[171:172]
	v_xor_b32_e32 v172, 0x80000000, v166
	v_mov_b32_e32 v171, v165
	v_cndmask_b32_e32 v174, v168, v174, vcc_lo
	v_cndmask_b32_e64 v172, v166, v172, s0
	v_add_f64 v[171:172], v[171:172], v[173:174]
	v_cmp_lt_f64_e32 vcc_lo, v[169:170], v[171:172]
	v_cndmask_b32_e32 v151, v151, v166, vcc_lo
	v_cndmask_b32_e32 v150, v150, v165, vcc_lo
	;; [unrolled: 1-line block ×4, first 2 shown]
	v_cndmask_b32_e64 v158, v158, s3, vcc_lo
	s_add_i32 s3, s3, 1
	s_cmp_lg_u32 s1, s3
	s_cbranch_scc1 .LBB72_253
.LBB72_254:
	s_inst_prefetch 0x2
	s_waitcnt lgkmcnt(0)
	v_cmp_eq_f64_e32 vcc_lo, 0, v[150:151]
	v_cmp_eq_f64_e64 s0, 0, v[152:153]
	s_and_b32 s0, vcc_lo, s0
	s_and_saveexec_b32 s3, s0
	s_xor_b32 s0, exec_lo, s3
; %bb.255:
	v_cmp_ne_u32_e32 vcc_lo, 0, v163
	v_cndmask_b32_e32 v163, 13, v163, vcc_lo
; %bb.256:
	s_andn2_saveexec_b32 s0, s0
	s_cbranch_execz .LBB72_262
; %bb.257:
	v_cmp_ngt_f64_e64 s3, |v[150:151]|, |v[152:153]|
	s_and_saveexec_b32 s8, s3
	s_xor_b32 s3, exec_lo, s8
	s_cbranch_execz .LBB72_259
; %bb.258:
	v_div_scale_f64 v[165:166], null, v[152:153], v[152:153], v[150:151]
	v_div_scale_f64 v[171:172], vcc_lo, v[150:151], v[152:153], v[150:151]
	v_rcp_f64_e32 v[167:168], v[165:166]
	v_fma_f64 v[169:170], -v[165:166], v[167:168], 1.0
	v_fma_f64 v[167:168], v[167:168], v[169:170], v[167:168]
	v_fma_f64 v[169:170], -v[165:166], v[167:168], 1.0
	v_fma_f64 v[167:168], v[167:168], v[169:170], v[167:168]
	v_mul_f64 v[169:170], v[171:172], v[167:168]
	v_fma_f64 v[165:166], -v[165:166], v[169:170], v[171:172]
	v_div_fmas_f64 v[165:166], v[165:166], v[167:168], v[169:170]
	v_div_fixup_f64 v[165:166], v[165:166], v[152:153], v[150:151]
	v_fma_f64 v[150:151], v[150:151], v[165:166], v[152:153]
	v_div_scale_f64 v[152:153], null, v[150:151], v[150:151], 1.0
	v_rcp_f64_e32 v[167:168], v[152:153]
	v_fma_f64 v[169:170], -v[152:153], v[167:168], 1.0
	v_fma_f64 v[167:168], v[167:168], v[169:170], v[167:168]
	v_fma_f64 v[169:170], -v[152:153], v[167:168], 1.0
	v_fma_f64 v[167:168], v[167:168], v[169:170], v[167:168]
	v_div_scale_f64 v[169:170], vcc_lo, 1.0, v[150:151], 1.0
	v_mul_f64 v[171:172], v[169:170], v[167:168]
	v_fma_f64 v[152:153], -v[152:153], v[171:172], v[169:170]
	v_div_fmas_f64 v[152:153], v[152:153], v[167:168], v[171:172]
	v_div_fixup_f64 v[152:153], v[152:153], v[150:151], 1.0
	v_mul_f64 v[150:151], v[165:166], v[152:153]
	v_xor_b32_e32 v153, 0x80000000, v153
.LBB72_259:
	s_andn2_saveexec_b32 s3, s3
	s_cbranch_execz .LBB72_261
; %bb.260:
	v_div_scale_f64 v[165:166], null, v[150:151], v[150:151], v[152:153]
	v_div_scale_f64 v[171:172], vcc_lo, v[152:153], v[150:151], v[152:153]
	v_rcp_f64_e32 v[167:168], v[165:166]
	v_fma_f64 v[169:170], -v[165:166], v[167:168], 1.0
	v_fma_f64 v[167:168], v[167:168], v[169:170], v[167:168]
	v_fma_f64 v[169:170], -v[165:166], v[167:168], 1.0
	v_fma_f64 v[167:168], v[167:168], v[169:170], v[167:168]
	v_mul_f64 v[169:170], v[171:172], v[167:168]
	v_fma_f64 v[165:166], -v[165:166], v[169:170], v[171:172]
	v_div_fmas_f64 v[165:166], v[165:166], v[167:168], v[169:170]
	v_div_fixup_f64 v[165:166], v[165:166], v[150:151], v[152:153]
	v_fma_f64 v[150:151], v[152:153], v[165:166], v[150:151]
	v_div_scale_f64 v[152:153], null, v[150:151], v[150:151], 1.0
	v_rcp_f64_e32 v[167:168], v[152:153]
	v_fma_f64 v[169:170], -v[152:153], v[167:168], 1.0
	v_fma_f64 v[167:168], v[167:168], v[169:170], v[167:168]
	v_fma_f64 v[169:170], -v[152:153], v[167:168], 1.0
	v_fma_f64 v[167:168], v[167:168], v[169:170], v[167:168]
	v_div_scale_f64 v[169:170], vcc_lo, 1.0, v[150:151], 1.0
	v_mul_f64 v[171:172], v[169:170], v[167:168]
	v_fma_f64 v[152:153], -v[152:153], v[171:172], v[169:170]
	v_div_fmas_f64 v[152:153], v[152:153], v[167:168], v[171:172]
	v_div_fixup_f64 v[150:151], v[152:153], v[150:151], 1.0
	v_mul_f64 v[152:153], v[165:166], -v[150:151]
.LBB72_261:
	s_or_b32 exec_lo, exec_lo, s3
.LBB72_262:
	s_or_b32 exec_lo, exec_lo, s0
	s_mov_b32 s0, exec_lo
	v_cmpx_ne_u32_e64 v164, v158
	s_xor_b32 s0, exec_lo, s0
	s_cbranch_execz .LBB72_268
; %bb.263:
	s_mov_b32 s3, exec_lo
	v_cmpx_eq_u32_e32 12, v164
	s_cbranch_execz .LBB72_267
; %bb.264:
	v_cmp_ne_u32_e32 vcc_lo, 12, v158
	s_xor_b32 s8, s16, -1
	s_and_b32 s9, s8, vcc_lo
	s_and_saveexec_b32 s8, s9
	s_cbranch_execz .LBB72_266
; %bb.265:
	v_ashrrev_i32_e32 v159, 31, v158
	v_lshlrev_b64 v[164:165], 2, v[158:159]
	v_add_co_u32 v164, vcc_lo, v156, v164
	v_add_co_ci_u32_e64 v165, null, v157, v165, vcc_lo
	s_clause 0x1
	global_load_dword v0, v[164:165], off
	global_load_dword v159, v[156:157], off offset:48
	s_waitcnt vmcnt(1)
	global_store_dword v[156:157], v0, off offset:48
	s_waitcnt vmcnt(0)
	global_store_dword v[164:165], v159, off
.LBB72_266:
	s_or_b32 exec_lo, exec_lo, s8
	v_mov_b32_e32 v164, v158
	v_mov_b32_e32 v0, v158
.LBB72_267:
	s_or_b32 exec_lo, exec_lo, s3
.LBB72_268:
	s_andn2_saveexec_b32 s0, s0
	s_cbranch_execz .LBB72_270
; %bb.269:
	v_mov_b32_e32 v164, 12
	ds_write2_b64 v1, v[90:91], v[92:93] offset0:26 offset1:27
	ds_write2_b64 v1, v[98:99], v[100:101] offset0:28 offset1:29
	;; [unrolled: 1-line block ×24, first 2 shown]
.LBB72_270:
	s_or_b32 exec_lo, exec_lo, s0
	s_mov_b32 s0, exec_lo
	s_waitcnt lgkmcnt(0)
	s_waitcnt_vscnt null, 0x0
	s_barrier
	buffer_gl0_inv
	v_cmpx_lt_i32_e32 12, v164
	s_cbranch_execz .LBB72_272
; %bb.271:
	v_mul_f64 v[158:159], v[152:153], v[96:97]
	v_mul_f64 v[96:97], v[150:151], v[96:97]
	v_fma_f64 v[158:159], v[150:151], v[94:95], -v[158:159]
	v_fma_f64 v[96:97], v[152:153], v[94:95], v[96:97]
	ds_read2_b64 v[150:153], v1 offset0:26 offset1:27
	s_waitcnt lgkmcnt(0)
	v_mul_f64 v[94:95], v[152:153], v[96:97]
	v_fma_f64 v[94:95], v[150:151], v[158:159], -v[94:95]
	v_mul_f64 v[150:151], v[150:151], v[96:97]
	v_add_f64 v[90:91], v[90:91], -v[94:95]
	v_fma_f64 v[150:151], v[152:153], v[158:159], v[150:151]
	v_add_f64 v[92:93], v[92:93], -v[150:151]
	ds_read2_b64 v[150:153], v1 offset0:28 offset1:29
	s_waitcnt lgkmcnt(0)
	v_mul_f64 v[94:95], v[152:153], v[96:97]
	v_fma_f64 v[94:95], v[150:151], v[158:159], -v[94:95]
	v_mul_f64 v[150:151], v[150:151], v[96:97]
	v_add_f64 v[98:99], v[98:99], -v[94:95]
	v_fma_f64 v[150:151], v[152:153], v[158:159], v[150:151]
	v_add_f64 v[100:101], v[100:101], -v[150:151]
	;; [unrolled: 8-line block ×23, first 2 shown]
	ds_read2_b64 v[150:153], v1 offset0:72 offset1:73
	s_waitcnt lgkmcnt(0)
	v_mul_f64 v[94:95], v[152:153], v[96:97]
	v_fma_f64 v[94:95], v[150:151], v[158:159], -v[94:95]
	v_mul_f64 v[150:151], v[150:151], v[96:97]
	v_add_f64 v[2:3], v[2:3], -v[94:95]
	v_fma_f64 v[150:151], v[152:153], v[158:159], v[150:151]
	v_mov_b32_e32 v94, v158
	v_mov_b32_e32 v95, v159
	v_add_f64 v[4:5], v[4:5], -v[150:151]
.LBB72_272:
	s_or_b32 exec_lo, exec_lo, s0
	v_lshl_add_u32 v150, v164, 4, v1
	s_barrier
	buffer_gl0_inv
	v_mov_b32_e32 v158, 13
	ds_write2_b64 v150, v[90:91], v[92:93] offset1:1
	s_waitcnt lgkmcnt(0)
	s_barrier
	buffer_gl0_inv
	ds_read2_b64 v[150:153], v1 offset0:26 offset1:27
	s_cmp_lt_i32 s1, 15
	s_cbranch_scc1 .LBB72_275
; %bb.273:
	v_add3_u32 v159, v160, 0, 0xe0
	v_mov_b32_e32 v158, 13
	s_mov_b32 s3, 14
	s_inst_prefetch 0x1
	.p2align	6
.LBB72_274:                             ; =>This Inner Loop Header: Depth=1
	s_waitcnt lgkmcnt(0)
	v_cmp_gt_f64_e32 vcc_lo, 0, v[152:153]
	v_cmp_gt_f64_e64 s0, 0, v[150:151]
	ds_read2_b64 v[165:168], v159 offset1:1
	v_xor_b32_e32 v170, 0x80000000, v151
	v_xor_b32_e32 v172, 0x80000000, v153
	v_mov_b32_e32 v169, v150
	v_mov_b32_e32 v171, v152
	v_add_nc_u32_e32 v159, 16, v159
	s_waitcnt lgkmcnt(0)
	v_xor_b32_e32 v174, 0x80000000, v168
	v_cndmask_b32_e64 v170, v151, v170, s0
	v_cndmask_b32_e32 v172, v153, v172, vcc_lo
	v_cmp_gt_f64_e32 vcc_lo, 0, v[167:168]
	v_cmp_gt_f64_e64 s0, 0, v[165:166]
	v_mov_b32_e32 v173, v167
	v_add_f64 v[169:170], v[169:170], v[171:172]
	v_xor_b32_e32 v172, 0x80000000, v166
	v_mov_b32_e32 v171, v165
	v_cndmask_b32_e32 v174, v168, v174, vcc_lo
	v_cndmask_b32_e64 v172, v166, v172, s0
	v_add_f64 v[171:172], v[171:172], v[173:174]
	v_cmp_lt_f64_e32 vcc_lo, v[169:170], v[171:172]
	v_cndmask_b32_e32 v151, v151, v166, vcc_lo
	v_cndmask_b32_e32 v150, v150, v165, vcc_lo
	;; [unrolled: 1-line block ×4, first 2 shown]
	v_cndmask_b32_e64 v158, v158, s3, vcc_lo
	s_add_i32 s3, s3, 1
	s_cmp_lg_u32 s1, s3
	s_cbranch_scc1 .LBB72_274
.LBB72_275:
	s_inst_prefetch 0x2
	s_waitcnt lgkmcnt(0)
	v_cmp_eq_f64_e32 vcc_lo, 0, v[150:151]
	v_cmp_eq_f64_e64 s0, 0, v[152:153]
	s_and_b32 s0, vcc_lo, s0
	s_and_saveexec_b32 s3, s0
	s_xor_b32 s0, exec_lo, s3
; %bb.276:
	v_cmp_ne_u32_e32 vcc_lo, 0, v163
	v_cndmask_b32_e32 v163, 14, v163, vcc_lo
; %bb.277:
	s_andn2_saveexec_b32 s0, s0
	s_cbranch_execz .LBB72_283
; %bb.278:
	v_cmp_ngt_f64_e64 s3, |v[150:151]|, |v[152:153]|
	s_and_saveexec_b32 s8, s3
	s_xor_b32 s3, exec_lo, s8
	s_cbranch_execz .LBB72_280
; %bb.279:
	v_div_scale_f64 v[165:166], null, v[152:153], v[152:153], v[150:151]
	v_div_scale_f64 v[171:172], vcc_lo, v[150:151], v[152:153], v[150:151]
	v_rcp_f64_e32 v[167:168], v[165:166]
	v_fma_f64 v[169:170], -v[165:166], v[167:168], 1.0
	v_fma_f64 v[167:168], v[167:168], v[169:170], v[167:168]
	v_fma_f64 v[169:170], -v[165:166], v[167:168], 1.0
	v_fma_f64 v[167:168], v[167:168], v[169:170], v[167:168]
	v_mul_f64 v[169:170], v[171:172], v[167:168]
	v_fma_f64 v[165:166], -v[165:166], v[169:170], v[171:172]
	v_div_fmas_f64 v[165:166], v[165:166], v[167:168], v[169:170]
	v_div_fixup_f64 v[165:166], v[165:166], v[152:153], v[150:151]
	v_fma_f64 v[150:151], v[150:151], v[165:166], v[152:153]
	v_div_scale_f64 v[152:153], null, v[150:151], v[150:151], 1.0
	v_rcp_f64_e32 v[167:168], v[152:153]
	v_fma_f64 v[169:170], -v[152:153], v[167:168], 1.0
	v_fma_f64 v[167:168], v[167:168], v[169:170], v[167:168]
	v_fma_f64 v[169:170], -v[152:153], v[167:168], 1.0
	v_fma_f64 v[167:168], v[167:168], v[169:170], v[167:168]
	v_div_scale_f64 v[169:170], vcc_lo, 1.0, v[150:151], 1.0
	v_mul_f64 v[171:172], v[169:170], v[167:168]
	v_fma_f64 v[152:153], -v[152:153], v[171:172], v[169:170]
	v_div_fmas_f64 v[152:153], v[152:153], v[167:168], v[171:172]
	v_div_fixup_f64 v[152:153], v[152:153], v[150:151], 1.0
	v_mul_f64 v[150:151], v[165:166], v[152:153]
	v_xor_b32_e32 v153, 0x80000000, v153
.LBB72_280:
	s_andn2_saveexec_b32 s3, s3
	s_cbranch_execz .LBB72_282
; %bb.281:
	v_div_scale_f64 v[165:166], null, v[150:151], v[150:151], v[152:153]
	v_div_scale_f64 v[171:172], vcc_lo, v[152:153], v[150:151], v[152:153]
	v_rcp_f64_e32 v[167:168], v[165:166]
	v_fma_f64 v[169:170], -v[165:166], v[167:168], 1.0
	v_fma_f64 v[167:168], v[167:168], v[169:170], v[167:168]
	v_fma_f64 v[169:170], -v[165:166], v[167:168], 1.0
	v_fma_f64 v[167:168], v[167:168], v[169:170], v[167:168]
	v_mul_f64 v[169:170], v[171:172], v[167:168]
	v_fma_f64 v[165:166], -v[165:166], v[169:170], v[171:172]
	v_div_fmas_f64 v[165:166], v[165:166], v[167:168], v[169:170]
	v_div_fixup_f64 v[165:166], v[165:166], v[150:151], v[152:153]
	v_fma_f64 v[150:151], v[152:153], v[165:166], v[150:151]
	v_div_scale_f64 v[152:153], null, v[150:151], v[150:151], 1.0
	v_rcp_f64_e32 v[167:168], v[152:153]
	v_fma_f64 v[169:170], -v[152:153], v[167:168], 1.0
	v_fma_f64 v[167:168], v[167:168], v[169:170], v[167:168]
	v_fma_f64 v[169:170], -v[152:153], v[167:168], 1.0
	v_fma_f64 v[167:168], v[167:168], v[169:170], v[167:168]
	v_div_scale_f64 v[169:170], vcc_lo, 1.0, v[150:151], 1.0
	v_mul_f64 v[171:172], v[169:170], v[167:168]
	v_fma_f64 v[152:153], -v[152:153], v[171:172], v[169:170]
	v_div_fmas_f64 v[152:153], v[152:153], v[167:168], v[171:172]
	v_div_fixup_f64 v[150:151], v[152:153], v[150:151], 1.0
	v_mul_f64 v[152:153], v[165:166], -v[150:151]
.LBB72_282:
	s_or_b32 exec_lo, exec_lo, s3
.LBB72_283:
	s_or_b32 exec_lo, exec_lo, s0
	s_mov_b32 s0, exec_lo
	v_cmpx_ne_u32_e64 v164, v158
	s_xor_b32 s0, exec_lo, s0
	s_cbranch_execz .LBB72_289
; %bb.284:
	s_mov_b32 s3, exec_lo
	v_cmpx_eq_u32_e32 13, v164
	s_cbranch_execz .LBB72_288
; %bb.285:
	v_cmp_ne_u32_e32 vcc_lo, 13, v158
	s_xor_b32 s8, s16, -1
	s_and_b32 s9, s8, vcc_lo
	s_and_saveexec_b32 s8, s9
	s_cbranch_execz .LBB72_287
; %bb.286:
	v_ashrrev_i32_e32 v159, 31, v158
	v_lshlrev_b64 v[164:165], 2, v[158:159]
	v_add_co_u32 v164, vcc_lo, v156, v164
	v_add_co_ci_u32_e64 v165, null, v157, v165, vcc_lo
	s_clause 0x1
	global_load_dword v0, v[164:165], off
	global_load_dword v159, v[156:157], off offset:52
	s_waitcnt vmcnt(1)
	global_store_dword v[156:157], v0, off offset:52
	s_waitcnt vmcnt(0)
	global_store_dword v[164:165], v159, off
.LBB72_287:
	s_or_b32 exec_lo, exec_lo, s8
	v_mov_b32_e32 v164, v158
	v_mov_b32_e32 v0, v158
.LBB72_288:
	s_or_b32 exec_lo, exec_lo, s3
.LBB72_289:
	s_andn2_saveexec_b32 s0, s0
	s_cbranch_execz .LBB72_291
; %bb.290:
	v_mov_b32_e32 v164, 13
	ds_write2_b64 v1, v[98:99], v[100:101] offset0:28 offset1:29
	ds_write2_b64 v1, v[82:83], v[84:85] offset0:30 offset1:31
	;; [unrolled: 1-line block ×23, first 2 shown]
.LBB72_291:
	s_or_b32 exec_lo, exec_lo, s0
	s_mov_b32 s0, exec_lo
	s_waitcnt lgkmcnt(0)
	s_waitcnt_vscnt null, 0x0
	s_barrier
	buffer_gl0_inv
	v_cmpx_lt_i32_e32 13, v164
	s_cbranch_execz .LBB72_293
; %bb.292:
	v_mul_f64 v[158:159], v[152:153], v[92:93]
	v_mul_f64 v[92:93], v[150:151], v[92:93]
	v_fma_f64 v[158:159], v[150:151], v[90:91], -v[158:159]
	v_fma_f64 v[92:93], v[152:153], v[90:91], v[92:93]
	ds_read2_b64 v[150:153], v1 offset0:28 offset1:29
	s_waitcnt lgkmcnt(0)
	v_mul_f64 v[90:91], v[152:153], v[92:93]
	v_fma_f64 v[90:91], v[150:151], v[158:159], -v[90:91]
	v_mul_f64 v[150:151], v[150:151], v[92:93]
	v_add_f64 v[98:99], v[98:99], -v[90:91]
	v_fma_f64 v[150:151], v[152:153], v[158:159], v[150:151]
	v_add_f64 v[100:101], v[100:101], -v[150:151]
	ds_read2_b64 v[150:153], v1 offset0:30 offset1:31
	s_waitcnt lgkmcnt(0)
	v_mul_f64 v[90:91], v[152:153], v[92:93]
	v_fma_f64 v[90:91], v[150:151], v[158:159], -v[90:91]
	v_mul_f64 v[150:151], v[150:151], v[92:93]
	v_add_f64 v[82:83], v[82:83], -v[90:91]
	v_fma_f64 v[150:151], v[152:153], v[158:159], v[150:151]
	v_add_f64 v[84:85], v[84:85], -v[150:151]
	ds_read2_b64 v[150:153], v1 offset0:32 offset1:33
	s_waitcnt lgkmcnt(0)
	v_mul_f64 v[90:91], v[152:153], v[92:93]
	v_fma_f64 v[90:91], v[150:151], v[158:159], -v[90:91]
	v_mul_f64 v[150:151], v[150:151], v[92:93]
	v_add_f64 v[86:87], v[86:87], -v[90:91]
	v_fma_f64 v[150:151], v[152:153], v[158:159], v[150:151]
	v_add_f64 v[88:89], v[88:89], -v[150:151]
	ds_read2_b64 v[150:153], v1 offset0:34 offset1:35
	s_waitcnt lgkmcnt(0)
	v_mul_f64 v[90:91], v[152:153], v[92:93]
	v_fma_f64 v[90:91], v[150:151], v[158:159], -v[90:91]
	v_mul_f64 v[150:151], v[150:151], v[92:93]
	v_add_f64 v[70:71], v[70:71], -v[90:91]
	v_fma_f64 v[150:151], v[152:153], v[158:159], v[150:151]
	v_add_f64 v[72:73], v[72:73], -v[150:151]
	ds_read2_b64 v[150:153], v1 offset0:36 offset1:37
	s_waitcnt lgkmcnt(0)
	v_mul_f64 v[90:91], v[152:153], v[92:93]
	v_fma_f64 v[90:91], v[150:151], v[158:159], -v[90:91]
	v_mul_f64 v[150:151], v[150:151], v[92:93]
	v_add_f64 v[78:79], v[78:79], -v[90:91]
	v_fma_f64 v[150:151], v[152:153], v[158:159], v[150:151]
	v_add_f64 v[80:81], v[80:81], -v[150:151]
	ds_read2_b64 v[150:153], v1 offset0:38 offset1:39
	s_waitcnt lgkmcnt(0)
	v_mul_f64 v[90:91], v[152:153], v[92:93]
	v_fma_f64 v[90:91], v[150:151], v[158:159], -v[90:91]
	v_mul_f64 v[150:151], v[150:151], v[92:93]
	v_add_f64 v[74:75], v[74:75], -v[90:91]
	v_fma_f64 v[150:151], v[152:153], v[158:159], v[150:151]
	v_add_f64 v[76:77], v[76:77], -v[150:151]
	ds_read2_b64 v[150:153], v1 offset0:40 offset1:41
	s_waitcnt lgkmcnt(0)
	v_mul_f64 v[90:91], v[152:153], v[92:93]
	v_fma_f64 v[90:91], v[150:151], v[158:159], -v[90:91]
	v_mul_f64 v[150:151], v[150:151], v[92:93]
	v_add_f64 v[66:67], v[66:67], -v[90:91]
	v_fma_f64 v[150:151], v[152:153], v[158:159], v[150:151]
	v_add_f64 v[68:69], v[68:69], -v[150:151]
	ds_read2_b64 v[150:153], v1 offset0:42 offset1:43
	s_waitcnt lgkmcnt(0)
	v_mul_f64 v[90:91], v[152:153], v[92:93]
	v_fma_f64 v[90:91], v[150:151], v[158:159], -v[90:91]
	v_mul_f64 v[150:151], v[150:151], v[92:93]
	v_add_f64 v[62:63], v[62:63], -v[90:91]
	v_fma_f64 v[150:151], v[152:153], v[158:159], v[150:151]
	v_add_f64 v[64:65], v[64:65], -v[150:151]
	ds_read2_b64 v[150:153], v1 offset0:44 offset1:45
	s_waitcnt lgkmcnt(0)
	v_mul_f64 v[90:91], v[152:153], v[92:93]
	v_fma_f64 v[90:91], v[150:151], v[158:159], -v[90:91]
	v_mul_f64 v[150:151], v[150:151], v[92:93]
	v_add_f64 v[54:55], v[54:55], -v[90:91]
	v_fma_f64 v[150:151], v[152:153], v[158:159], v[150:151]
	v_add_f64 v[56:57], v[56:57], -v[150:151]
	ds_read2_b64 v[150:153], v1 offset0:46 offset1:47
	s_waitcnt lgkmcnt(0)
	v_mul_f64 v[90:91], v[152:153], v[92:93]
	v_fma_f64 v[90:91], v[150:151], v[158:159], -v[90:91]
	v_mul_f64 v[150:151], v[150:151], v[92:93]
	v_add_f64 v[50:51], v[50:51], -v[90:91]
	v_fma_f64 v[150:151], v[152:153], v[158:159], v[150:151]
	v_add_f64 v[52:53], v[52:53], -v[150:151]
	ds_read2_b64 v[150:153], v1 offset0:48 offset1:49
	s_waitcnt lgkmcnt(0)
	v_mul_f64 v[90:91], v[152:153], v[92:93]
	v_fma_f64 v[90:91], v[150:151], v[158:159], -v[90:91]
	v_mul_f64 v[150:151], v[150:151], v[92:93]
	v_add_f64 v[58:59], v[58:59], -v[90:91]
	v_fma_f64 v[150:151], v[152:153], v[158:159], v[150:151]
	v_add_f64 v[60:61], v[60:61], -v[150:151]
	ds_read2_b64 v[150:153], v1 offset0:50 offset1:51
	s_waitcnt lgkmcnt(0)
	v_mul_f64 v[90:91], v[152:153], v[92:93]
	v_fma_f64 v[90:91], v[150:151], v[158:159], -v[90:91]
	v_mul_f64 v[150:151], v[150:151], v[92:93]
	v_add_f64 v[42:43], v[42:43], -v[90:91]
	v_fma_f64 v[150:151], v[152:153], v[158:159], v[150:151]
	v_add_f64 v[44:45], v[44:45], -v[150:151]
	ds_read2_b64 v[150:153], v1 offset0:52 offset1:53
	s_waitcnt lgkmcnt(0)
	v_mul_f64 v[90:91], v[152:153], v[92:93]
	v_fma_f64 v[90:91], v[150:151], v[158:159], -v[90:91]
	v_mul_f64 v[150:151], v[150:151], v[92:93]
	v_add_f64 v[46:47], v[46:47], -v[90:91]
	v_fma_f64 v[150:151], v[152:153], v[158:159], v[150:151]
	v_add_f64 v[48:49], v[48:49], -v[150:151]
	ds_read2_b64 v[150:153], v1 offset0:54 offset1:55
	s_waitcnt lgkmcnt(0)
	v_mul_f64 v[90:91], v[152:153], v[92:93]
	v_fma_f64 v[90:91], v[150:151], v[158:159], -v[90:91]
	v_mul_f64 v[150:151], v[150:151], v[92:93]
	v_add_f64 v[30:31], v[30:31], -v[90:91]
	v_fma_f64 v[150:151], v[152:153], v[158:159], v[150:151]
	v_add_f64 v[32:33], v[32:33], -v[150:151]
	ds_read2_b64 v[150:153], v1 offset0:56 offset1:57
	s_waitcnt lgkmcnt(0)
	v_mul_f64 v[90:91], v[152:153], v[92:93]
	v_fma_f64 v[90:91], v[150:151], v[158:159], -v[90:91]
	v_mul_f64 v[150:151], v[150:151], v[92:93]
	v_add_f64 v[38:39], v[38:39], -v[90:91]
	v_fma_f64 v[150:151], v[152:153], v[158:159], v[150:151]
	v_add_f64 v[40:41], v[40:41], -v[150:151]
	ds_read2_b64 v[150:153], v1 offset0:58 offset1:59
	s_waitcnt lgkmcnt(0)
	v_mul_f64 v[90:91], v[152:153], v[92:93]
	v_fma_f64 v[90:91], v[150:151], v[158:159], -v[90:91]
	v_mul_f64 v[150:151], v[150:151], v[92:93]
	v_add_f64 v[34:35], v[34:35], -v[90:91]
	v_fma_f64 v[150:151], v[152:153], v[158:159], v[150:151]
	v_add_f64 v[36:37], v[36:37], -v[150:151]
	ds_read2_b64 v[150:153], v1 offset0:60 offset1:61
	s_waitcnt lgkmcnt(0)
	v_mul_f64 v[90:91], v[152:153], v[92:93]
	v_fma_f64 v[90:91], v[150:151], v[158:159], -v[90:91]
	v_mul_f64 v[150:151], v[150:151], v[92:93]
	v_add_f64 v[26:27], v[26:27], -v[90:91]
	v_fma_f64 v[150:151], v[152:153], v[158:159], v[150:151]
	v_add_f64 v[28:29], v[28:29], -v[150:151]
	ds_read2_b64 v[150:153], v1 offset0:62 offset1:63
	s_waitcnt lgkmcnt(0)
	v_mul_f64 v[90:91], v[152:153], v[92:93]
	v_fma_f64 v[90:91], v[150:151], v[158:159], -v[90:91]
	v_mul_f64 v[150:151], v[150:151], v[92:93]
	v_add_f64 v[22:23], v[22:23], -v[90:91]
	v_fma_f64 v[150:151], v[152:153], v[158:159], v[150:151]
	v_add_f64 v[24:25], v[24:25], -v[150:151]
	ds_read2_b64 v[150:153], v1 offset0:64 offset1:65
	s_waitcnt lgkmcnt(0)
	v_mul_f64 v[90:91], v[152:153], v[92:93]
	v_fma_f64 v[90:91], v[150:151], v[158:159], -v[90:91]
	v_mul_f64 v[150:151], v[150:151], v[92:93]
	v_add_f64 v[6:7], v[6:7], -v[90:91]
	v_fma_f64 v[150:151], v[152:153], v[158:159], v[150:151]
	v_add_f64 v[8:9], v[8:9], -v[150:151]
	ds_read2_b64 v[150:153], v1 offset0:66 offset1:67
	s_waitcnt lgkmcnt(0)
	v_mul_f64 v[90:91], v[152:153], v[92:93]
	v_fma_f64 v[90:91], v[150:151], v[158:159], -v[90:91]
	v_mul_f64 v[150:151], v[150:151], v[92:93]
	v_add_f64 v[18:19], v[18:19], -v[90:91]
	v_fma_f64 v[150:151], v[152:153], v[158:159], v[150:151]
	v_add_f64 v[20:21], v[20:21], -v[150:151]
	ds_read2_b64 v[150:153], v1 offset0:68 offset1:69
	s_waitcnt lgkmcnt(0)
	v_mul_f64 v[90:91], v[152:153], v[92:93]
	v_fma_f64 v[90:91], v[150:151], v[158:159], -v[90:91]
	v_mul_f64 v[150:151], v[150:151], v[92:93]
	v_add_f64 v[14:15], v[14:15], -v[90:91]
	v_fma_f64 v[150:151], v[152:153], v[158:159], v[150:151]
	v_add_f64 v[16:17], v[16:17], -v[150:151]
	ds_read2_b64 v[150:153], v1 offset0:70 offset1:71
	s_waitcnt lgkmcnt(0)
	v_mul_f64 v[90:91], v[152:153], v[92:93]
	v_fma_f64 v[90:91], v[150:151], v[158:159], -v[90:91]
	v_mul_f64 v[150:151], v[150:151], v[92:93]
	v_add_f64 v[10:11], v[10:11], -v[90:91]
	v_fma_f64 v[150:151], v[152:153], v[158:159], v[150:151]
	v_add_f64 v[12:13], v[12:13], -v[150:151]
	ds_read2_b64 v[150:153], v1 offset0:72 offset1:73
	s_waitcnt lgkmcnt(0)
	v_mul_f64 v[90:91], v[152:153], v[92:93]
	v_fma_f64 v[90:91], v[150:151], v[158:159], -v[90:91]
	v_mul_f64 v[150:151], v[150:151], v[92:93]
	v_add_f64 v[2:3], v[2:3], -v[90:91]
	v_fma_f64 v[150:151], v[152:153], v[158:159], v[150:151]
	v_mov_b32_e32 v90, v158
	v_mov_b32_e32 v91, v159
	v_add_f64 v[4:5], v[4:5], -v[150:151]
.LBB72_293:
	s_or_b32 exec_lo, exec_lo, s0
	v_lshl_add_u32 v150, v164, 4, v1
	s_barrier
	buffer_gl0_inv
	v_mov_b32_e32 v158, 14
	ds_write2_b64 v150, v[98:99], v[100:101] offset1:1
	s_waitcnt lgkmcnt(0)
	s_barrier
	buffer_gl0_inv
	ds_read2_b64 v[150:153], v1 offset0:28 offset1:29
	s_cmp_lt_i32 s1, 16
	s_cbranch_scc1 .LBB72_296
; %bb.294:
	v_add3_u32 v159, v160, 0, 0xf0
	v_mov_b32_e32 v158, 14
	s_mov_b32 s3, 15
	s_inst_prefetch 0x1
	.p2align	6
.LBB72_295:                             ; =>This Inner Loop Header: Depth=1
	s_waitcnt lgkmcnt(0)
	v_cmp_gt_f64_e32 vcc_lo, 0, v[152:153]
	v_cmp_gt_f64_e64 s0, 0, v[150:151]
	ds_read2_b64 v[165:168], v159 offset1:1
	v_xor_b32_e32 v170, 0x80000000, v151
	v_xor_b32_e32 v172, 0x80000000, v153
	v_mov_b32_e32 v169, v150
	v_mov_b32_e32 v171, v152
	v_add_nc_u32_e32 v159, 16, v159
	s_waitcnt lgkmcnt(0)
	v_xor_b32_e32 v174, 0x80000000, v168
	v_cndmask_b32_e64 v170, v151, v170, s0
	v_cndmask_b32_e32 v172, v153, v172, vcc_lo
	v_cmp_gt_f64_e32 vcc_lo, 0, v[167:168]
	v_cmp_gt_f64_e64 s0, 0, v[165:166]
	v_mov_b32_e32 v173, v167
	v_add_f64 v[169:170], v[169:170], v[171:172]
	v_xor_b32_e32 v172, 0x80000000, v166
	v_mov_b32_e32 v171, v165
	v_cndmask_b32_e32 v174, v168, v174, vcc_lo
	v_cndmask_b32_e64 v172, v166, v172, s0
	v_add_f64 v[171:172], v[171:172], v[173:174]
	v_cmp_lt_f64_e32 vcc_lo, v[169:170], v[171:172]
	v_cndmask_b32_e32 v151, v151, v166, vcc_lo
	v_cndmask_b32_e32 v150, v150, v165, vcc_lo
	;; [unrolled: 1-line block ×4, first 2 shown]
	v_cndmask_b32_e64 v158, v158, s3, vcc_lo
	s_add_i32 s3, s3, 1
	s_cmp_lg_u32 s1, s3
	s_cbranch_scc1 .LBB72_295
.LBB72_296:
	s_inst_prefetch 0x2
	s_waitcnt lgkmcnt(0)
	v_cmp_eq_f64_e32 vcc_lo, 0, v[150:151]
	v_cmp_eq_f64_e64 s0, 0, v[152:153]
	s_and_b32 s0, vcc_lo, s0
	s_and_saveexec_b32 s3, s0
	s_xor_b32 s0, exec_lo, s3
; %bb.297:
	v_cmp_ne_u32_e32 vcc_lo, 0, v163
	v_cndmask_b32_e32 v163, 15, v163, vcc_lo
; %bb.298:
	s_andn2_saveexec_b32 s0, s0
	s_cbranch_execz .LBB72_304
; %bb.299:
	v_cmp_ngt_f64_e64 s3, |v[150:151]|, |v[152:153]|
	s_and_saveexec_b32 s8, s3
	s_xor_b32 s3, exec_lo, s8
	s_cbranch_execz .LBB72_301
; %bb.300:
	v_div_scale_f64 v[165:166], null, v[152:153], v[152:153], v[150:151]
	v_div_scale_f64 v[171:172], vcc_lo, v[150:151], v[152:153], v[150:151]
	v_rcp_f64_e32 v[167:168], v[165:166]
	v_fma_f64 v[169:170], -v[165:166], v[167:168], 1.0
	v_fma_f64 v[167:168], v[167:168], v[169:170], v[167:168]
	v_fma_f64 v[169:170], -v[165:166], v[167:168], 1.0
	v_fma_f64 v[167:168], v[167:168], v[169:170], v[167:168]
	v_mul_f64 v[169:170], v[171:172], v[167:168]
	v_fma_f64 v[165:166], -v[165:166], v[169:170], v[171:172]
	v_div_fmas_f64 v[165:166], v[165:166], v[167:168], v[169:170]
	v_div_fixup_f64 v[165:166], v[165:166], v[152:153], v[150:151]
	v_fma_f64 v[150:151], v[150:151], v[165:166], v[152:153]
	v_div_scale_f64 v[152:153], null, v[150:151], v[150:151], 1.0
	v_rcp_f64_e32 v[167:168], v[152:153]
	v_fma_f64 v[169:170], -v[152:153], v[167:168], 1.0
	v_fma_f64 v[167:168], v[167:168], v[169:170], v[167:168]
	v_fma_f64 v[169:170], -v[152:153], v[167:168], 1.0
	v_fma_f64 v[167:168], v[167:168], v[169:170], v[167:168]
	v_div_scale_f64 v[169:170], vcc_lo, 1.0, v[150:151], 1.0
	v_mul_f64 v[171:172], v[169:170], v[167:168]
	v_fma_f64 v[152:153], -v[152:153], v[171:172], v[169:170]
	v_div_fmas_f64 v[152:153], v[152:153], v[167:168], v[171:172]
	v_div_fixup_f64 v[152:153], v[152:153], v[150:151], 1.0
	v_mul_f64 v[150:151], v[165:166], v[152:153]
	v_xor_b32_e32 v153, 0x80000000, v153
.LBB72_301:
	s_andn2_saveexec_b32 s3, s3
	s_cbranch_execz .LBB72_303
; %bb.302:
	v_div_scale_f64 v[165:166], null, v[150:151], v[150:151], v[152:153]
	v_div_scale_f64 v[171:172], vcc_lo, v[152:153], v[150:151], v[152:153]
	v_rcp_f64_e32 v[167:168], v[165:166]
	v_fma_f64 v[169:170], -v[165:166], v[167:168], 1.0
	v_fma_f64 v[167:168], v[167:168], v[169:170], v[167:168]
	v_fma_f64 v[169:170], -v[165:166], v[167:168], 1.0
	v_fma_f64 v[167:168], v[167:168], v[169:170], v[167:168]
	v_mul_f64 v[169:170], v[171:172], v[167:168]
	v_fma_f64 v[165:166], -v[165:166], v[169:170], v[171:172]
	v_div_fmas_f64 v[165:166], v[165:166], v[167:168], v[169:170]
	v_div_fixup_f64 v[165:166], v[165:166], v[150:151], v[152:153]
	v_fma_f64 v[150:151], v[152:153], v[165:166], v[150:151]
	v_div_scale_f64 v[152:153], null, v[150:151], v[150:151], 1.0
	v_rcp_f64_e32 v[167:168], v[152:153]
	v_fma_f64 v[169:170], -v[152:153], v[167:168], 1.0
	v_fma_f64 v[167:168], v[167:168], v[169:170], v[167:168]
	v_fma_f64 v[169:170], -v[152:153], v[167:168], 1.0
	v_fma_f64 v[167:168], v[167:168], v[169:170], v[167:168]
	v_div_scale_f64 v[169:170], vcc_lo, 1.0, v[150:151], 1.0
	v_mul_f64 v[171:172], v[169:170], v[167:168]
	v_fma_f64 v[152:153], -v[152:153], v[171:172], v[169:170]
	v_div_fmas_f64 v[152:153], v[152:153], v[167:168], v[171:172]
	v_div_fixup_f64 v[150:151], v[152:153], v[150:151], 1.0
	v_mul_f64 v[152:153], v[165:166], -v[150:151]
.LBB72_303:
	s_or_b32 exec_lo, exec_lo, s3
.LBB72_304:
	s_or_b32 exec_lo, exec_lo, s0
	s_mov_b32 s0, exec_lo
	v_cmpx_ne_u32_e64 v164, v158
	s_xor_b32 s0, exec_lo, s0
	s_cbranch_execz .LBB72_310
; %bb.305:
	s_mov_b32 s3, exec_lo
	v_cmpx_eq_u32_e32 14, v164
	s_cbranch_execz .LBB72_309
; %bb.306:
	v_cmp_ne_u32_e32 vcc_lo, 14, v158
	s_xor_b32 s8, s16, -1
	s_and_b32 s9, s8, vcc_lo
	s_and_saveexec_b32 s8, s9
	s_cbranch_execz .LBB72_308
; %bb.307:
	v_ashrrev_i32_e32 v159, 31, v158
	v_lshlrev_b64 v[164:165], 2, v[158:159]
	v_add_co_u32 v164, vcc_lo, v156, v164
	v_add_co_ci_u32_e64 v165, null, v157, v165, vcc_lo
	s_clause 0x1
	global_load_dword v0, v[164:165], off
	global_load_dword v159, v[156:157], off offset:56
	s_waitcnt vmcnt(1)
	global_store_dword v[156:157], v0, off offset:56
	s_waitcnt vmcnt(0)
	global_store_dword v[164:165], v159, off
.LBB72_308:
	s_or_b32 exec_lo, exec_lo, s8
	v_mov_b32_e32 v164, v158
	v_mov_b32_e32 v0, v158
.LBB72_309:
	s_or_b32 exec_lo, exec_lo, s3
.LBB72_310:
	s_andn2_saveexec_b32 s0, s0
	s_cbranch_execz .LBB72_312
; %bb.311:
	v_mov_b32_e32 v164, 14
	ds_write2_b64 v1, v[82:83], v[84:85] offset0:30 offset1:31
	ds_write2_b64 v1, v[86:87], v[88:89] offset0:32 offset1:33
	;; [unrolled: 1-line block ×22, first 2 shown]
.LBB72_312:
	s_or_b32 exec_lo, exec_lo, s0
	s_mov_b32 s0, exec_lo
	s_waitcnt lgkmcnt(0)
	s_waitcnt_vscnt null, 0x0
	s_barrier
	buffer_gl0_inv
	v_cmpx_lt_i32_e32 14, v164
	s_cbranch_execz .LBB72_314
; %bb.313:
	v_mul_f64 v[158:159], v[152:153], v[100:101]
	v_mul_f64 v[100:101], v[150:151], v[100:101]
	v_fma_f64 v[158:159], v[150:151], v[98:99], -v[158:159]
	v_fma_f64 v[100:101], v[152:153], v[98:99], v[100:101]
	ds_read2_b64 v[150:153], v1 offset0:30 offset1:31
	s_waitcnt lgkmcnt(0)
	v_mul_f64 v[98:99], v[152:153], v[100:101]
	v_fma_f64 v[98:99], v[150:151], v[158:159], -v[98:99]
	v_mul_f64 v[150:151], v[150:151], v[100:101]
	v_add_f64 v[82:83], v[82:83], -v[98:99]
	v_fma_f64 v[150:151], v[152:153], v[158:159], v[150:151]
	v_add_f64 v[84:85], v[84:85], -v[150:151]
	ds_read2_b64 v[150:153], v1 offset0:32 offset1:33
	s_waitcnt lgkmcnt(0)
	v_mul_f64 v[98:99], v[152:153], v[100:101]
	v_fma_f64 v[98:99], v[150:151], v[158:159], -v[98:99]
	v_mul_f64 v[150:151], v[150:151], v[100:101]
	v_add_f64 v[86:87], v[86:87], -v[98:99]
	v_fma_f64 v[150:151], v[152:153], v[158:159], v[150:151]
	v_add_f64 v[88:89], v[88:89], -v[150:151]
	;; [unrolled: 8-line block ×21, first 2 shown]
	ds_read2_b64 v[150:153], v1 offset0:72 offset1:73
	s_waitcnt lgkmcnt(0)
	v_mul_f64 v[98:99], v[152:153], v[100:101]
	v_fma_f64 v[98:99], v[150:151], v[158:159], -v[98:99]
	v_mul_f64 v[150:151], v[150:151], v[100:101]
	v_add_f64 v[2:3], v[2:3], -v[98:99]
	v_fma_f64 v[150:151], v[152:153], v[158:159], v[150:151]
	v_mov_b32_e32 v98, v158
	v_mov_b32_e32 v99, v159
	v_add_f64 v[4:5], v[4:5], -v[150:151]
.LBB72_314:
	s_or_b32 exec_lo, exec_lo, s0
	v_lshl_add_u32 v150, v164, 4, v1
	s_barrier
	buffer_gl0_inv
	v_mov_b32_e32 v158, 15
	ds_write2_b64 v150, v[82:83], v[84:85] offset1:1
	s_waitcnt lgkmcnt(0)
	s_barrier
	buffer_gl0_inv
	ds_read2_b64 v[150:153], v1 offset0:30 offset1:31
	s_cmp_lt_i32 s1, 17
	s_cbranch_scc1 .LBB72_317
; %bb.315:
	v_add3_u32 v159, v160, 0, 0x100
	v_mov_b32_e32 v158, 15
	s_mov_b32 s3, 16
	s_inst_prefetch 0x1
	.p2align	6
.LBB72_316:                             ; =>This Inner Loop Header: Depth=1
	s_waitcnt lgkmcnt(0)
	v_cmp_gt_f64_e32 vcc_lo, 0, v[152:153]
	v_cmp_gt_f64_e64 s0, 0, v[150:151]
	ds_read2_b64 v[165:168], v159 offset1:1
	v_xor_b32_e32 v170, 0x80000000, v151
	v_xor_b32_e32 v172, 0x80000000, v153
	v_mov_b32_e32 v169, v150
	v_mov_b32_e32 v171, v152
	v_add_nc_u32_e32 v159, 16, v159
	s_waitcnt lgkmcnt(0)
	v_xor_b32_e32 v174, 0x80000000, v168
	v_cndmask_b32_e64 v170, v151, v170, s0
	v_cndmask_b32_e32 v172, v153, v172, vcc_lo
	v_cmp_gt_f64_e32 vcc_lo, 0, v[167:168]
	v_cmp_gt_f64_e64 s0, 0, v[165:166]
	v_mov_b32_e32 v173, v167
	v_add_f64 v[169:170], v[169:170], v[171:172]
	v_xor_b32_e32 v172, 0x80000000, v166
	v_mov_b32_e32 v171, v165
	v_cndmask_b32_e32 v174, v168, v174, vcc_lo
	v_cndmask_b32_e64 v172, v166, v172, s0
	v_add_f64 v[171:172], v[171:172], v[173:174]
	v_cmp_lt_f64_e32 vcc_lo, v[169:170], v[171:172]
	v_cndmask_b32_e32 v151, v151, v166, vcc_lo
	v_cndmask_b32_e32 v150, v150, v165, vcc_lo
	;; [unrolled: 1-line block ×4, first 2 shown]
	v_cndmask_b32_e64 v158, v158, s3, vcc_lo
	s_add_i32 s3, s3, 1
	s_cmp_lg_u32 s1, s3
	s_cbranch_scc1 .LBB72_316
.LBB72_317:
	s_inst_prefetch 0x2
	s_waitcnt lgkmcnt(0)
	v_cmp_eq_f64_e32 vcc_lo, 0, v[150:151]
	v_cmp_eq_f64_e64 s0, 0, v[152:153]
	s_and_b32 s0, vcc_lo, s0
	s_and_saveexec_b32 s3, s0
	s_xor_b32 s0, exec_lo, s3
; %bb.318:
	v_cmp_ne_u32_e32 vcc_lo, 0, v163
	v_cndmask_b32_e32 v163, 16, v163, vcc_lo
; %bb.319:
	s_andn2_saveexec_b32 s0, s0
	s_cbranch_execz .LBB72_325
; %bb.320:
	v_cmp_ngt_f64_e64 s3, |v[150:151]|, |v[152:153]|
	s_and_saveexec_b32 s8, s3
	s_xor_b32 s3, exec_lo, s8
	s_cbranch_execz .LBB72_322
; %bb.321:
	v_div_scale_f64 v[165:166], null, v[152:153], v[152:153], v[150:151]
	v_div_scale_f64 v[171:172], vcc_lo, v[150:151], v[152:153], v[150:151]
	v_rcp_f64_e32 v[167:168], v[165:166]
	v_fma_f64 v[169:170], -v[165:166], v[167:168], 1.0
	v_fma_f64 v[167:168], v[167:168], v[169:170], v[167:168]
	v_fma_f64 v[169:170], -v[165:166], v[167:168], 1.0
	v_fma_f64 v[167:168], v[167:168], v[169:170], v[167:168]
	v_mul_f64 v[169:170], v[171:172], v[167:168]
	v_fma_f64 v[165:166], -v[165:166], v[169:170], v[171:172]
	v_div_fmas_f64 v[165:166], v[165:166], v[167:168], v[169:170]
	v_div_fixup_f64 v[165:166], v[165:166], v[152:153], v[150:151]
	v_fma_f64 v[150:151], v[150:151], v[165:166], v[152:153]
	v_div_scale_f64 v[152:153], null, v[150:151], v[150:151], 1.0
	v_rcp_f64_e32 v[167:168], v[152:153]
	v_fma_f64 v[169:170], -v[152:153], v[167:168], 1.0
	v_fma_f64 v[167:168], v[167:168], v[169:170], v[167:168]
	v_fma_f64 v[169:170], -v[152:153], v[167:168], 1.0
	v_fma_f64 v[167:168], v[167:168], v[169:170], v[167:168]
	v_div_scale_f64 v[169:170], vcc_lo, 1.0, v[150:151], 1.0
	v_mul_f64 v[171:172], v[169:170], v[167:168]
	v_fma_f64 v[152:153], -v[152:153], v[171:172], v[169:170]
	v_div_fmas_f64 v[152:153], v[152:153], v[167:168], v[171:172]
	v_div_fixup_f64 v[152:153], v[152:153], v[150:151], 1.0
	v_mul_f64 v[150:151], v[165:166], v[152:153]
	v_xor_b32_e32 v153, 0x80000000, v153
.LBB72_322:
	s_andn2_saveexec_b32 s3, s3
	s_cbranch_execz .LBB72_324
; %bb.323:
	v_div_scale_f64 v[165:166], null, v[150:151], v[150:151], v[152:153]
	v_div_scale_f64 v[171:172], vcc_lo, v[152:153], v[150:151], v[152:153]
	v_rcp_f64_e32 v[167:168], v[165:166]
	v_fma_f64 v[169:170], -v[165:166], v[167:168], 1.0
	v_fma_f64 v[167:168], v[167:168], v[169:170], v[167:168]
	v_fma_f64 v[169:170], -v[165:166], v[167:168], 1.0
	v_fma_f64 v[167:168], v[167:168], v[169:170], v[167:168]
	v_mul_f64 v[169:170], v[171:172], v[167:168]
	v_fma_f64 v[165:166], -v[165:166], v[169:170], v[171:172]
	v_div_fmas_f64 v[165:166], v[165:166], v[167:168], v[169:170]
	v_div_fixup_f64 v[165:166], v[165:166], v[150:151], v[152:153]
	v_fma_f64 v[150:151], v[152:153], v[165:166], v[150:151]
	v_div_scale_f64 v[152:153], null, v[150:151], v[150:151], 1.0
	v_rcp_f64_e32 v[167:168], v[152:153]
	v_fma_f64 v[169:170], -v[152:153], v[167:168], 1.0
	v_fma_f64 v[167:168], v[167:168], v[169:170], v[167:168]
	v_fma_f64 v[169:170], -v[152:153], v[167:168], 1.0
	v_fma_f64 v[167:168], v[167:168], v[169:170], v[167:168]
	v_div_scale_f64 v[169:170], vcc_lo, 1.0, v[150:151], 1.0
	v_mul_f64 v[171:172], v[169:170], v[167:168]
	v_fma_f64 v[152:153], -v[152:153], v[171:172], v[169:170]
	v_div_fmas_f64 v[152:153], v[152:153], v[167:168], v[171:172]
	v_div_fixup_f64 v[150:151], v[152:153], v[150:151], 1.0
	v_mul_f64 v[152:153], v[165:166], -v[150:151]
.LBB72_324:
	s_or_b32 exec_lo, exec_lo, s3
.LBB72_325:
	s_or_b32 exec_lo, exec_lo, s0
	s_mov_b32 s0, exec_lo
	v_cmpx_ne_u32_e64 v164, v158
	s_xor_b32 s0, exec_lo, s0
	s_cbranch_execz .LBB72_331
; %bb.326:
	s_mov_b32 s3, exec_lo
	v_cmpx_eq_u32_e32 15, v164
	s_cbranch_execz .LBB72_330
; %bb.327:
	v_cmp_ne_u32_e32 vcc_lo, 15, v158
	s_xor_b32 s8, s16, -1
	s_and_b32 s9, s8, vcc_lo
	s_and_saveexec_b32 s8, s9
	s_cbranch_execz .LBB72_329
; %bb.328:
	v_ashrrev_i32_e32 v159, 31, v158
	v_lshlrev_b64 v[164:165], 2, v[158:159]
	v_add_co_u32 v164, vcc_lo, v156, v164
	v_add_co_ci_u32_e64 v165, null, v157, v165, vcc_lo
	s_clause 0x1
	global_load_dword v0, v[164:165], off
	global_load_dword v159, v[156:157], off offset:60
	s_waitcnt vmcnt(1)
	global_store_dword v[156:157], v0, off offset:60
	s_waitcnt vmcnt(0)
	global_store_dword v[164:165], v159, off
.LBB72_329:
	s_or_b32 exec_lo, exec_lo, s8
	v_mov_b32_e32 v164, v158
	v_mov_b32_e32 v0, v158
.LBB72_330:
	s_or_b32 exec_lo, exec_lo, s3
.LBB72_331:
	s_andn2_saveexec_b32 s0, s0
	s_cbranch_execz .LBB72_333
; %bb.332:
	v_mov_b32_e32 v164, 15
	ds_write2_b64 v1, v[86:87], v[88:89] offset0:32 offset1:33
	ds_write2_b64 v1, v[70:71], v[72:73] offset0:34 offset1:35
	;; [unrolled: 1-line block ×21, first 2 shown]
.LBB72_333:
	s_or_b32 exec_lo, exec_lo, s0
	s_mov_b32 s0, exec_lo
	s_waitcnt lgkmcnt(0)
	s_waitcnt_vscnt null, 0x0
	s_barrier
	buffer_gl0_inv
	v_cmpx_lt_i32_e32 15, v164
	s_cbranch_execz .LBB72_335
; %bb.334:
	v_mul_f64 v[158:159], v[152:153], v[84:85]
	v_mul_f64 v[84:85], v[150:151], v[84:85]
	v_fma_f64 v[158:159], v[150:151], v[82:83], -v[158:159]
	v_fma_f64 v[84:85], v[152:153], v[82:83], v[84:85]
	ds_read2_b64 v[150:153], v1 offset0:32 offset1:33
	s_waitcnt lgkmcnt(0)
	v_mul_f64 v[82:83], v[152:153], v[84:85]
	v_fma_f64 v[82:83], v[150:151], v[158:159], -v[82:83]
	v_mul_f64 v[150:151], v[150:151], v[84:85]
	v_add_f64 v[86:87], v[86:87], -v[82:83]
	v_fma_f64 v[150:151], v[152:153], v[158:159], v[150:151]
	v_add_f64 v[88:89], v[88:89], -v[150:151]
	ds_read2_b64 v[150:153], v1 offset0:34 offset1:35
	s_waitcnt lgkmcnt(0)
	v_mul_f64 v[82:83], v[152:153], v[84:85]
	v_fma_f64 v[82:83], v[150:151], v[158:159], -v[82:83]
	v_mul_f64 v[150:151], v[150:151], v[84:85]
	v_add_f64 v[70:71], v[70:71], -v[82:83]
	v_fma_f64 v[150:151], v[152:153], v[158:159], v[150:151]
	v_add_f64 v[72:73], v[72:73], -v[150:151]
	ds_read2_b64 v[150:153], v1 offset0:36 offset1:37
	s_waitcnt lgkmcnt(0)
	v_mul_f64 v[82:83], v[152:153], v[84:85]
	v_fma_f64 v[82:83], v[150:151], v[158:159], -v[82:83]
	v_mul_f64 v[150:151], v[150:151], v[84:85]
	v_add_f64 v[78:79], v[78:79], -v[82:83]
	v_fma_f64 v[150:151], v[152:153], v[158:159], v[150:151]
	v_add_f64 v[80:81], v[80:81], -v[150:151]
	ds_read2_b64 v[150:153], v1 offset0:38 offset1:39
	s_waitcnt lgkmcnt(0)
	v_mul_f64 v[82:83], v[152:153], v[84:85]
	v_fma_f64 v[82:83], v[150:151], v[158:159], -v[82:83]
	v_mul_f64 v[150:151], v[150:151], v[84:85]
	v_add_f64 v[74:75], v[74:75], -v[82:83]
	v_fma_f64 v[150:151], v[152:153], v[158:159], v[150:151]
	v_add_f64 v[76:77], v[76:77], -v[150:151]
	ds_read2_b64 v[150:153], v1 offset0:40 offset1:41
	s_waitcnt lgkmcnt(0)
	v_mul_f64 v[82:83], v[152:153], v[84:85]
	v_fma_f64 v[82:83], v[150:151], v[158:159], -v[82:83]
	v_mul_f64 v[150:151], v[150:151], v[84:85]
	v_add_f64 v[66:67], v[66:67], -v[82:83]
	v_fma_f64 v[150:151], v[152:153], v[158:159], v[150:151]
	v_add_f64 v[68:69], v[68:69], -v[150:151]
	ds_read2_b64 v[150:153], v1 offset0:42 offset1:43
	s_waitcnt lgkmcnt(0)
	v_mul_f64 v[82:83], v[152:153], v[84:85]
	v_fma_f64 v[82:83], v[150:151], v[158:159], -v[82:83]
	v_mul_f64 v[150:151], v[150:151], v[84:85]
	v_add_f64 v[62:63], v[62:63], -v[82:83]
	v_fma_f64 v[150:151], v[152:153], v[158:159], v[150:151]
	v_add_f64 v[64:65], v[64:65], -v[150:151]
	ds_read2_b64 v[150:153], v1 offset0:44 offset1:45
	s_waitcnt lgkmcnt(0)
	v_mul_f64 v[82:83], v[152:153], v[84:85]
	v_fma_f64 v[82:83], v[150:151], v[158:159], -v[82:83]
	v_mul_f64 v[150:151], v[150:151], v[84:85]
	v_add_f64 v[54:55], v[54:55], -v[82:83]
	v_fma_f64 v[150:151], v[152:153], v[158:159], v[150:151]
	v_add_f64 v[56:57], v[56:57], -v[150:151]
	ds_read2_b64 v[150:153], v1 offset0:46 offset1:47
	s_waitcnt lgkmcnt(0)
	v_mul_f64 v[82:83], v[152:153], v[84:85]
	v_fma_f64 v[82:83], v[150:151], v[158:159], -v[82:83]
	v_mul_f64 v[150:151], v[150:151], v[84:85]
	v_add_f64 v[50:51], v[50:51], -v[82:83]
	v_fma_f64 v[150:151], v[152:153], v[158:159], v[150:151]
	v_add_f64 v[52:53], v[52:53], -v[150:151]
	ds_read2_b64 v[150:153], v1 offset0:48 offset1:49
	s_waitcnt lgkmcnt(0)
	v_mul_f64 v[82:83], v[152:153], v[84:85]
	v_fma_f64 v[82:83], v[150:151], v[158:159], -v[82:83]
	v_mul_f64 v[150:151], v[150:151], v[84:85]
	v_add_f64 v[58:59], v[58:59], -v[82:83]
	v_fma_f64 v[150:151], v[152:153], v[158:159], v[150:151]
	v_add_f64 v[60:61], v[60:61], -v[150:151]
	ds_read2_b64 v[150:153], v1 offset0:50 offset1:51
	s_waitcnt lgkmcnt(0)
	v_mul_f64 v[82:83], v[152:153], v[84:85]
	v_fma_f64 v[82:83], v[150:151], v[158:159], -v[82:83]
	v_mul_f64 v[150:151], v[150:151], v[84:85]
	v_add_f64 v[42:43], v[42:43], -v[82:83]
	v_fma_f64 v[150:151], v[152:153], v[158:159], v[150:151]
	v_add_f64 v[44:45], v[44:45], -v[150:151]
	ds_read2_b64 v[150:153], v1 offset0:52 offset1:53
	s_waitcnt lgkmcnt(0)
	v_mul_f64 v[82:83], v[152:153], v[84:85]
	v_fma_f64 v[82:83], v[150:151], v[158:159], -v[82:83]
	v_mul_f64 v[150:151], v[150:151], v[84:85]
	v_add_f64 v[46:47], v[46:47], -v[82:83]
	v_fma_f64 v[150:151], v[152:153], v[158:159], v[150:151]
	v_add_f64 v[48:49], v[48:49], -v[150:151]
	ds_read2_b64 v[150:153], v1 offset0:54 offset1:55
	s_waitcnt lgkmcnt(0)
	v_mul_f64 v[82:83], v[152:153], v[84:85]
	v_fma_f64 v[82:83], v[150:151], v[158:159], -v[82:83]
	v_mul_f64 v[150:151], v[150:151], v[84:85]
	v_add_f64 v[30:31], v[30:31], -v[82:83]
	v_fma_f64 v[150:151], v[152:153], v[158:159], v[150:151]
	v_add_f64 v[32:33], v[32:33], -v[150:151]
	ds_read2_b64 v[150:153], v1 offset0:56 offset1:57
	s_waitcnt lgkmcnt(0)
	v_mul_f64 v[82:83], v[152:153], v[84:85]
	v_fma_f64 v[82:83], v[150:151], v[158:159], -v[82:83]
	v_mul_f64 v[150:151], v[150:151], v[84:85]
	v_add_f64 v[38:39], v[38:39], -v[82:83]
	v_fma_f64 v[150:151], v[152:153], v[158:159], v[150:151]
	v_add_f64 v[40:41], v[40:41], -v[150:151]
	ds_read2_b64 v[150:153], v1 offset0:58 offset1:59
	s_waitcnt lgkmcnt(0)
	v_mul_f64 v[82:83], v[152:153], v[84:85]
	v_fma_f64 v[82:83], v[150:151], v[158:159], -v[82:83]
	v_mul_f64 v[150:151], v[150:151], v[84:85]
	v_add_f64 v[34:35], v[34:35], -v[82:83]
	v_fma_f64 v[150:151], v[152:153], v[158:159], v[150:151]
	v_add_f64 v[36:37], v[36:37], -v[150:151]
	ds_read2_b64 v[150:153], v1 offset0:60 offset1:61
	s_waitcnt lgkmcnt(0)
	v_mul_f64 v[82:83], v[152:153], v[84:85]
	v_fma_f64 v[82:83], v[150:151], v[158:159], -v[82:83]
	v_mul_f64 v[150:151], v[150:151], v[84:85]
	v_add_f64 v[26:27], v[26:27], -v[82:83]
	v_fma_f64 v[150:151], v[152:153], v[158:159], v[150:151]
	v_add_f64 v[28:29], v[28:29], -v[150:151]
	ds_read2_b64 v[150:153], v1 offset0:62 offset1:63
	s_waitcnt lgkmcnt(0)
	v_mul_f64 v[82:83], v[152:153], v[84:85]
	v_fma_f64 v[82:83], v[150:151], v[158:159], -v[82:83]
	v_mul_f64 v[150:151], v[150:151], v[84:85]
	v_add_f64 v[22:23], v[22:23], -v[82:83]
	v_fma_f64 v[150:151], v[152:153], v[158:159], v[150:151]
	v_add_f64 v[24:25], v[24:25], -v[150:151]
	ds_read2_b64 v[150:153], v1 offset0:64 offset1:65
	s_waitcnt lgkmcnt(0)
	v_mul_f64 v[82:83], v[152:153], v[84:85]
	v_fma_f64 v[82:83], v[150:151], v[158:159], -v[82:83]
	v_mul_f64 v[150:151], v[150:151], v[84:85]
	v_add_f64 v[6:7], v[6:7], -v[82:83]
	v_fma_f64 v[150:151], v[152:153], v[158:159], v[150:151]
	v_add_f64 v[8:9], v[8:9], -v[150:151]
	ds_read2_b64 v[150:153], v1 offset0:66 offset1:67
	s_waitcnt lgkmcnt(0)
	v_mul_f64 v[82:83], v[152:153], v[84:85]
	v_fma_f64 v[82:83], v[150:151], v[158:159], -v[82:83]
	v_mul_f64 v[150:151], v[150:151], v[84:85]
	v_add_f64 v[18:19], v[18:19], -v[82:83]
	v_fma_f64 v[150:151], v[152:153], v[158:159], v[150:151]
	v_add_f64 v[20:21], v[20:21], -v[150:151]
	ds_read2_b64 v[150:153], v1 offset0:68 offset1:69
	s_waitcnt lgkmcnt(0)
	v_mul_f64 v[82:83], v[152:153], v[84:85]
	v_fma_f64 v[82:83], v[150:151], v[158:159], -v[82:83]
	v_mul_f64 v[150:151], v[150:151], v[84:85]
	v_add_f64 v[14:15], v[14:15], -v[82:83]
	v_fma_f64 v[150:151], v[152:153], v[158:159], v[150:151]
	v_add_f64 v[16:17], v[16:17], -v[150:151]
	ds_read2_b64 v[150:153], v1 offset0:70 offset1:71
	s_waitcnt lgkmcnt(0)
	v_mul_f64 v[82:83], v[152:153], v[84:85]
	v_fma_f64 v[82:83], v[150:151], v[158:159], -v[82:83]
	v_mul_f64 v[150:151], v[150:151], v[84:85]
	v_add_f64 v[10:11], v[10:11], -v[82:83]
	v_fma_f64 v[150:151], v[152:153], v[158:159], v[150:151]
	v_add_f64 v[12:13], v[12:13], -v[150:151]
	ds_read2_b64 v[150:153], v1 offset0:72 offset1:73
	s_waitcnt lgkmcnt(0)
	v_mul_f64 v[82:83], v[152:153], v[84:85]
	v_fma_f64 v[82:83], v[150:151], v[158:159], -v[82:83]
	v_mul_f64 v[150:151], v[150:151], v[84:85]
	v_add_f64 v[2:3], v[2:3], -v[82:83]
	v_fma_f64 v[150:151], v[152:153], v[158:159], v[150:151]
	v_mov_b32_e32 v82, v158
	v_mov_b32_e32 v83, v159
	v_add_f64 v[4:5], v[4:5], -v[150:151]
.LBB72_335:
	s_or_b32 exec_lo, exec_lo, s0
	v_lshl_add_u32 v150, v164, 4, v1
	s_barrier
	buffer_gl0_inv
	v_mov_b32_e32 v158, 16
	ds_write2_b64 v150, v[86:87], v[88:89] offset1:1
	s_waitcnt lgkmcnt(0)
	s_barrier
	buffer_gl0_inv
	ds_read2_b64 v[150:153], v1 offset0:32 offset1:33
	s_cmp_lt_i32 s1, 18
	s_cbranch_scc1 .LBB72_338
; %bb.336:
	v_add3_u32 v159, v160, 0, 0x110
	v_mov_b32_e32 v158, 16
	s_mov_b32 s3, 17
	s_inst_prefetch 0x1
	.p2align	6
.LBB72_337:                             ; =>This Inner Loop Header: Depth=1
	s_waitcnt lgkmcnt(0)
	v_cmp_gt_f64_e32 vcc_lo, 0, v[152:153]
	v_cmp_gt_f64_e64 s0, 0, v[150:151]
	ds_read2_b64 v[165:168], v159 offset1:1
	v_xor_b32_e32 v170, 0x80000000, v151
	v_xor_b32_e32 v172, 0x80000000, v153
	v_mov_b32_e32 v169, v150
	v_mov_b32_e32 v171, v152
	v_add_nc_u32_e32 v159, 16, v159
	s_waitcnt lgkmcnt(0)
	v_xor_b32_e32 v174, 0x80000000, v168
	v_cndmask_b32_e64 v170, v151, v170, s0
	v_cndmask_b32_e32 v172, v153, v172, vcc_lo
	v_cmp_gt_f64_e32 vcc_lo, 0, v[167:168]
	v_cmp_gt_f64_e64 s0, 0, v[165:166]
	v_mov_b32_e32 v173, v167
	v_add_f64 v[169:170], v[169:170], v[171:172]
	v_xor_b32_e32 v172, 0x80000000, v166
	v_mov_b32_e32 v171, v165
	v_cndmask_b32_e32 v174, v168, v174, vcc_lo
	v_cndmask_b32_e64 v172, v166, v172, s0
	v_add_f64 v[171:172], v[171:172], v[173:174]
	v_cmp_lt_f64_e32 vcc_lo, v[169:170], v[171:172]
	v_cndmask_b32_e32 v151, v151, v166, vcc_lo
	v_cndmask_b32_e32 v150, v150, v165, vcc_lo
	;; [unrolled: 1-line block ×4, first 2 shown]
	v_cndmask_b32_e64 v158, v158, s3, vcc_lo
	s_add_i32 s3, s3, 1
	s_cmp_lg_u32 s1, s3
	s_cbranch_scc1 .LBB72_337
.LBB72_338:
	s_inst_prefetch 0x2
	s_waitcnt lgkmcnt(0)
	v_cmp_eq_f64_e32 vcc_lo, 0, v[150:151]
	v_cmp_eq_f64_e64 s0, 0, v[152:153]
	s_and_b32 s0, vcc_lo, s0
	s_and_saveexec_b32 s3, s0
	s_xor_b32 s0, exec_lo, s3
; %bb.339:
	v_cmp_ne_u32_e32 vcc_lo, 0, v163
	v_cndmask_b32_e32 v163, 17, v163, vcc_lo
; %bb.340:
	s_andn2_saveexec_b32 s0, s0
	s_cbranch_execz .LBB72_346
; %bb.341:
	v_cmp_ngt_f64_e64 s3, |v[150:151]|, |v[152:153]|
	s_and_saveexec_b32 s8, s3
	s_xor_b32 s3, exec_lo, s8
	s_cbranch_execz .LBB72_343
; %bb.342:
	v_div_scale_f64 v[165:166], null, v[152:153], v[152:153], v[150:151]
	v_div_scale_f64 v[171:172], vcc_lo, v[150:151], v[152:153], v[150:151]
	v_rcp_f64_e32 v[167:168], v[165:166]
	v_fma_f64 v[169:170], -v[165:166], v[167:168], 1.0
	v_fma_f64 v[167:168], v[167:168], v[169:170], v[167:168]
	v_fma_f64 v[169:170], -v[165:166], v[167:168], 1.0
	v_fma_f64 v[167:168], v[167:168], v[169:170], v[167:168]
	v_mul_f64 v[169:170], v[171:172], v[167:168]
	v_fma_f64 v[165:166], -v[165:166], v[169:170], v[171:172]
	v_div_fmas_f64 v[165:166], v[165:166], v[167:168], v[169:170]
	v_div_fixup_f64 v[165:166], v[165:166], v[152:153], v[150:151]
	v_fma_f64 v[150:151], v[150:151], v[165:166], v[152:153]
	v_div_scale_f64 v[152:153], null, v[150:151], v[150:151], 1.0
	v_rcp_f64_e32 v[167:168], v[152:153]
	v_fma_f64 v[169:170], -v[152:153], v[167:168], 1.0
	v_fma_f64 v[167:168], v[167:168], v[169:170], v[167:168]
	v_fma_f64 v[169:170], -v[152:153], v[167:168], 1.0
	v_fma_f64 v[167:168], v[167:168], v[169:170], v[167:168]
	v_div_scale_f64 v[169:170], vcc_lo, 1.0, v[150:151], 1.0
	v_mul_f64 v[171:172], v[169:170], v[167:168]
	v_fma_f64 v[152:153], -v[152:153], v[171:172], v[169:170]
	v_div_fmas_f64 v[152:153], v[152:153], v[167:168], v[171:172]
	v_div_fixup_f64 v[152:153], v[152:153], v[150:151], 1.0
	v_mul_f64 v[150:151], v[165:166], v[152:153]
	v_xor_b32_e32 v153, 0x80000000, v153
.LBB72_343:
	s_andn2_saveexec_b32 s3, s3
	s_cbranch_execz .LBB72_345
; %bb.344:
	v_div_scale_f64 v[165:166], null, v[150:151], v[150:151], v[152:153]
	v_div_scale_f64 v[171:172], vcc_lo, v[152:153], v[150:151], v[152:153]
	v_rcp_f64_e32 v[167:168], v[165:166]
	v_fma_f64 v[169:170], -v[165:166], v[167:168], 1.0
	v_fma_f64 v[167:168], v[167:168], v[169:170], v[167:168]
	v_fma_f64 v[169:170], -v[165:166], v[167:168], 1.0
	v_fma_f64 v[167:168], v[167:168], v[169:170], v[167:168]
	v_mul_f64 v[169:170], v[171:172], v[167:168]
	v_fma_f64 v[165:166], -v[165:166], v[169:170], v[171:172]
	v_div_fmas_f64 v[165:166], v[165:166], v[167:168], v[169:170]
	v_div_fixup_f64 v[165:166], v[165:166], v[150:151], v[152:153]
	v_fma_f64 v[150:151], v[152:153], v[165:166], v[150:151]
	v_div_scale_f64 v[152:153], null, v[150:151], v[150:151], 1.0
	v_rcp_f64_e32 v[167:168], v[152:153]
	v_fma_f64 v[169:170], -v[152:153], v[167:168], 1.0
	v_fma_f64 v[167:168], v[167:168], v[169:170], v[167:168]
	v_fma_f64 v[169:170], -v[152:153], v[167:168], 1.0
	v_fma_f64 v[167:168], v[167:168], v[169:170], v[167:168]
	v_div_scale_f64 v[169:170], vcc_lo, 1.0, v[150:151], 1.0
	v_mul_f64 v[171:172], v[169:170], v[167:168]
	v_fma_f64 v[152:153], -v[152:153], v[171:172], v[169:170]
	v_div_fmas_f64 v[152:153], v[152:153], v[167:168], v[171:172]
	v_div_fixup_f64 v[150:151], v[152:153], v[150:151], 1.0
	v_mul_f64 v[152:153], v[165:166], -v[150:151]
.LBB72_345:
	s_or_b32 exec_lo, exec_lo, s3
.LBB72_346:
	s_or_b32 exec_lo, exec_lo, s0
	s_mov_b32 s0, exec_lo
	v_cmpx_ne_u32_e64 v164, v158
	s_xor_b32 s0, exec_lo, s0
	s_cbranch_execz .LBB72_352
; %bb.347:
	s_mov_b32 s3, exec_lo
	v_cmpx_eq_u32_e32 16, v164
	s_cbranch_execz .LBB72_351
; %bb.348:
	v_cmp_ne_u32_e32 vcc_lo, 16, v158
	s_xor_b32 s8, s16, -1
	s_and_b32 s9, s8, vcc_lo
	s_and_saveexec_b32 s8, s9
	s_cbranch_execz .LBB72_350
; %bb.349:
	v_ashrrev_i32_e32 v159, 31, v158
	v_lshlrev_b64 v[164:165], 2, v[158:159]
	v_add_co_u32 v164, vcc_lo, v156, v164
	v_add_co_ci_u32_e64 v165, null, v157, v165, vcc_lo
	s_clause 0x1
	global_load_dword v0, v[164:165], off
	global_load_dword v159, v[156:157], off offset:64
	s_waitcnt vmcnt(1)
	global_store_dword v[156:157], v0, off offset:64
	s_waitcnt vmcnt(0)
	global_store_dword v[164:165], v159, off
.LBB72_350:
	s_or_b32 exec_lo, exec_lo, s8
	v_mov_b32_e32 v164, v158
	v_mov_b32_e32 v0, v158
.LBB72_351:
	s_or_b32 exec_lo, exec_lo, s3
.LBB72_352:
	s_andn2_saveexec_b32 s0, s0
	s_cbranch_execz .LBB72_354
; %bb.353:
	v_mov_b32_e32 v164, 16
	ds_write2_b64 v1, v[70:71], v[72:73] offset0:34 offset1:35
	ds_write2_b64 v1, v[78:79], v[80:81] offset0:36 offset1:37
	;; [unrolled: 1-line block ×20, first 2 shown]
.LBB72_354:
	s_or_b32 exec_lo, exec_lo, s0
	s_mov_b32 s0, exec_lo
	s_waitcnt lgkmcnt(0)
	s_waitcnt_vscnt null, 0x0
	s_barrier
	buffer_gl0_inv
	v_cmpx_lt_i32_e32 16, v164
	s_cbranch_execz .LBB72_356
; %bb.355:
	v_mul_f64 v[158:159], v[152:153], v[88:89]
	v_mul_f64 v[88:89], v[150:151], v[88:89]
	v_fma_f64 v[158:159], v[150:151], v[86:87], -v[158:159]
	v_fma_f64 v[88:89], v[152:153], v[86:87], v[88:89]
	ds_read2_b64 v[150:153], v1 offset0:34 offset1:35
	s_waitcnt lgkmcnt(0)
	v_mul_f64 v[86:87], v[152:153], v[88:89]
	v_fma_f64 v[86:87], v[150:151], v[158:159], -v[86:87]
	v_mul_f64 v[150:151], v[150:151], v[88:89]
	v_add_f64 v[70:71], v[70:71], -v[86:87]
	v_fma_f64 v[150:151], v[152:153], v[158:159], v[150:151]
	v_add_f64 v[72:73], v[72:73], -v[150:151]
	ds_read2_b64 v[150:153], v1 offset0:36 offset1:37
	s_waitcnt lgkmcnt(0)
	v_mul_f64 v[86:87], v[152:153], v[88:89]
	v_fma_f64 v[86:87], v[150:151], v[158:159], -v[86:87]
	v_mul_f64 v[150:151], v[150:151], v[88:89]
	v_add_f64 v[78:79], v[78:79], -v[86:87]
	v_fma_f64 v[150:151], v[152:153], v[158:159], v[150:151]
	v_add_f64 v[80:81], v[80:81], -v[150:151]
	;; [unrolled: 8-line block ×19, first 2 shown]
	ds_read2_b64 v[150:153], v1 offset0:72 offset1:73
	s_waitcnt lgkmcnt(0)
	v_mul_f64 v[86:87], v[152:153], v[88:89]
	v_fma_f64 v[86:87], v[150:151], v[158:159], -v[86:87]
	v_mul_f64 v[150:151], v[150:151], v[88:89]
	v_add_f64 v[2:3], v[2:3], -v[86:87]
	v_fma_f64 v[150:151], v[152:153], v[158:159], v[150:151]
	v_mov_b32_e32 v86, v158
	v_mov_b32_e32 v87, v159
	v_add_f64 v[4:5], v[4:5], -v[150:151]
.LBB72_356:
	s_or_b32 exec_lo, exec_lo, s0
	v_lshl_add_u32 v150, v164, 4, v1
	s_barrier
	buffer_gl0_inv
	v_mov_b32_e32 v158, 17
	ds_write2_b64 v150, v[70:71], v[72:73] offset1:1
	s_waitcnt lgkmcnt(0)
	s_barrier
	buffer_gl0_inv
	ds_read2_b64 v[150:153], v1 offset0:34 offset1:35
	s_cmp_lt_i32 s1, 19
	s_cbranch_scc1 .LBB72_359
; %bb.357:
	v_add3_u32 v159, v160, 0, 0x120
	v_mov_b32_e32 v158, 17
	s_mov_b32 s3, 18
	s_inst_prefetch 0x1
	.p2align	6
.LBB72_358:                             ; =>This Inner Loop Header: Depth=1
	s_waitcnt lgkmcnt(0)
	v_cmp_gt_f64_e32 vcc_lo, 0, v[152:153]
	v_cmp_gt_f64_e64 s0, 0, v[150:151]
	ds_read2_b64 v[165:168], v159 offset1:1
	v_xor_b32_e32 v170, 0x80000000, v151
	v_xor_b32_e32 v172, 0x80000000, v153
	v_mov_b32_e32 v169, v150
	v_mov_b32_e32 v171, v152
	v_add_nc_u32_e32 v159, 16, v159
	s_waitcnt lgkmcnt(0)
	v_xor_b32_e32 v174, 0x80000000, v168
	v_cndmask_b32_e64 v170, v151, v170, s0
	v_cndmask_b32_e32 v172, v153, v172, vcc_lo
	v_cmp_gt_f64_e32 vcc_lo, 0, v[167:168]
	v_cmp_gt_f64_e64 s0, 0, v[165:166]
	v_mov_b32_e32 v173, v167
	v_add_f64 v[169:170], v[169:170], v[171:172]
	v_xor_b32_e32 v172, 0x80000000, v166
	v_mov_b32_e32 v171, v165
	v_cndmask_b32_e32 v174, v168, v174, vcc_lo
	v_cndmask_b32_e64 v172, v166, v172, s0
	v_add_f64 v[171:172], v[171:172], v[173:174]
	v_cmp_lt_f64_e32 vcc_lo, v[169:170], v[171:172]
	v_cndmask_b32_e32 v151, v151, v166, vcc_lo
	v_cndmask_b32_e32 v150, v150, v165, vcc_lo
	;; [unrolled: 1-line block ×4, first 2 shown]
	v_cndmask_b32_e64 v158, v158, s3, vcc_lo
	s_add_i32 s3, s3, 1
	s_cmp_lg_u32 s1, s3
	s_cbranch_scc1 .LBB72_358
.LBB72_359:
	s_inst_prefetch 0x2
	s_waitcnt lgkmcnt(0)
	v_cmp_eq_f64_e32 vcc_lo, 0, v[150:151]
	v_cmp_eq_f64_e64 s0, 0, v[152:153]
	s_and_b32 s0, vcc_lo, s0
	s_and_saveexec_b32 s3, s0
	s_xor_b32 s0, exec_lo, s3
; %bb.360:
	v_cmp_ne_u32_e32 vcc_lo, 0, v163
	v_cndmask_b32_e32 v163, 18, v163, vcc_lo
; %bb.361:
	s_andn2_saveexec_b32 s0, s0
	s_cbranch_execz .LBB72_367
; %bb.362:
	v_cmp_ngt_f64_e64 s3, |v[150:151]|, |v[152:153]|
	s_and_saveexec_b32 s8, s3
	s_xor_b32 s3, exec_lo, s8
	s_cbranch_execz .LBB72_364
; %bb.363:
	v_div_scale_f64 v[165:166], null, v[152:153], v[152:153], v[150:151]
	v_div_scale_f64 v[171:172], vcc_lo, v[150:151], v[152:153], v[150:151]
	v_rcp_f64_e32 v[167:168], v[165:166]
	v_fma_f64 v[169:170], -v[165:166], v[167:168], 1.0
	v_fma_f64 v[167:168], v[167:168], v[169:170], v[167:168]
	v_fma_f64 v[169:170], -v[165:166], v[167:168], 1.0
	v_fma_f64 v[167:168], v[167:168], v[169:170], v[167:168]
	v_mul_f64 v[169:170], v[171:172], v[167:168]
	v_fma_f64 v[165:166], -v[165:166], v[169:170], v[171:172]
	v_div_fmas_f64 v[165:166], v[165:166], v[167:168], v[169:170]
	v_div_fixup_f64 v[165:166], v[165:166], v[152:153], v[150:151]
	v_fma_f64 v[150:151], v[150:151], v[165:166], v[152:153]
	v_div_scale_f64 v[152:153], null, v[150:151], v[150:151], 1.0
	v_rcp_f64_e32 v[167:168], v[152:153]
	v_fma_f64 v[169:170], -v[152:153], v[167:168], 1.0
	v_fma_f64 v[167:168], v[167:168], v[169:170], v[167:168]
	v_fma_f64 v[169:170], -v[152:153], v[167:168], 1.0
	v_fma_f64 v[167:168], v[167:168], v[169:170], v[167:168]
	v_div_scale_f64 v[169:170], vcc_lo, 1.0, v[150:151], 1.0
	v_mul_f64 v[171:172], v[169:170], v[167:168]
	v_fma_f64 v[152:153], -v[152:153], v[171:172], v[169:170]
	v_div_fmas_f64 v[152:153], v[152:153], v[167:168], v[171:172]
	v_div_fixup_f64 v[152:153], v[152:153], v[150:151], 1.0
	v_mul_f64 v[150:151], v[165:166], v[152:153]
	v_xor_b32_e32 v153, 0x80000000, v153
.LBB72_364:
	s_andn2_saveexec_b32 s3, s3
	s_cbranch_execz .LBB72_366
; %bb.365:
	v_div_scale_f64 v[165:166], null, v[150:151], v[150:151], v[152:153]
	v_div_scale_f64 v[171:172], vcc_lo, v[152:153], v[150:151], v[152:153]
	v_rcp_f64_e32 v[167:168], v[165:166]
	v_fma_f64 v[169:170], -v[165:166], v[167:168], 1.0
	v_fma_f64 v[167:168], v[167:168], v[169:170], v[167:168]
	v_fma_f64 v[169:170], -v[165:166], v[167:168], 1.0
	v_fma_f64 v[167:168], v[167:168], v[169:170], v[167:168]
	v_mul_f64 v[169:170], v[171:172], v[167:168]
	v_fma_f64 v[165:166], -v[165:166], v[169:170], v[171:172]
	v_div_fmas_f64 v[165:166], v[165:166], v[167:168], v[169:170]
	v_div_fixup_f64 v[165:166], v[165:166], v[150:151], v[152:153]
	v_fma_f64 v[150:151], v[152:153], v[165:166], v[150:151]
	v_div_scale_f64 v[152:153], null, v[150:151], v[150:151], 1.0
	v_rcp_f64_e32 v[167:168], v[152:153]
	v_fma_f64 v[169:170], -v[152:153], v[167:168], 1.0
	v_fma_f64 v[167:168], v[167:168], v[169:170], v[167:168]
	v_fma_f64 v[169:170], -v[152:153], v[167:168], 1.0
	v_fma_f64 v[167:168], v[167:168], v[169:170], v[167:168]
	v_div_scale_f64 v[169:170], vcc_lo, 1.0, v[150:151], 1.0
	v_mul_f64 v[171:172], v[169:170], v[167:168]
	v_fma_f64 v[152:153], -v[152:153], v[171:172], v[169:170]
	v_div_fmas_f64 v[152:153], v[152:153], v[167:168], v[171:172]
	v_div_fixup_f64 v[150:151], v[152:153], v[150:151], 1.0
	v_mul_f64 v[152:153], v[165:166], -v[150:151]
.LBB72_366:
	s_or_b32 exec_lo, exec_lo, s3
.LBB72_367:
	s_or_b32 exec_lo, exec_lo, s0
	s_mov_b32 s0, exec_lo
	v_cmpx_ne_u32_e64 v164, v158
	s_xor_b32 s0, exec_lo, s0
	s_cbranch_execz .LBB72_373
; %bb.368:
	s_mov_b32 s3, exec_lo
	v_cmpx_eq_u32_e32 17, v164
	s_cbranch_execz .LBB72_372
; %bb.369:
	v_cmp_ne_u32_e32 vcc_lo, 17, v158
	s_xor_b32 s8, s16, -1
	s_and_b32 s9, s8, vcc_lo
	s_and_saveexec_b32 s8, s9
	s_cbranch_execz .LBB72_371
; %bb.370:
	v_ashrrev_i32_e32 v159, 31, v158
	v_lshlrev_b64 v[164:165], 2, v[158:159]
	v_add_co_u32 v164, vcc_lo, v156, v164
	v_add_co_ci_u32_e64 v165, null, v157, v165, vcc_lo
	s_clause 0x1
	global_load_dword v0, v[164:165], off
	global_load_dword v159, v[156:157], off offset:68
	s_waitcnt vmcnt(1)
	global_store_dword v[156:157], v0, off offset:68
	s_waitcnt vmcnt(0)
	global_store_dword v[164:165], v159, off
.LBB72_371:
	s_or_b32 exec_lo, exec_lo, s8
	v_mov_b32_e32 v164, v158
	v_mov_b32_e32 v0, v158
.LBB72_372:
	s_or_b32 exec_lo, exec_lo, s3
.LBB72_373:
	s_andn2_saveexec_b32 s0, s0
	s_cbranch_execz .LBB72_375
; %bb.374:
	v_mov_b32_e32 v164, 17
	ds_write2_b64 v1, v[78:79], v[80:81] offset0:36 offset1:37
	ds_write2_b64 v1, v[74:75], v[76:77] offset0:38 offset1:39
	;; [unrolled: 1-line block ×19, first 2 shown]
.LBB72_375:
	s_or_b32 exec_lo, exec_lo, s0
	s_mov_b32 s0, exec_lo
	s_waitcnt lgkmcnt(0)
	s_waitcnt_vscnt null, 0x0
	s_barrier
	buffer_gl0_inv
	v_cmpx_lt_i32_e32 17, v164
	s_cbranch_execz .LBB72_377
; %bb.376:
	v_mul_f64 v[158:159], v[152:153], v[72:73]
	v_mul_f64 v[72:73], v[150:151], v[72:73]
	v_fma_f64 v[158:159], v[150:151], v[70:71], -v[158:159]
	v_fma_f64 v[72:73], v[152:153], v[70:71], v[72:73]
	ds_read2_b64 v[150:153], v1 offset0:36 offset1:37
	s_waitcnt lgkmcnt(0)
	v_mul_f64 v[70:71], v[152:153], v[72:73]
	v_fma_f64 v[70:71], v[150:151], v[158:159], -v[70:71]
	v_mul_f64 v[150:151], v[150:151], v[72:73]
	v_add_f64 v[78:79], v[78:79], -v[70:71]
	v_fma_f64 v[150:151], v[152:153], v[158:159], v[150:151]
	v_add_f64 v[80:81], v[80:81], -v[150:151]
	ds_read2_b64 v[150:153], v1 offset0:38 offset1:39
	s_waitcnt lgkmcnt(0)
	v_mul_f64 v[70:71], v[152:153], v[72:73]
	v_fma_f64 v[70:71], v[150:151], v[158:159], -v[70:71]
	v_mul_f64 v[150:151], v[150:151], v[72:73]
	v_add_f64 v[74:75], v[74:75], -v[70:71]
	v_fma_f64 v[150:151], v[152:153], v[158:159], v[150:151]
	v_add_f64 v[76:77], v[76:77], -v[150:151]
	ds_read2_b64 v[150:153], v1 offset0:40 offset1:41
	s_waitcnt lgkmcnt(0)
	v_mul_f64 v[70:71], v[152:153], v[72:73]
	v_fma_f64 v[70:71], v[150:151], v[158:159], -v[70:71]
	v_mul_f64 v[150:151], v[150:151], v[72:73]
	v_add_f64 v[66:67], v[66:67], -v[70:71]
	v_fma_f64 v[150:151], v[152:153], v[158:159], v[150:151]
	v_add_f64 v[68:69], v[68:69], -v[150:151]
	ds_read2_b64 v[150:153], v1 offset0:42 offset1:43
	s_waitcnt lgkmcnt(0)
	v_mul_f64 v[70:71], v[152:153], v[72:73]
	v_fma_f64 v[70:71], v[150:151], v[158:159], -v[70:71]
	v_mul_f64 v[150:151], v[150:151], v[72:73]
	v_add_f64 v[62:63], v[62:63], -v[70:71]
	v_fma_f64 v[150:151], v[152:153], v[158:159], v[150:151]
	v_add_f64 v[64:65], v[64:65], -v[150:151]
	ds_read2_b64 v[150:153], v1 offset0:44 offset1:45
	s_waitcnt lgkmcnt(0)
	v_mul_f64 v[70:71], v[152:153], v[72:73]
	v_fma_f64 v[70:71], v[150:151], v[158:159], -v[70:71]
	v_mul_f64 v[150:151], v[150:151], v[72:73]
	v_add_f64 v[54:55], v[54:55], -v[70:71]
	v_fma_f64 v[150:151], v[152:153], v[158:159], v[150:151]
	v_add_f64 v[56:57], v[56:57], -v[150:151]
	ds_read2_b64 v[150:153], v1 offset0:46 offset1:47
	s_waitcnt lgkmcnt(0)
	v_mul_f64 v[70:71], v[152:153], v[72:73]
	v_fma_f64 v[70:71], v[150:151], v[158:159], -v[70:71]
	v_mul_f64 v[150:151], v[150:151], v[72:73]
	v_add_f64 v[50:51], v[50:51], -v[70:71]
	v_fma_f64 v[150:151], v[152:153], v[158:159], v[150:151]
	v_add_f64 v[52:53], v[52:53], -v[150:151]
	ds_read2_b64 v[150:153], v1 offset0:48 offset1:49
	s_waitcnt lgkmcnt(0)
	v_mul_f64 v[70:71], v[152:153], v[72:73]
	v_fma_f64 v[70:71], v[150:151], v[158:159], -v[70:71]
	v_mul_f64 v[150:151], v[150:151], v[72:73]
	v_add_f64 v[58:59], v[58:59], -v[70:71]
	v_fma_f64 v[150:151], v[152:153], v[158:159], v[150:151]
	v_add_f64 v[60:61], v[60:61], -v[150:151]
	ds_read2_b64 v[150:153], v1 offset0:50 offset1:51
	s_waitcnt lgkmcnt(0)
	v_mul_f64 v[70:71], v[152:153], v[72:73]
	v_fma_f64 v[70:71], v[150:151], v[158:159], -v[70:71]
	v_mul_f64 v[150:151], v[150:151], v[72:73]
	v_add_f64 v[42:43], v[42:43], -v[70:71]
	v_fma_f64 v[150:151], v[152:153], v[158:159], v[150:151]
	v_add_f64 v[44:45], v[44:45], -v[150:151]
	ds_read2_b64 v[150:153], v1 offset0:52 offset1:53
	s_waitcnt lgkmcnt(0)
	v_mul_f64 v[70:71], v[152:153], v[72:73]
	v_fma_f64 v[70:71], v[150:151], v[158:159], -v[70:71]
	v_mul_f64 v[150:151], v[150:151], v[72:73]
	v_add_f64 v[46:47], v[46:47], -v[70:71]
	v_fma_f64 v[150:151], v[152:153], v[158:159], v[150:151]
	v_add_f64 v[48:49], v[48:49], -v[150:151]
	ds_read2_b64 v[150:153], v1 offset0:54 offset1:55
	s_waitcnt lgkmcnt(0)
	v_mul_f64 v[70:71], v[152:153], v[72:73]
	v_fma_f64 v[70:71], v[150:151], v[158:159], -v[70:71]
	v_mul_f64 v[150:151], v[150:151], v[72:73]
	v_add_f64 v[30:31], v[30:31], -v[70:71]
	v_fma_f64 v[150:151], v[152:153], v[158:159], v[150:151]
	v_add_f64 v[32:33], v[32:33], -v[150:151]
	ds_read2_b64 v[150:153], v1 offset0:56 offset1:57
	s_waitcnt lgkmcnt(0)
	v_mul_f64 v[70:71], v[152:153], v[72:73]
	v_fma_f64 v[70:71], v[150:151], v[158:159], -v[70:71]
	v_mul_f64 v[150:151], v[150:151], v[72:73]
	v_add_f64 v[38:39], v[38:39], -v[70:71]
	v_fma_f64 v[150:151], v[152:153], v[158:159], v[150:151]
	v_add_f64 v[40:41], v[40:41], -v[150:151]
	ds_read2_b64 v[150:153], v1 offset0:58 offset1:59
	s_waitcnt lgkmcnt(0)
	v_mul_f64 v[70:71], v[152:153], v[72:73]
	v_fma_f64 v[70:71], v[150:151], v[158:159], -v[70:71]
	v_mul_f64 v[150:151], v[150:151], v[72:73]
	v_add_f64 v[34:35], v[34:35], -v[70:71]
	v_fma_f64 v[150:151], v[152:153], v[158:159], v[150:151]
	v_add_f64 v[36:37], v[36:37], -v[150:151]
	ds_read2_b64 v[150:153], v1 offset0:60 offset1:61
	s_waitcnt lgkmcnt(0)
	v_mul_f64 v[70:71], v[152:153], v[72:73]
	v_fma_f64 v[70:71], v[150:151], v[158:159], -v[70:71]
	v_mul_f64 v[150:151], v[150:151], v[72:73]
	v_add_f64 v[26:27], v[26:27], -v[70:71]
	v_fma_f64 v[150:151], v[152:153], v[158:159], v[150:151]
	v_add_f64 v[28:29], v[28:29], -v[150:151]
	ds_read2_b64 v[150:153], v1 offset0:62 offset1:63
	s_waitcnt lgkmcnt(0)
	v_mul_f64 v[70:71], v[152:153], v[72:73]
	v_fma_f64 v[70:71], v[150:151], v[158:159], -v[70:71]
	v_mul_f64 v[150:151], v[150:151], v[72:73]
	v_add_f64 v[22:23], v[22:23], -v[70:71]
	v_fma_f64 v[150:151], v[152:153], v[158:159], v[150:151]
	v_add_f64 v[24:25], v[24:25], -v[150:151]
	ds_read2_b64 v[150:153], v1 offset0:64 offset1:65
	s_waitcnt lgkmcnt(0)
	v_mul_f64 v[70:71], v[152:153], v[72:73]
	v_fma_f64 v[70:71], v[150:151], v[158:159], -v[70:71]
	v_mul_f64 v[150:151], v[150:151], v[72:73]
	v_add_f64 v[6:7], v[6:7], -v[70:71]
	v_fma_f64 v[150:151], v[152:153], v[158:159], v[150:151]
	v_add_f64 v[8:9], v[8:9], -v[150:151]
	ds_read2_b64 v[150:153], v1 offset0:66 offset1:67
	s_waitcnt lgkmcnt(0)
	v_mul_f64 v[70:71], v[152:153], v[72:73]
	v_fma_f64 v[70:71], v[150:151], v[158:159], -v[70:71]
	v_mul_f64 v[150:151], v[150:151], v[72:73]
	v_add_f64 v[18:19], v[18:19], -v[70:71]
	v_fma_f64 v[150:151], v[152:153], v[158:159], v[150:151]
	v_add_f64 v[20:21], v[20:21], -v[150:151]
	ds_read2_b64 v[150:153], v1 offset0:68 offset1:69
	s_waitcnt lgkmcnt(0)
	v_mul_f64 v[70:71], v[152:153], v[72:73]
	v_fma_f64 v[70:71], v[150:151], v[158:159], -v[70:71]
	v_mul_f64 v[150:151], v[150:151], v[72:73]
	v_add_f64 v[14:15], v[14:15], -v[70:71]
	v_fma_f64 v[150:151], v[152:153], v[158:159], v[150:151]
	v_add_f64 v[16:17], v[16:17], -v[150:151]
	ds_read2_b64 v[150:153], v1 offset0:70 offset1:71
	s_waitcnt lgkmcnt(0)
	v_mul_f64 v[70:71], v[152:153], v[72:73]
	v_fma_f64 v[70:71], v[150:151], v[158:159], -v[70:71]
	v_mul_f64 v[150:151], v[150:151], v[72:73]
	v_add_f64 v[10:11], v[10:11], -v[70:71]
	v_fma_f64 v[150:151], v[152:153], v[158:159], v[150:151]
	v_add_f64 v[12:13], v[12:13], -v[150:151]
	ds_read2_b64 v[150:153], v1 offset0:72 offset1:73
	s_waitcnt lgkmcnt(0)
	v_mul_f64 v[70:71], v[152:153], v[72:73]
	v_fma_f64 v[70:71], v[150:151], v[158:159], -v[70:71]
	v_mul_f64 v[150:151], v[150:151], v[72:73]
	v_add_f64 v[2:3], v[2:3], -v[70:71]
	v_fma_f64 v[150:151], v[152:153], v[158:159], v[150:151]
	v_mov_b32_e32 v70, v158
	v_mov_b32_e32 v71, v159
	v_add_f64 v[4:5], v[4:5], -v[150:151]
.LBB72_377:
	s_or_b32 exec_lo, exec_lo, s0
	v_lshl_add_u32 v150, v164, 4, v1
	s_barrier
	buffer_gl0_inv
	v_mov_b32_e32 v158, 18
	ds_write2_b64 v150, v[78:79], v[80:81] offset1:1
	s_waitcnt lgkmcnt(0)
	s_barrier
	buffer_gl0_inv
	ds_read2_b64 v[150:153], v1 offset0:36 offset1:37
	s_cmp_lt_i32 s1, 20
	s_cbranch_scc1 .LBB72_380
; %bb.378:
	v_add3_u32 v159, v160, 0, 0x130
	v_mov_b32_e32 v158, 18
	s_mov_b32 s3, 19
	s_inst_prefetch 0x1
	.p2align	6
.LBB72_379:                             ; =>This Inner Loop Header: Depth=1
	s_waitcnt lgkmcnt(0)
	v_cmp_gt_f64_e32 vcc_lo, 0, v[152:153]
	v_cmp_gt_f64_e64 s0, 0, v[150:151]
	ds_read2_b64 v[165:168], v159 offset1:1
	v_xor_b32_e32 v170, 0x80000000, v151
	v_xor_b32_e32 v172, 0x80000000, v153
	v_mov_b32_e32 v169, v150
	v_mov_b32_e32 v171, v152
	v_add_nc_u32_e32 v159, 16, v159
	s_waitcnt lgkmcnt(0)
	v_xor_b32_e32 v174, 0x80000000, v168
	v_cndmask_b32_e64 v170, v151, v170, s0
	v_cndmask_b32_e32 v172, v153, v172, vcc_lo
	v_cmp_gt_f64_e32 vcc_lo, 0, v[167:168]
	v_cmp_gt_f64_e64 s0, 0, v[165:166]
	v_mov_b32_e32 v173, v167
	v_add_f64 v[169:170], v[169:170], v[171:172]
	v_xor_b32_e32 v172, 0x80000000, v166
	v_mov_b32_e32 v171, v165
	v_cndmask_b32_e32 v174, v168, v174, vcc_lo
	v_cndmask_b32_e64 v172, v166, v172, s0
	v_add_f64 v[171:172], v[171:172], v[173:174]
	v_cmp_lt_f64_e32 vcc_lo, v[169:170], v[171:172]
	v_cndmask_b32_e32 v151, v151, v166, vcc_lo
	v_cndmask_b32_e32 v150, v150, v165, vcc_lo
	;; [unrolled: 1-line block ×4, first 2 shown]
	v_cndmask_b32_e64 v158, v158, s3, vcc_lo
	s_add_i32 s3, s3, 1
	s_cmp_lg_u32 s1, s3
	s_cbranch_scc1 .LBB72_379
.LBB72_380:
	s_inst_prefetch 0x2
	s_waitcnt lgkmcnt(0)
	v_cmp_eq_f64_e32 vcc_lo, 0, v[150:151]
	v_cmp_eq_f64_e64 s0, 0, v[152:153]
	s_and_b32 s0, vcc_lo, s0
	s_and_saveexec_b32 s3, s0
	s_xor_b32 s0, exec_lo, s3
; %bb.381:
	v_cmp_ne_u32_e32 vcc_lo, 0, v163
	v_cndmask_b32_e32 v163, 19, v163, vcc_lo
; %bb.382:
	s_andn2_saveexec_b32 s0, s0
	s_cbranch_execz .LBB72_388
; %bb.383:
	v_cmp_ngt_f64_e64 s3, |v[150:151]|, |v[152:153]|
	s_and_saveexec_b32 s8, s3
	s_xor_b32 s3, exec_lo, s8
	s_cbranch_execz .LBB72_385
; %bb.384:
	v_div_scale_f64 v[165:166], null, v[152:153], v[152:153], v[150:151]
	v_div_scale_f64 v[171:172], vcc_lo, v[150:151], v[152:153], v[150:151]
	v_rcp_f64_e32 v[167:168], v[165:166]
	v_fma_f64 v[169:170], -v[165:166], v[167:168], 1.0
	v_fma_f64 v[167:168], v[167:168], v[169:170], v[167:168]
	v_fma_f64 v[169:170], -v[165:166], v[167:168], 1.0
	v_fma_f64 v[167:168], v[167:168], v[169:170], v[167:168]
	v_mul_f64 v[169:170], v[171:172], v[167:168]
	v_fma_f64 v[165:166], -v[165:166], v[169:170], v[171:172]
	v_div_fmas_f64 v[165:166], v[165:166], v[167:168], v[169:170]
	v_div_fixup_f64 v[165:166], v[165:166], v[152:153], v[150:151]
	v_fma_f64 v[150:151], v[150:151], v[165:166], v[152:153]
	v_div_scale_f64 v[152:153], null, v[150:151], v[150:151], 1.0
	v_rcp_f64_e32 v[167:168], v[152:153]
	v_fma_f64 v[169:170], -v[152:153], v[167:168], 1.0
	v_fma_f64 v[167:168], v[167:168], v[169:170], v[167:168]
	v_fma_f64 v[169:170], -v[152:153], v[167:168], 1.0
	v_fma_f64 v[167:168], v[167:168], v[169:170], v[167:168]
	v_div_scale_f64 v[169:170], vcc_lo, 1.0, v[150:151], 1.0
	v_mul_f64 v[171:172], v[169:170], v[167:168]
	v_fma_f64 v[152:153], -v[152:153], v[171:172], v[169:170]
	v_div_fmas_f64 v[152:153], v[152:153], v[167:168], v[171:172]
	v_div_fixup_f64 v[152:153], v[152:153], v[150:151], 1.0
	v_mul_f64 v[150:151], v[165:166], v[152:153]
	v_xor_b32_e32 v153, 0x80000000, v153
.LBB72_385:
	s_andn2_saveexec_b32 s3, s3
	s_cbranch_execz .LBB72_387
; %bb.386:
	v_div_scale_f64 v[165:166], null, v[150:151], v[150:151], v[152:153]
	v_div_scale_f64 v[171:172], vcc_lo, v[152:153], v[150:151], v[152:153]
	v_rcp_f64_e32 v[167:168], v[165:166]
	v_fma_f64 v[169:170], -v[165:166], v[167:168], 1.0
	v_fma_f64 v[167:168], v[167:168], v[169:170], v[167:168]
	v_fma_f64 v[169:170], -v[165:166], v[167:168], 1.0
	v_fma_f64 v[167:168], v[167:168], v[169:170], v[167:168]
	v_mul_f64 v[169:170], v[171:172], v[167:168]
	v_fma_f64 v[165:166], -v[165:166], v[169:170], v[171:172]
	v_div_fmas_f64 v[165:166], v[165:166], v[167:168], v[169:170]
	v_div_fixup_f64 v[165:166], v[165:166], v[150:151], v[152:153]
	v_fma_f64 v[150:151], v[152:153], v[165:166], v[150:151]
	v_div_scale_f64 v[152:153], null, v[150:151], v[150:151], 1.0
	v_rcp_f64_e32 v[167:168], v[152:153]
	v_fma_f64 v[169:170], -v[152:153], v[167:168], 1.0
	v_fma_f64 v[167:168], v[167:168], v[169:170], v[167:168]
	v_fma_f64 v[169:170], -v[152:153], v[167:168], 1.0
	v_fma_f64 v[167:168], v[167:168], v[169:170], v[167:168]
	v_div_scale_f64 v[169:170], vcc_lo, 1.0, v[150:151], 1.0
	v_mul_f64 v[171:172], v[169:170], v[167:168]
	v_fma_f64 v[152:153], -v[152:153], v[171:172], v[169:170]
	v_div_fmas_f64 v[152:153], v[152:153], v[167:168], v[171:172]
	v_div_fixup_f64 v[150:151], v[152:153], v[150:151], 1.0
	v_mul_f64 v[152:153], v[165:166], -v[150:151]
.LBB72_387:
	s_or_b32 exec_lo, exec_lo, s3
.LBB72_388:
	s_or_b32 exec_lo, exec_lo, s0
	s_mov_b32 s0, exec_lo
	v_cmpx_ne_u32_e64 v164, v158
	s_xor_b32 s0, exec_lo, s0
	s_cbranch_execz .LBB72_394
; %bb.389:
	s_mov_b32 s3, exec_lo
	v_cmpx_eq_u32_e32 18, v164
	s_cbranch_execz .LBB72_393
; %bb.390:
	v_cmp_ne_u32_e32 vcc_lo, 18, v158
	s_xor_b32 s8, s16, -1
	s_and_b32 s9, s8, vcc_lo
	s_and_saveexec_b32 s8, s9
	s_cbranch_execz .LBB72_392
; %bb.391:
	v_ashrrev_i32_e32 v159, 31, v158
	v_lshlrev_b64 v[164:165], 2, v[158:159]
	v_add_co_u32 v164, vcc_lo, v156, v164
	v_add_co_ci_u32_e64 v165, null, v157, v165, vcc_lo
	s_clause 0x1
	global_load_dword v0, v[164:165], off
	global_load_dword v159, v[156:157], off offset:72
	s_waitcnt vmcnt(1)
	global_store_dword v[156:157], v0, off offset:72
	s_waitcnt vmcnt(0)
	global_store_dword v[164:165], v159, off
.LBB72_392:
	s_or_b32 exec_lo, exec_lo, s8
	v_mov_b32_e32 v164, v158
	v_mov_b32_e32 v0, v158
.LBB72_393:
	s_or_b32 exec_lo, exec_lo, s3
.LBB72_394:
	s_andn2_saveexec_b32 s0, s0
	s_cbranch_execz .LBB72_396
; %bb.395:
	v_mov_b32_e32 v164, 18
	ds_write2_b64 v1, v[74:75], v[76:77] offset0:38 offset1:39
	ds_write2_b64 v1, v[66:67], v[68:69] offset0:40 offset1:41
	;; [unrolled: 1-line block ×18, first 2 shown]
.LBB72_396:
	s_or_b32 exec_lo, exec_lo, s0
	s_mov_b32 s0, exec_lo
	s_waitcnt lgkmcnt(0)
	s_waitcnt_vscnt null, 0x0
	s_barrier
	buffer_gl0_inv
	v_cmpx_lt_i32_e32 18, v164
	s_cbranch_execz .LBB72_398
; %bb.397:
	v_mul_f64 v[158:159], v[152:153], v[80:81]
	v_mul_f64 v[80:81], v[150:151], v[80:81]
	v_fma_f64 v[158:159], v[150:151], v[78:79], -v[158:159]
	v_fma_f64 v[80:81], v[152:153], v[78:79], v[80:81]
	ds_read2_b64 v[150:153], v1 offset0:38 offset1:39
	s_waitcnt lgkmcnt(0)
	v_mul_f64 v[78:79], v[152:153], v[80:81]
	v_fma_f64 v[78:79], v[150:151], v[158:159], -v[78:79]
	v_mul_f64 v[150:151], v[150:151], v[80:81]
	v_add_f64 v[74:75], v[74:75], -v[78:79]
	v_fma_f64 v[150:151], v[152:153], v[158:159], v[150:151]
	v_add_f64 v[76:77], v[76:77], -v[150:151]
	ds_read2_b64 v[150:153], v1 offset0:40 offset1:41
	s_waitcnt lgkmcnt(0)
	v_mul_f64 v[78:79], v[152:153], v[80:81]
	v_fma_f64 v[78:79], v[150:151], v[158:159], -v[78:79]
	v_mul_f64 v[150:151], v[150:151], v[80:81]
	v_add_f64 v[66:67], v[66:67], -v[78:79]
	v_fma_f64 v[150:151], v[152:153], v[158:159], v[150:151]
	v_add_f64 v[68:69], v[68:69], -v[150:151]
	;; [unrolled: 8-line block ×17, first 2 shown]
	ds_read2_b64 v[150:153], v1 offset0:72 offset1:73
	s_waitcnt lgkmcnt(0)
	v_mul_f64 v[78:79], v[152:153], v[80:81]
	v_fma_f64 v[78:79], v[150:151], v[158:159], -v[78:79]
	v_mul_f64 v[150:151], v[150:151], v[80:81]
	v_add_f64 v[2:3], v[2:3], -v[78:79]
	v_fma_f64 v[150:151], v[152:153], v[158:159], v[150:151]
	v_mov_b32_e32 v78, v158
	v_mov_b32_e32 v79, v159
	v_add_f64 v[4:5], v[4:5], -v[150:151]
.LBB72_398:
	s_or_b32 exec_lo, exec_lo, s0
	v_lshl_add_u32 v150, v164, 4, v1
	s_barrier
	buffer_gl0_inv
	v_mov_b32_e32 v158, 19
	ds_write2_b64 v150, v[74:75], v[76:77] offset1:1
	s_waitcnt lgkmcnt(0)
	s_barrier
	buffer_gl0_inv
	ds_read2_b64 v[150:153], v1 offset0:38 offset1:39
	s_cmp_lt_i32 s1, 21
	s_cbranch_scc1 .LBB72_401
; %bb.399:
	v_add3_u32 v159, v160, 0, 0x140
	v_mov_b32_e32 v158, 19
	s_mov_b32 s3, 20
	s_inst_prefetch 0x1
	.p2align	6
.LBB72_400:                             ; =>This Inner Loop Header: Depth=1
	s_waitcnt lgkmcnt(0)
	v_cmp_gt_f64_e32 vcc_lo, 0, v[152:153]
	v_cmp_gt_f64_e64 s0, 0, v[150:151]
	ds_read2_b64 v[165:168], v159 offset1:1
	v_xor_b32_e32 v170, 0x80000000, v151
	v_xor_b32_e32 v172, 0x80000000, v153
	v_mov_b32_e32 v169, v150
	v_mov_b32_e32 v171, v152
	v_add_nc_u32_e32 v159, 16, v159
	s_waitcnt lgkmcnt(0)
	v_xor_b32_e32 v174, 0x80000000, v168
	v_cndmask_b32_e64 v170, v151, v170, s0
	v_cndmask_b32_e32 v172, v153, v172, vcc_lo
	v_cmp_gt_f64_e32 vcc_lo, 0, v[167:168]
	v_cmp_gt_f64_e64 s0, 0, v[165:166]
	v_mov_b32_e32 v173, v167
	v_add_f64 v[169:170], v[169:170], v[171:172]
	v_xor_b32_e32 v172, 0x80000000, v166
	v_mov_b32_e32 v171, v165
	v_cndmask_b32_e32 v174, v168, v174, vcc_lo
	v_cndmask_b32_e64 v172, v166, v172, s0
	v_add_f64 v[171:172], v[171:172], v[173:174]
	v_cmp_lt_f64_e32 vcc_lo, v[169:170], v[171:172]
	v_cndmask_b32_e32 v151, v151, v166, vcc_lo
	v_cndmask_b32_e32 v150, v150, v165, vcc_lo
	;; [unrolled: 1-line block ×4, first 2 shown]
	v_cndmask_b32_e64 v158, v158, s3, vcc_lo
	s_add_i32 s3, s3, 1
	s_cmp_lg_u32 s1, s3
	s_cbranch_scc1 .LBB72_400
.LBB72_401:
	s_inst_prefetch 0x2
	s_waitcnt lgkmcnt(0)
	v_cmp_eq_f64_e32 vcc_lo, 0, v[150:151]
	v_cmp_eq_f64_e64 s0, 0, v[152:153]
	s_and_b32 s0, vcc_lo, s0
	s_and_saveexec_b32 s3, s0
	s_xor_b32 s0, exec_lo, s3
; %bb.402:
	v_cmp_ne_u32_e32 vcc_lo, 0, v163
	v_cndmask_b32_e32 v163, 20, v163, vcc_lo
; %bb.403:
	s_andn2_saveexec_b32 s0, s0
	s_cbranch_execz .LBB72_409
; %bb.404:
	v_cmp_ngt_f64_e64 s3, |v[150:151]|, |v[152:153]|
	s_and_saveexec_b32 s8, s3
	s_xor_b32 s3, exec_lo, s8
	s_cbranch_execz .LBB72_406
; %bb.405:
	v_div_scale_f64 v[165:166], null, v[152:153], v[152:153], v[150:151]
	v_div_scale_f64 v[171:172], vcc_lo, v[150:151], v[152:153], v[150:151]
	v_rcp_f64_e32 v[167:168], v[165:166]
	v_fma_f64 v[169:170], -v[165:166], v[167:168], 1.0
	v_fma_f64 v[167:168], v[167:168], v[169:170], v[167:168]
	v_fma_f64 v[169:170], -v[165:166], v[167:168], 1.0
	v_fma_f64 v[167:168], v[167:168], v[169:170], v[167:168]
	v_mul_f64 v[169:170], v[171:172], v[167:168]
	v_fma_f64 v[165:166], -v[165:166], v[169:170], v[171:172]
	v_div_fmas_f64 v[165:166], v[165:166], v[167:168], v[169:170]
	v_div_fixup_f64 v[165:166], v[165:166], v[152:153], v[150:151]
	v_fma_f64 v[150:151], v[150:151], v[165:166], v[152:153]
	v_div_scale_f64 v[152:153], null, v[150:151], v[150:151], 1.0
	v_rcp_f64_e32 v[167:168], v[152:153]
	v_fma_f64 v[169:170], -v[152:153], v[167:168], 1.0
	v_fma_f64 v[167:168], v[167:168], v[169:170], v[167:168]
	v_fma_f64 v[169:170], -v[152:153], v[167:168], 1.0
	v_fma_f64 v[167:168], v[167:168], v[169:170], v[167:168]
	v_div_scale_f64 v[169:170], vcc_lo, 1.0, v[150:151], 1.0
	v_mul_f64 v[171:172], v[169:170], v[167:168]
	v_fma_f64 v[152:153], -v[152:153], v[171:172], v[169:170]
	v_div_fmas_f64 v[152:153], v[152:153], v[167:168], v[171:172]
	v_div_fixup_f64 v[152:153], v[152:153], v[150:151], 1.0
	v_mul_f64 v[150:151], v[165:166], v[152:153]
	v_xor_b32_e32 v153, 0x80000000, v153
.LBB72_406:
	s_andn2_saveexec_b32 s3, s3
	s_cbranch_execz .LBB72_408
; %bb.407:
	v_div_scale_f64 v[165:166], null, v[150:151], v[150:151], v[152:153]
	v_div_scale_f64 v[171:172], vcc_lo, v[152:153], v[150:151], v[152:153]
	v_rcp_f64_e32 v[167:168], v[165:166]
	v_fma_f64 v[169:170], -v[165:166], v[167:168], 1.0
	v_fma_f64 v[167:168], v[167:168], v[169:170], v[167:168]
	v_fma_f64 v[169:170], -v[165:166], v[167:168], 1.0
	v_fma_f64 v[167:168], v[167:168], v[169:170], v[167:168]
	v_mul_f64 v[169:170], v[171:172], v[167:168]
	v_fma_f64 v[165:166], -v[165:166], v[169:170], v[171:172]
	v_div_fmas_f64 v[165:166], v[165:166], v[167:168], v[169:170]
	v_div_fixup_f64 v[165:166], v[165:166], v[150:151], v[152:153]
	v_fma_f64 v[150:151], v[152:153], v[165:166], v[150:151]
	v_div_scale_f64 v[152:153], null, v[150:151], v[150:151], 1.0
	v_rcp_f64_e32 v[167:168], v[152:153]
	v_fma_f64 v[169:170], -v[152:153], v[167:168], 1.0
	v_fma_f64 v[167:168], v[167:168], v[169:170], v[167:168]
	v_fma_f64 v[169:170], -v[152:153], v[167:168], 1.0
	v_fma_f64 v[167:168], v[167:168], v[169:170], v[167:168]
	v_div_scale_f64 v[169:170], vcc_lo, 1.0, v[150:151], 1.0
	v_mul_f64 v[171:172], v[169:170], v[167:168]
	v_fma_f64 v[152:153], -v[152:153], v[171:172], v[169:170]
	v_div_fmas_f64 v[152:153], v[152:153], v[167:168], v[171:172]
	v_div_fixup_f64 v[150:151], v[152:153], v[150:151], 1.0
	v_mul_f64 v[152:153], v[165:166], -v[150:151]
.LBB72_408:
	s_or_b32 exec_lo, exec_lo, s3
.LBB72_409:
	s_or_b32 exec_lo, exec_lo, s0
	s_mov_b32 s0, exec_lo
	v_cmpx_ne_u32_e64 v164, v158
	s_xor_b32 s0, exec_lo, s0
	s_cbranch_execz .LBB72_415
; %bb.410:
	s_mov_b32 s3, exec_lo
	v_cmpx_eq_u32_e32 19, v164
	s_cbranch_execz .LBB72_414
; %bb.411:
	v_cmp_ne_u32_e32 vcc_lo, 19, v158
	s_xor_b32 s8, s16, -1
	s_and_b32 s9, s8, vcc_lo
	s_and_saveexec_b32 s8, s9
	s_cbranch_execz .LBB72_413
; %bb.412:
	v_ashrrev_i32_e32 v159, 31, v158
	v_lshlrev_b64 v[164:165], 2, v[158:159]
	v_add_co_u32 v164, vcc_lo, v156, v164
	v_add_co_ci_u32_e64 v165, null, v157, v165, vcc_lo
	s_clause 0x1
	global_load_dword v0, v[164:165], off
	global_load_dword v159, v[156:157], off offset:76
	s_waitcnt vmcnt(1)
	global_store_dword v[156:157], v0, off offset:76
	s_waitcnt vmcnt(0)
	global_store_dword v[164:165], v159, off
.LBB72_413:
	s_or_b32 exec_lo, exec_lo, s8
	v_mov_b32_e32 v164, v158
	v_mov_b32_e32 v0, v158
.LBB72_414:
	s_or_b32 exec_lo, exec_lo, s3
.LBB72_415:
	s_andn2_saveexec_b32 s0, s0
	s_cbranch_execz .LBB72_417
; %bb.416:
	v_mov_b32_e32 v164, 19
	ds_write2_b64 v1, v[66:67], v[68:69] offset0:40 offset1:41
	ds_write2_b64 v1, v[62:63], v[64:65] offset0:42 offset1:43
	;; [unrolled: 1-line block ×17, first 2 shown]
.LBB72_417:
	s_or_b32 exec_lo, exec_lo, s0
	s_mov_b32 s0, exec_lo
	s_waitcnt lgkmcnt(0)
	s_waitcnt_vscnt null, 0x0
	s_barrier
	buffer_gl0_inv
	v_cmpx_lt_i32_e32 19, v164
	s_cbranch_execz .LBB72_419
; %bb.418:
	v_mul_f64 v[158:159], v[152:153], v[76:77]
	v_mul_f64 v[76:77], v[150:151], v[76:77]
	v_fma_f64 v[158:159], v[150:151], v[74:75], -v[158:159]
	v_fma_f64 v[76:77], v[152:153], v[74:75], v[76:77]
	ds_read2_b64 v[150:153], v1 offset0:40 offset1:41
	s_waitcnt lgkmcnt(0)
	v_mul_f64 v[74:75], v[152:153], v[76:77]
	v_fma_f64 v[74:75], v[150:151], v[158:159], -v[74:75]
	v_mul_f64 v[150:151], v[150:151], v[76:77]
	v_add_f64 v[66:67], v[66:67], -v[74:75]
	v_fma_f64 v[150:151], v[152:153], v[158:159], v[150:151]
	v_add_f64 v[68:69], v[68:69], -v[150:151]
	ds_read2_b64 v[150:153], v1 offset0:42 offset1:43
	s_waitcnt lgkmcnt(0)
	v_mul_f64 v[74:75], v[152:153], v[76:77]
	v_fma_f64 v[74:75], v[150:151], v[158:159], -v[74:75]
	v_mul_f64 v[150:151], v[150:151], v[76:77]
	v_add_f64 v[62:63], v[62:63], -v[74:75]
	v_fma_f64 v[150:151], v[152:153], v[158:159], v[150:151]
	v_add_f64 v[64:65], v[64:65], -v[150:151]
	;; [unrolled: 8-line block ×16, first 2 shown]
	ds_read2_b64 v[150:153], v1 offset0:72 offset1:73
	s_waitcnt lgkmcnt(0)
	v_mul_f64 v[74:75], v[152:153], v[76:77]
	v_fma_f64 v[74:75], v[150:151], v[158:159], -v[74:75]
	v_mul_f64 v[150:151], v[150:151], v[76:77]
	v_add_f64 v[2:3], v[2:3], -v[74:75]
	v_fma_f64 v[150:151], v[152:153], v[158:159], v[150:151]
	v_mov_b32_e32 v74, v158
	v_mov_b32_e32 v75, v159
	v_add_f64 v[4:5], v[4:5], -v[150:151]
.LBB72_419:
	s_or_b32 exec_lo, exec_lo, s0
	v_lshl_add_u32 v150, v164, 4, v1
	s_barrier
	buffer_gl0_inv
	v_mov_b32_e32 v158, 20
	ds_write2_b64 v150, v[66:67], v[68:69] offset1:1
	s_waitcnt lgkmcnt(0)
	s_barrier
	buffer_gl0_inv
	ds_read2_b64 v[150:153], v1 offset0:40 offset1:41
	s_cmp_lt_i32 s1, 22
	s_cbranch_scc1 .LBB72_422
; %bb.420:
	v_add3_u32 v159, v160, 0, 0x150
	v_mov_b32_e32 v158, 20
	s_mov_b32 s3, 21
	s_inst_prefetch 0x1
	.p2align	6
.LBB72_421:                             ; =>This Inner Loop Header: Depth=1
	s_waitcnt lgkmcnt(0)
	v_cmp_gt_f64_e32 vcc_lo, 0, v[152:153]
	v_cmp_gt_f64_e64 s0, 0, v[150:151]
	ds_read2_b64 v[165:168], v159 offset1:1
	v_xor_b32_e32 v170, 0x80000000, v151
	v_xor_b32_e32 v172, 0x80000000, v153
	v_mov_b32_e32 v169, v150
	v_mov_b32_e32 v171, v152
	v_add_nc_u32_e32 v159, 16, v159
	s_waitcnt lgkmcnt(0)
	v_xor_b32_e32 v174, 0x80000000, v168
	v_cndmask_b32_e64 v170, v151, v170, s0
	v_cndmask_b32_e32 v172, v153, v172, vcc_lo
	v_cmp_gt_f64_e32 vcc_lo, 0, v[167:168]
	v_cmp_gt_f64_e64 s0, 0, v[165:166]
	v_mov_b32_e32 v173, v167
	v_add_f64 v[169:170], v[169:170], v[171:172]
	v_xor_b32_e32 v172, 0x80000000, v166
	v_mov_b32_e32 v171, v165
	v_cndmask_b32_e32 v174, v168, v174, vcc_lo
	v_cndmask_b32_e64 v172, v166, v172, s0
	v_add_f64 v[171:172], v[171:172], v[173:174]
	v_cmp_lt_f64_e32 vcc_lo, v[169:170], v[171:172]
	v_cndmask_b32_e32 v151, v151, v166, vcc_lo
	v_cndmask_b32_e32 v150, v150, v165, vcc_lo
	;; [unrolled: 1-line block ×4, first 2 shown]
	v_cndmask_b32_e64 v158, v158, s3, vcc_lo
	s_add_i32 s3, s3, 1
	s_cmp_lg_u32 s1, s3
	s_cbranch_scc1 .LBB72_421
.LBB72_422:
	s_inst_prefetch 0x2
	s_waitcnt lgkmcnt(0)
	v_cmp_eq_f64_e32 vcc_lo, 0, v[150:151]
	v_cmp_eq_f64_e64 s0, 0, v[152:153]
	s_and_b32 s0, vcc_lo, s0
	s_and_saveexec_b32 s3, s0
	s_xor_b32 s0, exec_lo, s3
; %bb.423:
	v_cmp_ne_u32_e32 vcc_lo, 0, v163
	v_cndmask_b32_e32 v163, 21, v163, vcc_lo
; %bb.424:
	s_andn2_saveexec_b32 s0, s0
	s_cbranch_execz .LBB72_430
; %bb.425:
	v_cmp_ngt_f64_e64 s3, |v[150:151]|, |v[152:153]|
	s_and_saveexec_b32 s8, s3
	s_xor_b32 s3, exec_lo, s8
	s_cbranch_execz .LBB72_427
; %bb.426:
	v_div_scale_f64 v[165:166], null, v[152:153], v[152:153], v[150:151]
	v_div_scale_f64 v[171:172], vcc_lo, v[150:151], v[152:153], v[150:151]
	v_rcp_f64_e32 v[167:168], v[165:166]
	v_fma_f64 v[169:170], -v[165:166], v[167:168], 1.0
	v_fma_f64 v[167:168], v[167:168], v[169:170], v[167:168]
	v_fma_f64 v[169:170], -v[165:166], v[167:168], 1.0
	v_fma_f64 v[167:168], v[167:168], v[169:170], v[167:168]
	v_mul_f64 v[169:170], v[171:172], v[167:168]
	v_fma_f64 v[165:166], -v[165:166], v[169:170], v[171:172]
	v_div_fmas_f64 v[165:166], v[165:166], v[167:168], v[169:170]
	v_div_fixup_f64 v[165:166], v[165:166], v[152:153], v[150:151]
	v_fma_f64 v[150:151], v[150:151], v[165:166], v[152:153]
	v_div_scale_f64 v[152:153], null, v[150:151], v[150:151], 1.0
	v_rcp_f64_e32 v[167:168], v[152:153]
	v_fma_f64 v[169:170], -v[152:153], v[167:168], 1.0
	v_fma_f64 v[167:168], v[167:168], v[169:170], v[167:168]
	v_fma_f64 v[169:170], -v[152:153], v[167:168], 1.0
	v_fma_f64 v[167:168], v[167:168], v[169:170], v[167:168]
	v_div_scale_f64 v[169:170], vcc_lo, 1.0, v[150:151], 1.0
	v_mul_f64 v[171:172], v[169:170], v[167:168]
	v_fma_f64 v[152:153], -v[152:153], v[171:172], v[169:170]
	v_div_fmas_f64 v[152:153], v[152:153], v[167:168], v[171:172]
	v_div_fixup_f64 v[152:153], v[152:153], v[150:151], 1.0
	v_mul_f64 v[150:151], v[165:166], v[152:153]
	v_xor_b32_e32 v153, 0x80000000, v153
.LBB72_427:
	s_andn2_saveexec_b32 s3, s3
	s_cbranch_execz .LBB72_429
; %bb.428:
	v_div_scale_f64 v[165:166], null, v[150:151], v[150:151], v[152:153]
	v_div_scale_f64 v[171:172], vcc_lo, v[152:153], v[150:151], v[152:153]
	v_rcp_f64_e32 v[167:168], v[165:166]
	v_fma_f64 v[169:170], -v[165:166], v[167:168], 1.0
	v_fma_f64 v[167:168], v[167:168], v[169:170], v[167:168]
	v_fma_f64 v[169:170], -v[165:166], v[167:168], 1.0
	v_fma_f64 v[167:168], v[167:168], v[169:170], v[167:168]
	v_mul_f64 v[169:170], v[171:172], v[167:168]
	v_fma_f64 v[165:166], -v[165:166], v[169:170], v[171:172]
	v_div_fmas_f64 v[165:166], v[165:166], v[167:168], v[169:170]
	v_div_fixup_f64 v[165:166], v[165:166], v[150:151], v[152:153]
	v_fma_f64 v[150:151], v[152:153], v[165:166], v[150:151]
	v_div_scale_f64 v[152:153], null, v[150:151], v[150:151], 1.0
	v_rcp_f64_e32 v[167:168], v[152:153]
	v_fma_f64 v[169:170], -v[152:153], v[167:168], 1.0
	v_fma_f64 v[167:168], v[167:168], v[169:170], v[167:168]
	v_fma_f64 v[169:170], -v[152:153], v[167:168], 1.0
	v_fma_f64 v[167:168], v[167:168], v[169:170], v[167:168]
	v_div_scale_f64 v[169:170], vcc_lo, 1.0, v[150:151], 1.0
	v_mul_f64 v[171:172], v[169:170], v[167:168]
	v_fma_f64 v[152:153], -v[152:153], v[171:172], v[169:170]
	v_div_fmas_f64 v[152:153], v[152:153], v[167:168], v[171:172]
	v_div_fixup_f64 v[150:151], v[152:153], v[150:151], 1.0
	v_mul_f64 v[152:153], v[165:166], -v[150:151]
.LBB72_429:
	s_or_b32 exec_lo, exec_lo, s3
.LBB72_430:
	s_or_b32 exec_lo, exec_lo, s0
	s_mov_b32 s0, exec_lo
	v_cmpx_ne_u32_e64 v164, v158
	s_xor_b32 s0, exec_lo, s0
	s_cbranch_execz .LBB72_436
; %bb.431:
	s_mov_b32 s3, exec_lo
	v_cmpx_eq_u32_e32 20, v164
	s_cbranch_execz .LBB72_435
; %bb.432:
	v_cmp_ne_u32_e32 vcc_lo, 20, v158
	s_xor_b32 s8, s16, -1
	s_and_b32 s9, s8, vcc_lo
	s_and_saveexec_b32 s8, s9
	s_cbranch_execz .LBB72_434
; %bb.433:
	v_ashrrev_i32_e32 v159, 31, v158
	v_lshlrev_b64 v[164:165], 2, v[158:159]
	v_add_co_u32 v164, vcc_lo, v156, v164
	v_add_co_ci_u32_e64 v165, null, v157, v165, vcc_lo
	s_clause 0x1
	global_load_dword v0, v[164:165], off
	global_load_dword v159, v[156:157], off offset:80
	s_waitcnt vmcnt(1)
	global_store_dword v[156:157], v0, off offset:80
	s_waitcnt vmcnt(0)
	global_store_dword v[164:165], v159, off
.LBB72_434:
	s_or_b32 exec_lo, exec_lo, s8
	v_mov_b32_e32 v164, v158
	v_mov_b32_e32 v0, v158
.LBB72_435:
	s_or_b32 exec_lo, exec_lo, s3
.LBB72_436:
	s_andn2_saveexec_b32 s0, s0
	s_cbranch_execz .LBB72_438
; %bb.437:
	v_mov_b32_e32 v164, 20
	ds_write2_b64 v1, v[62:63], v[64:65] offset0:42 offset1:43
	ds_write2_b64 v1, v[54:55], v[56:57] offset0:44 offset1:45
	ds_write2_b64 v1, v[50:51], v[52:53] offset0:46 offset1:47
	ds_write2_b64 v1, v[58:59], v[60:61] offset0:48 offset1:49
	ds_write2_b64 v1, v[42:43], v[44:45] offset0:50 offset1:51
	ds_write2_b64 v1, v[46:47], v[48:49] offset0:52 offset1:53
	ds_write2_b64 v1, v[30:31], v[32:33] offset0:54 offset1:55
	ds_write2_b64 v1, v[38:39], v[40:41] offset0:56 offset1:57
	ds_write2_b64 v1, v[34:35], v[36:37] offset0:58 offset1:59
	ds_write2_b64 v1, v[26:27], v[28:29] offset0:60 offset1:61
	ds_write2_b64 v1, v[22:23], v[24:25] offset0:62 offset1:63
	ds_write2_b64 v1, v[6:7], v[8:9] offset0:64 offset1:65
	ds_write2_b64 v1, v[18:19], v[20:21] offset0:66 offset1:67
	ds_write2_b64 v1, v[14:15], v[16:17] offset0:68 offset1:69
	ds_write2_b64 v1, v[10:11], v[12:13] offset0:70 offset1:71
	ds_write2_b64 v1, v[2:3], v[4:5] offset0:72 offset1:73
.LBB72_438:
	s_or_b32 exec_lo, exec_lo, s0
	s_mov_b32 s0, exec_lo
	s_waitcnt lgkmcnt(0)
	s_waitcnt_vscnt null, 0x0
	s_barrier
	buffer_gl0_inv
	v_cmpx_lt_i32_e32 20, v164
	s_cbranch_execz .LBB72_440
; %bb.439:
	v_mul_f64 v[158:159], v[150:151], v[68:69]
	v_mul_f64 v[68:69], v[152:153], v[68:69]
	v_fma_f64 v[158:159], v[152:153], v[66:67], v[158:159]
	v_fma_f64 v[66:67], v[150:151], v[66:67], -v[68:69]
	ds_read2_b64 v[150:153], v1 offset0:42 offset1:43
	s_waitcnt lgkmcnt(0)
	v_mul_f64 v[68:69], v[152:153], v[158:159]
	v_fma_f64 v[68:69], v[150:151], v[66:67], -v[68:69]
	v_mul_f64 v[150:151], v[150:151], v[158:159]
	v_add_f64 v[62:63], v[62:63], -v[68:69]
	v_fma_f64 v[150:151], v[152:153], v[66:67], v[150:151]
	v_add_f64 v[64:65], v[64:65], -v[150:151]
	ds_read2_b64 v[150:153], v1 offset0:44 offset1:45
	s_waitcnt lgkmcnt(0)
	v_mul_f64 v[68:69], v[152:153], v[158:159]
	v_fma_f64 v[68:69], v[150:151], v[66:67], -v[68:69]
	v_mul_f64 v[150:151], v[150:151], v[158:159]
	v_add_f64 v[54:55], v[54:55], -v[68:69]
	v_fma_f64 v[150:151], v[152:153], v[66:67], v[150:151]
	v_add_f64 v[56:57], v[56:57], -v[150:151]
	;; [unrolled: 8-line block ×15, first 2 shown]
	ds_read2_b64 v[150:153], v1 offset0:72 offset1:73
	s_waitcnt lgkmcnt(0)
	v_mul_f64 v[68:69], v[152:153], v[158:159]
	v_fma_f64 v[68:69], v[150:151], v[66:67], -v[68:69]
	v_mul_f64 v[150:151], v[150:151], v[158:159]
	v_add_f64 v[2:3], v[2:3], -v[68:69]
	v_fma_f64 v[150:151], v[152:153], v[66:67], v[150:151]
	v_mov_b32_e32 v68, v158
	v_mov_b32_e32 v69, v159
	v_add_f64 v[4:5], v[4:5], -v[150:151]
.LBB72_440:
	s_or_b32 exec_lo, exec_lo, s0
	v_lshl_add_u32 v150, v164, 4, v1
	s_barrier
	buffer_gl0_inv
	v_mov_b32_e32 v158, 21
	ds_write2_b64 v150, v[62:63], v[64:65] offset1:1
	s_waitcnt lgkmcnt(0)
	s_barrier
	buffer_gl0_inv
	ds_read2_b64 v[150:153], v1 offset0:42 offset1:43
	s_cmp_lt_i32 s1, 23
	s_cbranch_scc1 .LBB72_443
; %bb.441:
	v_add3_u32 v159, v160, 0, 0x160
	v_mov_b32_e32 v158, 21
	s_mov_b32 s3, 22
	s_inst_prefetch 0x1
	.p2align	6
.LBB72_442:                             ; =>This Inner Loop Header: Depth=1
	s_waitcnt lgkmcnt(0)
	v_cmp_gt_f64_e32 vcc_lo, 0, v[152:153]
	v_cmp_gt_f64_e64 s0, 0, v[150:151]
	ds_read2_b64 v[165:168], v159 offset1:1
	v_xor_b32_e32 v170, 0x80000000, v151
	v_xor_b32_e32 v172, 0x80000000, v153
	v_mov_b32_e32 v169, v150
	v_mov_b32_e32 v171, v152
	v_add_nc_u32_e32 v159, 16, v159
	s_waitcnt lgkmcnt(0)
	v_xor_b32_e32 v174, 0x80000000, v168
	v_cndmask_b32_e64 v170, v151, v170, s0
	v_cndmask_b32_e32 v172, v153, v172, vcc_lo
	v_cmp_gt_f64_e32 vcc_lo, 0, v[167:168]
	v_cmp_gt_f64_e64 s0, 0, v[165:166]
	v_mov_b32_e32 v173, v167
	v_add_f64 v[169:170], v[169:170], v[171:172]
	v_xor_b32_e32 v172, 0x80000000, v166
	v_mov_b32_e32 v171, v165
	v_cndmask_b32_e32 v174, v168, v174, vcc_lo
	v_cndmask_b32_e64 v172, v166, v172, s0
	v_add_f64 v[171:172], v[171:172], v[173:174]
	v_cmp_lt_f64_e32 vcc_lo, v[169:170], v[171:172]
	v_cndmask_b32_e32 v151, v151, v166, vcc_lo
	v_cndmask_b32_e32 v150, v150, v165, vcc_lo
	;; [unrolled: 1-line block ×4, first 2 shown]
	v_cndmask_b32_e64 v158, v158, s3, vcc_lo
	s_add_i32 s3, s3, 1
	s_cmp_lg_u32 s1, s3
	s_cbranch_scc1 .LBB72_442
.LBB72_443:
	s_inst_prefetch 0x2
	s_waitcnt lgkmcnt(0)
	v_cmp_eq_f64_e32 vcc_lo, 0, v[150:151]
	v_cmp_eq_f64_e64 s0, 0, v[152:153]
	s_and_b32 s0, vcc_lo, s0
	s_and_saveexec_b32 s3, s0
	s_xor_b32 s0, exec_lo, s3
; %bb.444:
	v_cmp_ne_u32_e32 vcc_lo, 0, v163
	v_cndmask_b32_e32 v163, 22, v163, vcc_lo
; %bb.445:
	s_andn2_saveexec_b32 s0, s0
	s_cbranch_execz .LBB72_451
; %bb.446:
	v_cmp_ngt_f64_e64 s3, |v[150:151]|, |v[152:153]|
	s_and_saveexec_b32 s8, s3
	s_xor_b32 s3, exec_lo, s8
	s_cbranch_execz .LBB72_448
; %bb.447:
	v_div_scale_f64 v[165:166], null, v[152:153], v[152:153], v[150:151]
	v_div_scale_f64 v[171:172], vcc_lo, v[150:151], v[152:153], v[150:151]
	v_rcp_f64_e32 v[167:168], v[165:166]
	v_fma_f64 v[169:170], -v[165:166], v[167:168], 1.0
	v_fma_f64 v[167:168], v[167:168], v[169:170], v[167:168]
	v_fma_f64 v[169:170], -v[165:166], v[167:168], 1.0
	v_fma_f64 v[167:168], v[167:168], v[169:170], v[167:168]
	v_mul_f64 v[169:170], v[171:172], v[167:168]
	v_fma_f64 v[165:166], -v[165:166], v[169:170], v[171:172]
	v_div_fmas_f64 v[165:166], v[165:166], v[167:168], v[169:170]
	v_div_fixup_f64 v[165:166], v[165:166], v[152:153], v[150:151]
	v_fma_f64 v[150:151], v[150:151], v[165:166], v[152:153]
	v_div_scale_f64 v[152:153], null, v[150:151], v[150:151], 1.0
	v_rcp_f64_e32 v[167:168], v[152:153]
	v_fma_f64 v[169:170], -v[152:153], v[167:168], 1.0
	v_fma_f64 v[167:168], v[167:168], v[169:170], v[167:168]
	v_fma_f64 v[169:170], -v[152:153], v[167:168], 1.0
	v_fma_f64 v[167:168], v[167:168], v[169:170], v[167:168]
	v_div_scale_f64 v[169:170], vcc_lo, 1.0, v[150:151], 1.0
	v_mul_f64 v[171:172], v[169:170], v[167:168]
	v_fma_f64 v[152:153], -v[152:153], v[171:172], v[169:170]
	v_div_fmas_f64 v[152:153], v[152:153], v[167:168], v[171:172]
	v_div_fixup_f64 v[152:153], v[152:153], v[150:151], 1.0
	v_mul_f64 v[150:151], v[165:166], v[152:153]
	v_xor_b32_e32 v153, 0x80000000, v153
.LBB72_448:
	s_andn2_saveexec_b32 s3, s3
	s_cbranch_execz .LBB72_450
; %bb.449:
	v_div_scale_f64 v[165:166], null, v[150:151], v[150:151], v[152:153]
	v_div_scale_f64 v[171:172], vcc_lo, v[152:153], v[150:151], v[152:153]
	v_rcp_f64_e32 v[167:168], v[165:166]
	v_fma_f64 v[169:170], -v[165:166], v[167:168], 1.0
	v_fma_f64 v[167:168], v[167:168], v[169:170], v[167:168]
	v_fma_f64 v[169:170], -v[165:166], v[167:168], 1.0
	v_fma_f64 v[167:168], v[167:168], v[169:170], v[167:168]
	v_mul_f64 v[169:170], v[171:172], v[167:168]
	v_fma_f64 v[165:166], -v[165:166], v[169:170], v[171:172]
	v_div_fmas_f64 v[165:166], v[165:166], v[167:168], v[169:170]
	v_div_fixup_f64 v[165:166], v[165:166], v[150:151], v[152:153]
	v_fma_f64 v[150:151], v[152:153], v[165:166], v[150:151]
	v_div_scale_f64 v[152:153], null, v[150:151], v[150:151], 1.0
	v_rcp_f64_e32 v[167:168], v[152:153]
	v_fma_f64 v[169:170], -v[152:153], v[167:168], 1.0
	v_fma_f64 v[167:168], v[167:168], v[169:170], v[167:168]
	v_fma_f64 v[169:170], -v[152:153], v[167:168], 1.0
	v_fma_f64 v[167:168], v[167:168], v[169:170], v[167:168]
	v_div_scale_f64 v[169:170], vcc_lo, 1.0, v[150:151], 1.0
	v_mul_f64 v[171:172], v[169:170], v[167:168]
	v_fma_f64 v[152:153], -v[152:153], v[171:172], v[169:170]
	v_div_fmas_f64 v[152:153], v[152:153], v[167:168], v[171:172]
	v_div_fixup_f64 v[150:151], v[152:153], v[150:151], 1.0
	v_mul_f64 v[152:153], v[165:166], -v[150:151]
.LBB72_450:
	s_or_b32 exec_lo, exec_lo, s3
.LBB72_451:
	s_or_b32 exec_lo, exec_lo, s0
	s_mov_b32 s0, exec_lo
	v_cmpx_ne_u32_e64 v164, v158
	s_xor_b32 s0, exec_lo, s0
	s_cbranch_execz .LBB72_457
; %bb.452:
	s_mov_b32 s3, exec_lo
	v_cmpx_eq_u32_e32 21, v164
	s_cbranch_execz .LBB72_456
; %bb.453:
	v_cmp_ne_u32_e32 vcc_lo, 21, v158
	s_xor_b32 s8, s16, -1
	s_and_b32 s9, s8, vcc_lo
	s_and_saveexec_b32 s8, s9
	s_cbranch_execz .LBB72_455
; %bb.454:
	v_ashrrev_i32_e32 v159, 31, v158
	v_lshlrev_b64 v[164:165], 2, v[158:159]
	v_add_co_u32 v164, vcc_lo, v156, v164
	v_add_co_ci_u32_e64 v165, null, v157, v165, vcc_lo
	s_clause 0x1
	global_load_dword v0, v[164:165], off
	global_load_dword v159, v[156:157], off offset:84
	s_waitcnt vmcnt(1)
	global_store_dword v[156:157], v0, off offset:84
	s_waitcnt vmcnt(0)
	global_store_dword v[164:165], v159, off
.LBB72_455:
	s_or_b32 exec_lo, exec_lo, s8
	v_mov_b32_e32 v164, v158
	v_mov_b32_e32 v0, v158
.LBB72_456:
	s_or_b32 exec_lo, exec_lo, s3
.LBB72_457:
	s_andn2_saveexec_b32 s0, s0
	s_cbranch_execz .LBB72_459
; %bb.458:
	v_mov_b32_e32 v164, 21
	ds_write2_b64 v1, v[54:55], v[56:57] offset0:44 offset1:45
	ds_write2_b64 v1, v[50:51], v[52:53] offset0:46 offset1:47
	;; [unrolled: 1-line block ×15, first 2 shown]
.LBB72_459:
	s_or_b32 exec_lo, exec_lo, s0
	s_mov_b32 s0, exec_lo
	s_waitcnt lgkmcnt(0)
	s_waitcnt_vscnt null, 0x0
	s_barrier
	buffer_gl0_inv
	v_cmpx_lt_i32_e32 21, v164
	s_cbranch_execz .LBB72_461
; %bb.460:
	v_mul_f64 v[158:159], v[150:151], v[64:65]
	v_mul_f64 v[64:65], v[152:153], v[64:65]
	v_fma_f64 v[158:159], v[152:153], v[62:63], v[158:159]
	v_fma_f64 v[62:63], v[150:151], v[62:63], -v[64:65]
	ds_read2_b64 v[150:153], v1 offset0:44 offset1:45
	s_waitcnt lgkmcnt(0)
	v_mul_f64 v[64:65], v[152:153], v[158:159]
	v_fma_f64 v[64:65], v[150:151], v[62:63], -v[64:65]
	v_mul_f64 v[150:151], v[150:151], v[158:159]
	v_add_f64 v[54:55], v[54:55], -v[64:65]
	v_fma_f64 v[150:151], v[152:153], v[62:63], v[150:151]
	v_add_f64 v[56:57], v[56:57], -v[150:151]
	ds_read2_b64 v[150:153], v1 offset0:46 offset1:47
	s_waitcnt lgkmcnt(0)
	v_mul_f64 v[64:65], v[152:153], v[158:159]
	v_fma_f64 v[64:65], v[150:151], v[62:63], -v[64:65]
	v_mul_f64 v[150:151], v[150:151], v[158:159]
	v_add_f64 v[50:51], v[50:51], -v[64:65]
	v_fma_f64 v[150:151], v[152:153], v[62:63], v[150:151]
	v_add_f64 v[52:53], v[52:53], -v[150:151]
	;; [unrolled: 8-line block ×14, first 2 shown]
	ds_read2_b64 v[150:153], v1 offset0:72 offset1:73
	s_waitcnt lgkmcnt(0)
	v_mul_f64 v[64:65], v[152:153], v[158:159]
	v_fma_f64 v[64:65], v[150:151], v[62:63], -v[64:65]
	v_mul_f64 v[150:151], v[150:151], v[158:159]
	v_add_f64 v[2:3], v[2:3], -v[64:65]
	v_fma_f64 v[150:151], v[152:153], v[62:63], v[150:151]
	v_mov_b32_e32 v64, v158
	v_mov_b32_e32 v65, v159
	v_add_f64 v[4:5], v[4:5], -v[150:151]
.LBB72_461:
	s_or_b32 exec_lo, exec_lo, s0
	v_lshl_add_u32 v150, v164, 4, v1
	s_barrier
	buffer_gl0_inv
	v_mov_b32_e32 v158, 22
	ds_write2_b64 v150, v[54:55], v[56:57] offset1:1
	s_waitcnt lgkmcnt(0)
	s_barrier
	buffer_gl0_inv
	ds_read2_b64 v[150:153], v1 offset0:44 offset1:45
	s_cmp_lt_i32 s1, 24
	s_cbranch_scc1 .LBB72_464
; %bb.462:
	v_add3_u32 v159, v160, 0, 0x170
	v_mov_b32_e32 v158, 22
	s_mov_b32 s3, 23
	s_inst_prefetch 0x1
	.p2align	6
.LBB72_463:                             ; =>This Inner Loop Header: Depth=1
	s_waitcnt lgkmcnt(0)
	v_cmp_gt_f64_e32 vcc_lo, 0, v[152:153]
	v_cmp_gt_f64_e64 s0, 0, v[150:151]
	ds_read2_b64 v[165:168], v159 offset1:1
	v_xor_b32_e32 v170, 0x80000000, v151
	v_xor_b32_e32 v172, 0x80000000, v153
	v_mov_b32_e32 v169, v150
	v_mov_b32_e32 v171, v152
	v_add_nc_u32_e32 v159, 16, v159
	s_waitcnt lgkmcnt(0)
	v_xor_b32_e32 v174, 0x80000000, v168
	v_cndmask_b32_e64 v170, v151, v170, s0
	v_cndmask_b32_e32 v172, v153, v172, vcc_lo
	v_cmp_gt_f64_e32 vcc_lo, 0, v[167:168]
	v_cmp_gt_f64_e64 s0, 0, v[165:166]
	v_mov_b32_e32 v173, v167
	v_add_f64 v[169:170], v[169:170], v[171:172]
	v_xor_b32_e32 v172, 0x80000000, v166
	v_mov_b32_e32 v171, v165
	v_cndmask_b32_e32 v174, v168, v174, vcc_lo
	v_cndmask_b32_e64 v172, v166, v172, s0
	v_add_f64 v[171:172], v[171:172], v[173:174]
	v_cmp_lt_f64_e32 vcc_lo, v[169:170], v[171:172]
	v_cndmask_b32_e32 v151, v151, v166, vcc_lo
	v_cndmask_b32_e32 v150, v150, v165, vcc_lo
	;; [unrolled: 1-line block ×4, first 2 shown]
	v_cndmask_b32_e64 v158, v158, s3, vcc_lo
	s_add_i32 s3, s3, 1
	s_cmp_lg_u32 s1, s3
	s_cbranch_scc1 .LBB72_463
.LBB72_464:
	s_inst_prefetch 0x2
	s_waitcnt lgkmcnt(0)
	v_cmp_eq_f64_e32 vcc_lo, 0, v[150:151]
	v_cmp_eq_f64_e64 s0, 0, v[152:153]
	s_and_b32 s0, vcc_lo, s0
	s_and_saveexec_b32 s3, s0
	s_xor_b32 s0, exec_lo, s3
; %bb.465:
	v_cmp_ne_u32_e32 vcc_lo, 0, v163
	v_cndmask_b32_e32 v163, 23, v163, vcc_lo
; %bb.466:
	s_andn2_saveexec_b32 s0, s0
	s_cbranch_execz .LBB72_472
; %bb.467:
	v_cmp_ngt_f64_e64 s3, |v[150:151]|, |v[152:153]|
	s_and_saveexec_b32 s8, s3
	s_xor_b32 s3, exec_lo, s8
	s_cbranch_execz .LBB72_469
; %bb.468:
	v_div_scale_f64 v[165:166], null, v[152:153], v[152:153], v[150:151]
	v_div_scale_f64 v[171:172], vcc_lo, v[150:151], v[152:153], v[150:151]
	v_rcp_f64_e32 v[167:168], v[165:166]
	v_fma_f64 v[169:170], -v[165:166], v[167:168], 1.0
	v_fma_f64 v[167:168], v[167:168], v[169:170], v[167:168]
	v_fma_f64 v[169:170], -v[165:166], v[167:168], 1.0
	v_fma_f64 v[167:168], v[167:168], v[169:170], v[167:168]
	v_mul_f64 v[169:170], v[171:172], v[167:168]
	v_fma_f64 v[165:166], -v[165:166], v[169:170], v[171:172]
	v_div_fmas_f64 v[165:166], v[165:166], v[167:168], v[169:170]
	v_div_fixup_f64 v[165:166], v[165:166], v[152:153], v[150:151]
	v_fma_f64 v[150:151], v[150:151], v[165:166], v[152:153]
	v_div_scale_f64 v[152:153], null, v[150:151], v[150:151], 1.0
	v_rcp_f64_e32 v[167:168], v[152:153]
	v_fma_f64 v[169:170], -v[152:153], v[167:168], 1.0
	v_fma_f64 v[167:168], v[167:168], v[169:170], v[167:168]
	v_fma_f64 v[169:170], -v[152:153], v[167:168], 1.0
	v_fma_f64 v[167:168], v[167:168], v[169:170], v[167:168]
	v_div_scale_f64 v[169:170], vcc_lo, 1.0, v[150:151], 1.0
	v_mul_f64 v[171:172], v[169:170], v[167:168]
	v_fma_f64 v[152:153], -v[152:153], v[171:172], v[169:170]
	v_div_fmas_f64 v[152:153], v[152:153], v[167:168], v[171:172]
	v_div_fixup_f64 v[152:153], v[152:153], v[150:151], 1.0
	v_mul_f64 v[150:151], v[165:166], v[152:153]
	v_xor_b32_e32 v153, 0x80000000, v153
.LBB72_469:
	s_andn2_saveexec_b32 s3, s3
	s_cbranch_execz .LBB72_471
; %bb.470:
	v_div_scale_f64 v[165:166], null, v[150:151], v[150:151], v[152:153]
	v_div_scale_f64 v[171:172], vcc_lo, v[152:153], v[150:151], v[152:153]
	v_rcp_f64_e32 v[167:168], v[165:166]
	v_fma_f64 v[169:170], -v[165:166], v[167:168], 1.0
	v_fma_f64 v[167:168], v[167:168], v[169:170], v[167:168]
	v_fma_f64 v[169:170], -v[165:166], v[167:168], 1.0
	v_fma_f64 v[167:168], v[167:168], v[169:170], v[167:168]
	v_mul_f64 v[169:170], v[171:172], v[167:168]
	v_fma_f64 v[165:166], -v[165:166], v[169:170], v[171:172]
	v_div_fmas_f64 v[165:166], v[165:166], v[167:168], v[169:170]
	v_div_fixup_f64 v[165:166], v[165:166], v[150:151], v[152:153]
	v_fma_f64 v[150:151], v[152:153], v[165:166], v[150:151]
	v_div_scale_f64 v[152:153], null, v[150:151], v[150:151], 1.0
	v_rcp_f64_e32 v[167:168], v[152:153]
	v_fma_f64 v[169:170], -v[152:153], v[167:168], 1.0
	v_fma_f64 v[167:168], v[167:168], v[169:170], v[167:168]
	v_fma_f64 v[169:170], -v[152:153], v[167:168], 1.0
	v_fma_f64 v[167:168], v[167:168], v[169:170], v[167:168]
	v_div_scale_f64 v[169:170], vcc_lo, 1.0, v[150:151], 1.0
	v_mul_f64 v[171:172], v[169:170], v[167:168]
	v_fma_f64 v[152:153], -v[152:153], v[171:172], v[169:170]
	v_div_fmas_f64 v[152:153], v[152:153], v[167:168], v[171:172]
	v_div_fixup_f64 v[150:151], v[152:153], v[150:151], 1.0
	v_mul_f64 v[152:153], v[165:166], -v[150:151]
.LBB72_471:
	s_or_b32 exec_lo, exec_lo, s3
.LBB72_472:
	s_or_b32 exec_lo, exec_lo, s0
	s_mov_b32 s0, exec_lo
	v_cmpx_ne_u32_e64 v164, v158
	s_xor_b32 s0, exec_lo, s0
	s_cbranch_execz .LBB72_478
; %bb.473:
	s_mov_b32 s3, exec_lo
	v_cmpx_eq_u32_e32 22, v164
	s_cbranch_execz .LBB72_477
; %bb.474:
	v_cmp_ne_u32_e32 vcc_lo, 22, v158
	s_xor_b32 s8, s16, -1
	s_and_b32 s9, s8, vcc_lo
	s_and_saveexec_b32 s8, s9
	s_cbranch_execz .LBB72_476
; %bb.475:
	v_ashrrev_i32_e32 v159, 31, v158
	v_lshlrev_b64 v[164:165], 2, v[158:159]
	v_add_co_u32 v164, vcc_lo, v156, v164
	v_add_co_ci_u32_e64 v165, null, v157, v165, vcc_lo
	s_clause 0x1
	global_load_dword v0, v[164:165], off
	global_load_dword v159, v[156:157], off offset:88
	s_waitcnt vmcnt(1)
	global_store_dword v[156:157], v0, off offset:88
	s_waitcnt vmcnt(0)
	global_store_dword v[164:165], v159, off
.LBB72_476:
	s_or_b32 exec_lo, exec_lo, s8
	v_mov_b32_e32 v164, v158
	v_mov_b32_e32 v0, v158
.LBB72_477:
	s_or_b32 exec_lo, exec_lo, s3
.LBB72_478:
	s_andn2_saveexec_b32 s0, s0
	s_cbranch_execz .LBB72_480
; %bb.479:
	v_mov_b32_e32 v164, 22
	ds_write2_b64 v1, v[50:51], v[52:53] offset0:46 offset1:47
	ds_write2_b64 v1, v[58:59], v[60:61] offset0:48 offset1:49
	ds_write2_b64 v1, v[42:43], v[44:45] offset0:50 offset1:51
	ds_write2_b64 v1, v[46:47], v[48:49] offset0:52 offset1:53
	ds_write2_b64 v1, v[30:31], v[32:33] offset0:54 offset1:55
	ds_write2_b64 v1, v[38:39], v[40:41] offset0:56 offset1:57
	ds_write2_b64 v1, v[34:35], v[36:37] offset0:58 offset1:59
	ds_write2_b64 v1, v[26:27], v[28:29] offset0:60 offset1:61
	ds_write2_b64 v1, v[22:23], v[24:25] offset0:62 offset1:63
	ds_write2_b64 v1, v[6:7], v[8:9] offset0:64 offset1:65
	ds_write2_b64 v1, v[18:19], v[20:21] offset0:66 offset1:67
	ds_write2_b64 v1, v[14:15], v[16:17] offset0:68 offset1:69
	ds_write2_b64 v1, v[10:11], v[12:13] offset0:70 offset1:71
	ds_write2_b64 v1, v[2:3], v[4:5] offset0:72 offset1:73
.LBB72_480:
	s_or_b32 exec_lo, exec_lo, s0
	s_mov_b32 s0, exec_lo
	s_waitcnt lgkmcnt(0)
	s_waitcnt_vscnt null, 0x0
	s_barrier
	buffer_gl0_inv
	v_cmpx_lt_i32_e32 22, v164
	s_cbranch_execz .LBB72_482
; %bb.481:
	v_mul_f64 v[158:159], v[150:151], v[56:57]
	v_mul_f64 v[56:57], v[152:153], v[56:57]
	v_fma_f64 v[158:159], v[152:153], v[54:55], v[158:159]
	v_fma_f64 v[54:55], v[150:151], v[54:55], -v[56:57]
	ds_read2_b64 v[150:153], v1 offset0:46 offset1:47
	s_waitcnt lgkmcnt(0)
	v_mul_f64 v[56:57], v[152:153], v[158:159]
	v_fma_f64 v[56:57], v[150:151], v[54:55], -v[56:57]
	v_mul_f64 v[150:151], v[150:151], v[158:159]
	v_add_f64 v[50:51], v[50:51], -v[56:57]
	v_fma_f64 v[150:151], v[152:153], v[54:55], v[150:151]
	v_add_f64 v[52:53], v[52:53], -v[150:151]
	ds_read2_b64 v[150:153], v1 offset0:48 offset1:49
	s_waitcnt lgkmcnt(0)
	v_mul_f64 v[56:57], v[152:153], v[158:159]
	v_fma_f64 v[56:57], v[150:151], v[54:55], -v[56:57]
	v_mul_f64 v[150:151], v[150:151], v[158:159]
	v_add_f64 v[58:59], v[58:59], -v[56:57]
	v_fma_f64 v[150:151], v[152:153], v[54:55], v[150:151]
	v_add_f64 v[60:61], v[60:61], -v[150:151]
	;; [unrolled: 8-line block ×13, first 2 shown]
	ds_read2_b64 v[150:153], v1 offset0:72 offset1:73
	s_waitcnt lgkmcnt(0)
	v_mul_f64 v[56:57], v[152:153], v[158:159]
	v_fma_f64 v[56:57], v[150:151], v[54:55], -v[56:57]
	v_mul_f64 v[150:151], v[150:151], v[158:159]
	v_add_f64 v[2:3], v[2:3], -v[56:57]
	v_fma_f64 v[150:151], v[152:153], v[54:55], v[150:151]
	v_mov_b32_e32 v56, v158
	v_mov_b32_e32 v57, v159
	v_add_f64 v[4:5], v[4:5], -v[150:151]
.LBB72_482:
	s_or_b32 exec_lo, exec_lo, s0
	v_lshl_add_u32 v150, v164, 4, v1
	s_barrier
	buffer_gl0_inv
	v_mov_b32_e32 v158, 23
	ds_write2_b64 v150, v[50:51], v[52:53] offset1:1
	s_waitcnt lgkmcnt(0)
	s_barrier
	buffer_gl0_inv
	ds_read2_b64 v[150:153], v1 offset0:46 offset1:47
	s_cmp_lt_i32 s1, 25
	s_cbranch_scc1 .LBB72_485
; %bb.483:
	v_add3_u32 v159, v160, 0, 0x180
	v_mov_b32_e32 v158, 23
	s_mov_b32 s3, 24
	s_inst_prefetch 0x1
	.p2align	6
.LBB72_484:                             ; =>This Inner Loop Header: Depth=1
	s_waitcnt lgkmcnt(0)
	v_cmp_gt_f64_e32 vcc_lo, 0, v[152:153]
	v_cmp_gt_f64_e64 s0, 0, v[150:151]
	ds_read2_b64 v[165:168], v159 offset1:1
	v_xor_b32_e32 v170, 0x80000000, v151
	v_xor_b32_e32 v172, 0x80000000, v153
	v_mov_b32_e32 v169, v150
	v_mov_b32_e32 v171, v152
	v_add_nc_u32_e32 v159, 16, v159
	s_waitcnt lgkmcnt(0)
	v_xor_b32_e32 v174, 0x80000000, v168
	v_cndmask_b32_e64 v170, v151, v170, s0
	v_cndmask_b32_e32 v172, v153, v172, vcc_lo
	v_cmp_gt_f64_e32 vcc_lo, 0, v[167:168]
	v_cmp_gt_f64_e64 s0, 0, v[165:166]
	v_mov_b32_e32 v173, v167
	v_add_f64 v[169:170], v[169:170], v[171:172]
	v_xor_b32_e32 v172, 0x80000000, v166
	v_mov_b32_e32 v171, v165
	v_cndmask_b32_e32 v174, v168, v174, vcc_lo
	v_cndmask_b32_e64 v172, v166, v172, s0
	v_add_f64 v[171:172], v[171:172], v[173:174]
	v_cmp_lt_f64_e32 vcc_lo, v[169:170], v[171:172]
	v_cndmask_b32_e32 v151, v151, v166, vcc_lo
	v_cndmask_b32_e32 v150, v150, v165, vcc_lo
	;; [unrolled: 1-line block ×4, first 2 shown]
	v_cndmask_b32_e64 v158, v158, s3, vcc_lo
	s_add_i32 s3, s3, 1
	s_cmp_lg_u32 s1, s3
	s_cbranch_scc1 .LBB72_484
.LBB72_485:
	s_inst_prefetch 0x2
	s_waitcnt lgkmcnt(0)
	v_cmp_eq_f64_e32 vcc_lo, 0, v[150:151]
	v_cmp_eq_f64_e64 s0, 0, v[152:153]
	s_and_b32 s0, vcc_lo, s0
	s_and_saveexec_b32 s3, s0
	s_xor_b32 s0, exec_lo, s3
; %bb.486:
	v_cmp_ne_u32_e32 vcc_lo, 0, v163
	v_cndmask_b32_e32 v163, 24, v163, vcc_lo
; %bb.487:
	s_andn2_saveexec_b32 s0, s0
	s_cbranch_execz .LBB72_493
; %bb.488:
	v_cmp_ngt_f64_e64 s3, |v[150:151]|, |v[152:153]|
	s_and_saveexec_b32 s8, s3
	s_xor_b32 s3, exec_lo, s8
	s_cbranch_execz .LBB72_490
; %bb.489:
	v_div_scale_f64 v[165:166], null, v[152:153], v[152:153], v[150:151]
	v_div_scale_f64 v[171:172], vcc_lo, v[150:151], v[152:153], v[150:151]
	v_rcp_f64_e32 v[167:168], v[165:166]
	v_fma_f64 v[169:170], -v[165:166], v[167:168], 1.0
	v_fma_f64 v[167:168], v[167:168], v[169:170], v[167:168]
	v_fma_f64 v[169:170], -v[165:166], v[167:168], 1.0
	v_fma_f64 v[167:168], v[167:168], v[169:170], v[167:168]
	v_mul_f64 v[169:170], v[171:172], v[167:168]
	v_fma_f64 v[165:166], -v[165:166], v[169:170], v[171:172]
	v_div_fmas_f64 v[165:166], v[165:166], v[167:168], v[169:170]
	v_div_fixup_f64 v[165:166], v[165:166], v[152:153], v[150:151]
	v_fma_f64 v[150:151], v[150:151], v[165:166], v[152:153]
	v_div_scale_f64 v[152:153], null, v[150:151], v[150:151], 1.0
	v_rcp_f64_e32 v[167:168], v[152:153]
	v_fma_f64 v[169:170], -v[152:153], v[167:168], 1.0
	v_fma_f64 v[167:168], v[167:168], v[169:170], v[167:168]
	v_fma_f64 v[169:170], -v[152:153], v[167:168], 1.0
	v_fma_f64 v[167:168], v[167:168], v[169:170], v[167:168]
	v_div_scale_f64 v[169:170], vcc_lo, 1.0, v[150:151], 1.0
	v_mul_f64 v[171:172], v[169:170], v[167:168]
	v_fma_f64 v[152:153], -v[152:153], v[171:172], v[169:170]
	v_div_fmas_f64 v[152:153], v[152:153], v[167:168], v[171:172]
	v_div_fixup_f64 v[152:153], v[152:153], v[150:151], 1.0
	v_mul_f64 v[150:151], v[165:166], v[152:153]
	v_xor_b32_e32 v153, 0x80000000, v153
.LBB72_490:
	s_andn2_saveexec_b32 s3, s3
	s_cbranch_execz .LBB72_492
; %bb.491:
	v_div_scale_f64 v[165:166], null, v[150:151], v[150:151], v[152:153]
	v_div_scale_f64 v[171:172], vcc_lo, v[152:153], v[150:151], v[152:153]
	v_rcp_f64_e32 v[167:168], v[165:166]
	v_fma_f64 v[169:170], -v[165:166], v[167:168], 1.0
	v_fma_f64 v[167:168], v[167:168], v[169:170], v[167:168]
	v_fma_f64 v[169:170], -v[165:166], v[167:168], 1.0
	v_fma_f64 v[167:168], v[167:168], v[169:170], v[167:168]
	v_mul_f64 v[169:170], v[171:172], v[167:168]
	v_fma_f64 v[165:166], -v[165:166], v[169:170], v[171:172]
	v_div_fmas_f64 v[165:166], v[165:166], v[167:168], v[169:170]
	v_div_fixup_f64 v[165:166], v[165:166], v[150:151], v[152:153]
	v_fma_f64 v[150:151], v[152:153], v[165:166], v[150:151]
	v_div_scale_f64 v[152:153], null, v[150:151], v[150:151], 1.0
	v_rcp_f64_e32 v[167:168], v[152:153]
	v_fma_f64 v[169:170], -v[152:153], v[167:168], 1.0
	v_fma_f64 v[167:168], v[167:168], v[169:170], v[167:168]
	v_fma_f64 v[169:170], -v[152:153], v[167:168], 1.0
	v_fma_f64 v[167:168], v[167:168], v[169:170], v[167:168]
	v_div_scale_f64 v[169:170], vcc_lo, 1.0, v[150:151], 1.0
	v_mul_f64 v[171:172], v[169:170], v[167:168]
	v_fma_f64 v[152:153], -v[152:153], v[171:172], v[169:170]
	v_div_fmas_f64 v[152:153], v[152:153], v[167:168], v[171:172]
	v_div_fixup_f64 v[150:151], v[152:153], v[150:151], 1.0
	v_mul_f64 v[152:153], v[165:166], -v[150:151]
.LBB72_492:
	s_or_b32 exec_lo, exec_lo, s3
.LBB72_493:
	s_or_b32 exec_lo, exec_lo, s0
	s_mov_b32 s0, exec_lo
	v_cmpx_ne_u32_e64 v164, v158
	s_xor_b32 s0, exec_lo, s0
	s_cbranch_execz .LBB72_499
; %bb.494:
	s_mov_b32 s3, exec_lo
	v_cmpx_eq_u32_e32 23, v164
	s_cbranch_execz .LBB72_498
; %bb.495:
	v_cmp_ne_u32_e32 vcc_lo, 23, v158
	s_xor_b32 s8, s16, -1
	s_and_b32 s9, s8, vcc_lo
	s_and_saveexec_b32 s8, s9
	s_cbranch_execz .LBB72_497
; %bb.496:
	v_ashrrev_i32_e32 v159, 31, v158
	v_lshlrev_b64 v[164:165], 2, v[158:159]
	v_add_co_u32 v164, vcc_lo, v156, v164
	v_add_co_ci_u32_e64 v165, null, v157, v165, vcc_lo
	s_clause 0x1
	global_load_dword v0, v[164:165], off
	global_load_dword v159, v[156:157], off offset:92
	s_waitcnt vmcnt(1)
	global_store_dword v[156:157], v0, off offset:92
	s_waitcnt vmcnt(0)
	global_store_dword v[164:165], v159, off
.LBB72_497:
	s_or_b32 exec_lo, exec_lo, s8
	v_mov_b32_e32 v164, v158
	v_mov_b32_e32 v0, v158
.LBB72_498:
	s_or_b32 exec_lo, exec_lo, s3
.LBB72_499:
	s_andn2_saveexec_b32 s0, s0
	s_cbranch_execz .LBB72_501
; %bb.500:
	v_mov_b32_e32 v164, 23
	ds_write2_b64 v1, v[58:59], v[60:61] offset0:48 offset1:49
	ds_write2_b64 v1, v[42:43], v[44:45] offset0:50 offset1:51
	;; [unrolled: 1-line block ×13, first 2 shown]
.LBB72_501:
	s_or_b32 exec_lo, exec_lo, s0
	s_mov_b32 s0, exec_lo
	s_waitcnt lgkmcnt(0)
	s_waitcnt_vscnt null, 0x0
	s_barrier
	buffer_gl0_inv
	v_cmpx_lt_i32_e32 23, v164
	s_cbranch_execz .LBB72_503
; %bb.502:
	v_mul_f64 v[158:159], v[150:151], v[52:53]
	v_mul_f64 v[52:53], v[152:153], v[52:53]
	v_fma_f64 v[158:159], v[152:153], v[50:51], v[158:159]
	v_fma_f64 v[50:51], v[150:151], v[50:51], -v[52:53]
	ds_read2_b64 v[150:153], v1 offset0:48 offset1:49
	s_waitcnt lgkmcnt(0)
	v_mul_f64 v[52:53], v[152:153], v[158:159]
	v_fma_f64 v[52:53], v[150:151], v[50:51], -v[52:53]
	v_mul_f64 v[150:151], v[150:151], v[158:159]
	v_add_f64 v[58:59], v[58:59], -v[52:53]
	v_fma_f64 v[150:151], v[152:153], v[50:51], v[150:151]
	v_add_f64 v[60:61], v[60:61], -v[150:151]
	ds_read2_b64 v[150:153], v1 offset0:50 offset1:51
	s_waitcnt lgkmcnt(0)
	v_mul_f64 v[52:53], v[152:153], v[158:159]
	v_fma_f64 v[52:53], v[150:151], v[50:51], -v[52:53]
	v_mul_f64 v[150:151], v[150:151], v[158:159]
	v_add_f64 v[42:43], v[42:43], -v[52:53]
	v_fma_f64 v[150:151], v[152:153], v[50:51], v[150:151]
	v_add_f64 v[44:45], v[44:45], -v[150:151]
	;; [unrolled: 8-line block ×12, first 2 shown]
	ds_read2_b64 v[150:153], v1 offset0:72 offset1:73
	s_waitcnt lgkmcnt(0)
	v_mul_f64 v[52:53], v[152:153], v[158:159]
	v_fma_f64 v[52:53], v[150:151], v[50:51], -v[52:53]
	v_mul_f64 v[150:151], v[150:151], v[158:159]
	v_add_f64 v[2:3], v[2:3], -v[52:53]
	v_fma_f64 v[150:151], v[152:153], v[50:51], v[150:151]
	v_mov_b32_e32 v52, v158
	v_mov_b32_e32 v53, v159
	v_add_f64 v[4:5], v[4:5], -v[150:151]
.LBB72_503:
	s_or_b32 exec_lo, exec_lo, s0
	v_lshl_add_u32 v150, v164, 4, v1
	s_barrier
	buffer_gl0_inv
	v_mov_b32_e32 v158, 24
	ds_write2_b64 v150, v[58:59], v[60:61] offset1:1
	s_waitcnt lgkmcnt(0)
	s_barrier
	buffer_gl0_inv
	ds_read2_b64 v[150:153], v1 offset0:48 offset1:49
	s_cmp_lt_i32 s1, 26
	s_cbranch_scc1 .LBB72_506
; %bb.504:
	v_add3_u32 v159, v160, 0, 0x190
	v_mov_b32_e32 v158, 24
	s_mov_b32 s3, 25
	s_inst_prefetch 0x1
	.p2align	6
.LBB72_505:                             ; =>This Inner Loop Header: Depth=1
	s_waitcnt lgkmcnt(0)
	v_cmp_gt_f64_e32 vcc_lo, 0, v[152:153]
	v_cmp_gt_f64_e64 s0, 0, v[150:151]
	ds_read2_b64 v[165:168], v159 offset1:1
	v_xor_b32_e32 v170, 0x80000000, v151
	v_xor_b32_e32 v172, 0x80000000, v153
	v_mov_b32_e32 v169, v150
	v_mov_b32_e32 v171, v152
	v_add_nc_u32_e32 v159, 16, v159
	s_waitcnt lgkmcnt(0)
	v_xor_b32_e32 v174, 0x80000000, v168
	v_cndmask_b32_e64 v170, v151, v170, s0
	v_cndmask_b32_e32 v172, v153, v172, vcc_lo
	v_cmp_gt_f64_e32 vcc_lo, 0, v[167:168]
	v_cmp_gt_f64_e64 s0, 0, v[165:166]
	v_mov_b32_e32 v173, v167
	v_add_f64 v[169:170], v[169:170], v[171:172]
	v_xor_b32_e32 v172, 0x80000000, v166
	v_mov_b32_e32 v171, v165
	v_cndmask_b32_e32 v174, v168, v174, vcc_lo
	v_cndmask_b32_e64 v172, v166, v172, s0
	v_add_f64 v[171:172], v[171:172], v[173:174]
	v_cmp_lt_f64_e32 vcc_lo, v[169:170], v[171:172]
	v_cndmask_b32_e32 v151, v151, v166, vcc_lo
	v_cndmask_b32_e32 v150, v150, v165, vcc_lo
	;; [unrolled: 1-line block ×4, first 2 shown]
	v_cndmask_b32_e64 v158, v158, s3, vcc_lo
	s_add_i32 s3, s3, 1
	s_cmp_lg_u32 s1, s3
	s_cbranch_scc1 .LBB72_505
.LBB72_506:
	s_inst_prefetch 0x2
	s_waitcnt lgkmcnt(0)
	v_cmp_eq_f64_e32 vcc_lo, 0, v[150:151]
	v_cmp_eq_f64_e64 s0, 0, v[152:153]
	s_and_b32 s0, vcc_lo, s0
	s_and_saveexec_b32 s3, s0
	s_xor_b32 s0, exec_lo, s3
; %bb.507:
	v_cmp_ne_u32_e32 vcc_lo, 0, v163
	v_cndmask_b32_e32 v163, 25, v163, vcc_lo
; %bb.508:
	s_andn2_saveexec_b32 s0, s0
	s_cbranch_execz .LBB72_514
; %bb.509:
	v_cmp_ngt_f64_e64 s3, |v[150:151]|, |v[152:153]|
	s_and_saveexec_b32 s8, s3
	s_xor_b32 s3, exec_lo, s8
	s_cbranch_execz .LBB72_511
; %bb.510:
	v_div_scale_f64 v[165:166], null, v[152:153], v[152:153], v[150:151]
	v_div_scale_f64 v[171:172], vcc_lo, v[150:151], v[152:153], v[150:151]
	v_rcp_f64_e32 v[167:168], v[165:166]
	v_fma_f64 v[169:170], -v[165:166], v[167:168], 1.0
	v_fma_f64 v[167:168], v[167:168], v[169:170], v[167:168]
	v_fma_f64 v[169:170], -v[165:166], v[167:168], 1.0
	v_fma_f64 v[167:168], v[167:168], v[169:170], v[167:168]
	v_mul_f64 v[169:170], v[171:172], v[167:168]
	v_fma_f64 v[165:166], -v[165:166], v[169:170], v[171:172]
	v_div_fmas_f64 v[165:166], v[165:166], v[167:168], v[169:170]
	v_div_fixup_f64 v[165:166], v[165:166], v[152:153], v[150:151]
	v_fma_f64 v[150:151], v[150:151], v[165:166], v[152:153]
	v_div_scale_f64 v[152:153], null, v[150:151], v[150:151], 1.0
	v_rcp_f64_e32 v[167:168], v[152:153]
	v_fma_f64 v[169:170], -v[152:153], v[167:168], 1.0
	v_fma_f64 v[167:168], v[167:168], v[169:170], v[167:168]
	v_fma_f64 v[169:170], -v[152:153], v[167:168], 1.0
	v_fma_f64 v[167:168], v[167:168], v[169:170], v[167:168]
	v_div_scale_f64 v[169:170], vcc_lo, 1.0, v[150:151], 1.0
	v_mul_f64 v[171:172], v[169:170], v[167:168]
	v_fma_f64 v[152:153], -v[152:153], v[171:172], v[169:170]
	v_div_fmas_f64 v[152:153], v[152:153], v[167:168], v[171:172]
	v_div_fixup_f64 v[152:153], v[152:153], v[150:151], 1.0
	v_mul_f64 v[150:151], v[165:166], v[152:153]
	v_xor_b32_e32 v153, 0x80000000, v153
.LBB72_511:
	s_andn2_saveexec_b32 s3, s3
	s_cbranch_execz .LBB72_513
; %bb.512:
	v_div_scale_f64 v[165:166], null, v[150:151], v[150:151], v[152:153]
	v_div_scale_f64 v[171:172], vcc_lo, v[152:153], v[150:151], v[152:153]
	v_rcp_f64_e32 v[167:168], v[165:166]
	v_fma_f64 v[169:170], -v[165:166], v[167:168], 1.0
	v_fma_f64 v[167:168], v[167:168], v[169:170], v[167:168]
	v_fma_f64 v[169:170], -v[165:166], v[167:168], 1.0
	v_fma_f64 v[167:168], v[167:168], v[169:170], v[167:168]
	v_mul_f64 v[169:170], v[171:172], v[167:168]
	v_fma_f64 v[165:166], -v[165:166], v[169:170], v[171:172]
	v_div_fmas_f64 v[165:166], v[165:166], v[167:168], v[169:170]
	v_div_fixup_f64 v[165:166], v[165:166], v[150:151], v[152:153]
	v_fma_f64 v[150:151], v[152:153], v[165:166], v[150:151]
	v_div_scale_f64 v[152:153], null, v[150:151], v[150:151], 1.0
	v_rcp_f64_e32 v[167:168], v[152:153]
	v_fma_f64 v[169:170], -v[152:153], v[167:168], 1.0
	v_fma_f64 v[167:168], v[167:168], v[169:170], v[167:168]
	v_fma_f64 v[169:170], -v[152:153], v[167:168], 1.0
	v_fma_f64 v[167:168], v[167:168], v[169:170], v[167:168]
	v_div_scale_f64 v[169:170], vcc_lo, 1.0, v[150:151], 1.0
	v_mul_f64 v[171:172], v[169:170], v[167:168]
	v_fma_f64 v[152:153], -v[152:153], v[171:172], v[169:170]
	v_div_fmas_f64 v[152:153], v[152:153], v[167:168], v[171:172]
	v_div_fixup_f64 v[150:151], v[152:153], v[150:151], 1.0
	v_mul_f64 v[152:153], v[165:166], -v[150:151]
.LBB72_513:
	s_or_b32 exec_lo, exec_lo, s3
.LBB72_514:
	s_or_b32 exec_lo, exec_lo, s0
	s_mov_b32 s0, exec_lo
	v_cmpx_ne_u32_e64 v164, v158
	s_xor_b32 s0, exec_lo, s0
	s_cbranch_execz .LBB72_520
; %bb.515:
	s_mov_b32 s3, exec_lo
	v_cmpx_eq_u32_e32 24, v164
	s_cbranch_execz .LBB72_519
; %bb.516:
	v_cmp_ne_u32_e32 vcc_lo, 24, v158
	s_xor_b32 s8, s16, -1
	s_and_b32 s9, s8, vcc_lo
	s_and_saveexec_b32 s8, s9
	s_cbranch_execz .LBB72_518
; %bb.517:
	v_ashrrev_i32_e32 v159, 31, v158
	v_lshlrev_b64 v[164:165], 2, v[158:159]
	v_add_co_u32 v164, vcc_lo, v156, v164
	v_add_co_ci_u32_e64 v165, null, v157, v165, vcc_lo
	s_clause 0x1
	global_load_dword v0, v[164:165], off
	global_load_dword v159, v[156:157], off offset:96
	s_waitcnt vmcnt(1)
	global_store_dword v[156:157], v0, off offset:96
	s_waitcnt vmcnt(0)
	global_store_dword v[164:165], v159, off
.LBB72_518:
	s_or_b32 exec_lo, exec_lo, s8
	v_mov_b32_e32 v164, v158
	v_mov_b32_e32 v0, v158
.LBB72_519:
	s_or_b32 exec_lo, exec_lo, s3
.LBB72_520:
	s_andn2_saveexec_b32 s0, s0
	s_cbranch_execz .LBB72_522
; %bb.521:
	v_mov_b32_e32 v164, 24
	ds_write2_b64 v1, v[42:43], v[44:45] offset0:50 offset1:51
	ds_write2_b64 v1, v[46:47], v[48:49] offset0:52 offset1:53
	;; [unrolled: 1-line block ×12, first 2 shown]
.LBB72_522:
	s_or_b32 exec_lo, exec_lo, s0
	s_mov_b32 s0, exec_lo
	s_waitcnt lgkmcnt(0)
	s_waitcnt_vscnt null, 0x0
	s_barrier
	buffer_gl0_inv
	v_cmpx_lt_i32_e32 24, v164
	s_cbranch_execz .LBB72_524
; %bb.523:
	v_mul_f64 v[158:159], v[150:151], v[60:61]
	v_mul_f64 v[60:61], v[152:153], v[60:61]
	v_fma_f64 v[158:159], v[152:153], v[58:59], v[158:159]
	v_fma_f64 v[58:59], v[150:151], v[58:59], -v[60:61]
	ds_read2_b64 v[150:153], v1 offset0:50 offset1:51
	s_waitcnt lgkmcnt(0)
	v_mul_f64 v[60:61], v[152:153], v[158:159]
	v_fma_f64 v[60:61], v[150:151], v[58:59], -v[60:61]
	v_mul_f64 v[150:151], v[150:151], v[158:159]
	v_add_f64 v[42:43], v[42:43], -v[60:61]
	v_fma_f64 v[150:151], v[152:153], v[58:59], v[150:151]
	v_add_f64 v[44:45], v[44:45], -v[150:151]
	ds_read2_b64 v[150:153], v1 offset0:52 offset1:53
	s_waitcnt lgkmcnt(0)
	v_mul_f64 v[60:61], v[152:153], v[158:159]
	v_fma_f64 v[60:61], v[150:151], v[58:59], -v[60:61]
	v_mul_f64 v[150:151], v[150:151], v[158:159]
	v_add_f64 v[46:47], v[46:47], -v[60:61]
	v_fma_f64 v[150:151], v[152:153], v[58:59], v[150:151]
	v_add_f64 v[48:49], v[48:49], -v[150:151]
	;; [unrolled: 8-line block ×11, first 2 shown]
	ds_read2_b64 v[150:153], v1 offset0:72 offset1:73
	s_waitcnt lgkmcnt(0)
	v_mul_f64 v[60:61], v[152:153], v[158:159]
	v_fma_f64 v[60:61], v[150:151], v[58:59], -v[60:61]
	v_mul_f64 v[150:151], v[150:151], v[158:159]
	v_add_f64 v[2:3], v[2:3], -v[60:61]
	v_fma_f64 v[150:151], v[152:153], v[58:59], v[150:151]
	v_mov_b32_e32 v60, v158
	v_mov_b32_e32 v61, v159
	v_add_f64 v[4:5], v[4:5], -v[150:151]
.LBB72_524:
	s_or_b32 exec_lo, exec_lo, s0
	v_lshl_add_u32 v150, v164, 4, v1
	s_barrier
	buffer_gl0_inv
	v_mov_b32_e32 v158, 25
	ds_write2_b64 v150, v[42:43], v[44:45] offset1:1
	s_waitcnt lgkmcnt(0)
	s_barrier
	buffer_gl0_inv
	ds_read2_b64 v[150:153], v1 offset0:50 offset1:51
	s_cmp_lt_i32 s1, 27
	s_cbranch_scc1 .LBB72_527
; %bb.525:
	v_add3_u32 v159, v160, 0, 0x1a0
	v_mov_b32_e32 v158, 25
	s_mov_b32 s3, 26
	s_inst_prefetch 0x1
	.p2align	6
.LBB72_526:                             ; =>This Inner Loop Header: Depth=1
	s_waitcnt lgkmcnt(0)
	v_cmp_gt_f64_e32 vcc_lo, 0, v[152:153]
	v_cmp_gt_f64_e64 s0, 0, v[150:151]
	ds_read2_b64 v[165:168], v159 offset1:1
	v_xor_b32_e32 v170, 0x80000000, v151
	v_xor_b32_e32 v172, 0x80000000, v153
	v_mov_b32_e32 v169, v150
	v_mov_b32_e32 v171, v152
	v_add_nc_u32_e32 v159, 16, v159
	s_waitcnt lgkmcnt(0)
	v_xor_b32_e32 v174, 0x80000000, v168
	v_cndmask_b32_e64 v170, v151, v170, s0
	v_cndmask_b32_e32 v172, v153, v172, vcc_lo
	v_cmp_gt_f64_e32 vcc_lo, 0, v[167:168]
	v_cmp_gt_f64_e64 s0, 0, v[165:166]
	v_mov_b32_e32 v173, v167
	v_add_f64 v[169:170], v[169:170], v[171:172]
	v_xor_b32_e32 v172, 0x80000000, v166
	v_mov_b32_e32 v171, v165
	v_cndmask_b32_e32 v174, v168, v174, vcc_lo
	v_cndmask_b32_e64 v172, v166, v172, s0
	v_add_f64 v[171:172], v[171:172], v[173:174]
	v_cmp_lt_f64_e32 vcc_lo, v[169:170], v[171:172]
	v_cndmask_b32_e32 v151, v151, v166, vcc_lo
	v_cndmask_b32_e32 v150, v150, v165, vcc_lo
	;; [unrolled: 1-line block ×4, first 2 shown]
	v_cndmask_b32_e64 v158, v158, s3, vcc_lo
	s_add_i32 s3, s3, 1
	s_cmp_lg_u32 s1, s3
	s_cbranch_scc1 .LBB72_526
.LBB72_527:
	s_inst_prefetch 0x2
	s_waitcnt lgkmcnt(0)
	v_cmp_eq_f64_e32 vcc_lo, 0, v[150:151]
	v_cmp_eq_f64_e64 s0, 0, v[152:153]
	s_and_b32 s0, vcc_lo, s0
	s_and_saveexec_b32 s3, s0
	s_xor_b32 s0, exec_lo, s3
; %bb.528:
	v_cmp_ne_u32_e32 vcc_lo, 0, v163
	v_cndmask_b32_e32 v163, 26, v163, vcc_lo
; %bb.529:
	s_andn2_saveexec_b32 s0, s0
	s_cbranch_execz .LBB72_535
; %bb.530:
	v_cmp_ngt_f64_e64 s3, |v[150:151]|, |v[152:153]|
	s_and_saveexec_b32 s8, s3
	s_xor_b32 s3, exec_lo, s8
	s_cbranch_execz .LBB72_532
; %bb.531:
	v_div_scale_f64 v[165:166], null, v[152:153], v[152:153], v[150:151]
	v_div_scale_f64 v[171:172], vcc_lo, v[150:151], v[152:153], v[150:151]
	v_rcp_f64_e32 v[167:168], v[165:166]
	v_fma_f64 v[169:170], -v[165:166], v[167:168], 1.0
	v_fma_f64 v[167:168], v[167:168], v[169:170], v[167:168]
	v_fma_f64 v[169:170], -v[165:166], v[167:168], 1.0
	v_fma_f64 v[167:168], v[167:168], v[169:170], v[167:168]
	v_mul_f64 v[169:170], v[171:172], v[167:168]
	v_fma_f64 v[165:166], -v[165:166], v[169:170], v[171:172]
	v_div_fmas_f64 v[165:166], v[165:166], v[167:168], v[169:170]
	v_div_fixup_f64 v[165:166], v[165:166], v[152:153], v[150:151]
	v_fma_f64 v[150:151], v[150:151], v[165:166], v[152:153]
	v_div_scale_f64 v[152:153], null, v[150:151], v[150:151], 1.0
	v_rcp_f64_e32 v[167:168], v[152:153]
	v_fma_f64 v[169:170], -v[152:153], v[167:168], 1.0
	v_fma_f64 v[167:168], v[167:168], v[169:170], v[167:168]
	v_fma_f64 v[169:170], -v[152:153], v[167:168], 1.0
	v_fma_f64 v[167:168], v[167:168], v[169:170], v[167:168]
	v_div_scale_f64 v[169:170], vcc_lo, 1.0, v[150:151], 1.0
	v_mul_f64 v[171:172], v[169:170], v[167:168]
	v_fma_f64 v[152:153], -v[152:153], v[171:172], v[169:170]
	v_div_fmas_f64 v[152:153], v[152:153], v[167:168], v[171:172]
	v_div_fixup_f64 v[152:153], v[152:153], v[150:151], 1.0
	v_mul_f64 v[150:151], v[165:166], v[152:153]
	v_xor_b32_e32 v153, 0x80000000, v153
.LBB72_532:
	s_andn2_saveexec_b32 s3, s3
	s_cbranch_execz .LBB72_534
; %bb.533:
	v_div_scale_f64 v[165:166], null, v[150:151], v[150:151], v[152:153]
	v_div_scale_f64 v[171:172], vcc_lo, v[152:153], v[150:151], v[152:153]
	v_rcp_f64_e32 v[167:168], v[165:166]
	v_fma_f64 v[169:170], -v[165:166], v[167:168], 1.0
	v_fma_f64 v[167:168], v[167:168], v[169:170], v[167:168]
	v_fma_f64 v[169:170], -v[165:166], v[167:168], 1.0
	v_fma_f64 v[167:168], v[167:168], v[169:170], v[167:168]
	v_mul_f64 v[169:170], v[171:172], v[167:168]
	v_fma_f64 v[165:166], -v[165:166], v[169:170], v[171:172]
	v_div_fmas_f64 v[165:166], v[165:166], v[167:168], v[169:170]
	v_div_fixup_f64 v[165:166], v[165:166], v[150:151], v[152:153]
	v_fma_f64 v[150:151], v[152:153], v[165:166], v[150:151]
	v_div_scale_f64 v[152:153], null, v[150:151], v[150:151], 1.0
	v_rcp_f64_e32 v[167:168], v[152:153]
	v_fma_f64 v[169:170], -v[152:153], v[167:168], 1.0
	v_fma_f64 v[167:168], v[167:168], v[169:170], v[167:168]
	v_fma_f64 v[169:170], -v[152:153], v[167:168], 1.0
	v_fma_f64 v[167:168], v[167:168], v[169:170], v[167:168]
	v_div_scale_f64 v[169:170], vcc_lo, 1.0, v[150:151], 1.0
	v_mul_f64 v[171:172], v[169:170], v[167:168]
	v_fma_f64 v[152:153], -v[152:153], v[171:172], v[169:170]
	v_div_fmas_f64 v[152:153], v[152:153], v[167:168], v[171:172]
	v_div_fixup_f64 v[150:151], v[152:153], v[150:151], 1.0
	v_mul_f64 v[152:153], v[165:166], -v[150:151]
.LBB72_534:
	s_or_b32 exec_lo, exec_lo, s3
.LBB72_535:
	s_or_b32 exec_lo, exec_lo, s0
	s_mov_b32 s0, exec_lo
	v_cmpx_ne_u32_e64 v164, v158
	s_xor_b32 s0, exec_lo, s0
	s_cbranch_execz .LBB72_541
; %bb.536:
	s_mov_b32 s3, exec_lo
	v_cmpx_eq_u32_e32 25, v164
	s_cbranch_execz .LBB72_540
; %bb.537:
	v_cmp_ne_u32_e32 vcc_lo, 25, v158
	s_xor_b32 s8, s16, -1
	s_and_b32 s9, s8, vcc_lo
	s_and_saveexec_b32 s8, s9
	s_cbranch_execz .LBB72_539
; %bb.538:
	v_ashrrev_i32_e32 v159, 31, v158
	v_lshlrev_b64 v[164:165], 2, v[158:159]
	v_add_co_u32 v164, vcc_lo, v156, v164
	v_add_co_ci_u32_e64 v165, null, v157, v165, vcc_lo
	s_clause 0x1
	global_load_dword v0, v[164:165], off
	global_load_dword v159, v[156:157], off offset:100
	s_waitcnt vmcnt(1)
	global_store_dword v[156:157], v0, off offset:100
	s_waitcnt vmcnt(0)
	global_store_dword v[164:165], v159, off
.LBB72_539:
	s_or_b32 exec_lo, exec_lo, s8
	v_mov_b32_e32 v164, v158
	v_mov_b32_e32 v0, v158
.LBB72_540:
	s_or_b32 exec_lo, exec_lo, s3
.LBB72_541:
	s_andn2_saveexec_b32 s0, s0
	s_cbranch_execz .LBB72_543
; %bb.542:
	v_mov_b32_e32 v164, 25
	ds_write2_b64 v1, v[46:47], v[48:49] offset0:52 offset1:53
	ds_write2_b64 v1, v[30:31], v[32:33] offset0:54 offset1:55
	;; [unrolled: 1-line block ×11, first 2 shown]
.LBB72_543:
	s_or_b32 exec_lo, exec_lo, s0
	s_mov_b32 s0, exec_lo
	s_waitcnt lgkmcnt(0)
	s_waitcnt_vscnt null, 0x0
	s_barrier
	buffer_gl0_inv
	v_cmpx_lt_i32_e32 25, v164
	s_cbranch_execz .LBB72_545
; %bb.544:
	v_mul_f64 v[158:159], v[150:151], v[44:45]
	v_mul_f64 v[44:45], v[152:153], v[44:45]
	v_fma_f64 v[158:159], v[152:153], v[42:43], v[158:159]
	v_fma_f64 v[42:43], v[150:151], v[42:43], -v[44:45]
	ds_read2_b64 v[150:153], v1 offset0:52 offset1:53
	s_waitcnt lgkmcnt(0)
	v_mul_f64 v[44:45], v[152:153], v[158:159]
	v_fma_f64 v[44:45], v[150:151], v[42:43], -v[44:45]
	v_mul_f64 v[150:151], v[150:151], v[158:159]
	v_add_f64 v[46:47], v[46:47], -v[44:45]
	v_fma_f64 v[150:151], v[152:153], v[42:43], v[150:151]
	v_add_f64 v[48:49], v[48:49], -v[150:151]
	ds_read2_b64 v[150:153], v1 offset0:54 offset1:55
	s_waitcnt lgkmcnt(0)
	v_mul_f64 v[44:45], v[152:153], v[158:159]
	v_fma_f64 v[44:45], v[150:151], v[42:43], -v[44:45]
	v_mul_f64 v[150:151], v[150:151], v[158:159]
	v_add_f64 v[30:31], v[30:31], -v[44:45]
	v_fma_f64 v[150:151], v[152:153], v[42:43], v[150:151]
	v_add_f64 v[32:33], v[32:33], -v[150:151]
	;; [unrolled: 8-line block ×10, first 2 shown]
	ds_read2_b64 v[150:153], v1 offset0:72 offset1:73
	s_waitcnt lgkmcnt(0)
	v_mul_f64 v[44:45], v[152:153], v[158:159]
	v_fma_f64 v[44:45], v[150:151], v[42:43], -v[44:45]
	v_mul_f64 v[150:151], v[150:151], v[158:159]
	v_add_f64 v[2:3], v[2:3], -v[44:45]
	v_fma_f64 v[150:151], v[152:153], v[42:43], v[150:151]
	v_mov_b32_e32 v44, v158
	v_mov_b32_e32 v45, v159
	v_add_f64 v[4:5], v[4:5], -v[150:151]
.LBB72_545:
	s_or_b32 exec_lo, exec_lo, s0
	v_lshl_add_u32 v150, v164, 4, v1
	s_barrier
	buffer_gl0_inv
	v_mov_b32_e32 v158, 26
	ds_write2_b64 v150, v[46:47], v[48:49] offset1:1
	s_waitcnt lgkmcnt(0)
	s_barrier
	buffer_gl0_inv
	ds_read2_b64 v[150:153], v1 offset0:52 offset1:53
	s_cmp_lt_i32 s1, 28
	s_cbranch_scc1 .LBB72_548
; %bb.546:
	v_add3_u32 v159, v160, 0, 0x1b0
	v_mov_b32_e32 v158, 26
	s_mov_b32 s3, 27
	s_inst_prefetch 0x1
	.p2align	6
.LBB72_547:                             ; =>This Inner Loop Header: Depth=1
	s_waitcnt lgkmcnt(0)
	v_cmp_gt_f64_e32 vcc_lo, 0, v[152:153]
	v_cmp_gt_f64_e64 s0, 0, v[150:151]
	ds_read2_b64 v[165:168], v159 offset1:1
	v_xor_b32_e32 v170, 0x80000000, v151
	v_xor_b32_e32 v172, 0x80000000, v153
	v_mov_b32_e32 v169, v150
	v_mov_b32_e32 v171, v152
	v_add_nc_u32_e32 v159, 16, v159
	s_waitcnt lgkmcnt(0)
	v_xor_b32_e32 v174, 0x80000000, v168
	v_cndmask_b32_e64 v170, v151, v170, s0
	v_cndmask_b32_e32 v172, v153, v172, vcc_lo
	v_cmp_gt_f64_e32 vcc_lo, 0, v[167:168]
	v_cmp_gt_f64_e64 s0, 0, v[165:166]
	v_mov_b32_e32 v173, v167
	v_add_f64 v[169:170], v[169:170], v[171:172]
	v_xor_b32_e32 v172, 0x80000000, v166
	v_mov_b32_e32 v171, v165
	v_cndmask_b32_e32 v174, v168, v174, vcc_lo
	v_cndmask_b32_e64 v172, v166, v172, s0
	v_add_f64 v[171:172], v[171:172], v[173:174]
	v_cmp_lt_f64_e32 vcc_lo, v[169:170], v[171:172]
	v_cndmask_b32_e32 v151, v151, v166, vcc_lo
	v_cndmask_b32_e32 v150, v150, v165, vcc_lo
	;; [unrolled: 1-line block ×4, first 2 shown]
	v_cndmask_b32_e64 v158, v158, s3, vcc_lo
	s_add_i32 s3, s3, 1
	s_cmp_lg_u32 s1, s3
	s_cbranch_scc1 .LBB72_547
.LBB72_548:
	s_inst_prefetch 0x2
	s_waitcnt lgkmcnt(0)
	v_cmp_eq_f64_e32 vcc_lo, 0, v[150:151]
	v_cmp_eq_f64_e64 s0, 0, v[152:153]
	s_and_b32 s0, vcc_lo, s0
	s_and_saveexec_b32 s3, s0
	s_xor_b32 s0, exec_lo, s3
; %bb.549:
	v_cmp_ne_u32_e32 vcc_lo, 0, v163
	v_cndmask_b32_e32 v163, 27, v163, vcc_lo
; %bb.550:
	s_andn2_saveexec_b32 s0, s0
	s_cbranch_execz .LBB72_556
; %bb.551:
	v_cmp_ngt_f64_e64 s3, |v[150:151]|, |v[152:153]|
	s_and_saveexec_b32 s8, s3
	s_xor_b32 s3, exec_lo, s8
	s_cbranch_execz .LBB72_553
; %bb.552:
	v_div_scale_f64 v[165:166], null, v[152:153], v[152:153], v[150:151]
	v_div_scale_f64 v[171:172], vcc_lo, v[150:151], v[152:153], v[150:151]
	v_rcp_f64_e32 v[167:168], v[165:166]
	v_fma_f64 v[169:170], -v[165:166], v[167:168], 1.0
	v_fma_f64 v[167:168], v[167:168], v[169:170], v[167:168]
	v_fma_f64 v[169:170], -v[165:166], v[167:168], 1.0
	v_fma_f64 v[167:168], v[167:168], v[169:170], v[167:168]
	v_mul_f64 v[169:170], v[171:172], v[167:168]
	v_fma_f64 v[165:166], -v[165:166], v[169:170], v[171:172]
	v_div_fmas_f64 v[165:166], v[165:166], v[167:168], v[169:170]
	v_div_fixup_f64 v[165:166], v[165:166], v[152:153], v[150:151]
	v_fma_f64 v[150:151], v[150:151], v[165:166], v[152:153]
	v_div_scale_f64 v[152:153], null, v[150:151], v[150:151], 1.0
	v_rcp_f64_e32 v[167:168], v[152:153]
	v_fma_f64 v[169:170], -v[152:153], v[167:168], 1.0
	v_fma_f64 v[167:168], v[167:168], v[169:170], v[167:168]
	v_fma_f64 v[169:170], -v[152:153], v[167:168], 1.0
	v_fma_f64 v[167:168], v[167:168], v[169:170], v[167:168]
	v_div_scale_f64 v[169:170], vcc_lo, 1.0, v[150:151], 1.0
	v_mul_f64 v[171:172], v[169:170], v[167:168]
	v_fma_f64 v[152:153], -v[152:153], v[171:172], v[169:170]
	v_div_fmas_f64 v[152:153], v[152:153], v[167:168], v[171:172]
	v_div_fixup_f64 v[152:153], v[152:153], v[150:151], 1.0
	v_mul_f64 v[150:151], v[165:166], v[152:153]
	v_xor_b32_e32 v153, 0x80000000, v153
.LBB72_553:
	s_andn2_saveexec_b32 s3, s3
	s_cbranch_execz .LBB72_555
; %bb.554:
	v_div_scale_f64 v[165:166], null, v[150:151], v[150:151], v[152:153]
	v_div_scale_f64 v[171:172], vcc_lo, v[152:153], v[150:151], v[152:153]
	v_rcp_f64_e32 v[167:168], v[165:166]
	v_fma_f64 v[169:170], -v[165:166], v[167:168], 1.0
	v_fma_f64 v[167:168], v[167:168], v[169:170], v[167:168]
	v_fma_f64 v[169:170], -v[165:166], v[167:168], 1.0
	v_fma_f64 v[167:168], v[167:168], v[169:170], v[167:168]
	v_mul_f64 v[169:170], v[171:172], v[167:168]
	v_fma_f64 v[165:166], -v[165:166], v[169:170], v[171:172]
	v_div_fmas_f64 v[165:166], v[165:166], v[167:168], v[169:170]
	v_div_fixup_f64 v[165:166], v[165:166], v[150:151], v[152:153]
	v_fma_f64 v[150:151], v[152:153], v[165:166], v[150:151]
	v_div_scale_f64 v[152:153], null, v[150:151], v[150:151], 1.0
	v_rcp_f64_e32 v[167:168], v[152:153]
	v_fma_f64 v[169:170], -v[152:153], v[167:168], 1.0
	v_fma_f64 v[167:168], v[167:168], v[169:170], v[167:168]
	v_fma_f64 v[169:170], -v[152:153], v[167:168], 1.0
	v_fma_f64 v[167:168], v[167:168], v[169:170], v[167:168]
	v_div_scale_f64 v[169:170], vcc_lo, 1.0, v[150:151], 1.0
	v_mul_f64 v[171:172], v[169:170], v[167:168]
	v_fma_f64 v[152:153], -v[152:153], v[171:172], v[169:170]
	v_div_fmas_f64 v[152:153], v[152:153], v[167:168], v[171:172]
	v_div_fixup_f64 v[150:151], v[152:153], v[150:151], 1.0
	v_mul_f64 v[152:153], v[165:166], -v[150:151]
.LBB72_555:
	s_or_b32 exec_lo, exec_lo, s3
.LBB72_556:
	s_or_b32 exec_lo, exec_lo, s0
	s_mov_b32 s0, exec_lo
	v_cmpx_ne_u32_e64 v164, v158
	s_xor_b32 s0, exec_lo, s0
	s_cbranch_execz .LBB72_562
; %bb.557:
	s_mov_b32 s3, exec_lo
	v_cmpx_eq_u32_e32 26, v164
	s_cbranch_execz .LBB72_561
; %bb.558:
	v_cmp_ne_u32_e32 vcc_lo, 26, v158
	s_xor_b32 s8, s16, -1
	s_and_b32 s9, s8, vcc_lo
	s_and_saveexec_b32 s8, s9
	s_cbranch_execz .LBB72_560
; %bb.559:
	v_ashrrev_i32_e32 v159, 31, v158
	v_lshlrev_b64 v[164:165], 2, v[158:159]
	v_add_co_u32 v164, vcc_lo, v156, v164
	v_add_co_ci_u32_e64 v165, null, v157, v165, vcc_lo
	s_clause 0x1
	global_load_dword v0, v[164:165], off
	global_load_dword v159, v[156:157], off offset:104
	s_waitcnt vmcnt(1)
	global_store_dword v[156:157], v0, off offset:104
	s_waitcnt vmcnt(0)
	global_store_dword v[164:165], v159, off
.LBB72_560:
	s_or_b32 exec_lo, exec_lo, s8
	v_mov_b32_e32 v164, v158
	v_mov_b32_e32 v0, v158
.LBB72_561:
	s_or_b32 exec_lo, exec_lo, s3
.LBB72_562:
	s_andn2_saveexec_b32 s0, s0
	s_cbranch_execz .LBB72_564
; %bb.563:
	v_mov_b32_e32 v164, 26
	ds_write2_b64 v1, v[30:31], v[32:33] offset0:54 offset1:55
	ds_write2_b64 v1, v[38:39], v[40:41] offset0:56 offset1:57
	ds_write2_b64 v1, v[34:35], v[36:37] offset0:58 offset1:59
	ds_write2_b64 v1, v[26:27], v[28:29] offset0:60 offset1:61
	ds_write2_b64 v1, v[22:23], v[24:25] offset0:62 offset1:63
	ds_write2_b64 v1, v[6:7], v[8:9] offset0:64 offset1:65
	ds_write2_b64 v1, v[18:19], v[20:21] offset0:66 offset1:67
	ds_write2_b64 v1, v[14:15], v[16:17] offset0:68 offset1:69
	ds_write2_b64 v1, v[10:11], v[12:13] offset0:70 offset1:71
	ds_write2_b64 v1, v[2:3], v[4:5] offset0:72 offset1:73
.LBB72_564:
	s_or_b32 exec_lo, exec_lo, s0
	s_mov_b32 s0, exec_lo
	s_waitcnt lgkmcnt(0)
	s_waitcnt_vscnt null, 0x0
	s_barrier
	buffer_gl0_inv
	v_cmpx_lt_i32_e32 26, v164
	s_cbranch_execz .LBB72_566
; %bb.565:
	v_mul_f64 v[158:159], v[150:151], v[48:49]
	v_mul_f64 v[48:49], v[152:153], v[48:49]
	v_fma_f64 v[158:159], v[152:153], v[46:47], v[158:159]
	v_fma_f64 v[46:47], v[150:151], v[46:47], -v[48:49]
	ds_read2_b64 v[150:153], v1 offset0:54 offset1:55
	s_waitcnt lgkmcnt(0)
	v_mul_f64 v[48:49], v[152:153], v[158:159]
	v_fma_f64 v[48:49], v[150:151], v[46:47], -v[48:49]
	v_mul_f64 v[150:151], v[150:151], v[158:159]
	v_add_f64 v[30:31], v[30:31], -v[48:49]
	v_fma_f64 v[150:151], v[152:153], v[46:47], v[150:151]
	v_add_f64 v[32:33], v[32:33], -v[150:151]
	ds_read2_b64 v[150:153], v1 offset0:56 offset1:57
	s_waitcnt lgkmcnt(0)
	v_mul_f64 v[48:49], v[152:153], v[158:159]
	v_fma_f64 v[48:49], v[150:151], v[46:47], -v[48:49]
	v_mul_f64 v[150:151], v[150:151], v[158:159]
	v_add_f64 v[38:39], v[38:39], -v[48:49]
	v_fma_f64 v[150:151], v[152:153], v[46:47], v[150:151]
	v_add_f64 v[40:41], v[40:41], -v[150:151]
	;; [unrolled: 8-line block ×9, first 2 shown]
	ds_read2_b64 v[150:153], v1 offset0:72 offset1:73
	s_waitcnt lgkmcnt(0)
	v_mul_f64 v[48:49], v[152:153], v[158:159]
	v_fma_f64 v[48:49], v[150:151], v[46:47], -v[48:49]
	v_mul_f64 v[150:151], v[150:151], v[158:159]
	v_add_f64 v[2:3], v[2:3], -v[48:49]
	v_fma_f64 v[150:151], v[152:153], v[46:47], v[150:151]
	v_mov_b32_e32 v48, v158
	v_mov_b32_e32 v49, v159
	v_add_f64 v[4:5], v[4:5], -v[150:151]
.LBB72_566:
	s_or_b32 exec_lo, exec_lo, s0
	v_lshl_add_u32 v150, v164, 4, v1
	s_barrier
	buffer_gl0_inv
	v_mov_b32_e32 v158, 27
	ds_write2_b64 v150, v[30:31], v[32:33] offset1:1
	s_waitcnt lgkmcnt(0)
	s_barrier
	buffer_gl0_inv
	ds_read2_b64 v[150:153], v1 offset0:54 offset1:55
	s_cmp_lt_i32 s1, 29
	s_cbranch_scc1 .LBB72_569
; %bb.567:
	v_add3_u32 v159, v160, 0, 0x1c0
	v_mov_b32_e32 v158, 27
	s_mov_b32 s3, 28
	s_inst_prefetch 0x1
	.p2align	6
.LBB72_568:                             ; =>This Inner Loop Header: Depth=1
	s_waitcnt lgkmcnt(0)
	v_cmp_gt_f64_e32 vcc_lo, 0, v[152:153]
	v_cmp_gt_f64_e64 s0, 0, v[150:151]
	ds_read2_b64 v[165:168], v159 offset1:1
	v_xor_b32_e32 v170, 0x80000000, v151
	v_xor_b32_e32 v172, 0x80000000, v153
	v_mov_b32_e32 v169, v150
	v_mov_b32_e32 v171, v152
	v_add_nc_u32_e32 v159, 16, v159
	s_waitcnt lgkmcnt(0)
	v_xor_b32_e32 v174, 0x80000000, v168
	v_cndmask_b32_e64 v170, v151, v170, s0
	v_cndmask_b32_e32 v172, v153, v172, vcc_lo
	v_cmp_gt_f64_e32 vcc_lo, 0, v[167:168]
	v_cmp_gt_f64_e64 s0, 0, v[165:166]
	v_mov_b32_e32 v173, v167
	v_add_f64 v[169:170], v[169:170], v[171:172]
	v_xor_b32_e32 v172, 0x80000000, v166
	v_mov_b32_e32 v171, v165
	v_cndmask_b32_e32 v174, v168, v174, vcc_lo
	v_cndmask_b32_e64 v172, v166, v172, s0
	v_add_f64 v[171:172], v[171:172], v[173:174]
	v_cmp_lt_f64_e32 vcc_lo, v[169:170], v[171:172]
	v_cndmask_b32_e32 v151, v151, v166, vcc_lo
	v_cndmask_b32_e32 v150, v150, v165, vcc_lo
	;; [unrolled: 1-line block ×4, first 2 shown]
	v_cndmask_b32_e64 v158, v158, s3, vcc_lo
	s_add_i32 s3, s3, 1
	s_cmp_lg_u32 s1, s3
	s_cbranch_scc1 .LBB72_568
.LBB72_569:
	s_inst_prefetch 0x2
	s_waitcnt lgkmcnt(0)
	v_cmp_eq_f64_e32 vcc_lo, 0, v[150:151]
	v_cmp_eq_f64_e64 s0, 0, v[152:153]
	s_and_b32 s0, vcc_lo, s0
	s_and_saveexec_b32 s3, s0
	s_xor_b32 s0, exec_lo, s3
; %bb.570:
	v_cmp_ne_u32_e32 vcc_lo, 0, v163
	v_cndmask_b32_e32 v163, 28, v163, vcc_lo
; %bb.571:
	s_andn2_saveexec_b32 s0, s0
	s_cbranch_execz .LBB72_577
; %bb.572:
	v_cmp_ngt_f64_e64 s3, |v[150:151]|, |v[152:153]|
	s_and_saveexec_b32 s8, s3
	s_xor_b32 s3, exec_lo, s8
	s_cbranch_execz .LBB72_574
; %bb.573:
	v_div_scale_f64 v[165:166], null, v[152:153], v[152:153], v[150:151]
	v_div_scale_f64 v[171:172], vcc_lo, v[150:151], v[152:153], v[150:151]
	v_rcp_f64_e32 v[167:168], v[165:166]
	v_fma_f64 v[169:170], -v[165:166], v[167:168], 1.0
	v_fma_f64 v[167:168], v[167:168], v[169:170], v[167:168]
	v_fma_f64 v[169:170], -v[165:166], v[167:168], 1.0
	v_fma_f64 v[167:168], v[167:168], v[169:170], v[167:168]
	v_mul_f64 v[169:170], v[171:172], v[167:168]
	v_fma_f64 v[165:166], -v[165:166], v[169:170], v[171:172]
	v_div_fmas_f64 v[165:166], v[165:166], v[167:168], v[169:170]
	v_div_fixup_f64 v[165:166], v[165:166], v[152:153], v[150:151]
	v_fma_f64 v[150:151], v[150:151], v[165:166], v[152:153]
	v_div_scale_f64 v[152:153], null, v[150:151], v[150:151], 1.0
	v_rcp_f64_e32 v[167:168], v[152:153]
	v_fma_f64 v[169:170], -v[152:153], v[167:168], 1.0
	v_fma_f64 v[167:168], v[167:168], v[169:170], v[167:168]
	v_fma_f64 v[169:170], -v[152:153], v[167:168], 1.0
	v_fma_f64 v[167:168], v[167:168], v[169:170], v[167:168]
	v_div_scale_f64 v[169:170], vcc_lo, 1.0, v[150:151], 1.0
	v_mul_f64 v[171:172], v[169:170], v[167:168]
	v_fma_f64 v[152:153], -v[152:153], v[171:172], v[169:170]
	v_div_fmas_f64 v[152:153], v[152:153], v[167:168], v[171:172]
	v_div_fixup_f64 v[152:153], v[152:153], v[150:151], 1.0
	v_mul_f64 v[150:151], v[165:166], v[152:153]
	v_xor_b32_e32 v153, 0x80000000, v153
.LBB72_574:
	s_andn2_saveexec_b32 s3, s3
	s_cbranch_execz .LBB72_576
; %bb.575:
	v_div_scale_f64 v[165:166], null, v[150:151], v[150:151], v[152:153]
	v_div_scale_f64 v[171:172], vcc_lo, v[152:153], v[150:151], v[152:153]
	v_rcp_f64_e32 v[167:168], v[165:166]
	v_fma_f64 v[169:170], -v[165:166], v[167:168], 1.0
	v_fma_f64 v[167:168], v[167:168], v[169:170], v[167:168]
	v_fma_f64 v[169:170], -v[165:166], v[167:168], 1.0
	v_fma_f64 v[167:168], v[167:168], v[169:170], v[167:168]
	v_mul_f64 v[169:170], v[171:172], v[167:168]
	v_fma_f64 v[165:166], -v[165:166], v[169:170], v[171:172]
	v_div_fmas_f64 v[165:166], v[165:166], v[167:168], v[169:170]
	v_div_fixup_f64 v[165:166], v[165:166], v[150:151], v[152:153]
	v_fma_f64 v[150:151], v[152:153], v[165:166], v[150:151]
	v_div_scale_f64 v[152:153], null, v[150:151], v[150:151], 1.0
	v_rcp_f64_e32 v[167:168], v[152:153]
	v_fma_f64 v[169:170], -v[152:153], v[167:168], 1.0
	v_fma_f64 v[167:168], v[167:168], v[169:170], v[167:168]
	v_fma_f64 v[169:170], -v[152:153], v[167:168], 1.0
	v_fma_f64 v[167:168], v[167:168], v[169:170], v[167:168]
	v_div_scale_f64 v[169:170], vcc_lo, 1.0, v[150:151], 1.0
	v_mul_f64 v[171:172], v[169:170], v[167:168]
	v_fma_f64 v[152:153], -v[152:153], v[171:172], v[169:170]
	v_div_fmas_f64 v[152:153], v[152:153], v[167:168], v[171:172]
	v_div_fixup_f64 v[150:151], v[152:153], v[150:151], 1.0
	v_mul_f64 v[152:153], v[165:166], -v[150:151]
.LBB72_576:
	s_or_b32 exec_lo, exec_lo, s3
.LBB72_577:
	s_or_b32 exec_lo, exec_lo, s0
	s_mov_b32 s0, exec_lo
	v_cmpx_ne_u32_e64 v164, v158
	s_xor_b32 s0, exec_lo, s0
	s_cbranch_execz .LBB72_583
; %bb.578:
	s_mov_b32 s3, exec_lo
	v_cmpx_eq_u32_e32 27, v164
	s_cbranch_execz .LBB72_582
; %bb.579:
	v_cmp_ne_u32_e32 vcc_lo, 27, v158
	s_xor_b32 s8, s16, -1
	s_and_b32 s9, s8, vcc_lo
	s_and_saveexec_b32 s8, s9
	s_cbranch_execz .LBB72_581
; %bb.580:
	v_ashrrev_i32_e32 v159, 31, v158
	v_lshlrev_b64 v[164:165], 2, v[158:159]
	v_add_co_u32 v164, vcc_lo, v156, v164
	v_add_co_ci_u32_e64 v165, null, v157, v165, vcc_lo
	s_clause 0x1
	global_load_dword v0, v[164:165], off
	global_load_dword v159, v[156:157], off offset:108
	s_waitcnt vmcnt(1)
	global_store_dword v[156:157], v0, off offset:108
	s_waitcnt vmcnt(0)
	global_store_dword v[164:165], v159, off
.LBB72_581:
	s_or_b32 exec_lo, exec_lo, s8
	v_mov_b32_e32 v164, v158
	v_mov_b32_e32 v0, v158
.LBB72_582:
	s_or_b32 exec_lo, exec_lo, s3
.LBB72_583:
	s_andn2_saveexec_b32 s0, s0
	s_cbranch_execz .LBB72_585
; %bb.584:
	v_mov_b32_e32 v164, 27
	ds_write2_b64 v1, v[38:39], v[40:41] offset0:56 offset1:57
	ds_write2_b64 v1, v[34:35], v[36:37] offset0:58 offset1:59
	;; [unrolled: 1-line block ×9, first 2 shown]
.LBB72_585:
	s_or_b32 exec_lo, exec_lo, s0
	s_mov_b32 s0, exec_lo
	s_waitcnt lgkmcnt(0)
	s_waitcnt_vscnt null, 0x0
	s_barrier
	buffer_gl0_inv
	v_cmpx_lt_i32_e32 27, v164
	s_cbranch_execz .LBB72_587
; %bb.586:
	v_mul_f64 v[158:159], v[150:151], v[32:33]
	v_mul_f64 v[32:33], v[152:153], v[32:33]
	v_fma_f64 v[158:159], v[152:153], v[30:31], v[158:159]
	v_fma_f64 v[30:31], v[150:151], v[30:31], -v[32:33]
	ds_read2_b64 v[150:153], v1 offset0:56 offset1:57
	s_waitcnt lgkmcnt(0)
	v_mul_f64 v[32:33], v[152:153], v[158:159]
	v_fma_f64 v[32:33], v[150:151], v[30:31], -v[32:33]
	v_mul_f64 v[150:151], v[150:151], v[158:159]
	v_add_f64 v[38:39], v[38:39], -v[32:33]
	v_fma_f64 v[150:151], v[152:153], v[30:31], v[150:151]
	v_add_f64 v[40:41], v[40:41], -v[150:151]
	ds_read2_b64 v[150:153], v1 offset0:58 offset1:59
	s_waitcnt lgkmcnt(0)
	v_mul_f64 v[32:33], v[152:153], v[158:159]
	v_fma_f64 v[32:33], v[150:151], v[30:31], -v[32:33]
	v_mul_f64 v[150:151], v[150:151], v[158:159]
	v_add_f64 v[34:35], v[34:35], -v[32:33]
	v_fma_f64 v[150:151], v[152:153], v[30:31], v[150:151]
	v_add_f64 v[36:37], v[36:37], -v[150:151]
	;; [unrolled: 8-line block ×8, first 2 shown]
	ds_read2_b64 v[150:153], v1 offset0:72 offset1:73
	s_waitcnt lgkmcnt(0)
	v_mul_f64 v[32:33], v[152:153], v[158:159]
	v_fma_f64 v[32:33], v[150:151], v[30:31], -v[32:33]
	v_mul_f64 v[150:151], v[150:151], v[158:159]
	v_add_f64 v[2:3], v[2:3], -v[32:33]
	v_fma_f64 v[150:151], v[152:153], v[30:31], v[150:151]
	v_mov_b32_e32 v32, v158
	v_mov_b32_e32 v33, v159
	v_add_f64 v[4:5], v[4:5], -v[150:151]
.LBB72_587:
	s_or_b32 exec_lo, exec_lo, s0
	v_lshl_add_u32 v150, v164, 4, v1
	s_barrier
	buffer_gl0_inv
	v_mov_b32_e32 v158, 28
	ds_write2_b64 v150, v[38:39], v[40:41] offset1:1
	s_waitcnt lgkmcnt(0)
	s_barrier
	buffer_gl0_inv
	ds_read2_b64 v[150:153], v1 offset0:56 offset1:57
	s_cmp_lt_i32 s1, 30
	s_cbranch_scc1 .LBB72_590
; %bb.588:
	v_add3_u32 v159, v160, 0, 0x1d0
	v_mov_b32_e32 v158, 28
	s_mov_b32 s3, 29
	s_inst_prefetch 0x1
	.p2align	6
.LBB72_589:                             ; =>This Inner Loop Header: Depth=1
	s_waitcnt lgkmcnt(0)
	v_cmp_gt_f64_e32 vcc_lo, 0, v[152:153]
	v_cmp_gt_f64_e64 s0, 0, v[150:151]
	ds_read2_b64 v[165:168], v159 offset1:1
	v_xor_b32_e32 v170, 0x80000000, v151
	v_xor_b32_e32 v172, 0x80000000, v153
	v_mov_b32_e32 v169, v150
	v_mov_b32_e32 v171, v152
	v_add_nc_u32_e32 v159, 16, v159
	s_waitcnt lgkmcnt(0)
	v_xor_b32_e32 v174, 0x80000000, v168
	v_cndmask_b32_e64 v170, v151, v170, s0
	v_cndmask_b32_e32 v172, v153, v172, vcc_lo
	v_cmp_gt_f64_e32 vcc_lo, 0, v[167:168]
	v_cmp_gt_f64_e64 s0, 0, v[165:166]
	v_mov_b32_e32 v173, v167
	v_add_f64 v[169:170], v[169:170], v[171:172]
	v_xor_b32_e32 v172, 0x80000000, v166
	v_mov_b32_e32 v171, v165
	v_cndmask_b32_e32 v174, v168, v174, vcc_lo
	v_cndmask_b32_e64 v172, v166, v172, s0
	v_add_f64 v[171:172], v[171:172], v[173:174]
	v_cmp_lt_f64_e32 vcc_lo, v[169:170], v[171:172]
	v_cndmask_b32_e32 v151, v151, v166, vcc_lo
	v_cndmask_b32_e32 v150, v150, v165, vcc_lo
	;; [unrolled: 1-line block ×4, first 2 shown]
	v_cndmask_b32_e64 v158, v158, s3, vcc_lo
	s_add_i32 s3, s3, 1
	s_cmp_lg_u32 s1, s3
	s_cbranch_scc1 .LBB72_589
.LBB72_590:
	s_inst_prefetch 0x2
	s_waitcnt lgkmcnt(0)
	v_cmp_eq_f64_e32 vcc_lo, 0, v[150:151]
	v_cmp_eq_f64_e64 s0, 0, v[152:153]
	s_and_b32 s0, vcc_lo, s0
	s_and_saveexec_b32 s3, s0
	s_xor_b32 s0, exec_lo, s3
; %bb.591:
	v_cmp_ne_u32_e32 vcc_lo, 0, v163
	v_cndmask_b32_e32 v163, 29, v163, vcc_lo
; %bb.592:
	s_andn2_saveexec_b32 s0, s0
	s_cbranch_execz .LBB72_598
; %bb.593:
	v_cmp_ngt_f64_e64 s3, |v[150:151]|, |v[152:153]|
	s_and_saveexec_b32 s8, s3
	s_xor_b32 s3, exec_lo, s8
	s_cbranch_execz .LBB72_595
; %bb.594:
	v_div_scale_f64 v[165:166], null, v[152:153], v[152:153], v[150:151]
	v_div_scale_f64 v[171:172], vcc_lo, v[150:151], v[152:153], v[150:151]
	v_rcp_f64_e32 v[167:168], v[165:166]
	v_fma_f64 v[169:170], -v[165:166], v[167:168], 1.0
	v_fma_f64 v[167:168], v[167:168], v[169:170], v[167:168]
	v_fma_f64 v[169:170], -v[165:166], v[167:168], 1.0
	v_fma_f64 v[167:168], v[167:168], v[169:170], v[167:168]
	v_mul_f64 v[169:170], v[171:172], v[167:168]
	v_fma_f64 v[165:166], -v[165:166], v[169:170], v[171:172]
	v_div_fmas_f64 v[165:166], v[165:166], v[167:168], v[169:170]
	v_div_fixup_f64 v[165:166], v[165:166], v[152:153], v[150:151]
	v_fma_f64 v[150:151], v[150:151], v[165:166], v[152:153]
	v_div_scale_f64 v[152:153], null, v[150:151], v[150:151], 1.0
	v_rcp_f64_e32 v[167:168], v[152:153]
	v_fma_f64 v[169:170], -v[152:153], v[167:168], 1.0
	v_fma_f64 v[167:168], v[167:168], v[169:170], v[167:168]
	v_fma_f64 v[169:170], -v[152:153], v[167:168], 1.0
	v_fma_f64 v[167:168], v[167:168], v[169:170], v[167:168]
	v_div_scale_f64 v[169:170], vcc_lo, 1.0, v[150:151], 1.0
	v_mul_f64 v[171:172], v[169:170], v[167:168]
	v_fma_f64 v[152:153], -v[152:153], v[171:172], v[169:170]
	v_div_fmas_f64 v[152:153], v[152:153], v[167:168], v[171:172]
	v_div_fixup_f64 v[152:153], v[152:153], v[150:151], 1.0
	v_mul_f64 v[150:151], v[165:166], v[152:153]
	v_xor_b32_e32 v153, 0x80000000, v153
.LBB72_595:
	s_andn2_saveexec_b32 s3, s3
	s_cbranch_execz .LBB72_597
; %bb.596:
	v_div_scale_f64 v[165:166], null, v[150:151], v[150:151], v[152:153]
	v_div_scale_f64 v[171:172], vcc_lo, v[152:153], v[150:151], v[152:153]
	v_rcp_f64_e32 v[167:168], v[165:166]
	v_fma_f64 v[169:170], -v[165:166], v[167:168], 1.0
	v_fma_f64 v[167:168], v[167:168], v[169:170], v[167:168]
	v_fma_f64 v[169:170], -v[165:166], v[167:168], 1.0
	v_fma_f64 v[167:168], v[167:168], v[169:170], v[167:168]
	v_mul_f64 v[169:170], v[171:172], v[167:168]
	v_fma_f64 v[165:166], -v[165:166], v[169:170], v[171:172]
	v_div_fmas_f64 v[165:166], v[165:166], v[167:168], v[169:170]
	v_div_fixup_f64 v[165:166], v[165:166], v[150:151], v[152:153]
	v_fma_f64 v[150:151], v[152:153], v[165:166], v[150:151]
	v_div_scale_f64 v[152:153], null, v[150:151], v[150:151], 1.0
	v_rcp_f64_e32 v[167:168], v[152:153]
	v_fma_f64 v[169:170], -v[152:153], v[167:168], 1.0
	v_fma_f64 v[167:168], v[167:168], v[169:170], v[167:168]
	v_fma_f64 v[169:170], -v[152:153], v[167:168], 1.0
	v_fma_f64 v[167:168], v[167:168], v[169:170], v[167:168]
	v_div_scale_f64 v[169:170], vcc_lo, 1.0, v[150:151], 1.0
	v_mul_f64 v[171:172], v[169:170], v[167:168]
	v_fma_f64 v[152:153], -v[152:153], v[171:172], v[169:170]
	v_div_fmas_f64 v[152:153], v[152:153], v[167:168], v[171:172]
	v_div_fixup_f64 v[150:151], v[152:153], v[150:151], 1.0
	v_mul_f64 v[152:153], v[165:166], -v[150:151]
.LBB72_597:
	s_or_b32 exec_lo, exec_lo, s3
.LBB72_598:
	s_or_b32 exec_lo, exec_lo, s0
	s_mov_b32 s0, exec_lo
	v_cmpx_ne_u32_e64 v164, v158
	s_xor_b32 s0, exec_lo, s0
	s_cbranch_execz .LBB72_604
; %bb.599:
	s_mov_b32 s3, exec_lo
	v_cmpx_eq_u32_e32 28, v164
	s_cbranch_execz .LBB72_603
; %bb.600:
	v_cmp_ne_u32_e32 vcc_lo, 28, v158
	s_xor_b32 s8, s16, -1
	s_and_b32 s9, s8, vcc_lo
	s_and_saveexec_b32 s8, s9
	s_cbranch_execz .LBB72_602
; %bb.601:
	v_ashrrev_i32_e32 v159, 31, v158
	v_lshlrev_b64 v[164:165], 2, v[158:159]
	v_add_co_u32 v164, vcc_lo, v156, v164
	v_add_co_ci_u32_e64 v165, null, v157, v165, vcc_lo
	s_clause 0x1
	global_load_dword v0, v[164:165], off
	global_load_dword v159, v[156:157], off offset:112
	s_waitcnt vmcnt(1)
	global_store_dword v[156:157], v0, off offset:112
	s_waitcnt vmcnt(0)
	global_store_dword v[164:165], v159, off
.LBB72_602:
	s_or_b32 exec_lo, exec_lo, s8
	v_mov_b32_e32 v164, v158
	v_mov_b32_e32 v0, v158
.LBB72_603:
	s_or_b32 exec_lo, exec_lo, s3
.LBB72_604:
	s_andn2_saveexec_b32 s0, s0
	s_cbranch_execz .LBB72_606
; %bb.605:
	v_mov_b32_e32 v164, 28
	ds_write2_b64 v1, v[34:35], v[36:37] offset0:58 offset1:59
	ds_write2_b64 v1, v[26:27], v[28:29] offset0:60 offset1:61
	;; [unrolled: 1-line block ×8, first 2 shown]
.LBB72_606:
	s_or_b32 exec_lo, exec_lo, s0
	s_mov_b32 s0, exec_lo
	s_waitcnt lgkmcnt(0)
	s_waitcnt_vscnt null, 0x0
	s_barrier
	buffer_gl0_inv
	v_cmpx_lt_i32_e32 28, v164
	s_cbranch_execz .LBB72_608
; %bb.607:
	v_mul_f64 v[158:159], v[150:151], v[40:41]
	v_mul_f64 v[40:41], v[152:153], v[40:41]
	v_fma_f64 v[158:159], v[152:153], v[38:39], v[158:159]
	v_fma_f64 v[38:39], v[150:151], v[38:39], -v[40:41]
	ds_read2_b64 v[150:153], v1 offset0:58 offset1:59
	s_waitcnt lgkmcnt(0)
	v_mul_f64 v[40:41], v[152:153], v[158:159]
	v_fma_f64 v[40:41], v[150:151], v[38:39], -v[40:41]
	v_mul_f64 v[150:151], v[150:151], v[158:159]
	v_add_f64 v[34:35], v[34:35], -v[40:41]
	v_fma_f64 v[150:151], v[152:153], v[38:39], v[150:151]
	v_add_f64 v[36:37], v[36:37], -v[150:151]
	ds_read2_b64 v[150:153], v1 offset0:60 offset1:61
	s_waitcnt lgkmcnt(0)
	v_mul_f64 v[40:41], v[152:153], v[158:159]
	v_fma_f64 v[40:41], v[150:151], v[38:39], -v[40:41]
	v_mul_f64 v[150:151], v[150:151], v[158:159]
	v_add_f64 v[26:27], v[26:27], -v[40:41]
	v_fma_f64 v[150:151], v[152:153], v[38:39], v[150:151]
	v_add_f64 v[28:29], v[28:29], -v[150:151]
	;; [unrolled: 8-line block ×7, first 2 shown]
	ds_read2_b64 v[150:153], v1 offset0:72 offset1:73
	s_waitcnt lgkmcnt(0)
	v_mul_f64 v[40:41], v[152:153], v[158:159]
	v_fma_f64 v[40:41], v[150:151], v[38:39], -v[40:41]
	v_mul_f64 v[150:151], v[150:151], v[158:159]
	v_add_f64 v[2:3], v[2:3], -v[40:41]
	v_fma_f64 v[150:151], v[152:153], v[38:39], v[150:151]
	v_mov_b32_e32 v40, v158
	v_mov_b32_e32 v41, v159
	v_add_f64 v[4:5], v[4:5], -v[150:151]
.LBB72_608:
	s_or_b32 exec_lo, exec_lo, s0
	v_lshl_add_u32 v150, v164, 4, v1
	s_barrier
	buffer_gl0_inv
	v_mov_b32_e32 v158, 29
	ds_write2_b64 v150, v[34:35], v[36:37] offset1:1
	s_waitcnt lgkmcnt(0)
	s_barrier
	buffer_gl0_inv
	ds_read2_b64 v[150:153], v1 offset0:58 offset1:59
	s_cmp_lt_i32 s1, 31
	s_cbranch_scc1 .LBB72_611
; %bb.609:
	v_add3_u32 v159, v160, 0, 0x1e0
	v_mov_b32_e32 v158, 29
	s_mov_b32 s3, 30
	s_inst_prefetch 0x1
	.p2align	6
.LBB72_610:                             ; =>This Inner Loop Header: Depth=1
	s_waitcnt lgkmcnt(0)
	v_cmp_gt_f64_e32 vcc_lo, 0, v[152:153]
	v_cmp_gt_f64_e64 s0, 0, v[150:151]
	ds_read2_b64 v[165:168], v159 offset1:1
	v_xor_b32_e32 v170, 0x80000000, v151
	v_xor_b32_e32 v172, 0x80000000, v153
	v_mov_b32_e32 v169, v150
	v_mov_b32_e32 v171, v152
	v_add_nc_u32_e32 v159, 16, v159
	s_waitcnt lgkmcnt(0)
	v_xor_b32_e32 v174, 0x80000000, v168
	v_cndmask_b32_e64 v170, v151, v170, s0
	v_cndmask_b32_e32 v172, v153, v172, vcc_lo
	v_cmp_gt_f64_e32 vcc_lo, 0, v[167:168]
	v_cmp_gt_f64_e64 s0, 0, v[165:166]
	v_mov_b32_e32 v173, v167
	v_add_f64 v[169:170], v[169:170], v[171:172]
	v_xor_b32_e32 v172, 0x80000000, v166
	v_mov_b32_e32 v171, v165
	v_cndmask_b32_e32 v174, v168, v174, vcc_lo
	v_cndmask_b32_e64 v172, v166, v172, s0
	v_add_f64 v[171:172], v[171:172], v[173:174]
	v_cmp_lt_f64_e32 vcc_lo, v[169:170], v[171:172]
	v_cndmask_b32_e32 v151, v151, v166, vcc_lo
	v_cndmask_b32_e32 v150, v150, v165, vcc_lo
	;; [unrolled: 1-line block ×4, first 2 shown]
	v_cndmask_b32_e64 v158, v158, s3, vcc_lo
	s_add_i32 s3, s3, 1
	s_cmp_lg_u32 s1, s3
	s_cbranch_scc1 .LBB72_610
.LBB72_611:
	s_inst_prefetch 0x2
	s_waitcnt lgkmcnt(0)
	v_cmp_eq_f64_e32 vcc_lo, 0, v[150:151]
	v_cmp_eq_f64_e64 s0, 0, v[152:153]
	s_and_b32 s0, vcc_lo, s0
	s_and_saveexec_b32 s3, s0
	s_xor_b32 s0, exec_lo, s3
; %bb.612:
	v_cmp_ne_u32_e32 vcc_lo, 0, v163
	v_cndmask_b32_e32 v163, 30, v163, vcc_lo
; %bb.613:
	s_andn2_saveexec_b32 s0, s0
	s_cbranch_execz .LBB72_619
; %bb.614:
	v_cmp_ngt_f64_e64 s3, |v[150:151]|, |v[152:153]|
	s_and_saveexec_b32 s8, s3
	s_xor_b32 s3, exec_lo, s8
	s_cbranch_execz .LBB72_616
; %bb.615:
	v_div_scale_f64 v[165:166], null, v[152:153], v[152:153], v[150:151]
	v_div_scale_f64 v[171:172], vcc_lo, v[150:151], v[152:153], v[150:151]
	v_rcp_f64_e32 v[167:168], v[165:166]
	v_fma_f64 v[169:170], -v[165:166], v[167:168], 1.0
	v_fma_f64 v[167:168], v[167:168], v[169:170], v[167:168]
	v_fma_f64 v[169:170], -v[165:166], v[167:168], 1.0
	v_fma_f64 v[167:168], v[167:168], v[169:170], v[167:168]
	v_mul_f64 v[169:170], v[171:172], v[167:168]
	v_fma_f64 v[165:166], -v[165:166], v[169:170], v[171:172]
	v_div_fmas_f64 v[165:166], v[165:166], v[167:168], v[169:170]
	v_div_fixup_f64 v[165:166], v[165:166], v[152:153], v[150:151]
	v_fma_f64 v[150:151], v[150:151], v[165:166], v[152:153]
	v_div_scale_f64 v[152:153], null, v[150:151], v[150:151], 1.0
	v_rcp_f64_e32 v[167:168], v[152:153]
	v_fma_f64 v[169:170], -v[152:153], v[167:168], 1.0
	v_fma_f64 v[167:168], v[167:168], v[169:170], v[167:168]
	v_fma_f64 v[169:170], -v[152:153], v[167:168], 1.0
	v_fma_f64 v[167:168], v[167:168], v[169:170], v[167:168]
	v_div_scale_f64 v[169:170], vcc_lo, 1.0, v[150:151], 1.0
	v_mul_f64 v[171:172], v[169:170], v[167:168]
	v_fma_f64 v[152:153], -v[152:153], v[171:172], v[169:170]
	v_div_fmas_f64 v[152:153], v[152:153], v[167:168], v[171:172]
	v_div_fixup_f64 v[152:153], v[152:153], v[150:151], 1.0
	v_mul_f64 v[150:151], v[165:166], v[152:153]
	v_xor_b32_e32 v153, 0x80000000, v153
.LBB72_616:
	s_andn2_saveexec_b32 s3, s3
	s_cbranch_execz .LBB72_618
; %bb.617:
	v_div_scale_f64 v[165:166], null, v[150:151], v[150:151], v[152:153]
	v_div_scale_f64 v[171:172], vcc_lo, v[152:153], v[150:151], v[152:153]
	v_rcp_f64_e32 v[167:168], v[165:166]
	v_fma_f64 v[169:170], -v[165:166], v[167:168], 1.0
	v_fma_f64 v[167:168], v[167:168], v[169:170], v[167:168]
	v_fma_f64 v[169:170], -v[165:166], v[167:168], 1.0
	v_fma_f64 v[167:168], v[167:168], v[169:170], v[167:168]
	v_mul_f64 v[169:170], v[171:172], v[167:168]
	v_fma_f64 v[165:166], -v[165:166], v[169:170], v[171:172]
	v_div_fmas_f64 v[165:166], v[165:166], v[167:168], v[169:170]
	v_div_fixup_f64 v[165:166], v[165:166], v[150:151], v[152:153]
	v_fma_f64 v[150:151], v[152:153], v[165:166], v[150:151]
	v_div_scale_f64 v[152:153], null, v[150:151], v[150:151], 1.0
	v_rcp_f64_e32 v[167:168], v[152:153]
	v_fma_f64 v[169:170], -v[152:153], v[167:168], 1.0
	v_fma_f64 v[167:168], v[167:168], v[169:170], v[167:168]
	v_fma_f64 v[169:170], -v[152:153], v[167:168], 1.0
	v_fma_f64 v[167:168], v[167:168], v[169:170], v[167:168]
	v_div_scale_f64 v[169:170], vcc_lo, 1.0, v[150:151], 1.0
	v_mul_f64 v[171:172], v[169:170], v[167:168]
	v_fma_f64 v[152:153], -v[152:153], v[171:172], v[169:170]
	v_div_fmas_f64 v[152:153], v[152:153], v[167:168], v[171:172]
	v_div_fixup_f64 v[150:151], v[152:153], v[150:151], 1.0
	v_mul_f64 v[152:153], v[165:166], -v[150:151]
.LBB72_618:
	s_or_b32 exec_lo, exec_lo, s3
.LBB72_619:
	s_or_b32 exec_lo, exec_lo, s0
	s_mov_b32 s0, exec_lo
	v_cmpx_ne_u32_e64 v164, v158
	s_xor_b32 s0, exec_lo, s0
	s_cbranch_execz .LBB72_625
; %bb.620:
	s_mov_b32 s3, exec_lo
	v_cmpx_eq_u32_e32 29, v164
	s_cbranch_execz .LBB72_624
; %bb.621:
	v_cmp_ne_u32_e32 vcc_lo, 29, v158
	s_xor_b32 s8, s16, -1
	s_and_b32 s9, s8, vcc_lo
	s_and_saveexec_b32 s8, s9
	s_cbranch_execz .LBB72_623
; %bb.622:
	v_ashrrev_i32_e32 v159, 31, v158
	v_lshlrev_b64 v[164:165], 2, v[158:159]
	v_add_co_u32 v164, vcc_lo, v156, v164
	v_add_co_ci_u32_e64 v165, null, v157, v165, vcc_lo
	s_clause 0x1
	global_load_dword v0, v[164:165], off
	global_load_dword v159, v[156:157], off offset:116
	s_waitcnt vmcnt(1)
	global_store_dword v[156:157], v0, off offset:116
	s_waitcnt vmcnt(0)
	global_store_dword v[164:165], v159, off
.LBB72_623:
	s_or_b32 exec_lo, exec_lo, s8
	v_mov_b32_e32 v164, v158
	v_mov_b32_e32 v0, v158
.LBB72_624:
	s_or_b32 exec_lo, exec_lo, s3
.LBB72_625:
	s_andn2_saveexec_b32 s0, s0
	s_cbranch_execz .LBB72_627
; %bb.626:
	v_mov_b32_e32 v164, 29
	ds_write2_b64 v1, v[26:27], v[28:29] offset0:60 offset1:61
	ds_write2_b64 v1, v[22:23], v[24:25] offset0:62 offset1:63
	;; [unrolled: 1-line block ×7, first 2 shown]
.LBB72_627:
	s_or_b32 exec_lo, exec_lo, s0
	s_mov_b32 s0, exec_lo
	s_waitcnt lgkmcnt(0)
	s_waitcnt_vscnt null, 0x0
	s_barrier
	buffer_gl0_inv
	v_cmpx_lt_i32_e32 29, v164
	s_cbranch_execz .LBB72_629
; %bb.628:
	v_mul_f64 v[158:159], v[150:151], v[36:37]
	v_mul_f64 v[36:37], v[152:153], v[36:37]
	v_fma_f64 v[158:159], v[152:153], v[34:35], v[158:159]
	v_fma_f64 v[34:35], v[150:151], v[34:35], -v[36:37]
	ds_read2_b64 v[150:153], v1 offset0:60 offset1:61
	s_waitcnt lgkmcnt(0)
	v_mul_f64 v[36:37], v[152:153], v[158:159]
	v_fma_f64 v[36:37], v[150:151], v[34:35], -v[36:37]
	v_mul_f64 v[150:151], v[150:151], v[158:159]
	v_add_f64 v[26:27], v[26:27], -v[36:37]
	v_fma_f64 v[150:151], v[152:153], v[34:35], v[150:151]
	v_add_f64 v[28:29], v[28:29], -v[150:151]
	ds_read2_b64 v[150:153], v1 offset0:62 offset1:63
	s_waitcnt lgkmcnt(0)
	v_mul_f64 v[36:37], v[152:153], v[158:159]
	v_fma_f64 v[36:37], v[150:151], v[34:35], -v[36:37]
	v_mul_f64 v[150:151], v[150:151], v[158:159]
	v_add_f64 v[22:23], v[22:23], -v[36:37]
	v_fma_f64 v[150:151], v[152:153], v[34:35], v[150:151]
	v_add_f64 v[24:25], v[24:25], -v[150:151]
	ds_read2_b64 v[150:153], v1 offset0:64 offset1:65
	s_waitcnt lgkmcnt(0)
	v_mul_f64 v[36:37], v[152:153], v[158:159]
	v_fma_f64 v[36:37], v[150:151], v[34:35], -v[36:37]
	v_mul_f64 v[150:151], v[150:151], v[158:159]
	v_add_f64 v[6:7], v[6:7], -v[36:37]
	v_fma_f64 v[150:151], v[152:153], v[34:35], v[150:151]
	v_add_f64 v[8:9], v[8:9], -v[150:151]
	ds_read2_b64 v[150:153], v1 offset0:66 offset1:67
	s_waitcnt lgkmcnt(0)
	v_mul_f64 v[36:37], v[152:153], v[158:159]
	v_fma_f64 v[36:37], v[150:151], v[34:35], -v[36:37]
	v_mul_f64 v[150:151], v[150:151], v[158:159]
	v_add_f64 v[18:19], v[18:19], -v[36:37]
	v_fma_f64 v[150:151], v[152:153], v[34:35], v[150:151]
	v_add_f64 v[20:21], v[20:21], -v[150:151]
	ds_read2_b64 v[150:153], v1 offset0:68 offset1:69
	s_waitcnt lgkmcnt(0)
	v_mul_f64 v[36:37], v[152:153], v[158:159]
	v_fma_f64 v[36:37], v[150:151], v[34:35], -v[36:37]
	v_mul_f64 v[150:151], v[150:151], v[158:159]
	v_add_f64 v[14:15], v[14:15], -v[36:37]
	v_fma_f64 v[150:151], v[152:153], v[34:35], v[150:151]
	v_add_f64 v[16:17], v[16:17], -v[150:151]
	ds_read2_b64 v[150:153], v1 offset0:70 offset1:71
	s_waitcnt lgkmcnt(0)
	v_mul_f64 v[36:37], v[152:153], v[158:159]
	v_fma_f64 v[36:37], v[150:151], v[34:35], -v[36:37]
	v_mul_f64 v[150:151], v[150:151], v[158:159]
	v_add_f64 v[10:11], v[10:11], -v[36:37]
	v_fma_f64 v[150:151], v[152:153], v[34:35], v[150:151]
	v_add_f64 v[12:13], v[12:13], -v[150:151]
	ds_read2_b64 v[150:153], v1 offset0:72 offset1:73
	s_waitcnt lgkmcnt(0)
	v_mul_f64 v[36:37], v[152:153], v[158:159]
	v_fma_f64 v[36:37], v[150:151], v[34:35], -v[36:37]
	v_mul_f64 v[150:151], v[150:151], v[158:159]
	v_add_f64 v[2:3], v[2:3], -v[36:37]
	v_fma_f64 v[150:151], v[152:153], v[34:35], v[150:151]
	v_mov_b32_e32 v36, v158
	v_mov_b32_e32 v37, v159
	v_add_f64 v[4:5], v[4:5], -v[150:151]
.LBB72_629:
	s_or_b32 exec_lo, exec_lo, s0
	v_lshl_add_u32 v150, v164, 4, v1
	s_barrier
	buffer_gl0_inv
	v_mov_b32_e32 v158, 30
	ds_write2_b64 v150, v[26:27], v[28:29] offset1:1
	s_waitcnt lgkmcnt(0)
	s_barrier
	buffer_gl0_inv
	ds_read2_b64 v[150:153], v1 offset0:60 offset1:61
	s_cmp_lt_i32 s1, 32
	s_cbranch_scc1 .LBB72_632
; %bb.630:
	v_add3_u32 v159, v160, 0, 0x1f0
	v_mov_b32_e32 v158, 30
	s_mov_b32 s3, 31
	s_inst_prefetch 0x1
	.p2align	6
.LBB72_631:                             ; =>This Inner Loop Header: Depth=1
	s_waitcnt lgkmcnt(0)
	v_cmp_gt_f64_e32 vcc_lo, 0, v[152:153]
	v_cmp_gt_f64_e64 s0, 0, v[150:151]
	ds_read2_b64 v[165:168], v159 offset1:1
	v_xor_b32_e32 v170, 0x80000000, v151
	v_xor_b32_e32 v172, 0x80000000, v153
	v_mov_b32_e32 v169, v150
	v_mov_b32_e32 v171, v152
	v_add_nc_u32_e32 v159, 16, v159
	s_waitcnt lgkmcnt(0)
	v_xor_b32_e32 v174, 0x80000000, v168
	v_cndmask_b32_e64 v170, v151, v170, s0
	v_cndmask_b32_e32 v172, v153, v172, vcc_lo
	v_cmp_gt_f64_e32 vcc_lo, 0, v[167:168]
	v_cmp_gt_f64_e64 s0, 0, v[165:166]
	v_mov_b32_e32 v173, v167
	v_add_f64 v[169:170], v[169:170], v[171:172]
	v_xor_b32_e32 v172, 0x80000000, v166
	v_mov_b32_e32 v171, v165
	v_cndmask_b32_e32 v174, v168, v174, vcc_lo
	v_cndmask_b32_e64 v172, v166, v172, s0
	v_add_f64 v[171:172], v[171:172], v[173:174]
	v_cmp_lt_f64_e32 vcc_lo, v[169:170], v[171:172]
	v_cndmask_b32_e32 v151, v151, v166, vcc_lo
	v_cndmask_b32_e32 v150, v150, v165, vcc_lo
	;; [unrolled: 1-line block ×4, first 2 shown]
	v_cndmask_b32_e64 v158, v158, s3, vcc_lo
	s_add_i32 s3, s3, 1
	s_cmp_lg_u32 s1, s3
	s_cbranch_scc1 .LBB72_631
.LBB72_632:
	s_inst_prefetch 0x2
	s_waitcnt lgkmcnt(0)
	v_cmp_eq_f64_e32 vcc_lo, 0, v[150:151]
	v_cmp_eq_f64_e64 s0, 0, v[152:153]
	s_and_b32 s0, vcc_lo, s0
	s_and_saveexec_b32 s3, s0
	s_xor_b32 s0, exec_lo, s3
; %bb.633:
	v_cmp_ne_u32_e32 vcc_lo, 0, v163
	v_cndmask_b32_e32 v163, 31, v163, vcc_lo
; %bb.634:
	s_andn2_saveexec_b32 s0, s0
	s_cbranch_execz .LBB72_640
; %bb.635:
	v_cmp_ngt_f64_e64 s3, |v[150:151]|, |v[152:153]|
	s_and_saveexec_b32 s8, s3
	s_xor_b32 s3, exec_lo, s8
	s_cbranch_execz .LBB72_637
; %bb.636:
	v_div_scale_f64 v[165:166], null, v[152:153], v[152:153], v[150:151]
	v_div_scale_f64 v[171:172], vcc_lo, v[150:151], v[152:153], v[150:151]
	v_rcp_f64_e32 v[167:168], v[165:166]
	v_fma_f64 v[169:170], -v[165:166], v[167:168], 1.0
	v_fma_f64 v[167:168], v[167:168], v[169:170], v[167:168]
	v_fma_f64 v[169:170], -v[165:166], v[167:168], 1.0
	v_fma_f64 v[167:168], v[167:168], v[169:170], v[167:168]
	v_mul_f64 v[169:170], v[171:172], v[167:168]
	v_fma_f64 v[165:166], -v[165:166], v[169:170], v[171:172]
	v_div_fmas_f64 v[165:166], v[165:166], v[167:168], v[169:170]
	v_div_fixup_f64 v[165:166], v[165:166], v[152:153], v[150:151]
	v_fma_f64 v[150:151], v[150:151], v[165:166], v[152:153]
	v_div_scale_f64 v[152:153], null, v[150:151], v[150:151], 1.0
	v_rcp_f64_e32 v[167:168], v[152:153]
	v_fma_f64 v[169:170], -v[152:153], v[167:168], 1.0
	v_fma_f64 v[167:168], v[167:168], v[169:170], v[167:168]
	v_fma_f64 v[169:170], -v[152:153], v[167:168], 1.0
	v_fma_f64 v[167:168], v[167:168], v[169:170], v[167:168]
	v_div_scale_f64 v[169:170], vcc_lo, 1.0, v[150:151], 1.0
	v_mul_f64 v[171:172], v[169:170], v[167:168]
	v_fma_f64 v[152:153], -v[152:153], v[171:172], v[169:170]
	v_div_fmas_f64 v[152:153], v[152:153], v[167:168], v[171:172]
	v_div_fixup_f64 v[152:153], v[152:153], v[150:151], 1.0
	v_mul_f64 v[150:151], v[165:166], v[152:153]
	v_xor_b32_e32 v153, 0x80000000, v153
.LBB72_637:
	s_andn2_saveexec_b32 s3, s3
	s_cbranch_execz .LBB72_639
; %bb.638:
	v_div_scale_f64 v[165:166], null, v[150:151], v[150:151], v[152:153]
	v_div_scale_f64 v[171:172], vcc_lo, v[152:153], v[150:151], v[152:153]
	v_rcp_f64_e32 v[167:168], v[165:166]
	v_fma_f64 v[169:170], -v[165:166], v[167:168], 1.0
	v_fma_f64 v[167:168], v[167:168], v[169:170], v[167:168]
	v_fma_f64 v[169:170], -v[165:166], v[167:168], 1.0
	v_fma_f64 v[167:168], v[167:168], v[169:170], v[167:168]
	v_mul_f64 v[169:170], v[171:172], v[167:168]
	v_fma_f64 v[165:166], -v[165:166], v[169:170], v[171:172]
	v_div_fmas_f64 v[165:166], v[165:166], v[167:168], v[169:170]
	v_div_fixup_f64 v[165:166], v[165:166], v[150:151], v[152:153]
	v_fma_f64 v[150:151], v[152:153], v[165:166], v[150:151]
	v_div_scale_f64 v[152:153], null, v[150:151], v[150:151], 1.0
	v_rcp_f64_e32 v[167:168], v[152:153]
	v_fma_f64 v[169:170], -v[152:153], v[167:168], 1.0
	v_fma_f64 v[167:168], v[167:168], v[169:170], v[167:168]
	v_fma_f64 v[169:170], -v[152:153], v[167:168], 1.0
	v_fma_f64 v[167:168], v[167:168], v[169:170], v[167:168]
	v_div_scale_f64 v[169:170], vcc_lo, 1.0, v[150:151], 1.0
	v_mul_f64 v[171:172], v[169:170], v[167:168]
	v_fma_f64 v[152:153], -v[152:153], v[171:172], v[169:170]
	v_div_fmas_f64 v[152:153], v[152:153], v[167:168], v[171:172]
	v_div_fixup_f64 v[150:151], v[152:153], v[150:151], 1.0
	v_mul_f64 v[152:153], v[165:166], -v[150:151]
.LBB72_639:
	s_or_b32 exec_lo, exec_lo, s3
.LBB72_640:
	s_or_b32 exec_lo, exec_lo, s0
	s_mov_b32 s0, exec_lo
	v_cmpx_ne_u32_e64 v164, v158
	s_xor_b32 s0, exec_lo, s0
	s_cbranch_execz .LBB72_646
; %bb.641:
	s_mov_b32 s3, exec_lo
	v_cmpx_eq_u32_e32 30, v164
	s_cbranch_execz .LBB72_645
; %bb.642:
	v_cmp_ne_u32_e32 vcc_lo, 30, v158
	s_xor_b32 s8, s16, -1
	s_and_b32 s9, s8, vcc_lo
	s_and_saveexec_b32 s8, s9
	s_cbranch_execz .LBB72_644
; %bb.643:
	v_ashrrev_i32_e32 v159, 31, v158
	v_lshlrev_b64 v[164:165], 2, v[158:159]
	v_add_co_u32 v164, vcc_lo, v156, v164
	v_add_co_ci_u32_e64 v165, null, v157, v165, vcc_lo
	s_clause 0x1
	global_load_dword v0, v[164:165], off
	global_load_dword v159, v[156:157], off offset:120
	s_waitcnt vmcnt(1)
	global_store_dword v[156:157], v0, off offset:120
	s_waitcnt vmcnt(0)
	global_store_dword v[164:165], v159, off
.LBB72_644:
	s_or_b32 exec_lo, exec_lo, s8
	v_mov_b32_e32 v164, v158
	v_mov_b32_e32 v0, v158
.LBB72_645:
	s_or_b32 exec_lo, exec_lo, s3
.LBB72_646:
	s_andn2_saveexec_b32 s0, s0
	s_cbranch_execz .LBB72_648
; %bb.647:
	v_mov_b32_e32 v164, 30
	ds_write2_b64 v1, v[22:23], v[24:25] offset0:62 offset1:63
	ds_write2_b64 v1, v[6:7], v[8:9] offset0:64 offset1:65
	;; [unrolled: 1-line block ×6, first 2 shown]
.LBB72_648:
	s_or_b32 exec_lo, exec_lo, s0
	s_mov_b32 s0, exec_lo
	s_waitcnt lgkmcnt(0)
	s_waitcnt_vscnt null, 0x0
	s_barrier
	buffer_gl0_inv
	v_cmpx_lt_i32_e32 30, v164
	s_cbranch_execz .LBB72_650
; %bb.649:
	v_mul_f64 v[158:159], v[150:151], v[28:29]
	v_mul_f64 v[28:29], v[152:153], v[28:29]
	v_fma_f64 v[158:159], v[152:153], v[26:27], v[158:159]
	v_fma_f64 v[26:27], v[150:151], v[26:27], -v[28:29]
	ds_read2_b64 v[150:153], v1 offset0:62 offset1:63
	s_waitcnt lgkmcnt(0)
	v_mul_f64 v[28:29], v[152:153], v[158:159]
	v_fma_f64 v[28:29], v[150:151], v[26:27], -v[28:29]
	v_mul_f64 v[150:151], v[150:151], v[158:159]
	v_add_f64 v[22:23], v[22:23], -v[28:29]
	v_fma_f64 v[150:151], v[152:153], v[26:27], v[150:151]
	v_add_f64 v[24:25], v[24:25], -v[150:151]
	ds_read2_b64 v[150:153], v1 offset0:64 offset1:65
	s_waitcnt lgkmcnt(0)
	v_mul_f64 v[28:29], v[152:153], v[158:159]
	v_fma_f64 v[28:29], v[150:151], v[26:27], -v[28:29]
	v_mul_f64 v[150:151], v[150:151], v[158:159]
	v_add_f64 v[6:7], v[6:7], -v[28:29]
	v_fma_f64 v[150:151], v[152:153], v[26:27], v[150:151]
	v_add_f64 v[8:9], v[8:9], -v[150:151]
	;; [unrolled: 8-line block ×5, first 2 shown]
	ds_read2_b64 v[150:153], v1 offset0:72 offset1:73
	s_waitcnt lgkmcnt(0)
	v_mul_f64 v[28:29], v[152:153], v[158:159]
	v_fma_f64 v[28:29], v[150:151], v[26:27], -v[28:29]
	v_mul_f64 v[150:151], v[150:151], v[158:159]
	v_add_f64 v[2:3], v[2:3], -v[28:29]
	v_fma_f64 v[150:151], v[152:153], v[26:27], v[150:151]
	v_mov_b32_e32 v28, v158
	v_mov_b32_e32 v29, v159
	v_add_f64 v[4:5], v[4:5], -v[150:151]
.LBB72_650:
	s_or_b32 exec_lo, exec_lo, s0
	v_lshl_add_u32 v150, v164, 4, v1
	s_barrier
	buffer_gl0_inv
	v_mov_b32_e32 v158, 31
	ds_write2_b64 v150, v[22:23], v[24:25] offset1:1
	s_waitcnt lgkmcnt(0)
	s_barrier
	buffer_gl0_inv
	ds_read2_b64 v[150:153], v1 offset0:62 offset1:63
	s_cmp_lt_i32 s1, 33
	s_cbranch_scc1 .LBB72_653
; %bb.651:
	v_add3_u32 v159, v160, 0, 0x200
	v_mov_b32_e32 v158, 31
	s_mov_b32 s3, 32
	s_inst_prefetch 0x1
	.p2align	6
.LBB72_652:                             ; =>This Inner Loop Header: Depth=1
	s_waitcnt lgkmcnt(0)
	v_cmp_gt_f64_e32 vcc_lo, 0, v[152:153]
	v_cmp_gt_f64_e64 s0, 0, v[150:151]
	ds_read2_b64 v[165:168], v159 offset1:1
	v_xor_b32_e32 v170, 0x80000000, v151
	v_xor_b32_e32 v172, 0x80000000, v153
	v_mov_b32_e32 v169, v150
	v_mov_b32_e32 v171, v152
	v_add_nc_u32_e32 v159, 16, v159
	s_waitcnt lgkmcnt(0)
	v_xor_b32_e32 v174, 0x80000000, v168
	v_cndmask_b32_e64 v170, v151, v170, s0
	v_cndmask_b32_e32 v172, v153, v172, vcc_lo
	v_cmp_gt_f64_e32 vcc_lo, 0, v[167:168]
	v_cmp_gt_f64_e64 s0, 0, v[165:166]
	v_mov_b32_e32 v173, v167
	v_add_f64 v[169:170], v[169:170], v[171:172]
	v_xor_b32_e32 v172, 0x80000000, v166
	v_mov_b32_e32 v171, v165
	v_cndmask_b32_e32 v174, v168, v174, vcc_lo
	v_cndmask_b32_e64 v172, v166, v172, s0
	v_add_f64 v[171:172], v[171:172], v[173:174]
	v_cmp_lt_f64_e32 vcc_lo, v[169:170], v[171:172]
	v_cndmask_b32_e32 v151, v151, v166, vcc_lo
	v_cndmask_b32_e32 v150, v150, v165, vcc_lo
	v_cndmask_b32_e32 v153, v153, v168, vcc_lo
	v_cndmask_b32_e32 v152, v152, v167, vcc_lo
	v_cndmask_b32_e64 v158, v158, s3, vcc_lo
	s_add_i32 s3, s3, 1
	s_cmp_lg_u32 s1, s3
	s_cbranch_scc1 .LBB72_652
.LBB72_653:
	s_inst_prefetch 0x2
	s_waitcnt lgkmcnt(0)
	v_cmp_eq_f64_e32 vcc_lo, 0, v[150:151]
	v_cmp_eq_f64_e64 s0, 0, v[152:153]
	s_and_b32 s0, vcc_lo, s0
	s_and_saveexec_b32 s3, s0
	s_xor_b32 s0, exec_lo, s3
; %bb.654:
	v_cmp_ne_u32_e32 vcc_lo, 0, v163
	v_cndmask_b32_e32 v163, 32, v163, vcc_lo
; %bb.655:
	s_andn2_saveexec_b32 s0, s0
	s_cbranch_execz .LBB72_661
; %bb.656:
	v_cmp_ngt_f64_e64 s3, |v[150:151]|, |v[152:153]|
	s_and_saveexec_b32 s8, s3
	s_xor_b32 s3, exec_lo, s8
	s_cbranch_execz .LBB72_658
; %bb.657:
	v_div_scale_f64 v[165:166], null, v[152:153], v[152:153], v[150:151]
	v_div_scale_f64 v[171:172], vcc_lo, v[150:151], v[152:153], v[150:151]
	v_rcp_f64_e32 v[167:168], v[165:166]
	v_fma_f64 v[169:170], -v[165:166], v[167:168], 1.0
	v_fma_f64 v[167:168], v[167:168], v[169:170], v[167:168]
	v_fma_f64 v[169:170], -v[165:166], v[167:168], 1.0
	v_fma_f64 v[167:168], v[167:168], v[169:170], v[167:168]
	v_mul_f64 v[169:170], v[171:172], v[167:168]
	v_fma_f64 v[165:166], -v[165:166], v[169:170], v[171:172]
	v_div_fmas_f64 v[165:166], v[165:166], v[167:168], v[169:170]
	v_div_fixup_f64 v[165:166], v[165:166], v[152:153], v[150:151]
	v_fma_f64 v[150:151], v[150:151], v[165:166], v[152:153]
	v_div_scale_f64 v[152:153], null, v[150:151], v[150:151], 1.0
	v_rcp_f64_e32 v[167:168], v[152:153]
	v_fma_f64 v[169:170], -v[152:153], v[167:168], 1.0
	v_fma_f64 v[167:168], v[167:168], v[169:170], v[167:168]
	v_fma_f64 v[169:170], -v[152:153], v[167:168], 1.0
	v_fma_f64 v[167:168], v[167:168], v[169:170], v[167:168]
	v_div_scale_f64 v[169:170], vcc_lo, 1.0, v[150:151], 1.0
	v_mul_f64 v[171:172], v[169:170], v[167:168]
	v_fma_f64 v[152:153], -v[152:153], v[171:172], v[169:170]
	v_div_fmas_f64 v[152:153], v[152:153], v[167:168], v[171:172]
	v_div_fixup_f64 v[152:153], v[152:153], v[150:151], 1.0
	v_mul_f64 v[150:151], v[165:166], v[152:153]
	v_xor_b32_e32 v153, 0x80000000, v153
.LBB72_658:
	s_andn2_saveexec_b32 s3, s3
	s_cbranch_execz .LBB72_660
; %bb.659:
	v_div_scale_f64 v[165:166], null, v[150:151], v[150:151], v[152:153]
	v_div_scale_f64 v[171:172], vcc_lo, v[152:153], v[150:151], v[152:153]
	v_rcp_f64_e32 v[167:168], v[165:166]
	v_fma_f64 v[169:170], -v[165:166], v[167:168], 1.0
	v_fma_f64 v[167:168], v[167:168], v[169:170], v[167:168]
	v_fma_f64 v[169:170], -v[165:166], v[167:168], 1.0
	v_fma_f64 v[167:168], v[167:168], v[169:170], v[167:168]
	v_mul_f64 v[169:170], v[171:172], v[167:168]
	v_fma_f64 v[165:166], -v[165:166], v[169:170], v[171:172]
	v_div_fmas_f64 v[165:166], v[165:166], v[167:168], v[169:170]
	v_div_fixup_f64 v[165:166], v[165:166], v[150:151], v[152:153]
	v_fma_f64 v[150:151], v[152:153], v[165:166], v[150:151]
	v_div_scale_f64 v[152:153], null, v[150:151], v[150:151], 1.0
	v_rcp_f64_e32 v[167:168], v[152:153]
	v_fma_f64 v[169:170], -v[152:153], v[167:168], 1.0
	v_fma_f64 v[167:168], v[167:168], v[169:170], v[167:168]
	v_fma_f64 v[169:170], -v[152:153], v[167:168], 1.0
	v_fma_f64 v[167:168], v[167:168], v[169:170], v[167:168]
	v_div_scale_f64 v[169:170], vcc_lo, 1.0, v[150:151], 1.0
	v_mul_f64 v[171:172], v[169:170], v[167:168]
	v_fma_f64 v[152:153], -v[152:153], v[171:172], v[169:170]
	v_div_fmas_f64 v[152:153], v[152:153], v[167:168], v[171:172]
	v_div_fixup_f64 v[150:151], v[152:153], v[150:151], 1.0
	v_mul_f64 v[152:153], v[165:166], -v[150:151]
.LBB72_660:
	s_or_b32 exec_lo, exec_lo, s3
.LBB72_661:
	s_or_b32 exec_lo, exec_lo, s0
	s_mov_b32 s0, exec_lo
	v_cmpx_ne_u32_e64 v164, v158
	s_xor_b32 s0, exec_lo, s0
	s_cbranch_execz .LBB72_667
; %bb.662:
	s_mov_b32 s3, exec_lo
	v_cmpx_eq_u32_e32 31, v164
	s_cbranch_execz .LBB72_666
; %bb.663:
	v_cmp_ne_u32_e32 vcc_lo, 31, v158
	s_xor_b32 s8, s16, -1
	s_and_b32 s9, s8, vcc_lo
	s_and_saveexec_b32 s8, s9
	s_cbranch_execz .LBB72_665
; %bb.664:
	v_ashrrev_i32_e32 v159, 31, v158
	v_lshlrev_b64 v[164:165], 2, v[158:159]
	v_add_co_u32 v164, vcc_lo, v156, v164
	v_add_co_ci_u32_e64 v165, null, v157, v165, vcc_lo
	s_clause 0x1
	global_load_dword v0, v[164:165], off
	global_load_dword v159, v[156:157], off offset:124
	s_waitcnt vmcnt(1)
	global_store_dword v[156:157], v0, off offset:124
	s_waitcnt vmcnt(0)
	global_store_dword v[164:165], v159, off
.LBB72_665:
	s_or_b32 exec_lo, exec_lo, s8
	v_mov_b32_e32 v164, v158
	v_mov_b32_e32 v0, v158
.LBB72_666:
	s_or_b32 exec_lo, exec_lo, s3
.LBB72_667:
	s_andn2_saveexec_b32 s0, s0
	s_cbranch_execz .LBB72_669
; %bb.668:
	v_mov_b32_e32 v164, 31
	ds_write2_b64 v1, v[6:7], v[8:9] offset0:64 offset1:65
	ds_write2_b64 v1, v[18:19], v[20:21] offset0:66 offset1:67
	ds_write2_b64 v1, v[14:15], v[16:17] offset0:68 offset1:69
	ds_write2_b64 v1, v[10:11], v[12:13] offset0:70 offset1:71
	ds_write2_b64 v1, v[2:3], v[4:5] offset0:72 offset1:73
.LBB72_669:
	s_or_b32 exec_lo, exec_lo, s0
	s_mov_b32 s0, exec_lo
	s_waitcnt lgkmcnt(0)
	s_waitcnt_vscnt null, 0x0
	s_barrier
	buffer_gl0_inv
	v_cmpx_lt_i32_e32 31, v164
	s_cbranch_execz .LBB72_671
; %bb.670:
	v_mul_f64 v[158:159], v[150:151], v[24:25]
	v_mul_f64 v[24:25], v[152:153], v[24:25]
	v_fma_f64 v[158:159], v[152:153], v[22:23], v[158:159]
	v_fma_f64 v[22:23], v[150:151], v[22:23], -v[24:25]
	ds_read2_b64 v[150:153], v1 offset0:64 offset1:65
	s_waitcnt lgkmcnt(0)
	v_mul_f64 v[24:25], v[152:153], v[158:159]
	v_fma_f64 v[24:25], v[150:151], v[22:23], -v[24:25]
	v_mul_f64 v[150:151], v[150:151], v[158:159]
	v_add_f64 v[6:7], v[6:7], -v[24:25]
	v_fma_f64 v[150:151], v[152:153], v[22:23], v[150:151]
	v_add_f64 v[8:9], v[8:9], -v[150:151]
	ds_read2_b64 v[150:153], v1 offset0:66 offset1:67
	s_waitcnt lgkmcnt(0)
	v_mul_f64 v[24:25], v[152:153], v[158:159]
	v_fma_f64 v[24:25], v[150:151], v[22:23], -v[24:25]
	v_mul_f64 v[150:151], v[150:151], v[158:159]
	v_add_f64 v[18:19], v[18:19], -v[24:25]
	v_fma_f64 v[150:151], v[152:153], v[22:23], v[150:151]
	v_add_f64 v[20:21], v[20:21], -v[150:151]
	ds_read2_b64 v[150:153], v1 offset0:68 offset1:69
	s_waitcnt lgkmcnt(0)
	v_mul_f64 v[24:25], v[152:153], v[158:159]
	v_fma_f64 v[24:25], v[150:151], v[22:23], -v[24:25]
	v_mul_f64 v[150:151], v[150:151], v[158:159]
	v_add_f64 v[14:15], v[14:15], -v[24:25]
	v_fma_f64 v[150:151], v[152:153], v[22:23], v[150:151]
	v_add_f64 v[16:17], v[16:17], -v[150:151]
	ds_read2_b64 v[150:153], v1 offset0:70 offset1:71
	s_waitcnt lgkmcnt(0)
	v_mul_f64 v[24:25], v[152:153], v[158:159]
	v_fma_f64 v[24:25], v[150:151], v[22:23], -v[24:25]
	v_mul_f64 v[150:151], v[150:151], v[158:159]
	v_add_f64 v[10:11], v[10:11], -v[24:25]
	v_fma_f64 v[150:151], v[152:153], v[22:23], v[150:151]
	v_add_f64 v[12:13], v[12:13], -v[150:151]
	ds_read2_b64 v[150:153], v1 offset0:72 offset1:73
	s_waitcnt lgkmcnt(0)
	v_mul_f64 v[24:25], v[152:153], v[158:159]
	v_fma_f64 v[24:25], v[150:151], v[22:23], -v[24:25]
	v_mul_f64 v[150:151], v[150:151], v[158:159]
	v_add_f64 v[2:3], v[2:3], -v[24:25]
	v_fma_f64 v[150:151], v[152:153], v[22:23], v[150:151]
	v_mov_b32_e32 v24, v158
	v_mov_b32_e32 v25, v159
	v_add_f64 v[4:5], v[4:5], -v[150:151]
.LBB72_671:
	s_or_b32 exec_lo, exec_lo, s0
	v_lshl_add_u32 v150, v164, 4, v1
	s_barrier
	buffer_gl0_inv
	v_mov_b32_e32 v158, 32
	ds_write2_b64 v150, v[6:7], v[8:9] offset1:1
	s_waitcnt lgkmcnt(0)
	s_barrier
	buffer_gl0_inv
	ds_read2_b64 v[150:153], v1 offset0:64 offset1:65
	s_cmp_lt_i32 s1, 34
	s_cbranch_scc1 .LBB72_674
; %bb.672:
	v_add3_u32 v159, v160, 0, 0x210
	v_mov_b32_e32 v158, 32
	s_mov_b32 s3, 33
	s_inst_prefetch 0x1
	.p2align	6
.LBB72_673:                             ; =>This Inner Loop Header: Depth=1
	s_waitcnt lgkmcnt(0)
	v_cmp_gt_f64_e32 vcc_lo, 0, v[152:153]
	v_cmp_gt_f64_e64 s0, 0, v[150:151]
	ds_read2_b64 v[165:168], v159 offset1:1
	v_xor_b32_e32 v170, 0x80000000, v151
	v_xor_b32_e32 v172, 0x80000000, v153
	v_mov_b32_e32 v169, v150
	v_mov_b32_e32 v171, v152
	v_add_nc_u32_e32 v159, 16, v159
	s_waitcnt lgkmcnt(0)
	v_xor_b32_e32 v174, 0x80000000, v168
	v_cndmask_b32_e64 v170, v151, v170, s0
	v_cndmask_b32_e32 v172, v153, v172, vcc_lo
	v_cmp_gt_f64_e32 vcc_lo, 0, v[167:168]
	v_cmp_gt_f64_e64 s0, 0, v[165:166]
	v_mov_b32_e32 v173, v167
	v_add_f64 v[169:170], v[169:170], v[171:172]
	v_xor_b32_e32 v172, 0x80000000, v166
	v_mov_b32_e32 v171, v165
	v_cndmask_b32_e32 v174, v168, v174, vcc_lo
	v_cndmask_b32_e64 v172, v166, v172, s0
	v_add_f64 v[171:172], v[171:172], v[173:174]
	v_cmp_lt_f64_e32 vcc_lo, v[169:170], v[171:172]
	v_cndmask_b32_e32 v151, v151, v166, vcc_lo
	v_cndmask_b32_e32 v150, v150, v165, vcc_lo
	;; [unrolled: 1-line block ×4, first 2 shown]
	v_cndmask_b32_e64 v158, v158, s3, vcc_lo
	s_add_i32 s3, s3, 1
	s_cmp_lg_u32 s1, s3
	s_cbranch_scc1 .LBB72_673
.LBB72_674:
	s_inst_prefetch 0x2
	s_waitcnt lgkmcnt(0)
	v_cmp_eq_f64_e32 vcc_lo, 0, v[150:151]
	v_cmp_eq_f64_e64 s0, 0, v[152:153]
	s_and_b32 s0, vcc_lo, s0
	s_and_saveexec_b32 s3, s0
	s_xor_b32 s0, exec_lo, s3
; %bb.675:
	v_cmp_ne_u32_e32 vcc_lo, 0, v163
	v_cndmask_b32_e32 v163, 33, v163, vcc_lo
; %bb.676:
	s_andn2_saveexec_b32 s0, s0
	s_cbranch_execz .LBB72_682
; %bb.677:
	v_cmp_ngt_f64_e64 s3, |v[150:151]|, |v[152:153]|
	s_and_saveexec_b32 s8, s3
	s_xor_b32 s3, exec_lo, s8
	s_cbranch_execz .LBB72_679
; %bb.678:
	v_div_scale_f64 v[165:166], null, v[152:153], v[152:153], v[150:151]
	v_div_scale_f64 v[171:172], vcc_lo, v[150:151], v[152:153], v[150:151]
	v_rcp_f64_e32 v[167:168], v[165:166]
	v_fma_f64 v[169:170], -v[165:166], v[167:168], 1.0
	v_fma_f64 v[167:168], v[167:168], v[169:170], v[167:168]
	v_fma_f64 v[169:170], -v[165:166], v[167:168], 1.0
	v_fma_f64 v[167:168], v[167:168], v[169:170], v[167:168]
	v_mul_f64 v[169:170], v[171:172], v[167:168]
	v_fma_f64 v[165:166], -v[165:166], v[169:170], v[171:172]
	v_div_fmas_f64 v[165:166], v[165:166], v[167:168], v[169:170]
	v_div_fixup_f64 v[165:166], v[165:166], v[152:153], v[150:151]
	v_fma_f64 v[150:151], v[150:151], v[165:166], v[152:153]
	v_div_scale_f64 v[152:153], null, v[150:151], v[150:151], 1.0
	v_rcp_f64_e32 v[167:168], v[152:153]
	v_fma_f64 v[169:170], -v[152:153], v[167:168], 1.0
	v_fma_f64 v[167:168], v[167:168], v[169:170], v[167:168]
	v_fma_f64 v[169:170], -v[152:153], v[167:168], 1.0
	v_fma_f64 v[167:168], v[167:168], v[169:170], v[167:168]
	v_div_scale_f64 v[169:170], vcc_lo, 1.0, v[150:151], 1.0
	v_mul_f64 v[171:172], v[169:170], v[167:168]
	v_fma_f64 v[152:153], -v[152:153], v[171:172], v[169:170]
	v_div_fmas_f64 v[152:153], v[152:153], v[167:168], v[171:172]
	v_div_fixup_f64 v[152:153], v[152:153], v[150:151], 1.0
	v_mul_f64 v[150:151], v[165:166], v[152:153]
	v_xor_b32_e32 v153, 0x80000000, v153
.LBB72_679:
	s_andn2_saveexec_b32 s3, s3
	s_cbranch_execz .LBB72_681
; %bb.680:
	v_div_scale_f64 v[165:166], null, v[150:151], v[150:151], v[152:153]
	v_div_scale_f64 v[171:172], vcc_lo, v[152:153], v[150:151], v[152:153]
	v_rcp_f64_e32 v[167:168], v[165:166]
	v_fma_f64 v[169:170], -v[165:166], v[167:168], 1.0
	v_fma_f64 v[167:168], v[167:168], v[169:170], v[167:168]
	v_fma_f64 v[169:170], -v[165:166], v[167:168], 1.0
	v_fma_f64 v[167:168], v[167:168], v[169:170], v[167:168]
	v_mul_f64 v[169:170], v[171:172], v[167:168]
	v_fma_f64 v[165:166], -v[165:166], v[169:170], v[171:172]
	v_div_fmas_f64 v[165:166], v[165:166], v[167:168], v[169:170]
	v_div_fixup_f64 v[165:166], v[165:166], v[150:151], v[152:153]
	v_fma_f64 v[150:151], v[152:153], v[165:166], v[150:151]
	v_div_scale_f64 v[152:153], null, v[150:151], v[150:151], 1.0
	v_rcp_f64_e32 v[167:168], v[152:153]
	v_fma_f64 v[169:170], -v[152:153], v[167:168], 1.0
	v_fma_f64 v[167:168], v[167:168], v[169:170], v[167:168]
	v_fma_f64 v[169:170], -v[152:153], v[167:168], 1.0
	v_fma_f64 v[167:168], v[167:168], v[169:170], v[167:168]
	v_div_scale_f64 v[169:170], vcc_lo, 1.0, v[150:151], 1.0
	v_mul_f64 v[171:172], v[169:170], v[167:168]
	v_fma_f64 v[152:153], -v[152:153], v[171:172], v[169:170]
	v_div_fmas_f64 v[152:153], v[152:153], v[167:168], v[171:172]
	v_div_fixup_f64 v[150:151], v[152:153], v[150:151], 1.0
	v_mul_f64 v[152:153], v[165:166], -v[150:151]
.LBB72_681:
	s_or_b32 exec_lo, exec_lo, s3
.LBB72_682:
	s_or_b32 exec_lo, exec_lo, s0
	s_mov_b32 s0, exec_lo
	v_cmpx_ne_u32_e64 v164, v158
	s_xor_b32 s0, exec_lo, s0
	s_cbranch_execz .LBB72_688
; %bb.683:
	s_mov_b32 s3, exec_lo
	v_cmpx_eq_u32_e32 32, v164
	s_cbranch_execz .LBB72_687
; %bb.684:
	v_cmp_ne_u32_e32 vcc_lo, 32, v158
	s_xor_b32 s8, s16, -1
	s_and_b32 s9, s8, vcc_lo
	s_and_saveexec_b32 s8, s9
	s_cbranch_execz .LBB72_686
; %bb.685:
	v_ashrrev_i32_e32 v159, 31, v158
	v_lshlrev_b64 v[164:165], 2, v[158:159]
	v_add_co_u32 v164, vcc_lo, v156, v164
	v_add_co_ci_u32_e64 v165, null, v157, v165, vcc_lo
	s_clause 0x1
	global_load_dword v0, v[164:165], off
	global_load_dword v159, v[156:157], off offset:128
	s_waitcnt vmcnt(1)
	global_store_dword v[156:157], v0, off offset:128
	s_waitcnt vmcnt(0)
	global_store_dword v[164:165], v159, off
.LBB72_686:
	s_or_b32 exec_lo, exec_lo, s8
	v_mov_b32_e32 v164, v158
	v_mov_b32_e32 v0, v158
.LBB72_687:
	s_or_b32 exec_lo, exec_lo, s3
.LBB72_688:
	s_andn2_saveexec_b32 s0, s0
	s_cbranch_execz .LBB72_690
; %bb.689:
	v_mov_b32_e32 v164, 32
	ds_write2_b64 v1, v[18:19], v[20:21] offset0:66 offset1:67
	ds_write2_b64 v1, v[14:15], v[16:17] offset0:68 offset1:69
	;; [unrolled: 1-line block ×4, first 2 shown]
.LBB72_690:
	s_or_b32 exec_lo, exec_lo, s0
	s_mov_b32 s0, exec_lo
	s_waitcnt lgkmcnt(0)
	s_waitcnt_vscnt null, 0x0
	s_barrier
	buffer_gl0_inv
	v_cmpx_lt_i32_e32 32, v164
	s_cbranch_execz .LBB72_692
; %bb.691:
	v_mul_f64 v[158:159], v[150:151], v[8:9]
	v_mul_f64 v[8:9], v[152:153], v[8:9]
	v_fma_f64 v[158:159], v[152:153], v[6:7], v[158:159]
	v_fma_f64 v[6:7], v[150:151], v[6:7], -v[8:9]
	ds_read2_b64 v[150:153], v1 offset0:66 offset1:67
	s_waitcnt lgkmcnt(0)
	v_mul_f64 v[8:9], v[152:153], v[158:159]
	v_fma_f64 v[8:9], v[150:151], v[6:7], -v[8:9]
	v_mul_f64 v[150:151], v[150:151], v[158:159]
	v_add_f64 v[18:19], v[18:19], -v[8:9]
	v_fma_f64 v[150:151], v[152:153], v[6:7], v[150:151]
	v_add_f64 v[20:21], v[20:21], -v[150:151]
	ds_read2_b64 v[150:153], v1 offset0:68 offset1:69
	s_waitcnt lgkmcnt(0)
	v_mul_f64 v[8:9], v[152:153], v[158:159]
	v_fma_f64 v[8:9], v[150:151], v[6:7], -v[8:9]
	v_mul_f64 v[150:151], v[150:151], v[158:159]
	v_add_f64 v[14:15], v[14:15], -v[8:9]
	v_fma_f64 v[150:151], v[152:153], v[6:7], v[150:151]
	v_add_f64 v[16:17], v[16:17], -v[150:151]
	ds_read2_b64 v[150:153], v1 offset0:70 offset1:71
	s_waitcnt lgkmcnt(0)
	v_mul_f64 v[8:9], v[152:153], v[158:159]
	v_fma_f64 v[8:9], v[150:151], v[6:7], -v[8:9]
	v_mul_f64 v[150:151], v[150:151], v[158:159]
	v_add_f64 v[10:11], v[10:11], -v[8:9]
	v_fma_f64 v[150:151], v[152:153], v[6:7], v[150:151]
	v_add_f64 v[12:13], v[12:13], -v[150:151]
	ds_read2_b64 v[150:153], v1 offset0:72 offset1:73
	s_waitcnt lgkmcnt(0)
	v_mul_f64 v[8:9], v[152:153], v[158:159]
	v_fma_f64 v[8:9], v[150:151], v[6:7], -v[8:9]
	v_mul_f64 v[150:151], v[150:151], v[158:159]
	v_add_f64 v[2:3], v[2:3], -v[8:9]
	v_fma_f64 v[150:151], v[152:153], v[6:7], v[150:151]
	v_mov_b32_e32 v8, v158
	v_mov_b32_e32 v9, v159
	v_add_f64 v[4:5], v[4:5], -v[150:151]
.LBB72_692:
	s_or_b32 exec_lo, exec_lo, s0
	v_lshl_add_u32 v150, v164, 4, v1
	s_barrier
	buffer_gl0_inv
	v_mov_b32_e32 v158, 33
	ds_write2_b64 v150, v[18:19], v[20:21] offset1:1
	s_waitcnt lgkmcnt(0)
	s_barrier
	buffer_gl0_inv
	ds_read2_b64 v[150:153], v1 offset0:66 offset1:67
	s_cmp_lt_i32 s1, 35
	s_cbranch_scc1 .LBB72_695
; %bb.693:
	v_add3_u32 v159, v160, 0, 0x220
	v_mov_b32_e32 v158, 33
	s_mov_b32 s3, 34
	s_inst_prefetch 0x1
	.p2align	6
.LBB72_694:                             ; =>This Inner Loop Header: Depth=1
	s_waitcnt lgkmcnt(0)
	v_cmp_gt_f64_e32 vcc_lo, 0, v[152:153]
	v_cmp_gt_f64_e64 s0, 0, v[150:151]
	ds_read2_b64 v[165:168], v159 offset1:1
	v_xor_b32_e32 v170, 0x80000000, v151
	v_xor_b32_e32 v172, 0x80000000, v153
	v_mov_b32_e32 v169, v150
	v_mov_b32_e32 v171, v152
	v_add_nc_u32_e32 v159, 16, v159
	s_waitcnt lgkmcnt(0)
	v_xor_b32_e32 v174, 0x80000000, v168
	v_cndmask_b32_e64 v170, v151, v170, s0
	v_cndmask_b32_e32 v172, v153, v172, vcc_lo
	v_cmp_gt_f64_e32 vcc_lo, 0, v[167:168]
	v_cmp_gt_f64_e64 s0, 0, v[165:166]
	v_mov_b32_e32 v173, v167
	v_add_f64 v[169:170], v[169:170], v[171:172]
	v_xor_b32_e32 v172, 0x80000000, v166
	v_mov_b32_e32 v171, v165
	v_cndmask_b32_e32 v174, v168, v174, vcc_lo
	v_cndmask_b32_e64 v172, v166, v172, s0
	v_add_f64 v[171:172], v[171:172], v[173:174]
	v_cmp_lt_f64_e32 vcc_lo, v[169:170], v[171:172]
	v_cndmask_b32_e32 v151, v151, v166, vcc_lo
	v_cndmask_b32_e32 v150, v150, v165, vcc_lo
	;; [unrolled: 1-line block ×4, first 2 shown]
	v_cndmask_b32_e64 v158, v158, s3, vcc_lo
	s_add_i32 s3, s3, 1
	s_cmp_lg_u32 s1, s3
	s_cbranch_scc1 .LBB72_694
.LBB72_695:
	s_inst_prefetch 0x2
	s_waitcnt lgkmcnt(0)
	v_cmp_eq_f64_e32 vcc_lo, 0, v[150:151]
	v_cmp_eq_f64_e64 s0, 0, v[152:153]
	s_and_b32 s0, vcc_lo, s0
	s_and_saveexec_b32 s3, s0
	s_xor_b32 s0, exec_lo, s3
; %bb.696:
	v_cmp_ne_u32_e32 vcc_lo, 0, v163
	v_cndmask_b32_e32 v163, 34, v163, vcc_lo
; %bb.697:
	s_andn2_saveexec_b32 s0, s0
	s_cbranch_execz .LBB72_703
; %bb.698:
	v_cmp_ngt_f64_e64 s3, |v[150:151]|, |v[152:153]|
	s_and_saveexec_b32 s8, s3
	s_xor_b32 s3, exec_lo, s8
	s_cbranch_execz .LBB72_700
; %bb.699:
	v_div_scale_f64 v[165:166], null, v[152:153], v[152:153], v[150:151]
	v_div_scale_f64 v[171:172], vcc_lo, v[150:151], v[152:153], v[150:151]
	v_rcp_f64_e32 v[167:168], v[165:166]
	v_fma_f64 v[169:170], -v[165:166], v[167:168], 1.0
	v_fma_f64 v[167:168], v[167:168], v[169:170], v[167:168]
	v_fma_f64 v[169:170], -v[165:166], v[167:168], 1.0
	v_fma_f64 v[167:168], v[167:168], v[169:170], v[167:168]
	v_mul_f64 v[169:170], v[171:172], v[167:168]
	v_fma_f64 v[165:166], -v[165:166], v[169:170], v[171:172]
	v_div_fmas_f64 v[165:166], v[165:166], v[167:168], v[169:170]
	v_div_fixup_f64 v[165:166], v[165:166], v[152:153], v[150:151]
	v_fma_f64 v[150:151], v[150:151], v[165:166], v[152:153]
	v_div_scale_f64 v[152:153], null, v[150:151], v[150:151], 1.0
	v_rcp_f64_e32 v[167:168], v[152:153]
	v_fma_f64 v[169:170], -v[152:153], v[167:168], 1.0
	v_fma_f64 v[167:168], v[167:168], v[169:170], v[167:168]
	v_fma_f64 v[169:170], -v[152:153], v[167:168], 1.0
	v_fma_f64 v[167:168], v[167:168], v[169:170], v[167:168]
	v_div_scale_f64 v[169:170], vcc_lo, 1.0, v[150:151], 1.0
	v_mul_f64 v[171:172], v[169:170], v[167:168]
	v_fma_f64 v[152:153], -v[152:153], v[171:172], v[169:170]
	v_div_fmas_f64 v[152:153], v[152:153], v[167:168], v[171:172]
	v_div_fixup_f64 v[152:153], v[152:153], v[150:151], 1.0
	v_mul_f64 v[150:151], v[165:166], v[152:153]
	v_xor_b32_e32 v153, 0x80000000, v153
.LBB72_700:
	s_andn2_saveexec_b32 s3, s3
	s_cbranch_execz .LBB72_702
; %bb.701:
	v_div_scale_f64 v[165:166], null, v[150:151], v[150:151], v[152:153]
	v_div_scale_f64 v[171:172], vcc_lo, v[152:153], v[150:151], v[152:153]
	v_rcp_f64_e32 v[167:168], v[165:166]
	v_fma_f64 v[169:170], -v[165:166], v[167:168], 1.0
	v_fma_f64 v[167:168], v[167:168], v[169:170], v[167:168]
	v_fma_f64 v[169:170], -v[165:166], v[167:168], 1.0
	v_fma_f64 v[167:168], v[167:168], v[169:170], v[167:168]
	v_mul_f64 v[169:170], v[171:172], v[167:168]
	v_fma_f64 v[165:166], -v[165:166], v[169:170], v[171:172]
	v_div_fmas_f64 v[165:166], v[165:166], v[167:168], v[169:170]
	v_div_fixup_f64 v[165:166], v[165:166], v[150:151], v[152:153]
	v_fma_f64 v[150:151], v[152:153], v[165:166], v[150:151]
	v_div_scale_f64 v[152:153], null, v[150:151], v[150:151], 1.0
	v_rcp_f64_e32 v[167:168], v[152:153]
	v_fma_f64 v[169:170], -v[152:153], v[167:168], 1.0
	v_fma_f64 v[167:168], v[167:168], v[169:170], v[167:168]
	v_fma_f64 v[169:170], -v[152:153], v[167:168], 1.0
	v_fma_f64 v[167:168], v[167:168], v[169:170], v[167:168]
	v_div_scale_f64 v[169:170], vcc_lo, 1.0, v[150:151], 1.0
	v_mul_f64 v[171:172], v[169:170], v[167:168]
	v_fma_f64 v[152:153], -v[152:153], v[171:172], v[169:170]
	v_div_fmas_f64 v[152:153], v[152:153], v[167:168], v[171:172]
	v_div_fixup_f64 v[150:151], v[152:153], v[150:151], 1.0
	v_mul_f64 v[152:153], v[165:166], -v[150:151]
.LBB72_702:
	s_or_b32 exec_lo, exec_lo, s3
.LBB72_703:
	s_or_b32 exec_lo, exec_lo, s0
	s_mov_b32 s0, exec_lo
	v_cmpx_ne_u32_e64 v164, v158
	s_xor_b32 s0, exec_lo, s0
	s_cbranch_execz .LBB72_709
; %bb.704:
	s_mov_b32 s3, exec_lo
	v_cmpx_eq_u32_e32 33, v164
	s_cbranch_execz .LBB72_708
; %bb.705:
	v_cmp_ne_u32_e32 vcc_lo, 33, v158
	s_xor_b32 s8, s16, -1
	s_and_b32 s9, s8, vcc_lo
	s_and_saveexec_b32 s8, s9
	s_cbranch_execz .LBB72_707
; %bb.706:
	v_ashrrev_i32_e32 v159, 31, v158
	v_lshlrev_b64 v[164:165], 2, v[158:159]
	v_add_co_u32 v164, vcc_lo, v156, v164
	v_add_co_ci_u32_e64 v165, null, v157, v165, vcc_lo
	s_clause 0x1
	global_load_dword v0, v[164:165], off
	global_load_dword v159, v[156:157], off offset:132
	s_waitcnt vmcnt(1)
	global_store_dword v[156:157], v0, off offset:132
	s_waitcnt vmcnt(0)
	global_store_dword v[164:165], v159, off
.LBB72_707:
	s_or_b32 exec_lo, exec_lo, s8
	v_mov_b32_e32 v164, v158
	v_mov_b32_e32 v0, v158
.LBB72_708:
	s_or_b32 exec_lo, exec_lo, s3
.LBB72_709:
	s_andn2_saveexec_b32 s0, s0
	s_cbranch_execz .LBB72_711
; %bb.710:
	v_mov_b32_e32 v164, 33
	ds_write2_b64 v1, v[14:15], v[16:17] offset0:68 offset1:69
	ds_write2_b64 v1, v[10:11], v[12:13] offset0:70 offset1:71
	;; [unrolled: 1-line block ×3, first 2 shown]
.LBB72_711:
	s_or_b32 exec_lo, exec_lo, s0
	s_mov_b32 s0, exec_lo
	s_waitcnt lgkmcnt(0)
	s_waitcnt_vscnt null, 0x0
	s_barrier
	buffer_gl0_inv
	v_cmpx_lt_i32_e32 33, v164
	s_cbranch_execz .LBB72_713
; %bb.712:
	v_mul_f64 v[158:159], v[150:151], v[20:21]
	v_mul_f64 v[20:21], v[152:153], v[20:21]
	ds_read2_b64 v[165:168], v1 offset0:68 offset1:69
	ds_read2_b64 v[169:172], v1 offset0:70 offset1:71
	;; [unrolled: 1-line block ×3, first 2 shown]
	v_fma_f64 v[152:153], v[152:153], v[18:19], v[158:159]
	v_fma_f64 v[18:19], v[150:151], v[18:19], -v[20:21]
	s_waitcnt lgkmcnt(2)
	v_mul_f64 v[20:21], v[167:168], v[152:153]
	v_mul_f64 v[150:151], v[165:166], v[152:153]
	s_waitcnt lgkmcnt(1)
	v_mul_f64 v[158:159], v[171:172], v[152:153]
	v_mul_f64 v[177:178], v[169:170], v[152:153]
	;; [unrolled: 3-line block ×3, first 2 shown]
	v_fma_f64 v[20:21], v[165:166], v[18:19], -v[20:21]
	v_fma_f64 v[150:151], v[167:168], v[18:19], v[150:151]
	v_fma_f64 v[158:159], v[169:170], v[18:19], -v[158:159]
	v_fma_f64 v[165:166], v[171:172], v[18:19], v[177:178]
	;; [unrolled: 2-line block ×3, first 2 shown]
	v_add_f64 v[14:15], v[14:15], -v[20:21]
	v_add_f64 v[16:17], v[16:17], -v[150:151]
	v_add_f64 v[10:11], v[10:11], -v[158:159]
	v_add_f64 v[12:13], v[12:13], -v[165:166]
	v_add_f64 v[2:3], v[2:3], -v[167:168]
	v_add_f64 v[4:5], v[4:5], -v[169:170]
	v_mov_b32_e32 v20, v152
	v_mov_b32_e32 v21, v153
.LBB72_713:
	s_or_b32 exec_lo, exec_lo, s0
	v_lshl_add_u32 v150, v164, 4, v1
	s_barrier
	buffer_gl0_inv
	v_mov_b32_e32 v158, 34
	ds_write2_b64 v150, v[14:15], v[16:17] offset1:1
	s_waitcnt lgkmcnt(0)
	s_barrier
	buffer_gl0_inv
	ds_read2_b64 v[150:153], v1 offset0:68 offset1:69
	s_cmp_lt_i32 s1, 36
	s_cbranch_scc1 .LBB72_716
; %bb.714:
	v_add3_u32 v159, v160, 0, 0x230
	v_mov_b32_e32 v158, 34
	s_mov_b32 s3, 35
	s_inst_prefetch 0x1
	.p2align	6
.LBB72_715:                             ; =>This Inner Loop Header: Depth=1
	s_waitcnt lgkmcnt(0)
	v_cmp_gt_f64_e32 vcc_lo, 0, v[152:153]
	v_cmp_gt_f64_e64 s0, 0, v[150:151]
	ds_read2_b64 v[165:168], v159 offset1:1
	v_xor_b32_e32 v170, 0x80000000, v151
	v_xor_b32_e32 v172, 0x80000000, v153
	v_mov_b32_e32 v169, v150
	v_mov_b32_e32 v171, v152
	v_add_nc_u32_e32 v159, 16, v159
	s_waitcnt lgkmcnt(0)
	v_xor_b32_e32 v174, 0x80000000, v168
	v_cndmask_b32_e64 v170, v151, v170, s0
	v_cndmask_b32_e32 v172, v153, v172, vcc_lo
	v_cmp_gt_f64_e32 vcc_lo, 0, v[167:168]
	v_cmp_gt_f64_e64 s0, 0, v[165:166]
	v_mov_b32_e32 v173, v167
	v_add_f64 v[169:170], v[169:170], v[171:172]
	v_xor_b32_e32 v172, 0x80000000, v166
	v_mov_b32_e32 v171, v165
	v_cndmask_b32_e32 v174, v168, v174, vcc_lo
	v_cndmask_b32_e64 v172, v166, v172, s0
	v_add_f64 v[171:172], v[171:172], v[173:174]
	v_cmp_lt_f64_e32 vcc_lo, v[169:170], v[171:172]
	v_cndmask_b32_e32 v151, v151, v166, vcc_lo
	v_cndmask_b32_e32 v150, v150, v165, vcc_lo
	;; [unrolled: 1-line block ×4, first 2 shown]
	v_cndmask_b32_e64 v158, v158, s3, vcc_lo
	s_add_i32 s3, s3, 1
	s_cmp_lg_u32 s1, s3
	s_cbranch_scc1 .LBB72_715
.LBB72_716:
	s_inst_prefetch 0x2
	s_waitcnt lgkmcnt(0)
	v_cmp_eq_f64_e32 vcc_lo, 0, v[150:151]
	v_cmp_eq_f64_e64 s0, 0, v[152:153]
	s_and_b32 s0, vcc_lo, s0
	s_and_saveexec_b32 s3, s0
	s_xor_b32 s0, exec_lo, s3
; %bb.717:
	v_cmp_ne_u32_e32 vcc_lo, 0, v163
	v_cndmask_b32_e32 v163, 35, v163, vcc_lo
; %bb.718:
	s_andn2_saveexec_b32 s0, s0
	s_cbranch_execz .LBB72_724
; %bb.719:
	v_cmp_ngt_f64_e64 s3, |v[150:151]|, |v[152:153]|
	s_and_saveexec_b32 s8, s3
	s_xor_b32 s3, exec_lo, s8
	s_cbranch_execz .LBB72_721
; %bb.720:
	v_div_scale_f64 v[165:166], null, v[152:153], v[152:153], v[150:151]
	v_div_scale_f64 v[171:172], vcc_lo, v[150:151], v[152:153], v[150:151]
	v_rcp_f64_e32 v[167:168], v[165:166]
	v_fma_f64 v[169:170], -v[165:166], v[167:168], 1.0
	v_fma_f64 v[167:168], v[167:168], v[169:170], v[167:168]
	v_fma_f64 v[169:170], -v[165:166], v[167:168], 1.0
	v_fma_f64 v[167:168], v[167:168], v[169:170], v[167:168]
	v_mul_f64 v[169:170], v[171:172], v[167:168]
	v_fma_f64 v[165:166], -v[165:166], v[169:170], v[171:172]
	v_div_fmas_f64 v[165:166], v[165:166], v[167:168], v[169:170]
	v_div_fixup_f64 v[165:166], v[165:166], v[152:153], v[150:151]
	v_fma_f64 v[150:151], v[150:151], v[165:166], v[152:153]
	v_div_scale_f64 v[152:153], null, v[150:151], v[150:151], 1.0
	v_rcp_f64_e32 v[167:168], v[152:153]
	v_fma_f64 v[169:170], -v[152:153], v[167:168], 1.0
	v_fma_f64 v[167:168], v[167:168], v[169:170], v[167:168]
	v_fma_f64 v[169:170], -v[152:153], v[167:168], 1.0
	v_fma_f64 v[167:168], v[167:168], v[169:170], v[167:168]
	v_div_scale_f64 v[169:170], vcc_lo, 1.0, v[150:151], 1.0
	v_mul_f64 v[171:172], v[169:170], v[167:168]
	v_fma_f64 v[152:153], -v[152:153], v[171:172], v[169:170]
	v_div_fmas_f64 v[152:153], v[152:153], v[167:168], v[171:172]
	v_div_fixup_f64 v[152:153], v[152:153], v[150:151], 1.0
	v_mul_f64 v[150:151], v[165:166], v[152:153]
	v_xor_b32_e32 v153, 0x80000000, v153
.LBB72_721:
	s_andn2_saveexec_b32 s3, s3
	s_cbranch_execz .LBB72_723
; %bb.722:
	v_div_scale_f64 v[165:166], null, v[150:151], v[150:151], v[152:153]
	v_div_scale_f64 v[171:172], vcc_lo, v[152:153], v[150:151], v[152:153]
	v_rcp_f64_e32 v[167:168], v[165:166]
	v_fma_f64 v[169:170], -v[165:166], v[167:168], 1.0
	v_fma_f64 v[167:168], v[167:168], v[169:170], v[167:168]
	v_fma_f64 v[169:170], -v[165:166], v[167:168], 1.0
	v_fma_f64 v[167:168], v[167:168], v[169:170], v[167:168]
	v_mul_f64 v[169:170], v[171:172], v[167:168]
	v_fma_f64 v[165:166], -v[165:166], v[169:170], v[171:172]
	v_div_fmas_f64 v[165:166], v[165:166], v[167:168], v[169:170]
	v_div_fixup_f64 v[165:166], v[165:166], v[150:151], v[152:153]
	v_fma_f64 v[150:151], v[152:153], v[165:166], v[150:151]
	v_div_scale_f64 v[152:153], null, v[150:151], v[150:151], 1.0
	v_rcp_f64_e32 v[167:168], v[152:153]
	v_fma_f64 v[169:170], -v[152:153], v[167:168], 1.0
	v_fma_f64 v[167:168], v[167:168], v[169:170], v[167:168]
	v_fma_f64 v[169:170], -v[152:153], v[167:168], 1.0
	v_fma_f64 v[167:168], v[167:168], v[169:170], v[167:168]
	v_div_scale_f64 v[169:170], vcc_lo, 1.0, v[150:151], 1.0
	v_mul_f64 v[171:172], v[169:170], v[167:168]
	v_fma_f64 v[152:153], -v[152:153], v[171:172], v[169:170]
	v_div_fmas_f64 v[152:153], v[152:153], v[167:168], v[171:172]
	v_div_fixup_f64 v[150:151], v[152:153], v[150:151], 1.0
	v_mul_f64 v[152:153], v[165:166], -v[150:151]
.LBB72_723:
	s_or_b32 exec_lo, exec_lo, s3
.LBB72_724:
	s_or_b32 exec_lo, exec_lo, s0
	s_mov_b32 s0, exec_lo
	v_cmpx_ne_u32_e64 v164, v158
	s_xor_b32 s0, exec_lo, s0
	s_cbranch_execz .LBB72_730
; %bb.725:
	s_mov_b32 s3, exec_lo
	v_cmpx_eq_u32_e32 34, v164
	s_cbranch_execz .LBB72_729
; %bb.726:
	v_cmp_ne_u32_e32 vcc_lo, 34, v158
	s_xor_b32 s8, s16, -1
	s_and_b32 s9, s8, vcc_lo
	s_and_saveexec_b32 s8, s9
	s_cbranch_execz .LBB72_728
; %bb.727:
	v_ashrrev_i32_e32 v159, 31, v158
	v_lshlrev_b64 v[164:165], 2, v[158:159]
	v_add_co_u32 v164, vcc_lo, v156, v164
	v_add_co_ci_u32_e64 v165, null, v157, v165, vcc_lo
	s_clause 0x1
	global_load_dword v0, v[164:165], off
	global_load_dword v159, v[156:157], off offset:136
	s_waitcnt vmcnt(1)
	global_store_dword v[156:157], v0, off offset:136
	s_waitcnt vmcnt(0)
	global_store_dword v[164:165], v159, off
.LBB72_728:
	s_or_b32 exec_lo, exec_lo, s8
	v_mov_b32_e32 v164, v158
	v_mov_b32_e32 v0, v158
.LBB72_729:
	s_or_b32 exec_lo, exec_lo, s3
.LBB72_730:
	s_andn2_saveexec_b32 s0, s0
	s_cbranch_execz .LBB72_732
; %bb.731:
	v_mov_b32_e32 v164, 34
	ds_write2_b64 v1, v[10:11], v[12:13] offset0:70 offset1:71
	ds_write2_b64 v1, v[2:3], v[4:5] offset0:72 offset1:73
.LBB72_732:
	s_or_b32 exec_lo, exec_lo, s0
	s_mov_b32 s0, exec_lo
	s_waitcnt lgkmcnt(0)
	s_waitcnt_vscnt null, 0x0
	s_barrier
	buffer_gl0_inv
	v_cmpx_lt_i32_e32 34, v164
	s_cbranch_execz .LBB72_734
; %bb.733:
	v_mul_f64 v[158:159], v[150:151], v[16:17]
	v_mul_f64 v[16:17], v[152:153], v[16:17]
	ds_read2_b64 v[165:168], v1 offset0:70 offset1:71
	ds_read2_b64 v[169:172], v1 offset0:72 offset1:73
	v_fma_f64 v[152:153], v[152:153], v[14:15], v[158:159]
	v_fma_f64 v[14:15], v[150:151], v[14:15], -v[16:17]
	s_waitcnt lgkmcnt(1)
	v_mul_f64 v[16:17], v[167:168], v[152:153]
	v_mul_f64 v[150:151], v[165:166], v[152:153]
	s_waitcnt lgkmcnt(0)
	v_mul_f64 v[158:159], v[171:172], v[152:153]
	v_mul_f64 v[173:174], v[169:170], v[152:153]
	v_fma_f64 v[16:17], v[165:166], v[14:15], -v[16:17]
	v_fma_f64 v[150:151], v[167:168], v[14:15], v[150:151]
	v_fma_f64 v[158:159], v[169:170], v[14:15], -v[158:159]
	v_fma_f64 v[165:166], v[171:172], v[14:15], v[173:174]
	v_add_f64 v[10:11], v[10:11], -v[16:17]
	v_add_f64 v[12:13], v[12:13], -v[150:151]
	;; [unrolled: 1-line block ×4, first 2 shown]
	v_mov_b32_e32 v16, v152
	v_mov_b32_e32 v17, v153
.LBB72_734:
	s_or_b32 exec_lo, exec_lo, s0
	v_lshl_add_u32 v150, v164, 4, v1
	s_barrier
	buffer_gl0_inv
	v_mov_b32_e32 v158, 35
	ds_write2_b64 v150, v[10:11], v[12:13] offset1:1
	s_waitcnt lgkmcnt(0)
	s_barrier
	buffer_gl0_inv
	ds_read2_b64 v[150:153], v1 offset0:70 offset1:71
	s_cmp_lt_i32 s1, 37
	s_cbranch_scc1 .LBB72_737
; %bb.735:
	v_add3_u32 v159, v160, 0, 0x240
	v_mov_b32_e32 v158, 35
	s_mov_b32 s3, 36
	s_inst_prefetch 0x1
	.p2align	6
.LBB72_736:                             ; =>This Inner Loop Header: Depth=1
	s_waitcnt lgkmcnt(0)
	v_cmp_gt_f64_e32 vcc_lo, 0, v[152:153]
	v_cmp_gt_f64_e64 s0, 0, v[150:151]
	ds_read2_b64 v[165:168], v159 offset1:1
	v_xor_b32_e32 v170, 0x80000000, v151
	v_xor_b32_e32 v172, 0x80000000, v153
	v_mov_b32_e32 v169, v150
	v_mov_b32_e32 v171, v152
	v_add_nc_u32_e32 v159, 16, v159
	s_waitcnt lgkmcnt(0)
	v_xor_b32_e32 v174, 0x80000000, v168
	v_cndmask_b32_e64 v170, v151, v170, s0
	v_cndmask_b32_e32 v172, v153, v172, vcc_lo
	v_cmp_gt_f64_e32 vcc_lo, 0, v[167:168]
	v_cmp_gt_f64_e64 s0, 0, v[165:166]
	v_mov_b32_e32 v173, v167
	v_add_f64 v[169:170], v[169:170], v[171:172]
	v_xor_b32_e32 v172, 0x80000000, v166
	v_mov_b32_e32 v171, v165
	v_cndmask_b32_e32 v174, v168, v174, vcc_lo
	v_cndmask_b32_e64 v172, v166, v172, s0
	v_add_f64 v[171:172], v[171:172], v[173:174]
	v_cmp_lt_f64_e32 vcc_lo, v[169:170], v[171:172]
	v_cndmask_b32_e32 v151, v151, v166, vcc_lo
	v_cndmask_b32_e32 v150, v150, v165, vcc_lo
	;; [unrolled: 1-line block ×4, first 2 shown]
	v_cndmask_b32_e64 v158, v158, s3, vcc_lo
	s_add_i32 s3, s3, 1
	s_cmp_lg_u32 s1, s3
	s_cbranch_scc1 .LBB72_736
.LBB72_737:
	s_inst_prefetch 0x2
	s_waitcnt lgkmcnt(0)
	v_cmp_eq_f64_e32 vcc_lo, 0, v[150:151]
	v_cmp_eq_f64_e64 s0, 0, v[152:153]
	s_and_b32 s0, vcc_lo, s0
	s_and_saveexec_b32 s3, s0
	s_xor_b32 s0, exec_lo, s3
; %bb.738:
	v_cmp_ne_u32_e32 vcc_lo, 0, v163
	v_cndmask_b32_e32 v163, 36, v163, vcc_lo
; %bb.739:
	s_andn2_saveexec_b32 s0, s0
	s_cbranch_execz .LBB72_745
; %bb.740:
	v_cmp_ngt_f64_e64 s3, |v[150:151]|, |v[152:153]|
	s_and_saveexec_b32 s8, s3
	s_xor_b32 s3, exec_lo, s8
	s_cbranch_execz .LBB72_742
; %bb.741:
	v_div_scale_f64 v[165:166], null, v[152:153], v[152:153], v[150:151]
	v_div_scale_f64 v[171:172], vcc_lo, v[150:151], v[152:153], v[150:151]
	v_rcp_f64_e32 v[167:168], v[165:166]
	v_fma_f64 v[169:170], -v[165:166], v[167:168], 1.0
	v_fma_f64 v[167:168], v[167:168], v[169:170], v[167:168]
	v_fma_f64 v[169:170], -v[165:166], v[167:168], 1.0
	v_fma_f64 v[167:168], v[167:168], v[169:170], v[167:168]
	v_mul_f64 v[169:170], v[171:172], v[167:168]
	v_fma_f64 v[165:166], -v[165:166], v[169:170], v[171:172]
	v_div_fmas_f64 v[165:166], v[165:166], v[167:168], v[169:170]
	v_div_fixup_f64 v[165:166], v[165:166], v[152:153], v[150:151]
	v_fma_f64 v[150:151], v[150:151], v[165:166], v[152:153]
	v_div_scale_f64 v[152:153], null, v[150:151], v[150:151], 1.0
	v_rcp_f64_e32 v[167:168], v[152:153]
	v_fma_f64 v[169:170], -v[152:153], v[167:168], 1.0
	v_fma_f64 v[167:168], v[167:168], v[169:170], v[167:168]
	v_fma_f64 v[169:170], -v[152:153], v[167:168], 1.0
	v_fma_f64 v[167:168], v[167:168], v[169:170], v[167:168]
	v_div_scale_f64 v[169:170], vcc_lo, 1.0, v[150:151], 1.0
	v_mul_f64 v[171:172], v[169:170], v[167:168]
	v_fma_f64 v[152:153], -v[152:153], v[171:172], v[169:170]
	v_div_fmas_f64 v[152:153], v[152:153], v[167:168], v[171:172]
	v_div_fixup_f64 v[152:153], v[152:153], v[150:151], 1.0
	v_mul_f64 v[150:151], v[165:166], v[152:153]
	v_xor_b32_e32 v153, 0x80000000, v153
.LBB72_742:
	s_andn2_saveexec_b32 s3, s3
	s_cbranch_execz .LBB72_744
; %bb.743:
	v_div_scale_f64 v[165:166], null, v[150:151], v[150:151], v[152:153]
	v_div_scale_f64 v[171:172], vcc_lo, v[152:153], v[150:151], v[152:153]
	v_rcp_f64_e32 v[167:168], v[165:166]
	v_fma_f64 v[169:170], -v[165:166], v[167:168], 1.0
	v_fma_f64 v[167:168], v[167:168], v[169:170], v[167:168]
	v_fma_f64 v[169:170], -v[165:166], v[167:168], 1.0
	v_fma_f64 v[167:168], v[167:168], v[169:170], v[167:168]
	v_mul_f64 v[169:170], v[171:172], v[167:168]
	v_fma_f64 v[165:166], -v[165:166], v[169:170], v[171:172]
	v_div_fmas_f64 v[165:166], v[165:166], v[167:168], v[169:170]
	v_div_fixup_f64 v[165:166], v[165:166], v[150:151], v[152:153]
	v_fma_f64 v[150:151], v[152:153], v[165:166], v[150:151]
	v_div_scale_f64 v[152:153], null, v[150:151], v[150:151], 1.0
	v_rcp_f64_e32 v[167:168], v[152:153]
	v_fma_f64 v[169:170], -v[152:153], v[167:168], 1.0
	v_fma_f64 v[167:168], v[167:168], v[169:170], v[167:168]
	v_fma_f64 v[169:170], -v[152:153], v[167:168], 1.0
	v_fma_f64 v[167:168], v[167:168], v[169:170], v[167:168]
	v_div_scale_f64 v[169:170], vcc_lo, 1.0, v[150:151], 1.0
	v_mul_f64 v[171:172], v[169:170], v[167:168]
	v_fma_f64 v[152:153], -v[152:153], v[171:172], v[169:170]
	v_div_fmas_f64 v[152:153], v[152:153], v[167:168], v[171:172]
	v_div_fixup_f64 v[150:151], v[152:153], v[150:151], 1.0
	v_mul_f64 v[152:153], v[165:166], -v[150:151]
.LBB72_744:
	s_or_b32 exec_lo, exec_lo, s3
.LBB72_745:
	s_or_b32 exec_lo, exec_lo, s0
	s_mov_b32 s0, exec_lo
	v_cmpx_ne_u32_e64 v164, v158
	s_xor_b32 s0, exec_lo, s0
	s_cbranch_execz .LBB72_751
; %bb.746:
	s_mov_b32 s3, exec_lo
	v_cmpx_eq_u32_e32 35, v164
	s_cbranch_execz .LBB72_750
; %bb.747:
	v_cmp_ne_u32_e32 vcc_lo, 35, v158
	s_xor_b32 s8, s16, -1
	s_and_b32 s9, s8, vcc_lo
	s_and_saveexec_b32 s8, s9
	s_cbranch_execz .LBB72_749
; %bb.748:
	v_ashrrev_i32_e32 v159, 31, v158
	v_lshlrev_b64 v[164:165], 2, v[158:159]
	v_add_co_u32 v164, vcc_lo, v156, v164
	v_add_co_ci_u32_e64 v165, null, v157, v165, vcc_lo
	s_clause 0x1
	global_load_dword v0, v[164:165], off
	global_load_dword v159, v[156:157], off offset:140
	s_waitcnt vmcnt(1)
	global_store_dword v[156:157], v0, off offset:140
	s_waitcnt vmcnt(0)
	global_store_dword v[164:165], v159, off
.LBB72_749:
	s_or_b32 exec_lo, exec_lo, s8
	v_mov_b32_e32 v164, v158
	v_mov_b32_e32 v0, v158
.LBB72_750:
	s_or_b32 exec_lo, exec_lo, s3
.LBB72_751:
	s_andn2_saveexec_b32 s0, s0
; %bb.752:
	v_mov_b32_e32 v164, 35
	ds_write2_b64 v1, v[2:3], v[4:5] offset0:72 offset1:73
; %bb.753:
	s_or_b32 exec_lo, exec_lo, s0
	s_mov_b32 s0, exec_lo
	s_waitcnt lgkmcnt(0)
	s_waitcnt_vscnt null, 0x0
	s_barrier
	buffer_gl0_inv
	v_cmpx_lt_i32_e32 35, v164
	s_cbranch_execz .LBB72_755
; %bb.754:
	v_mul_f64 v[158:159], v[150:151], v[12:13]
	v_mul_f64 v[12:13], v[152:153], v[12:13]
	ds_read2_b64 v[165:168], v1 offset0:72 offset1:73
	v_fma_f64 v[152:153], v[152:153], v[10:11], v[158:159]
	v_fma_f64 v[10:11], v[150:151], v[10:11], -v[12:13]
	s_waitcnt lgkmcnt(0)
	v_mul_f64 v[12:13], v[167:168], v[152:153]
	v_mul_f64 v[150:151], v[165:166], v[152:153]
	v_fma_f64 v[12:13], v[165:166], v[10:11], -v[12:13]
	v_fma_f64 v[150:151], v[167:168], v[10:11], v[150:151]
	v_add_f64 v[2:3], v[2:3], -v[12:13]
	v_add_f64 v[4:5], v[4:5], -v[150:151]
	v_mov_b32_e32 v12, v152
	v_mov_b32_e32 v13, v153
.LBB72_755:
	s_or_b32 exec_lo, exec_lo, s0
	v_lshl_add_u32 v150, v164, 4, v1
	s_barrier
	buffer_gl0_inv
	v_mov_b32_e32 v158, 36
	ds_write2_b64 v150, v[2:3], v[4:5] offset1:1
	s_waitcnt lgkmcnt(0)
	s_barrier
	buffer_gl0_inv
	ds_read2_b64 v[150:153], v1 offset0:72 offset1:73
	s_cmp_lt_i32 s1, 38
	s_cbranch_scc1 .LBB72_758
; %bb.756:
	v_add3_u32 v1, v160, 0, 0x250
	v_mov_b32_e32 v158, 36
	s_mov_b32 s3, 37
	s_inst_prefetch 0x1
	.p2align	6
.LBB72_757:                             ; =>This Inner Loop Header: Depth=1
	s_waitcnt lgkmcnt(0)
	v_cmp_gt_f64_e32 vcc_lo, 0, v[152:153]
	v_cmp_gt_f64_e64 s0, 0, v[150:151]
	ds_read2_b64 v[165:168], v1 offset1:1
	v_xor_b32_e32 v160, 0x80000000, v151
	v_xor_b32_e32 v170, 0x80000000, v153
	v_mov_b32_e32 v159, v150
	v_mov_b32_e32 v169, v152
	v_add_nc_u32_e32 v1, 16, v1
	s_waitcnt lgkmcnt(0)
	v_xor_b32_e32 v172, 0x80000000, v168
	v_cndmask_b32_e64 v160, v151, v160, s0
	v_cndmask_b32_e32 v170, v153, v170, vcc_lo
	v_cmp_gt_f64_e32 vcc_lo, 0, v[167:168]
	v_cmp_gt_f64_e64 s0, 0, v[165:166]
	v_mov_b32_e32 v171, v167
	v_add_f64 v[159:160], v[159:160], v[169:170]
	v_xor_b32_e32 v170, 0x80000000, v166
	v_mov_b32_e32 v169, v165
	v_cndmask_b32_e32 v172, v168, v172, vcc_lo
	v_cndmask_b32_e64 v170, v166, v170, s0
	v_add_f64 v[169:170], v[169:170], v[171:172]
	v_cmp_lt_f64_e32 vcc_lo, v[159:160], v[169:170]
	v_cndmask_b32_e32 v151, v151, v166, vcc_lo
	v_cndmask_b32_e32 v150, v150, v165, vcc_lo
	;; [unrolled: 1-line block ×4, first 2 shown]
	v_cndmask_b32_e64 v158, v158, s3, vcc_lo
	s_add_i32 s3, s3, 1
	s_cmp_lg_u32 s1, s3
	s_cbranch_scc1 .LBB72_757
.LBB72_758:
	s_inst_prefetch 0x2
	s_waitcnt lgkmcnt(0)
	v_cmp_eq_f64_e32 vcc_lo, 0, v[150:151]
	v_cmp_eq_f64_e64 s0, 0, v[152:153]
	s_and_b32 s0, vcc_lo, s0
	s_and_saveexec_b32 s1, s0
	s_xor_b32 s0, exec_lo, s1
; %bb.759:
	v_cmp_ne_u32_e32 vcc_lo, 0, v163
	v_cndmask_b32_e32 v163, 37, v163, vcc_lo
; %bb.760:
	s_andn2_saveexec_b32 s0, s0
	s_cbranch_execz .LBB72_766
; %bb.761:
	v_cmp_ngt_f64_e64 s1, |v[150:151]|, |v[152:153]|
	s_and_saveexec_b32 s3, s1
	s_xor_b32 s1, exec_lo, s3
	s_cbranch_execz .LBB72_763
; %bb.762:
	v_div_scale_f64 v[159:160], null, v[152:153], v[152:153], v[150:151]
	v_div_scale_f64 v[169:170], vcc_lo, v[150:151], v[152:153], v[150:151]
	v_rcp_f64_e32 v[165:166], v[159:160]
	v_fma_f64 v[167:168], -v[159:160], v[165:166], 1.0
	v_fma_f64 v[165:166], v[165:166], v[167:168], v[165:166]
	v_fma_f64 v[167:168], -v[159:160], v[165:166], 1.0
	v_fma_f64 v[165:166], v[165:166], v[167:168], v[165:166]
	v_mul_f64 v[167:168], v[169:170], v[165:166]
	v_fma_f64 v[159:160], -v[159:160], v[167:168], v[169:170]
	v_div_fmas_f64 v[159:160], v[159:160], v[165:166], v[167:168]
	v_div_fixup_f64 v[159:160], v[159:160], v[152:153], v[150:151]
	v_fma_f64 v[150:151], v[150:151], v[159:160], v[152:153]
	v_div_scale_f64 v[152:153], null, v[150:151], v[150:151], 1.0
	v_rcp_f64_e32 v[165:166], v[152:153]
	v_fma_f64 v[167:168], -v[152:153], v[165:166], 1.0
	v_fma_f64 v[165:166], v[165:166], v[167:168], v[165:166]
	v_fma_f64 v[167:168], -v[152:153], v[165:166], 1.0
	v_fma_f64 v[165:166], v[165:166], v[167:168], v[165:166]
	v_div_scale_f64 v[167:168], vcc_lo, 1.0, v[150:151], 1.0
	v_mul_f64 v[169:170], v[167:168], v[165:166]
	v_fma_f64 v[152:153], -v[152:153], v[169:170], v[167:168]
	v_div_fmas_f64 v[152:153], v[152:153], v[165:166], v[169:170]
	v_div_fixup_f64 v[152:153], v[152:153], v[150:151], 1.0
	v_mul_f64 v[150:151], v[159:160], v[152:153]
	v_xor_b32_e32 v153, 0x80000000, v153
.LBB72_763:
	s_andn2_saveexec_b32 s1, s1
	s_cbranch_execz .LBB72_765
; %bb.764:
	v_div_scale_f64 v[159:160], null, v[150:151], v[150:151], v[152:153]
	v_div_scale_f64 v[169:170], vcc_lo, v[152:153], v[150:151], v[152:153]
	v_rcp_f64_e32 v[165:166], v[159:160]
	v_fma_f64 v[167:168], -v[159:160], v[165:166], 1.0
	v_fma_f64 v[165:166], v[165:166], v[167:168], v[165:166]
	v_fma_f64 v[167:168], -v[159:160], v[165:166], 1.0
	v_fma_f64 v[165:166], v[165:166], v[167:168], v[165:166]
	v_mul_f64 v[167:168], v[169:170], v[165:166]
	v_fma_f64 v[159:160], -v[159:160], v[167:168], v[169:170]
	v_div_fmas_f64 v[159:160], v[159:160], v[165:166], v[167:168]
	v_div_fixup_f64 v[159:160], v[159:160], v[150:151], v[152:153]
	v_fma_f64 v[150:151], v[152:153], v[159:160], v[150:151]
	v_div_scale_f64 v[152:153], null, v[150:151], v[150:151], 1.0
	v_rcp_f64_e32 v[165:166], v[152:153]
	v_fma_f64 v[167:168], -v[152:153], v[165:166], 1.0
	v_fma_f64 v[165:166], v[165:166], v[167:168], v[165:166]
	v_fma_f64 v[167:168], -v[152:153], v[165:166], 1.0
	v_fma_f64 v[165:166], v[165:166], v[167:168], v[165:166]
	v_div_scale_f64 v[167:168], vcc_lo, 1.0, v[150:151], 1.0
	v_mul_f64 v[169:170], v[167:168], v[165:166]
	v_fma_f64 v[152:153], -v[152:153], v[169:170], v[167:168]
	v_div_fmas_f64 v[152:153], v[152:153], v[165:166], v[169:170]
	v_div_fixup_f64 v[150:151], v[152:153], v[150:151], 1.0
	v_mul_f64 v[152:153], v[159:160], -v[150:151]
.LBB72_765:
	s_or_b32 exec_lo, exec_lo, s1
.LBB72_766:
	s_or_b32 exec_lo, exec_lo, s0
	v_mov_b32_e32 v159, 36
	s_mov_b32 s0, exec_lo
	v_cmpx_ne_u32_e64 v164, v158
	s_cbranch_execz .LBB72_772
; %bb.767:
	s_mov_b32 s1, exec_lo
	v_cmpx_eq_u32_e32 36, v164
	s_cbranch_execz .LBB72_771
; %bb.768:
	v_cmp_ne_u32_e32 vcc_lo, 36, v158
	s_xor_b32 s3, s16, -1
	s_and_b32 s8, s3, vcc_lo
	s_and_saveexec_b32 s3, s8
	s_cbranch_execz .LBB72_770
; %bb.769:
	v_ashrrev_i32_e32 v159, 31, v158
	v_lshlrev_b64 v[0:1], 2, v[158:159]
	v_add_co_u32 v0, vcc_lo, v156, v0
	v_add_co_ci_u32_e64 v1, null, v157, v1, vcc_lo
	s_clause 0x1
	global_load_dword v159, v[0:1], off
	global_load_dword v160, v[156:157], off offset:144
	s_waitcnt vmcnt(1)
	global_store_dword v[156:157], v159, off offset:144
	s_waitcnt vmcnt(0)
	global_store_dword v[0:1], v160, off
.LBB72_770:
	s_or_b32 exec_lo, exec_lo, s3
	v_mov_b32_e32 v164, v158
	v_mov_b32_e32 v0, v158
.LBB72_771:
	s_or_b32 exec_lo, exec_lo, s1
	v_mov_b32_e32 v159, v164
.LBB72_772:
	s_or_b32 exec_lo, exec_lo, s0
	s_mov_b32 s0, exec_lo
	s_waitcnt_vscnt null, 0x0
	s_barrier
	buffer_gl0_inv
	v_cmpx_lt_i32_e32 36, v159
	s_cbranch_execz .LBB72_774
; %bb.773:
	v_mul_f64 v[156:157], v[152:153], v[4:5]
	v_mul_f64 v[4:5], v[150:151], v[4:5]
	v_fma_f64 v[150:151], v[150:151], v[2:3], -v[156:157]
	v_fma_f64 v[4:5], v[152:153], v[2:3], v[4:5]
	v_mov_b32_e32 v2, v150
	v_mov_b32_e32 v3, v151
.LBB72_774:
	s_or_b32 exec_lo, exec_lo, s0
	v_ashrrev_i32_e32 v160, 31, v159
	s_mov_b32 s0, exec_lo
	s_barrier
	buffer_gl0_inv
	v_cmpx_gt_i32_e32 37, v159
	s_cbranch_execz .LBB72_776
; %bb.775:
	v_mul_lo_u32 v1, s15, v154
	v_mul_lo_u32 v152, s14, v155
	v_mad_u64_u32 v[150:151], null, s14, v154, 0
	s_lshl_b64 s[8:9], s[12:13], 2
	v_add3_u32 v0, v0, s17, 1
	v_add3_u32 v151, v151, v152, v1
	v_lshlrev_b64 v[150:151], 2, v[150:151]
	v_add_co_u32 v1, vcc_lo, s10, v150
	v_add_co_ci_u32_e64 v152, null, s11, v151, vcc_lo
	v_lshlrev_b64 v[150:151], 2, v[159:160]
	v_add_co_u32 v1, vcc_lo, v1, s8
	v_add_co_ci_u32_e64 v152, null, s9, v152, vcc_lo
	v_add_co_u32 v150, vcc_lo, v1, v150
	v_add_co_ci_u32_e64 v151, null, v152, v151, vcc_lo
	global_store_dword v[150:151], v0, off
.LBB72_776:
	s_or_b32 exec_lo, exec_lo, s0
	s_mov_b32 s1, exec_lo
	v_cmpx_eq_u32_e32 0, v159
	s_cbranch_execz .LBB72_779
; %bb.777:
	v_lshlrev_b64 v[0:1], 2, v[154:155]
	v_cmp_ne_u32_e64 s0, 0, v163
	v_add_co_u32 v0, vcc_lo, s4, v0
	v_add_co_ci_u32_e64 v1, null, s5, v1, vcc_lo
	global_load_dword v150, v[0:1], off
	s_waitcnt vmcnt(0)
	v_cmp_eq_u32_e32 vcc_lo, 0, v150
	s_and_b32 s0, vcc_lo, s0
	s_and_b32 exec_lo, exec_lo, s0
	s_cbranch_execz .LBB72_779
; %bb.778:
	v_add_nc_u32_e32 v150, s17, v163
	global_store_dword v[0:1], v150, off
.LBB72_779:
	s_or_b32 exec_lo, exec_lo, s1
	v_add3_u32 v0, s2, s2, v159
	v_lshlrev_b64 v[150:151], 4, v[159:160]
	v_add_nc_u32_e32 v152, s2, v0
	v_ashrrev_i32_e32 v1, 31, v0
	v_add_co_u32 v150, vcc_lo, v161, v150
	v_add_co_ci_u32_e64 v151, null, v162, v151, vcc_lo
	v_add_nc_u32_e32 v156, s2, v152
	v_add_co_u32 v154, vcc_lo, v150, s6
	v_ashrrev_i32_e32 v153, 31, v152
	v_add_co_ci_u32_e64 v155, null, s7, v151, vcc_lo
	v_ashrrev_i32_e32 v157, 31, v156
	v_lshlrev_b64 v[0:1], 4, v[0:1]
	global_store_dwordx4 v[150:151], v[142:145], off
	global_store_dwordx4 v[154:155], v[146:149], off
	v_lshlrev_b64 v[142:143], 4, v[152:153]
	v_add_nc_u32_e32 v146, s2, v156
	v_lshlrev_b64 v[144:145], 4, v[156:157]
	v_add_co_u32 v0, vcc_lo, v161, v0
	v_add_co_ci_u32_e64 v1, null, v162, v1, vcc_lo
	v_add_co_u32 v142, vcc_lo, v161, v142
	v_add_co_ci_u32_e64 v143, null, v162, v143, vcc_lo
	v_add_co_u32 v144, vcc_lo, v161, v144
	v_add_nc_u32_e32 v148, s2, v146
	v_add_co_ci_u32_e64 v145, null, v162, v145, vcc_lo
	v_ashrrev_i32_e32 v147, 31, v146
	global_store_dwordx4 v[0:1], v[134:137], off
	v_ashrrev_i32_e32 v149, 31, v148
	global_store_dwordx4 v[142:143], v[130:133], off
	global_store_dwordx4 v[144:145], v[138:141], off
	v_add_nc_u32_e32 v132, s2, v148
	v_lshlrev_b64 v[0:1], 4, v[146:147]
	v_lshlrev_b64 v[130:131], 4, v[148:149]
	v_add_nc_u32_e32 v134, s2, v132
	v_ashrrev_i32_e32 v133, 31, v132
	v_add_co_u32 v0, vcc_lo, v161, v0
	v_add_co_ci_u32_e64 v1, null, v162, v1, vcc_lo
	v_add_nc_u32_e32 v136, s2, v134
	v_add_co_u32 v130, vcc_lo, v161, v130
	v_add_co_ci_u32_e64 v131, null, v162, v131, vcc_lo
	v_ashrrev_i32_e32 v135, 31, v134
	v_lshlrev_b64 v[132:133], 4, v[132:133]
	v_ashrrev_i32_e32 v137, 31, v136
	global_store_dwordx4 v[0:1], v[122:125], off
	global_store_dwordx4 v[130:131], v[126:129], off
	v_add_nc_u32_e32 v126, s2, v136
	v_lshlrev_b64 v[0:1], 4, v[134:135]
	v_add_co_u32 v122, vcc_lo, v161, v132
	v_lshlrev_b64 v[124:125], 4, v[136:137]
	v_add_co_ci_u32_e64 v123, null, v162, v133, vcc_lo
	v_add_nc_u32_e32 v128, s2, v126
	v_add_co_u32 v0, vcc_lo, v161, v0
	v_add_co_ci_u32_e64 v1, null, v162, v1, vcc_lo
	v_ashrrev_i32_e32 v127, 31, v126
	v_add_co_u32 v124, vcc_lo, v161, v124
	global_store_dwordx4 v[122:123], v[110:113], off
	v_add_nc_u32_e32 v112, s2, v128
	v_add_co_ci_u32_e64 v125, null, v162, v125, vcc_lo
	v_ashrrev_i32_e32 v129, 31, v128
	v_lshlrev_b64 v[110:111], 4, v[126:127]
	global_store_dwordx4 v[0:1], v[118:121], off
	global_store_dwordx4 v[124:125], v[114:117], off
	v_add_nc_u32_e32 v114, s2, v112
	v_ashrrev_i32_e32 v113, 31, v112
	v_lshlrev_b64 v[0:1], 4, v[128:129]
	v_add_co_u32 v110, vcc_lo, v161, v110
	v_add_nc_u32_e32 v116, s2, v114
	v_add_co_ci_u32_e64 v111, null, v162, v111, vcc_lo
	v_add_co_u32 v0, vcc_lo, v161, v0
	v_ashrrev_i32_e32 v115, 31, v114
	v_add_co_ci_u32_e64 v1, null, v162, v1, vcc_lo
	v_ashrrev_i32_e32 v117, 31, v116
	v_lshlrev_b64 v[112:113], 4, v[112:113]
	global_store_dwordx4 v[110:111], v[106:109], off
	global_store_dwordx4 v[0:1], v[102:105], off
	v_lshlrev_b64 v[0:1], 4, v[114:115]
	v_add_nc_u32_e32 v106, s2, v116
	v_lshlrev_b64 v[104:105], 4, v[116:117]
	v_add_co_u32 v102, vcc_lo, v161, v112
	v_add_co_ci_u32_e64 v103, null, v162, v113, vcc_lo
	v_add_co_u32 v0, vcc_lo, v161, v0
	v_add_co_ci_u32_e64 v1, null, v162, v1, vcc_lo
	v_ashrrev_i32_e32 v107, 31, v106
	v_add_co_u32 v104, vcc_lo, v161, v104
	v_add_nc_u32_e32 v108, s2, v106
	v_add_co_ci_u32_e64 v105, null, v162, v105, vcc_lo
	global_store_dwordx4 v[102:103], v[94:97], off
	v_lshlrev_b64 v[94:95], 4, v[106:107]
	v_ashrrev_i32_e32 v109, 31, v108
	global_store_dwordx4 v[0:1], v[90:93], off
	global_store_dwordx4 v[104:105], v[98:101], off
	v_add_nc_u32_e32 v90, s2, v108
	v_lshlrev_b64 v[0:1], 4, v[108:109]
	v_add_co_u32 v92, vcc_lo, v161, v94
	v_add_nc_u32_e32 v94, s2, v90
	v_ashrrev_i32_e32 v91, 31, v90
	v_add_co_ci_u32_e64 v93, null, v162, v95, vcc_lo
	v_add_co_u32 v0, vcc_lo, v161, v0
	v_add_nc_u32_e32 v96, s2, v94
	v_add_co_ci_u32_e64 v1, null, v162, v1, vcc_lo
	v_ashrrev_i32_e32 v95, 31, v94
	v_lshlrev_b64 v[90:91], 4, v[90:91]
	v_ashrrev_i32_e32 v97, 31, v96
	global_store_dwordx4 v[92:93], v[82:85], off
	global_store_dwordx4 v[0:1], v[86:89], off
	v_add_nc_u32_e32 v86, s2, v96
	v_lshlrev_b64 v[0:1], 4, v[94:95]
	v_add_co_u32 v82, vcc_lo, v161, v90
	v_lshlrev_b64 v[84:85], 4, v[96:97]
	v_add_co_ci_u32_e64 v83, null, v162, v91, vcc_lo
	v_add_nc_u32_e32 v88, s2, v86
	v_add_co_u32 v0, vcc_lo, v161, v0
	v_add_co_ci_u32_e64 v1, null, v162, v1, vcc_lo
	v_ashrrev_i32_e32 v87, 31, v86
	v_add_co_u32 v84, vcc_lo, v161, v84
	global_store_dwordx4 v[82:83], v[70:73], off
	v_add_nc_u32_e32 v72, s2, v88
	v_add_co_ci_u32_e64 v85, null, v162, v85, vcc_lo
	v_ashrrev_i32_e32 v89, 31, v88
	v_lshlrev_b64 v[70:71], 4, v[86:87]
	global_store_dwordx4 v[0:1], v[78:81], off
	global_store_dwordx4 v[84:85], v[74:77], off
	v_add_nc_u32_e32 v74, s2, v72
	v_ashrrev_i32_e32 v73, 31, v72
	v_lshlrev_b64 v[0:1], 4, v[88:89]
	v_add_co_u32 v70, vcc_lo, v161, v70
	v_add_nc_u32_e32 v76, s2, v74
	v_add_co_ci_u32_e64 v71, null, v162, v71, vcc_lo
	v_add_co_u32 v0, vcc_lo, v161, v0
	v_ashrrev_i32_e32 v75, 31, v74
	v_add_co_ci_u32_e64 v1, null, v162, v1, vcc_lo
	v_ashrrev_i32_e32 v77, 31, v76
	v_lshlrev_b64 v[72:73], 4, v[72:73]
	global_store_dwordx4 v[70:71], v[66:69], off
	global_store_dwordx4 v[0:1], v[62:65], off
	v_lshlrev_b64 v[0:1], 4, v[74:75]
	v_add_nc_u32_e32 v66, s2, v76
	v_lshlrev_b64 v[64:65], 4, v[76:77]
	v_add_co_u32 v62, vcc_lo, v161, v72
	v_add_co_ci_u32_e64 v63, null, v162, v73, vcc_lo
	v_add_co_u32 v0, vcc_lo, v161, v0
	v_add_co_ci_u32_e64 v1, null, v162, v1, vcc_lo
	v_ashrrev_i32_e32 v67, 31, v66
	v_add_co_u32 v64, vcc_lo, v161, v64
	v_add_nc_u32_e32 v68, s2, v66
	v_add_co_ci_u32_e64 v65, null, v162, v65, vcc_lo
	global_store_dwordx4 v[62:63], v[54:57], off
	v_lshlrev_b64 v[54:55], 4, v[66:67]
	v_ashrrev_i32_e32 v69, 31, v68
	global_store_dwordx4 v[0:1], v[50:53], off
	global_store_dwordx4 v[64:65], v[58:61], off
	v_add_nc_u32_e32 v50, s2, v68
	v_lshlrev_b64 v[0:1], 4, v[68:69]
	v_add_co_u32 v52, vcc_lo, v161, v54
	v_add_nc_u32_e32 v54, s2, v50
	v_add_co_ci_u32_e64 v53, null, v162, v55, vcc_lo
	v_ashrrev_i32_e32 v51, 31, v50
	v_add_co_u32 v0, vcc_lo, v161, v0
	v_add_nc_u32_e32 v56, s2, v54
	v_add_co_ci_u32_e64 v1, null, v162, v1, vcc_lo
	v_ashrrev_i32_e32 v55, 31, v54
	v_lshlrev_b64 v[50:51], 4, v[50:51]
	v_ashrrev_i32_e32 v57, 31, v56
	global_store_dwordx4 v[52:53], v[42:45], off
	global_store_dwordx4 v[0:1], v[46:49], off
	v_add_nc_u32_e32 v46, s2, v56
	v_lshlrev_b64 v[0:1], 4, v[54:55]
	v_lshlrev_b64 v[44:45], 4, v[56:57]
	v_add_co_u32 v42, vcc_lo, v161, v50
	v_add_nc_u32_e32 v48, s2, v46
	v_add_co_ci_u32_e64 v43, null, v162, v51, vcc_lo
	v_add_co_u32 v0, vcc_lo, v161, v0
	v_ashrrev_i32_e32 v47, 31, v46
	v_add_co_ci_u32_e64 v1, null, v162, v1, vcc_lo
	v_add_co_u32 v44, vcc_lo, v161, v44
	v_ashrrev_i32_e32 v49, 31, v48
	v_add_co_ci_u32_e64 v45, null, v162, v45, vcc_lo
	global_store_dwordx4 v[42:43], v[30:33], off
	v_lshlrev_b64 v[30:31], 4, v[46:47]
	v_add_nc_u32_e32 v32, s2, v48
	global_store_dwordx4 v[0:1], v[38:41], off
	global_store_dwordx4 v[44:45], v[34:37], off
	v_lshlrev_b64 v[0:1], 4, v[48:49]
	v_add_nc_u32_e32 v34, s2, v32
	v_add_co_u32 v30, vcc_lo, v161, v30
	v_add_co_ci_u32_e64 v31, null, v162, v31, vcc_lo
	v_add_co_u32 v0, vcc_lo, v161, v0
	v_add_co_ci_u32_e64 v1, null, v162, v1, vcc_lo
	v_add_nc_u32_e32 v36, s2, v34
	v_ashrrev_i32_e32 v33, 31, v32
	global_store_dwordx4 v[30:31], v[26:29], off
	global_store_dwordx4 v[0:1], v[22:25], off
	v_ashrrev_i32_e32 v35, 31, v34
	v_add_nc_u32_e32 v22, s2, v36
	v_lshlrev_b64 v[26:27], 4, v[32:33]
	v_ashrrev_i32_e32 v37, 31, v36
	v_lshlrev_b64 v[0:1], 4, v[34:35]
	v_add_nc_u32_e32 v28, s2, v22
	v_ashrrev_i32_e32 v23, 31, v22
	v_add_co_u32 v24, vcc_lo, v161, v26
	v_add_co_ci_u32_e64 v25, null, v162, v27, vcc_lo
	v_ashrrev_i32_e32 v29, 31, v28
	v_lshlrev_b64 v[26:27], 4, v[36:37]
	v_lshlrev_b64 v[22:23], 4, v[22:23]
	v_add_co_u32 v0, vcc_lo, v161, v0
	v_lshlrev_b64 v[28:29], 4, v[28:29]
	v_add_co_ci_u32_e64 v1, null, v162, v1, vcc_lo
	v_add_co_u32 v26, vcc_lo, v161, v26
	v_add_co_ci_u32_e64 v27, null, v162, v27, vcc_lo
	v_add_co_u32 v22, vcc_lo, v161, v22
	;; [unrolled: 2-line block ×3, first 2 shown]
	v_add_co_ci_u32_e64 v29, null, v162, v29, vcc_lo
	global_store_dwordx4 v[24:25], v[6:9], off
	global_store_dwordx4 v[0:1], v[18:21], off
	;; [unrolled: 1-line block ×5, first 2 shown]
.LBB72_780:
	s_endpgm
	.section	.rodata,"a",@progbits
	.p2align	6, 0x0
	.amdhsa_kernel _ZN9rocsolver6v33100L18getf2_small_kernelILi37E19rocblas_complex_numIdEiiPS3_EEvT1_T3_lS5_lPS5_llPT2_S5_S5_S7_l
		.amdhsa_group_segment_fixed_size 0
		.amdhsa_private_segment_fixed_size 0
		.amdhsa_kernarg_size 352
		.amdhsa_user_sgpr_count 6
		.amdhsa_user_sgpr_private_segment_buffer 1
		.amdhsa_user_sgpr_dispatch_ptr 0
		.amdhsa_user_sgpr_queue_ptr 0
		.amdhsa_user_sgpr_kernarg_segment_ptr 1
		.amdhsa_user_sgpr_dispatch_id 0
		.amdhsa_user_sgpr_flat_scratch_init 0
		.amdhsa_user_sgpr_private_segment_size 0
		.amdhsa_wavefront_size32 1
		.amdhsa_uses_dynamic_stack 0
		.amdhsa_system_sgpr_private_segment_wavefront_offset 0
		.amdhsa_system_sgpr_workgroup_id_x 1
		.amdhsa_system_sgpr_workgroup_id_y 1
		.amdhsa_system_sgpr_workgroup_id_z 0
		.amdhsa_system_sgpr_workgroup_info 0
		.amdhsa_system_vgpr_workitem_id 1
		.amdhsa_next_free_vgpr 183
		.amdhsa_next_free_sgpr 24
		.amdhsa_reserve_vcc 1
		.amdhsa_reserve_flat_scratch 0
		.amdhsa_float_round_mode_32 0
		.amdhsa_float_round_mode_16_64 0
		.amdhsa_float_denorm_mode_32 3
		.amdhsa_float_denorm_mode_16_64 3
		.amdhsa_dx10_clamp 1
		.amdhsa_ieee_mode 1
		.amdhsa_fp16_overflow 0
		.amdhsa_workgroup_processor_mode 1
		.amdhsa_memory_ordered 1
		.amdhsa_forward_progress 1
		.amdhsa_shared_vgpr_count 0
		.amdhsa_exception_fp_ieee_invalid_op 0
		.amdhsa_exception_fp_denorm_src 0
		.amdhsa_exception_fp_ieee_div_zero 0
		.amdhsa_exception_fp_ieee_overflow 0
		.amdhsa_exception_fp_ieee_underflow 0
		.amdhsa_exception_fp_ieee_inexact 0
		.amdhsa_exception_int_div_zero 0
	.end_amdhsa_kernel
	.section	.text._ZN9rocsolver6v33100L18getf2_small_kernelILi37E19rocblas_complex_numIdEiiPS3_EEvT1_T3_lS5_lPS5_llPT2_S5_S5_S7_l,"axG",@progbits,_ZN9rocsolver6v33100L18getf2_small_kernelILi37E19rocblas_complex_numIdEiiPS3_EEvT1_T3_lS5_lPS5_llPT2_S5_S5_S7_l,comdat
.Lfunc_end72:
	.size	_ZN9rocsolver6v33100L18getf2_small_kernelILi37E19rocblas_complex_numIdEiiPS3_EEvT1_T3_lS5_lPS5_llPT2_S5_S5_S7_l, .Lfunc_end72-_ZN9rocsolver6v33100L18getf2_small_kernelILi37E19rocblas_complex_numIdEiiPS3_EEvT1_T3_lS5_lPS5_llPT2_S5_S5_S7_l
                                        ; -- End function
	.set _ZN9rocsolver6v33100L18getf2_small_kernelILi37E19rocblas_complex_numIdEiiPS3_EEvT1_T3_lS5_lPS5_llPT2_S5_S5_S7_l.num_vgpr, 183
	.set _ZN9rocsolver6v33100L18getf2_small_kernelILi37E19rocblas_complex_numIdEiiPS3_EEvT1_T3_lS5_lPS5_llPT2_S5_S5_S7_l.num_agpr, 0
	.set _ZN9rocsolver6v33100L18getf2_small_kernelILi37E19rocblas_complex_numIdEiiPS3_EEvT1_T3_lS5_lPS5_llPT2_S5_S5_S7_l.numbered_sgpr, 24
	.set _ZN9rocsolver6v33100L18getf2_small_kernelILi37E19rocblas_complex_numIdEiiPS3_EEvT1_T3_lS5_lPS5_llPT2_S5_S5_S7_l.num_named_barrier, 0
	.set _ZN9rocsolver6v33100L18getf2_small_kernelILi37E19rocblas_complex_numIdEiiPS3_EEvT1_T3_lS5_lPS5_llPT2_S5_S5_S7_l.private_seg_size, 0
	.set _ZN9rocsolver6v33100L18getf2_small_kernelILi37E19rocblas_complex_numIdEiiPS3_EEvT1_T3_lS5_lPS5_llPT2_S5_S5_S7_l.uses_vcc, 1
	.set _ZN9rocsolver6v33100L18getf2_small_kernelILi37E19rocblas_complex_numIdEiiPS3_EEvT1_T3_lS5_lPS5_llPT2_S5_S5_S7_l.uses_flat_scratch, 0
	.set _ZN9rocsolver6v33100L18getf2_small_kernelILi37E19rocblas_complex_numIdEiiPS3_EEvT1_T3_lS5_lPS5_llPT2_S5_S5_S7_l.has_dyn_sized_stack, 0
	.set _ZN9rocsolver6v33100L18getf2_small_kernelILi37E19rocblas_complex_numIdEiiPS3_EEvT1_T3_lS5_lPS5_llPT2_S5_S5_S7_l.has_recursion, 0
	.set _ZN9rocsolver6v33100L18getf2_small_kernelILi37E19rocblas_complex_numIdEiiPS3_EEvT1_T3_lS5_lPS5_llPT2_S5_S5_S7_l.has_indirect_call, 0
	.section	.AMDGPU.csdata,"",@progbits
; Kernel info:
; codeLenInByte = 85048
; TotalNumSgprs: 26
; NumVgprs: 183
; ScratchSize: 0
; MemoryBound: 0
; FloatMode: 240
; IeeeMode: 1
; LDSByteSize: 0 bytes/workgroup (compile time only)
; SGPRBlocks: 0
; VGPRBlocks: 22
; NumSGPRsForWavesPerEU: 26
; NumVGPRsForWavesPerEU: 183
; Occupancy: 5
; WaveLimiterHint : 0
; COMPUTE_PGM_RSRC2:SCRATCH_EN: 0
; COMPUTE_PGM_RSRC2:USER_SGPR: 6
; COMPUTE_PGM_RSRC2:TRAP_HANDLER: 0
; COMPUTE_PGM_RSRC2:TGID_X_EN: 1
; COMPUTE_PGM_RSRC2:TGID_Y_EN: 1
; COMPUTE_PGM_RSRC2:TGID_Z_EN: 0
; COMPUTE_PGM_RSRC2:TIDIG_COMP_CNT: 1
	.section	.text._ZN9rocsolver6v33100L23getf2_npvt_small_kernelILi37E19rocblas_complex_numIdEiiPS3_EEvT1_T3_lS5_lPT2_S5_S5_,"axG",@progbits,_ZN9rocsolver6v33100L23getf2_npvt_small_kernelILi37E19rocblas_complex_numIdEiiPS3_EEvT1_T3_lS5_lPT2_S5_S5_,comdat
	.globl	_ZN9rocsolver6v33100L23getf2_npvt_small_kernelILi37E19rocblas_complex_numIdEiiPS3_EEvT1_T3_lS5_lPT2_S5_S5_ ; -- Begin function _ZN9rocsolver6v33100L23getf2_npvt_small_kernelILi37E19rocblas_complex_numIdEiiPS3_EEvT1_T3_lS5_lPT2_S5_S5_
	.p2align	8
	.type	_ZN9rocsolver6v33100L23getf2_npvt_small_kernelILi37E19rocblas_complex_numIdEiiPS3_EEvT1_T3_lS5_lPT2_S5_S5_,@function
_ZN9rocsolver6v33100L23getf2_npvt_small_kernelILi37E19rocblas_complex_numIdEiiPS3_EEvT1_T3_lS5_lPT2_S5_S5_: ; @_ZN9rocsolver6v33100L23getf2_npvt_small_kernelILi37E19rocblas_complex_numIdEiiPS3_EEvT1_T3_lS5_lPT2_S5_S5_
; %bb.0:
	s_mov_b64 s[18:19], s[2:3]
	s_mov_b64 s[16:17], s[0:1]
	s_clause 0x1
	s_load_dword s0, s[4:5], 0x44
	s_load_dwordx2 s[12:13], s[4:5], 0x30
	s_add_u32 s16, s16, s8
	s_addc_u32 s17, s17, 0
	s_waitcnt lgkmcnt(0)
	s_lshr_b32 s14, s0, 16
	s_mov_b32 s0, exec_lo
	v_mad_u64_u32 v[247:248], null, s7, s14, v[1:2]
	v_cmpx_gt_i32_e64 s12, v247
	s_cbranch_execz .LBB73_338
; %bb.1:
	s_clause 0x2
	s_load_dwordx4 s[8:11], s[4:5], 0x20
	s_load_dword s6, s[4:5], 0x18
	s_load_dwordx4 s[0:3], s[4:5], 0x8
	v_ashrrev_i32_e32 v248, 31, v247
	s_mulk_i32 s14, 0x250
	v_mad_u32_u24 v194, 0x250, v1, 0
	s_waitcnt lgkmcnt(0)
	v_mul_lo_u32 v5, s9, v247
	v_mul_lo_u32 v7, s8, v248
	v_mad_u64_u32 v[2:3], null, s8, v247, 0
	v_add3_u32 v4, s6, s6, v0
	s_lshl_b64 s[2:3], s[2:3], 4
	s_ashr_i32 s7, s6, 31
	v_add_nc_u32_e32 v6, s6, v4
	v_add3_u32 v3, v3, v7, v5
	v_ashrrev_i32_e32 v5, 31, v4
	v_add_nc_u32_e32 v8, s6, v6
	v_lshlrev_b64 v[2:3], 4, v[2:3]
	v_ashrrev_i32_e32 v7, 31, v6
	v_lshlrev_b64 v[4:5], 4, v[4:5]
	v_add_nc_u32_e32 v10, s6, v8
	v_ashrrev_i32_e32 v9, 31, v8
	v_add_co_u32 v2, vcc_lo, s0, v2
	v_add_co_ci_u32_e64 v3, null, s1, v3, vcc_lo
	v_add_nc_u32_e32 v12, s6, v10
	v_add_co_u32 v2, vcc_lo, v2, s2
	v_lshlrev_b64 v[6:7], 4, v[6:7]
	v_ashrrev_i32_e32 v11, 31, v10
	v_add_co_ci_u32_e64 v3, null, s3, v3, vcc_lo
	v_add_nc_u32_e32 v14, s6, v12
	v_lshlrev_b64 v[8:9], 4, v[8:9]
	v_ashrrev_i32_e32 v13, 31, v12
	v_add_co_u32 v201, vcc_lo, v2, v4
	v_lshlrev_b64 v[10:11], 4, v[10:11]
	v_add_co_ci_u32_e64 v202, null, v3, v5, vcc_lo
	v_add_co_u32 v203, vcc_lo, v2, v6
	v_add_nc_u32_e32 v6, s6, v14
	v_lshlrev_b64 v[4:5], 4, v[12:13]
	v_ashrrev_i32_e32 v15, 31, v14
	v_add_co_ci_u32_e64 v204, null, v3, v7, vcc_lo
	v_add_co_u32 v199, vcc_lo, v2, v8
	v_add_co_ci_u32_e64 v200, null, v3, v9, vcc_lo
	v_add_co_u32 v207, vcc_lo, v2, v10
	v_ashrrev_i32_e32 v7, 31, v6
	v_add_nc_u32_e32 v10, s6, v6
	v_lshlrev_b64 v[8:9], 4, v[14:15]
	v_add_co_ci_u32_e64 v208, null, v3, v11, vcc_lo
	v_add_co_u32 v205, vcc_lo, v2, v4
	v_add_co_ci_u32_e64 v206, null, v3, v5, vcc_lo
	v_lshlrev_b64 v[4:5], 4, v[6:7]
	v_ashrrev_i32_e32 v11, 31, v10
	v_add_nc_u32_e32 v6, s6, v10
	v_add_co_u32 v254, vcc_lo, v2, v8
	v_add_co_ci_u32_e64 v255, null, v3, v9, vcc_lo
	v_lshlrev_b64 v[8:9], 4, v[10:11]
	v_ashrrev_i32_e32 v7, 31, v6
	v_add_nc_u32_e32 v10, s6, v6
	;; [unrolled: 5-line block ×25, first 2 shown]
	v_add_co_u32 v14, vcc_lo, v2, v8
	v_add_co_ci_u32_e64 v15, null, v3, v9, vcc_lo
	v_lshlrev_b64 v[8:9], 4, v[10:11]
	v_add_nc_u32_e32 v10, s6, v6
	v_ashrrev_i32_e32 v7, 31, v6
	v_add_co_u32 v18, vcc_lo, v2, v4
	v_add_co_ci_u32_e64 v19, null, v3, v5, vcc_lo
	v_ashrrev_i32_e32 v11, 31, v10
	v_lshlrev_b64 v[4:5], 4, v[6:7]
	v_add_co_u32 v16, vcc_lo, v2, v8
	v_add_nc_u32_e32 v8, s6, v10
	v_lshlrev_b64 v[6:7], 4, v[10:11]
	v_lshlrev_b32_e32 v10, 4, v0
	v_add_co_ci_u32_e64 v17, null, v3, v9, vcc_lo
	v_add_co_u32 v150, vcc_lo, v2, v4
	v_add_co_ci_u32_e64 v151, null, v3, v5, vcc_lo
	v_add_co_u32 v6, vcc_lo, v2, v6
	v_ashrrev_i32_e32 v9, 31, v8
	v_add_co_ci_u32_e64 v7, null, v3, v7, vcc_lo
	v_add_co_u32 v10, vcc_lo, v2, v10
	v_add_co_ci_u32_e64 v11, null, 0, v3, vcc_lo
	s_lshl_b64 s[0:1], s[6:7], 4
	v_lshlrev_b64 v[4:5], 4, v[8:9]
	v_add_co_u32 v8, vcc_lo, v10, s0
	v_add_co_ci_u32_e64 v9, null, s1, v11, vcc_lo
	buffer_store_dword v10, off, s[16:19], 0 offset:64 ; 4-byte Folded Spill
	buffer_store_dword v11, off, s[16:19], 0 offset:68 ; 4-byte Folded Spill
	v_add_co_u32 v2, vcc_lo, v2, v4
	v_add_co_ci_u32_e64 v3, null, v3, v5, vcc_lo
	v_cmp_ne_u32_e64 s1, 0, v0
	v_cmp_eq_u32_e64 s0, 0, v0
	global_load_dwordx4 v[146:149], v[10:11], off
	buffer_store_dword v8, off, s[16:19], 0 offset:56 ; 4-byte Folded Spill
	buffer_store_dword v9, off, s[16:19], 0 offset:60 ; 4-byte Folded Spill
	s_clause 0x1c
	global_load_dwordx4 v[142:145], v[8:9], off
	global_load_dwordx4 v[138:141], v[201:202], off
	;; [unrolled: 1-line block ×29, first 2 shown]
	buffer_store_dword v12, off, s[16:19], 0 ; 4-byte Folded Spill
	buffer_store_dword v13, off, s[16:19], 0 offset:4 ; 4-byte Folded Spill
	global_load_dwordx4 v[26:29], v[12:13], off
	buffer_store_dword v14, off, s[16:19], 0 offset:8 ; 4-byte Folded Spill
	buffer_store_dword v15, off, s[16:19], 0 offset:12 ; 4-byte Folded Spill
	global_load_dwordx4 v[22:25], v[14:15], off
	buffer_store_dword v18, off, s[16:19], 0 offset:24 ; 4-byte Folded Spill
	;; [unrolled: 3-line block ×5, first 2 shown]
	buffer_store_dword v7, off, s[16:19], 0 offset:44 ; 4-byte Folded Spill
	v_lshlrev_b32_e32 v150, 4, v1
	v_add3_u32 v1, 0, s14, v150
	global_load_dwordx4 v[6:9], v[6:7], off
	buffer_store_dword v2, off, s[16:19], 0 offset:48 ; 4-byte Folded Spill
	buffer_store_dword v3, off, s[16:19], 0 offset:52 ; 4-byte Folded Spill
	global_load_dwordx4 v[2:5], v[2:3], off
	s_and_saveexec_b32 s3, s0
	s_cbranch_execz .LBB73_8
; %bb.2:
	s_waitcnt vmcnt(36)
	ds_write2_b64 v1, v[146:147], v[148:149] offset1:1
	s_waitcnt vmcnt(35)
	ds_write2_b64 v194, v[142:143], v[144:145] offset0:2 offset1:3
	s_waitcnt vmcnt(34)
	ds_write2_b64 v194, v[138:139], v[140:141] offset0:4 offset1:5
	;; [unrolled: 2-line block ×36, first 2 shown]
	ds_read2_b64 v[150:153], v1 offset1:1
	s_waitcnt lgkmcnt(0)
	v_cmp_neq_f64_e32 vcc_lo, 0, v[150:151]
	v_cmp_neq_f64_e64 s2, 0, v[152:153]
	s_or_b32 s2, vcc_lo, s2
	s_and_b32 exec_lo, exec_lo, s2
	s_cbranch_execz .LBB73_8
; %bb.3:
	v_cmp_ngt_f64_e64 s2, |v[150:151]|, |v[152:153]|
                                        ; implicit-def: $vgpr154_vgpr155
	s_and_saveexec_b32 s4, s2
	s_xor_b32 s2, exec_lo, s4
                                        ; implicit-def: $vgpr156_vgpr157
	s_cbranch_execz .LBB73_5
; %bb.4:
	v_div_scale_f64 v[154:155], null, v[152:153], v[152:153], v[150:151]
	v_div_scale_f64 v[160:161], vcc_lo, v[150:151], v[152:153], v[150:151]
	v_rcp_f64_e32 v[156:157], v[154:155]
	v_fma_f64 v[158:159], -v[154:155], v[156:157], 1.0
	v_fma_f64 v[156:157], v[156:157], v[158:159], v[156:157]
	v_fma_f64 v[158:159], -v[154:155], v[156:157], 1.0
	v_fma_f64 v[156:157], v[156:157], v[158:159], v[156:157]
	v_mul_f64 v[158:159], v[160:161], v[156:157]
	v_fma_f64 v[154:155], -v[154:155], v[158:159], v[160:161]
	v_div_fmas_f64 v[154:155], v[154:155], v[156:157], v[158:159]
	v_div_fixup_f64 v[154:155], v[154:155], v[152:153], v[150:151]
	v_fma_f64 v[150:151], v[150:151], v[154:155], v[152:153]
	v_div_scale_f64 v[152:153], null, v[150:151], v[150:151], 1.0
	v_rcp_f64_e32 v[156:157], v[152:153]
	v_fma_f64 v[158:159], -v[152:153], v[156:157], 1.0
	v_fma_f64 v[156:157], v[156:157], v[158:159], v[156:157]
	v_fma_f64 v[158:159], -v[152:153], v[156:157], 1.0
	v_fma_f64 v[156:157], v[156:157], v[158:159], v[156:157]
	v_div_scale_f64 v[158:159], vcc_lo, 1.0, v[150:151], 1.0
	v_mul_f64 v[160:161], v[158:159], v[156:157]
	v_fma_f64 v[152:153], -v[152:153], v[160:161], v[158:159]
	v_div_fmas_f64 v[152:153], v[152:153], v[156:157], v[160:161]
	v_div_fixup_f64 v[156:157], v[152:153], v[150:151], 1.0
                                        ; implicit-def: $vgpr150_vgpr151
	v_mul_f64 v[154:155], v[154:155], v[156:157]
	v_xor_b32_e32 v157, 0x80000000, v157
.LBB73_5:
	s_andn2_saveexec_b32 s2, s2
	s_cbranch_execz .LBB73_7
; %bb.6:
	v_div_scale_f64 v[154:155], null, v[150:151], v[150:151], v[152:153]
	v_div_scale_f64 v[160:161], vcc_lo, v[152:153], v[150:151], v[152:153]
	v_rcp_f64_e32 v[156:157], v[154:155]
	v_fma_f64 v[158:159], -v[154:155], v[156:157], 1.0
	v_fma_f64 v[156:157], v[156:157], v[158:159], v[156:157]
	v_fma_f64 v[158:159], -v[154:155], v[156:157], 1.0
	v_fma_f64 v[156:157], v[156:157], v[158:159], v[156:157]
	v_mul_f64 v[158:159], v[160:161], v[156:157]
	v_fma_f64 v[154:155], -v[154:155], v[158:159], v[160:161]
	v_div_fmas_f64 v[154:155], v[154:155], v[156:157], v[158:159]
	v_div_fixup_f64 v[156:157], v[154:155], v[150:151], v[152:153]
	v_fma_f64 v[150:151], v[152:153], v[156:157], v[150:151]
	v_div_scale_f64 v[152:153], null, v[150:151], v[150:151], 1.0
	v_rcp_f64_e32 v[154:155], v[152:153]
	v_fma_f64 v[158:159], -v[152:153], v[154:155], 1.0
	v_fma_f64 v[154:155], v[154:155], v[158:159], v[154:155]
	v_fma_f64 v[158:159], -v[152:153], v[154:155], 1.0
	v_fma_f64 v[154:155], v[154:155], v[158:159], v[154:155]
	v_div_scale_f64 v[158:159], vcc_lo, 1.0, v[150:151], 1.0
	v_mul_f64 v[160:161], v[158:159], v[154:155]
	v_fma_f64 v[152:153], -v[152:153], v[160:161], v[158:159]
	v_div_fmas_f64 v[152:153], v[152:153], v[154:155], v[160:161]
	v_div_fixup_f64 v[154:155], v[152:153], v[150:151], 1.0
	v_mul_f64 v[156:157], v[156:157], -v[154:155]
.LBB73_7:
	s_or_b32 exec_lo, exec_lo, s2
	ds_write2_b64 v1, v[154:155], v[156:157] offset1:1
.LBB73_8:
	s_or_b32 exec_lo, exec_lo, s3
	s_waitcnt vmcnt(0) lgkmcnt(0)
	s_waitcnt_vscnt null, 0x0
	s_barrier
	buffer_gl0_inv
	ds_read2_b64 v[150:153], v1 offset1:1
	s_waitcnt lgkmcnt(0)
	buffer_store_dword v150, off, s[16:19], 0 offset:72 ; 4-byte Folded Spill
	buffer_store_dword v151, off, s[16:19], 0 offset:76 ; 4-byte Folded Spill
	;; [unrolled: 1-line block ×4, first 2 shown]
	s_and_saveexec_b32 s2, s1
	s_cbranch_execz .LBB73_10
; %bb.9:
	s_clause 0x3
	buffer_load_dword v152, off, s[16:19], 0 offset:72
	buffer_load_dword v153, off, s[16:19], 0 offset:76
	;; [unrolled: 1-line block ×4, first 2 shown]
	s_waitcnt vmcnt(0)
	v_mul_f64 v[150:151], v[154:155], v[148:149]
	v_mul_f64 v[148:149], v[152:153], v[148:149]
	v_fma_f64 v[150:151], v[152:153], v[146:147], -v[150:151]
	v_fma_f64 v[148:149], v[154:155], v[146:147], v[148:149]
	ds_read2_b64 v[152:155], v194 offset0:2 offset1:3
	s_waitcnt lgkmcnt(0)
	v_mul_f64 v[146:147], v[154:155], v[148:149]
	v_fma_f64 v[146:147], v[152:153], v[150:151], -v[146:147]
	v_mul_f64 v[152:153], v[152:153], v[148:149]
	v_add_f64 v[142:143], v[142:143], -v[146:147]
	v_fma_f64 v[152:153], v[154:155], v[150:151], v[152:153]
	v_add_f64 v[144:145], v[144:145], -v[152:153]
	ds_read2_b64 v[152:155], v194 offset0:4 offset1:5
	s_waitcnt lgkmcnt(0)
	v_mul_f64 v[146:147], v[154:155], v[148:149]
	v_fma_f64 v[146:147], v[152:153], v[150:151], -v[146:147]
	v_mul_f64 v[152:153], v[152:153], v[148:149]
	v_add_f64 v[138:139], v[138:139], -v[146:147]
	v_fma_f64 v[152:153], v[154:155], v[150:151], v[152:153]
	v_add_f64 v[140:141], v[140:141], -v[152:153]
	ds_read2_b64 v[152:155], v194 offset0:6 offset1:7
	s_waitcnt lgkmcnt(0)
	v_mul_f64 v[146:147], v[154:155], v[148:149]
	v_fma_f64 v[146:147], v[152:153], v[150:151], -v[146:147]
	v_mul_f64 v[152:153], v[152:153], v[148:149]
	v_add_f64 v[134:135], v[134:135], -v[146:147]
	v_fma_f64 v[152:153], v[154:155], v[150:151], v[152:153]
	v_add_f64 v[136:137], v[136:137], -v[152:153]
	ds_read2_b64 v[152:155], v194 offset0:8 offset1:9
	s_waitcnt lgkmcnt(0)
	v_mul_f64 v[146:147], v[154:155], v[148:149]
	v_fma_f64 v[146:147], v[152:153], v[150:151], -v[146:147]
	v_mul_f64 v[152:153], v[152:153], v[148:149]
	v_add_f64 v[130:131], v[130:131], -v[146:147]
	v_fma_f64 v[152:153], v[154:155], v[150:151], v[152:153]
	v_add_f64 v[132:133], v[132:133], -v[152:153]
	ds_read2_b64 v[152:155], v194 offset0:10 offset1:11
	s_waitcnt lgkmcnt(0)
	v_mul_f64 v[146:147], v[154:155], v[148:149]
	v_fma_f64 v[146:147], v[152:153], v[150:151], -v[146:147]
	v_mul_f64 v[152:153], v[152:153], v[148:149]
	v_add_f64 v[126:127], v[126:127], -v[146:147]
	v_fma_f64 v[152:153], v[154:155], v[150:151], v[152:153]
	v_add_f64 v[128:129], v[128:129], -v[152:153]
	ds_read2_b64 v[152:155], v194 offset0:12 offset1:13
	s_waitcnt lgkmcnt(0)
	v_mul_f64 v[146:147], v[154:155], v[148:149]
	v_fma_f64 v[146:147], v[152:153], v[150:151], -v[146:147]
	v_mul_f64 v[152:153], v[152:153], v[148:149]
	v_add_f64 v[122:123], v[122:123], -v[146:147]
	v_fma_f64 v[152:153], v[154:155], v[150:151], v[152:153]
	v_add_f64 v[124:125], v[124:125], -v[152:153]
	ds_read2_b64 v[152:155], v194 offset0:14 offset1:15
	s_waitcnt lgkmcnt(0)
	v_mul_f64 v[146:147], v[154:155], v[148:149]
	v_fma_f64 v[146:147], v[152:153], v[150:151], -v[146:147]
	v_mul_f64 v[152:153], v[152:153], v[148:149]
	v_add_f64 v[118:119], v[118:119], -v[146:147]
	v_fma_f64 v[152:153], v[154:155], v[150:151], v[152:153]
	v_add_f64 v[120:121], v[120:121], -v[152:153]
	ds_read2_b64 v[152:155], v194 offset0:16 offset1:17
	s_waitcnt lgkmcnt(0)
	v_mul_f64 v[146:147], v[154:155], v[148:149]
	v_fma_f64 v[146:147], v[152:153], v[150:151], -v[146:147]
	v_mul_f64 v[152:153], v[152:153], v[148:149]
	v_add_f64 v[114:115], v[114:115], -v[146:147]
	v_fma_f64 v[152:153], v[154:155], v[150:151], v[152:153]
	v_add_f64 v[116:117], v[116:117], -v[152:153]
	ds_read2_b64 v[152:155], v194 offset0:18 offset1:19
	s_waitcnt lgkmcnt(0)
	v_mul_f64 v[146:147], v[154:155], v[148:149]
	v_fma_f64 v[146:147], v[152:153], v[150:151], -v[146:147]
	v_mul_f64 v[152:153], v[152:153], v[148:149]
	v_add_f64 v[110:111], v[110:111], -v[146:147]
	v_fma_f64 v[152:153], v[154:155], v[150:151], v[152:153]
	v_add_f64 v[112:113], v[112:113], -v[152:153]
	ds_read2_b64 v[152:155], v194 offset0:20 offset1:21
	s_waitcnt lgkmcnt(0)
	v_mul_f64 v[146:147], v[154:155], v[148:149]
	v_fma_f64 v[146:147], v[152:153], v[150:151], -v[146:147]
	v_mul_f64 v[152:153], v[152:153], v[148:149]
	v_add_f64 v[106:107], v[106:107], -v[146:147]
	v_fma_f64 v[152:153], v[154:155], v[150:151], v[152:153]
	v_add_f64 v[108:109], v[108:109], -v[152:153]
	ds_read2_b64 v[152:155], v194 offset0:22 offset1:23
	s_waitcnt lgkmcnt(0)
	v_mul_f64 v[146:147], v[154:155], v[148:149]
	v_fma_f64 v[146:147], v[152:153], v[150:151], -v[146:147]
	v_mul_f64 v[152:153], v[152:153], v[148:149]
	v_add_f64 v[102:103], v[102:103], -v[146:147]
	v_fma_f64 v[152:153], v[154:155], v[150:151], v[152:153]
	v_add_f64 v[104:105], v[104:105], -v[152:153]
	ds_read2_b64 v[152:155], v194 offset0:24 offset1:25
	s_waitcnt lgkmcnt(0)
	v_mul_f64 v[146:147], v[154:155], v[148:149]
	v_fma_f64 v[146:147], v[152:153], v[150:151], -v[146:147]
	v_mul_f64 v[152:153], v[152:153], v[148:149]
	v_add_f64 v[98:99], v[98:99], -v[146:147]
	v_fma_f64 v[152:153], v[154:155], v[150:151], v[152:153]
	v_add_f64 v[100:101], v[100:101], -v[152:153]
	ds_read2_b64 v[152:155], v194 offset0:26 offset1:27
	s_waitcnt lgkmcnt(0)
	v_mul_f64 v[146:147], v[154:155], v[148:149]
	v_fma_f64 v[146:147], v[152:153], v[150:151], -v[146:147]
	v_mul_f64 v[152:153], v[152:153], v[148:149]
	v_add_f64 v[94:95], v[94:95], -v[146:147]
	v_fma_f64 v[152:153], v[154:155], v[150:151], v[152:153]
	v_add_f64 v[96:97], v[96:97], -v[152:153]
	ds_read2_b64 v[152:155], v194 offset0:28 offset1:29
	s_waitcnt lgkmcnt(0)
	v_mul_f64 v[146:147], v[154:155], v[148:149]
	v_fma_f64 v[146:147], v[152:153], v[150:151], -v[146:147]
	v_mul_f64 v[152:153], v[152:153], v[148:149]
	v_add_f64 v[90:91], v[90:91], -v[146:147]
	v_fma_f64 v[152:153], v[154:155], v[150:151], v[152:153]
	v_add_f64 v[92:93], v[92:93], -v[152:153]
	ds_read2_b64 v[152:155], v194 offset0:30 offset1:31
	s_waitcnt lgkmcnt(0)
	v_mul_f64 v[146:147], v[154:155], v[148:149]
	v_fma_f64 v[146:147], v[152:153], v[150:151], -v[146:147]
	v_mul_f64 v[152:153], v[152:153], v[148:149]
	v_add_f64 v[86:87], v[86:87], -v[146:147]
	v_fma_f64 v[152:153], v[154:155], v[150:151], v[152:153]
	v_add_f64 v[88:89], v[88:89], -v[152:153]
	ds_read2_b64 v[152:155], v194 offset0:32 offset1:33
	s_waitcnt lgkmcnt(0)
	v_mul_f64 v[146:147], v[154:155], v[148:149]
	v_fma_f64 v[146:147], v[152:153], v[150:151], -v[146:147]
	v_mul_f64 v[152:153], v[152:153], v[148:149]
	v_add_f64 v[82:83], v[82:83], -v[146:147]
	v_fma_f64 v[152:153], v[154:155], v[150:151], v[152:153]
	v_add_f64 v[84:85], v[84:85], -v[152:153]
	ds_read2_b64 v[152:155], v194 offset0:34 offset1:35
	s_waitcnt lgkmcnt(0)
	v_mul_f64 v[146:147], v[154:155], v[148:149]
	v_fma_f64 v[146:147], v[152:153], v[150:151], -v[146:147]
	v_mul_f64 v[152:153], v[152:153], v[148:149]
	v_add_f64 v[78:79], v[78:79], -v[146:147]
	v_fma_f64 v[152:153], v[154:155], v[150:151], v[152:153]
	v_add_f64 v[80:81], v[80:81], -v[152:153]
	ds_read2_b64 v[152:155], v194 offset0:36 offset1:37
	s_waitcnt lgkmcnt(0)
	v_mul_f64 v[146:147], v[154:155], v[148:149]
	v_fma_f64 v[146:147], v[152:153], v[150:151], -v[146:147]
	v_mul_f64 v[152:153], v[152:153], v[148:149]
	v_add_f64 v[74:75], v[74:75], -v[146:147]
	v_fma_f64 v[152:153], v[154:155], v[150:151], v[152:153]
	v_add_f64 v[76:77], v[76:77], -v[152:153]
	ds_read2_b64 v[152:155], v194 offset0:38 offset1:39
	s_waitcnt lgkmcnt(0)
	v_mul_f64 v[146:147], v[154:155], v[148:149]
	v_fma_f64 v[146:147], v[152:153], v[150:151], -v[146:147]
	v_mul_f64 v[152:153], v[152:153], v[148:149]
	v_add_f64 v[70:71], v[70:71], -v[146:147]
	v_fma_f64 v[152:153], v[154:155], v[150:151], v[152:153]
	v_add_f64 v[72:73], v[72:73], -v[152:153]
	ds_read2_b64 v[152:155], v194 offset0:40 offset1:41
	s_waitcnt lgkmcnt(0)
	v_mul_f64 v[146:147], v[154:155], v[148:149]
	v_fma_f64 v[146:147], v[152:153], v[150:151], -v[146:147]
	v_mul_f64 v[152:153], v[152:153], v[148:149]
	v_add_f64 v[66:67], v[66:67], -v[146:147]
	v_fma_f64 v[152:153], v[154:155], v[150:151], v[152:153]
	v_add_f64 v[68:69], v[68:69], -v[152:153]
	ds_read2_b64 v[152:155], v194 offset0:42 offset1:43
	s_waitcnt lgkmcnt(0)
	v_mul_f64 v[146:147], v[154:155], v[148:149]
	v_fma_f64 v[146:147], v[152:153], v[150:151], -v[146:147]
	v_mul_f64 v[152:153], v[152:153], v[148:149]
	v_add_f64 v[62:63], v[62:63], -v[146:147]
	v_fma_f64 v[152:153], v[154:155], v[150:151], v[152:153]
	v_add_f64 v[64:65], v[64:65], -v[152:153]
	ds_read2_b64 v[152:155], v194 offset0:44 offset1:45
	s_waitcnt lgkmcnt(0)
	v_mul_f64 v[146:147], v[154:155], v[148:149]
	v_fma_f64 v[146:147], v[152:153], v[150:151], -v[146:147]
	v_mul_f64 v[152:153], v[152:153], v[148:149]
	v_add_f64 v[58:59], v[58:59], -v[146:147]
	v_fma_f64 v[152:153], v[154:155], v[150:151], v[152:153]
	v_add_f64 v[60:61], v[60:61], -v[152:153]
	ds_read2_b64 v[152:155], v194 offset0:46 offset1:47
	s_waitcnt lgkmcnt(0)
	v_mul_f64 v[146:147], v[154:155], v[148:149]
	v_fma_f64 v[146:147], v[152:153], v[150:151], -v[146:147]
	v_mul_f64 v[152:153], v[152:153], v[148:149]
	v_add_f64 v[54:55], v[54:55], -v[146:147]
	v_fma_f64 v[152:153], v[154:155], v[150:151], v[152:153]
	v_add_f64 v[56:57], v[56:57], -v[152:153]
	ds_read2_b64 v[152:155], v194 offset0:48 offset1:49
	s_waitcnt lgkmcnt(0)
	v_mul_f64 v[146:147], v[154:155], v[148:149]
	v_fma_f64 v[146:147], v[152:153], v[150:151], -v[146:147]
	v_mul_f64 v[152:153], v[152:153], v[148:149]
	v_add_f64 v[50:51], v[50:51], -v[146:147]
	v_fma_f64 v[152:153], v[154:155], v[150:151], v[152:153]
	v_add_f64 v[52:53], v[52:53], -v[152:153]
	ds_read2_b64 v[152:155], v194 offset0:50 offset1:51
	s_waitcnt lgkmcnt(0)
	v_mul_f64 v[146:147], v[154:155], v[148:149]
	v_fma_f64 v[146:147], v[152:153], v[150:151], -v[146:147]
	v_mul_f64 v[152:153], v[152:153], v[148:149]
	v_add_f64 v[46:47], v[46:47], -v[146:147]
	v_fma_f64 v[152:153], v[154:155], v[150:151], v[152:153]
	v_add_f64 v[48:49], v[48:49], -v[152:153]
	ds_read2_b64 v[152:155], v194 offset0:52 offset1:53
	s_waitcnt lgkmcnt(0)
	v_mul_f64 v[146:147], v[154:155], v[148:149]
	v_fma_f64 v[146:147], v[152:153], v[150:151], -v[146:147]
	v_mul_f64 v[152:153], v[152:153], v[148:149]
	v_add_f64 v[42:43], v[42:43], -v[146:147]
	v_fma_f64 v[152:153], v[154:155], v[150:151], v[152:153]
	v_add_f64 v[44:45], v[44:45], -v[152:153]
	ds_read2_b64 v[152:155], v194 offset0:54 offset1:55
	s_waitcnt lgkmcnt(0)
	v_mul_f64 v[146:147], v[154:155], v[148:149]
	v_fma_f64 v[146:147], v[152:153], v[150:151], -v[146:147]
	v_mul_f64 v[152:153], v[152:153], v[148:149]
	v_add_f64 v[38:39], v[38:39], -v[146:147]
	v_fma_f64 v[152:153], v[154:155], v[150:151], v[152:153]
	v_add_f64 v[40:41], v[40:41], -v[152:153]
	ds_read2_b64 v[152:155], v194 offset0:56 offset1:57
	s_waitcnt lgkmcnt(0)
	v_mul_f64 v[146:147], v[154:155], v[148:149]
	v_fma_f64 v[146:147], v[152:153], v[150:151], -v[146:147]
	v_mul_f64 v[152:153], v[152:153], v[148:149]
	v_add_f64 v[34:35], v[34:35], -v[146:147]
	v_fma_f64 v[152:153], v[154:155], v[150:151], v[152:153]
	v_add_f64 v[36:37], v[36:37], -v[152:153]
	ds_read2_b64 v[152:155], v194 offset0:58 offset1:59
	s_waitcnt lgkmcnt(0)
	v_mul_f64 v[146:147], v[154:155], v[148:149]
	v_fma_f64 v[146:147], v[152:153], v[150:151], -v[146:147]
	v_mul_f64 v[152:153], v[152:153], v[148:149]
	v_add_f64 v[30:31], v[30:31], -v[146:147]
	v_fma_f64 v[152:153], v[154:155], v[150:151], v[152:153]
	v_add_f64 v[32:33], v[32:33], -v[152:153]
	ds_read2_b64 v[152:155], v194 offset0:60 offset1:61
	s_waitcnt lgkmcnt(0)
	v_mul_f64 v[146:147], v[154:155], v[148:149]
	v_fma_f64 v[146:147], v[152:153], v[150:151], -v[146:147]
	v_mul_f64 v[152:153], v[152:153], v[148:149]
	v_add_f64 v[26:27], v[26:27], -v[146:147]
	v_fma_f64 v[152:153], v[154:155], v[150:151], v[152:153]
	v_add_f64 v[28:29], v[28:29], -v[152:153]
	ds_read2_b64 v[152:155], v194 offset0:62 offset1:63
	s_waitcnt lgkmcnt(0)
	v_mul_f64 v[146:147], v[154:155], v[148:149]
	v_fma_f64 v[146:147], v[152:153], v[150:151], -v[146:147]
	v_mul_f64 v[152:153], v[152:153], v[148:149]
	v_add_f64 v[22:23], v[22:23], -v[146:147]
	v_fma_f64 v[152:153], v[154:155], v[150:151], v[152:153]
	v_add_f64 v[24:25], v[24:25], -v[152:153]
	ds_read2_b64 v[152:155], v194 offset0:64 offset1:65
	s_waitcnt lgkmcnt(0)
	v_mul_f64 v[146:147], v[154:155], v[148:149]
	v_fma_f64 v[146:147], v[152:153], v[150:151], -v[146:147]
	v_mul_f64 v[152:153], v[152:153], v[148:149]
	v_add_f64 v[18:19], v[18:19], -v[146:147]
	v_fma_f64 v[152:153], v[154:155], v[150:151], v[152:153]
	v_add_f64 v[20:21], v[20:21], -v[152:153]
	ds_read2_b64 v[152:155], v194 offset0:66 offset1:67
	s_waitcnt lgkmcnt(0)
	v_mul_f64 v[146:147], v[154:155], v[148:149]
	v_fma_f64 v[146:147], v[152:153], v[150:151], -v[146:147]
	v_mul_f64 v[152:153], v[152:153], v[148:149]
	v_add_f64 v[14:15], v[14:15], -v[146:147]
	v_fma_f64 v[152:153], v[154:155], v[150:151], v[152:153]
	v_add_f64 v[16:17], v[16:17], -v[152:153]
	ds_read2_b64 v[152:155], v194 offset0:68 offset1:69
	s_waitcnt lgkmcnt(0)
	v_mul_f64 v[146:147], v[154:155], v[148:149]
	v_fma_f64 v[146:147], v[152:153], v[150:151], -v[146:147]
	v_mul_f64 v[152:153], v[152:153], v[148:149]
	v_add_f64 v[10:11], v[10:11], -v[146:147]
	v_fma_f64 v[152:153], v[154:155], v[150:151], v[152:153]
	v_add_f64 v[12:13], v[12:13], -v[152:153]
	ds_read2_b64 v[152:155], v194 offset0:70 offset1:71
	s_waitcnt lgkmcnt(0)
	v_mul_f64 v[146:147], v[154:155], v[148:149]
	v_fma_f64 v[146:147], v[152:153], v[150:151], -v[146:147]
	v_mul_f64 v[152:153], v[152:153], v[148:149]
	v_add_f64 v[6:7], v[6:7], -v[146:147]
	v_fma_f64 v[152:153], v[154:155], v[150:151], v[152:153]
	v_add_f64 v[8:9], v[8:9], -v[152:153]
	ds_read2_b64 v[152:155], v194 offset0:72 offset1:73
	s_waitcnt lgkmcnt(0)
	v_mul_f64 v[146:147], v[154:155], v[148:149]
	v_fma_f64 v[146:147], v[152:153], v[150:151], -v[146:147]
	v_mul_f64 v[152:153], v[152:153], v[148:149]
	v_add_f64 v[2:3], v[2:3], -v[146:147]
	v_fma_f64 v[152:153], v[154:155], v[150:151], v[152:153]
	v_mov_b32_e32 v146, v150
	v_mov_b32_e32 v147, v151
	v_add_f64 v[4:5], v[4:5], -v[152:153]
.LBB73_10:
	s_or_b32 exec_lo, exec_lo, s2
	s_mov_b32 s2, exec_lo
	s_waitcnt_vscnt null, 0x0
	s_barrier
	buffer_gl0_inv
	v_cmpx_eq_u32_e32 1, v0
	s_cbranch_execz .LBB73_17
; %bb.11:
	ds_write2_b64 v1, v[142:143], v[144:145] offset1:1
	ds_write2_b64 v194, v[138:139], v[140:141] offset0:4 offset1:5
	ds_write2_b64 v194, v[134:135], v[136:137] offset0:6 offset1:7
	;; [unrolled: 1-line block ×35, first 2 shown]
	ds_read2_b64 v[150:153], v1 offset1:1
	s_waitcnt lgkmcnt(0)
	v_cmp_neq_f64_e32 vcc_lo, 0, v[150:151]
	v_cmp_neq_f64_e64 s1, 0, v[152:153]
	s_or_b32 s1, vcc_lo, s1
	s_and_b32 exec_lo, exec_lo, s1
	s_cbranch_execz .LBB73_17
; %bb.12:
	v_cmp_ngt_f64_e64 s1, |v[150:151]|, |v[152:153]|
                                        ; implicit-def: $vgpr154_vgpr155
	s_and_saveexec_b32 s3, s1
	s_xor_b32 s1, exec_lo, s3
                                        ; implicit-def: $vgpr156_vgpr157
	s_cbranch_execz .LBB73_14
; %bb.13:
	v_div_scale_f64 v[154:155], null, v[152:153], v[152:153], v[150:151]
	v_div_scale_f64 v[160:161], vcc_lo, v[150:151], v[152:153], v[150:151]
	v_rcp_f64_e32 v[156:157], v[154:155]
	v_fma_f64 v[158:159], -v[154:155], v[156:157], 1.0
	v_fma_f64 v[156:157], v[156:157], v[158:159], v[156:157]
	v_fma_f64 v[158:159], -v[154:155], v[156:157], 1.0
	v_fma_f64 v[156:157], v[156:157], v[158:159], v[156:157]
	v_mul_f64 v[158:159], v[160:161], v[156:157]
	v_fma_f64 v[154:155], -v[154:155], v[158:159], v[160:161]
	v_div_fmas_f64 v[154:155], v[154:155], v[156:157], v[158:159]
	v_div_fixup_f64 v[154:155], v[154:155], v[152:153], v[150:151]
	v_fma_f64 v[150:151], v[150:151], v[154:155], v[152:153]
	v_div_scale_f64 v[152:153], null, v[150:151], v[150:151], 1.0
	v_rcp_f64_e32 v[156:157], v[152:153]
	v_fma_f64 v[158:159], -v[152:153], v[156:157], 1.0
	v_fma_f64 v[156:157], v[156:157], v[158:159], v[156:157]
	v_fma_f64 v[158:159], -v[152:153], v[156:157], 1.0
	v_fma_f64 v[156:157], v[156:157], v[158:159], v[156:157]
	v_div_scale_f64 v[158:159], vcc_lo, 1.0, v[150:151], 1.0
	v_mul_f64 v[160:161], v[158:159], v[156:157]
	v_fma_f64 v[152:153], -v[152:153], v[160:161], v[158:159]
	v_div_fmas_f64 v[152:153], v[152:153], v[156:157], v[160:161]
	v_div_fixup_f64 v[156:157], v[152:153], v[150:151], 1.0
                                        ; implicit-def: $vgpr150_vgpr151
	v_mul_f64 v[154:155], v[154:155], v[156:157]
	v_xor_b32_e32 v157, 0x80000000, v157
.LBB73_14:
	s_andn2_saveexec_b32 s1, s1
	s_cbranch_execz .LBB73_16
; %bb.15:
	v_div_scale_f64 v[154:155], null, v[150:151], v[150:151], v[152:153]
	v_div_scale_f64 v[160:161], vcc_lo, v[152:153], v[150:151], v[152:153]
	v_rcp_f64_e32 v[156:157], v[154:155]
	v_fma_f64 v[158:159], -v[154:155], v[156:157], 1.0
	v_fma_f64 v[156:157], v[156:157], v[158:159], v[156:157]
	v_fma_f64 v[158:159], -v[154:155], v[156:157], 1.0
	v_fma_f64 v[156:157], v[156:157], v[158:159], v[156:157]
	v_mul_f64 v[158:159], v[160:161], v[156:157]
	v_fma_f64 v[154:155], -v[154:155], v[158:159], v[160:161]
	v_div_fmas_f64 v[154:155], v[154:155], v[156:157], v[158:159]
	v_div_fixup_f64 v[156:157], v[154:155], v[150:151], v[152:153]
	v_fma_f64 v[150:151], v[152:153], v[156:157], v[150:151]
	v_div_scale_f64 v[152:153], null, v[150:151], v[150:151], 1.0
	v_rcp_f64_e32 v[154:155], v[152:153]
	v_fma_f64 v[158:159], -v[152:153], v[154:155], 1.0
	v_fma_f64 v[154:155], v[154:155], v[158:159], v[154:155]
	v_fma_f64 v[158:159], -v[152:153], v[154:155], 1.0
	v_fma_f64 v[154:155], v[154:155], v[158:159], v[154:155]
	v_div_scale_f64 v[158:159], vcc_lo, 1.0, v[150:151], 1.0
	v_mul_f64 v[160:161], v[158:159], v[154:155]
	v_fma_f64 v[152:153], -v[152:153], v[160:161], v[158:159]
	v_div_fmas_f64 v[152:153], v[152:153], v[154:155], v[160:161]
	v_div_fixup_f64 v[154:155], v[152:153], v[150:151], 1.0
	v_mul_f64 v[156:157], v[156:157], -v[154:155]
.LBB73_16:
	s_or_b32 exec_lo, exec_lo, s1
	ds_write2_b64 v1, v[154:155], v[156:157] offset1:1
.LBB73_17:
	s_or_b32 exec_lo, exec_lo, s2
	s_waitcnt lgkmcnt(0)
	s_barrier
	buffer_gl0_inv
	ds_read2_b64 v[150:153], v1 offset1:1
	s_mov_b32 s1, exec_lo
	s_waitcnt lgkmcnt(0)
	buffer_store_dword v150, off, s[16:19], 0 offset:88 ; 4-byte Folded Spill
	buffer_store_dword v151, off, s[16:19], 0 offset:92 ; 4-byte Folded Spill
	;; [unrolled: 1-line block ×4, first 2 shown]
	v_cmpx_lt_u32_e32 1, v0
	s_cbranch_execz .LBB73_19
; %bb.18:
	s_clause 0x3
	buffer_load_dword v152, off, s[16:19], 0 offset:88
	buffer_load_dword v153, off, s[16:19], 0 offset:92
	;; [unrolled: 1-line block ×4, first 2 shown]
	s_waitcnt vmcnt(0)
	v_mul_f64 v[150:151], v[154:155], v[144:145]
	v_mul_f64 v[144:145], v[152:153], v[144:145]
	v_fma_f64 v[150:151], v[152:153], v[142:143], -v[150:151]
	v_fma_f64 v[144:145], v[154:155], v[142:143], v[144:145]
	ds_read2_b64 v[152:155], v194 offset0:4 offset1:5
	s_waitcnt lgkmcnt(0)
	v_mul_f64 v[142:143], v[154:155], v[144:145]
	v_fma_f64 v[142:143], v[152:153], v[150:151], -v[142:143]
	v_mul_f64 v[152:153], v[152:153], v[144:145]
	v_add_f64 v[138:139], v[138:139], -v[142:143]
	v_fma_f64 v[152:153], v[154:155], v[150:151], v[152:153]
	v_add_f64 v[140:141], v[140:141], -v[152:153]
	ds_read2_b64 v[152:155], v194 offset0:6 offset1:7
	s_waitcnt lgkmcnt(0)
	v_mul_f64 v[142:143], v[154:155], v[144:145]
	v_fma_f64 v[142:143], v[152:153], v[150:151], -v[142:143]
	v_mul_f64 v[152:153], v[152:153], v[144:145]
	v_add_f64 v[134:135], v[134:135], -v[142:143]
	v_fma_f64 v[152:153], v[154:155], v[150:151], v[152:153]
	v_add_f64 v[136:137], v[136:137], -v[152:153]
	;; [unrolled: 8-line block ×34, first 2 shown]
	ds_read2_b64 v[152:155], v194 offset0:72 offset1:73
	s_waitcnt lgkmcnt(0)
	v_mul_f64 v[142:143], v[154:155], v[144:145]
	v_fma_f64 v[142:143], v[152:153], v[150:151], -v[142:143]
	v_mul_f64 v[152:153], v[152:153], v[144:145]
	v_add_f64 v[2:3], v[2:3], -v[142:143]
	v_fma_f64 v[152:153], v[154:155], v[150:151], v[152:153]
	v_mov_b32_e32 v142, v150
	v_mov_b32_e32 v143, v151
	v_add_f64 v[4:5], v[4:5], -v[152:153]
.LBB73_19:
	s_or_b32 exec_lo, exec_lo, s1
	s_mov_b32 s2, exec_lo
	s_waitcnt_vscnt null, 0x0
	s_barrier
	buffer_gl0_inv
	v_cmpx_eq_u32_e32 2, v0
	s_cbranch_execz .LBB73_26
; %bb.20:
	ds_write2_b64 v1, v[138:139], v[140:141] offset1:1
	ds_write2_b64 v194, v[134:135], v[136:137] offset0:6 offset1:7
	ds_write2_b64 v194, v[130:131], v[132:133] offset0:8 offset1:9
	;; [unrolled: 1-line block ×34, first 2 shown]
	ds_read2_b64 v[150:153], v1 offset1:1
	s_waitcnt lgkmcnt(0)
	v_cmp_neq_f64_e32 vcc_lo, 0, v[150:151]
	v_cmp_neq_f64_e64 s1, 0, v[152:153]
	s_or_b32 s1, vcc_lo, s1
	s_and_b32 exec_lo, exec_lo, s1
	s_cbranch_execz .LBB73_26
; %bb.21:
	v_cmp_ngt_f64_e64 s1, |v[150:151]|, |v[152:153]|
                                        ; implicit-def: $vgpr154_vgpr155
	s_and_saveexec_b32 s3, s1
	s_xor_b32 s1, exec_lo, s3
                                        ; implicit-def: $vgpr156_vgpr157
	s_cbranch_execz .LBB73_23
; %bb.22:
	v_div_scale_f64 v[154:155], null, v[152:153], v[152:153], v[150:151]
	v_div_scale_f64 v[160:161], vcc_lo, v[150:151], v[152:153], v[150:151]
	v_rcp_f64_e32 v[156:157], v[154:155]
	v_fma_f64 v[158:159], -v[154:155], v[156:157], 1.0
	v_fma_f64 v[156:157], v[156:157], v[158:159], v[156:157]
	v_fma_f64 v[158:159], -v[154:155], v[156:157], 1.0
	v_fma_f64 v[156:157], v[156:157], v[158:159], v[156:157]
	v_mul_f64 v[158:159], v[160:161], v[156:157]
	v_fma_f64 v[154:155], -v[154:155], v[158:159], v[160:161]
	v_div_fmas_f64 v[154:155], v[154:155], v[156:157], v[158:159]
	v_div_fixup_f64 v[154:155], v[154:155], v[152:153], v[150:151]
	v_fma_f64 v[150:151], v[150:151], v[154:155], v[152:153]
	v_div_scale_f64 v[152:153], null, v[150:151], v[150:151], 1.0
	v_rcp_f64_e32 v[156:157], v[152:153]
	v_fma_f64 v[158:159], -v[152:153], v[156:157], 1.0
	v_fma_f64 v[156:157], v[156:157], v[158:159], v[156:157]
	v_fma_f64 v[158:159], -v[152:153], v[156:157], 1.0
	v_fma_f64 v[156:157], v[156:157], v[158:159], v[156:157]
	v_div_scale_f64 v[158:159], vcc_lo, 1.0, v[150:151], 1.0
	v_mul_f64 v[160:161], v[158:159], v[156:157]
	v_fma_f64 v[152:153], -v[152:153], v[160:161], v[158:159]
	v_div_fmas_f64 v[152:153], v[152:153], v[156:157], v[160:161]
	v_div_fixup_f64 v[156:157], v[152:153], v[150:151], 1.0
                                        ; implicit-def: $vgpr150_vgpr151
	v_mul_f64 v[154:155], v[154:155], v[156:157]
	v_xor_b32_e32 v157, 0x80000000, v157
.LBB73_23:
	s_andn2_saveexec_b32 s1, s1
	s_cbranch_execz .LBB73_25
; %bb.24:
	v_div_scale_f64 v[154:155], null, v[150:151], v[150:151], v[152:153]
	v_div_scale_f64 v[160:161], vcc_lo, v[152:153], v[150:151], v[152:153]
	v_rcp_f64_e32 v[156:157], v[154:155]
	v_fma_f64 v[158:159], -v[154:155], v[156:157], 1.0
	v_fma_f64 v[156:157], v[156:157], v[158:159], v[156:157]
	v_fma_f64 v[158:159], -v[154:155], v[156:157], 1.0
	v_fma_f64 v[156:157], v[156:157], v[158:159], v[156:157]
	v_mul_f64 v[158:159], v[160:161], v[156:157]
	v_fma_f64 v[154:155], -v[154:155], v[158:159], v[160:161]
	v_div_fmas_f64 v[154:155], v[154:155], v[156:157], v[158:159]
	v_div_fixup_f64 v[156:157], v[154:155], v[150:151], v[152:153]
	v_fma_f64 v[150:151], v[152:153], v[156:157], v[150:151]
	v_div_scale_f64 v[152:153], null, v[150:151], v[150:151], 1.0
	v_rcp_f64_e32 v[154:155], v[152:153]
	v_fma_f64 v[158:159], -v[152:153], v[154:155], 1.0
	v_fma_f64 v[154:155], v[154:155], v[158:159], v[154:155]
	v_fma_f64 v[158:159], -v[152:153], v[154:155], 1.0
	v_fma_f64 v[154:155], v[154:155], v[158:159], v[154:155]
	v_div_scale_f64 v[158:159], vcc_lo, 1.0, v[150:151], 1.0
	v_mul_f64 v[160:161], v[158:159], v[154:155]
	v_fma_f64 v[152:153], -v[152:153], v[160:161], v[158:159]
	v_div_fmas_f64 v[152:153], v[152:153], v[154:155], v[160:161]
	v_div_fixup_f64 v[154:155], v[152:153], v[150:151], 1.0
	v_mul_f64 v[156:157], v[156:157], -v[154:155]
.LBB73_25:
	s_or_b32 exec_lo, exec_lo, s1
	ds_write2_b64 v1, v[154:155], v[156:157] offset1:1
.LBB73_26:
	s_or_b32 exec_lo, exec_lo, s2
	s_waitcnt lgkmcnt(0)
	s_barrier
	buffer_gl0_inv
	ds_read2_b64 v[150:153], v1 offset1:1
	s_mov_b32 s1, exec_lo
	s_waitcnt lgkmcnt(0)
	buffer_store_dword v150, off, s[16:19], 0 offset:104 ; 4-byte Folded Spill
	buffer_store_dword v151, off, s[16:19], 0 offset:108 ; 4-byte Folded Spill
	;; [unrolled: 1-line block ×4, first 2 shown]
	v_cmpx_lt_u32_e32 2, v0
	s_cbranch_execz .LBB73_28
; %bb.27:
	s_clause 0x3
	buffer_load_dword v152, off, s[16:19], 0 offset:104
	buffer_load_dword v153, off, s[16:19], 0 offset:108
	;; [unrolled: 1-line block ×4, first 2 shown]
	s_waitcnt vmcnt(0)
	v_mul_f64 v[150:151], v[154:155], v[140:141]
	v_mul_f64 v[140:141], v[152:153], v[140:141]
	v_fma_f64 v[150:151], v[152:153], v[138:139], -v[150:151]
	v_fma_f64 v[140:141], v[154:155], v[138:139], v[140:141]
	ds_read2_b64 v[152:155], v194 offset0:6 offset1:7
	s_waitcnt lgkmcnt(0)
	v_mul_f64 v[138:139], v[154:155], v[140:141]
	v_fma_f64 v[138:139], v[152:153], v[150:151], -v[138:139]
	v_mul_f64 v[152:153], v[152:153], v[140:141]
	v_add_f64 v[134:135], v[134:135], -v[138:139]
	v_fma_f64 v[152:153], v[154:155], v[150:151], v[152:153]
	v_add_f64 v[136:137], v[136:137], -v[152:153]
	ds_read2_b64 v[152:155], v194 offset0:8 offset1:9
	s_waitcnt lgkmcnt(0)
	v_mul_f64 v[138:139], v[154:155], v[140:141]
	v_fma_f64 v[138:139], v[152:153], v[150:151], -v[138:139]
	v_mul_f64 v[152:153], v[152:153], v[140:141]
	v_add_f64 v[130:131], v[130:131], -v[138:139]
	v_fma_f64 v[152:153], v[154:155], v[150:151], v[152:153]
	v_add_f64 v[132:133], v[132:133], -v[152:153]
	;; [unrolled: 8-line block ×33, first 2 shown]
	ds_read2_b64 v[152:155], v194 offset0:72 offset1:73
	s_waitcnt lgkmcnt(0)
	v_mul_f64 v[138:139], v[154:155], v[140:141]
	v_fma_f64 v[138:139], v[152:153], v[150:151], -v[138:139]
	v_mul_f64 v[152:153], v[152:153], v[140:141]
	v_add_f64 v[2:3], v[2:3], -v[138:139]
	v_fma_f64 v[152:153], v[154:155], v[150:151], v[152:153]
	v_mov_b32_e32 v138, v150
	v_mov_b32_e32 v139, v151
	v_add_f64 v[4:5], v[4:5], -v[152:153]
.LBB73_28:
	s_or_b32 exec_lo, exec_lo, s1
	s_mov_b32 s2, exec_lo
	s_waitcnt_vscnt null, 0x0
	s_barrier
	buffer_gl0_inv
	v_cmpx_eq_u32_e32 3, v0
	s_cbranch_execz .LBB73_35
; %bb.29:
	ds_write2_b64 v1, v[134:135], v[136:137] offset1:1
	ds_write2_b64 v194, v[130:131], v[132:133] offset0:8 offset1:9
	ds_write2_b64 v194, v[126:127], v[128:129] offset0:10 offset1:11
	;; [unrolled: 1-line block ×33, first 2 shown]
	ds_read2_b64 v[150:153], v1 offset1:1
	s_waitcnt lgkmcnt(0)
	v_cmp_neq_f64_e32 vcc_lo, 0, v[150:151]
	v_cmp_neq_f64_e64 s1, 0, v[152:153]
	s_or_b32 s1, vcc_lo, s1
	s_and_b32 exec_lo, exec_lo, s1
	s_cbranch_execz .LBB73_35
; %bb.30:
	v_cmp_ngt_f64_e64 s1, |v[150:151]|, |v[152:153]|
                                        ; implicit-def: $vgpr154_vgpr155
	s_and_saveexec_b32 s3, s1
	s_xor_b32 s1, exec_lo, s3
                                        ; implicit-def: $vgpr156_vgpr157
	s_cbranch_execz .LBB73_32
; %bb.31:
	v_div_scale_f64 v[154:155], null, v[152:153], v[152:153], v[150:151]
	v_div_scale_f64 v[160:161], vcc_lo, v[150:151], v[152:153], v[150:151]
	v_rcp_f64_e32 v[156:157], v[154:155]
	v_fma_f64 v[158:159], -v[154:155], v[156:157], 1.0
	v_fma_f64 v[156:157], v[156:157], v[158:159], v[156:157]
	v_fma_f64 v[158:159], -v[154:155], v[156:157], 1.0
	v_fma_f64 v[156:157], v[156:157], v[158:159], v[156:157]
	v_mul_f64 v[158:159], v[160:161], v[156:157]
	v_fma_f64 v[154:155], -v[154:155], v[158:159], v[160:161]
	v_div_fmas_f64 v[154:155], v[154:155], v[156:157], v[158:159]
	v_div_fixup_f64 v[154:155], v[154:155], v[152:153], v[150:151]
	v_fma_f64 v[150:151], v[150:151], v[154:155], v[152:153]
	v_div_scale_f64 v[152:153], null, v[150:151], v[150:151], 1.0
	v_rcp_f64_e32 v[156:157], v[152:153]
	v_fma_f64 v[158:159], -v[152:153], v[156:157], 1.0
	v_fma_f64 v[156:157], v[156:157], v[158:159], v[156:157]
	v_fma_f64 v[158:159], -v[152:153], v[156:157], 1.0
	v_fma_f64 v[156:157], v[156:157], v[158:159], v[156:157]
	v_div_scale_f64 v[158:159], vcc_lo, 1.0, v[150:151], 1.0
	v_mul_f64 v[160:161], v[158:159], v[156:157]
	v_fma_f64 v[152:153], -v[152:153], v[160:161], v[158:159]
	v_div_fmas_f64 v[152:153], v[152:153], v[156:157], v[160:161]
	v_div_fixup_f64 v[156:157], v[152:153], v[150:151], 1.0
                                        ; implicit-def: $vgpr150_vgpr151
	v_mul_f64 v[154:155], v[154:155], v[156:157]
	v_xor_b32_e32 v157, 0x80000000, v157
.LBB73_32:
	s_andn2_saveexec_b32 s1, s1
	s_cbranch_execz .LBB73_34
; %bb.33:
	v_div_scale_f64 v[154:155], null, v[150:151], v[150:151], v[152:153]
	v_div_scale_f64 v[160:161], vcc_lo, v[152:153], v[150:151], v[152:153]
	v_rcp_f64_e32 v[156:157], v[154:155]
	v_fma_f64 v[158:159], -v[154:155], v[156:157], 1.0
	v_fma_f64 v[156:157], v[156:157], v[158:159], v[156:157]
	v_fma_f64 v[158:159], -v[154:155], v[156:157], 1.0
	v_fma_f64 v[156:157], v[156:157], v[158:159], v[156:157]
	v_mul_f64 v[158:159], v[160:161], v[156:157]
	v_fma_f64 v[154:155], -v[154:155], v[158:159], v[160:161]
	v_div_fmas_f64 v[154:155], v[154:155], v[156:157], v[158:159]
	v_div_fixup_f64 v[156:157], v[154:155], v[150:151], v[152:153]
	v_fma_f64 v[150:151], v[152:153], v[156:157], v[150:151]
	v_div_scale_f64 v[152:153], null, v[150:151], v[150:151], 1.0
	v_rcp_f64_e32 v[154:155], v[152:153]
	v_fma_f64 v[158:159], -v[152:153], v[154:155], 1.0
	v_fma_f64 v[154:155], v[154:155], v[158:159], v[154:155]
	v_fma_f64 v[158:159], -v[152:153], v[154:155], 1.0
	v_fma_f64 v[154:155], v[154:155], v[158:159], v[154:155]
	v_div_scale_f64 v[158:159], vcc_lo, 1.0, v[150:151], 1.0
	v_mul_f64 v[160:161], v[158:159], v[154:155]
	v_fma_f64 v[152:153], -v[152:153], v[160:161], v[158:159]
	v_div_fmas_f64 v[152:153], v[152:153], v[154:155], v[160:161]
	v_div_fixup_f64 v[154:155], v[152:153], v[150:151], 1.0
	v_mul_f64 v[156:157], v[156:157], -v[154:155]
.LBB73_34:
	s_or_b32 exec_lo, exec_lo, s1
	ds_write2_b64 v1, v[154:155], v[156:157] offset1:1
.LBB73_35:
	s_or_b32 exec_lo, exec_lo, s2
	s_waitcnt lgkmcnt(0)
	s_barrier
	buffer_gl0_inv
	ds_read2_b64 v[150:153], v1 offset1:1
	s_mov_b32 s1, exec_lo
	s_waitcnt lgkmcnt(0)
	buffer_store_dword v150, off, s[16:19], 0 offset:120 ; 4-byte Folded Spill
	buffer_store_dword v151, off, s[16:19], 0 offset:124 ; 4-byte Folded Spill
	;; [unrolled: 1-line block ×4, first 2 shown]
	v_cmpx_lt_u32_e32 3, v0
	s_cbranch_execz .LBB73_37
; %bb.36:
	s_clause 0x3
	buffer_load_dword v152, off, s[16:19], 0 offset:120
	buffer_load_dword v153, off, s[16:19], 0 offset:124
	;; [unrolled: 1-line block ×4, first 2 shown]
	s_waitcnt vmcnt(0)
	v_mul_f64 v[150:151], v[154:155], v[136:137]
	v_mul_f64 v[136:137], v[152:153], v[136:137]
	v_fma_f64 v[150:151], v[152:153], v[134:135], -v[150:151]
	v_fma_f64 v[136:137], v[154:155], v[134:135], v[136:137]
	ds_read2_b64 v[152:155], v194 offset0:8 offset1:9
	s_waitcnt lgkmcnt(0)
	v_mul_f64 v[134:135], v[154:155], v[136:137]
	v_fma_f64 v[134:135], v[152:153], v[150:151], -v[134:135]
	v_mul_f64 v[152:153], v[152:153], v[136:137]
	v_add_f64 v[130:131], v[130:131], -v[134:135]
	v_fma_f64 v[152:153], v[154:155], v[150:151], v[152:153]
	v_add_f64 v[132:133], v[132:133], -v[152:153]
	ds_read2_b64 v[152:155], v194 offset0:10 offset1:11
	s_waitcnt lgkmcnt(0)
	v_mul_f64 v[134:135], v[154:155], v[136:137]
	v_fma_f64 v[134:135], v[152:153], v[150:151], -v[134:135]
	v_mul_f64 v[152:153], v[152:153], v[136:137]
	v_add_f64 v[126:127], v[126:127], -v[134:135]
	v_fma_f64 v[152:153], v[154:155], v[150:151], v[152:153]
	v_add_f64 v[128:129], v[128:129], -v[152:153]
	;; [unrolled: 8-line block ×32, first 2 shown]
	ds_read2_b64 v[152:155], v194 offset0:72 offset1:73
	s_waitcnt lgkmcnt(0)
	v_mul_f64 v[134:135], v[154:155], v[136:137]
	v_fma_f64 v[134:135], v[152:153], v[150:151], -v[134:135]
	v_mul_f64 v[152:153], v[152:153], v[136:137]
	v_add_f64 v[2:3], v[2:3], -v[134:135]
	v_fma_f64 v[152:153], v[154:155], v[150:151], v[152:153]
	v_mov_b32_e32 v134, v150
	v_mov_b32_e32 v135, v151
	v_add_f64 v[4:5], v[4:5], -v[152:153]
.LBB73_37:
	s_or_b32 exec_lo, exec_lo, s1
	s_mov_b32 s2, exec_lo
	s_waitcnt_vscnt null, 0x0
	s_barrier
	buffer_gl0_inv
	v_cmpx_eq_u32_e32 4, v0
	s_cbranch_execz .LBB73_44
; %bb.38:
	ds_write2_b64 v1, v[130:131], v[132:133] offset1:1
	ds_write2_b64 v194, v[126:127], v[128:129] offset0:10 offset1:11
	ds_write2_b64 v194, v[122:123], v[124:125] offset0:12 offset1:13
	;; [unrolled: 1-line block ×32, first 2 shown]
	ds_read2_b64 v[150:153], v1 offset1:1
	s_waitcnt lgkmcnt(0)
	v_cmp_neq_f64_e32 vcc_lo, 0, v[150:151]
	v_cmp_neq_f64_e64 s1, 0, v[152:153]
	s_or_b32 s1, vcc_lo, s1
	s_and_b32 exec_lo, exec_lo, s1
	s_cbranch_execz .LBB73_44
; %bb.39:
	v_cmp_ngt_f64_e64 s1, |v[150:151]|, |v[152:153]|
                                        ; implicit-def: $vgpr154_vgpr155
	s_and_saveexec_b32 s3, s1
	s_xor_b32 s1, exec_lo, s3
                                        ; implicit-def: $vgpr156_vgpr157
	s_cbranch_execz .LBB73_41
; %bb.40:
	v_div_scale_f64 v[154:155], null, v[152:153], v[152:153], v[150:151]
	v_div_scale_f64 v[160:161], vcc_lo, v[150:151], v[152:153], v[150:151]
	v_rcp_f64_e32 v[156:157], v[154:155]
	v_fma_f64 v[158:159], -v[154:155], v[156:157], 1.0
	v_fma_f64 v[156:157], v[156:157], v[158:159], v[156:157]
	v_fma_f64 v[158:159], -v[154:155], v[156:157], 1.0
	v_fma_f64 v[156:157], v[156:157], v[158:159], v[156:157]
	v_mul_f64 v[158:159], v[160:161], v[156:157]
	v_fma_f64 v[154:155], -v[154:155], v[158:159], v[160:161]
	v_div_fmas_f64 v[154:155], v[154:155], v[156:157], v[158:159]
	v_div_fixup_f64 v[154:155], v[154:155], v[152:153], v[150:151]
	v_fma_f64 v[150:151], v[150:151], v[154:155], v[152:153]
	v_div_scale_f64 v[152:153], null, v[150:151], v[150:151], 1.0
	v_rcp_f64_e32 v[156:157], v[152:153]
	v_fma_f64 v[158:159], -v[152:153], v[156:157], 1.0
	v_fma_f64 v[156:157], v[156:157], v[158:159], v[156:157]
	v_fma_f64 v[158:159], -v[152:153], v[156:157], 1.0
	v_fma_f64 v[156:157], v[156:157], v[158:159], v[156:157]
	v_div_scale_f64 v[158:159], vcc_lo, 1.0, v[150:151], 1.0
	v_mul_f64 v[160:161], v[158:159], v[156:157]
	v_fma_f64 v[152:153], -v[152:153], v[160:161], v[158:159]
	v_div_fmas_f64 v[152:153], v[152:153], v[156:157], v[160:161]
	v_div_fixup_f64 v[156:157], v[152:153], v[150:151], 1.0
                                        ; implicit-def: $vgpr150_vgpr151
	v_mul_f64 v[154:155], v[154:155], v[156:157]
	v_xor_b32_e32 v157, 0x80000000, v157
.LBB73_41:
	s_andn2_saveexec_b32 s1, s1
	s_cbranch_execz .LBB73_43
; %bb.42:
	v_div_scale_f64 v[154:155], null, v[150:151], v[150:151], v[152:153]
	v_div_scale_f64 v[160:161], vcc_lo, v[152:153], v[150:151], v[152:153]
	v_rcp_f64_e32 v[156:157], v[154:155]
	v_fma_f64 v[158:159], -v[154:155], v[156:157], 1.0
	v_fma_f64 v[156:157], v[156:157], v[158:159], v[156:157]
	v_fma_f64 v[158:159], -v[154:155], v[156:157], 1.0
	v_fma_f64 v[156:157], v[156:157], v[158:159], v[156:157]
	v_mul_f64 v[158:159], v[160:161], v[156:157]
	v_fma_f64 v[154:155], -v[154:155], v[158:159], v[160:161]
	v_div_fmas_f64 v[154:155], v[154:155], v[156:157], v[158:159]
	v_div_fixup_f64 v[156:157], v[154:155], v[150:151], v[152:153]
	v_fma_f64 v[150:151], v[152:153], v[156:157], v[150:151]
	v_div_scale_f64 v[152:153], null, v[150:151], v[150:151], 1.0
	v_rcp_f64_e32 v[154:155], v[152:153]
	v_fma_f64 v[158:159], -v[152:153], v[154:155], 1.0
	v_fma_f64 v[154:155], v[154:155], v[158:159], v[154:155]
	v_fma_f64 v[158:159], -v[152:153], v[154:155], 1.0
	v_fma_f64 v[154:155], v[154:155], v[158:159], v[154:155]
	v_div_scale_f64 v[158:159], vcc_lo, 1.0, v[150:151], 1.0
	v_mul_f64 v[160:161], v[158:159], v[154:155]
	v_fma_f64 v[152:153], -v[152:153], v[160:161], v[158:159]
	v_div_fmas_f64 v[152:153], v[152:153], v[154:155], v[160:161]
	v_div_fixup_f64 v[154:155], v[152:153], v[150:151], 1.0
	v_mul_f64 v[156:157], v[156:157], -v[154:155]
.LBB73_43:
	s_or_b32 exec_lo, exec_lo, s1
	ds_write2_b64 v1, v[154:155], v[156:157] offset1:1
.LBB73_44:
	s_or_b32 exec_lo, exec_lo, s2
	s_waitcnt lgkmcnt(0)
	s_barrier
	buffer_gl0_inv
	ds_read2_b64 v[150:153], v1 offset1:1
	s_mov_b32 s1, exec_lo
	s_waitcnt lgkmcnt(0)
	buffer_store_dword v150, off, s[16:19], 0 offset:136 ; 4-byte Folded Spill
	buffer_store_dword v151, off, s[16:19], 0 offset:140 ; 4-byte Folded Spill
	buffer_store_dword v152, off, s[16:19], 0 offset:144 ; 4-byte Folded Spill
	buffer_store_dword v153, off, s[16:19], 0 offset:148 ; 4-byte Folded Spill
	v_cmpx_lt_u32_e32 4, v0
	s_cbranch_execz .LBB73_46
; %bb.45:
	s_clause 0x3
	buffer_load_dword v152, off, s[16:19], 0 offset:136
	buffer_load_dword v153, off, s[16:19], 0 offset:140
	;; [unrolled: 1-line block ×4, first 2 shown]
	s_waitcnt vmcnt(0)
	v_mul_f64 v[150:151], v[154:155], v[132:133]
	v_mul_f64 v[132:133], v[152:153], v[132:133]
	v_fma_f64 v[150:151], v[152:153], v[130:131], -v[150:151]
	v_fma_f64 v[132:133], v[154:155], v[130:131], v[132:133]
	ds_read2_b64 v[152:155], v194 offset0:10 offset1:11
	s_waitcnt lgkmcnt(0)
	v_mul_f64 v[130:131], v[154:155], v[132:133]
	v_fma_f64 v[130:131], v[152:153], v[150:151], -v[130:131]
	v_mul_f64 v[152:153], v[152:153], v[132:133]
	v_add_f64 v[126:127], v[126:127], -v[130:131]
	v_fma_f64 v[152:153], v[154:155], v[150:151], v[152:153]
	v_add_f64 v[128:129], v[128:129], -v[152:153]
	ds_read2_b64 v[152:155], v194 offset0:12 offset1:13
	s_waitcnt lgkmcnt(0)
	v_mul_f64 v[130:131], v[154:155], v[132:133]
	v_fma_f64 v[130:131], v[152:153], v[150:151], -v[130:131]
	v_mul_f64 v[152:153], v[152:153], v[132:133]
	v_add_f64 v[122:123], v[122:123], -v[130:131]
	v_fma_f64 v[152:153], v[154:155], v[150:151], v[152:153]
	v_add_f64 v[124:125], v[124:125], -v[152:153]
	;; [unrolled: 8-line block ×31, first 2 shown]
	ds_read2_b64 v[152:155], v194 offset0:72 offset1:73
	s_waitcnt lgkmcnt(0)
	v_mul_f64 v[130:131], v[154:155], v[132:133]
	v_fma_f64 v[130:131], v[152:153], v[150:151], -v[130:131]
	v_mul_f64 v[152:153], v[152:153], v[132:133]
	v_add_f64 v[2:3], v[2:3], -v[130:131]
	v_fma_f64 v[152:153], v[154:155], v[150:151], v[152:153]
	v_mov_b32_e32 v130, v150
	v_mov_b32_e32 v131, v151
	v_add_f64 v[4:5], v[4:5], -v[152:153]
.LBB73_46:
	s_or_b32 exec_lo, exec_lo, s1
	s_mov_b32 s2, exec_lo
	s_waitcnt_vscnt null, 0x0
	s_barrier
	buffer_gl0_inv
	v_cmpx_eq_u32_e32 5, v0
	s_cbranch_execz .LBB73_53
; %bb.47:
	ds_write2_b64 v1, v[126:127], v[128:129] offset1:1
	ds_write2_b64 v194, v[122:123], v[124:125] offset0:12 offset1:13
	ds_write2_b64 v194, v[118:119], v[120:121] offset0:14 offset1:15
	;; [unrolled: 1-line block ×31, first 2 shown]
	ds_read2_b64 v[150:153], v1 offset1:1
	s_waitcnt lgkmcnt(0)
	v_cmp_neq_f64_e32 vcc_lo, 0, v[150:151]
	v_cmp_neq_f64_e64 s1, 0, v[152:153]
	s_or_b32 s1, vcc_lo, s1
	s_and_b32 exec_lo, exec_lo, s1
	s_cbranch_execz .LBB73_53
; %bb.48:
	v_cmp_ngt_f64_e64 s1, |v[150:151]|, |v[152:153]|
                                        ; implicit-def: $vgpr154_vgpr155
	s_and_saveexec_b32 s3, s1
	s_xor_b32 s1, exec_lo, s3
                                        ; implicit-def: $vgpr156_vgpr157
	s_cbranch_execz .LBB73_50
; %bb.49:
	v_div_scale_f64 v[154:155], null, v[152:153], v[152:153], v[150:151]
	v_div_scale_f64 v[160:161], vcc_lo, v[150:151], v[152:153], v[150:151]
	v_rcp_f64_e32 v[156:157], v[154:155]
	v_fma_f64 v[158:159], -v[154:155], v[156:157], 1.0
	v_fma_f64 v[156:157], v[156:157], v[158:159], v[156:157]
	v_fma_f64 v[158:159], -v[154:155], v[156:157], 1.0
	v_fma_f64 v[156:157], v[156:157], v[158:159], v[156:157]
	v_mul_f64 v[158:159], v[160:161], v[156:157]
	v_fma_f64 v[154:155], -v[154:155], v[158:159], v[160:161]
	v_div_fmas_f64 v[154:155], v[154:155], v[156:157], v[158:159]
	v_div_fixup_f64 v[154:155], v[154:155], v[152:153], v[150:151]
	v_fma_f64 v[150:151], v[150:151], v[154:155], v[152:153]
	v_div_scale_f64 v[152:153], null, v[150:151], v[150:151], 1.0
	v_rcp_f64_e32 v[156:157], v[152:153]
	v_fma_f64 v[158:159], -v[152:153], v[156:157], 1.0
	v_fma_f64 v[156:157], v[156:157], v[158:159], v[156:157]
	v_fma_f64 v[158:159], -v[152:153], v[156:157], 1.0
	v_fma_f64 v[156:157], v[156:157], v[158:159], v[156:157]
	v_div_scale_f64 v[158:159], vcc_lo, 1.0, v[150:151], 1.0
	v_mul_f64 v[160:161], v[158:159], v[156:157]
	v_fma_f64 v[152:153], -v[152:153], v[160:161], v[158:159]
	v_div_fmas_f64 v[152:153], v[152:153], v[156:157], v[160:161]
	v_div_fixup_f64 v[156:157], v[152:153], v[150:151], 1.0
                                        ; implicit-def: $vgpr150_vgpr151
	v_mul_f64 v[154:155], v[154:155], v[156:157]
	v_xor_b32_e32 v157, 0x80000000, v157
.LBB73_50:
	s_andn2_saveexec_b32 s1, s1
	s_cbranch_execz .LBB73_52
; %bb.51:
	v_div_scale_f64 v[154:155], null, v[150:151], v[150:151], v[152:153]
	v_div_scale_f64 v[160:161], vcc_lo, v[152:153], v[150:151], v[152:153]
	v_rcp_f64_e32 v[156:157], v[154:155]
	v_fma_f64 v[158:159], -v[154:155], v[156:157], 1.0
	v_fma_f64 v[156:157], v[156:157], v[158:159], v[156:157]
	v_fma_f64 v[158:159], -v[154:155], v[156:157], 1.0
	v_fma_f64 v[156:157], v[156:157], v[158:159], v[156:157]
	v_mul_f64 v[158:159], v[160:161], v[156:157]
	v_fma_f64 v[154:155], -v[154:155], v[158:159], v[160:161]
	v_div_fmas_f64 v[154:155], v[154:155], v[156:157], v[158:159]
	v_div_fixup_f64 v[156:157], v[154:155], v[150:151], v[152:153]
	v_fma_f64 v[150:151], v[152:153], v[156:157], v[150:151]
	v_div_scale_f64 v[152:153], null, v[150:151], v[150:151], 1.0
	v_rcp_f64_e32 v[154:155], v[152:153]
	v_fma_f64 v[158:159], -v[152:153], v[154:155], 1.0
	v_fma_f64 v[154:155], v[154:155], v[158:159], v[154:155]
	v_fma_f64 v[158:159], -v[152:153], v[154:155], 1.0
	v_fma_f64 v[154:155], v[154:155], v[158:159], v[154:155]
	v_div_scale_f64 v[158:159], vcc_lo, 1.0, v[150:151], 1.0
	v_mul_f64 v[160:161], v[158:159], v[154:155]
	v_fma_f64 v[152:153], -v[152:153], v[160:161], v[158:159]
	v_div_fmas_f64 v[152:153], v[152:153], v[154:155], v[160:161]
	v_div_fixup_f64 v[154:155], v[152:153], v[150:151], 1.0
	v_mul_f64 v[156:157], v[156:157], -v[154:155]
.LBB73_52:
	s_or_b32 exec_lo, exec_lo, s1
	ds_write2_b64 v1, v[154:155], v[156:157] offset1:1
.LBB73_53:
	s_or_b32 exec_lo, exec_lo, s2
	s_waitcnt lgkmcnt(0)
	s_barrier
	buffer_gl0_inv
	ds_read2_b64 v[150:153], v1 offset1:1
	s_mov_b32 s1, exec_lo
	s_waitcnt lgkmcnt(0)
	buffer_store_dword v150, off, s[16:19], 0 offset:152 ; 4-byte Folded Spill
	buffer_store_dword v151, off, s[16:19], 0 offset:156 ; 4-byte Folded Spill
	;; [unrolled: 1-line block ×4, first 2 shown]
	v_cmpx_lt_u32_e32 5, v0
	s_cbranch_execz .LBB73_55
; %bb.54:
	s_clause 0x3
	buffer_load_dword v152, off, s[16:19], 0 offset:152
	buffer_load_dword v153, off, s[16:19], 0 offset:156
	buffer_load_dword v154, off, s[16:19], 0 offset:160
	buffer_load_dword v155, off, s[16:19], 0 offset:164
	s_waitcnt vmcnt(0)
	v_mul_f64 v[150:151], v[154:155], v[128:129]
	v_mul_f64 v[128:129], v[152:153], v[128:129]
	v_fma_f64 v[150:151], v[152:153], v[126:127], -v[150:151]
	v_fma_f64 v[128:129], v[154:155], v[126:127], v[128:129]
	ds_read2_b64 v[152:155], v194 offset0:12 offset1:13
	s_waitcnt lgkmcnt(0)
	v_mul_f64 v[126:127], v[154:155], v[128:129]
	v_fma_f64 v[126:127], v[152:153], v[150:151], -v[126:127]
	v_mul_f64 v[152:153], v[152:153], v[128:129]
	v_add_f64 v[122:123], v[122:123], -v[126:127]
	v_fma_f64 v[152:153], v[154:155], v[150:151], v[152:153]
	v_add_f64 v[124:125], v[124:125], -v[152:153]
	ds_read2_b64 v[152:155], v194 offset0:14 offset1:15
	s_waitcnt lgkmcnt(0)
	v_mul_f64 v[126:127], v[154:155], v[128:129]
	v_fma_f64 v[126:127], v[152:153], v[150:151], -v[126:127]
	v_mul_f64 v[152:153], v[152:153], v[128:129]
	v_add_f64 v[118:119], v[118:119], -v[126:127]
	v_fma_f64 v[152:153], v[154:155], v[150:151], v[152:153]
	v_add_f64 v[120:121], v[120:121], -v[152:153]
	;; [unrolled: 8-line block ×30, first 2 shown]
	ds_read2_b64 v[152:155], v194 offset0:72 offset1:73
	s_waitcnt lgkmcnt(0)
	v_mul_f64 v[126:127], v[154:155], v[128:129]
	v_fma_f64 v[126:127], v[152:153], v[150:151], -v[126:127]
	v_mul_f64 v[152:153], v[152:153], v[128:129]
	v_add_f64 v[2:3], v[2:3], -v[126:127]
	v_fma_f64 v[152:153], v[154:155], v[150:151], v[152:153]
	v_mov_b32_e32 v126, v150
	v_mov_b32_e32 v127, v151
	v_add_f64 v[4:5], v[4:5], -v[152:153]
.LBB73_55:
	s_or_b32 exec_lo, exec_lo, s1
	s_mov_b32 s2, exec_lo
	s_waitcnt_vscnt null, 0x0
	s_barrier
	buffer_gl0_inv
	v_cmpx_eq_u32_e32 6, v0
	s_cbranch_execz .LBB73_62
; %bb.56:
	ds_write2_b64 v1, v[122:123], v[124:125] offset1:1
	ds_write2_b64 v194, v[118:119], v[120:121] offset0:14 offset1:15
	ds_write2_b64 v194, v[114:115], v[116:117] offset0:16 offset1:17
	;; [unrolled: 1-line block ×30, first 2 shown]
	ds_read2_b64 v[150:153], v1 offset1:1
	s_waitcnt lgkmcnt(0)
	v_cmp_neq_f64_e32 vcc_lo, 0, v[150:151]
	v_cmp_neq_f64_e64 s1, 0, v[152:153]
	s_or_b32 s1, vcc_lo, s1
	s_and_b32 exec_lo, exec_lo, s1
	s_cbranch_execz .LBB73_62
; %bb.57:
	v_cmp_ngt_f64_e64 s1, |v[150:151]|, |v[152:153]|
                                        ; implicit-def: $vgpr154_vgpr155
	s_and_saveexec_b32 s3, s1
	s_xor_b32 s1, exec_lo, s3
                                        ; implicit-def: $vgpr156_vgpr157
	s_cbranch_execz .LBB73_59
; %bb.58:
	v_div_scale_f64 v[154:155], null, v[152:153], v[152:153], v[150:151]
	v_div_scale_f64 v[160:161], vcc_lo, v[150:151], v[152:153], v[150:151]
	v_rcp_f64_e32 v[156:157], v[154:155]
	v_fma_f64 v[158:159], -v[154:155], v[156:157], 1.0
	v_fma_f64 v[156:157], v[156:157], v[158:159], v[156:157]
	v_fma_f64 v[158:159], -v[154:155], v[156:157], 1.0
	v_fma_f64 v[156:157], v[156:157], v[158:159], v[156:157]
	v_mul_f64 v[158:159], v[160:161], v[156:157]
	v_fma_f64 v[154:155], -v[154:155], v[158:159], v[160:161]
	v_div_fmas_f64 v[154:155], v[154:155], v[156:157], v[158:159]
	v_div_fixup_f64 v[154:155], v[154:155], v[152:153], v[150:151]
	v_fma_f64 v[150:151], v[150:151], v[154:155], v[152:153]
	v_div_scale_f64 v[152:153], null, v[150:151], v[150:151], 1.0
	v_rcp_f64_e32 v[156:157], v[152:153]
	v_fma_f64 v[158:159], -v[152:153], v[156:157], 1.0
	v_fma_f64 v[156:157], v[156:157], v[158:159], v[156:157]
	v_fma_f64 v[158:159], -v[152:153], v[156:157], 1.0
	v_fma_f64 v[156:157], v[156:157], v[158:159], v[156:157]
	v_div_scale_f64 v[158:159], vcc_lo, 1.0, v[150:151], 1.0
	v_mul_f64 v[160:161], v[158:159], v[156:157]
	v_fma_f64 v[152:153], -v[152:153], v[160:161], v[158:159]
	v_div_fmas_f64 v[152:153], v[152:153], v[156:157], v[160:161]
	v_div_fixup_f64 v[156:157], v[152:153], v[150:151], 1.0
                                        ; implicit-def: $vgpr150_vgpr151
	v_mul_f64 v[154:155], v[154:155], v[156:157]
	v_xor_b32_e32 v157, 0x80000000, v157
.LBB73_59:
	s_andn2_saveexec_b32 s1, s1
	s_cbranch_execz .LBB73_61
; %bb.60:
	v_div_scale_f64 v[154:155], null, v[150:151], v[150:151], v[152:153]
	v_div_scale_f64 v[160:161], vcc_lo, v[152:153], v[150:151], v[152:153]
	v_rcp_f64_e32 v[156:157], v[154:155]
	v_fma_f64 v[158:159], -v[154:155], v[156:157], 1.0
	v_fma_f64 v[156:157], v[156:157], v[158:159], v[156:157]
	v_fma_f64 v[158:159], -v[154:155], v[156:157], 1.0
	v_fma_f64 v[156:157], v[156:157], v[158:159], v[156:157]
	v_mul_f64 v[158:159], v[160:161], v[156:157]
	v_fma_f64 v[154:155], -v[154:155], v[158:159], v[160:161]
	v_div_fmas_f64 v[154:155], v[154:155], v[156:157], v[158:159]
	v_div_fixup_f64 v[156:157], v[154:155], v[150:151], v[152:153]
	v_fma_f64 v[150:151], v[152:153], v[156:157], v[150:151]
	v_div_scale_f64 v[152:153], null, v[150:151], v[150:151], 1.0
	v_rcp_f64_e32 v[154:155], v[152:153]
	v_fma_f64 v[158:159], -v[152:153], v[154:155], 1.0
	v_fma_f64 v[154:155], v[154:155], v[158:159], v[154:155]
	v_fma_f64 v[158:159], -v[152:153], v[154:155], 1.0
	v_fma_f64 v[154:155], v[154:155], v[158:159], v[154:155]
	v_div_scale_f64 v[158:159], vcc_lo, 1.0, v[150:151], 1.0
	v_mul_f64 v[160:161], v[158:159], v[154:155]
	v_fma_f64 v[152:153], -v[152:153], v[160:161], v[158:159]
	v_div_fmas_f64 v[152:153], v[152:153], v[154:155], v[160:161]
	v_div_fixup_f64 v[154:155], v[152:153], v[150:151], 1.0
	v_mul_f64 v[156:157], v[156:157], -v[154:155]
.LBB73_61:
	s_or_b32 exec_lo, exec_lo, s1
	ds_write2_b64 v1, v[154:155], v[156:157] offset1:1
.LBB73_62:
	s_or_b32 exec_lo, exec_lo, s2
	s_waitcnt lgkmcnt(0)
	s_barrier
	buffer_gl0_inv
	ds_read2_b64 v[150:153], v1 offset1:1
	s_mov_b32 s1, exec_lo
	s_waitcnt lgkmcnt(0)
	buffer_store_dword v150, off, s[16:19], 0 offset:168 ; 4-byte Folded Spill
	buffer_store_dword v151, off, s[16:19], 0 offset:172 ; 4-byte Folded Spill
	;; [unrolled: 1-line block ×4, first 2 shown]
	v_cmpx_lt_u32_e32 6, v0
	s_cbranch_execz .LBB73_64
; %bb.63:
	s_clause 0x3
	buffer_load_dword v152, off, s[16:19], 0 offset:168
	buffer_load_dword v153, off, s[16:19], 0 offset:172
	buffer_load_dword v154, off, s[16:19], 0 offset:176
	buffer_load_dword v155, off, s[16:19], 0 offset:180
	s_waitcnt vmcnt(0)
	v_mul_f64 v[150:151], v[154:155], v[124:125]
	v_mul_f64 v[124:125], v[152:153], v[124:125]
	v_fma_f64 v[150:151], v[152:153], v[122:123], -v[150:151]
	v_fma_f64 v[124:125], v[154:155], v[122:123], v[124:125]
	ds_read2_b64 v[152:155], v194 offset0:14 offset1:15
	s_waitcnt lgkmcnt(0)
	v_mul_f64 v[122:123], v[154:155], v[124:125]
	v_fma_f64 v[122:123], v[152:153], v[150:151], -v[122:123]
	v_mul_f64 v[152:153], v[152:153], v[124:125]
	v_add_f64 v[118:119], v[118:119], -v[122:123]
	v_fma_f64 v[152:153], v[154:155], v[150:151], v[152:153]
	v_add_f64 v[120:121], v[120:121], -v[152:153]
	ds_read2_b64 v[152:155], v194 offset0:16 offset1:17
	s_waitcnt lgkmcnt(0)
	v_mul_f64 v[122:123], v[154:155], v[124:125]
	v_fma_f64 v[122:123], v[152:153], v[150:151], -v[122:123]
	v_mul_f64 v[152:153], v[152:153], v[124:125]
	v_add_f64 v[114:115], v[114:115], -v[122:123]
	v_fma_f64 v[152:153], v[154:155], v[150:151], v[152:153]
	v_add_f64 v[116:117], v[116:117], -v[152:153]
	;; [unrolled: 8-line block ×29, first 2 shown]
	ds_read2_b64 v[152:155], v194 offset0:72 offset1:73
	s_waitcnt lgkmcnt(0)
	v_mul_f64 v[122:123], v[154:155], v[124:125]
	v_fma_f64 v[122:123], v[152:153], v[150:151], -v[122:123]
	v_mul_f64 v[152:153], v[152:153], v[124:125]
	v_add_f64 v[2:3], v[2:3], -v[122:123]
	v_fma_f64 v[152:153], v[154:155], v[150:151], v[152:153]
	v_mov_b32_e32 v122, v150
	v_mov_b32_e32 v123, v151
	v_add_f64 v[4:5], v[4:5], -v[152:153]
.LBB73_64:
	s_or_b32 exec_lo, exec_lo, s1
	s_mov_b32 s2, exec_lo
	s_waitcnt_vscnt null, 0x0
	s_barrier
	buffer_gl0_inv
	v_cmpx_eq_u32_e32 7, v0
	s_cbranch_execz .LBB73_71
; %bb.65:
	ds_write2_b64 v1, v[118:119], v[120:121] offset1:1
	ds_write2_b64 v194, v[114:115], v[116:117] offset0:16 offset1:17
	ds_write2_b64 v194, v[110:111], v[112:113] offset0:18 offset1:19
	;; [unrolled: 1-line block ×29, first 2 shown]
	ds_read2_b64 v[150:153], v1 offset1:1
	s_waitcnt lgkmcnt(0)
	v_cmp_neq_f64_e32 vcc_lo, 0, v[150:151]
	v_cmp_neq_f64_e64 s1, 0, v[152:153]
	s_or_b32 s1, vcc_lo, s1
	s_and_b32 exec_lo, exec_lo, s1
	s_cbranch_execz .LBB73_71
; %bb.66:
	v_cmp_ngt_f64_e64 s1, |v[150:151]|, |v[152:153]|
                                        ; implicit-def: $vgpr154_vgpr155
	s_and_saveexec_b32 s3, s1
	s_xor_b32 s1, exec_lo, s3
                                        ; implicit-def: $vgpr156_vgpr157
	s_cbranch_execz .LBB73_68
; %bb.67:
	v_div_scale_f64 v[154:155], null, v[152:153], v[152:153], v[150:151]
	v_div_scale_f64 v[160:161], vcc_lo, v[150:151], v[152:153], v[150:151]
	v_rcp_f64_e32 v[156:157], v[154:155]
	v_fma_f64 v[158:159], -v[154:155], v[156:157], 1.0
	v_fma_f64 v[156:157], v[156:157], v[158:159], v[156:157]
	v_fma_f64 v[158:159], -v[154:155], v[156:157], 1.0
	v_fma_f64 v[156:157], v[156:157], v[158:159], v[156:157]
	v_mul_f64 v[158:159], v[160:161], v[156:157]
	v_fma_f64 v[154:155], -v[154:155], v[158:159], v[160:161]
	v_div_fmas_f64 v[154:155], v[154:155], v[156:157], v[158:159]
	v_div_fixup_f64 v[154:155], v[154:155], v[152:153], v[150:151]
	v_fma_f64 v[150:151], v[150:151], v[154:155], v[152:153]
	v_div_scale_f64 v[152:153], null, v[150:151], v[150:151], 1.0
	v_rcp_f64_e32 v[156:157], v[152:153]
	v_fma_f64 v[158:159], -v[152:153], v[156:157], 1.0
	v_fma_f64 v[156:157], v[156:157], v[158:159], v[156:157]
	v_fma_f64 v[158:159], -v[152:153], v[156:157], 1.0
	v_fma_f64 v[156:157], v[156:157], v[158:159], v[156:157]
	v_div_scale_f64 v[158:159], vcc_lo, 1.0, v[150:151], 1.0
	v_mul_f64 v[160:161], v[158:159], v[156:157]
	v_fma_f64 v[152:153], -v[152:153], v[160:161], v[158:159]
	v_div_fmas_f64 v[152:153], v[152:153], v[156:157], v[160:161]
	v_div_fixup_f64 v[156:157], v[152:153], v[150:151], 1.0
                                        ; implicit-def: $vgpr150_vgpr151
	v_mul_f64 v[154:155], v[154:155], v[156:157]
	v_xor_b32_e32 v157, 0x80000000, v157
.LBB73_68:
	s_andn2_saveexec_b32 s1, s1
	s_cbranch_execz .LBB73_70
; %bb.69:
	v_div_scale_f64 v[154:155], null, v[150:151], v[150:151], v[152:153]
	v_div_scale_f64 v[160:161], vcc_lo, v[152:153], v[150:151], v[152:153]
	v_rcp_f64_e32 v[156:157], v[154:155]
	v_fma_f64 v[158:159], -v[154:155], v[156:157], 1.0
	v_fma_f64 v[156:157], v[156:157], v[158:159], v[156:157]
	v_fma_f64 v[158:159], -v[154:155], v[156:157], 1.0
	v_fma_f64 v[156:157], v[156:157], v[158:159], v[156:157]
	v_mul_f64 v[158:159], v[160:161], v[156:157]
	v_fma_f64 v[154:155], -v[154:155], v[158:159], v[160:161]
	v_div_fmas_f64 v[154:155], v[154:155], v[156:157], v[158:159]
	v_div_fixup_f64 v[156:157], v[154:155], v[150:151], v[152:153]
	v_fma_f64 v[150:151], v[152:153], v[156:157], v[150:151]
	v_div_scale_f64 v[152:153], null, v[150:151], v[150:151], 1.0
	v_rcp_f64_e32 v[154:155], v[152:153]
	v_fma_f64 v[158:159], -v[152:153], v[154:155], 1.0
	v_fma_f64 v[154:155], v[154:155], v[158:159], v[154:155]
	v_fma_f64 v[158:159], -v[152:153], v[154:155], 1.0
	v_fma_f64 v[154:155], v[154:155], v[158:159], v[154:155]
	v_div_scale_f64 v[158:159], vcc_lo, 1.0, v[150:151], 1.0
	v_mul_f64 v[160:161], v[158:159], v[154:155]
	v_fma_f64 v[152:153], -v[152:153], v[160:161], v[158:159]
	v_div_fmas_f64 v[152:153], v[152:153], v[154:155], v[160:161]
	v_div_fixup_f64 v[154:155], v[152:153], v[150:151], 1.0
	v_mul_f64 v[156:157], v[156:157], -v[154:155]
.LBB73_70:
	s_or_b32 exec_lo, exec_lo, s1
	ds_write2_b64 v1, v[154:155], v[156:157] offset1:1
.LBB73_71:
	s_or_b32 exec_lo, exec_lo, s2
	s_waitcnt lgkmcnt(0)
	s_barrier
	buffer_gl0_inv
	ds_read2_b64 v[150:153], v1 offset1:1
	s_mov_b32 s1, exec_lo
	s_waitcnt lgkmcnt(0)
	buffer_store_dword v150, off, s[16:19], 0 offset:184 ; 4-byte Folded Spill
	buffer_store_dword v151, off, s[16:19], 0 offset:188 ; 4-byte Folded Spill
	;; [unrolled: 1-line block ×4, first 2 shown]
	v_cmpx_lt_u32_e32 7, v0
	s_cbranch_execz .LBB73_73
; %bb.72:
	s_clause 0x3
	buffer_load_dword v152, off, s[16:19], 0 offset:184
	buffer_load_dword v153, off, s[16:19], 0 offset:188
	;; [unrolled: 1-line block ×4, first 2 shown]
	s_waitcnt vmcnt(0)
	v_mul_f64 v[150:151], v[154:155], v[120:121]
	v_mul_f64 v[120:121], v[152:153], v[120:121]
	v_fma_f64 v[150:151], v[152:153], v[118:119], -v[150:151]
	v_fma_f64 v[120:121], v[154:155], v[118:119], v[120:121]
	ds_read2_b64 v[152:155], v194 offset0:16 offset1:17
	s_waitcnt lgkmcnt(0)
	v_mul_f64 v[118:119], v[154:155], v[120:121]
	v_fma_f64 v[118:119], v[152:153], v[150:151], -v[118:119]
	v_mul_f64 v[152:153], v[152:153], v[120:121]
	v_add_f64 v[114:115], v[114:115], -v[118:119]
	v_fma_f64 v[152:153], v[154:155], v[150:151], v[152:153]
	v_add_f64 v[116:117], v[116:117], -v[152:153]
	ds_read2_b64 v[152:155], v194 offset0:18 offset1:19
	s_waitcnt lgkmcnt(0)
	v_mul_f64 v[118:119], v[154:155], v[120:121]
	v_fma_f64 v[118:119], v[152:153], v[150:151], -v[118:119]
	v_mul_f64 v[152:153], v[152:153], v[120:121]
	v_add_f64 v[110:111], v[110:111], -v[118:119]
	v_fma_f64 v[152:153], v[154:155], v[150:151], v[152:153]
	v_add_f64 v[112:113], v[112:113], -v[152:153]
	;; [unrolled: 8-line block ×28, first 2 shown]
	ds_read2_b64 v[152:155], v194 offset0:72 offset1:73
	s_waitcnt lgkmcnt(0)
	v_mul_f64 v[118:119], v[154:155], v[120:121]
	v_fma_f64 v[118:119], v[152:153], v[150:151], -v[118:119]
	v_mul_f64 v[152:153], v[152:153], v[120:121]
	v_add_f64 v[2:3], v[2:3], -v[118:119]
	v_fma_f64 v[152:153], v[154:155], v[150:151], v[152:153]
	v_mov_b32_e32 v118, v150
	v_mov_b32_e32 v119, v151
	v_add_f64 v[4:5], v[4:5], -v[152:153]
.LBB73_73:
	s_or_b32 exec_lo, exec_lo, s1
	s_mov_b32 s2, exec_lo
	s_waitcnt_vscnt null, 0x0
	s_barrier
	buffer_gl0_inv
	v_cmpx_eq_u32_e32 8, v0
	s_cbranch_execz .LBB73_80
; %bb.74:
	ds_write2_b64 v1, v[114:115], v[116:117] offset1:1
	ds_write2_b64 v194, v[110:111], v[112:113] offset0:18 offset1:19
	ds_write2_b64 v194, v[106:107], v[108:109] offset0:20 offset1:21
	;; [unrolled: 1-line block ×28, first 2 shown]
	ds_read2_b64 v[150:153], v1 offset1:1
	s_waitcnt lgkmcnt(0)
	v_cmp_neq_f64_e32 vcc_lo, 0, v[150:151]
	v_cmp_neq_f64_e64 s1, 0, v[152:153]
	s_or_b32 s1, vcc_lo, s1
	s_and_b32 exec_lo, exec_lo, s1
	s_cbranch_execz .LBB73_80
; %bb.75:
	v_cmp_ngt_f64_e64 s1, |v[150:151]|, |v[152:153]|
                                        ; implicit-def: $vgpr154_vgpr155
	s_and_saveexec_b32 s3, s1
	s_xor_b32 s1, exec_lo, s3
                                        ; implicit-def: $vgpr156_vgpr157
	s_cbranch_execz .LBB73_77
; %bb.76:
	v_div_scale_f64 v[154:155], null, v[152:153], v[152:153], v[150:151]
	v_div_scale_f64 v[160:161], vcc_lo, v[150:151], v[152:153], v[150:151]
	v_rcp_f64_e32 v[156:157], v[154:155]
	v_fma_f64 v[158:159], -v[154:155], v[156:157], 1.0
	v_fma_f64 v[156:157], v[156:157], v[158:159], v[156:157]
	v_fma_f64 v[158:159], -v[154:155], v[156:157], 1.0
	v_fma_f64 v[156:157], v[156:157], v[158:159], v[156:157]
	v_mul_f64 v[158:159], v[160:161], v[156:157]
	v_fma_f64 v[154:155], -v[154:155], v[158:159], v[160:161]
	v_div_fmas_f64 v[154:155], v[154:155], v[156:157], v[158:159]
	v_div_fixup_f64 v[154:155], v[154:155], v[152:153], v[150:151]
	v_fma_f64 v[150:151], v[150:151], v[154:155], v[152:153]
	v_div_scale_f64 v[152:153], null, v[150:151], v[150:151], 1.0
	v_rcp_f64_e32 v[156:157], v[152:153]
	v_fma_f64 v[158:159], -v[152:153], v[156:157], 1.0
	v_fma_f64 v[156:157], v[156:157], v[158:159], v[156:157]
	v_fma_f64 v[158:159], -v[152:153], v[156:157], 1.0
	v_fma_f64 v[156:157], v[156:157], v[158:159], v[156:157]
	v_div_scale_f64 v[158:159], vcc_lo, 1.0, v[150:151], 1.0
	v_mul_f64 v[160:161], v[158:159], v[156:157]
	v_fma_f64 v[152:153], -v[152:153], v[160:161], v[158:159]
	v_div_fmas_f64 v[152:153], v[152:153], v[156:157], v[160:161]
	v_div_fixup_f64 v[156:157], v[152:153], v[150:151], 1.0
                                        ; implicit-def: $vgpr150_vgpr151
	v_mul_f64 v[154:155], v[154:155], v[156:157]
	v_xor_b32_e32 v157, 0x80000000, v157
.LBB73_77:
	s_andn2_saveexec_b32 s1, s1
	s_cbranch_execz .LBB73_79
; %bb.78:
	v_div_scale_f64 v[154:155], null, v[150:151], v[150:151], v[152:153]
	v_div_scale_f64 v[160:161], vcc_lo, v[152:153], v[150:151], v[152:153]
	v_rcp_f64_e32 v[156:157], v[154:155]
	v_fma_f64 v[158:159], -v[154:155], v[156:157], 1.0
	v_fma_f64 v[156:157], v[156:157], v[158:159], v[156:157]
	v_fma_f64 v[158:159], -v[154:155], v[156:157], 1.0
	v_fma_f64 v[156:157], v[156:157], v[158:159], v[156:157]
	v_mul_f64 v[158:159], v[160:161], v[156:157]
	v_fma_f64 v[154:155], -v[154:155], v[158:159], v[160:161]
	v_div_fmas_f64 v[154:155], v[154:155], v[156:157], v[158:159]
	v_div_fixup_f64 v[156:157], v[154:155], v[150:151], v[152:153]
	v_fma_f64 v[150:151], v[152:153], v[156:157], v[150:151]
	v_div_scale_f64 v[152:153], null, v[150:151], v[150:151], 1.0
	v_rcp_f64_e32 v[154:155], v[152:153]
	v_fma_f64 v[158:159], -v[152:153], v[154:155], 1.0
	v_fma_f64 v[154:155], v[154:155], v[158:159], v[154:155]
	v_fma_f64 v[158:159], -v[152:153], v[154:155], 1.0
	v_fma_f64 v[154:155], v[154:155], v[158:159], v[154:155]
	v_div_scale_f64 v[158:159], vcc_lo, 1.0, v[150:151], 1.0
	v_mul_f64 v[160:161], v[158:159], v[154:155]
	v_fma_f64 v[152:153], -v[152:153], v[160:161], v[158:159]
	v_div_fmas_f64 v[152:153], v[152:153], v[154:155], v[160:161]
	v_div_fixup_f64 v[154:155], v[152:153], v[150:151], 1.0
	v_mul_f64 v[156:157], v[156:157], -v[154:155]
.LBB73_79:
	s_or_b32 exec_lo, exec_lo, s1
	ds_write2_b64 v1, v[154:155], v[156:157] offset1:1
.LBB73_80:
	s_or_b32 exec_lo, exec_lo, s2
	s_waitcnt lgkmcnt(0)
	s_barrier
	buffer_gl0_inv
	ds_read2_b64 v[150:153], v1 offset1:1
	s_mov_b32 s1, exec_lo
	s_waitcnt lgkmcnt(0)
	buffer_store_dword v150, off, s[16:19], 0 offset:200 ; 4-byte Folded Spill
	buffer_store_dword v151, off, s[16:19], 0 offset:204 ; 4-byte Folded Spill
	;; [unrolled: 1-line block ×4, first 2 shown]
	v_cmpx_lt_u32_e32 8, v0
	s_cbranch_execz .LBB73_82
; %bb.81:
	s_clause 0x3
	buffer_load_dword v152, off, s[16:19], 0 offset:200
	buffer_load_dword v153, off, s[16:19], 0 offset:204
	;; [unrolled: 1-line block ×4, first 2 shown]
	s_waitcnt vmcnt(0)
	v_mul_f64 v[150:151], v[154:155], v[116:117]
	v_mul_f64 v[116:117], v[152:153], v[116:117]
	v_fma_f64 v[150:151], v[152:153], v[114:115], -v[150:151]
	v_fma_f64 v[116:117], v[154:155], v[114:115], v[116:117]
	ds_read2_b64 v[152:155], v194 offset0:18 offset1:19
	s_waitcnt lgkmcnt(0)
	v_mul_f64 v[114:115], v[154:155], v[116:117]
	v_fma_f64 v[114:115], v[152:153], v[150:151], -v[114:115]
	v_mul_f64 v[152:153], v[152:153], v[116:117]
	v_add_f64 v[110:111], v[110:111], -v[114:115]
	v_fma_f64 v[152:153], v[154:155], v[150:151], v[152:153]
	v_add_f64 v[112:113], v[112:113], -v[152:153]
	ds_read2_b64 v[152:155], v194 offset0:20 offset1:21
	s_waitcnt lgkmcnt(0)
	v_mul_f64 v[114:115], v[154:155], v[116:117]
	v_fma_f64 v[114:115], v[152:153], v[150:151], -v[114:115]
	v_mul_f64 v[152:153], v[152:153], v[116:117]
	v_add_f64 v[106:107], v[106:107], -v[114:115]
	v_fma_f64 v[152:153], v[154:155], v[150:151], v[152:153]
	v_add_f64 v[108:109], v[108:109], -v[152:153]
	;; [unrolled: 8-line block ×27, first 2 shown]
	ds_read2_b64 v[152:155], v194 offset0:72 offset1:73
	s_waitcnt lgkmcnt(0)
	v_mul_f64 v[114:115], v[154:155], v[116:117]
	v_fma_f64 v[114:115], v[152:153], v[150:151], -v[114:115]
	v_mul_f64 v[152:153], v[152:153], v[116:117]
	v_add_f64 v[2:3], v[2:3], -v[114:115]
	v_fma_f64 v[152:153], v[154:155], v[150:151], v[152:153]
	v_mov_b32_e32 v114, v150
	v_mov_b32_e32 v115, v151
	v_add_f64 v[4:5], v[4:5], -v[152:153]
.LBB73_82:
	s_or_b32 exec_lo, exec_lo, s1
	s_mov_b32 s2, exec_lo
	s_waitcnt_vscnt null, 0x0
	s_barrier
	buffer_gl0_inv
	v_cmpx_eq_u32_e32 9, v0
	s_cbranch_execz .LBB73_89
; %bb.83:
	ds_write2_b64 v1, v[110:111], v[112:113] offset1:1
	ds_write2_b64 v194, v[106:107], v[108:109] offset0:20 offset1:21
	ds_write2_b64 v194, v[102:103], v[104:105] offset0:22 offset1:23
	;; [unrolled: 1-line block ×27, first 2 shown]
	ds_read2_b64 v[150:153], v1 offset1:1
	s_waitcnt lgkmcnt(0)
	v_cmp_neq_f64_e32 vcc_lo, 0, v[150:151]
	v_cmp_neq_f64_e64 s1, 0, v[152:153]
	s_or_b32 s1, vcc_lo, s1
	s_and_b32 exec_lo, exec_lo, s1
	s_cbranch_execz .LBB73_89
; %bb.84:
	v_cmp_ngt_f64_e64 s1, |v[150:151]|, |v[152:153]|
                                        ; implicit-def: $vgpr154_vgpr155
	s_and_saveexec_b32 s3, s1
	s_xor_b32 s1, exec_lo, s3
                                        ; implicit-def: $vgpr156_vgpr157
	s_cbranch_execz .LBB73_86
; %bb.85:
	v_div_scale_f64 v[154:155], null, v[152:153], v[152:153], v[150:151]
	v_div_scale_f64 v[160:161], vcc_lo, v[150:151], v[152:153], v[150:151]
	v_rcp_f64_e32 v[156:157], v[154:155]
	v_fma_f64 v[158:159], -v[154:155], v[156:157], 1.0
	v_fma_f64 v[156:157], v[156:157], v[158:159], v[156:157]
	v_fma_f64 v[158:159], -v[154:155], v[156:157], 1.0
	v_fma_f64 v[156:157], v[156:157], v[158:159], v[156:157]
	v_mul_f64 v[158:159], v[160:161], v[156:157]
	v_fma_f64 v[154:155], -v[154:155], v[158:159], v[160:161]
	v_div_fmas_f64 v[154:155], v[154:155], v[156:157], v[158:159]
	v_div_fixup_f64 v[154:155], v[154:155], v[152:153], v[150:151]
	v_fma_f64 v[150:151], v[150:151], v[154:155], v[152:153]
	v_div_scale_f64 v[152:153], null, v[150:151], v[150:151], 1.0
	v_rcp_f64_e32 v[156:157], v[152:153]
	v_fma_f64 v[158:159], -v[152:153], v[156:157], 1.0
	v_fma_f64 v[156:157], v[156:157], v[158:159], v[156:157]
	v_fma_f64 v[158:159], -v[152:153], v[156:157], 1.0
	v_fma_f64 v[156:157], v[156:157], v[158:159], v[156:157]
	v_div_scale_f64 v[158:159], vcc_lo, 1.0, v[150:151], 1.0
	v_mul_f64 v[160:161], v[158:159], v[156:157]
	v_fma_f64 v[152:153], -v[152:153], v[160:161], v[158:159]
	v_div_fmas_f64 v[152:153], v[152:153], v[156:157], v[160:161]
	v_div_fixup_f64 v[156:157], v[152:153], v[150:151], 1.0
                                        ; implicit-def: $vgpr150_vgpr151
	v_mul_f64 v[154:155], v[154:155], v[156:157]
	v_xor_b32_e32 v157, 0x80000000, v157
.LBB73_86:
	s_andn2_saveexec_b32 s1, s1
	s_cbranch_execz .LBB73_88
; %bb.87:
	v_div_scale_f64 v[154:155], null, v[150:151], v[150:151], v[152:153]
	v_div_scale_f64 v[160:161], vcc_lo, v[152:153], v[150:151], v[152:153]
	v_rcp_f64_e32 v[156:157], v[154:155]
	v_fma_f64 v[158:159], -v[154:155], v[156:157], 1.0
	v_fma_f64 v[156:157], v[156:157], v[158:159], v[156:157]
	v_fma_f64 v[158:159], -v[154:155], v[156:157], 1.0
	v_fma_f64 v[156:157], v[156:157], v[158:159], v[156:157]
	v_mul_f64 v[158:159], v[160:161], v[156:157]
	v_fma_f64 v[154:155], -v[154:155], v[158:159], v[160:161]
	v_div_fmas_f64 v[154:155], v[154:155], v[156:157], v[158:159]
	v_div_fixup_f64 v[156:157], v[154:155], v[150:151], v[152:153]
	v_fma_f64 v[150:151], v[152:153], v[156:157], v[150:151]
	v_div_scale_f64 v[152:153], null, v[150:151], v[150:151], 1.0
	v_rcp_f64_e32 v[154:155], v[152:153]
	v_fma_f64 v[158:159], -v[152:153], v[154:155], 1.0
	v_fma_f64 v[154:155], v[154:155], v[158:159], v[154:155]
	v_fma_f64 v[158:159], -v[152:153], v[154:155], 1.0
	v_fma_f64 v[154:155], v[154:155], v[158:159], v[154:155]
	v_div_scale_f64 v[158:159], vcc_lo, 1.0, v[150:151], 1.0
	v_mul_f64 v[160:161], v[158:159], v[154:155]
	v_fma_f64 v[152:153], -v[152:153], v[160:161], v[158:159]
	v_div_fmas_f64 v[152:153], v[152:153], v[154:155], v[160:161]
	v_div_fixup_f64 v[154:155], v[152:153], v[150:151], 1.0
	v_mul_f64 v[156:157], v[156:157], -v[154:155]
.LBB73_88:
	s_or_b32 exec_lo, exec_lo, s1
	ds_write2_b64 v1, v[154:155], v[156:157] offset1:1
.LBB73_89:
	s_or_b32 exec_lo, exec_lo, s2
	s_waitcnt lgkmcnt(0)
	s_barrier
	buffer_gl0_inv
	ds_read2_b64 v[150:153], v1 offset1:1
	s_mov_b32 s1, exec_lo
	s_waitcnt lgkmcnt(0)
	buffer_store_dword v150, off, s[16:19], 0 offset:216 ; 4-byte Folded Spill
	buffer_store_dword v151, off, s[16:19], 0 offset:220 ; 4-byte Folded Spill
	;; [unrolled: 1-line block ×4, first 2 shown]
	v_cmpx_lt_u32_e32 9, v0
	s_cbranch_execz .LBB73_91
; %bb.90:
	s_clause 0x3
	buffer_load_dword v152, off, s[16:19], 0 offset:216
	buffer_load_dword v153, off, s[16:19], 0 offset:220
	;; [unrolled: 1-line block ×4, first 2 shown]
	s_waitcnt vmcnt(0)
	v_mul_f64 v[150:151], v[154:155], v[112:113]
	v_mul_f64 v[112:113], v[152:153], v[112:113]
	v_fma_f64 v[150:151], v[152:153], v[110:111], -v[150:151]
	v_fma_f64 v[112:113], v[154:155], v[110:111], v[112:113]
	ds_read2_b64 v[152:155], v194 offset0:20 offset1:21
	s_waitcnt lgkmcnt(0)
	v_mul_f64 v[110:111], v[154:155], v[112:113]
	v_fma_f64 v[110:111], v[152:153], v[150:151], -v[110:111]
	v_mul_f64 v[152:153], v[152:153], v[112:113]
	v_add_f64 v[106:107], v[106:107], -v[110:111]
	v_fma_f64 v[152:153], v[154:155], v[150:151], v[152:153]
	v_add_f64 v[108:109], v[108:109], -v[152:153]
	ds_read2_b64 v[152:155], v194 offset0:22 offset1:23
	s_waitcnt lgkmcnt(0)
	v_mul_f64 v[110:111], v[154:155], v[112:113]
	v_fma_f64 v[110:111], v[152:153], v[150:151], -v[110:111]
	v_mul_f64 v[152:153], v[152:153], v[112:113]
	v_add_f64 v[102:103], v[102:103], -v[110:111]
	v_fma_f64 v[152:153], v[154:155], v[150:151], v[152:153]
	v_add_f64 v[104:105], v[104:105], -v[152:153]
	;; [unrolled: 8-line block ×26, first 2 shown]
	ds_read2_b64 v[152:155], v194 offset0:72 offset1:73
	s_waitcnt lgkmcnt(0)
	v_mul_f64 v[110:111], v[154:155], v[112:113]
	v_fma_f64 v[110:111], v[152:153], v[150:151], -v[110:111]
	v_mul_f64 v[152:153], v[152:153], v[112:113]
	v_add_f64 v[2:3], v[2:3], -v[110:111]
	v_fma_f64 v[152:153], v[154:155], v[150:151], v[152:153]
	v_mov_b32_e32 v110, v150
	v_mov_b32_e32 v111, v151
	v_add_f64 v[4:5], v[4:5], -v[152:153]
.LBB73_91:
	s_or_b32 exec_lo, exec_lo, s1
	s_mov_b32 s2, exec_lo
	s_waitcnt_vscnt null, 0x0
	s_barrier
	buffer_gl0_inv
	v_cmpx_eq_u32_e32 10, v0
	s_cbranch_execz .LBB73_98
; %bb.92:
	ds_write2_b64 v1, v[106:107], v[108:109] offset1:1
	ds_write2_b64 v194, v[102:103], v[104:105] offset0:22 offset1:23
	ds_write2_b64 v194, v[98:99], v[100:101] offset0:24 offset1:25
	;; [unrolled: 1-line block ×26, first 2 shown]
	ds_read2_b64 v[150:153], v1 offset1:1
	s_waitcnt lgkmcnt(0)
	v_cmp_neq_f64_e32 vcc_lo, 0, v[150:151]
	v_cmp_neq_f64_e64 s1, 0, v[152:153]
	s_or_b32 s1, vcc_lo, s1
	s_and_b32 exec_lo, exec_lo, s1
	s_cbranch_execz .LBB73_98
; %bb.93:
	v_cmp_ngt_f64_e64 s1, |v[150:151]|, |v[152:153]|
                                        ; implicit-def: $vgpr154_vgpr155
	s_and_saveexec_b32 s3, s1
	s_xor_b32 s1, exec_lo, s3
                                        ; implicit-def: $vgpr156_vgpr157
	s_cbranch_execz .LBB73_95
; %bb.94:
	v_div_scale_f64 v[154:155], null, v[152:153], v[152:153], v[150:151]
	v_div_scale_f64 v[160:161], vcc_lo, v[150:151], v[152:153], v[150:151]
	v_rcp_f64_e32 v[156:157], v[154:155]
	v_fma_f64 v[158:159], -v[154:155], v[156:157], 1.0
	v_fma_f64 v[156:157], v[156:157], v[158:159], v[156:157]
	v_fma_f64 v[158:159], -v[154:155], v[156:157], 1.0
	v_fma_f64 v[156:157], v[156:157], v[158:159], v[156:157]
	v_mul_f64 v[158:159], v[160:161], v[156:157]
	v_fma_f64 v[154:155], -v[154:155], v[158:159], v[160:161]
	v_div_fmas_f64 v[154:155], v[154:155], v[156:157], v[158:159]
	v_div_fixup_f64 v[154:155], v[154:155], v[152:153], v[150:151]
	v_fma_f64 v[150:151], v[150:151], v[154:155], v[152:153]
	v_div_scale_f64 v[152:153], null, v[150:151], v[150:151], 1.0
	v_rcp_f64_e32 v[156:157], v[152:153]
	v_fma_f64 v[158:159], -v[152:153], v[156:157], 1.0
	v_fma_f64 v[156:157], v[156:157], v[158:159], v[156:157]
	v_fma_f64 v[158:159], -v[152:153], v[156:157], 1.0
	v_fma_f64 v[156:157], v[156:157], v[158:159], v[156:157]
	v_div_scale_f64 v[158:159], vcc_lo, 1.0, v[150:151], 1.0
	v_mul_f64 v[160:161], v[158:159], v[156:157]
	v_fma_f64 v[152:153], -v[152:153], v[160:161], v[158:159]
	v_div_fmas_f64 v[152:153], v[152:153], v[156:157], v[160:161]
	v_div_fixup_f64 v[156:157], v[152:153], v[150:151], 1.0
                                        ; implicit-def: $vgpr150_vgpr151
	v_mul_f64 v[154:155], v[154:155], v[156:157]
	v_xor_b32_e32 v157, 0x80000000, v157
.LBB73_95:
	s_andn2_saveexec_b32 s1, s1
	s_cbranch_execz .LBB73_97
; %bb.96:
	v_div_scale_f64 v[154:155], null, v[150:151], v[150:151], v[152:153]
	v_div_scale_f64 v[160:161], vcc_lo, v[152:153], v[150:151], v[152:153]
	v_rcp_f64_e32 v[156:157], v[154:155]
	v_fma_f64 v[158:159], -v[154:155], v[156:157], 1.0
	v_fma_f64 v[156:157], v[156:157], v[158:159], v[156:157]
	v_fma_f64 v[158:159], -v[154:155], v[156:157], 1.0
	v_fma_f64 v[156:157], v[156:157], v[158:159], v[156:157]
	v_mul_f64 v[158:159], v[160:161], v[156:157]
	v_fma_f64 v[154:155], -v[154:155], v[158:159], v[160:161]
	v_div_fmas_f64 v[154:155], v[154:155], v[156:157], v[158:159]
	v_div_fixup_f64 v[156:157], v[154:155], v[150:151], v[152:153]
	v_fma_f64 v[150:151], v[152:153], v[156:157], v[150:151]
	v_div_scale_f64 v[152:153], null, v[150:151], v[150:151], 1.0
	v_rcp_f64_e32 v[154:155], v[152:153]
	v_fma_f64 v[158:159], -v[152:153], v[154:155], 1.0
	v_fma_f64 v[154:155], v[154:155], v[158:159], v[154:155]
	v_fma_f64 v[158:159], -v[152:153], v[154:155], 1.0
	v_fma_f64 v[154:155], v[154:155], v[158:159], v[154:155]
	v_div_scale_f64 v[158:159], vcc_lo, 1.0, v[150:151], 1.0
	v_mul_f64 v[160:161], v[158:159], v[154:155]
	v_fma_f64 v[152:153], -v[152:153], v[160:161], v[158:159]
	v_div_fmas_f64 v[152:153], v[152:153], v[154:155], v[160:161]
	v_div_fixup_f64 v[154:155], v[152:153], v[150:151], 1.0
	v_mul_f64 v[156:157], v[156:157], -v[154:155]
.LBB73_97:
	s_or_b32 exec_lo, exec_lo, s1
	ds_write2_b64 v1, v[154:155], v[156:157] offset1:1
.LBB73_98:
	s_or_b32 exec_lo, exec_lo, s2
	s_waitcnt lgkmcnt(0)
	s_barrier
	buffer_gl0_inv
	ds_read2_b64 v[150:153], v1 offset1:1
	s_mov_b32 s1, exec_lo
	s_waitcnt lgkmcnt(0)
	buffer_store_dword v150, off, s[16:19], 0 offset:232 ; 4-byte Folded Spill
	buffer_store_dword v151, off, s[16:19], 0 offset:236 ; 4-byte Folded Spill
	;; [unrolled: 1-line block ×4, first 2 shown]
	v_cmpx_lt_u32_e32 10, v0
	s_cbranch_execz .LBB73_100
; %bb.99:
	s_clause 0x3
	buffer_load_dword v152, off, s[16:19], 0 offset:232
	buffer_load_dword v153, off, s[16:19], 0 offset:236
	;; [unrolled: 1-line block ×4, first 2 shown]
	s_waitcnt vmcnt(0)
	v_mul_f64 v[150:151], v[154:155], v[108:109]
	v_mul_f64 v[108:109], v[152:153], v[108:109]
	v_fma_f64 v[150:151], v[152:153], v[106:107], -v[150:151]
	v_fma_f64 v[108:109], v[154:155], v[106:107], v[108:109]
	ds_read2_b64 v[152:155], v194 offset0:22 offset1:23
	s_waitcnt lgkmcnt(0)
	v_mul_f64 v[106:107], v[154:155], v[108:109]
	v_fma_f64 v[106:107], v[152:153], v[150:151], -v[106:107]
	v_mul_f64 v[152:153], v[152:153], v[108:109]
	v_add_f64 v[102:103], v[102:103], -v[106:107]
	v_fma_f64 v[152:153], v[154:155], v[150:151], v[152:153]
	v_add_f64 v[104:105], v[104:105], -v[152:153]
	ds_read2_b64 v[152:155], v194 offset0:24 offset1:25
	s_waitcnt lgkmcnt(0)
	v_mul_f64 v[106:107], v[154:155], v[108:109]
	v_fma_f64 v[106:107], v[152:153], v[150:151], -v[106:107]
	v_mul_f64 v[152:153], v[152:153], v[108:109]
	v_add_f64 v[98:99], v[98:99], -v[106:107]
	v_fma_f64 v[152:153], v[154:155], v[150:151], v[152:153]
	v_add_f64 v[100:101], v[100:101], -v[152:153]
	;; [unrolled: 8-line block ×25, first 2 shown]
	ds_read2_b64 v[152:155], v194 offset0:72 offset1:73
	s_waitcnt lgkmcnt(0)
	v_mul_f64 v[106:107], v[154:155], v[108:109]
	v_fma_f64 v[106:107], v[152:153], v[150:151], -v[106:107]
	v_mul_f64 v[152:153], v[152:153], v[108:109]
	v_add_f64 v[2:3], v[2:3], -v[106:107]
	v_fma_f64 v[152:153], v[154:155], v[150:151], v[152:153]
	v_mov_b32_e32 v106, v150
	v_mov_b32_e32 v107, v151
	v_add_f64 v[4:5], v[4:5], -v[152:153]
.LBB73_100:
	s_or_b32 exec_lo, exec_lo, s1
	s_mov_b32 s2, exec_lo
	s_waitcnt_vscnt null, 0x0
	s_barrier
	buffer_gl0_inv
	v_cmpx_eq_u32_e32 11, v0
	s_cbranch_execz .LBB73_107
; %bb.101:
	ds_write2_b64 v1, v[102:103], v[104:105] offset1:1
	ds_write2_b64 v194, v[98:99], v[100:101] offset0:24 offset1:25
	ds_write2_b64 v194, v[94:95], v[96:97] offset0:26 offset1:27
	;; [unrolled: 1-line block ×25, first 2 shown]
	ds_read2_b64 v[150:153], v1 offset1:1
	s_waitcnt lgkmcnt(0)
	v_cmp_neq_f64_e32 vcc_lo, 0, v[150:151]
	v_cmp_neq_f64_e64 s1, 0, v[152:153]
	s_or_b32 s1, vcc_lo, s1
	s_and_b32 exec_lo, exec_lo, s1
	s_cbranch_execz .LBB73_107
; %bb.102:
	v_cmp_ngt_f64_e64 s1, |v[150:151]|, |v[152:153]|
                                        ; implicit-def: $vgpr154_vgpr155
	s_and_saveexec_b32 s3, s1
	s_xor_b32 s1, exec_lo, s3
                                        ; implicit-def: $vgpr156_vgpr157
	s_cbranch_execz .LBB73_104
; %bb.103:
	v_div_scale_f64 v[154:155], null, v[152:153], v[152:153], v[150:151]
	v_div_scale_f64 v[160:161], vcc_lo, v[150:151], v[152:153], v[150:151]
	v_rcp_f64_e32 v[156:157], v[154:155]
	v_fma_f64 v[158:159], -v[154:155], v[156:157], 1.0
	v_fma_f64 v[156:157], v[156:157], v[158:159], v[156:157]
	v_fma_f64 v[158:159], -v[154:155], v[156:157], 1.0
	v_fma_f64 v[156:157], v[156:157], v[158:159], v[156:157]
	v_mul_f64 v[158:159], v[160:161], v[156:157]
	v_fma_f64 v[154:155], -v[154:155], v[158:159], v[160:161]
	v_div_fmas_f64 v[154:155], v[154:155], v[156:157], v[158:159]
	v_div_fixup_f64 v[154:155], v[154:155], v[152:153], v[150:151]
	v_fma_f64 v[150:151], v[150:151], v[154:155], v[152:153]
	v_div_scale_f64 v[152:153], null, v[150:151], v[150:151], 1.0
	v_rcp_f64_e32 v[156:157], v[152:153]
	v_fma_f64 v[158:159], -v[152:153], v[156:157], 1.0
	v_fma_f64 v[156:157], v[156:157], v[158:159], v[156:157]
	v_fma_f64 v[158:159], -v[152:153], v[156:157], 1.0
	v_fma_f64 v[156:157], v[156:157], v[158:159], v[156:157]
	v_div_scale_f64 v[158:159], vcc_lo, 1.0, v[150:151], 1.0
	v_mul_f64 v[160:161], v[158:159], v[156:157]
	v_fma_f64 v[152:153], -v[152:153], v[160:161], v[158:159]
	v_div_fmas_f64 v[152:153], v[152:153], v[156:157], v[160:161]
	v_div_fixup_f64 v[156:157], v[152:153], v[150:151], 1.0
                                        ; implicit-def: $vgpr150_vgpr151
	v_mul_f64 v[154:155], v[154:155], v[156:157]
	v_xor_b32_e32 v157, 0x80000000, v157
.LBB73_104:
	s_andn2_saveexec_b32 s1, s1
	s_cbranch_execz .LBB73_106
; %bb.105:
	v_div_scale_f64 v[154:155], null, v[150:151], v[150:151], v[152:153]
	v_div_scale_f64 v[160:161], vcc_lo, v[152:153], v[150:151], v[152:153]
	v_rcp_f64_e32 v[156:157], v[154:155]
	v_fma_f64 v[158:159], -v[154:155], v[156:157], 1.0
	v_fma_f64 v[156:157], v[156:157], v[158:159], v[156:157]
	v_fma_f64 v[158:159], -v[154:155], v[156:157], 1.0
	v_fma_f64 v[156:157], v[156:157], v[158:159], v[156:157]
	v_mul_f64 v[158:159], v[160:161], v[156:157]
	v_fma_f64 v[154:155], -v[154:155], v[158:159], v[160:161]
	v_div_fmas_f64 v[154:155], v[154:155], v[156:157], v[158:159]
	v_div_fixup_f64 v[156:157], v[154:155], v[150:151], v[152:153]
	v_fma_f64 v[150:151], v[152:153], v[156:157], v[150:151]
	v_div_scale_f64 v[152:153], null, v[150:151], v[150:151], 1.0
	v_rcp_f64_e32 v[154:155], v[152:153]
	v_fma_f64 v[158:159], -v[152:153], v[154:155], 1.0
	v_fma_f64 v[154:155], v[154:155], v[158:159], v[154:155]
	v_fma_f64 v[158:159], -v[152:153], v[154:155], 1.0
	v_fma_f64 v[154:155], v[154:155], v[158:159], v[154:155]
	v_div_scale_f64 v[158:159], vcc_lo, 1.0, v[150:151], 1.0
	v_mul_f64 v[160:161], v[158:159], v[154:155]
	v_fma_f64 v[152:153], -v[152:153], v[160:161], v[158:159]
	v_div_fmas_f64 v[152:153], v[152:153], v[154:155], v[160:161]
	v_div_fixup_f64 v[154:155], v[152:153], v[150:151], 1.0
	v_mul_f64 v[156:157], v[156:157], -v[154:155]
.LBB73_106:
	s_or_b32 exec_lo, exec_lo, s1
	ds_write2_b64 v1, v[154:155], v[156:157] offset1:1
.LBB73_107:
	s_or_b32 exec_lo, exec_lo, s2
	s_waitcnt lgkmcnt(0)
	s_barrier
	buffer_gl0_inv
	ds_read2_b64 v[150:153], v1 offset1:1
	s_mov_b32 s1, exec_lo
	s_waitcnt lgkmcnt(0)
	buffer_store_dword v150, off, s[16:19], 0 offset:248 ; 4-byte Folded Spill
	buffer_store_dword v151, off, s[16:19], 0 offset:252 ; 4-byte Folded Spill
	;; [unrolled: 1-line block ×4, first 2 shown]
	v_cmpx_lt_u32_e32 11, v0
	s_cbranch_execz .LBB73_109
; %bb.108:
	s_clause 0x3
	buffer_load_dword v152, off, s[16:19], 0 offset:248
	buffer_load_dword v153, off, s[16:19], 0 offset:252
	;; [unrolled: 1-line block ×4, first 2 shown]
	s_waitcnt vmcnt(0)
	v_mul_f64 v[150:151], v[154:155], v[104:105]
	v_mul_f64 v[104:105], v[152:153], v[104:105]
	v_fma_f64 v[150:151], v[152:153], v[102:103], -v[150:151]
	v_fma_f64 v[104:105], v[154:155], v[102:103], v[104:105]
	ds_read2_b64 v[152:155], v194 offset0:24 offset1:25
	s_waitcnt lgkmcnt(0)
	v_mul_f64 v[102:103], v[154:155], v[104:105]
	v_fma_f64 v[102:103], v[152:153], v[150:151], -v[102:103]
	v_mul_f64 v[152:153], v[152:153], v[104:105]
	v_add_f64 v[98:99], v[98:99], -v[102:103]
	v_fma_f64 v[152:153], v[154:155], v[150:151], v[152:153]
	v_add_f64 v[100:101], v[100:101], -v[152:153]
	ds_read2_b64 v[152:155], v194 offset0:26 offset1:27
	s_waitcnt lgkmcnt(0)
	v_mul_f64 v[102:103], v[154:155], v[104:105]
	v_fma_f64 v[102:103], v[152:153], v[150:151], -v[102:103]
	v_mul_f64 v[152:153], v[152:153], v[104:105]
	v_add_f64 v[94:95], v[94:95], -v[102:103]
	v_fma_f64 v[152:153], v[154:155], v[150:151], v[152:153]
	v_add_f64 v[96:97], v[96:97], -v[152:153]
	;; [unrolled: 8-line block ×24, first 2 shown]
	ds_read2_b64 v[152:155], v194 offset0:72 offset1:73
	s_waitcnt lgkmcnt(0)
	v_mul_f64 v[102:103], v[154:155], v[104:105]
	v_fma_f64 v[102:103], v[152:153], v[150:151], -v[102:103]
	v_mul_f64 v[152:153], v[152:153], v[104:105]
	v_add_f64 v[2:3], v[2:3], -v[102:103]
	v_fma_f64 v[152:153], v[154:155], v[150:151], v[152:153]
	v_mov_b32_e32 v102, v150
	v_mov_b32_e32 v103, v151
	v_add_f64 v[4:5], v[4:5], -v[152:153]
.LBB73_109:
	s_or_b32 exec_lo, exec_lo, s1
	s_mov_b32 s2, exec_lo
	s_waitcnt_vscnt null, 0x0
	s_barrier
	buffer_gl0_inv
	v_cmpx_eq_u32_e32 12, v0
	s_cbranch_execz .LBB73_116
; %bb.110:
	ds_write2_b64 v1, v[98:99], v[100:101] offset1:1
	ds_write2_b64 v194, v[94:95], v[96:97] offset0:26 offset1:27
	ds_write2_b64 v194, v[90:91], v[92:93] offset0:28 offset1:29
	;; [unrolled: 1-line block ×24, first 2 shown]
	ds_read2_b64 v[150:153], v1 offset1:1
	s_waitcnt lgkmcnt(0)
	v_cmp_neq_f64_e32 vcc_lo, 0, v[150:151]
	v_cmp_neq_f64_e64 s1, 0, v[152:153]
	s_or_b32 s1, vcc_lo, s1
	s_and_b32 exec_lo, exec_lo, s1
	s_cbranch_execz .LBB73_116
; %bb.111:
	v_cmp_ngt_f64_e64 s1, |v[150:151]|, |v[152:153]|
                                        ; implicit-def: $vgpr154_vgpr155
	s_and_saveexec_b32 s3, s1
	s_xor_b32 s1, exec_lo, s3
                                        ; implicit-def: $vgpr156_vgpr157
	s_cbranch_execz .LBB73_113
; %bb.112:
	v_div_scale_f64 v[154:155], null, v[152:153], v[152:153], v[150:151]
	v_div_scale_f64 v[160:161], vcc_lo, v[150:151], v[152:153], v[150:151]
	v_rcp_f64_e32 v[156:157], v[154:155]
	v_fma_f64 v[158:159], -v[154:155], v[156:157], 1.0
	v_fma_f64 v[156:157], v[156:157], v[158:159], v[156:157]
	v_fma_f64 v[158:159], -v[154:155], v[156:157], 1.0
	v_fma_f64 v[156:157], v[156:157], v[158:159], v[156:157]
	v_mul_f64 v[158:159], v[160:161], v[156:157]
	v_fma_f64 v[154:155], -v[154:155], v[158:159], v[160:161]
	v_div_fmas_f64 v[154:155], v[154:155], v[156:157], v[158:159]
	v_div_fixup_f64 v[154:155], v[154:155], v[152:153], v[150:151]
	v_fma_f64 v[150:151], v[150:151], v[154:155], v[152:153]
	v_div_scale_f64 v[152:153], null, v[150:151], v[150:151], 1.0
	v_rcp_f64_e32 v[156:157], v[152:153]
	v_fma_f64 v[158:159], -v[152:153], v[156:157], 1.0
	v_fma_f64 v[156:157], v[156:157], v[158:159], v[156:157]
	v_fma_f64 v[158:159], -v[152:153], v[156:157], 1.0
	v_fma_f64 v[156:157], v[156:157], v[158:159], v[156:157]
	v_div_scale_f64 v[158:159], vcc_lo, 1.0, v[150:151], 1.0
	v_mul_f64 v[160:161], v[158:159], v[156:157]
	v_fma_f64 v[152:153], -v[152:153], v[160:161], v[158:159]
	v_div_fmas_f64 v[152:153], v[152:153], v[156:157], v[160:161]
	v_div_fixup_f64 v[156:157], v[152:153], v[150:151], 1.0
                                        ; implicit-def: $vgpr150_vgpr151
	v_mul_f64 v[154:155], v[154:155], v[156:157]
	v_xor_b32_e32 v157, 0x80000000, v157
.LBB73_113:
	s_andn2_saveexec_b32 s1, s1
	s_cbranch_execz .LBB73_115
; %bb.114:
	v_div_scale_f64 v[154:155], null, v[150:151], v[150:151], v[152:153]
	v_div_scale_f64 v[160:161], vcc_lo, v[152:153], v[150:151], v[152:153]
	v_rcp_f64_e32 v[156:157], v[154:155]
	v_fma_f64 v[158:159], -v[154:155], v[156:157], 1.0
	v_fma_f64 v[156:157], v[156:157], v[158:159], v[156:157]
	v_fma_f64 v[158:159], -v[154:155], v[156:157], 1.0
	v_fma_f64 v[156:157], v[156:157], v[158:159], v[156:157]
	v_mul_f64 v[158:159], v[160:161], v[156:157]
	v_fma_f64 v[154:155], -v[154:155], v[158:159], v[160:161]
	v_div_fmas_f64 v[154:155], v[154:155], v[156:157], v[158:159]
	v_div_fixup_f64 v[156:157], v[154:155], v[150:151], v[152:153]
	v_fma_f64 v[150:151], v[152:153], v[156:157], v[150:151]
	v_div_scale_f64 v[152:153], null, v[150:151], v[150:151], 1.0
	v_rcp_f64_e32 v[154:155], v[152:153]
	v_fma_f64 v[158:159], -v[152:153], v[154:155], 1.0
	v_fma_f64 v[154:155], v[154:155], v[158:159], v[154:155]
	v_fma_f64 v[158:159], -v[152:153], v[154:155], 1.0
	v_fma_f64 v[154:155], v[154:155], v[158:159], v[154:155]
	v_div_scale_f64 v[158:159], vcc_lo, 1.0, v[150:151], 1.0
	v_mul_f64 v[160:161], v[158:159], v[154:155]
	v_fma_f64 v[152:153], -v[152:153], v[160:161], v[158:159]
	v_div_fmas_f64 v[152:153], v[152:153], v[154:155], v[160:161]
	v_div_fixup_f64 v[154:155], v[152:153], v[150:151], 1.0
	v_mul_f64 v[156:157], v[156:157], -v[154:155]
.LBB73_115:
	s_or_b32 exec_lo, exec_lo, s1
	ds_write2_b64 v1, v[154:155], v[156:157] offset1:1
.LBB73_116:
	s_or_b32 exec_lo, exec_lo, s2
	s_waitcnt lgkmcnt(0)
	s_barrier
	buffer_gl0_inv
	ds_read2_b64 v[150:153], v1 offset1:1
	s_mov_b32 s1, exec_lo
	s_waitcnt lgkmcnt(0)
	buffer_store_dword v150, off, s[16:19], 0 offset:264 ; 4-byte Folded Spill
	buffer_store_dword v151, off, s[16:19], 0 offset:268 ; 4-byte Folded Spill
	;; [unrolled: 1-line block ×4, first 2 shown]
	v_cmpx_lt_u32_e32 12, v0
	s_cbranch_execz .LBB73_118
; %bb.117:
	s_clause 0x3
	buffer_load_dword v152, off, s[16:19], 0 offset:264
	buffer_load_dword v153, off, s[16:19], 0 offset:268
	;; [unrolled: 1-line block ×4, first 2 shown]
	s_waitcnt vmcnt(0)
	v_mul_f64 v[150:151], v[154:155], v[100:101]
	v_mul_f64 v[100:101], v[152:153], v[100:101]
	v_fma_f64 v[150:151], v[152:153], v[98:99], -v[150:151]
	v_fma_f64 v[100:101], v[154:155], v[98:99], v[100:101]
	ds_read2_b64 v[152:155], v194 offset0:26 offset1:27
	s_waitcnt lgkmcnt(0)
	v_mul_f64 v[98:99], v[154:155], v[100:101]
	v_fma_f64 v[98:99], v[152:153], v[150:151], -v[98:99]
	v_mul_f64 v[152:153], v[152:153], v[100:101]
	v_add_f64 v[94:95], v[94:95], -v[98:99]
	v_fma_f64 v[152:153], v[154:155], v[150:151], v[152:153]
	v_add_f64 v[96:97], v[96:97], -v[152:153]
	ds_read2_b64 v[152:155], v194 offset0:28 offset1:29
	s_waitcnt lgkmcnt(0)
	v_mul_f64 v[98:99], v[154:155], v[100:101]
	v_fma_f64 v[98:99], v[152:153], v[150:151], -v[98:99]
	v_mul_f64 v[152:153], v[152:153], v[100:101]
	v_add_f64 v[90:91], v[90:91], -v[98:99]
	v_fma_f64 v[152:153], v[154:155], v[150:151], v[152:153]
	v_add_f64 v[92:93], v[92:93], -v[152:153]
	;; [unrolled: 8-line block ×23, first 2 shown]
	ds_read2_b64 v[152:155], v194 offset0:72 offset1:73
	s_waitcnt lgkmcnt(0)
	v_mul_f64 v[98:99], v[154:155], v[100:101]
	v_fma_f64 v[98:99], v[152:153], v[150:151], -v[98:99]
	v_mul_f64 v[152:153], v[152:153], v[100:101]
	v_add_f64 v[2:3], v[2:3], -v[98:99]
	v_fma_f64 v[152:153], v[154:155], v[150:151], v[152:153]
	v_mov_b32_e32 v98, v150
	v_mov_b32_e32 v99, v151
	v_add_f64 v[4:5], v[4:5], -v[152:153]
.LBB73_118:
	s_or_b32 exec_lo, exec_lo, s1
	s_mov_b32 s2, exec_lo
	s_waitcnt_vscnt null, 0x0
	s_barrier
	buffer_gl0_inv
	v_cmpx_eq_u32_e32 13, v0
	s_cbranch_execz .LBB73_125
; %bb.119:
	ds_write2_b64 v1, v[94:95], v[96:97] offset1:1
	ds_write2_b64 v194, v[90:91], v[92:93] offset0:28 offset1:29
	ds_write2_b64 v194, v[86:87], v[88:89] offset0:30 offset1:31
	;; [unrolled: 1-line block ×23, first 2 shown]
	ds_read2_b64 v[150:153], v1 offset1:1
	s_waitcnt lgkmcnt(0)
	v_cmp_neq_f64_e32 vcc_lo, 0, v[150:151]
	v_cmp_neq_f64_e64 s1, 0, v[152:153]
	s_or_b32 s1, vcc_lo, s1
	s_and_b32 exec_lo, exec_lo, s1
	s_cbranch_execz .LBB73_125
; %bb.120:
	v_cmp_ngt_f64_e64 s1, |v[150:151]|, |v[152:153]|
                                        ; implicit-def: $vgpr154_vgpr155
	s_and_saveexec_b32 s3, s1
	s_xor_b32 s1, exec_lo, s3
                                        ; implicit-def: $vgpr156_vgpr157
	s_cbranch_execz .LBB73_122
; %bb.121:
	v_div_scale_f64 v[154:155], null, v[152:153], v[152:153], v[150:151]
	v_div_scale_f64 v[160:161], vcc_lo, v[150:151], v[152:153], v[150:151]
	v_rcp_f64_e32 v[156:157], v[154:155]
	v_fma_f64 v[158:159], -v[154:155], v[156:157], 1.0
	v_fma_f64 v[156:157], v[156:157], v[158:159], v[156:157]
	v_fma_f64 v[158:159], -v[154:155], v[156:157], 1.0
	v_fma_f64 v[156:157], v[156:157], v[158:159], v[156:157]
	v_mul_f64 v[158:159], v[160:161], v[156:157]
	v_fma_f64 v[154:155], -v[154:155], v[158:159], v[160:161]
	v_div_fmas_f64 v[154:155], v[154:155], v[156:157], v[158:159]
	v_div_fixup_f64 v[154:155], v[154:155], v[152:153], v[150:151]
	v_fma_f64 v[150:151], v[150:151], v[154:155], v[152:153]
	v_div_scale_f64 v[152:153], null, v[150:151], v[150:151], 1.0
	v_rcp_f64_e32 v[156:157], v[152:153]
	v_fma_f64 v[158:159], -v[152:153], v[156:157], 1.0
	v_fma_f64 v[156:157], v[156:157], v[158:159], v[156:157]
	v_fma_f64 v[158:159], -v[152:153], v[156:157], 1.0
	v_fma_f64 v[156:157], v[156:157], v[158:159], v[156:157]
	v_div_scale_f64 v[158:159], vcc_lo, 1.0, v[150:151], 1.0
	v_mul_f64 v[160:161], v[158:159], v[156:157]
	v_fma_f64 v[152:153], -v[152:153], v[160:161], v[158:159]
	v_div_fmas_f64 v[152:153], v[152:153], v[156:157], v[160:161]
	v_div_fixup_f64 v[156:157], v[152:153], v[150:151], 1.0
                                        ; implicit-def: $vgpr150_vgpr151
	v_mul_f64 v[154:155], v[154:155], v[156:157]
	v_xor_b32_e32 v157, 0x80000000, v157
.LBB73_122:
	s_andn2_saveexec_b32 s1, s1
	s_cbranch_execz .LBB73_124
; %bb.123:
	v_div_scale_f64 v[154:155], null, v[150:151], v[150:151], v[152:153]
	v_div_scale_f64 v[160:161], vcc_lo, v[152:153], v[150:151], v[152:153]
	v_rcp_f64_e32 v[156:157], v[154:155]
	v_fma_f64 v[158:159], -v[154:155], v[156:157], 1.0
	v_fma_f64 v[156:157], v[156:157], v[158:159], v[156:157]
	v_fma_f64 v[158:159], -v[154:155], v[156:157], 1.0
	v_fma_f64 v[156:157], v[156:157], v[158:159], v[156:157]
	v_mul_f64 v[158:159], v[160:161], v[156:157]
	v_fma_f64 v[154:155], -v[154:155], v[158:159], v[160:161]
	v_div_fmas_f64 v[154:155], v[154:155], v[156:157], v[158:159]
	v_div_fixup_f64 v[156:157], v[154:155], v[150:151], v[152:153]
	v_fma_f64 v[150:151], v[152:153], v[156:157], v[150:151]
	v_div_scale_f64 v[152:153], null, v[150:151], v[150:151], 1.0
	v_rcp_f64_e32 v[154:155], v[152:153]
	v_fma_f64 v[158:159], -v[152:153], v[154:155], 1.0
	v_fma_f64 v[154:155], v[154:155], v[158:159], v[154:155]
	v_fma_f64 v[158:159], -v[152:153], v[154:155], 1.0
	v_fma_f64 v[154:155], v[154:155], v[158:159], v[154:155]
	v_div_scale_f64 v[158:159], vcc_lo, 1.0, v[150:151], 1.0
	v_mul_f64 v[160:161], v[158:159], v[154:155]
	v_fma_f64 v[152:153], -v[152:153], v[160:161], v[158:159]
	v_div_fmas_f64 v[152:153], v[152:153], v[154:155], v[160:161]
	v_div_fixup_f64 v[154:155], v[152:153], v[150:151], 1.0
	v_mul_f64 v[156:157], v[156:157], -v[154:155]
.LBB73_124:
	s_or_b32 exec_lo, exec_lo, s1
	ds_write2_b64 v1, v[154:155], v[156:157] offset1:1
.LBB73_125:
	s_or_b32 exec_lo, exec_lo, s2
	s_waitcnt lgkmcnt(0)
	s_barrier
	buffer_gl0_inv
	ds_read2_b64 v[150:153], v1 offset1:1
	s_mov_b32 s1, exec_lo
	s_waitcnt lgkmcnt(0)
	buffer_store_dword v150, off, s[16:19], 0 offset:280 ; 4-byte Folded Spill
	buffer_store_dword v151, off, s[16:19], 0 offset:284 ; 4-byte Folded Spill
	;; [unrolled: 1-line block ×4, first 2 shown]
	v_cmpx_lt_u32_e32 13, v0
	s_cbranch_execz .LBB73_127
; %bb.126:
	s_clause 0x3
	buffer_load_dword v152, off, s[16:19], 0 offset:280
	buffer_load_dword v153, off, s[16:19], 0 offset:284
	;; [unrolled: 1-line block ×4, first 2 shown]
	s_waitcnt vmcnt(0)
	v_mul_f64 v[150:151], v[154:155], v[96:97]
	v_mul_f64 v[96:97], v[152:153], v[96:97]
	v_fma_f64 v[150:151], v[152:153], v[94:95], -v[150:151]
	v_fma_f64 v[96:97], v[154:155], v[94:95], v[96:97]
	ds_read2_b64 v[152:155], v194 offset0:28 offset1:29
	s_waitcnt lgkmcnt(0)
	v_mul_f64 v[94:95], v[154:155], v[96:97]
	v_fma_f64 v[94:95], v[152:153], v[150:151], -v[94:95]
	v_mul_f64 v[152:153], v[152:153], v[96:97]
	v_add_f64 v[90:91], v[90:91], -v[94:95]
	v_fma_f64 v[152:153], v[154:155], v[150:151], v[152:153]
	v_add_f64 v[92:93], v[92:93], -v[152:153]
	ds_read2_b64 v[152:155], v194 offset0:30 offset1:31
	s_waitcnt lgkmcnt(0)
	v_mul_f64 v[94:95], v[154:155], v[96:97]
	v_fma_f64 v[94:95], v[152:153], v[150:151], -v[94:95]
	v_mul_f64 v[152:153], v[152:153], v[96:97]
	v_add_f64 v[86:87], v[86:87], -v[94:95]
	v_fma_f64 v[152:153], v[154:155], v[150:151], v[152:153]
	v_add_f64 v[88:89], v[88:89], -v[152:153]
	;; [unrolled: 8-line block ×22, first 2 shown]
	ds_read2_b64 v[152:155], v194 offset0:72 offset1:73
	s_waitcnt lgkmcnt(0)
	v_mul_f64 v[94:95], v[154:155], v[96:97]
	v_fma_f64 v[94:95], v[152:153], v[150:151], -v[94:95]
	v_mul_f64 v[152:153], v[152:153], v[96:97]
	v_add_f64 v[2:3], v[2:3], -v[94:95]
	v_fma_f64 v[152:153], v[154:155], v[150:151], v[152:153]
	v_mov_b32_e32 v94, v150
	v_mov_b32_e32 v95, v151
	v_add_f64 v[4:5], v[4:5], -v[152:153]
.LBB73_127:
	s_or_b32 exec_lo, exec_lo, s1
	s_mov_b32 s2, exec_lo
	s_waitcnt_vscnt null, 0x0
	s_barrier
	buffer_gl0_inv
	v_cmpx_eq_u32_e32 14, v0
	s_cbranch_execz .LBB73_134
; %bb.128:
	ds_write2_b64 v1, v[90:91], v[92:93] offset1:1
	ds_write2_b64 v194, v[86:87], v[88:89] offset0:30 offset1:31
	ds_write2_b64 v194, v[82:83], v[84:85] offset0:32 offset1:33
	;; [unrolled: 1-line block ×22, first 2 shown]
	ds_read2_b64 v[150:153], v1 offset1:1
	s_waitcnt lgkmcnt(0)
	v_cmp_neq_f64_e32 vcc_lo, 0, v[150:151]
	v_cmp_neq_f64_e64 s1, 0, v[152:153]
	s_or_b32 s1, vcc_lo, s1
	s_and_b32 exec_lo, exec_lo, s1
	s_cbranch_execz .LBB73_134
; %bb.129:
	v_cmp_ngt_f64_e64 s1, |v[150:151]|, |v[152:153]|
                                        ; implicit-def: $vgpr154_vgpr155
	s_and_saveexec_b32 s3, s1
	s_xor_b32 s1, exec_lo, s3
                                        ; implicit-def: $vgpr156_vgpr157
	s_cbranch_execz .LBB73_131
; %bb.130:
	v_div_scale_f64 v[154:155], null, v[152:153], v[152:153], v[150:151]
	v_div_scale_f64 v[160:161], vcc_lo, v[150:151], v[152:153], v[150:151]
	v_rcp_f64_e32 v[156:157], v[154:155]
	v_fma_f64 v[158:159], -v[154:155], v[156:157], 1.0
	v_fma_f64 v[156:157], v[156:157], v[158:159], v[156:157]
	v_fma_f64 v[158:159], -v[154:155], v[156:157], 1.0
	v_fma_f64 v[156:157], v[156:157], v[158:159], v[156:157]
	v_mul_f64 v[158:159], v[160:161], v[156:157]
	v_fma_f64 v[154:155], -v[154:155], v[158:159], v[160:161]
	v_div_fmas_f64 v[154:155], v[154:155], v[156:157], v[158:159]
	v_div_fixup_f64 v[154:155], v[154:155], v[152:153], v[150:151]
	v_fma_f64 v[150:151], v[150:151], v[154:155], v[152:153]
	v_div_scale_f64 v[152:153], null, v[150:151], v[150:151], 1.0
	v_rcp_f64_e32 v[156:157], v[152:153]
	v_fma_f64 v[158:159], -v[152:153], v[156:157], 1.0
	v_fma_f64 v[156:157], v[156:157], v[158:159], v[156:157]
	v_fma_f64 v[158:159], -v[152:153], v[156:157], 1.0
	v_fma_f64 v[156:157], v[156:157], v[158:159], v[156:157]
	v_div_scale_f64 v[158:159], vcc_lo, 1.0, v[150:151], 1.0
	v_mul_f64 v[160:161], v[158:159], v[156:157]
	v_fma_f64 v[152:153], -v[152:153], v[160:161], v[158:159]
	v_div_fmas_f64 v[152:153], v[152:153], v[156:157], v[160:161]
	v_div_fixup_f64 v[156:157], v[152:153], v[150:151], 1.0
                                        ; implicit-def: $vgpr150_vgpr151
	v_mul_f64 v[154:155], v[154:155], v[156:157]
	v_xor_b32_e32 v157, 0x80000000, v157
.LBB73_131:
	s_andn2_saveexec_b32 s1, s1
	s_cbranch_execz .LBB73_133
; %bb.132:
	v_div_scale_f64 v[154:155], null, v[150:151], v[150:151], v[152:153]
	v_div_scale_f64 v[160:161], vcc_lo, v[152:153], v[150:151], v[152:153]
	v_rcp_f64_e32 v[156:157], v[154:155]
	v_fma_f64 v[158:159], -v[154:155], v[156:157], 1.0
	v_fma_f64 v[156:157], v[156:157], v[158:159], v[156:157]
	v_fma_f64 v[158:159], -v[154:155], v[156:157], 1.0
	v_fma_f64 v[156:157], v[156:157], v[158:159], v[156:157]
	v_mul_f64 v[158:159], v[160:161], v[156:157]
	v_fma_f64 v[154:155], -v[154:155], v[158:159], v[160:161]
	v_div_fmas_f64 v[154:155], v[154:155], v[156:157], v[158:159]
	v_div_fixup_f64 v[156:157], v[154:155], v[150:151], v[152:153]
	v_fma_f64 v[150:151], v[152:153], v[156:157], v[150:151]
	v_div_scale_f64 v[152:153], null, v[150:151], v[150:151], 1.0
	v_rcp_f64_e32 v[154:155], v[152:153]
	v_fma_f64 v[158:159], -v[152:153], v[154:155], 1.0
	v_fma_f64 v[154:155], v[154:155], v[158:159], v[154:155]
	v_fma_f64 v[158:159], -v[152:153], v[154:155], 1.0
	v_fma_f64 v[154:155], v[154:155], v[158:159], v[154:155]
	v_div_scale_f64 v[158:159], vcc_lo, 1.0, v[150:151], 1.0
	v_mul_f64 v[160:161], v[158:159], v[154:155]
	v_fma_f64 v[152:153], -v[152:153], v[160:161], v[158:159]
	v_div_fmas_f64 v[152:153], v[152:153], v[154:155], v[160:161]
	v_div_fixup_f64 v[154:155], v[152:153], v[150:151], 1.0
	v_mul_f64 v[156:157], v[156:157], -v[154:155]
.LBB73_133:
	s_or_b32 exec_lo, exec_lo, s1
	ds_write2_b64 v1, v[154:155], v[156:157] offset1:1
.LBB73_134:
	s_or_b32 exec_lo, exec_lo, s2
	s_waitcnt lgkmcnt(0)
	s_barrier
	buffer_gl0_inv
	ds_read2_b64 v[150:153], v1 offset1:1
	s_mov_b32 s1, exec_lo
	s_waitcnt lgkmcnt(0)
	buffer_store_dword v150, off, s[16:19], 0 offset:296 ; 4-byte Folded Spill
	buffer_store_dword v151, off, s[16:19], 0 offset:300 ; 4-byte Folded Spill
	;; [unrolled: 1-line block ×4, first 2 shown]
	v_cmpx_lt_u32_e32 14, v0
	s_cbranch_execz .LBB73_136
; %bb.135:
	s_clause 0x3
	buffer_load_dword v152, off, s[16:19], 0 offset:296
	buffer_load_dword v153, off, s[16:19], 0 offset:300
	;; [unrolled: 1-line block ×4, first 2 shown]
	s_waitcnt vmcnt(0)
	v_mul_f64 v[150:151], v[154:155], v[92:93]
	v_mul_f64 v[92:93], v[152:153], v[92:93]
	v_fma_f64 v[150:151], v[152:153], v[90:91], -v[150:151]
	v_fma_f64 v[92:93], v[154:155], v[90:91], v[92:93]
	ds_read2_b64 v[152:155], v194 offset0:30 offset1:31
	s_waitcnt lgkmcnt(0)
	v_mul_f64 v[90:91], v[154:155], v[92:93]
	v_fma_f64 v[90:91], v[152:153], v[150:151], -v[90:91]
	v_mul_f64 v[152:153], v[152:153], v[92:93]
	v_add_f64 v[86:87], v[86:87], -v[90:91]
	v_fma_f64 v[152:153], v[154:155], v[150:151], v[152:153]
	v_add_f64 v[88:89], v[88:89], -v[152:153]
	ds_read2_b64 v[152:155], v194 offset0:32 offset1:33
	s_waitcnt lgkmcnt(0)
	v_mul_f64 v[90:91], v[154:155], v[92:93]
	v_fma_f64 v[90:91], v[152:153], v[150:151], -v[90:91]
	v_mul_f64 v[152:153], v[152:153], v[92:93]
	v_add_f64 v[82:83], v[82:83], -v[90:91]
	v_fma_f64 v[152:153], v[154:155], v[150:151], v[152:153]
	v_add_f64 v[84:85], v[84:85], -v[152:153]
	;; [unrolled: 8-line block ×21, first 2 shown]
	ds_read2_b64 v[152:155], v194 offset0:72 offset1:73
	s_waitcnt lgkmcnt(0)
	v_mul_f64 v[90:91], v[154:155], v[92:93]
	v_fma_f64 v[90:91], v[152:153], v[150:151], -v[90:91]
	v_mul_f64 v[152:153], v[152:153], v[92:93]
	v_add_f64 v[2:3], v[2:3], -v[90:91]
	v_fma_f64 v[152:153], v[154:155], v[150:151], v[152:153]
	v_mov_b32_e32 v90, v150
	v_mov_b32_e32 v91, v151
	v_add_f64 v[4:5], v[4:5], -v[152:153]
.LBB73_136:
	s_or_b32 exec_lo, exec_lo, s1
	s_mov_b32 s2, exec_lo
	s_waitcnt_vscnt null, 0x0
	s_barrier
	buffer_gl0_inv
	v_cmpx_eq_u32_e32 15, v0
	s_cbranch_execz .LBB73_143
; %bb.137:
	ds_write2_b64 v1, v[86:87], v[88:89] offset1:1
	ds_write2_b64 v194, v[82:83], v[84:85] offset0:32 offset1:33
	ds_write2_b64 v194, v[78:79], v[80:81] offset0:34 offset1:35
	;; [unrolled: 1-line block ×21, first 2 shown]
	ds_read2_b64 v[150:153], v1 offset1:1
	s_waitcnt lgkmcnt(0)
	v_cmp_neq_f64_e32 vcc_lo, 0, v[150:151]
	v_cmp_neq_f64_e64 s1, 0, v[152:153]
	s_or_b32 s1, vcc_lo, s1
	s_and_b32 exec_lo, exec_lo, s1
	s_cbranch_execz .LBB73_143
; %bb.138:
	v_cmp_ngt_f64_e64 s1, |v[150:151]|, |v[152:153]|
                                        ; implicit-def: $vgpr154_vgpr155
	s_and_saveexec_b32 s3, s1
	s_xor_b32 s1, exec_lo, s3
                                        ; implicit-def: $vgpr156_vgpr157
	s_cbranch_execz .LBB73_140
; %bb.139:
	v_div_scale_f64 v[154:155], null, v[152:153], v[152:153], v[150:151]
	v_div_scale_f64 v[160:161], vcc_lo, v[150:151], v[152:153], v[150:151]
	v_rcp_f64_e32 v[156:157], v[154:155]
	v_fma_f64 v[158:159], -v[154:155], v[156:157], 1.0
	v_fma_f64 v[156:157], v[156:157], v[158:159], v[156:157]
	v_fma_f64 v[158:159], -v[154:155], v[156:157], 1.0
	v_fma_f64 v[156:157], v[156:157], v[158:159], v[156:157]
	v_mul_f64 v[158:159], v[160:161], v[156:157]
	v_fma_f64 v[154:155], -v[154:155], v[158:159], v[160:161]
	v_div_fmas_f64 v[154:155], v[154:155], v[156:157], v[158:159]
	v_div_fixup_f64 v[154:155], v[154:155], v[152:153], v[150:151]
	v_fma_f64 v[150:151], v[150:151], v[154:155], v[152:153]
	v_div_scale_f64 v[152:153], null, v[150:151], v[150:151], 1.0
	v_rcp_f64_e32 v[156:157], v[152:153]
	v_fma_f64 v[158:159], -v[152:153], v[156:157], 1.0
	v_fma_f64 v[156:157], v[156:157], v[158:159], v[156:157]
	v_fma_f64 v[158:159], -v[152:153], v[156:157], 1.0
	v_fma_f64 v[156:157], v[156:157], v[158:159], v[156:157]
	v_div_scale_f64 v[158:159], vcc_lo, 1.0, v[150:151], 1.0
	v_mul_f64 v[160:161], v[158:159], v[156:157]
	v_fma_f64 v[152:153], -v[152:153], v[160:161], v[158:159]
	v_div_fmas_f64 v[152:153], v[152:153], v[156:157], v[160:161]
	v_div_fixup_f64 v[156:157], v[152:153], v[150:151], 1.0
                                        ; implicit-def: $vgpr150_vgpr151
	v_mul_f64 v[154:155], v[154:155], v[156:157]
	v_xor_b32_e32 v157, 0x80000000, v157
.LBB73_140:
	s_andn2_saveexec_b32 s1, s1
	s_cbranch_execz .LBB73_142
; %bb.141:
	v_div_scale_f64 v[154:155], null, v[150:151], v[150:151], v[152:153]
	v_div_scale_f64 v[160:161], vcc_lo, v[152:153], v[150:151], v[152:153]
	v_rcp_f64_e32 v[156:157], v[154:155]
	v_fma_f64 v[158:159], -v[154:155], v[156:157], 1.0
	v_fma_f64 v[156:157], v[156:157], v[158:159], v[156:157]
	v_fma_f64 v[158:159], -v[154:155], v[156:157], 1.0
	v_fma_f64 v[156:157], v[156:157], v[158:159], v[156:157]
	v_mul_f64 v[158:159], v[160:161], v[156:157]
	v_fma_f64 v[154:155], -v[154:155], v[158:159], v[160:161]
	v_div_fmas_f64 v[154:155], v[154:155], v[156:157], v[158:159]
	v_div_fixup_f64 v[156:157], v[154:155], v[150:151], v[152:153]
	v_fma_f64 v[150:151], v[152:153], v[156:157], v[150:151]
	v_div_scale_f64 v[152:153], null, v[150:151], v[150:151], 1.0
	v_rcp_f64_e32 v[154:155], v[152:153]
	v_fma_f64 v[158:159], -v[152:153], v[154:155], 1.0
	v_fma_f64 v[154:155], v[154:155], v[158:159], v[154:155]
	v_fma_f64 v[158:159], -v[152:153], v[154:155], 1.0
	v_fma_f64 v[154:155], v[154:155], v[158:159], v[154:155]
	v_div_scale_f64 v[158:159], vcc_lo, 1.0, v[150:151], 1.0
	v_mul_f64 v[160:161], v[158:159], v[154:155]
	v_fma_f64 v[152:153], -v[152:153], v[160:161], v[158:159]
	v_div_fmas_f64 v[152:153], v[152:153], v[154:155], v[160:161]
	v_div_fixup_f64 v[154:155], v[152:153], v[150:151], 1.0
	v_mul_f64 v[156:157], v[156:157], -v[154:155]
.LBB73_142:
	s_or_b32 exec_lo, exec_lo, s1
	ds_write2_b64 v1, v[154:155], v[156:157] offset1:1
.LBB73_143:
	s_or_b32 exec_lo, exec_lo, s2
	s_waitcnt lgkmcnt(0)
	s_barrier
	buffer_gl0_inv
	ds_read2_b64 v[150:153], v1 offset1:1
	s_mov_b32 s1, exec_lo
	s_waitcnt lgkmcnt(0)
	buffer_store_dword v150, off, s[16:19], 0 offset:312 ; 4-byte Folded Spill
	buffer_store_dword v151, off, s[16:19], 0 offset:316 ; 4-byte Folded Spill
	buffer_store_dword v152, off, s[16:19], 0 offset:320 ; 4-byte Folded Spill
	buffer_store_dword v153, off, s[16:19], 0 offset:324 ; 4-byte Folded Spill
	v_cmpx_lt_u32_e32 15, v0
	s_cbranch_execz .LBB73_145
; %bb.144:
	s_clause 0x3
	buffer_load_dword v152, off, s[16:19], 0 offset:312
	buffer_load_dword v153, off, s[16:19], 0 offset:316
	;; [unrolled: 1-line block ×4, first 2 shown]
	s_waitcnt vmcnt(0)
	v_mul_f64 v[150:151], v[154:155], v[88:89]
	v_mul_f64 v[88:89], v[152:153], v[88:89]
	v_fma_f64 v[150:151], v[152:153], v[86:87], -v[150:151]
	v_fma_f64 v[88:89], v[154:155], v[86:87], v[88:89]
	ds_read2_b64 v[152:155], v194 offset0:32 offset1:33
	s_waitcnt lgkmcnt(0)
	v_mul_f64 v[86:87], v[154:155], v[88:89]
	v_fma_f64 v[86:87], v[152:153], v[150:151], -v[86:87]
	v_mul_f64 v[152:153], v[152:153], v[88:89]
	v_add_f64 v[82:83], v[82:83], -v[86:87]
	v_fma_f64 v[152:153], v[154:155], v[150:151], v[152:153]
	v_add_f64 v[84:85], v[84:85], -v[152:153]
	ds_read2_b64 v[152:155], v194 offset0:34 offset1:35
	s_waitcnt lgkmcnt(0)
	v_mul_f64 v[86:87], v[154:155], v[88:89]
	v_fma_f64 v[86:87], v[152:153], v[150:151], -v[86:87]
	v_mul_f64 v[152:153], v[152:153], v[88:89]
	v_add_f64 v[78:79], v[78:79], -v[86:87]
	v_fma_f64 v[152:153], v[154:155], v[150:151], v[152:153]
	v_add_f64 v[80:81], v[80:81], -v[152:153]
	;; [unrolled: 8-line block ×20, first 2 shown]
	ds_read2_b64 v[152:155], v194 offset0:72 offset1:73
	s_waitcnt lgkmcnt(0)
	v_mul_f64 v[86:87], v[154:155], v[88:89]
	v_fma_f64 v[86:87], v[152:153], v[150:151], -v[86:87]
	v_mul_f64 v[152:153], v[152:153], v[88:89]
	v_add_f64 v[2:3], v[2:3], -v[86:87]
	v_fma_f64 v[152:153], v[154:155], v[150:151], v[152:153]
	v_mov_b32_e32 v86, v150
	v_mov_b32_e32 v87, v151
	v_add_f64 v[4:5], v[4:5], -v[152:153]
.LBB73_145:
	s_or_b32 exec_lo, exec_lo, s1
	s_mov_b32 s2, exec_lo
	s_waitcnt_vscnt null, 0x0
	s_barrier
	buffer_gl0_inv
	v_cmpx_eq_u32_e32 16, v0
	s_cbranch_execz .LBB73_152
; %bb.146:
	ds_write2_b64 v1, v[82:83], v[84:85] offset1:1
	ds_write2_b64 v194, v[78:79], v[80:81] offset0:34 offset1:35
	ds_write2_b64 v194, v[74:75], v[76:77] offset0:36 offset1:37
	;; [unrolled: 1-line block ×20, first 2 shown]
	ds_read2_b64 v[150:153], v1 offset1:1
	s_waitcnt lgkmcnt(0)
	v_cmp_neq_f64_e32 vcc_lo, 0, v[150:151]
	v_cmp_neq_f64_e64 s1, 0, v[152:153]
	s_or_b32 s1, vcc_lo, s1
	s_and_b32 exec_lo, exec_lo, s1
	s_cbranch_execz .LBB73_152
; %bb.147:
	v_cmp_ngt_f64_e64 s1, |v[150:151]|, |v[152:153]|
                                        ; implicit-def: $vgpr154_vgpr155
	s_and_saveexec_b32 s3, s1
	s_xor_b32 s1, exec_lo, s3
                                        ; implicit-def: $vgpr156_vgpr157
	s_cbranch_execz .LBB73_149
; %bb.148:
	v_div_scale_f64 v[154:155], null, v[152:153], v[152:153], v[150:151]
	v_div_scale_f64 v[160:161], vcc_lo, v[150:151], v[152:153], v[150:151]
	v_rcp_f64_e32 v[156:157], v[154:155]
	v_fma_f64 v[158:159], -v[154:155], v[156:157], 1.0
	v_fma_f64 v[156:157], v[156:157], v[158:159], v[156:157]
	v_fma_f64 v[158:159], -v[154:155], v[156:157], 1.0
	v_fma_f64 v[156:157], v[156:157], v[158:159], v[156:157]
	v_mul_f64 v[158:159], v[160:161], v[156:157]
	v_fma_f64 v[154:155], -v[154:155], v[158:159], v[160:161]
	v_div_fmas_f64 v[154:155], v[154:155], v[156:157], v[158:159]
	v_div_fixup_f64 v[154:155], v[154:155], v[152:153], v[150:151]
	v_fma_f64 v[150:151], v[150:151], v[154:155], v[152:153]
	v_div_scale_f64 v[152:153], null, v[150:151], v[150:151], 1.0
	v_rcp_f64_e32 v[156:157], v[152:153]
	v_fma_f64 v[158:159], -v[152:153], v[156:157], 1.0
	v_fma_f64 v[156:157], v[156:157], v[158:159], v[156:157]
	v_fma_f64 v[158:159], -v[152:153], v[156:157], 1.0
	v_fma_f64 v[156:157], v[156:157], v[158:159], v[156:157]
	v_div_scale_f64 v[158:159], vcc_lo, 1.0, v[150:151], 1.0
	v_mul_f64 v[160:161], v[158:159], v[156:157]
	v_fma_f64 v[152:153], -v[152:153], v[160:161], v[158:159]
	v_div_fmas_f64 v[152:153], v[152:153], v[156:157], v[160:161]
	v_div_fixup_f64 v[156:157], v[152:153], v[150:151], 1.0
                                        ; implicit-def: $vgpr150_vgpr151
	v_mul_f64 v[154:155], v[154:155], v[156:157]
	v_xor_b32_e32 v157, 0x80000000, v157
.LBB73_149:
	s_andn2_saveexec_b32 s1, s1
	s_cbranch_execz .LBB73_151
; %bb.150:
	v_div_scale_f64 v[154:155], null, v[150:151], v[150:151], v[152:153]
	v_div_scale_f64 v[160:161], vcc_lo, v[152:153], v[150:151], v[152:153]
	v_rcp_f64_e32 v[156:157], v[154:155]
	v_fma_f64 v[158:159], -v[154:155], v[156:157], 1.0
	v_fma_f64 v[156:157], v[156:157], v[158:159], v[156:157]
	v_fma_f64 v[158:159], -v[154:155], v[156:157], 1.0
	v_fma_f64 v[156:157], v[156:157], v[158:159], v[156:157]
	v_mul_f64 v[158:159], v[160:161], v[156:157]
	v_fma_f64 v[154:155], -v[154:155], v[158:159], v[160:161]
	v_div_fmas_f64 v[154:155], v[154:155], v[156:157], v[158:159]
	v_div_fixup_f64 v[156:157], v[154:155], v[150:151], v[152:153]
	v_fma_f64 v[150:151], v[152:153], v[156:157], v[150:151]
	v_div_scale_f64 v[152:153], null, v[150:151], v[150:151], 1.0
	v_rcp_f64_e32 v[154:155], v[152:153]
	v_fma_f64 v[158:159], -v[152:153], v[154:155], 1.0
	v_fma_f64 v[154:155], v[154:155], v[158:159], v[154:155]
	v_fma_f64 v[158:159], -v[152:153], v[154:155], 1.0
	v_fma_f64 v[154:155], v[154:155], v[158:159], v[154:155]
	v_div_scale_f64 v[158:159], vcc_lo, 1.0, v[150:151], 1.0
	v_mul_f64 v[160:161], v[158:159], v[154:155]
	v_fma_f64 v[152:153], -v[152:153], v[160:161], v[158:159]
	v_div_fmas_f64 v[152:153], v[152:153], v[154:155], v[160:161]
	v_div_fixup_f64 v[154:155], v[152:153], v[150:151], 1.0
	v_mul_f64 v[156:157], v[156:157], -v[154:155]
.LBB73_151:
	s_or_b32 exec_lo, exec_lo, s1
	ds_write2_b64 v1, v[154:155], v[156:157] offset1:1
.LBB73_152:
	s_or_b32 exec_lo, exec_lo, s2
	s_waitcnt lgkmcnt(0)
	s_barrier
	buffer_gl0_inv
	ds_read2_b64 v[150:153], v1 offset1:1
	s_mov_b32 s1, exec_lo
	s_waitcnt lgkmcnt(0)
	buffer_store_dword v150, off, s[16:19], 0 offset:328 ; 4-byte Folded Spill
	buffer_store_dword v151, off, s[16:19], 0 offset:332 ; 4-byte Folded Spill
	buffer_store_dword v152, off, s[16:19], 0 offset:336 ; 4-byte Folded Spill
	buffer_store_dword v153, off, s[16:19], 0 offset:340 ; 4-byte Folded Spill
	v_cmpx_lt_u32_e32 16, v0
	s_cbranch_execz .LBB73_154
; %bb.153:
	s_clause 0x3
	buffer_load_dword v152, off, s[16:19], 0 offset:328
	buffer_load_dword v153, off, s[16:19], 0 offset:332
	;; [unrolled: 1-line block ×4, first 2 shown]
	s_waitcnt vmcnt(0)
	v_mul_f64 v[150:151], v[154:155], v[84:85]
	v_mul_f64 v[84:85], v[152:153], v[84:85]
	v_fma_f64 v[150:151], v[152:153], v[82:83], -v[150:151]
	v_fma_f64 v[84:85], v[154:155], v[82:83], v[84:85]
	ds_read2_b64 v[152:155], v194 offset0:34 offset1:35
	s_waitcnt lgkmcnt(0)
	v_mul_f64 v[82:83], v[154:155], v[84:85]
	v_fma_f64 v[82:83], v[152:153], v[150:151], -v[82:83]
	v_mul_f64 v[152:153], v[152:153], v[84:85]
	v_add_f64 v[78:79], v[78:79], -v[82:83]
	v_fma_f64 v[152:153], v[154:155], v[150:151], v[152:153]
	v_add_f64 v[80:81], v[80:81], -v[152:153]
	ds_read2_b64 v[152:155], v194 offset0:36 offset1:37
	s_waitcnt lgkmcnt(0)
	v_mul_f64 v[82:83], v[154:155], v[84:85]
	v_fma_f64 v[82:83], v[152:153], v[150:151], -v[82:83]
	v_mul_f64 v[152:153], v[152:153], v[84:85]
	v_add_f64 v[74:75], v[74:75], -v[82:83]
	v_fma_f64 v[152:153], v[154:155], v[150:151], v[152:153]
	v_add_f64 v[76:77], v[76:77], -v[152:153]
	;; [unrolled: 8-line block ×19, first 2 shown]
	ds_read2_b64 v[152:155], v194 offset0:72 offset1:73
	s_waitcnt lgkmcnt(0)
	v_mul_f64 v[82:83], v[154:155], v[84:85]
	v_fma_f64 v[82:83], v[152:153], v[150:151], -v[82:83]
	v_mul_f64 v[152:153], v[152:153], v[84:85]
	v_add_f64 v[2:3], v[2:3], -v[82:83]
	v_fma_f64 v[152:153], v[154:155], v[150:151], v[152:153]
	v_mov_b32_e32 v82, v150
	v_mov_b32_e32 v83, v151
	v_add_f64 v[4:5], v[4:5], -v[152:153]
.LBB73_154:
	s_or_b32 exec_lo, exec_lo, s1
	s_mov_b32 s2, exec_lo
	s_waitcnt_vscnt null, 0x0
	s_barrier
	buffer_gl0_inv
	v_cmpx_eq_u32_e32 17, v0
	s_cbranch_execz .LBB73_161
; %bb.155:
	ds_write2_b64 v1, v[78:79], v[80:81] offset1:1
	ds_write2_b64 v194, v[74:75], v[76:77] offset0:36 offset1:37
	ds_write2_b64 v194, v[70:71], v[72:73] offset0:38 offset1:39
	;; [unrolled: 1-line block ×19, first 2 shown]
	ds_read2_b64 v[150:153], v1 offset1:1
	s_waitcnt lgkmcnt(0)
	v_cmp_neq_f64_e32 vcc_lo, 0, v[150:151]
	v_cmp_neq_f64_e64 s1, 0, v[152:153]
	s_or_b32 s1, vcc_lo, s1
	s_and_b32 exec_lo, exec_lo, s1
	s_cbranch_execz .LBB73_161
; %bb.156:
	v_cmp_ngt_f64_e64 s1, |v[150:151]|, |v[152:153]|
                                        ; implicit-def: $vgpr154_vgpr155
	s_and_saveexec_b32 s3, s1
	s_xor_b32 s1, exec_lo, s3
                                        ; implicit-def: $vgpr156_vgpr157
	s_cbranch_execz .LBB73_158
; %bb.157:
	v_div_scale_f64 v[154:155], null, v[152:153], v[152:153], v[150:151]
	v_div_scale_f64 v[160:161], vcc_lo, v[150:151], v[152:153], v[150:151]
	v_rcp_f64_e32 v[156:157], v[154:155]
	v_fma_f64 v[158:159], -v[154:155], v[156:157], 1.0
	v_fma_f64 v[156:157], v[156:157], v[158:159], v[156:157]
	v_fma_f64 v[158:159], -v[154:155], v[156:157], 1.0
	v_fma_f64 v[156:157], v[156:157], v[158:159], v[156:157]
	v_mul_f64 v[158:159], v[160:161], v[156:157]
	v_fma_f64 v[154:155], -v[154:155], v[158:159], v[160:161]
	v_div_fmas_f64 v[154:155], v[154:155], v[156:157], v[158:159]
	v_div_fixup_f64 v[154:155], v[154:155], v[152:153], v[150:151]
	v_fma_f64 v[150:151], v[150:151], v[154:155], v[152:153]
	v_div_scale_f64 v[152:153], null, v[150:151], v[150:151], 1.0
	v_rcp_f64_e32 v[156:157], v[152:153]
	v_fma_f64 v[158:159], -v[152:153], v[156:157], 1.0
	v_fma_f64 v[156:157], v[156:157], v[158:159], v[156:157]
	v_fma_f64 v[158:159], -v[152:153], v[156:157], 1.0
	v_fma_f64 v[156:157], v[156:157], v[158:159], v[156:157]
	v_div_scale_f64 v[158:159], vcc_lo, 1.0, v[150:151], 1.0
	v_mul_f64 v[160:161], v[158:159], v[156:157]
	v_fma_f64 v[152:153], -v[152:153], v[160:161], v[158:159]
	v_div_fmas_f64 v[152:153], v[152:153], v[156:157], v[160:161]
	v_div_fixup_f64 v[156:157], v[152:153], v[150:151], 1.0
                                        ; implicit-def: $vgpr150_vgpr151
	v_mul_f64 v[154:155], v[154:155], v[156:157]
	v_xor_b32_e32 v157, 0x80000000, v157
.LBB73_158:
	s_andn2_saveexec_b32 s1, s1
	s_cbranch_execz .LBB73_160
; %bb.159:
	v_div_scale_f64 v[154:155], null, v[150:151], v[150:151], v[152:153]
	v_div_scale_f64 v[160:161], vcc_lo, v[152:153], v[150:151], v[152:153]
	v_rcp_f64_e32 v[156:157], v[154:155]
	v_fma_f64 v[158:159], -v[154:155], v[156:157], 1.0
	v_fma_f64 v[156:157], v[156:157], v[158:159], v[156:157]
	v_fma_f64 v[158:159], -v[154:155], v[156:157], 1.0
	v_fma_f64 v[156:157], v[156:157], v[158:159], v[156:157]
	v_mul_f64 v[158:159], v[160:161], v[156:157]
	v_fma_f64 v[154:155], -v[154:155], v[158:159], v[160:161]
	v_div_fmas_f64 v[154:155], v[154:155], v[156:157], v[158:159]
	v_div_fixup_f64 v[156:157], v[154:155], v[150:151], v[152:153]
	v_fma_f64 v[150:151], v[152:153], v[156:157], v[150:151]
	v_div_scale_f64 v[152:153], null, v[150:151], v[150:151], 1.0
	v_rcp_f64_e32 v[154:155], v[152:153]
	v_fma_f64 v[158:159], -v[152:153], v[154:155], 1.0
	v_fma_f64 v[154:155], v[154:155], v[158:159], v[154:155]
	v_fma_f64 v[158:159], -v[152:153], v[154:155], 1.0
	v_fma_f64 v[154:155], v[154:155], v[158:159], v[154:155]
	v_div_scale_f64 v[158:159], vcc_lo, 1.0, v[150:151], 1.0
	v_mul_f64 v[160:161], v[158:159], v[154:155]
	v_fma_f64 v[152:153], -v[152:153], v[160:161], v[158:159]
	v_div_fmas_f64 v[152:153], v[152:153], v[154:155], v[160:161]
	v_div_fixup_f64 v[154:155], v[152:153], v[150:151], 1.0
	v_mul_f64 v[156:157], v[156:157], -v[154:155]
.LBB73_160:
	s_or_b32 exec_lo, exec_lo, s1
	ds_write2_b64 v1, v[154:155], v[156:157] offset1:1
.LBB73_161:
	s_or_b32 exec_lo, exec_lo, s2
	s_waitcnt lgkmcnt(0)
	s_barrier
	buffer_gl0_inv
	ds_read2_b64 v[150:153], v1 offset1:1
	s_mov_b32 s1, exec_lo
	s_waitcnt lgkmcnt(0)
	buffer_store_dword v150, off, s[16:19], 0 offset:344 ; 4-byte Folded Spill
	buffer_store_dword v151, off, s[16:19], 0 offset:348 ; 4-byte Folded Spill
	;; [unrolled: 1-line block ×4, first 2 shown]
	v_cmpx_lt_u32_e32 17, v0
	s_cbranch_execz .LBB73_163
; %bb.162:
	s_clause 0x3
	buffer_load_dword v152, off, s[16:19], 0 offset:344
	buffer_load_dword v153, off, s[16:19], 0 offset:348
	;; [unrolled: 1-line block ×4, first 2 shown]
	s_waitcnt vmcnt(0)
	v_mul_f64 v[150:151], v[154:155], v[80:81]
	v_mul_f64 v[80:81], v[152:153], v[80:81]
	v_fma_f64 v[150:151], v[152:153], v[78:79], -v[150:151]
	v_fma_f64 v[80:81], v[154:155], v[78:79], v[80:81]
	ds_read2_b64 v[152:155], v194 offset0:36 offset1:37
	s_waitcnt lgkmcnt(0)
	v_mul_f64 v[78:79], v[154:155], v[80:81]
	v_fma_f64 v[78:79], v[152:153], v[150:151], -v[78:79]
	v_mul_f64 v[152:153], v[152:153], v[80:81]
	v_add_f64 v[74:75], v[74:75], -v[78:79]
	v_fma_f64 v[152:153], v[154:155], v[150:151], v[152:153]
	v_add_f64 v[76:77], v[76:77], -v[152:153]
	ds_read2_b64 v[152:155], v194 offset0:38 offset1:39
	s_waitcnt lgkmcnt(0)
	v_mul_f64 v[78:79], v[154:155], v[80:81]
	v_fma_f64 v[78:79], v[152:153], v[150:151], -v[78:79]
	v_mul_f64 v[152:153], v[152:153], v[80:81]
	v_add_f64 v[70:71], v[70:71], -v[78:79]
	v_fma_f64 v[152:153], v[154:155], v[150:151], v[152:153]
	v_add_f64 v[72:73], v[72:73], -v[152:153]
	ds_read2_b64 v[152:155], v194 offset0:40 offset1:41
	s_waitcnt lgkmcnt(0)
	v_mul_f64 v[78:79], v[154:155], v[80:81]
	v_fma_f64 v[78:79], v[152:153], v[150:151], -v[78:79]
	v_mul_f64 v[152:153], v[152:153], v[80:81]
	v_add_f64 v[66:67], v[66:67], -v[78:79]
	v_fma_f64 v[152:153], v[154:155], v[150:151], v[152:153]
	v_add_f64 v[68:69], v[68:69], -v[152:153]
	ds_read2_b64 v[152:155], v194 offset0:42 offset1:43
	s_waitcnt lgkmcnt(0)
	v_mul_f64 v[78:79], v[154:155], v[80:81]
	v_fma_f64 v[78:79], v[152:153], v[150:151], -v[78:79]
	v_mul_f64 v[152:153], v[152:153], v[80:81]
	v_add_f64 v[62:63], v[62:63], -v[78:79]
	v_fma_f64 v[152:153], v[154:155], v[150:151], v[152:153]
	v_add_f64 v[64:65], v[64:65], -v[152:153]
	ds_read2_b64 v[152:155], v194 offset0:44 offset1:45
	s_waitcnt lgkmcnt(0)
	v_mul_f64 v[78:79], v[154:155], v[80:81]
	v_fma_f64 v[78:79], v[152:153], v[150:151], -v[78:79]
	v_mul_f64 v[152:153], v[152:153], v[80:81]
	v_add_f64 v[58:59], v[58:59], -v[78:79]
	v_fma_f64 v[152:153], v[154:155], v[150:151], v[152:153]
	v_add_f64 v[60:61], v[60:61], -v[152:153]
	ds_read2_b64 v[152:155], v194 offset0:46 offset1:47
	s_waitcnt lgkmcnt(0)
	v_mul_f64 v[78:79], v[154:155], v[80:81]
	v_fma_f64 v[78:79], v[152:153], v[150:151], -v[78:79]
	v_mul_f64 v[152:153], v[152:153], v[80:81]
	v_add_f64 v[54:55], v[54:55], -v[78:79]
	v_fma_f64 v[152:153], v[154:155], v[150:151], v[152:153]
	v_add_f64 v[56:57], v[56:57], -v[152:153]
	ds_read2_b64 v[152:155], v194 offset0:48 offset1:49
	s_waitcnt lgkmcnt(0)
	v_mul_f64 v[78:79], v[154:155], v[80:81]
	v_fma_f64 v[78:79], v[152:153], v[150:151], -v[78:79]
	v_mul_f64 v[152:153], v[152:153], v[80:81]
	v_add_f64 v[50:51], v[50:51], -v[78:79]
	v_fma_f64 v[152:153], v[154:155], v[150:151], v[152:153]
	v_add_f64 v[52:53], v[52:53], -v[152:153]
	ds_read2_b64 v[152:155], v194 offset0:50 offset1:51
	s_waitcnt lgkmcnt(0)
	v_mul_f64 v[78:79], v[154:155], v[80:81]
	v_fma_f64 v[78:79], v[152:153], v[150:151], -v[78:79]
	v_mul_f64 v[152:153], v[152:153], v[80:81]
	v_add_f64 v[46:47], v[46:47], -v[78:79]
	v_fma_f64 v[152:153], v[154:155], v[150:151], v[152:153]
	v_add_f64 v[48:49], v[48:49], -v[152:153]
	ds_read2_b64 v[152:155], v194 offset0:52 offset1:53
	s_waitcnt lgkmcnt(0)
	v_mul_f64 v[78:79], v[154:155], v[80:81]
	v_fma_f64 v[78:79], v[152:153], v[150:151], -v[78:79]
	v_mul_f64 v[152:153], v[152:153], v[80:81]
	v_add_f64 v[42:43], v[42:43], -v[78:79]
	v_fma_f64 v[152:153], v[154:155], v[150:151], v[152:153]
	v_add_f64 v[44:45], v[44:45], -v[152:153]
	ds_read2_b64 v[152:155], v194 offset0:54 offset1:55
	s_waitcnt lgkmcnt(0)
	v_mul_f64 v[78:79], v[154:155], v[80:81]
	v_fma_f64 v[78:79], v[152:153], v[150:151], -v[78:79]
	v_mul_f64 v[152:153], v[152:153], v[80:81]
	v_add_f64 v[38:39], v[38:39], -v[78:79]
	v_fma_f64 v[152:153], v[154:155], v[150:151], v[152:153]
	v_add_f64 v[40:41], v[40:41], -v[152:153]
	ds_read2_b64 v[152:155], v194 offset0:56 offset1:57
	s_waitcnt lgkmcnt(0)
	v_mul_f64 v[78:79], v[154:155], v[80:81]
	v_fma_f64 v[78:79], v[152:153], v[150:151], -v[78:79]
	v_mul_f64 v[152:153], v[152:153], v[80:81]
	v_add_f64 v[34:35], v[34:35], -v[78:79]
	v_fma_f64 v[152:153], v[154:155], v[150:151], v[152:153]
	v_add_f64 v[36:37], v[36:37], -v[152:153]
	ds_read2_b64 v[152:155], v194 offset0:58 offset1:59
	s_waitcnt lgkmcnt(0)
	v_mul_f64 v[78:79], v[154:155], v[80:81]
	v_fma_f64 v[78:79], v[152:153], v[150:151], -v[78:79]
	v_mul_f64 v[152:153], v[152:153], v[80:81]
	v_add_f64 v[30:31], v[30:31], -v[78:79]
	v_fma_f64 v[152:153], v[154:155], v[150:151], v[152:153]
	v_add_f64 v[32:33], v[32:33], -v[152:153]
	ds_read2_b64 v[152:155], v194 offset0:60 offset1:61
	s_waitcnt lgkmcnt(0)
	v_mul_f64 v[78:79], v[154:155], v[80:81]
	v_fma_f64 v[78:79], v[152:153], v[150:151], -v[78:79]
	v_mul_f64 v[152:153], v[152:153], v[80:81]
	v_add_f64 v[26:27], v[26:27], -v[78:79]
	v_fma_f64 v[152:153], v[154:155], v[150:151], v[152:153]
	v_add_f64 v[28:29], v[28:29], -v[152:153]
	ds_read2_b64 v[152:155], v194 offset0:62 offset1:63
	s_waitcnt lgkmcnt(0)
	v_mul_f64 v[78:79], v[154:155], v[80:81]
	v_fma_f64 v[78:79], v[152:153], v[150:151], -v[78:79]
	v_mul_f64 v[152:153], v[152:153], v[80:81]
	v_add_f64 v[22:23], v[22:23], -v[78:79]
	v_fma_f64 v[152:153], v[154:155], v[150:151], v[152:153]
	v_add_f64 v[24:25], v[24:25], -v[152:153]
	ds_read2_b64 v[152:155], v194 offset0:64 offset1:65
	s_waitcnt lgkmcnt(0)
	v_mul_f64 v[78:79], v[154:155], v[80:81]
	v_fma_f64 v[78:79], v[152:153], v[150:151], -v[78:79]
	v_mul_f64 v[152:153], v[152:153], v[80:81]
	v_add_f64 v[18:19], v[18:19], -v[78:79]
	v_fma_f64 v[152:153], v[154:155], v[150:151], v[152:153]
	v_add_f64 v[20:21], v[20:21], -v[152:153]
	ds_read2_b64 v[152:155], v194 offset0:66 offset1:67
	s_waitcnt lgkmcnt(0)
	v_mul_f64 v[78:79], v[154:155], v[80:81]
	v_fma_f64 v[78:79], v[152:153], v[150:151], -v[78:79]
	v_mul_f64 v[152:153], v[152:153], v[80:81]
	v_add_f64 v[14:15], v[14:15], -v[78:79]
	v_fma_f64 v[152:153], v[154:155], v[150:151], v[152:153]
	v_add_f64 v[16:17], v[16:17], -v[152:153]
	ds_read2_b64 v[152:155], v194 offset0:68 offset1:69
	s_waitcnt lgkmcnt(0)
	v_mul_f64 v[78:79], v[154:155], v[80:81]
	v_fma_f64 v[78:79], v[152:153], v[150:151], -v[78:79]
	v_mul_f64 v[152:153], v[152:153], v[80:81]
	v_add_f64 v[10:11], v[10:11], -v[78:79]
	v_fma_f64 v[152:153], v[154:155], v[150:151], v[152:153]
	v_add_f64 v[12:13], v[12:13], -v[152:153]
	ds_read2_b64 v[152:155], v194 offset0:70 offset1:71
	s_waitcnt lgkmcnt(0)
	v_mul_f64 v[78:79], v[154:155], v[80:81]
	v_fma_f64 v[78:79], v[152:153], v[150:151], -v[78:79]
	v_mul_f64 v[152:153], v[152:153], v[80:81]
	v_add_f64 v[6:7], v[6:7], -v[78:79]
	v_fma_f64 v[152:153], v[154:155], v[150:151], v[152:153]
	v_add_f64 v[8:9], v[8:9], -v[152:153]
	ds_read2_b64 v[152:155], v194 offset0:72 offset1:73
	s_waitcnt lgkmcnt(0)
	v_mul_f64 v[78:79], v[154:155], v[80:81]
	v_fma_f64 v[78:79], v[152:153], v[150:151], -v[78:79]
	v_mul_f64 v[152:153], v[152:153], v[80:81]
	v_add_f64 v[2:3], v[2:3], -v[78:79]
	v_fma_f64 v[152:153], v[154:155], v[150:151], v[152:153]
	v_mov_b32_e32 v78, v150
	v_mov_b32_e32 v79, v151
	v_add_f64 v[4:5], v[4:5], -v[152:153]
.LBB73_163:
	s_or_b32 exec_lo, exec_lo, s1
	s_mov_b32 s2, exec_lo
	s_waitcnt_vscnt null, 0x0
	s_barrier
	buffer_gl0_inv
	v_cmpx_eq_u32_e32 18, v0
	s_cbranch_execz .LBB73_170
; %bb.164:
	ds_write2_b64 v1, v[74:75], v[76:77] offset1:1
	ds_write2_b64 v194, v[70:71], v[72:73] offset0:38 offset1:39
	ds_write2_b64 v194, v[66:67], v[68:69] offset0:40 offset1:41
	;; [unrolled: 1-line block ×18, first 2 shown]
	ds_read2_b64 v[150:153], v1 offset1:1
	s_waitcnt lgkmcnt(0)
	v_cmp_neq_f64_e32 vcc_lo, 0, v[150:151]
	v_cmp_neq_f64_e64 s1, 0, v[152:153]
	s_or_b32 s1, vcc_lo, s1
	s_and_b32 exec_lo, exec_lo, s1
	s_cbranch_execz .LBB73_170
; %bb.165:
	v_cmp_ngt_f64_e64 s1, |v[150:151]|, |v[152:153]|
                                        ; implicit-def: $vgpr154_vgpr155
	s_and_saveexec_b32 s3, s1
	s_xor_b32 s1, exec_lo, s3
                                        ; implicit-def: $vgpr156_vgpr157
	s_cbranch_execz .LBB73_167
; %bb.166:
	v_div_scale_f64 v[154:155], null, v[152:153], v[152:153], v[150:151]
	v_div_scale_f64 v[160:161], vcc_lo, v[150:151], v[152:153], v[150:151]
	v_rcp_f64_e32 v[156:157], v[154:155]
	v_fma_f64 v[158:159], -v[154:155], v[156:157], 1.0
	v_fma_f64 v[156:157], v[156:157], v[158:159], v[156:157]
	v_fma_f64 v[158:159], -v[154:155], v[156:157], 1.0
	v_fma_f64 v[156:157], v[156:157], v[158:159], v[156:157]
	v_mul_f64 v[158:159], v[160:161], v[156:157]
	v_fma_f64 v[154:155], -v[154:155], v[158:159], v[160:161]
	v_div_fmas_f64 v[154:155], v[154:155], v[156:157], v[158:159]
	v_div_fixup_f64 v[154:155], v[154:155], v[152:153], v[150:151]
	v_fma_f64 v[150:151], v[150:151], v[154:155], v[152:153]
	v_div_scale_f64 v[152:153], null, v[150:151], v[150:151], 1.0
	v_rcp_f64_e32 v[156:157], v[152:153]
	v_fma_f64 v[158:159], -v[152:153], v[156:157], 1.0
	v_fma_f64 v[156:157], v[156:157], v[158:159], v[156:157]
	v_fma_f64 v[158:159], -v[152:153], v[156:157], 1.0
	v_fma_f64 v[156:157], v[156:157], v[158:159], v[156:157]
	v_div_scale_f64 v[158:159], vcc_lo, 1.0, v[150:151], 1.0
	v_mul_f64 v[160:161], v[158:159], v[156:157]
	v_fma_f64 v[152:153], -v[152:153], v[160:161], v[158:159]
	v_div_fmas_f64 v[152:153], v[152:153], v[156:157], v[160:161]
	v_div_fixup_f64 v[156:157], v[152:153], v[150:151], 1.0
                                        ; implicit-def: $vgpr150_vgpr151
	v_mul_f64 v[154:155], v[154:155], v[156:157]
	v_xor_b32_e32 v157, 0x80000000, v157
.LBB73_167:
	s_andn2_saveexec_b32 s1, s1
	s_cbranch_execz .LBB73_169
; %bb.168:
	v_div_scale_f64 v[154:155], null, v[150:151], v[150:151], v[152:153]
	v_div_scale_f64 v[160:161], vcc_lo, v[152:153], v[150:151], v[152:153]
	v_rcp_f64_e32 v[156:157], v[154:155]
	v_fma_f64 v[158:159], -v[154:155], v[156:157], 1.0
	v_fma_f64 v[156:157], v[156:157], v[158:159], v[156:157]
	v_fma_f64 v[158:159], -v[154:155], v[156:157], 1.0
	v_fma_f64 v[156:157], v[156:157], v[158:159], v[156:157]
	v_mul_f64 v[158:159], v[160:161], v[156:157]
	v_fma_f64 v[154:155], -v[154:155], v[158:159], v[160:161]
	v_div_fmas_f64 v[154:155], v[154:155], v[156:157], v[158:159]
	v_div_fixup_f64 v[156:157], v[154:155], v[150:151], v[152:153]
	v_fma_f64 v[150:151], v[152:153], v[156:157], v[150:151]
	v_div_scale_f64 v[152:153], null, v[150:151], v[150:151], 1.0
	v_rcp_f64_e32 v[154:155], v[152:153]
	v_fma_f64 v[158:159], -v[152:153], v[154:155], 1.0
	v_fma_f64 v[154:155], v[154:155], v[158:159], v[154:155]
	v_fma_f64 v[158:159], -v[152:153], v[154:155], 1.0
	v_fma_f64 v[154:155], v[154:155], v[158:159], v[154:155]
	v_div_scale_f64 v[158:159], vcc_lo, 1.0, v[150:151], 1.0
	v_mul_f64 v[160:161], v[158:159], v[154:155]
	v_fma_f64 v[152:153], -v[152:153], v[160:161], v[158:159]
	v_div_fmas_f64 v[152:153], v[152:153], v[154:155], v[160:161]
	v_div_fixup_f64 v[154:155], v[152:153], v[150:151], 1.0
	v_mul_f64 v[156:157], v[156:157], -v[154:155]
.LBB73_169:
	s_or_b32 exec_lo, exec_lo, s1
	ds_write2_b64 v1, v[154:155], v[156:157] offset1:1
.LBB73_170:
	s_or_b32 exec_lo, exec_lo, s2
	s_waitcnt lgkmcnt(0)
	s_barrier
	buffer_gl0_inv
	ds_read2_b64 v[150:153], v1 offset1:1
	s_mov_b32 s1, exec_lo
	s_waitcnt lgkmcnt(0)
	buffer_store_dword v150, off, s[16:19], 0 offset:360 ; 4-byte Folded Spill
	buffer_store_dword v151, off, s[16:19], 0 offset:364 ; 4-byte Folded Spill
	;; [unrolled: 1-line block ×4, first 2 shown]
	v_cmpx_lt_u32_e32 18, v0
	s_cbranch_execz .LBB73_172
; %bb.171:
	s_clause 0x3
	buffer_load_dword v152, off, s[16:19], 0 offset:360
	buffer_load_dword v153, off, s[16:19], 0 offset:364
	;; [unrolled: 1-line block ×4, first 2 shown]
	s_waitcnt vmcnt(0)
	v_mul_f64 v[150:151], v[154:155], v[76:77]
	v_mul_f64 v[76:77], v[152:153], v[76:77]
	v_fma_f64 v[150:151], v[152:153], v[74:75], -v[150:151]
	v_fma_f64 v[76:77], v[154:155], v[74:75], v[76:77]
	ds_read2_b64 v[152:155], v194 offset0:38 offset1:39
	s_waitcnt lgkmcnt(0)
	v_mul_f64 v[74:75], v[154:155], v[76:77]
	v_fma_f64 v[74:75], v[152:153], v[150:151], -v[74:75]
	v_mul_f64 v[152:153], v[152:153], v[76:77]
	v_add_f64 v[70:71], v[70:71], -v[74:75]
	v_fma_f64 v[152:153], v[154:155], v[150:151], v[152:153]
	v_add_f64 v[72:73], v[72:73], -v[152:153]
	ds_read2_b64 v[152:155], v194 offset0:40 offset1:41
	s_waitcnt lgkmcnt(0)
	v_mul_f64 v[74:75], v[154:155], v[76:77]
	v_fma_f64 v[74:75], v[152:153], v[150:151], -v[74:75]
	v_mul_f64 v[152:153], v[152:153], v[76:77]
	v_add_f64 v[66:67], v[66:67], -v[74:75]
	v_fma_f64 v[152:153], v[154:155], v[150:151], v[152:153]
	v_add_f64 v[68:69], v[68:69], -v[152:153]
	;; [unrolled: 8-line block ×17, first 2 shown]
	ds_read2_b64 v[152:155], v194 offset0:72 offset1:73
	s_waitcnt lgkmcnt(0)
	v_mul_f64 v[74:75], v[154:155], v[76:77]
	v_fma_f64 v[74:75], v[152:153], v[150:151], -v[74:75]
	v_mul_f64 v[152:153], v[152:153], v[76:77]
	v_add_f64 v[2:3], v[2:3], -v[74:75]
	v_fma_f64 v[152:153], v[154:155], v[150:151], v[152:153]
	v_mov_b32_e32 v74, v150
	v_mov_b32_e32 v75, v151
	v_add_f64 v[4:5], v[4:5], -v[152:153]
.LBB73_172:
	s_or_b32 exec_lo, exec_lo, s1
	s_mov_b32 s2, exec_lo
	s_waitcnt_vscnt null, 0x0
	s_barrier
	buffer_gl0_inv
	v_cmpx_eq_u32_e32 19, v0
	s_cbranch_execz .LBB73_179
; %bb.173:
	ds_write2_b64 v1, v[70:71], v[72:73] offset1:1
	ds_write2_b64 v194, v[66:67], v[68:69] offset0:40 offset1:41
	ds_write2_b64 v194, v[62:63], v[64:65] offset0:42 offset1:43
	;; [unrolled: 1-line block ×17, first 2 shown]
	ds_read2_b64 v[150:153], v1 offset1:1
	s_waitcnt lgkmcnt(0)
	v_cmp_neq_f64_e32 vcc_lo, 0, v[150:151]
	v_cmp_neq_f64_e64 s1, 0, v[152:153]
	s_or_b32 s1, vcc_lo, s1
	s_and_b32 exec_lo, exec_lo, s1
	s_cbranch_execz .LBB73_179
; %bb.174:
	v_cmp_ngt_f64_e64 s1, |v[150:151]|, |v[152:153]|
                                        ; implicit-def: $vgpr154_vgpr155
	s_and_saveexec_b32 s3, s1
	s_xor_b32 s1, exec_lo, s3
                                        ; implicit-def: $vgpr156_vgpr157
	s_cbranch_execz .LBB73_176
; %bb.175:
	v_div_scale_f64 v[154:155], null, v[152:153], v[152:153], v[150:151]
	v_div_scale_f64 v[160:161], vcc_lo, v[150:151], v[152:153], v[150:151]
	v_rcp_f64_e32 v[156:157], v[154:155]
	v_fma_f64 v[158:159], -v[154:155], v[156:157], 1.0
	v_fma_f64 v[156:157], v[156:157], v[158:159], v[156:157]
	v_fma_f64 v[158:159], -v[154:155], v[156:157], 1.0
	v_fma_f64 v[156:157], v[156:157], v[158:159], v[156:157]
	v_mul_f64 v[158:159], v[160:161], v[156:157]
	v_fma_f64 v[154:155], -v[154:155], v[158:159], v[160:161]
	v_div_fmas_f64 v[154:155], v[154:155], v[156:157], v[158:159]
	v_div_fixup_f64 v[154:155], v[154:155], v[152:153], v[150:151]
	v_fma_f64 v[150:151], v[150:151], v[154:155], v[152:153]
	v_div_scale_f64 v[152:153], null, v[150:151], v[150:151], 1.0
	v_rcp_f64_e32 v[156:157], v[152:153]
	v_fma_f64 v[158:159], -v[152:153], v[156:157], 1.0
	v_fma_f64 v[156:157], v[156:157], v[158:159], v[156:157]
	v_fma_f64 v[158:159], -v[152:153], v[156:157], 1.0
	v_fma_f64 v[156:157], v[156:157], v[158:159], v[156:157]
	v_div_scale_f64 v[158:159], vcc_lo, 1.0, v[150:151], 1.0
	v_mul_f64 v[160:161], v[158:159], v[156:157]
	v_fma_f64 v[152:153], -v[152:153], v[160:161], v[158:159]
	v_div_fmas_f64 v[152:153], v[152:153], v[156:157], v[160:161]
	v_div_fixup_f64 v[156:157], v[152:153], v[150:151], 1.0
                                        ; implicit-def: $vgpr150_vgpr151
	v_mul_f64 v[154:155], v[154:155], v[156:157]
	v_xor_b32_e32 v157, 0x80000000, v157
.LBB73_176:
	s_andn2_saveexec_b32 s1, s1
	s_cbranch_execz .LBB73_178
; %bb.177:
	v_div_scale_f64 v[154:155], null, v[150:151], v[150:151], v[152:153]
	v_div_scale_f64 v[160:161], vcc_lo, v[152:153], v[150:151], v[152:153]
	v_rcp_f64_e32 v[156:157], v[154:155]
	v_fma_f64 v[158:159], -v[154:155], v[156:157], 1.0
	v_fma_f64 v[156:157], v[156:157], v[158:159], v[156:157]
	v_fma_f64 v[158:159], -v[154:155], v[156:157], 1.0
	v_fma_f64 v[156:157], v[156:157], v[158:159], v[156:157]
	v_mul_f64 v[158:159], v[160:161], v[156:157]
	v_fma_f64 v[154:155], -v[154:155], v[158:159], v[160:161]
	v_div_fmas_f64 v[154:155], v[154:155], v[156:157], v[158:159]
	v_div_fixup_f64 v[156:157], v[154:155], v[150:151], v[152:153]
	v_fma_f64 v[150:151], v[152:153], v[156:157], v[150:151]
	v_div_scale_f64 v[152:153], null, v[150:151], v[150:151], 1.0
	v_rcp_f64_e32 v[154:155], v[152:153]
	v_fma_f64 v[158:159], -v[152:153], v[154:155], 1.0
	v_fma_f64 v[154:155], v[154:155], v[158:159], v[154:155]
	v_fma_f64 v[158:159], -v[152:153], v[154:155], 1.0
	v_fma_f64 v[154:155], v[154:155], v[158:159], v[154:155]
	v_div_scale_f64 v[158:159], vcc_lo, 1.0, v[150:151], 1.0
	v_mul_f64 v[160:161], v[158:159], v[154:155]
	v_fma_f64 v[152:153], -v[152:153], v[160:161], v[158:159]
	v_div_fmas_f64 v[152:153], v[152:153], v[154:155], v[160:161]
	v_div_fixup_f64 v[154:155], v[152:153], v[150:151], 1.0
	v_mul_f64 v[156:157], v[156:157], -v[154:155]
.LBB73_178:
	s_or_b32 exec_lo, exec_lo, s1
	ds_write2_b64 v1, v[154:155], v[156:157] offset1:1
.LBB73_179:
	s_or_b32 exec_lo, exec_lo, s2
	s_waitcnt lgkmcnt(0)
	s_barrier
	buffer_gl0_inv
	ds_read2_b64 v[150:153], v1 offset1:1
	s_mov_b32 s1, exec_lo
	s_waitcnt lgkmcnt(0)
	buffer_store_dword v150, off, s[16:19], 0 offset:376 ; 4-byte Folded Spill
	buffer_store_dword v151, off, s[16:19], 0 offset:380 ; 4-byte Folded Spill
	;; [unrolled: 1-line block ×4, first 2 shown]
	v_cmpx_lt_u32_e32 19, v0
	s_cbranch_execz .LBB73_181
; %bb.180:
	s_clause 0x3
	buffer_load_dword v152, off, s[16:19], 0 offset:376
	buffer_load_dword v153, off, s[16:19], 0 offset:380
	;; [unrolled: 1-line block ×4, first 2 shown]
	s_waitcnt vmcnt(0)
	v_mul_f64 v[150:151], v[154:155], v[72:73]
	v_mul_f64 v[72:73], v[152:153], v[72:73]
	v_fma_f64 v[150:151], v[152:153], v[70:71], -v[150:151]
	v_fma_f64 v[72:73], v[154:155], v[70:71], v[72:73]
	ds_read2_b64 v[152:155], v194 offset0:40 offset1:41
	s_waitcnt lgkmcnt(0)
	v_mul_f64 v[70:71], v[154:155], v[72:73]
	v_fma_f64 v[70:71], v[152:153], v[150:151], -v[70:71]
	v_mul_f64 v[152:153], v[152:153], v[72:73]
	v_add_f64 v[66:67], v[66:67], -v[70:71]
	v_fma_f64 v[152:153], v[154:155], v[150:151], v[152:153]
	v_add_f64 v[68:69], v[68:69], -v[152:153]
	ds_read2_b64 v[152:155], v194 offset0:42 offset1:43
	s_waitcnt lgkmcnt(0)
	v_mul_f64 v[70:71], v[154:155], v[72:73]
	v_fma_f64 v[70:71], v[152:153], v[150:151], -v[70:71]
	v_mul_f64 v[152:153], v[152:153], v[72:73]
	v_add_f64 v[62:63], v[62:63], -v[70:71]
	v_fma_f64 v[152:153], v[154:155], v[150:151], v[152:153]
	v_add_f64 v[64:65], v[64:65], -v[152:153]
	;; [unrolled: 8-line block ×16, first 2 shown]
	ds_read2_b64 v[152:155], v194 offset0:72 offset1:73
	s_waitcnt lgkmcnt(0)
	v_mul_f64 v[70:71], v[154:155], v[72:73]
	v_fma_f64 v[70:71], v[152:153], v[150:151], -v[70:71]
	v_mul_f64 v[152:153], v[152:153], v[72:73]
	v_add_f64 v[2:3], v[2:3], -v[70:71]
	v_fma_f64 v[152:153], v[154:155], v[150:151], v[152:153]
	v_mov_b32_e32 v70, v150
	v_mov_b32_e32 v71, v151
	v_add_f64 v[4:5], v[4:5], -v[152:153]
.LBB73_181:
	s_or_b32 exec_lo, exec_lo, s1
	s_mov_b32 s2, exec_lo
	s_waitcnt_vscnt null, 0x0
	s_barrier
	buffer_gl0_inv
	v_cmpx_eq_u32_e32 20, v0
	s_cbranch_execz .LBB73_188
; %bb.182:
	ds_write2_b64 v1, v[66:67], v[68:69] offset1:1
	ds_write2_b64 v194, v[62:63], v[64:65] offset0:42 offset1:43
	ds_write2_b64 v194, v[58:59], v[60:61] offset0:44 offset1:45
	;; [unrolled: 1-line block ×16, first 2 shown]
	ds_read2_b64 v[150:153], v1 offset1:1
	s_waitcnt lgkmcnt(0)
	v_cmp_neq_f64_e32 vcc_lo, 0, v[150:151]
	v_cmp_neq_f64_e64 s1, 0, v[152:153]
	s_or_b32 s1, vcc_lo, s1
	s_and_b32 exec_lo, exec_lo, s1
	s_cbranch_execz .LBB73_188
; %bb.183:
	v_cmp_ngt_f64_e64 s1, |v[150:151]|, |v[152:153]|
                                        ; implicit-def: $vgpr154_vgpr155
	s_and_saveexec_b32 s3, s1
	s_xor_b32 s1, exec_lo, s3
                                        ; implicit-def: $vgpr156_vgpr157
	s_cbranch_execz .LBB73_185
; %bb.184:
	v_div_scale_f64 v[154:155], null, v[152:153], v[152:153], v[150:151]
	v_div_scale_f64 v[160:161], vcc_lo, v[150:151], v[152:153], v[150:151]
	v_rcp_f64_e32 v[156:157], v[154:155]
	v_fma_f64 v[158:159], -v[154:155], v[156:157], 1.0
	v_fma_f64 v[156:157], v[156:157], v[158:159], v[156:157]
	v_fma_f64 v[158:159], -v[154:155], v[156:157], 1.0
	v_fma_f64 v[156:157], v[156:157], v[158:159], v[156:157]
	v_mul_f64 v[158:159], v[160:161], v[156:157]
	v_fma_f64 v[154:155], -v[154:155], v[158:159], v[160:161]
	v_div_fmas_f64 v[154:155], v[154:155], v[156:157], v[158:159]
	v_div_fixup_f64 v[154:155], v[154:155], v[152:153], v[150:151]
	v_fma_f64 v[150:151], v[150:151], v[154:155], v[152:153]
	v_div_scale_f64 v[152:153], null, v[150:151], v[150:151], 1.0
	v_rcp_f64_e32 v[156:157], v[152:153]
	v_fma_f64 v[158:159], -v[152:153], v[156:157], 1.0
	v_fma_f64 v[156:157], v[156:157], v[158:159], v[156:157]
	v_fma_f64 v[158:159], -v[152:153], v[156:157], 1.0
	v_fma_f64 v[156:157], v[156:157], v[158:159], v[156:157]
	v_div_scale_f64 v[158:159], vcc_lo, 1.0, v[150:151], 1.0
	v_mul_f64 v[160:161], v[158:159], v[156:157]
	v_fma_f64 v[152:153], -v[152:153], v[160:161], v[158:159]
	v_div_fmas_f64 v[152:153], v[152:153], v[156:157], v[160:161]
	v_div_fixup_f64 v[156:157], v[152:153], v[150:151], 1.0
                                        ; implicit-def: $vgpr150_vgpr151
	v_mul_f64 v[154:155], v[154:155], v[156:157]
	v_xor_b32_e32 v157, 0x80000000, v157
.LBB73_185:
	s_andn2_saveexec_b32 s1, s1
	s_cbranch_execz .LBB73_187
; %bb.186:
	v_div_scale_f64 v[154:155], null, v[150:151], v[150:151], v[152:153]
	v_div_scale_f64 v[160:161], vcc_lo, v[152:153], v[150:151], v[152:153]
	v_rcp_f64_e32 v[156:157], v[154:155]
	v_fma_f64 v[158:159], -v[154:155], v[156:157], 1.0
	v_fma_f64 v[156:157], v[156:157], v[158:159], v[156:157]
	v_fma_f64 v[158:159], -v[154:155], v[156:157], 1.0
	v_fma_f64 v[156:157], v[156:157], v[158:159], v[156:157]
	v_mul_f64 v[158:159], v[160:161], v[156:157]
	v_fma_f64 v[154:155], -v[154:155], v[158:159], v[160:161]
	v_div_fmas_f64 v[154:155], v[154:155], v[156:157], v[158:159]
	v_div_fixup_f64 v[156:157], v[154:155], v[150:151], v[152:153]
	v_fma_f64 v[150:151], v[152:153], v[156:157], v[150:151]
	v_div_scale_f64 v[152:153], null, v[150:151], v[150:151], 1.0
	v_rcp_f64_e32 v[154:155], v[152:153]
	v_fma_f64 v[158:159], -v[152:153], v[154:155], 1.0
	v_fma_f64 v[154:155], v[154:155], v[158:159], v[154:155]
	v_fma_f64 v[158:159], -v[152:153], v[154:155], 1.0
	v_fma_f64 v[154:155], v[154:155], v[158:159], v[154:155]
	v_div_scale_f64 v[158:159], vcc_lo, 1.0, v[150:151], 1.0
	v_mul_f64 v[160:161], v[158:159], v[154:155]
	v_fma_f64 v[152:153], -v[152:153], v[160:161], v[158:159]
	v_div_fmas_f64 v[152:153], v[152:153], v[154:155], v[160:161]
	v_div_fixup_f64 v[154:155], v[152:153], v[150:151], 1.0
	v_mul_f64 v[156:157], v[156:157], -v[154:155]
.LBB73_187:
	s_or_b32 exec_lo, exec_lo, s1
	ds_write2_b64 v1, v[154:155], v[156:157] offset1:1
.LBB73_188:
	s_or_b32 exec_lo, exec_lo, s2
	s_waitcnt lgkmcnt(0)
	s_barrier
	buffer_gl0_inv
	ds_read2_b64 v[150:153], v1 offset1:1
	s_mov_b32 s1, exec_lo
	s_waitcnt lgkmcnt(0)
	buffer_store_dword v150, off, s[16:19], 0 offset:392 ; 4-byte Folded Spill
	buffer_store_dword v151, off, s[16:19], 0 offset:396 ; 4-byte Folded Spill
	;; [unrolled: 1-line block ×4, first 2 shown]
	v_cmpx_lt_u32_e32 20, v0
	s_cbranch_execz .LBB73_190
; %bb.189:
	s_clause 0x3
	buffer_load_dword v152, off, s[16:19], 0 offset:392
	buffer_load_dword v153, off, s[16:19], 0 offset:396
	;; [unrolled: 1-line block ×4, first 2 shown]
	s_waitcnt vmcnt(2)
	v_mul_f64 v[150:151], v[152:153], v[68:69]
	s_waitcnt vmcnt(0)
	v_mul_f64 v[68:69], v[154:155], v[68:69]
	v_fma_f64 v[150:151], v[154:155], v[66:67], v[150:151]
	v_fma_f64 v[66:67], v[152:153], v[66:67], -v[68:69]
	ds_read2_b64 v[152:155], v194 offset0:42 offset1:43
	s_waitcnt lgkmcnt(0)
	v_mul_f64 v[68:69], v[154:155], v[150:151]
	v_fma_f64 v[68:69], v[152:153], v[66:67], -v[68:69]
	v_mul_f64 v[152:153], v[152:153], v[150:151]
	v_add_f64 v[62:63], v[62:63], -v[68:69]
	v_fma_f64 v[152:153], v[154:155], v[66:67], v[152:153]
	v_add_f64 v[64:65], v[64:65], -v[152:153]
	ds_read2_b64 v[152:155], v194 offset0:44 offset1:45
	s_waitcnt lgkmcnt(0)
	v_mul_f64 v[68:69], v[154:155], v[150:151]
	v_fma_f64 v[68:69], v[152:153], v[66:67], -v[68:69]
	v_mul_f64 v[152:153], v[152:153], v[150:151]
	v_add_f64 v[58:59], v[58:59], -v[68:69]
	v_fma_f64 v[152:153], v[154:155], v[66:67], v[152:153]
	v_add_f64 v[60:61], v[60:61], -v[152:153]
	;; [unrolled: 8-line block ×15, first 2 shown]
	ds_read2_b64 v[152:155], v194 offset0:72 offset1:73
	s_waitcnt lgkmcnt(0)
	v_mul_f64 v[68:69], v[154:155], v[150:151]
	v_fma_f64 v[68:69], v[152:153], v[66:67], -v[68:69]
	v_mul_f64 v[152:153], v[152:153], v[150:151]
	v_add_f64 v[2:3], v[2:3], -v[68:69]
	v_fma_f64 v[152:153], v[154:155], v[66:67], v[152:153]
	v_mov_b32_e32 v68, v150
	v_mov_b32_e32 v69, v151
	v_add_f64 v[4:5], v[4:5], -v[152:153]
.LBB73_190:
	s_or_b32 exec_lo, exec_lo, s1
	s_mov_b32 s2, exec_lo
	s_waitcnt_vscnt null, 0x0
	s_barrier
	buffer_gl0_inv
	v_cmpx_eq_u32_e32 21, v0
	s_cbranch_execz .LBB73_197
; %bb.191:
	ds_write2_b64 v1, v[62:63], v[64:65] offset1:1
	ds_write2_b64 v194, v[58:59], v[60:61] offset0:44 offset1:45
	ds_write2_b64 v194, v[54:55], v[56:57] offset0:46 offset1:47
	;; [unrolled: 1-line block ×15, first 2 shown]
	ds_read2_b64 v[150:153], v1 offset1:1
	s_waitcnt lgkmcnt(0)
	v_cmp_neq_f64_e32 vcc_lo, 0, v[150:151]
	v_cmp_neq_f64_e64 s1, 0, v[152:153]
	s_or_b32 s1, vcc_lo, s1
	s_and_b32 exec_lo, exec_lo, s1
	s_cbranch_execz .LBB73_197
; %bb.192:
	v_cmp_ngt_f64_e64 s1, |v[150:151]|, |v[152:153]|
                                        ; implicit-def: $vgpr154_vgpr155
	s_and_saveexec_b32 s3, s1
	s_xor_b32 s1, exec_lo, s3
                                        ; implicit-def: $vgpr156_vgpr157
	s_cbranch_execz .LBB73_194
; %bb.193:
	v_div_scale_f64 v[154:155], null, v[152:153], v[152:153], v[150:151]
	v_div_scale_f64 v[160:161], vcc_lo, v[150:151], v[152:153], v[150:151]
	v_rcp_f64_e32 v[156:157], v[154:155]
	v_fma_f64 v[158:159], -v[154:155], v[156:157], 1.0
	v_fma_f64 v[156:157], v[156:157], v[158:159], v[156:157]
	v_fma_f64 v[158:159], -v[154:155], v[156:157], 1.0
	v_fma_f64 v[156:157], v[156:157], v[158:159], v[156:157]
	v_mul_f64 v[158:159], v[160:161], v[156:157]
	v_fma_f64 v[154:155], -v[154:155], v[158:159], v[160:161]
	v_div_fmas_f64 v[154:155], v[154:155], v[156:157], v[158:159]
	v_div_fixup_f64 v[154:155], v[154:155], v[152:153], v[150:151]
	v_fma_f64 v[150:151], v[150:151], v[154:155], v[152:153]
	v_div_scale_f64 v[152:153], null, v[150:151], v[150:151], 1.0
	v_rcp_f64_e32 v[156:157], v[152:153]
	v_fma_f64 v[158:159], -v[152:153], v[156:157], 1.0
	v_fma_f64 v[156:157], v[156:157], v[158:159], v[156:157]
	v_fma_f64 v[158:159], -v[152:153], v[156:157], 1.0
	v_fma_f64 v[156:157], v[156:157], v[158:159], v[156:157]
	v_div_scale_f64 v[158:159], vcc_lo, 1.0, v[150:151], 1.0
	v_mul_f64 v[160:161], v[158:159], v[156:157]
	v_fma_f64 v[152:153], -v[152:153], v[160:161], v[158:159]
	v_div_fmas_f64 v[152:153], v[152:153], v[156:157], v[160:161]
	v_div_fixup_f64 v[156:157], v[152:153], v[150:151], 1.0
                                        ; implicit-def: $vgpr150_vgpr151
	v_mul_f64 v[154:155], v[154:155], v[156:157]
	v_xor_b32_e32 v157, 0x80000000, v157
.LBB73_194:
	s_andn2_saveexec_b32 s1, s1
	s_cbranch_execz .LBB73_196
; %bb.195:
	v_div_scale_f64 v[154:155], null, v[150:151], v[150:151], v[152:153]
	v_div_scale_f64 v[160:161], vcc_lo, v[152:153], v[150:151], v[152:153]
	v_rcp_f64_e32 v[156:157], v[154:155]
	v_fma_f64 v[158:159], -v[154:155], v[156:157], 1.0
	v_fma_f64 v[156:157], v[156:157], v[158:159], v[156:157]
	v_fma_f64 v[158:159], -v[154:155], v[156:157], 1.0
	v_fma_f64 v[156:157], v[156:157], v[158:159], v[156:157]
	v_mul_f64 v[158:159], v[160:161], v[156:157]
	v_fma_f64 v[154:155], -v[154:155], v[158:159], v[160:161]
	v_div_fmas_f64 v[154:155], v[154:155], v[156:157], v[158:159]
	v_div_fixup_f64 v[156:157], v[154:155], v[150:151], v[152:153]
	v_fma_f64 v[150:151], v[152:153], v[156:157], v[150:151]
	v_div_scale_f64 v[152:153], null, v[150:151], v[150:151], 1.0
	v_rcp_f64_e32 v[154:155], v[152:153]
	v_fma_f64 v[158:159], -v[152:153], v[154:155], 1.0
	v_fma_f64 v[154:155], v[154:155], v[158:159], v[154:155]
	v_fma_f64 v[158:159], -v[152:153], v[154:155], 1.0
	v_fma_f64 v[154:155], v[154:155], v[158:159], v[154:155]
	v_div_scale_f64 v[158:159], vcc_lo, 1.0, v[150:151], 1.0
	v_mul_f64 v[160:161], v[158:159], v[154:155]
	v_fma_f64 v[152:153], -v[152:153], v[160:161], v[158:159]
	v_div_fmas_f64 v[152:153], v[152:153], v[154:155], v[160:161]
	v_div_fixup_f64 v[154:155], v[152:153], v[150:151], 1.0
	v_mul_f64 v[156:157], v[156:157], -v[154:155]
.LBB73_196:
	s_or_b32 exec_lo, exec_lo, s1
	ds_write2_b64 v1, v[154:155], v[156:157] offset1:1
.LBB73_197:
	s_or_b32 exec_lo, exec_lo, s2
	s_waitcnt lgkmcnt(0)
	s_barrier
	buffer_gl0_inv
	ds_read2_b64 v[150:153], v1 offset1:1
	s_mov_b32 s1, exec_lo
	s_waitcnt lgkmcnt(0)
	buffer_store_dword v150, off, s[16:19], 0 offset:408 ; 4-byte Folded Spill
	buffer_store_dword v151, off, s[16:19], 0 offset:412 ; 4-byte Folded Spill
	;; [unrolled: 1-line block ×4, first 2 shown]
	v_cmpx_lt_u32_e32 21, v0
	s_cbranch_execz .LBB73_199
; %bb.198:
	s_clause 0x3
	buffer_load_dword v152, off, s[16:19], 0 offset:408
	buffer_load_dword v153, off, s[16:19], 0 offset:412
	;; [unrolled: 1-line block ×4, first 2 shown]
	s_waitcnt vmcnt(2)
	v_mul_f64 v[150:151], v[152:153], v[64:65]
	s_waitcnt vmcnt(0)
	v_mul_f64 v[64:65], v[154:155], v[64:65]
	v_fma_f64 v[150:151], v[154:155], v[62:63], v[150:151]
	v_fma_f64 v[62:63], v[152:153], v[62:63], -v[64:65]
	ds_read2_b64 v[152:155], v194 offset0:44 offset1:45
	s_waitcnt lgkmcnt(0)
	v_mul_f64 v[64:65], v[154:155], v[150:151]
	v_fma_f64 v[64:65], v[152:153], v[62:63], -v[64:65]
	v_mul_f64 v[152:153], v[152:153], v[150:151]
	v_add_f64 v[58:59], v[58:59], -v[64:65]
	v_fma_f64 v[152:153], v[154:155], v[62:63], v[152:153]
	v_add_f64 v[60:61], v[60:61], -v[152:153]
	ds_read2_b64 v[152:155], v194 offset0:46 offset1:47
	s_waitcnt lgkmcnt(0)
	v_mul_f64 v[64:65], v[154:155], v[150:151]
	v_fma_f64 v[64:65], v[152:153], v[62:63], -v[64:65]
	v_mul_f64 v[152:153], v[152:153], v[150:151]
	v_add_f64 v[54:55], v[54:55], -v[64:65]
	v_fma_f64 v[152:153], v[154:155], v[62:63], v[152:153]
	v_add_f64 v[56:57], v[56:57], -v[152:153]
	;; [unrolled: 8-line block ×14, first 2 shown]
	ds_read2_b64 v[152:155], v194 offset0:72 offset1:73
	s_waitcnt lgkmcnt(0)
	v_mul_f64 v[64:65], v[154:155], v[150:151]
	v_fma_f64 v[64:65], v[152:153], v[62:63], -v[64:65]
	v_mul_f64 v[152:153], v[152:153], v[150:151]
	v_add_f64 v[2:3], v[2:3], -v[64:65]
	v_fma_f64 v[152:153], v[154:155], v[62:63], v[152:153]
	v_mov_b32_e32 v64, v150
	v_mov_b32_e32 v65, v151
	v_add_f64 v[4:5], v[4:5], -v[152:153]
.LBB73_199:
	s_or_b32 exec_lo, exec_lo, s1
	s_mov_b32 s2, exec_lo
	s_waitcnt_vscnt null, 0x0
	s_barrier
	buffer_gl0_inv
	v_cmpx_eq_u32_e32 22, v0
	s_cbranch_execz .LBB73_206
; %bb.200:
	ds_write2_b64 v1, v[58:59], v[60:61] offset1:1
	ds_write2_b64 v194, v[54:55], v[56:57] offset0:46 offset1:47
	ds_write2_b64 v194, v[50:51], v[52:53] offset0:48 offset1:49
	;; [unrolled: 1-line block ×14, first 2 shown]
	ds_read2_b64 v[150:153], v1 offset1:1
	s_waitcnt lgkmcnt(0)
	v_cmp_neq_f64_e32 vcc_lo, 0, v[150:151]
	v_cmp_neq_f64_e64 s1, 0, v[152:153]
	s_or_b32 s1, vcc_lo, s1
	s_and_b32 exec_lo, exec_lo, s1
	s_cbranch_execz .LBB73_206
; %bb.201:
	v_cmp_ngt_f64_e64 s1, |v[150:151]|, |v[152:153]|
                                        ; implicit-def: $vgpr154_vgpr155
	s_and_saveexec_b32 s3, s1
	s_xor_b32 s1, exec_lo, s3
                                        ; implicit-def: $vgpr156_vgpr157
	s_cbranch_execz .LBB73_203
; %bb.202:
	v_div_scale_f64 v[154:155], null, v[152:153], v[152:153], v[150:151]
	v_div_scale_f64 v[160:161], vcc_lo, v[150:151], v[152:153], v[150:151]
	v_rcp_f64_e32 v[156:157], v[154:155]
	v_fma_f64 v[158:159], -v[154:155], v[156:157], 1.0
	v_fma_f64 v[156:157], v[156:157], v[158:159], v[156:157]
	v_fma_f64 v[158:159], -v[154:155], v[156:157], 1.0
	v_fma_f64 v[156:157], v[156:157], v[158:159], v[156:157]
	v_mul_f64 v[158:159], v[160:161], v[156:157]
	v_fma_f64 v[154:155], -v[154:155], v[158:159], v[160:161]
	v_div_fmas_f64 v[154:155], v[154:155], v[156:157], v[158:159]
	v_div_fixup_f64 v[154:155], v[154:155], v[152:153], v[150:151]
	v_fma_f64 v[150:151], v[150:151], v[154:155], v[152:153]
	v_div_scale_f64 v[152:153], null, v[150:151], v[150:151], 1.0
	v_rcp_f64_e32 v[156:157], v[152:153]
	v_fma_f64 v[158:159], -v[152:153], v[156:157], 1.0
	v_fma_f64 v[156:157], v[156:157], v[158:159], v[156:157]
	v_fma_f64 v[158:159], -v[152:153], v[156:157], 1.0
	v_fma_f64 v[156:157], v[156:157], v[158:159], v[156:157]
	v_div_scale_f64 v[158:159], vcc_lo, 1.0, v[150:151], 1.0
	v_mul_f64 v[160:161], v[158:159], v[156:157]
	v_fma_f64 v[152:153], -v[152:153], v[160:161], v[158:159]
	v_div_fmas_f64 v[152:153], v[152:153], v[156:157], v[160:161]
	v_div_fixup_f64 v[156:157], v[152:153], v[150:151], 1.0
                                        ; implicit-def: $vgpr150_vgpr151
	v_mul_f64 v[154:155], v[154:155], v[156:157]
	v_xor_b32_e32 v157, 0x80000000, v157
.LBB73_203:
	s_andn2_saveexec_b32 s1, s1
	s_cbranch_execz .LBB73_205
; %bb.204:
	v_div_scale_f64 v[154:155], null, v[150:151], v[150:151], v[152:153]
	v_div_scale_f64 v[160:161], vcc_lo, v[152:153], v[150:151], v[152:153]
	v_rcp_f64_e32 v[156:157], v[154:155]
	v_fma_f64 v[158:159], -v[154:155], v[156:157], 1.0
	v_fma_f64 v[156:157], v[156:157], v[158:159], v[156:157]
	v_fma_f64 v[158:159], -v[154:155], v[156:157], 1.0
	v_fma_f64 v[156:157], v[156:157], v[158:159], v[156:157]
	v_mul_f64 v[158:159], v[160:161], v[156:157]
	v_fma_f64 v[154:155], -v[154:155], v[158:159], v[160:161]
	v_div_fmas_f64 v[154:155], v[154:155], v[156:157], v[158:159]
	v_div_fixup_f64 v[156:157], v[154:155], v[150:151], v[152:153]
	v_fma_f64 v[150:151], v[152:153], v[156:157], v[150:151]
	v_div_scale_f64 v[152:153], null, v[150:151], v[150:151], 1.0
	v_rcp_f64_e32 v[154:155], v[152:153]
	v_fma_f64 v[158:159], -v[152:153], v[154:155], 1.0
	v_fma_f64 v[154:155], v[154:155], v[158:159], v[154:155]
	v_fma_f64 v[158:159], -v[152:153], v[154:155], 1.0
	v_fma_f64 v[154:155], v[154:155], v[158:159], v[154:155]
	v_div_scale_f64 v[158:159], vcc_lo, 1.0, v[150:151], 1.0
	v_mul_f64 v[160:161], v[158:159], v[154:155]
	v_fma_f64 v[152:153], -v[152:153], v[160:161], v[158:159]
	v_div_fmas_f64 v[152:153], v[152:153], v[154:155], v[160:161]
	v_div_fixup_f64 v[154:155], v[152:153], v[150:151], 1.0
	v_mul_f64 v[156:157], v[156:157], -v[154:155]
.LBB73_205:
	s_or_b32 exec_lo, exec_lo, s1
	ds_write2_b64 v1, v[154:155], v[156:157] offset1:1
.LBB73_206:
	s_or_b32 exec_lo, exec_lo, s2
	s_waitcnt lgkmcnt(0)
	s_barrier
	buffer_gl0_inv
	ds_read2_b64 v[150:153], v1 offset1:1
	s_mov_b32 s1, exec_lo
	s_waitcnt lgkmcnt(0)
	buffer_store_dword v150, off, s[16:19], 0 offset:424 ; 4-byte Folded Spill
	buffer_store_dword v151, off, s[16:19], 0 offset:428 ; 4-byte Folded Spill
	;; [unrolled: 1-line block ×4, first 2 shown]
	v_cmpx_lt_u32_e32 22, v0
	s_cbranch_execz .LBB73_208
; %bb.207:
	s_clause 0x3
	buffer_load_dword v152, off, s[16:19], 0 offset:424
	buffer_load_dword v153, off, s[16:19], 0 offset:428
	;; [unrolled: 1-line block ×4, first 2 shown]
	s_waitcnt vmcnt(2)
	v_mul_f64 v[150:151], v[152:153], v[60:61]
	s_waitcnt vmcnt(0)
	v_mul_f64 v[60:61], v[154:155], v[60:61]
	v_fma_f64 v[150:151], v[154:155], v[58:59], v[150:151]
	v_fma_f64 v[58:59], v[152:153], v[58:59], -v[60:61]
	ds_read2_b64 v[152:155], v194 offset0:46 offset1:47
	s_waitcnt lgkmcnt(0)
	v_mul_f64 v[60:61], v[154:155], v[150:151]
	v_fma_f64 v[60:61], v[152:153], v[58:59], -v[60:61]
	v_mul_f64 v[152:153], v[152:153], v[150:151]
	v_add_f64 v[54:55], v[54:55], -v[60:61]
	v_fma_f64 v[152:153], v[154:155], v[58:59], v[152:153]
	v_add_f64 v[56:57], v[56:57], -v[152:153]
	ds_read2_b64 v[152:155], v194 offset0:48 offset1:49
	s_waitcnt lgkmcnt(0)
	v_mul_f64 v[60:61], v[154:155], v[150:151]
	v_fma_f64 v[60:61], v[152:153], v[58:59], -v[60:61]
	v_mul_f64 v[152:153], v[152:153], v[150:151]
	v_add_f64 v[50:51], v[50:51], -v[60:61]
	v_fma_f64 v[152:153], v[154:155], v[58:59], v[152:153]
	v_add_f64 v[52:53], v[52:53], -v[152:153]
	;; [unrolled: 8-line block ×13, first 2 shown]
	ds_read2_b64 v[152:155], v194 offset0:72 offset1:73
	s_waitcnt lgkmcnt(0)
	v_mul_f64 v[60:61], v[154:155], v[150:151]
	v_fma_f64 v[60:61], v[152:153], v[58:59], -v[60:61]
	v_mul_f64 v[152:153], v[152:153], v[150:151]
	v_add_f64 v[2:3], v[2:3], -v[60:61]
	v_fma_f64 v[152:153], v[154:155], v[58:59], v[152:153]
	v_mov_b32_e32 v60, v150
	v_mov_b32_e32 v61, v151
	v_add_f64 v[4:5], v[4:5], -v[152:153]
.LBB73_208:
	s_or_b32 exec_lo, exec_lo, s1
	s_mov_b32 s2, exec_lo
	s_waitcnt_vscnt null, 0x0
	s_barrier
	buffer_gl0_inv
	v_cmpx_eq_u32_e32 23, v0
	s_cbranch_execz .LBB73_215
; %bb.209:
	ds_write2_b64 v1, v[54:55], v[56:57] offset1:1
	ds_write2_b64 v194, v[50:51], v[52:53] offset0:48 offset1:49
	ds_write2_b64 v194, v[46:47], v[48:49] offset0:50 offset1:51
	;; [unrolled: 1-line block ×13, first 2 shown]
	ds_read2_b64 v[150:153], v1 offset1:1
	s_waitcnt lgkmcnt(0)
	v_cmp_neq_f64_e32 vcc_lo, 0, v[150:151]
	v_cmp_neq_f64_e64 s1, 0, v[152:153]
	s_or_b32 s1, vcc_lo, s1
	s_and_b32 exec_lo, exec_lo, s1
	s_cbranch_execz .LBB73_215
; %bb.210:
	v_cmp_ngt_f64_e64 s1, |v[150:151]|, |v[152:153]|
                                        ; implicit-def: $vgpr154_vgpr155
	s_and_saveexec_b32 s3, s1
	s_xor_b32 s1, exec_lo, s3
                                        ; implicit-def: $vgpr156_vgpr157
	s_cbranch_execz .LBB73_212
; %bb.211:
	v_div_scale_f64 v[154:155], null, v[152:153], v[152:153], v[150:151]
	v_div_scale_f64 v[160:161], vcc_lo, v[150:151], v[152:153], v[150:151]
	v_rcp_f64_e32 v[156:157], v[154:155]
	v_fma_f64 v[158:159], -v[154:155], v[156:157], 1.0
	v_fma_f64 v[156:157], v[156:157], v[158:159], v[156:157]
	v_fma_f64 v[158:159], -v[154:155], v[156:157], 1.0
	v_fma_f64 v[156:157], v[156:157], v[158:159], v[156:157]
	v_mul_f64 v[158:159], v[160:161], v[156:157]
	v_fma_f64 v[154:155], -v[154:155], v[158:159], v[160:161]
	v_div_fmas_f64 v[154:155], v[154:155], v[156:157], v[158:159]
	v_div_fixup_f64 v[154:155], v[154:155], v[152:153], v[150:151]
	v_fma_f64 v[150:151], v[150:151], v[154:155], v[152:153]
	v_div_scale_f64 v[152:153], null, v[150:151], v[150:151], 1.0
	v_rcp_f64_e32 v[156:157], v[152:153]
	v_fma_f64 v[158:159], -v[152:153], v[156:157], 1.0
	v_fma_f64 v[156:157], v[156:157], v[158:159], v[156:157]
	v_fma_f64 v[158:159], -v[152:153], v[156:157], 1.0
	v_fma_f64 v[156:157], v[156:157], v[158:159], v[156:157]
	v_div_scale_f64 v[158:159], vcc_lo, 1.0, v[150:151], 1.0
	v_mul_f64 v[160:161], v[158:159], v[156:157]
	v_fma_f64 v[152:153], -v[152:153], v[160:161], v[158:159]
	v_div_fmas_f64 v[152:153], v[152:153], v[156:157], v[160:161]
	v_div_fixup_f64 v[156:157], v[152:153], v[150:151], 1.0
                                        ; implicit-def: $vgpr150_vgpr151
	v_mul_f64 v[154:155], v[154:155], v[156:157]
	v_xor_b32_e32 v157, 0x80000000, v157
.LBB73_212:
	s_andn2_saveexec_b32 s1, s1
	s_cbranch_execz .LBB73_214
; %bb.213:
	v_div_scale_f64 v[154:155], null, v[150:151], v[150:151], v[152:153]
	v_div_scale_f64 v[160:161], vcc_lo, v[152:153], v[150:151], v[152:153]
	v_rcp_f64_e32 v[156:157], v[154:155]
	v_fma_f64 v[158:159], -v[154:155], v[156:157], 1.0
	v_fma_f64 v[156:157], v[156:157], v[158:159], v[156:157]
	v_fma_f64 v[158:159], -v[154:155], v[156:157], 1.0
	v_fma_f64 v[156:157], v[156:157], v[158:159], v[156:157]
	v_mul_f64 v[158:159], v[160:161], v[156:157]
	v_fma_f64 v[154:155], -v[154:155], v[158:159], v[160:161]
	v_div_fmas_f64 v[154:155], v[154:155], v[156:157], v[158:159]
	v_div_fixup_f64 v[156:157], v[154:155], v[150:151], v[152:153]
	v_fma_f64 v[150:151], v[152:153], v[156:157], v[150:151]
	v_div_scale_f64 v[152:153], null, v[150:151], v[150:151], 1.0
	v_rcp_f64_e32 v[154:155], v[152:153]
	v_fma_f64 v[158:159], -v[152:153], v[154:155], 1.0
	v_fma_f64 v[154:155], v[154:155], v[158:159], v[154:155]
	v_fma_f64 v[158:159], -v[152:153], v[154:155], 1.0
	v_fma_f64 v[154:155], v[154:155], v[158:159], v[154:155]
	v_div_scale_f64 v[158:159], vcc_lo, 1.0, v[150:151], 1.0
	v_mul_f64 v[160:161], v[158:159], v[154:155]
	v_fma_f64 v[152:153], -v[152:153], v[160:161], v[158:159]
	v_div_fmas_f64 v[152:153], v[152:153], v[154:155], v[160:161]
	v_div_fixup_f64 v[154:155], v[152:153], v[150:151], 1.0
	v_mul_f64 v[156:157], v[156:157], -v[154:155]
.LBB73_214:
	s_or_b32 exec_lo, exec_lo, s1
	ds_write2_b64 v1, v[154:155], v[156:157] offset1:1
.LBB73_215:
	s_or_b32 exec_lo, exec_lo, s2
	s_waitcnt lgkmcnt(0)
	s_barrier
	buffer_gl0_inv
	ds_read2_b64 v[150:153], v1 offset1:1
	s_mov_b32 s1, exec_lo
	s_waitcnt lgkmcnt(0)
	buffer_store_dword v150, off, s[16:19], 0 offset:440 ; 4-byte Folded Spill
	buffer_store_dword v151, off, s[16:19], 0 offset:444 ; 4-byte Folded Spill
	;; [unrolled: 1-line block ×4, first 2 shown]
	v_cmpx_lt_u32_e32 23, v0
	s_cbranch_execz .LBB73_217
; %bb.216:
	s_clause 0x3
	buffer_load_dword v152, off, s[16:19], 0 offset:440
	buffer_load_dword v153, off, s[16:19], 0 offset:444
	;; [unrolled: 1-line block ×4, first 2 shown]
	s_waitcnt vmcnt(2)
	v_mul_f64 v[150:151], v[152:153], v[56:57]
	s_waitcnt vmcnt(0)
	v_mul_f64 v[56:57], v[154:155], v[56:57]
	v_fma_f64 v[150:151], v[154:155], v[54:55], v[150:151]
	v_fma_f64 v[54:55], v[152:153], v[54:55], -v[56:57]
	ds_read2_b64 v[152:155], v194 offset0:48 offset1:49
	s_waitcnt lgkmcnt(0)
	v_mul_f64 v[56:57], v[154:155], v[150:151]
	v_fma_f64 v[56:57], v[152:153], v[54:55], -v[56:57]
	v_mul_f64 v[152:153], v[152:153], v[150:151]
	v_add_f64 v[50:51], v[50:51], -v[56:57]
	v_fma_f64 v[152:153], v[154:155], v[54:55], v[152:153]
	v_add_f64 v[52:53], v[52:53], -v[152:153]
	ds_read2_b64 v[152:155], v194 offset0:50 offset1:51
	s_waitcnt lgkmcnt(0)
	v_mul_f64 v[56:57], v[154:155], v[150:151]
	v_fma_f64 v[56:57], v[152:153], v[54:55], -v[56:57]
	v_mul_f64 v[152:153], v[152:153], v[150:151]
	v_add_f64 v[46:47], v[46:47], -v[56:57]
	v_fma_f64 v[152:153], v[154:155], v[54:55], v[152:153]
	v_add_f64 v[48:49], v[48:49], -v[152:153]
	;; [unrolled: 8-line block ×12, first 2 shown]
	ds_read2_b64 v[152:155], v194 offset0:72 offset1:73
	s_waitcnt lgkmcnt(0)
	v_mul_f64 v[56:57], v[154:155], v[150:151]
	v_fma_f64 v[56:57], v[152:153], v[54:55], -v[56:57]
	v_mul_f64 v[152:153], v[152:153], v[150:151]
	v_add_f64 v[2:3], v[2:3], -v[56:57]
	v_fma_f64 v[152:153], v[154:155], v[54:55], v[152:153]
	v_mov_b32_e32 v56, v150
	v_mov_b32_e32 v57, v151
	v_add_f64 v[4:5], v[4:5], -v[152:153]
.LBB73_217:
	s_or_b32 exec_lo, exec_lo, s1
	s_mov_b32 s2, exec_lo
	s_waitcnt_vscnt null, 0x0
	s_barrier
	buffer_gl0_inv
	v_cmpx_eq_u32_e32 24, v0
	s_cbranch_execz .LBB73_224
; %bb.218:
	ds_write2_b64 v1, v[50:51], v[52:53] offset1:1
	ds_write2_b64 v194, v[46:47], v[48:49] offset0:50 offset1:51
	ds_write2_b64 v194, v[42:43], v[44:45] offset0:52 offset1:53
	;; [unrolled: 1-line block ×12, first 2 shown]
	ds_read2_b64 v[150:153], v1 offset1:1
	s_waitcnt lgkmcnt(0)
	v_cmp_neq_f64_e32 vcc_lo, 0, v[150:151]
	v_cmp_neq_f64_e64 s1, 0, v[152:153]
	s_or_b32 s1, vcc_lo, s1
	s_and_b32 exec_lo, exec_lo, s1
	s_cbranch_execz .LBB73_224
; %bb.219:
	v_cmp_ngt_f64_e64 s1, |v[150:151]|, |v[152:153]|
                                        ; implicit-def: $vgpr154_vgpr155
	s_and_saveexec_b32 s3, s1
	s_xor_b32 s1, exec_lo, s3
                                        ; implicit-def: $vgpr156_vgpr157
	s_cbranch_execz .LBB73_221
; %bb.220:
	v_div_scale_f64 v[154:155], null, v[152:153], v[152:153], v[150:151]
	v_div_scale_f64 v[160:161], vcc_lo, v[150:151], v[152:153], v[150:151]
	v_rcp_f64_e32 v[156:157], v[154:155]
	v_fma_f64 v[158:159], -v[154:155], v[156:157], 1.0
	v_fma_f64 v[156:157], v[156:157], v[158:159], v[156:157]
	v_fma_f64 v[158:159], -v[154:155], v[156:157], 1.0
	v_fma_f64 v[156:157], v[156:157], v[158:159], v[156:157]
	v_mul_f64 v[158:159], v[160:161], v[156:157]
	v_fma_f64 v[154:155], -v[154:155], v[158:159], v[160:161]
	v_div_fmas_f64 v[154:155], v[154:155], v[156:157], v[158:159]
	v_div_fixup_f64 v[154:155], v[154:155], v[152:153], v[150:151]
	v_fma_f64 v[150:151], v[150:151], v[154:155], v[152:153]
	v_div_scale_f64 v[152:153], null, v[150:151], v[150:151], 1.0
	v_rcp_f64_e32 v[156:157], v[152:153]
	v_fma_f64 v[158:159], -v[152:153], v[156:157], 1.0
	v_fma_f64 v[156:157], v[156:157], v[158:159], v[156:157]
	v_fma_f64 v[158:159], -v[152:153], v[156:157], 1.0
	v_fma_f64 v[156:157], v[156:157], v[158:159], v[156:157]
	v_div_scale_f64 v[158:159], vcc_lo, 1.0, v[150:151], 1.0
	v_mul_f64 v[160:161], v[158:159], v[156:157]
	v_fma_f64 v[152:153], -v[152:153], v[160:161], v[158:159]
	v_div_fmas_f64 v[152:153], v[152:153], v[156:157], v[160:161]
	v_div_fixup_f64 v[156:157], v[152:153], v[150:151], 1.0
                                        ; implicit-def: $vgpr150_vgpr151
	v_mul_f64 v[154:155], v[154:155], v[156:157]
	v_xor_b32_e32 v157, 0x80000000, v157
.LBB73_221:
	s_andn2_saveexec_b32 s1, s1
	s_cbranch_execz .LBB73_223
; %bb.222:
	v_div_scale_f64 v[154:155], null, v[150:151], v[150:151], v[152:153]
	v_div_scale_f64 v[160:161], vcc_lo, v[152:153], v[150:151], v[152:153]
	v_rcp_f64_e32 v[156:157], v[154:155]
	v_fma_f64 v[158:159], -v[154:155], v[156:157], 1.0
	v_fma_f64 v[156:157], v[156:157], v[158:159], v[156:157]
	v_fma_f64 v[158:159], -v[154:155], v[156:157], 1.0
	v_fma_f64 v[156:157], v[156:157], v[158:159], v[156:157]
	v_mul_f64 v[158:159], v[160:161], v[156:157]
	v_fma_f64 v[154:155], -v[154:155], v[158:159], v[160:161]
	v_div_fmas_f64 v[154:155], v[154:155], v[156:157], v[158:159]
	v_div_fixup_f64 v[156:157], v[154:155], v[150:151], v[152:153]
	v_fma_f64 v[150:151], v[152:153], v[156:157], v[150:151]
	v_div_scale_f64 v[152:153], null, v[150:151], v[150:151], 1.0
	v_rcp_f64_e32 v[154:155], v[152:153]
	v_fma_f64 v[158:159], -v[152:153], v[154:155], 1.0
	v_fma_f64 v[154:155], v[154:155], v[158:159], v[154:155]
	v_fma_f64 v[158:159], -v[152:153], v[154:155], 1.0
	v_fma_f64 v[154:155], v[154:155], v[158:159], v[154:155]
	v_div_scale_f64 v[158:159], vcc_lo, 1.0, v[150:151], 1.0
	v_mul_f64 v[160:161], v[158:159], v[154:155]
	v_fma_f64 v[152:153], -v[152:153], v[160:161], v[158:159]
	v_div_fmas_f64 v[152:153], v[152:153], v[154:155], v[160:161]
	v_div_fixup_f64 v[154:155], v[152:153], v[150:151], 1.0
	v_mul_f64 v[156:157], v[156:157], -v[154:155]
.LBB73_223:
	s_or_b32 exec_lo, exec_lo, s1
	ds_write2_b64 v1, v[154:155], v[156:157] offset1:1
.LBB73_224:
	s_or_b32 exec_lo, exec_lo, s2
	s_waitcnt lgkmcnt(0)
	s_barrier
	buffer_gl0_inv
	ds_read2_b64 v[150:153], v1 offset1:1
	s_mov_b32 s1, exec_lo
	s_waitcnt lgkmcnt(0)
	buffer_store_dword v150, off, s[16:19], 0 offset:456 ; 4-byte Folded Spill
	buffer_store_dword v151, off, s[16:19], 0 offset:460 ; 4-byte Folded Spill
	;; [unrolled: 1-line block ×4, first 2 shown]
	v_cmpx_lt_u32_e32 24, v0
	s_cbranch_execz .LBB73_226
; %bb.225:
	s_clause 0x3
	buffer_load_dword v152, off, s[16:19], 0 offset:456
	buffer_load_dword v153, off, s[16:19], 0 offset:460
	;; [unrolled: 1-line block ×4, first 2 shown]
	s_waitcnt vmcnt(2)
	v_mul_f64 v[150:151], v[152:153], v[52:53]
	s_waitcnt vmcnt(0)
	v_mul_f64 v[52:53], v[154:155], v[52:53]
	v_fma_f64 v[150:151], v[154:155], v[50:51], v[150:151]
	v_fma_f64 v[50:51], v[152:153], v[50:51], -v[52:53]
	ds_read2_b64 v[152:155], v194 offset0:50 offset1:51
	s_waitcnt lgkmcnt(0)
	v_mul_f64 v[52:53], v[154:155], v[150:151]
	v_fma_f64 v[52:53], v[152:153], v[50:51], -v[52:53]
	v_mul_f64 v[152:153], v[152:153], v[150:151]
	v_add_f64 v[46:47], v[46:47], -v[52:53]
	v_fma_f64 v[152:153], v[154:155], v[50:51], v[152:153]
	v_add_f64 v[48:49], v[48:49], -v[152:153]
	ds_read2_b64 v[152:155], v194 offset0:52 offset1:53
	s_waitcnt lgkmcnt(0)
	v_mul_f64 v[52:53], v[154:155], v[150:151]
	v_fma_f64 v[52:53], v[152:153], v[50:51], -v[52:53]
	v_mul_f64 v[152:153], v[152:153], v[150:151]
	v_add_f64 v[42:43], v[42:43], -v[52:53]
	v_fma_f64 v[152:153], v[154:155], v[50:51], v[152:153]
	v_add_f64 v[44:45], v[44:45], -v[152:153]
	;; [unrolled: 8-line block ×11, first 2 shown]
	ds_read2_b64 v[152:155], v194 offset0:72 offset1:73
	s_waitcnt lgkmcnt(0)
	v_mul_f64 v[52:53], v[154:155], v[150:151]
	v_fma_f64 v[52:53], v[152:153], v[50:51], -v[52:53]
	v_mul_f64 v[152:153], v[152:153], v[150:151]
	v_add_f64 v[2:3], v[2:3], -v[52:53]
	v_fma_f64 v[152:153], v[154:155], v[50:51], v[152:153]
	v_mov_b32_e32 v52, v150
	v_mov_b32_e32 v53, v151
	v_add_f64 v[4:5], v[4:5], -v[152:153]
.LBB73_226:
	s_or_b32 exec_lo, exec_lo, s1
	s_mov_b32 s2, exec_lo
	s_waitcnt_vscnt null, 0x0
	s_barrier
	buffer_gl0_inv
	v_cmpx_eq_u32_e32 25, v0
	s_cbranch_execz .LBB73_233
; %bb.227:
	ds_write2_b64 v1, v[46:47], v[48:49] offset1:1
	ds_write2_b64 v194, v[42:43], v[44:45] offset0:52 offset1:53
	ds_write2_b64 v194, v[38:39], v[40:41] offset0:54 offset1:55
	;; [unrolled: 1-line block ×11, first 2 shown]
	ds_read2_b64 v[150:153], v1 offset1:1
	s_waitcnt lgkmcnt(0)
	v_cmp_neq_f64_e32 vcc_lo, 0, v[150:151]
	v_cmp_neq_f64_e64 s1, 0, v[152:153]
	s_or_b32 s1, vcc_lo, s1
	s_and_b32 exec_lo, exec_lo, s1
	s_cbranch_execz .LBB73_233
; %bb.228:
	v_cmp_ngt_f64_e64 s1, |v[150:151]|, |v[152:153]|
                                        ; implicit-def: $vgpr154_vgpr155
	s_and_saveexec_b32 s3, s1
	s_xor_b32 s1, exec_lo, s3
                                        ; implicit-def: $vgpr156_vgpr157
	s_cbranch_execz .LBB73_230
; %bb.229:
	v_div_scale_f64 v[154:155], null, v[152:153], v[152:153], v[150:151]
	v_div_scale_f64 v[160:161], vcc_lo, v[150:151], v[152:153], v[150:151]
	v_rcp_f64_e32 v[156:157], v[154:155]
	v_fma_f64 v[158:159], -v[154:155], v[156:157], 1.0
	v_fma_f64 v[156:157], v[156:157], v[158:159], v[156:157]
	v_fma_f64 v[158:159], -v[154:155], v[156:157], 1.0
	v_fma_f64 v[156:157], v[156:157], v[158:159], v[156:157]
	v_mul_f64 v[158:159], v[160:161], v[156:157]
	v_fma_f64 v[154:155], -v[154:155], v[158:159], v[160:161]
	v_div_fmas_f64 v[154:155], v[154:155], v[156:157], v[158:159]
	v_div_fixup_f64 v[154:155], v[154:155], v[152:153], v[150:151]
	v_fma_f64 v[150:151], v[150:151], v[154:155], v[152:153]
	v_div_scale_f64 v[152:153], null, v[150:151], v[150:151], 1.0
	v_rcp_f64_e32 v[156:157], v[152:153]
	v_fma_f64 v[158:159], -v[152:153], v[156:157], 1.0
	v_fma_f64 v[156:157], v[156:157], v[158:159], v[156:157]
	v_fma_f64 v[158:159], -v[152:153], v[156:157], 1.0
	v_fma_f64 v[156:157], v[156:157], v[158:159], v[156:157]
	v_div_scale_f64 v[158:159], vcc_lo, 1.0, v[150:151], 1.0
	v_mul_f64 v[160:161], v[158:159], v[156:157]
	v_fma_f64 v[152:153], -v[152:153], v[160:161], v[158:159]
	v_div_fmas_f64 v[152:153], v[152:153], v[156:157], v[160:161]
	v_div_fixup_f64 v[156:157], v[152:153], v[150:151], 1.0
                                        ; implicit-def: $vgpr150_vgpr151
	v_mul_f64 v[154:155], v[154:155], v[156:157]
	v_xor_b32_e32 v157, 0x80000000, v157
.LBB73_230:
	s_andn2_saveexec_b32 s1, s1
	s_cbranch_execz .LBB73_232
; %bb.231:
	v_div_scale_f64 v[154:155], null, v[150:151], v[150:151], v[152:153]
	v_div_scale_f64 v[160:161], vcc_lo, v[152:153], v[150:151], v[152:153]
	v_rcp_f64_e32 v[156:157], v[154:155]
	v_fma_f64 v[158:159], -v[154:155], v[156:157], 1.0
	v_fma_f64 v[156:157], v[156:157], v[158:159], v[156:157]
	v_fma_f64 v[158:159], -v[154:155], v[156:157], 1.0
	v_fma_f64 v[156:157], v[156:157], v[158:159], v[156:157]
	v_mul_f64 v[158:159], v[160:161], v[156:157]
	v_fma_f64 v[154:155], -v[154:155], v[158:159], v[160:161]
	v_div_fmas_f64 v[154:155], v[154:155], v[156:157], v[158:159]
	v_div_fixup_f64 v[156:157], v[154:155], v[150:151], v[152:153]
	v_fma_f64 v[150:151], v[152:153], v[156:157], v[150:151]
	v_div_scale_f64 v[152:153], null, v[150:151], v[150:151], 1.0
	v_rcp_f64_e32 v[154:155], v[152:153]
	v_fma_f64 v[158:159], -v[152:153], v[154:155], 1.0
	v_fma_f64 v[154:155], v[154:155], v[158:159], v[154:155]
	v_fma_f64 v[158:159], -v[152:153], v[154:155], 1.0
	v_fma_f64 v[154:155], v[154:155], v[158:159], v[154:155]
	v_div_scale_f64 v[158:159], vcc_lo, 1.0, v[150:151], 1.0
	v_mul_f64 v[160:161], v[158:159], v[154:155]
	v_fma_f64 v[152:153], -v[152:153], v[160:161], v[158:159]
	v_div_fmas_f64 v[152:153], v[152:153], v[154:155], v[160:161]
	v_div_fixup_f64 v[154:155], v[152:153], v[150:151], 1.0
	v_mul_f64 v[156:157], v[156:157], -v[154:155]
.LBB73_232:
	s_or_b32 exec_lo, exec_lo, s1
	ds_write2_b64 v1, v[154:155], v[156:157] offset1:1
.LBB73_233:
	s_or_b32 exec_lo, exec_lo, s2
	s_waitcnt lgkmcnt(0)
	s_barrier
	buffer_gl0_inv
	ds_read2_b64 v[150:153], v1 offset1:1
	s_mov_b32 s1, exec_lo
	s_waitcnt lgkmcnt(0)
	buffer_store_dword v150, off, s[16:19], 0 offset:472 ; 4-byte Folded Spill
	buffer_store_dword v151, off, s[16:19], 0 offset:476 ; 4-byte Folded Spill
	;; [unrolled: 1-line block ×4, first 2 shown]
	v_cmpx_lt_u32_e32 25, v0
	s_cbranch_execz .LBB73_235
; %bb.234:
	s_clause 0x3
	buffer_load_dword v152, off, s[16:19], 0 offset:472
	buffer_load_dword v153, off, s[16:19], 0 offset:476
	;; [unrolled: 1-line block ×4, first 2 shown]
	s_waitcnt vmcnt(2)
	v_mul_f64 v[150:151], v[152:153], v[48:49]
	s_waitcnt vmcnt(0)
	v_mul_f64 v[48:49], v[154:155], v[48:49]
	v_fma_f64 v[150:151], v[154:155], v[46:47], v[150:151]
	v_fma_f64 v[46:47], v[152:153], v[46:47], -v[48:49]
	ds_read2_b64 v[152:155], v194 offset0:52 offset1:53
	s_waitcnt lgkmcnt(0)
	v_mul_f64 v[48:49], v[154:155], v[150:151]
	v_fma_f64 v[48:49], v[152:153], v[46:47], -v[48:49]
	v_mul_f64 v[152:153], v[152:153], v[150:151]
	v_add_f64 v[42:43], v[42:43], -v[48:49]
	v_fma_f64 v[152:153], v[154:155], v[46:47], v[152:153]
	v_add_f64 v[44:45], v[44:45], -v[152:153]
	ds_read2_b64 v[152:155], v194 offset0:54 offset1:55
	s_waitcnt lgkmcnt(0)
	v_mul_f64 v[48:49], v[154:155], v[150:151]
	v_fma_f64 v[48:49], v[152:153], v[46:47], -v[48:49]
	v_mul_f64 v[152:153], v[152:153], v[150:151]
	v_add_f64 v[38:39], v[38:39], -v[48:49]
	v_fma_f64 v[152:153], v[154:155], v[46:47], v[152:153]
	v_add_f64 v[40:41], v[40:41], -v[152:153]
	;; [unrolled: 8-line block ×10, first 2 shown]
	ds_read2_b64 v[152:155], v194 offset0:72 offset1:73
	s_waitcnt lgkmcnt(0)
	v_mul_f64 v[48:49], v[154:155], v[150:151]
	v_fma_f64 v[48:49], v[152:153], v[46:47], -v[48:49]
	v_mul_f64 v[152:153], v[152:153], v[150:151]
	v_add_f64 v[2:3], v[2:3], -v[48:49]
	v_fma_f64 v[152:153], v[154:155], v[46:47], v[152:153]
	v_mov_b32_e32 v48, v150
	v_mov_b32_e32 v49, v151
	v_add_f64 v[4:5], v[4:5], -v[152:153]
.LBB73_235:
	s_or_b32 exec_lo, exec_lo, s1
	s_mov_b32 s2, exec_lo
	s_waitcnt_vscnt null, 0x0
	s_barrier
	buffer_gl0_inv
	v_cmpx_eq_u32_e32 26, v0
	s_cbranch_execz .LBB73_242
; %bb.236:
	ds_write2_b64 v1, v[42:43], v[44:45] offset1:1
	ds_write2_b64 v194, v[38:39], v[40:41] offset0:54 offset1:55
	ds_write2_b64 v194, v[34:35], v[36:37] offset0:56 offset1:57
	;; [unrolled: 1-line block ×10, first 2 shown]
	ds_read2_b64 v[150:153], v1 offset1:1
	s_waitcnt lgkmcnt(0)
	v_cmp_neq_f64_e32 vcc_lo, 0, v[150:151]
	v_cmp_neq_f64_e64 s1, 0, v[152:153]
	s_or_b32 s1, vcc_lo, s1
	s_and_b32 exec_lo, exec_lo, s1
	s_cbranch_execz .LBB73_242
; %bb.237:
	v_cmp_ngt_f64_e64 s1, |v[150:151]|, |v[152:153]|
                                        ; implicit-def: $vgpr154_vgpr155
	s_and_saveexec_b32 s3, s1
	s_xor_b32 s1, exec_lo, s3
                                        ; implicit-def: $vgpr156_vgpr157
	s_cbranch_execz .LBB73_239
; %bb.238:
	v_div_scale_f64 v[154:155], null, v[152:153], v[152:153], v[150:151]
	v_div_scale_f64 v[160:161], vcc_lo, v[150:151], v[152:153], v[150:151]
	v_rcp_f64_e32 v[156:157], v[154:155]
	v_fma_f64 v[158:159], -v[154:155], v[156:157], 1.0
	v_fma_f64 v[156:157], v[156:157], v[158:159], v[156:157]
	v_fma_f64 v[158:159], -v[154:155], v[156:157], 1.0
	v_fma_f64 v[156:157], v[156:157], v[158:159], v[156:157]
	v_mul_f64 v[158:159], v[160:161], v[156:157]
	v_fma_f64 v[154:155], -v[154:155], v[158:159], v[160:161]
	v_div_fmas_f64 v[154:155], v[154:155], v[156:157], v[158:159]
	v_div_fixup_f64 v[154:155], v[154:155], v[152:153], v[150:151]
	v_fma_f64 v[150:151], v[150:151], v[154:155], v[152:153]
	v_div_scale_f64 v[152:153], null, v[150:151], v[150:151], 1.0
	v_rcp_f64_e32 v[156:157], v[152:153]
	v_fma_f64 v[158:159], -v[152:153], v[156:157], 1.0
	v_fma_f64 v[156:157], v[156:157], v[158:159], v[156:157]
	v_fma_f64 v[158:159], -v[152:153], v[156:157], 1.0
	v_fma_f64 v[156:157], v[156:157], v[158:159], v[156:157]
	v_div_scale_f64 v[158:159], vcc_lo, 1.0, v[150:151], 1.0
	v_mul_f64 v[160:161], v[158:159], v[156:157]
	v_fma_f64 v[152:153], -v[152:153], v[160:161], v[158:159]
	v_div_fmas_f64 v[152:153], v[152:153], v[156:157], v[160:161]
	v_div_fixup_f64 v[156:157], v[152:153], v[150:151], 1.0
                                        ; implicit-def: $vgpr150_vgpr151
	v_mul_f64 v[154:155], v[154:155], v[156:157]
	v_xor_b32_e32 v157, 0x80000000, v157
.LBB73_239:
	s_andn2_saveexec_b32 s1, s1
	s_cbranch_execz .LBB73_241
; %bb.240:
	v_div_scale_f64 v[154:155], null, v[150:151], v[150:151], v[152:153]
	v_div_scale_f64 v[160:161], vcc_lo, v[152:153], v[150:151], v[152:153]
	v_rcp_f64_e32 v[156:157], v[154:155]
	v_fma_f64 v[158:159], -v[154:155], v[156:157], 1.0
	v_fma_f64 v[156:157], v[156:157], v[158:159], v[156:157]
	v_fma_f64 v[158:159], -v[154:155], v[156:157], 1.0
	v_fma_f64 v[156:157], v[156:157], v[158:159], v[156:157]
	v_mul_f64 v[158:159], v[160:161], v[156:157]
	v_fma_f64 v[154:155], -v[154:155], v[158:159], v[160:161]
	v_div_fmas_f64 v[154:155], v[154:155], v[156:157], v[158:159]
	v_div_fixup_f64 v[156:157], v[154:155], v[150:151], v[152:153]
	v_fma_f64 v[150:151], v[152:153], v[156:157], v[150:151]
	v_div_scale_f64 v[152:153], null, v[150:151], v[150:151], 1.0
	v_rcp_f64_e32 v[154:155], v[152:153]
	v_fma_f64 v[158:159], -v[152:153], v[154:155], 1.0
	v_fma_f64 v[154:155], v[154:155], v[158:159], v[154:155]
	v_fma_f64 v[158:159], -v[152:153], v[154:155], 1.0
	v_fma_f64 v[154:155], v[154:155], v[158:159], v[154:155]
	v_div_scale_f64 v[158:159], vcc_lo, 1.0, v[150:151], 1.0
	v_mul_f64 v[160:161], v[158:159], v[154:155]
	v_fma_f64 v[152:153], -v[152:153], v[160:161], v[158:159]
	v_div_fmas_f64 v[152:153], v[152:153], v[154:155], v[160:161]
	v_div_fixup_f64 v[154:155], v[152:153], v[150:151], 1.0
	v_mul_f64 v[156:157], v[156:157], -v[154:155]
.LBB73_241:
	s_or_b32 exec_lo, exec_lo, s1
	ds_write2_b64 v1, v[154:155], v[156:157] offset1:1
.LBB73_242:
	s_or_b32 exec_lo, exec_lo, s2
	s_waitcnt lgkmcnt(0)
	s_barrier
	buffer_gl0_inv
	ds_read2_b64 v[150:153], v1 offset1:1
	s_mov_b32 s1, exec_lo
	s_waitcnt lgkmcnt(0)
	buffer_store_dword v150, off, s[16:19], 0 offset:488 ; 4-byte Folded Spill
	buffer_store_dword v151, off, s[16:19], 0 offset:492 ; 4-byte Folded Spill
	;; [unrolled: 1-line block ×4, first 2 shown]
	v_cmpx_lt_u32_e32 26, v0
	s_cbranch_execz .LBB73_244
; %bb.243:
	s_clause 0x3
	buffer_load_dword v150, off, s[16:19], 0 offset:488
	buffer_load_dword v151, off, s[16:19], 0 offset:492
	;; [unrolled: 1-line block ×4, first 2 shown]
	s_waitcnt vmcnt(2)
	v_mul_f64 v[154:155], v[150:151], v[44:45]
	s_waitcnt vmcnt(0)
	v_mul_f64 v[44:45], v[152:153], v[44:45]
	v_fma_f64 v[158:159], v[152:153], v[42:43], v[154:155]
	ds_read2_b64 v[154:157], v194 offset0:54 offset1:55
	v_fma_f64 v[42:43], v[150:151], v[42:43], -v[44:45]
	s_waitcnt lgkmcnt(0)
	v_mul_f64 v[44:45], v[156:157], v[158:159]
	v_fma_f64 v[44:45], v[154:155], v[42:43], -v[44:45]
	v_mul_f64 v[154:155], v[154:155], v[158:159]
	v_add_f64 v[38:39], v[38:39], -v[44:45]
	v_fma_f64 v[154:155], v[156:157], v[42:43], v[154:155]
	v_add_f64 v[40:41], v[40:41], -v[154:155]
	ds_read2_b64 v[154:157], v194 offset0:56 offset1:57
	s_waitcnt lgkmcnt(0)
	v_mul_f64 v[44:45], v[156:157], v[158:159]
	v_fma_f64 v[44:45], v[154:155], v[42:43], -v[44:45]
	v_mul_f64 v[154:155], v[154:155], v[158:159]
	v_add_f64 v[34:35], v[34:35], -v[44:45]
	v_fma_f64 v[154:155], v[156:157], v[42:43], v[154:155]
	v_add_f64 v[36:37], v[36:37], -v[154:155]
	ds_read2_b64 v[154:157], v194 offset0:58 offset1:59
	s_waitcnt lgkmcnt(0)
	v_mul_f64 v[44:45], v[156:157], v[158:159]
	v_fma_f64 v[44:45], v[154:155], v[42:43], -v[44:45]
	v_mul_f64 v[154:155], v[154:155], v[158:159]
	v_add_f64 v[30:31], v[30:31], -v[44:45]
	v_fma_f64 v[154:155], v[156:157], v[42:43], v[154:155]
	v_add_f64 v[32:33], v[32:33], -v[154:155]
	ds_read2_b64 v[154:157], v194 offset0:60 offset1:61
	s_waitcnt lgkmcnt(0)
	v_mul_f64 v[44:45], v[156:157], v[158:159]
	v_fma_f64 v[44:45], v[154:155], v[42:43], -v[44:45]
	v_mul_f64 v[154:155], v[154:155], v[158:159]
	v_add_f64 v[26:27], v[26:27], -v[44:45]
	v_fma_f64 v[154:155], v[156:157], v[42:43], v[154:155]
	v_add_f64 v[28:29], v[28:29], -v[154:155]
	ds_read2_b64 v[154:157], v194 offset0:62 offset1:63
	s_waitcnt lgkmcnt(0)
	v_mul_f64 v[44:45], v[156:157], v[158:159]
	v_fma_f64 v[44:45], v[154:155], v[42:43], -v[44:45]
	v_mul_f64 v[154:155], v[154:155], v[158:159]
	v_add_f64 v[22:23], v[22:23], -v[44:45]
	v_fma_f64 v[154:155], v[156:157], v[42:43], v[154:155]
	v_add_f64 v[24:25], v[24:25], -v[154:155]
	ds_read2_b64 v[154:157], v194 offset0:64 offset1:65
	s_waitcnt lgkmcnt(0)
	v_mul_f64 v[44:45], v[156:157], v[158:159]
	v_fma_f64 v[44:45], v[154:155], v[42:43], -v[44:45]
	v_mul_f64 v[154:155], v[154:155], v[158:159]
	v_add_f64 v[18:19], v[18:19], -v[44:45]
	v_fma_f64 v[154:155], v[156:157], v[42:43], v[154:155]
	v_add_f64 v[20:21], v[20:21], -v[154:155]
	ds_read2_b64 v[154:157], v194 offset0:66 offset1:67
	s_waitcnt lgkmcnt(0)
	v_mul_f64 v[44:45], v[156:157], v[158:159]
	v_fma_f64 v[44:45], v[154:155], v[42:43], -v[44:45]
	v_mul_f64 v[154:155], v[154:155], v[158:159]
	v_add_f64 v[14:15], v[14:15], -v[44:45]
	v_fma_f64 v[154:155], v[156:157], v[42:43], v[154:155]
	v_add_f64 v[16:17], v[16:17], -v[154:155]
	ds_read2_b64 v[154:157], v194 offset0:68 offset1:69
	s_waitcnt lgkmcnt(0)
	v_mul_f64 v[44:45], v[156:157], v[158:159]
	v_fma_f64 v[44:45], v[154:155], v[42:43], -v[44:45]
	v_mul_f64 v[154:155], v[154:155], v[158:159]
	v_add_f64 v[10:11], v[10:11], -v[44:45]
	v_fma_f64 v[154:155], v[156:157], v[42:43], v[154:155]
	v_add_f64 v[12:13], v[12:13], -v[154:155]
	ds_read2_b64 v[154:157], v194 offset0:70 offset1:71
	s_waitcnt lgkmcnt(0)
	v_mul_f64 v[44:45], v[156:157], v[158:159]
	v_fma_f64 v[44:45], v[154:155], v[42:43], -v[44:45]
	v_mul_f64 v[154:155], v[154:155], v[158:159]
	v_add_f64 v[6:7], v[6:7], -v[44:45]
	v_fma_f64 v[154:155], v[156:157], v[42:43], v[154:155]
	v_add_f64 v[8:9], v[8:9], -v[154:155]
	ds_read2_b64 v[154:157], v194 offset0:72 offset1:73
	s_waitcnt lgkmcnt(0)
	v_mul_f64 v[44:45], v[156:157], v[158:159]
	v_fma_f64 v[44:45], v[154:155], v[42:43], -v[44:45]
	v_mul_f64 v[154:155], v[154:155], v[158:159]
	v_add_f64 v[2:3], v[2:3], -v[44:45]
	v_fma_f64 v[154:155], v[156:157], v[42:43], v[154:155]
	v_mov_b32_e32 v44, v158
	v_mov_b32_e32 v45, v159
	v_add_f64 v[4:5], v[4:5], -v[154:155]
.LBB73_244:
	s_or_b32 exec_lo, exec_lo, s1
	s_mov_b32 s2, exec_lo
	s_waitcnt_vscnt null, 0x0
	s_barrier
	buffer_gl0_inv
	v_cmpx_eq_u32_e32 27, v0
	s_cbranch_execz .LBB73_251
; %bb.245:
	ds_write2_b64 v1, v[38:39], v[40:41] offset1:1
	ds_write2_b64 v194, v[34:35], v[36:37] offset0:56 offset1:57
	ds_write2_b64 v194, v[30:31], v[32:33] offset0:58 offset1:59
	;; [unrolled: 1-line block ×9, first 2 shown]
	ds_read2_b64 v[154:157], v1 offset1:1
	s_waitcnt lgkmcnt(0)
	v_cmp_neq_f64_e32 vcc_lo, 0, v[154:155]
	v_cmp_neq_f64_e64 s1, 0, v[156:157]
	s_or_b32 s1, vcc_lo, s1
	s_and_b32 exec_lo, exec_lo, s1
	s_cbranch_execz .LBB73_251
; %bb.246:
	v_cmp_ngt_f64_e64 s1, |v[154:155]|, |v[156:157]|
                                        ; implicit-def: $vgpr158_vgpr159
	s_and_saveexec_b32 s3, s1
	s_xor_b32 s1, exec_lo, s3
                                        ; implicit-def: $vgpr160_vgpr161
	s_cbranch_execz .LBB73_248
; %bb.247:
	v_div_scale_f64 v[158:159], null, v[156:157], v[156:157], v[154:155]
	v_div_scale_f64 v[164:165], vcc_lo, v[154:155], v[156:157], v[154:155]
	v_rcp_f64_e32 v[160:161], v[158:159]
	v_fma_f64 v[162:163], -v[158:159], v[160:161], 1.0
	v_fma_f64 v[160:161], v[160:161], v[162:163], v[160:161]
	v_fma_f64 v[162:163], -v[158:159], v[160:161], 1.0
	v_fma_f64 v[160:161], v[160:161], v[162:163], v[160:161]
	v_mul_f64 v[162:163], v[164:165], v[160:161]
	v_fma_f64 v[158:159], -v[158:159], v[162:163], v[164:165]
	v_div_fmas_f64 v[158:159], v[158:159], v[160:161], v[162:163]
	v_div_fixup_f64 v[158:159], v[158:159], v[156:157], v[154:155]
	v_fma_f64 v[154:155], v[154:155], v[158:159], v[156:157]
	v_div_scale_f64 v[156:157], null, v[154:155], v[154:155], 1.0
	v_rcp_f64_e32 v[160:161], v[156:157]
	v_fma_f64 v[162:163], -v[156:157], v[160:161], 1.0
	v_fma_f64 v[160:161], v[160:161], v[162:163], v[160:161]
	v_fma_f64 v[162:163], -v[156:157], v[160:161], 1.0
	v_fma_f64 v[160:161], v[160:161], v[162:163], v[160:161]
	v_div_scale_f64 v[162:163], vcc_lo, 1.0, v[154:155], 1.0
	v_mul_f64 v[164:165], v[162:163], v[160:161]
	v_fma_f64 v[156:157], -v[156:157], v[164:165], v[162:163]
	v_div_fmas_f64 v[156:157], v[156:157], v[160:161], v[164:165]
	v_div_fixup_f64 v[160:161], v[156:157], v[154:155], 1.0
                                        ; implicit-def: $vgpr154_vgpr155
	v_mul_f64 v[158:159], v[158:159], v[160:161]
	v_xor_b32_e32 v161, 0x80000000, v161
.LBB73_248:
	s_andn2_saveexec_b32 s1, s1
	s_cbranch_execz .LBB73_250
; %bb.249:
	v_div_scale_f64 v[158:159], null, v[154:155], v[154:155], v[156:157]
	v_div_scale_f64 v[164:165], vcc_lo, v[156:157], v[154:155], v[156:157]
	v_rcp_f64_e32 v[160:161], v[158:159]
	v_fma_f64 v[162:163], -v[158:159], v[160:161], 1.0
	v_fma_f64 v[160:161], v[160:161], v[162:163], v[160:161]
	v_fma_f64 v[162:163], -v[158:159], v[160:161], 1.0
	v_fma_f64 v[160:161], v[160:161], v[162:163], v[160:161]
	v_mul_f64 v[162:163], v[164:165], v[160:161]
	v_fma_f64 v[158:159], -v[158:159], v[162:163], v[164:165]
	v_div_fmas_f64 v[158:159], v[158:159], v[160:161], v[162:163]
	v_div_fixup_f64 v[160:161], v[158:159], v[154:155], v[156:157]
	v_fma_f64 v[154:155], v[156:157], v[160:161], v[154:155]
	v_div_scale_f64 v[156:157], null, v[154:155], v[154:155], 1.0
	v_rcp_f64_e32 v[158:159], v[156:157]
	v_fma_f64 v[162:163], -v[156:157], v[158:159], 1.0
	v_fma_f64 v[158:159], v[158:159], v[162:163], v[158:159]
	v_fma_f64 v[162:163], -v[156:157], v[158:159], 1.0
	v_fma_f64 v[158:159], v[158:159], v[162:163], v[158:159]
	v_div_scale_f64 v[162:163], vcc_lo, 1.0, v[154:155], 1.0
	v_mul_f64 v[164:165], v[162:163], v[158:159]
	v_fma_f64 v[156:157], -v[156:157], v[164:165], v[162:163]
	v_div_fmas_f64 v[156:157], v[156:157], v[158:159], v[164:165]
	v_div_fixup_f64 v[158:159], v[156:157], v[154:155], 1.0
	v_mul_f64 v[160:161], v[160:161], -v[158:159]
.LBB73_250:
	s_or_b32 exec_lo, exec_lo, s1
	ds_write2_b64 v1, v[158:159], v[160:161] offset1:1
.LBB73_251:
	s_or_b32 exec_lo, exec_lo, s2
	s_waitcnt lgkmcnt(0)
	s_barrier
	buffer_gl0_inv
	ds_read2_b64 v[154:157], v1 offset1:1
	s_mov_b32 s1, exec_lo
	v_cmpx_lt_u32_e32 27, v0
	s_cbranch_execz .LBB73_253
; %bb.252:
	s_waitcnt lgkmcnt(0)
	v_mul_f64 v[158:159], v[154:155], v[40:41]
	v_mul_f64 v[40:41], v[156:157], v[40:41]
	v_fma_f64 v[162:163], v[156:157], v[38:39], v[158:159]
	ds_read2_b64 v[158:161], v194 offset0:56 offset1:57
	v_fma_f64 v[38:39], v[154:155], v[38:39], -v[40:41]
	s_waitcnt lgkmcnt(0)
	v_mul_f64 v[40:41], v[160:161], v[162:163]
	v_fma_f64 v[40:41], v[158:159], v[38:39], -v[40:41]
	v_mul_f64 v[158:159], v[158:159], v[162:163]
	v_add_f64 v[34:35], v[34:35], -v[40:41]
	v_fma_f64 v[158:159], v[160:161], v[38:39], v[158:159]
	v_add_f64 v[36:37], v[36:37], -v[158:159]
	ds_read2_b64 v[158:161], v194 offset0:58 offset1:59
	s_waitcnt lgkmcnt(0)
	v_mul_f64 v[40:41], v[160:161], v[162:163]
	v_fma_f64 v[40:41], v[158:159], v[38:39], -v[40:41]
	v_mul_f64 v[158:159], v[158:159], v[162:163]
	v_add_f64 v[30:31], v[30:31], -v[40:41]
	v_fma_f64 v[158:159], v[160:161], v[38:39], v[158:159]
	v_add_f64 v[32:33], v[32:33], -v[158:159]
	ds_read2_b64 v[158:161], v194 offset0:60 offset1:61
	;; [unrolled: 8-line block ×8, first 2 shown]
	s_waitcnt lgkmcnt(0)
	v_mul_f64 v[40:41], v[160:161], v[162:163]
	v_fma_f64 v[40:41], v[158:159], v[38:39], -v[40:41]
	v_mul_f64 v[158:159], v[158:159], v[162:163]
	v_add_f64 v[2:3], v[2:3], -v[40:41]
	v_fma_f64 v[158:159], v[160:161], v[38:39], v[158:159]
	v_mov_b32_e32 v40, v162
	v_mov_b32_e32 v41, v163
	v_add_f64 v[4:5], v[4:5], -v[158:159]
.LBB73_253:
	s_or_b32 exec_lo, exec_lo, s1
	s_mov_b32 s2, exec_lo
	s_waitcnt lgkmcnt(0)
	s_barrier
	buffer_gl0_inv
	v_cmpx_eq_u32_e32 28, v0
	s_cbranch_execz .LBB73_260
; %bb.254:
	ds_write2_b64 v1, v[34:35], v[36:37] offset1:1
	ds_write2_b64 v194, v[30:31], v[32:33] offset0:58 offset1:59
	ds_write2_b64 v194, v[26:27], v[28:29] offset0:60 offset1:61
	;; [unrolled: 1-line block ×8, first 2 shown]
	ds_read2_b64 v[158:161], v1 offset1:1
	s_waitcnt lgkmcnt(0)
	v_cmp_neq_f64_e32 vcc_lo, 0, v[158:159]
	v_cmp_neq_f64_e64 s1, 0, v[160:161]
	s_or_b32 s1, vcc_lo, s1
	s_and_b32 exec_lo, exec_lo, s1
	s_cbranch_execz .LBB73_260
; %bb.255:
	v_cmp_ngt_f64_e64 s1, |v[158:159]|, |v[160:161]|
                                        ; implicit-def: $vgpr162_vgpr163
	s_and_saveexec_b32 s3, s1
	s_xor_b32 s1, exec_lo, s3
                                        ; implicit-def: $vgpr164_vgpr165
	s_cbranch_execz .LBB73_257
; %bb.256:
	v_div_scale_f64 v[162:163], null, v[160:161], v[160:161], v[158:159]
	v_div_scale_f64 v[168:169], vcc_lo, v[158:159], v[160:161], v[158:159]
	v_rcp_f64_e32 v[164:165], v[162:163]
	v_fma_f64 v[166:167], -v[162:163], v[164:165], 1.0
	v_fma_f64 v[164:165], v[164:165], v[166:167], v[164:165]
	v_fma_f64 v[166:167], -v[162:163], v[164:165], 1.0
	v_fma_f64 v[164:165], v[164:165], v[166:167], v[164:165]
	v_mul_f64 v[166:167], v[168:169], v[164:165]
	v_fma_f64 v[162:163], -v[162:163], v[166:167], v[168:169]
	v_div_fmas_f64 v[162:163], v[162:163], v[164:165], v[166:167]
	v_div_fixup_f64 v[162:163], v[162:163], v[160:161], v[158:159]
	v_fma_f64 v[158:159], v[158:159], v[162:163], v[160:161]
	v_div_scale_f64 v[160:161], null, v[158:159], v[158:159], 1.0
	v_rcp_f64_e32 v[164:165], v[160:161]
	v_fma_f64 v[166:167], -v[160:161], v[164:165], 1.0
	v_fma_f64 v[164:165], v[164:165], v[166:167], v[164:165]
	v_fma_f64 v[166:167], -v[160:161], v[164:165], 1.0
	v_fma_f64 v[164:165], v[164:165], v[166:167], v[164:165]
	v_div_scale_f64 v[166:167], vcc_lo, 1.0, v[158:159], 1.0
	v_mul_f64 v[168:169], v[166:167], v[164:165]
	v_fma_f64 v[160:161], -v[160:161], v[168:169], v[166:167]
	v_div_fmas_f64 v[160:161], v[160:161], v[164:165], v[168:169]
	v_div_fixup_f64 v[164:165], v[160:161], v[158:159], 1.0
                                        ; implicit-def: $vgpr158_vgpr159
	v_mul_f64 v[162:163], v[162:163], v[164:165]
	v_xor_b32_e32 v165, 0x80000000, v165
.LBB73_257:
	s_andn2_saveexec_b32 s1, s1
	s_cbranch_execz .LBB73_259
; %bb.258:
	v_div_scale_f64 v[162:163], null, v[158:159], v[158:159], v[160:161]
	v_div_scale_f64 v[168:169], vcc_lo, v[160:161], v[158:159], v[160:161]
	v_rcp_f64_e32 v[164:165], v[162:163]
	v_fma_f64 v[166:167], -v[162:163], v[164:165], 1.0
	v_fma_f64 v[164:165], v[164:165], v[166:167], v[164:165]
	v_fma_f64 v[166:167], -v[162:163], v[164:165], 1.0
	v_fma_f64 v[164:165], v[164:165], v[166:167], v[164:165]
	v_mul_f64 v[166:167], v[168:169], v[164:165]
	v_fma_f64 v[162:163], -v[162:163], v[166:167], v[168:169]
	v_div_fmas_f64 v[162:163], v[162:163], v[164:165], v[166:167]
	v_div_fixup_f64 v[164:165], v[162:163], v[158:159], v[160:161]
	v_fma_f64 v[158:159], v[160:161], v[164:165], v[158:159]
	v_div_scale_f64 v[160:161], null, v[158:159], v[158:159], 1.0
	v_rcp_f64_e32 v[162:163], v[160:161]
	v_fma_f64 v[166:167], -v[160:161], v[162:163], 1.0
	v_fma_f64 v[162:163], v[162:163], v[166:167], v[162:163]
	v_fma_f64 v[166:167], -v[160:161], v[162:163], 1.0
	v_fma_f64 v[162:163], v[162:163], v[166:167], v[162:163]
	v_div_scale_f64 v[166:167], vcc_lo, 1.0, v[158:159], 1.0
	v_mul_f64 v[168:169], v[166:167], v[162:163]
	v_fma_f64 v[160:161], -v[160:161], v[168:169], v[166:167]
	v_div_fmas_f64 v[160:161], v[160:161], v[162:163], v[168:169]
	v_div_fixup_f64 v[162:163], v[160:161], v[158:159], 1.0
	v_mul_f64 v[164:165], v[164:165], -v[162:163]
.LBB73_259:
	s_or_b32 exec_lo, exec_lo, s1
	ds_write2_b64 v1, v[162:163], v[164:165] offset1:1
.LBB73_260:
	s_or_b32 exec_lo, exec_lo, s2
	s_waitcnt lgkmcnt(0)
	s_barrier
	buffer_gl0_inv
	ds_read2_b64 v[158:161], v1 offset1:1
	s_mov_b32 s1, exec_lo
	v_cmpx_lt_u32_e32 28, v0
	s_cbranch_execz .LBB73_262
; %bb.261:
	s_waitcnt lgkmcnt(0)
	v_mul_f64 v[162:163], v[158:159], v[36:37]
	v_mul_f64 v[36:37], v[160:161], v[36:37]
	v_fma_f64 v[166:167], v[160:161], v[34:35], v[162:163]
	ds_read2_b64 v[162:165], v194 offset0:58 offset1:59
	v_fma_f64 v[34:35], v[158:159], v[34:35], -v[36:37]
	s_waitcnt lgkmcnt(0)
	v_mul_f64 v[36:37], v[164:165], v[166:167]
	v_fma_f64 v[36:37], v[162:163], v[34:35], -v[36:37]
	v_mul_f64 v[162:163], v[162:163], v[166:167]
	v_add_f64 v[30:31], v[30:31], -v[36:37]
	v_fma_f64 v[162:163], v[164:165], v[34:35], v[162:163]
	v_add_f64 v[32:33], v[32:33], -v[162:163]
	ds_read2_b64 v[162:165], v194 offset0:60 offset1:61
	s_waitcnt lgkmcnt(0)
	v_mul_f64 v[36:37], v[164:165], v[166:167]
	v_fma_f64 v[36:37], v[162:163], v[34:35], -v[36:37]
	v_mul_f64 v[162:163], v[162:163], v[166:167]
	v_add_f64 v[26:27], v[26:27], -v[36:37]
	v_fma_f64 v[162:163], v[164:165], v[34:35], v[162:163]
	v_add_f64 v[28:29], v[28:29], -v[162:163]
	ds_read2_b64 v[162:165], v194 offset0:62 offset1:63
	s_waitcnt lgkmcnt(0)
	v_mul_f64 v[36:37], v[164:165], v[166:167]
	v_fma_f64 v[36:37], v[162:163], v[34:35], -v[36:37]
	v_mul_f64 v[162:163], v[162:163], v[166:167]
	v_add_f64 v[22:23], v[22:23], -v[36:37]
	v_fma_f64 v[162:163], v[164:165], v[34:35], v[162:163]
	v_add_f64 v[24:25], v[24:25], -v[162:163]
	ds_read2_b64 v[162:165], v194 offset0:64 offset1:65
	s_waitcnt lgkmcnt(0)
	v_mul_f64 v[36:37], v[164:165], v[166:167]
	v_fma_f64 v[36:37], v[162:163], v[34:35], -v[36:37]
	v_mul_f64 v[162:163], v[162:163], v[166:167]
	v_add_f64 v[18:19], v[18:19], -v[36:37]
	v_fma_f64 v[162:163], v[164:165], v[34:35], v[162:163]
	v_add_f64 v[20:21], v[20:21], -v[162:163]
	ds_read2_b64 v[162:165], v194 offset0:66 offset1:67
	s_waitcnt lgkmcnt(0)
	v_mul_f64 v[36:37], v[164:165], v[166:167]
	v_fma_f64 v[36:37], v[162:163], v[34:35], -v[36:37]
	v_mul_f64 v[162:163], v[162:163], v[166:167]
	v_add_f64 v[14:15], v[14:15], -v[36:37]
	v_fma_f64 v[162:163], v[164:165], v[34:35], v[162:163]
	v_add_f64 v[16:17], v[16:17], -v[162:163]
	ds_read2_b64 v[162:165], v194 offset0:68 offset1:69
	s_waitcnt lgkmcnt(0)
	v_mul_f64 v[36:37], v[164:165], v[166:167]
	v_fma_f64 v[36:37], v[162:163], v[34:35], -v[36:37]
	v_mul_f64 v[162:163], v[162:163], v[166:167]
	v_add_f64 v[10:11], v[10:11], -v[36:37]
	v_fma_f64 v[162:163], v[164:165], v[34:35], v[162:163]
	v_add_f64 v[12:13], v[12:13], -v[162:163]
	ds_read2_b64 v[162:165], v194 offset0:70 offset1:71
	s_waitcnt lgkmcnt(0)
	v_mul_f64 v[36:37], v[164:165], v[166:167]
	v_fma_f64 v[36:37], v[162:163], v[34:35], -v[36:37]
	v_mul_f64 v[162:163], v[162:163], v[166:167]
	v_add_f64 v[6:7], v[6:7], -v[36:37]
	v_fma_f64 v[162:163], v[164:165], v[34:35], v[162:163]
	v_add_f64 v[8:9], v[8:9], -v[162:163]
	ds_read2_b64 v[162:165], v194 offset0:72 offset1:73
	s_waitcnt lgkmcnt(0)
	v_mul_f64 v[36:37], v[164:165], v[166:167]
	v_fma_f64 v[36:37], v[162:163], v[34:35], -v[36:37]
	v_mul_f64 v[162:163], v[162:163], v[166:167]
	v_add_f64 v[2:3], v[2:3], -v[36:37]
	v_fma_f64 v[162:163], v[164:165], v[34:35], v[162:163]
	v_mov_b32_e32 v36, v166
	v_mov_b32_e32 v37, v167
	v_add_f64 v[4:5], v[4:5], -v[162:163]
.LBB73_262:
	s_or_b32 exec_lo, exec_lo, s1
	s_mov_b32 s2, exec_lo
	s_waitcnt lgkmcnt(0)
	s_barrier
	buffer_gl0_inv
	v_cmpx_eq_u32_e32 29, v0
	s_cbranch_execz .LBB73_269
; %bb.263:
	ds_write2_b64 v1, v[30:31], v[32:33] offset1:1
	ds_write2_b64 v194, v[26:27], v[28:29] offset0:60 offset1:61
	ds_write2_b64 v194, v[22:23], v[24:25] offset0:62 offset1:63
	;; [unrolled: 1-line block ×7, first 2 shown]
	ds_read2_b64 v[162:165], v1 offset1:1
	s_waitcnt lgkmcnt(0)
	v_cmp_neq_f64_e32 vcc_lo, 0, v[162:163]
	v_cmp_neq_f64_e64 s1, 0, v[164:165]
	s_or_b32 s1, vcc_lo, s1
	s_and_b32 exec_lo, exec_lo, s1
	s_cbranch_execz .LBB73_269
; %bb.264:
	v_cmp_ngt_f64_e64 s1, |v[162:163]|, |v[164:165]|
                                        ; implicit-def: $vgpr166_vgpr167
	s_and_saveexec_b32 s3, s1
	s_xor_b32 s1, exec_lo, s3
                                        ; implicit-def: $vgpr168_vgpr169
	s_cbranch_execz .LBB73_266
; %bb.265:
	v_div_scale_f64 v[166:167], null, v[164:165], v[164:165], v[162:163]
	v_div_scale_f64 v[172:173], vcc_lo, v[162:163], v[164:165], v[162:163]
	v_rcp_f64_e32 v[168:169], v[166:167]
	v_fma_f64 v[170:171], -v[166:167], v[168:169], 1.0
	v_fma_f64 v[168:169], v[168:169], v[170:171], v[168:169]
	v_fma_f64 v[170:171], -v[166:167], v[168:169], 1.0
	v_fma_f64 v[168:169], v[168:169], v[170:171], v[168:169]
	v_mul_f64 v[170:171], v[172:173], v[168:169]
	v_fma_f64 v[166:167], -v[166:167], v[170:171], v[172:173]
	v_div_fmas_f64 v[166:167], v[166:167], v[168:169], v[170:171]
	v_div_fixup_f64 v[166:167], v[166:167], v[164:165], v[162:163]
	v_fma_f64 v[162:163], v[162:163], v[166:167], v[164:165]
	v_div_scale_f64 v[164:165], null, v[162:163], v[162:163], 1.0
	v_rcp_f64_e32 v[168:169], v[164:165]
	v_fma_f64 v[170:171], -v[164:165], v[168:169], 1.0
	v_fma_f64 v[168:169], v[168:169], v[170:171], v[168:169]
	v_fma_f64 v[170:171], -v[164:165], v[168:169], 1.0
	v_fma_f64 v[168:169], v[168:169], v[170:171], v[168:169]
	v_div_scale_f64 v[170:171], vcc_lo, 1.0, v[162:163], 1.0
	v_mul_f64 v[172:173], v[170:171], v[168:169]
	v_fma_f64 v[164:165], -v[164:165], v[172:173], v[170:171]
	v_div_fmas_f64 v[164:165], v[164:165], v[168:169], v[172:173]
	v_div_fixup_f64 v[168:169], v[164:165], v[162:163], 1.0
                                        ; implicit-def: $vgpr162_vgpr163
	v_mul_f64 v[166:167], v[166:167], v[168:169]
	v_xor_b32_e32 v169, 0x80000000, v169
.LBB73_266:
	s_andn2_saveexec_b32 s1, s1
	s_cbranch_execz .LBB73_268
; %bb.267:
	v_div_scale_f64 v[166:167], null, v[162:163], v[162:163], v[164:165]
	v_div_scale_f64 v[172:173], vcc_lo, v[164:165], v[162:163], v[164:165]
	v_rcp_f64_e32 v[168:169], v[166:167]
	v_fma_f64 v[170:171], -v[166:167], v[168:169], 1.0
	v_fma_f64 v[168:169], v[168:169], v[170:171], v[168:169]
	v_fma_f64 v[170:171], -v[166:167], v[168:169], 1.0
	v_fma_f64 v[168:169], v[168:169], v[170:171], v[168:169]
	v_mul_f64 v[170:171], v[172:173], v[168:169]
	v_fma_f64 v[166:167], -v[166:167], v[170:171], v[172:173]
	v_div_fmas_f64 v[166:167], v[166:167], v[168:169], v[170:171]
	v_div_fixup_f64 v[168:169], v[166:167], v[162:163], v[164:165]
	v_fma_f64 v[162:163], v[164:165], v[168:169], v[162:163]
	v_div_scale_f64 v[164:165], null, v[162:163], v[162:163], 1.0
	v_rcp_f64_e32 v[166:167], v[164:165]
	v_fma_f64 v[170:171], -v[164:165], v[166:167], 1.0
	v_fma_f64 v[166:167], v[166:167], v[170:171], v[166:167]
	v_fma_f64 v[170:171], -v[164:165], v[166:167], 1.0
	v_fma_f64 v[166:167], v[166:167], v[170:171], v[166:167]
	v_div_scale_f64 v[170:171], vcc_lo, 1.0, v[162:163], 1.0
	v_mul_f64 v[172:173], v[170:171], v[166:167]
	v_fma_f64 v[164:165], -v[164:165], v[172:173], v[170:171]
	v_div_fmas_f64 v[164:165], v[164:165], v[166:167], v[172:173]
	v_div_fixup_f64 v[166:167], v[164:165], v[162:163], 1.0
	v_mul_f64 v[168:169], v[168:169], -v[166:167]
.LBB73_268:
	s_or_b32 exec_lo, exec_lo, s1
	ds_write2_b64 v1, v[166:167], v[168:169] offset1:1
.LBB73_269:
	s_or_b32 exec_lo, exec_lo, s2
	s_waitcnt lgkmcnt(0)
	s_barrier
	buffer_gl0_inv
	ds_read2_b64 v[162:165], v1 offset1:1
	s_mov_b32 s1, exec_lo
	v_cmpx_lt_u32_e32 29, v0
	s_cbranch_execz .LBB73_271
; %bb.270:
	s_waitcnt lgkmcnt(0)
	v_mul_f64 v[166:167], v[162:163], v[32:33]
	v_mul_f64 v[32:33], v[164:165], v[32:33]
	v_fma_f64 v[170:171], v[164:165], v[30:31], v[166:167]
	ds_read2_b64 v[166:169], v194 offset0:60 offset1:61
	v_fma_f64 v[30:31], v[162:163], v[30:31], -v[32:33]
	s_waitcnt lgkmcnt(0)
	v_mul_f64 v[32:33], v[168:169], v[170:171]
	v_fma_f64 v[32:33], v[166:167], v[30:31], -v[32:33]
	v_mul_f64 v[166:167], v[166:167], v[170:171]
	v_add_f64 v[26:27], v[26:27], -v[32:33]
	v_fma_f64 v[166:167], v[168:169], v[30:31], v[166:167]
	v_add_f64 v[28:29], v[28:29], -v[166:167]
	ds_read2_b64 v[166:169], v194 offset0:62 offset1:63
	s_waitcnt lgkmcnt(0)
	v_mul_f64 v[32:33], v[168:169], v[170:171]
	v_fma_f64 v[32:33], v[166:167], v[30:31], -v[32:33]
	v_mul_f64 v[166:167], v[166:167], v[170:171]
	v_add_f64 v[22:23], v[22:23], -v[32:33]
	v_fma_f64 v[166:167], v[168:169], v[30:31], v[166:167]
	v_add_f64 v[24:25], v[24:25], -v[166:167]
	ds_read2_b64 v[166:169], v194 offset0:64 offset1:65
	;; [unrolled: 8-line block ×6, first 2 shown]
	s_waitcnt lgkmcnt(0)
	v_mul_f64 v[32:33], v[168:169], v[170:171]
	v_fma_f64 v[32:33], v[166:167], v[30:31], -v[32:33]
	v_mul_f64 v[166:167], v[166:167], v[170:171]
	v_add_f64 v[2:3], v[2:3], -v[32:33]
	v_fma_f64 v[166:167], v[168:169], v[30:31], v[166:167]
	v_mov_b32_e32 v32, v170
	v_mov_b32_e32 v33, v171
	v_add_f64 v[4:5], v[4:5], -v[166:167]
.LBB73_271:
	s_or_b32 exec_lo, exec_lo, s1
	s_mov_b32 s2, exec_lo
	s_waitcnt lgkmcnt(0)
	s_barrier
	buffer_gl0_inv
	v_cmpx_eq_u32_e32 30, v0
	s_cbranch_execz .LBB73_278
; %bb.272:
	ds_write2_b64 v1, v[26:27], v[28:29] offset1:1
	ds_write2_b64 v194, v[22:23], v[24:25] offset0:62 offset1:63
	ds_write2_b64 v194, v[18:19], v[20:21] offset0:64 offset1:65
	ds_write2_b64 v194, v[14:15], v[16:17] offset0:66 offset1:67
	ds_write2_b64 v194, v[10:11], v[12:13] offset0:68 offset1:69
	ds_write2_b64 v194, v[6:7], v[8:9] offset0:70 offset1:71
	ds_write2_b64 v194, v[2:3], v[4:5] offset0:72 offset1:73
	ds_read2_b64 v[166:169], v1 offset1:1
	s_waitcnt lgkmcnt(0)
	v_cmp_neq_f64_e32 vcc_lo, 0, v[166:167]
	v_cmp_neq_f64_e64 s1, 0, v[168:169]
	s_or_b32 s1, vcc_lo, s1
	s_and_b32 exec_lo, exec_lo, s1
	s_cbranch_execz .LBB73_278
; %bb.273:
	v_cmp_ngt_f64_e64 s1, |v[166:167]|, |v[168:169]|
                                        ; implicit-def: $vgpr170_vgpr171
	s_and_saveexec_b32 s3, s1
	s_xor_b32 s1, exec_lo, s3
                                        ; implicit-def: $vgpr172_vgpr173
	s_cbranch_execz .LBB73_275
; %bb.274:
	v_div_scale_f64 v[170:171], null, v[168:169], v[168:169], v[166:167]
	v_div_scale_f64 v[176:177], vcc_lo, v[166:167], v[168:169], v[166:167]
	v_rcp_f64_e32 v[172:173], v[170:171]
	v_fma_f64 v[174:175], -v[170:171], v[172:173], 1.0
	v_fma_f64 v[172:173], v[172:173], v[174:175], v[172:173]
	v_fma_f64 v[174:175], -v[170:171], v[172:173], 1.0
	v_fma_f64 v[172:173], v[172:173], v[174:175], v[172:173]
	v_mul_f64 v[174:175], v[176:177], v[172:173]
	v_fma_f64 v[170:171], -v[170:171], v[174:175], v[176:177]
	v_div_fmas_f64 v[170:171], v[170:171], v[172:173], v[174:175]
	v_div_fixup_f64 v[170:171], v[170:171], v[168:169], v[166:167]
	v_fma_f64 v[166:167], v[166:167], v[170:171], v[168:169]
	v_div_scale_f64 v[168:169], null, v[166:167], v[166:167], 1.0
	v_rcp_f64_e32 v[172:173], v[168:169]
	v_fma_f64 v[174:175], -v[168:169], v[172:173], 1.0
	v_fma_f64 v[172:173], v[172:173], v[174:175], v[172:173]
	v_fma_f64 v[174:175], -v[168:169], v[172:173], 1.0
	v_fma_f64 v[172:173], v[172:173], v[174:175], v[172:173]
	v_div_scale_f64 v[174:175], vcc_lo, 1.0, v[166:167], 1.0
	v_mul_f64 v[176:177], v[174:175], v[172:173]
	v_fma_f64 v[168:169], -v[168:169], v[176:177], v[174:175]
	v_div_fmas_f64 v[168:169], v[168:169], v[172:173], v[176:177]
	v_div_fixup_f64 v[172:173], v[168:169], v[166:167], 1.0
                                        ; implicit-def: $vgpr166_vgpr167
	v_mul_f64 v[170:171], v[170:171], v[172:173]
	v_xor_b32_e32 v173, 0x80000000, v173
.LBB73_275:
	s_andn2_saveexec_b32 s1, s1
	s_cbranch_execz .LBB73_277
; %bb.276:
	v_div_scale_f64 v[170:171], null, v[166:167], v[166:167], v[168:169]
	v_div_scale_f64 v[176:177], vcc_lo, v[168:169], v[166:167], v[168:169]
	v_rcp_f64_e32 v[172:173], v[170:171]
	v_fma_f64 v[174:175], -v[170:171], v[172:173], 1.0
	v_fma_f64 v[172:173], v[172:173], v[174:175], v[172:173]
	v_fma_f64 v[174:175], -v[170:171], v[172:173], 1.0
	v_fma_f64 v[172:173], v[172:173], v[174:175], v[172:173]
	v_mul_f64 v[174:175], v[176:177], v[172:173]
	v_fma_f64 v[170:171], -v[170:171], v[174:175], v[176:177]
	v_div_fmas_f64 v[170:171], v[170:171], v[172:173], v[174:175]
	v_div_fixup_f64 v[172:173], v[170:171], v[166:167], v[168:169]
	v_fma_f64 v[166:167], v[168:169], v[172:173], v[166:167]
	v_div_scale_f64 v[168:169], null, v[166:167], v[166:167], 1.0
	v_rcp_f64_e32 v[170:171], v[168:169]
	v_fma_f64 v[174:175], -v[168:169], v[170:171], 1.0
	v_fma_f64 v[170:171], v[170:171], v[174:175], v[170:171]
	v_fma_f64 v[174:175], -v[168:169], v[170:171], 1.0
	v_fma_f64 v[170:171], v[170:171], v[174:175], v[170:171]
	v_div_scale_f64 v[174:175], vcc_lo, 1.0, v[166:167], 1.0
	v_mul_f64 v[176:177], v[174:175], v[170:171]
	v_fma_f64 v[168:169], -v[168:169], v[176:177], v[174:175]
	v_div_fmas_f64 v[168:169], v[168:169], v[170:171], v[176:177]
	v_div_fixup_f64 v[170:171], v[168:169], v[166:167], 1.0
	v_mul_f64 v[172:173], v[172:173], -v[170:171]
.LBB73_277:
	s_or_b32 exec_lo, exec_lo, s1
	ds_write2_b64 v1, v[170:171], v[172:173] offset1:1
.LBB73_278:
	s_or_b32 exec_lo, exec_lo, s2
	s_waitcnt lgkmcnt(0)
	s_barrier
	buffer_gl0_inv
	ds_read2_b64 v[166:169], v1 offset1:1
	s_mov_b32 s1, exec_lo
	v_cmpx_lt_u32_e32 30, v0
	s_cbranch_execz .LBB73_280
; %bb.279:
	s_waitcnt lgkmcnt(0)
	v_mul_f64 v[170:171], v[166:167], v[28:29]
	v_mul_f64 v[28:29], v[168:169], v[28:29]
	v_fma_f64 v[174:175], v[168:169], v[26:27], v[170:171]
	ds_read2_b64 v[170:173], v194 offset0:62 offset1:63
	v_fma_f64 v[26:27], v[166:167], v[26:27], -v[28:29]
	s_waitcnt lgkmcnt(0)
	v_mul_f64 v[28:29], v[172:173], v[174:175]
	v_fma_f64 v[28:29], v[170:171], v[26:27], -v[28:29]
	v_mul_f64 v[170:171], v[170:171], v[174:175]
	v_add_f64 v[22:23], v[22:23], -v[28:29]
	v_fma_f64 v[170:171], v[172:173], v[26:27], v[170:171]
	v_add_f64 v[24:25], v[24:25], -v[170:171]
	ds_read2_b64 v[170:173], v194 offset0:64 offset1:65
	s_waitcnt lgkmcnt(0)
	v_mul_f64 v[28:29], v[172:173], v[174:175]
	v_fma_f64 v[28:29], v[170:171], v[26:27], -v[28:29]
	v_mul_f64 v[170:171], v[170:171], v[174:175]
	v_add_f64 v[18:19], v[18:19], -v[28:29]
	v_fma_f64 v[170:171], v[172:173], v[26:27], v[170:171]
	v_add_f64 v[20:21], v[20:21], -v[170:171]
	ds_read2_b64 v[170:173], v194 offset0:66 offset1:67
	;; [unrolled: 8-line block ×5, first 2 shown]
	s_waitcnt lgkmcnt(0)
	v_mul_f64 v[28:29], v[172:173], v[174:175]
	v_fma_f64 v[28:29], v[170:171], v[26:27], -v[28:29]
	v_mul_f64 v[170:171], v[170:171], v[174:175]
	v_add_f64 v[2:3], v[2:3], -v[28:29]
	v_fma_f64 v[170:171], v[172:173], v[26:27], v[170:171]
	v_mov_b32_e32 v28, v174
	v_mov_b32_e32 v29, v175
	v_add_f64 v[4:5], v[4:5], -v[170:171]
.LBB73_280:
	s_or_b32 exec_lo, exec_lo, s1
	s_mov_b32 s2, exec_lo
	s_waitcnt lgkmcnt(0)
	s_barrier
	buffer_gl0_inv
	v_cmpx_eq_u32_e32 31, v0
	s_cbranch_execz .LBB73_287
; %bb.281:
	ds_write2_b64 v1, v[22:23], v[24:25] offset1:1
	ds_write2_b64 v194, v[18:19], v[20:21] offset0:64 offset1:65
	ds_write2_b64 v194, v[14:15], v[16:17] offset0:66 offset1:67
	;; [unrolled: 1-line block ×5, first 2 shown]
	ds_read2_b64 v[170:173], v1 offset1:1
	s_waitcnt lgkmcnt(0)
	v_cmp_neq_f64_e32 vcc_lo, 0, v[170:171]
	v_cmp_neq_f64_e64 s1, 0, v[172:173]
	s_or_b32 s1, vcc_lo, s1
	s_and_b32 exec_lo, exec_lo, s1
	s_cbranch_execz .LBB73_287
; %bb.282:
	v_cmp_ngt_f64_e64 s1, |v[170:171]|, |v[172:173]|
                                        ; implicit-def: $vgpr174_vgpr175
	s_and_saveexec_b32 s3, s1
	s_xor_b32 s1, exec_lo, s3
                                        ; implicit-def: $vgpr176_vgpr177
	s_cbranch_execz .LBB73_284
; %bb.283:
	v_div_scale_f64 v[174:175], null, v[172:173], v[172:173], v[170:171]
	v_div_scale_f64 v[180:181], vcc_lo, v[170:171], v[172:173], v[170:171]
	v_rcp_f64_e32 v[176:177], v[174:175]
	v_fma_f64 v[178:179], -v[174:175], v[176:177], 1.0
	v_fma_f64 v[176:177], v[176:177], v[178:179], v[176:177]
	v_fma_f64 v[178:179], -v[174:175], v[176:177], 1.0
	v_fma_f64 v[176:177], v[176:177], v[178:179], v[176:177]
	v_mul_f64 v[178:179], v[180:181], v[176:177]
	v_fma_f64 v[174:175], -v[174:175], v[178:179], v[180:181]
	v_div_fmas_f64 v[174:175], v[174:175], v[176:177], v[178:179]
	v_div_fixup_f64 v[174:175], v[174:175], v[172:173], v[170:171]
	v_fma_f64 v[170:171], v[170:171], v[174:175], v[172:173]
	v_div_scale_f64 v[172:173], null, v[170:171], v[170:171], 1.0
	v_rcp_f64_e32 v[176:177], v[172:173]
	v_fma_f64 v[178:179], -v[172:173], v[176:177], 1.0
	v_fma_f64 v[176:177], v[176:177], v[178:179], v[176:177]
	v_fma_f64 v[178:179], -v[172:173], v[176:177], 1.0
	v_fma_f64 v[176:177], v[176:177], v[178:179], v[176:177]
	v_div_scale_f64 v[178:179], vcc_lo, 1.0, v[170:171], 1.0
	v_mul_f64 v[180:181], v[178:179], v[176:177]
	v_fma_f64 v[172:173], -v[172:173], v[180:181], v[178:179]
	v_div_fmas_f64 v[172:173], v[172:173], v[176:177], v[180:181]
	v_div_fixup_f64 v[176:177], v[172:173], v[170:171], 1.0
                                        ; implicit-def: $vgpr170_vgpr171
	v_mul_f64 v[174:175], v[174:175], v[176:177]
	v_xor_b32_e32 v177, 0x80000000, v177
.LBB73_284:
	s_andn2_saveexec_b32 s1, s1
	s_cbranch_execz .LBB73_286
; %bb.285:
	v_div_scale_f64 v[174:175], null, v[170:171], v[170:171], v[172:173]
	v_div_scale_f64 v[180:181], vcc_lo, v[172:173], v[170:171], v[172:173]
	v_rcp_f64_e32 v[176:177], v[174:175]
	v_fma_f64 v[178:179], -v[174:175], v[176:177], 1.0
	v_fma_f64 v[176:177], v[176:177], v[178:179], v[176:177]
	v_fma_f64 v[178:179], -v[174:175], v[176:177], 1.0
	v_fma_f64 v[176:177], v[176:177], v[178:179], v[176:177]
	v_mul_f64 v[178:179], v[180:181], v[176:177]
	v_fma_f64 v[174:175], -v[174:175], v[178:179], v[180:181]
	v_div_fmas_f64 v[174:175], v[174:175], v[176:177], v[178:179]
	v_div_fixup_f64 v[176:177], v[174:175], v[170:171], v[172:173]
	v_fma_f64 v[170:171], v[172:173], v[176:177], v[170:171]
	v_div_scale_f64 v[172:173], null, v[170:171], v[170:171], 1.0
	v_rcp_f64_e32 v[174:175], v[172:173]
	v_fma_f64 v[178:179], -v[172:173], v[174:175], 1.0
	v_fma_f64 v[174:175], v[174:175], v[178:179], v[174:175]
	v_fma_f64 v[178:179], -v[172:173], v[174:175], 1.0
	v_fma_f64 v[174:175], v[174:175], v[178:179], v[174:175]
	v_div_scale_f64 v[178:179], vcc_lo, 1.0, v[170:171], 1.0
	v_mul_f64 v[180:181], v[178:179], v[174:175]
	v_fma_f64 v[172:173], -v[172:173], v[180:181], v[178:179]
	v_div_fmas_f64 v[172:173], v[172:173], v[174:175], v[180:181]
	v_div_fixup_f64 v[174:175], v[172:173], v[170:171], 1.0
	v_mul_f64 v[176:177], v[176:177], -v[174:175]
.LBB73_286:
	s_or_b32 exec_lo, exec_lo, s1
	ds_write2_b64 v1, v[174:175], v[176:177] offset1:1
.LBB73_287:
	s_or_b32 exec_lo, exec_lo, s2
	s_waitcnt lgkmcnt(0)
	s_barrier
	buffer_gl0_inv
	ds_read2_b64 v[170:173], v1 offset1:1
	s_mov_b32 s1, exec_lo
	v_cmpx_lt_u32_e32 31, v0
	s_cbranch_execz .LBB73_289
; %bb.288:
	s_waitcnt lgkmcnt(0)
	v_mul_f64 v[174:175], v[170:171], v[24:25]
	v_mul_f64 v[24:25], v[172:173], v[24:25]
	v_fma_f64 v[178:179], v[172:173], v[22:23], v[174:175]
	ds_read2_b64 v[174:177], v194 offset0:64 offset1:65
	v_fma_f64 v[22:23], v[170:171], v[22:23], -v[24:25]
	s_waitcnt lgkmcnt(0)
	v_mul_f64 v[24:25], v[176:177], v[178:179]
	v_fma_f64 v[24:25], v[174:175], v[22:23], -v[24:25]
	v_mul_f64 v[174:175], v[174:175], v[178:179]
	v_add_f64 v[18:19], v[18:19], -v[24:25]
	v_fma_f64 v[174:175], v[176:177], v[22:23], v[174:175]
	v_add_f64 v[20:21], v[20:21], -v[174:175]
	ds_read2_b64 v[174:177], v194 offset0:66 offset1:67
	s_waitcnt lgkmcnt(0)
	v_mul_f64 v[24:25], v[176:177], v[178:179]
	v_fma_f64 v[24:25], v[174:175], v[22:23], -v[24:25]
	v_mul_f64 v[174:175], v[174:175], v[178:179]
	v_add_f64 v[14:15], v[14:15], -v[24:25]
	v_fma_f64 v[174:175], v[176:177], v[22:23], v[174:175]
	v_add_f64 v[16:17], v[16:17], -v[174:175]
	ds_read2_b64 v[174:177], v194 offset0:68 offset1:69
	;; [unrolled: 8-line block ×4, first 2 shown]
	s_waitcnt lgkmcnt(0)
	v_mul_f64 v[24:25], v[176:177], v[178:179]
	v_fma_f64 v[24:25], v[174:175], v[22:23], -v[24:25]
	v_mul_f64 v[174:175], v[174:175], v[178:179]
	v_add_f64 v[2:3], v[2:3], -v[24:25]
	v_fma_f64 v[174:175], v[176:177], v[22:23], v[174:175]
	v_mov_b32_e32 v24, v178
	v_mov_b32_e32 v25, v179
	v_add_f64 v[4:5], v[4:5], -v[174:175]
.LBB73_289:
	s_or_b32 exec_lo, exec_lo, s1
	s_mov_b32 s2, exec_lo
	s_waitcnt lgkmcnt(0)
	s_barrier
	buffer_gl0_inv
	v_cmpx_eq_u32_e32 32, v0
	s_cbranch_execz .LBB73_296
; %bb.290:
	ds_write2_b64 v1, v[18:19], v[20:21] offset1:1
	ds_write2_b64 v194, v[14:15], v[16:17] offset0:66 offset1:67
	ds_write2_b64 v194, v[10:11], v[12:13] offset0:68 offset1:69
	;; [unrolled: 1-line block ×4, first 2 shown]
	ds_read2_b64 v[174:177], v1 offset1:1
	s_waitcnt lgkmcnt(0)
	v_cmp_neq_f64_e32 vcc_lo, 0, v[174:175]
	v_cmp_neq_f64_e64 s1, 0, v[176:177]
	s_or_b32 s1, vcc_lo, s1
	s_and_b32 exec_lo, exec_lo, s1
	s_cbranch_execz .LBB73_296
; %bb.291:
	v_cmp_ngt_f64_e64 s1, |v[174:175]|, |v[176:177]|
                                        ; implicit-def: $vgpr178_vgpr179
	s_and_saveexec_b32 s3, s1
	s_xor_b32 s1, exec_lo, s3
                                        ; implicit-def: $vgpr180_vgpr181
	s_cbranch_execz .LBB73_293
; %bb.292:
	v_div_scale_f64 v[178:179], null, v[176:177], v[176:177], v[174:175]
	v_div_scale_f64 v[184:185], vcc_lo, v[174:175], v[176:177], v[174:175]
	v_rcp_f64_e32 v[180:181], v[178:179]
	v_fma_f64 v[182:183], -v[178:179], v[180:181], 1.0
	v_fma_f64 v[180:181], v[180:181], v[182:183], v[180:181]
	v_fma_f64 v[182:183], -v[178:179], v[180:181], 1.0
	v_fma_f64 v[180:181], v[180:181], v[182:183], v[180:181]
	v_mul_f64 v[182:183], v[184:185], v[180:181]
	v_fma_f64 v[178:179], -v[178:179], v[182:183], v[184:185]
	v_div_fmas_f64 v[178:179], v[178:179], v[180:181], v[182:183]
	v_div_fixup_f64 v[178:179], v[178:179], v[176:177], v[174:175]
	v_fma_f64 v[174:175], v[174:175], v[178:179], v[176:177]
	v_div_scale_f64 v[176:177], null, v[174:175], v[174:175], 1.0
	v_rcp_f64_e32 v[180:181], v[176:177]
	v_fma_f64 v[182:183], -v[176:177], v[180:181], 1.0
	v_fma_f64 v[180:181], v[180:181], v[182:183], v[180:181]
	v_fma_f64 v[182:183], -v[176:177], v[180:181], 1.0
	v_fma_f64 v[180:181], v[180:181], v[182:183], v[180:181]
	v_div_scale_f64 v[182:183], vcc_lo, 1.0, v[174:175], 1.0
	v_mul_f64 v[184:185], v[182:183], v[180:181]
	v_fma_f64 v[176:177], -v[176:177], v[184:185], v[182:183]
	v_div_fmas_f64 v[176:177], v[176:177], v[180:181], v[184:185]
	v_div_fixup_f64 v[180:181], v[176:177], v[174:175], 1.0
                                        ; implicit-def: $vgpr174_vgpr175
	v_mul_f64 v[178:179], v[178:179], v[180:181]
	v_xor_b32_e32 v181, 0x80000000, v181
.LBB73_293:
	s_andn2_saveexec_b32 s1, s1
	s_cbranch_execz .LBB73_295
; %bb.294:
	v_div_scale_f64 v[178:179], null, v[174:175], v[174:175], v[176:177]
	v_div_scale_f64 v[184:185], vcc_lo, v[176:177], v[174:175], v[176:177]
	v_rcp_f64_e32 v[180:181], v[178:179]
	v_fma_f64 v[182:183], -v[178:179], v[180:181], 1.0
	v_fma_f64 v[180:181], v[180:181], v[182:183], v[180:181]
	v_fma_f64 v[182:183], -v[178:179], v[180:181], 1.0
	v_fma_f64 v[180:181], v[180:181], v[182:183], v[180:181]
	v_mul_f64 v[182:183], v[184:185], v[180:181]
	v_fma_f64 v[178:179], -v[178:179], v[182:183], v[184:185]
	v_div_fmas_f64 v[178:179], v[178:179], v[180:181], v[182:183]
	v_div_fixup_f64 v[180:181], v[178:179], v[174:175], v[176:177]
	v_fma_f64 v[174:175], v[176:177], v[180:181], v[174:175]
	v_div_scale_f64 v[176:177], null, v[174:175], v[174:175], 1.0
	v_rcp_f64_e32 v[178:179], v[176:177]
	v_fma_f64 v[182:183], -v[176:177], v[178:179], 1.0
	v_fma_f64 v[178:179], v[178:179], v[182:183], v[178:179]
	v_fma_f64 v[182:183], -v[176:177], v[178:179], 1.0
	v_fma_f64 v[178:179], v[178:179], v[182:183], v[178:179]
	v_div_scale_f64 v[182:183], vcc_lo, 1.0, v[174:175], 1.0
	v_mul_f64 v[184:185], v[182:183], v[178:179]
	v_fma_f64 v[176:177], -v[176:177], v[184:185], v[182:183]
	v_div_fmas_f64 v[176:177], v[176:177], v[178:179], v[184:185]
	v_div_fixup_f64 v[178:179], v[176:177], v[174:175], 1.0
	v_mul_f64 v[180:181], v[180:181], -v[178:179]
.LBB73_295:
	s_or_b32 exec_lo, exec_lo, s1
	ds_write2_b64 v1, v[178:179], v[180:181] offset1:1
.LBB73_296:
	s_or_b32 exec_lo, exec_lo, s2
	s_waitcnt lgkmcnt(0)
	s_barrier
	buffer_gl0_inv
	ds_read2_b64 v[174:177], v1 offset1:1
	s_mov_b32 s1, exec_lo
	v_cmpx_lt_u32_e32 32, v0
	s_cbranch_execz .LBB73_298
; %bb.297:
	s_waitcnt lgkmcnt(0)
	v_mul_f64 v[178:179], v[174:175], v[20:21]
	v_mul_f64 v[20:21], v[176:177], v[20:21]
	v_fma_f64 v[182:183], v[176:177], v[18:19], v[178:179]
	ds_read2_b64 v[178:181], v194 offset0:66 offset1:67
	v_fma_f64 v[18:19], v[174:175], v[18:19], -v[20:21]
	s_waitcnt lgkmcnt(0)
	v_mul_f64 v[20:21], v[180:181], v[182:183]
	v_fma_f64 v[20:21], v[178:179], v[18:19], -v[20:21]
	v_mul_f64 v[178:179], v[178:179], v[182:183]
	v_add_f64 v[14:15], v[14:15], -v[20:21]
	v_fma_f64 v[178:179], v[180:181], v[18:19], v[178:179]
	v_add_f64 v[16:17], v[16:17], -v[178:179]
	ds_read2_b64 v[178:181], v194 offset0:68 offset1:69
	s_waitcnt lgkmcnt(0)
	v_mul_f64 v[20:21], v[180:181], v[182:183]
	v_fma_f64 v[20:21], v[178:179], v[18:19], -v[20:21]
	v_mul_f64 v[178:179], v[178:179], v[182:183]
	v_add_f64 v[10:11], v[10:11], -v[20:21]
	v_fma_f64 v[178:179], v[180:181], v[18:19], v[178:179]
	v_add_f64 v[12:13], v[12:13], -v[178:179]
	ds_read2_b64 v[178:181], v194 offset0:70 offset1:71
	;; [unrolled: 8-line block ×3, first 2 shown]
	s_waitcnt lgkmcnt(0)
	v_mul_f64 v[20:21], v[180:181], v[182:183]
	v_fma_f64 v[20:21], v[178:179], v[18:19], -v[20:21]
	v_mul_f64 v[178:179], v[178:179], v[182:183]
	v_add_f64 v[2:3], v[2:3], -v[20:21]
	v_fma_f64 v[178:179], v[180:181], v[18:19], v[178:179]
	v_mov_b32_e32 v20, v182
	v_mov_b32_e32 v21, v183
	v_add_f64 v[4:5], v[4:5], -v[178:179]
.LBB73_298:
	s_or_b32 exec_lo, exec_lo, s1
	s_mov_b32 s2, exec_lo
	s_waitcnt lgkmcnt(0)
	s_barrier
	buffer_gl0_inv
	v_cmpx_eq_u32_e32 33, v0
	s_cbranch_execz .LBB73_305
; %bb.299:
	ds_write2_b64 v1, v[14:15], v[16:17] offset1:1
	ds_write2_b64 v194, v[10:11], v[12:13] offset0:68 offset1:69
	ds_write2_b64 v194, v[6:7], v[8:9] offset0:70 offset1:71
	;; [unrolled: 1-line block ×3, first 2 shown]
	ds_read2_b64 v[178:181], v1 offset1:1
	s_waitcnt lgkmcnt(0)
	v_cmp_neq_f64_e32 vcc_lo, 0, v[178:179]
	v_cmp_neq_f64_e64 s1, 0, v[180:181]
	s_or_b32 s1, vcc_lo, s1
	s_and_b32 exec_lo, exec_lo, s1
	s_cbranch_execz .LBB73_305
; %bb.300:
	v_cmp_ngt_f64_e64 s1, |v[178:179]|, |v[180:181]|
                                        ; implicit-def: $vgpr182_vgpr183
	s_and_saveexec_b32 s3, s1
	s_xor_b32 s1, exec_lo, s3
                                        ; implicit-def: $vgpr184_vgpr185
	s_cbranch_execz .LBB73_302
; %bb.301:
	v_div_scale_f64 v[182:183], null, v[180:181], v[180:181], v[178:179]
	v_div_scale_f64 v[188:189], vcc_lo, v[178:179], v[180:181], v[178:179]
	v_rcp_f64_e32 v[184:185], v[182:183]
	v_fma_f64 v[186:187], -v[182:183], v[184:185], 1.0
	v_fma_f64 v[184:185], v[184:185], v[186:187], v[184:185]
	v_fma_f64 v[186:187], -v[182:183], v[184:185], 1.0
	v_fma_f64 v[184:185], v[184:185], v[186:187], v[184:185]
	v_mul_f64 v[186:187], v[188:189], v[184:185]
	v_fma_f64 v[182:183], -v[182:183], v[186:187], v[188:189]
	v_div_fmas_f64 v[182:183], v[182:183], v[184:185], v[186:187]
	v_div_fixup_f64 v[182:183], v[182:183], v[180:181], v[178:179]
	v_fma_f64 v[178:179], v[178:179], v[182:183], v[180:181]
	v_div_scale_f64 v[180:181], null, v[178:179], v[178:179], 1.0
	v_rcp_f64_e32 v[184:185], v[180:181]
	v_fma_f64 v[186:187], -v[180:181], v[184:185], 1.0
	v_fma_f64 v[184:185], v[184:185], v[186:187], v[184:185]
	v_fma_f64 v[186:187], -v[180:181], v[184:185], 1.0
	v_fma_f64 v[184:185], v[184:185], v[186:187], v[184:185]
	v_div_scale_f64 v[186:187], vcc_lo, 1.0, v[178:179], 1.0
	v_mul_f64 v[188:189], v[186:187], v[184:185]
	v_fma_f64 v[180:181], -v[180:181], v[188:189], v[186:187]
	v_div_fmas_f64 v[180:181], v[180:181], v[184:185], v[188:189]
	v_div_fixup_f64 v[184:185], v[180:181], v[178:179], 1.0
                                        ; implicit-def: $vgpr178_vgpr179
	v_mul_f64 v[182:183], v[182:183], v[184:185]
	v_xor_b32_e32 v185, 0x80000000, v185
.LBB73_302:
	s_andn2_saveexec_b32 s1, s1
	s_cbranch_execz .LBB73_304
; %bb.303:
	v_div_scale_f64 v[182:183], null, v[178:179], v[178:179], v[180:181]
	v_div_scale_f64 v[188:189], vcc_lo, v[180:181], v[178:179], v[180:181]
	v_rcp_f64_e32 v[184:185], v[182:183]
	v_fma_f64 v[186:187], -v[182:183], v[184:185], 1.0
	v_fma_f64 v[184:185], v[184:185], v[186:187], v[184:185]
	v_fma_f64 v[186:187], -v[182:183], v[184:185], 1.0
	v_fma_f64 v[184:185], v[184:185], v[186:187], v[184:185]
	v_mul_f64 v[186:187], v[188:189], v[184:185]
	v_fma_f64 v[182:183], -v[182:183], v[186:187], v[188:189]
	v_div_fmas_f64 v[182:183], v[182:183], v[184:185], v[186:187]
	v_div_fixup_f64 v[184:185], v[182:183], v[178:179], v[180:181]
	v_fma_f64 v[178:179], v[180:181], v[184:185], v[178:179]
	v_div_scale_f64 v[180:181], null, v[178:179], v[178:179], 1.0
	v_rcp_f64_e32 v[182:183], v[180:181]
	v_fma_f64 v[186:187], -v[180:181], v[182:183], 1.0
	v_fma_f64 v[182:183], v[182:183], v[186:187], v[182:183]
	v_fma_f64 v[186:187], -v[180:181], v[182:183], 1.0
	v_fma_f64 v[182:183], v[182:183], v[186:187], v[182:183]
	v_div_scale_f64 v[186:187], vcc_lo, 1.0, v[178:179], 1.0
	v_mul_f64 v[188:189], v[186:187], v[182:183]
	v_fma_f64 v[180:181], -v[180:181], v[188:189], v[186:187]
	v_div_fmas_f64 v[180:181], v[180:181], v[182:183], v[188:189]
	v_div_fixup_f64 v[182:183], v[180:181], v[178:179], 1.0
	v_mul_f64 v[184:185], v[184:185], -v[182:183]
.LBB73_304:
	s_or_b32 exec_lo, exec_lo, s1
	ds_write2_b64 v1, v[182:183], v[184:185] offset1:1
.LBB73_305:
	s_or_b32 exec_lo, exec_lo, s2
	s_waitcnt lgkmcnt(0)
	s_barrier
	buffer_gl0_inv
	ds_read2_b64 v[178:181], v1 offset1:1
	s_mov_b32 s1, exec_lo
	v_cmpx_lt_u32_e32 33, v0
	s_cbranch_execz .LBB73_307
; %bb.306:
	s_waitcnt lgkmcnt(0)
	v_mul_f64 v[182:183], v[178:179], v[16:17]
	v_mul_f64 v[16:17], v[180:181], v[16:17]
	v_fma_f64 v[186:187], v[180:181], v[14:15], v[182:183]
	ds_read2_b64 v[182:185], v194 offset0:68 offset1:69
	v_fma_f64 v[14:15], v[178:179], v[14:15], -v[16:17]
	s_waitcnt lgkmcnt(0)
	v_mul_f64 v[16:17], v[184:185], v[186:187]
	v_fma_f64 v[16:17], v[182:183], v[14:15], -v[16:17]
	v_mul_f64 v[182:183], v[182:183], v[186:187]
	v_add_f64 v[10:11], v[10:11], -v[16:17]
	v_fma_f64 v[182:183], v[184:185], v[14:15], v[182:183]
	v_add_f64 v[12:13], v[12:13], -v[182:183]
	ds_read2_b64 v[182:185], v194 offset0:70 offset1:71
	s_waitcnt lgkmcnt(0)
	v_mul_f64 v[16:17], v[184:185], v[186:187]
	v_fma_f64 v[16:17], v[182:183], v[14:15], -v[16:17]
	v_mul_f64 v[182:183], v[182:183], v[186:187]
	v_add_f64 v[6:7], v[6:7], -v[16:17]
	v_fma_f64 v[182:183], v[184:185], v[14:15], v[182:183]
	v_add_f64 v[8:9], v[8:9], -v[182:183]
	ds_read2_b64 v[182:185], v194 offset0:72 offset1:73
	s_waitcnt lgkmcnt(0)
	v_mul_f64 v[16:17], v[184:185], v[186:187]
	v_fma_f64 v[16:17], v[182:183], v[14:15], -v[16:17]
	v_mul_f64 v[182:183], v[182:183], v[186:187]
	v_add_f64 v[2:3], v[2:3], -v[16:17]
	v_fma_f64 v[182:183], v[184:185], v[14:15], v[182:183]
	v_mov_b32_e32 v16, v186
	v_mov_b32_e32 v17, v187
	v_add_f64 v[4:5], v[4:5], -v[182:183]
.LBB73_307:
	s_or_b32 exec_lo, exec_lo, s1
	s_mov_b32 s2, exec_lo
	s_waitcnt lgkmcnt(0)
	s_barrier
	buffer_gl0_inv
	v_cmpx_eq_u32_e32 34, v0
	s_cbranch_execz .LBB73_314
; %bb.308:
	ds_write2_b64 v1, v[10:11], v[12:13] offset1:1
	ds_write2_b64 v194, v[6:7], v[8:9] offset0:70 offset1:71
	ds_write2_b64 v194, v[2:3], v[4:5] offset0:72 offset1:73
	ds_read2_b64 v[182:185], v1 offset1:1
	s_waitcnt lgkmcnt(0)
	v_cmp_neq_f64_e32 vcc_lo, 0, v[182:183]
	v_cmp_neq_f64_e64 s1, 0, v[184:185]
	s_or_b32 s1, vcc_lo, s1
	s_and_b32 exec_lo, exec_lo, s1
	s_cbranch_execz .LBB73_314
; %bb.309:
	v_cmp_ngt_f64_e64 s1, |v[182:183]|, |v[184:185]|
                                        ; implicit-def: $vgpr186_vgpr187
	s_and_saveexec_b32 s3, s1
	s_xor_b32 s1, exec_lo, s3
                                        ; implicit-def: $vgpr188_vgpr189
	s_cbranch_execz .LBB73_311
; %bb.310:
	v_div_scale_f64 v[186:187], null, v[184:185], v[184:185], v[182:183]
	v_div_scale_f64 v[192:193], vcc_lo, v[182:183], v[184:185], v[182:183]
	v_rcp_f64_e32 v[188:189], v[186:187]
	v_fma_f64 v[190:191], -v[186:187], v[188:189], 1.0
	v_fma_f64 v[188:189], v[188:189], v[190:191], v[188:189]
	v_fma_f64 v[190:191], -v[186:187], v[188:189], 1.0
	v_fma_f64 v[188:189], v[188:189], v[190:191], v[188:189]
	v_mul_f64 v[190:191], v[192:193], v[188:189]
	v_fma_f64 v[186:187], -v[186:187], v[190:191], v[192:193]
	v_div_fmas_f64 v[186:187], v[186:187], v[188:189], v[190:191]
	v_div_fixup_f64 v[186:187], v[186:187], v[184:185], v[182:183]
	v_fma_f64 v[182:183], v[182:183], v[186:187], v[184:185]
	v_div_scale_f64 v[184:185], null, v[182:183], v[182:183], 1.0
	v_rcp_f64_e32 v[188:189], v[184:185]
	v_fma_f64 v[190:191], -v[184:185], v[188:189], 1.0
	v_fma_f64 v[188:189], v[188:189], v[190:191], v[188:189]
	v_fma_f64 v[190:191], -v[184:185], v[188:189], 1.0
	v_fma_f64 v[188:189], v[188:189], v[190:191], v[188:189]
	v_div_scale_f64 v[190:191], vcc_lo, 1.0, v[182:183], 1.0
	v_mul_f64 v[192:193], v[190:191], v[188:189]
	v_fma_f64 v[184:185], -v[184:185], v[192:193], v[190:191]
	v_div_fmas_f64 v[184:185], v[184:185], v[188:189], v[192:193]
	v_div_fixup_f64 v[188:189], v[184:185], v[182:183], 1.0
                                        ; implicit-def: $vgpr182_vgpr183
	v_mul_f64 v[186:187], v[186:187], v[188:189]
	v_xor_b32_e32 v189, 0x80000000, v189
.LBB73_311:
	s_andn2_saveexec_b32 s1, s1
	s_cbranch_execz .LBB73_313
; %bb.312:
	v_div_scale_f64 v[186:187], null, v[182:183], v[182:183], v[184:185]
	v_div_scale_f64 v[192:193], vcc_lo, v[184:185], v[182:183], v[184:185]
	v_rcp_f64_e32 v[188:189], v[186:187]
	v_fma_f64 v[190:191], -v[186:187], v[188:189], 1.0
	v_fma_f64 v[188:189], v[188:189], v[190:191], v[188:189]
	v_fma_f64 v[190:191], -v[186:187], v[188:189], 1.0
	v_fma_f64 v[188:189], v[188:189], v[190:191], v[188:189]
	v_mul_f64 v[190:191], v[192:193], v[188:189]
	v_fma_f64 v[186:187], -v[186:187], v[190:191], v[192:193]
	v_div_fmas_f64 v[186:187], v[186:187], v[188:189], v[190:191]
	v_div_fixup_f64 v[188:189], v[186:187], v[182:183], v[184:185]
	v_fma_f64 v[182:183], v[184:185], v[188:189], v[182:183]
	v_div_scale_f64 v[184:185], null, v[182:183], v[182:183], 1.0
	v_rcp_f64_e32 v[186:187], v[184:185]
	v_fma_f64 v[190:191], -v[184:185], v[186:187], 1.0
	v_fma_f64 v[186:187], v[186:187], v[190:191], v[186:187]
	v_fma_f64 v[190:191], -v[184:185], v[186:187], 1.0
	v_fma_f64 v[186:187], v[186:187], v[190:191], v[186:187]
	v_div_scale_f64 v[190:191], vcc_lo, 1.0, v[182:183], 1.0
	v_mul_f64 v[192:193], v[190:191], v[186:187]
	v_fma_f64 v[184:185], -v[184:185], v[192:193], v[190:191]
	v_div_fmas_f64 v[184:185], v[184:185], v[186:187], v[192:193]
	v_div_fixup_f64 v[186:187], v[184:185], v[182:183], 1.0
	v_mul_f64 v[188:189], v[188:189], -v[186:187]
.LBB73_313:
	s_or_b32 exec_lo, exec_lo, s1
	ds_write2_b64 v1, v[186:187], v[188:189] offset1:1
.LBB73_314:
	s_or_b32 exec_lo, exec_lo, s2
	s_waitcnt lgkmcnt(0)
	s_barrier
	buffer_gl0_inv
	ds_read2_b64 v[182:185], v1 offset1:1
	s_mov_b32 s1, exec_lo
	v_cmpx_lt_u32_e32 34, v0
	s_cbranch_execz .LBB73_316
; %bb.315:
	s_waitcnt lgkmcnt(0)
	v_mul_f64 v[186:187], v[182:183], v[12:13]
	v_mul_f64 v[12:13], v[184:185], v[12:13]
	v_fma_f64 v[190:191], v[184:185], v[10:11], v[186:187]
	ds_read2_b64 v[186:189], v194 offset0:70 offset1:71
	v_fma_f64 v[10:11], v[182:183], v[10:11], -v[12:13]
	s_waitcnt lgkmcnt(0)
	v_mul_f64 v[12:13], v[188:189], v[190:191]
	v_fma_f64 v[12:13], v[186:187], v[10:11], -v[12:13]
	v_mul_f64 v[186:187], v[186:187], v[190:191]
	v_add_f64 v[6:7], v[6:7], -v[12:13]
	v_fma_f64 v[186:187], v[188:189], v[10:11], v[186:187]
	v_add_f64 v[8:9], v[8:9], -v[186:187]
	ds_read2_b64 v[186:189], v194 offset0:72 offset1:73
	s_waitcnt lgkmcnt(0)
	v_mul_f64 v[12:13], v[188:189], v[190:191]
	v_fma_f64 v[12:13], v[186:187], v[10:11], -v[12:13]
	v_mul_f64 v[186:187], v[186:187], v[190:191]
	v_add_f64 v[2:3], v[2:3], -v[12:13]
	v_fma_f64 v[186:187], v[188:189], v[10:11], v[186:187]
	v_mov_b32_e32 v12, v190
	v_mov_b32_e32 v13, v191
	v_add_f64 v[4:5], v[4:5], -v[186:187]
.LBB73_316:
	s_or_b32 exec_lo, exec_lo, s1
	s_mov_b32 s2, exec_lo
	s_waitcnt lgkmcnt(0)
	s_barrier
	buffer_gl0_inv
	v_cmpx_eq_u32_e32 35, v0
	s_cbranch_execz .LBB73_323
; %bb.317:
	ds_write2_b64 v1, v[6:7], v[8:9] offset1:1
	ds_write2_b64 v194, v[2:3], v[4:5] offset0:72 offset1:73
	ds_read2_b64 v[186:189], v1 offset1:1
	s_waitcnt lgkmcnt(0)
	v_cmp_neq_f64_e32 vcc_lo, 0, v[186:187]
	v_cmp_neq_f64_e64 s1, 0, v[188:189]
	s_or_b32 s1, vcc_lo, s1
	s_and_b32 exec_lo, exec_lo, s1
	s_cbranch_execz .LBB73_323
; %bb.318:
	v_cmp_ngt_f64_e64 s1, |v[186:187]|, |v[188:189]|
                                        ; implicit-def: $vgpr190_vgpr191
	s_and_saveexec_b32 s3, s1
	s_xor_b32 s1, exec_lo, s3
                                        ; implicit-def: $vgpr192_vgpr193
	s_cbranch_execz .LBB73_320
; %bb.319:
	v_div_scale_f64 v[190:191], null, v[188:189], v[188:189], v[186:187]
	v_mov_b32_e32 v150, v197
	v_mov_b32_e32 v151, v198
	v_div_scale_f64 v[197:198], vcc_lo, v[186:187], v[188:189], v[186:187]
	v_rcp_f64_e32 v[192:193], v[190:191]
	v_fma_f64 v[195:196], -v[190:191], v[192:193], 1.0
	v_fma_f64 v[192:193], v[192:193], v[195:196], v[192:193]
	v_fma_f64 v[195:196], -v[190:191], v[192:193], 1.0
	v_fma_f64 v[192:193], v[192:193], v[195:196], v[192:193]
	v_mul_f64 v[195:196], v[197:198], v[192:193]
	v_fma_f64 v[190:191], -v[190:191], v[195:196], v[197:198]
	v_div_fmas_f64 v[190:191], v[190:191], v[192:193], v[195:196]
	v_div_fixup_f64 v[190:191], v[190:191], v[188:189], v[186:187]
	v_fma_f64 v[186:187], v[186:187], v[190:191], v[188:189]
	v_div_scale_f64 v[188:189], null, v[186:187], v[186:187], 1.0
	v_rcp_f64_e32 v[192:193], v[188:189]
	v_fma_f64 v[195:196], -v[188:189], v[192:193], 1.0
	v_fma_f64 v[192:193], v[192:193], v[195:196], v[192:193]
	v_fma_f64 v[195:196], -v[188:189], v[192:193], 1.0
	v_fma_f64 v[192:193], v[192:193], v[195:196], v[192:193]
	v_div_scale_f64 v[195:196], vcc_lo, 1.0, v[186:187], 1.0
	v_mul_f64 v[197:198], v[195:196], v[192:193]
	v_fma_f64 v[188:189], -v[188:189], v[197:198], v[195:196]
	v_div_fmas_f64 v[188:189], v[188:189], v[192:193], v[197:198]
	v_mov_b32_e32 v198, v151
	v_mov_b32_e32 v197, v150
	v_div_fixup_f64 v[192:193], v[188:189], v[186:187], 1.0
                                        ; implicit-def: $vgpr186_vgpr187
	v_mul_f64 v[190:191], v[190:191], v[192:193]
	v_xor_b32_e32 v193, 0x80000000, v193
.LBB73_320:
	s_andn2_saveexec_b32 s1, s1
	s_cbranch_execz .LBB73_322
; %bb.321:
	v_div_scale_f64 v[190:191], null, v[186:187], v[186:187], v[188:189]
	v_mov_b32_e32 v150, v197
	v_mov_b32_e32 v151, v198
	v_div_scale_f64 v[197:198], vcc_lo, v[188:189], v[186:187], v[188:189]
	v_rcp_f64_e32 v[192:193], v[190:191]
	v_fma_f64 v[195:196], -v[190:191], v[192:193], 1.0
	v_fma_f64 v[192:193], v[192:193], v[195:196], v[192:193]
	v_fma_f64 v[195:196], -v[190:191], v[192:193], 1.0
	v_fma_f64 v[192:193], v[192:193], v[195:196], v[192:193]
	v_mul_f64 v[195:196], v[197:198], v[192:193]
	v_fma_f64 v[190:191], -v[190:191], v[195:196], v[197:198]
	v_div_fmas_f64 v[190:191], v[190:191], v[192:193], v[195:196]
	v_div_fixup_f64 v[192:193], v[190:191], v[186:187], v[188:189]
	v_fma_f64 v[186:187], v[188:189], v[192:193], v[186:187]
	v_div_scale_f64 v[188:189], null, v[186:187], v[186:187], 1.0
	v_rcp_f64_e32 v[190:191], v[188:189]
	v_fma_f64 v[195:196], -v[188:189], v[190:191], 1.0
	v_fma_f64 v[190:191], v[190:191], v[195:196], v[190:191]
	v_fma_f64 v[195:196], -v[188:189], v[190:191], 1.0
	v_fma_f64 v[190:191], v[190:191], v[195:196], v[190:191]
	v_div_scale_f64 v[195:196], vcc_lo, 1.0, v[186:187], 1.0
	v_mul_f64 v[197:198], v[195:196], v[190:191]
	v_fma_f64 v[188:189], -v[188:189], v[197:198], v[195:196]
	v_div_fmas_f64 v[188:189], v[188:189], v[190:191], v[197:198]
	v_mov_b32_e32 v198, v151
	v_mov_b32_e32 v197, v150
	v_div_fixup_f64 v[190:191], v[188:189], v[186:187], 1.0
	v_mul_f64 v[192:193], v[192:193], -v[190:191]
.LBB73_322:
	s_or_b32 exec_lo, exec_lo, s1
	ds_write2_b64 v1, v[190:191], v[192:193] offset1:1
.LBB73_323:
	s_or_b32 exec_lo, exec_lo, s2
	s_waitcnt lgkmcnt(0)
	s_barrier
	buffer_gl0_inv
	ds_read2_b64 v[186:189], v1 offset1:1
	s_mov_b32 s1, exec_lo
	v_cmpx_lt_u32_e32 35, v0
	s_cbranch_execz .LBB73_325
; %bb.324:
	s_waitcnt lgkmcnt(0)
	v_mul_f64 v[190:191], v[186:187], v[8:9]
	v_mul_f64 v[8:9], v[188:189], v[8:9]
	v_fma_f64 v[195:196], v[188:189], v[6:7], v[190:191]
	ds_read2_b64 v[190:193], v194 offset0:72 offset1:73
	v_fma_f64 v[6:7], v[186:187], v[6:7], -v[8:9]
	s_waitcnt lgkmcnt(0)
	v_mul_f64 v[8:9], v[192:193], v[195:196]
	v_fma_f64 v[8:9], v[190:191], v[6:7], -v[8:9]
	v_mul_f64 v[190:191], v[190:191], v[195:196]
	v_add_f64 v[2:3], v[2:3], -v[8:9]
	v_fma_f64 v[190:191], v[192:193], v[6:7], v[190:191]
	v_mov_b32_e32 v8, v195
	v_mov_b32_e32 v9, v196
	v_add_f64 v[4:5], v[4:5], -v[190:191]
.LBB73_325:
	s_or_b32 exec_lo, exec_lo, s1
	s_mov_b32 s2, exec_lo
	s_waitcnt lgkmcnt(0)
	s_barrier
	buffer_gl0_inv
	v_cmpx_eq_u32_e32 36, v0
	s_cbranch_execz .LBB73_332
; %bb.326:
	v_cmp_neq_f64_e32 vcc_lo, 0, v[2:3]
	v_cmp_neq_f64_e64 s1, 0, v[4:5]
	ds_write2_b64 v1, v[2:3], v[4:5] offset1:1
	s_or_b32 s1, vcc_lo, s1
	s_and_b32 exec_lo, exec_lo, s1
	s_cbranch_execz .LBB73_332
; %bb.327:
	v_cmp_ngt_f64_e64 s1, |v[2:3]|, |v[4:5]|
                                        ; implicit-def: $vgpr190_vgpr191
	s_and_saveexec_b32 s3, s1
	s_xor_b32 s1, exec_lo, s3
                                        ; implicit-def: $vgpr192_vgpr193
	s_cbranch_execz .LBB73_329
; %bb.328:
	v_div_scale_f64 v[190:191], null, v[4:5], v[4:5], v[2:3]
	v_mov_b32_e32 v152, v197
	v_mov_b32_e32 v153, v198
	v_div_scale_f64 v[196:197], vcc_lo, v[2:3], v[4:5], v[2:3]
	v_mov_b32_e32 v150, v251
	v_mov_b32_e32 v151, v252
	v_mov_b32_e32 v253, v250
	v_mov_b32_e32 v252, v249
	v_mov_b32_e32 v251, v248
	v_mov_b32_e32 v250, v247
	v_mov_b32_e32 v249, v246
	v_mov_b32_e32 v248, v245
	v_mov_b32_e32 v247, v244
	v_mov_b32_e32 v246, v243
	v_mov_b32_e32 v245, v242
	v_mov_b32_e32 v244, v241
	v_mov_b32_e32 v243, v240
	v_mov_b32_e32 v242, v239
	v_mov_b32_e32 v241, v238
	v_mov_b32_e32 v240, v237
	v_rcp_f64_e32 v[192:193], v[190:191]
	v_mov_b32_e32 v239, v236
	v_mov_b32_e32 v238, v235
	;; [unrolled: 1-line block ×23, first 2 shown]
	v_fma_f64 v[194:195], -v[190:191], v[192:193], 1.0
	v_mov_b32_e32 v216, v213
	v_mov_b32_e32 v215, v212
	;; [unrolled: 1-line block ×17, first 2 shown]
	v_fma_f64 v[192:193], v[192:193], v[194:195], v[192:193]
	v_fma_f64 v[194:195], -v[190:191], v[192:193], 1.0
	v_fma_f64 v[192:193], v[192:193], v[194:195], v[192:193]
	v_mul_f64 v[194:195], v[196:197], v[192:193]
	v_fma_f64 v[190:191], -v[190:191], v[194:195], v[196:197]
	v_div_fmas_f64 v[190:191], v[190:191], v[192:193], v[194:195]
	v_div_fixup_f64 v[190:191], v[190:191], v[4:5], v[2:3]
	v_fma_f64 v[192:193], v[2:3], v[190:191], v[4:5]
	v_div_scale_f64 v[194:195], null, v[192:193], v[192:193], 1.0
	v_rcp_f64_e32 v[196:197], v[194:195]
	v_fma_f64 v[198:199], -v[194:195], v[196:197], 1.0
	v_fma_f64 v[196:197], v[196:197], v[198:199], v[196:197]
	v_fma_f64 v[198:199], -v[194:195], v[196:197], 1.0
	v_fma_f64 v[196:197], v[196:197], v[198:199], v[196:197]
	v_div_scale_f64 v[198:199], vcc_lo, 1.0, v[192:193], 1.0
	v_mul_f64 v[200:201], v[198:199], v[196:197]
	v_fma_f64 v[194:195], -v[194:195], v[200:201], v[198:199]
	v_div_fmas_f64 v[194:195], v[194:195], v[196:197], v[200:201]
	v_mov_b32_e32 v199, v202
	v_mov_b32_e32 v200, v203
	v_mov_b32_e32 v201, v204
	v_mov_b32_e32 v202, v205
	v_mov_b32_e32 v203, v206
	v_mov_b32_e32 v204, v207
	v_mov_b32_e32 v205, v208
	v_mov_b32_e32 v206, v209
	v_mov_b32_e32 v207, v254
	v_mov_b32_e32 v208, v255
	v_mov_b32_e32 v255, v211
	v_mov_b32_e32 v254, v210
	v_mov_b32_e32 v209, v212
	v_mov_b32_e32 v210, v213
	v_mov_b32_e32 v211, v214
	v_mov_b32_e32 v212, v215
	v_mov_b32_e32 v213, v216
	v_mov_b32_e32 v214, v217
	v_mov_b32_e32 v215, v218
	v_mov_b32_e32 v216, v219
	v_mov_b32_e32 v217, v220
	v_div_fixup_f64 v[192:193], v[194:195], v[192:193], 1.0
	v_mov_b32_e32 v218, v221
	v_mov_b32_e32 v219, v222
	;; [unrolled: 1-line block ×21, first 2 shown]
	v_mul_f64 v[190:191], v[190:191], v[192:193]
	v_mov_b32_e32 v239, v242
	v_mov_b32_e32 v240, v243
	;; [unrolled: 1-line block ×16, first 2 shown]
	v_xor_b32_e32 v193, 0x80000000, v193
.LBB73_329:
	s_andn2_saveexec_b32 s1, s1
	s_cbranch_execz .LBB73_331
; %bb.330:
	v_div_scale_f64 v[190:191], null, v[2:3], v[2:3], v[4:5]
	v_mov_b32_e32 v152, v197
	v_mov_b32_e32 v153, v198
	v_div_scale_f64 v[196:197], vcc_lo, v[4:5], v[2:3], v[4:5]
	v_mov_b32_e32 v150, v251
	v_mov_b32_e32 v151, v252
	;; [unrolled: 1-line block ×16, first 2 shown]
	v_rcp_f64_e32 v[192:193], v[190:191]
	v_mov_b32_e32 v239, v236
	v_mov_b32_e32 v238, v235
	;; [unrolled: 1-line block ×23, first 2 shown]
	v_fma_f64 v[194:195], -v[190:191], v[192:193], 1.0
	v_mov_b32_e32 v216, v213
	v_mov_b32_e32 v215, v212
	;; [unrolled: 1-line block ×17, first 2 shown]
	v_fma_f64 v[192:193], v[192:193], v[194:195], v[192:193]
	v_fma_f64 v[194:195], -v[190:191], v[192:193], 1.0
	v_fma_f64 v[192:193], v[192:193], v[194:195], v[192:193]
	v_mul_f64 v[194:195], v[196:197], v[192:193]
	v_fma_f64 v[190:191], -v[190:191], v[194:195], v[196:197]
	v_div_fmas_f64 v[190:191], v[190:191], v[192:193], v[194:195]
	v_div_fixup_f64 v[192:193], v[190:191], v[2:3], v[4:5]
	v_fma_f64 v[190:191], v[4:5], v[192:193], v[2:3]
	v_div_scale_f64 v[194:195], null, v[190:191], v[190:191], 1.0
	v_rcp_f64_e32 v[196:197], v[194:195]
	v_fma_f64 v[198:199], -v[194:195], v[196:197], 1.0
	v_fma_f64 v[196:197], v[196:197], v[198:199], v[196:197]
	v_fma_f64 v[198:199], -v[194:195], v[196:197], 1.0
	v_fma_f64 v[196:197], v[196:197], v[198:199], v[196:197]
	v_div_scale_f64 v[198:199], vcc_lo, 1.0, v[190:191], 1.0
	v_mul_f64 v[200:201], v[198:199], v[196:197]
	v_fma_f64 v[194:195], -v[194:195], v[200:201], v[198:199]
	v_div_fmas_f64 v[194:195], v[194:195], v[196:197], v[200:201]
	v_mov_b32_e32 v199, v202
	v_mov_b32_e32 v200, v203
	;; [unrolled: 1-line block ×21, first 2 shown]
	v_div_fixup_f64 v[190:191], v[194:195], v[190:191], 1.0
	v_mov_b32_e32 v218, v221
	v_mov_b32_e32 v219, v222
	;; [unrolled: 1-line block ×21, first 2 shown]
	v_mul_f64 v[192:193], v[192:193], -v[190:191]
	v_mov_b32_e32 v239, v242
	v_mov_b32_e32 v240, v243
	;; [unrolled: 1-line block ×16, first 2 shown]
.LBB73_331:
	s_or_b32 exec_lo, exec_lo, s1
	ds_write2_b64 v1, v[190:191], v[192:193] offset1:1
.LBB73_332:
	s_or_b32 exec_lo, exec_lo, s2
	s_waitcnt lgkmcnt(0)
	s_barrier
	buffer_gl0_inv
	ds_read2_b64 v[190:193], v1 offset1:1
	s_mov_b32 s1, exec_lo
	v_cmpx_lt_u32_e32 36, v0
	s_cbranch_execz .LBB73_334
; %bb.333:
	s_waitcnt lgkmcnt(0)
	v_mul_f64 v[0:1], v[192:193], v[4:5]
	v_mul_f64 v[4:5], v[190:191], v[4:5]
	v_fma_f64 v[0:1], v[190:191], v[2:3], -v[0:1]
	v_fma_f64 v[4:5], v[192:193], v[2:3], v[4:5]
	v_mov_b32_e32 v3, v1
	v_mov_b32_e32 v2, v0
.LBB73_334:
	s_or_b32 exec_lo, exec_lo, s1
	s_waitcnt lgkmcnt(0)
	s_barrier
	buffer_gl0_inv
	s_and_saveexec_b32 s7, s0
	s_cbranch_execz .LBB73_337
; %bb.335:
	s_clause 0x3
	buffer_load_dword v150, off, s[16:19], 0 offset:72
	buffer_load_dword v151, off, s[16:19], 0 offset:76
	;; [unrolled: 1-line block ×4, first 2 shown]
	s_waitcnt vmcnt(2)
	v_cmp_eq_f64_e32 vcc_lo, 0, v[150:151]
	s_waitcnt vmcnt(0)
	v_cmp_eq_f64_e64 s0, 0, v[152:153]
	s_clause 0x3
	buffer_load_dword v150, off, s[16:19], 0 offset:88
	buffer_load_dword v151, off, s[16:19], 0 offset:92
	;; [unrolled: 1-line block ×4, first 2 shown]
	s_and_b32 s0, vcc_lo, s0
	v_cndmask_b32_e64 v0, 0, 1, s0
	s_waitcnt vmcnt(2)
	v_cmp_neq_f64_e64 s1, 0, v[150:151]
	s_waitcnt vmcnt(0)
	v_cmp_neq_f64_e64 s2, 0, v[152:153]
	s_clause 0x3
	buffer_load_dword v150, off, s[16:19], 0 offset:104
	buffer_load_dword v151, off, s[16:19], 0 offset:108
	;; [unrolled: 1-line block ×4, first 2 shown]
	s_or_b32 s1, s1, s2
	s_or_b32 s0, s1, s0
	v_cndmask_b32_e64 v0, 2, v0, s0
	v_cmp_eq_u32_e64 s0, 0, v0
	s_waitcnt vmcnt(2)
	v_cmp_eq_f64_e64 s3, 0, v[150:151]
	s_waitcnt vmcnt(0)
	v_cmp_eq_f64_e64 s4, 0, v[152:153]
	s_clause 0x3
	buffer_load_dword v150, off, s[16:19], 0 offset:120
	buffer_load_dword v151, off, s[16:19], 0 offset:124
	;; [unrolled: 1-line block ×4, first 2 shown]
	s_and_b32 s3, s3, s4
	s_and_b32 s0, s3, s0
	v_cndmask_b32_e64 v0, v0, 3, s0
	v_cmp_eq_u32_e64 s0, 0, v0
	s_waitcnt vmcnt(2)
	v_cmp_eq_f64_e64 s5, 0, v[150:151]
	s_waitcnt vmcnt(0)
	v_cmp_eq_f64_e32 vcc_lo, 0, v[152:153]
	s_clause 0x3
	buffer_load_dword v150, off, s[16:19], 0 offset:136
	buffer_load_dword v151, off, s[16:19], 0 offset:140
	;; [unrolled: 1-line block ×4, first 2 shown]
	s_and_b32 s5, s5, vcc_lo
	s_and_b32 s0, s5, s0
	v_cndmask_b32_e64 v0, v0, 4, s0
	v_cmp_eq_u32_e32 vcc_lo, 0, v0
	s_waitcnt vmcnt(2)
	v_cmp_eq_f64_e64 s1, 0, v[150:151]
	s_waitcnt vmcnt(0)
	v_cmp_eq_f64_e64 s2, 0, v[152:153]
	s_clause 0x3
	buffer_load_dword v150, off, s[16:19], 0 offset:152
	buffer_load_dword v151, off, s[16:19], 0 offset:156
	buffer_load_dword v152, off, s[16:19], 0 offset:160
	buffer_load_dword v153, off, s[16:19], 0 offset:164
	s_and_b32 s0, s1, s2
	s_and_b32 s0, s0, vcc_lo
	v_cndmask_b32_e64 v0, v0, 5, s0
	v_cmp_eq_u32_e32 vcc_lo, 0, v0
	s_waitcnt vmcnt(2)
	v_cmp_eq_f64_e64 s3, 0, v[150:151]
	s_waitcnt vmcnt(0)
	v_cmp_eq_f64_e64 s4, 0, v[152:153]
	s_clause 0x3
	buffer_load_dword v150, off, s[16:19], 0 offset:168
	buffer_load_dword v151, off, s[16:19], 0 offset:172
	;; [unrolled: 1-line block ×4, first 2 shown]
	s_and_b32 s0, s3, s4
	s_and_b32 s0, s0, vcc_lo
	v_cndmask_b32_e64 v0, v0, 6, s0
	v_cmp_eq_u32_e64 s3, 0, v0
	s_waitcnt vmcnt(2)
	v_cmp_eq_f64_e64 s5, 0, v[150:151]
	s_waitcnt vmcnt(0)
	v_cmp_eq_f64_e64 s6, 0, v[152:153]
	s_clause 0x3
	buffer_load_dword v150, off, s[16:19], 0 offset:184
	buffer_load_dword v151, off, s[16:19], 0 offset:188
	buffer_load_dword v152, off, s[16:19], 0 offset:192
	buffer_load_dword v153, off, s[16:19], 0 offset:196
	s_and_b32 s4, s5, s6
	s_and_b32 s3, s4, s3
	v_cndmask_b32_e64 v194, v0, 7, s3
	v_lshlrev_b64 v[0:1], 2, v[247:248]
	s_waitcnt vmcnt(2)
	v_cmp_eq_f64_e64 s1, 0, v[150:151]
	s_waitcnt vmcnt(0)
	v_cmp_eq_f64_e64 s2, 0, v[152:153]
	s_clause 0x3
	buffer_load_dword v150, off, s[16:19], 0 offset:200
	buffer_load_dword v151, off, s[16:19], 0 offset:204
	;; [unrolled: 1-line block ×4, first 2 shown]
	s_and_b32 s5, s1, s2
	v_add_co_u32 v0, s2, s10, v0
	v_add_co_ci_u32_e64 v1, null, s11, v1, s2
	v_cmp_eq_u32_e64 s1, 0, v194
	s_and_b32 s1, s5, s1
	v_cndmask_b32_e64 v194, v194, 8, s1
	v_cmp_eq_u32_e64 s1, 0, v194
	s_waitcnt vmcnt(2)
	v_cmp_eq_f64_e32 vcc_lo, 0, v[150:151]
	s_waitcnt vmcnt(0)
	v_cmp_eq_f64_e64 s0, 0, v[152:153]
	s_clause 0x3
	buffer_load_dword v150, off, s[16:19], 0 offset:216
	buffer_load_dword v151, off, s[16:19], 0 offset:220
	buffer_load_dword v152, off, s[16:19], 0 offset:224
	buffer_load_dword v153, off, s[16:19], 0 offset:228
	global_load_dword v195, v[0:1], off
	s_and_b32 s0, vcc_lo, s0
	s_and_b32 s0, s0, s1
	v_cndmask_b32_e64 v194, v194, 9, s0
	v_cmp_eq_u32_e32 vcc_lo, 0, v194
	s_waitcnt vmcnt(3)
	v_cmp_eq_f64_e64 s3, 0, v[150:151]
	s_waitcnt vmcnt(1)
	v_cmp_eq_f64_e64 s4, 0, v[152:153]
	s_clause 0x3
	buffer_load_dword v150, off, s[16:19], 0 offset:232
	buffer_load_dword v151, off, s[16:19], 0 offset:236
	buffer_load_dword v152, off, s[16:19], 0 offset:240
	buffer_load_dword v153, off, s[16:19], 0 offset:244
	s_and_b32 s3, s3, s4
	s_and_b32 s3, s3, vcc_lo
	v_cndmask_b32_e64 v194, v194, 10, s3
	v_cmp_eq_u32_e32 vcc_lo, 0, v194
	s_waitcnt vmcnt(2)
	v_cmp_eq_f64_e64 s2, 0, v[150:151]
	s_waitcnt vmcnt(0)
	v_cmp_eq_f64_e64 s5, 0, v[152:153]
	s_clause 0x3
	buffer_load_dword v150, off, s[16:19], 0 offset:248
	buffer_load_dword v151, off, s[16:19], 0 offset:252
	buffer_load_dword v152, off, s[16:19], 0 offset:256
	buffer_load_dword v153, off, s[16:19], 0 offset:260
	s_and_b32 s2, s2, s5
	s_and_b32 s2, s2, vcc_lo
	;; [unrolled: 13-line block ×15, first 2 shown]
	v_cndmask_b32_e64 v194, v194, 24, s0
	v_cmp_eq_u32_e32 vcc_lo, 0, v194
	s_waitcnt vmcnt(2)
	v_cmp_eq_f64_e64 s3, 0, v[150:151]
	s_waitcnt vmcnt(0)
	v_cmp_eq_f64_e64 s4, 0, v[152:153]
	s_clause 0x3
	buffer_load_dword v150, off, s[16:19], 0 offset:472
	buffer_load_dword v151, off, s[16:19], 0 offset:476
	;; [unrolled: 1-line block ×4, first 2 shown]
	s_and_b32 s3, s3, s4
	v_cmp_eq_f64_e64 s4, 0, v[156:157]
	s_and_b32 s3, s3, vcc_lo
	s_waitcnt vmcnt(2)
	v_cmp_eq_f64_e64 s2, 0, v[150:151]
	s_waitcnt vmcnt(0)
	v_cmp_eq_f64_e64 s5, 0, v[152:153]
	s_clause 0x3
	buffer_load_dword v150, off, s[16:19], 0 offset:488
	buffer_load_dword v151, off, s[16:19], 0 offset:492
	;; [unrolled: 1-line block ×4, first 2 shown]
	s_and_b32 s2, s2, s5
	v_cmp_eq_f64_e64 s5, 0, v[160:161]
	s_waitcnt vmcnt(2)
	v_cmp_eq_f64_e64 s0, 0, v[150:151]
	v_cndmask_b32_e64 v150, v194, 25, s3
	s_waitcnt vmcnt(0)
	v_cmp_eq_f64_e64 s1, 0, v[152:153]
	v_cmp_eq_f64_e64 s3, 0, v[154:155]
	v_cmp_eq_u32_e32 vcc_lo, 0, v150
	s_and_b32 s2, s2, vcc_lo
	v_cndmask_b32_e64 v150, v150, 26, s2
	v_cmp_eq_f64_e64 s2, 0, v[158:159]
	v_cmp_eq_u32_e32 vcc_lo, 0, v150
	s_and_b32 s0, s0, s1
	s_and_b32 s3, s3, s4
	s_and_b32 s0, s0, vcc_lo
	v_cmp_eq_f64_e64 s1, 0, v[164:165]
	v_cndmask_b32_e64 v150, v150, 27, s0
	v_cmp_eq_f64_e64 s0, 0, v[162:163]
	v_cmp_eq_f64_e64 s4, 0, v[168:169]
	v_cmp_eq_u32_e32 vcc_lo, 0, v150
	s_and_b32 s2, s2, s5
	v_cmp_eq_f64_e64 s5, 0, v[172:173]
	s_and_b32 s3, s3, vcc_lo
	v_cndmask_b32_e64 v150, v150, 28, s3
	v_cmp_eq_f64_e64 s3, 0, v[166:167]
	v_cmp_eq_u32_e32 vcc_lo, 0, v150
	s_and_b32 s2, s2, vcc_lo
	s_and_b32 s0, s0, s1
	v_cndmask_b32_e64 v150, v150, 29, s2
	v_cmp_eq_f64_e64 s2, 0, v[170:171]
	v_cmp_eq_f64_e64 s1, 0, v[176:177]
	v_cmp_eq_u32_e32 vcc_lo, 0, v150
	s_and_b32 s0, s0, vcc_lo
	s_and_b32 s3, s3, s4
	v_cndmask_b32_e64 v150, v150, 30, s0
	v_cmp_eq_f64_e64 s0, 0, v[174:175]
	;; [unrolled: 6-line block ×6, first 2 shown]
	v_cmp_eq_u32_e32 vcc_lo, 0, v150
	s_and_b32 s2, s2, vcc_lo
	s_and_b32 s0, s0, s1
	v_cndmask_b32_e64 v150, v150, 35, s2
	v_cmp_eq_u32_e32 vcc_lo, 0, v150
	s_and_b32 s0, s0, vcc_lo
	v_cndmask_b32_e64 v150, v150, 36, s0
	s_and_b32 s0, s3, s4
	v_cmp_eq_u32_e32 vcc_lo, 0, v150
	s_and_b32 s0, s0, vcc_lo
	v_cmp_eq_u32_e32 vcc_lo, 0, v195
	v_cndmask_b32_e64 v150, v150, 37, s0
	v_cmp_ne_u32_e64 s0, 0, v150
	s_and_b32 s0, vcc_lo, s0
	s_and_b32 exec_lo, exec_lo, s0
	s_cbranch_execz .LBB73_337
; %bb.336:
	v_add_nc_u32_e32 v150, s13, v150
	global_store_dword v[0:1], v150, off
.LBB73_337:
	s_or_b32 exec_lo, exec_lo, s7
	s_clause 0x1
	buffer_load_dword v0, off, s[16:19], 0 offset:64
	buffer_load_dword v1, off, s[16:19], 0 offset:68
	s_waitcnt vmcnt(0)
	global_store_dwordx4 v[0:1], v[146:149], off
	s_clause 0x1
	buffer_load_dword v0, off, s[16:19], 0 offset:56
	buffer_load_dword v1, off, s[16:19], 0 offset:60
	s_waitcnt vmcnt(0)
	global_store_dwordx4 v[0:1], v[142:145], off
	global_store_dwordx4 v[201:202], v[138:141], off
	;; [unrolled: 1-line block ×29, first 2 shown]
	s_clause 0x1
	buffer_load_dword v0, off, s[16:19], 0
	buffer_load_dword v1, off, s[16:19], 0 offset:4
	s_waitcnt vmcnt(0)
	global_store_dwordx4 v[0:1], v[26:29], off
	s_clause 0x1
	buffer_load_dword v0, off, s[16:19], 0 offset:8
	buffer_load_dword v1, off, s[16:19], 0 offset:12
	s_waitcnt vmcnt(0)
	global_store_dwordx4 v[0:1], v[22:25], off
	s_clause 0x1
	buffer_load_dword v0, off, s[16:19], 0 offset:24
	;; [unrolled: 5-line block ×6, first 2 shown]
	buffer_load_dword v1, off, s[16:19], 0 offset:52
	s_waitcnt vmcnt(0)
	global_store_dwordx4 v[0:1], v[2:5], off
.LBB73_338:
	s_endpgm
	.section	.rodata,"a",@progbits
	.p2align	6, 0x0
	.amdhsa_kernel _ZN9rocsolver6v33100L23getf2_npvt_small_kernelILi37E19rocblas_complex_numIdEiiPS3_EEvT1_T3_lS5_lPT2_S5_S5_
		.amdhsa_group_segment_fixed_size 0
		.amdhsa_private_segment_fixed_size 508
		.amdhsa_kernarg_size 312
		.amdhsa_user_sgpr_count 6
		.amdhsa_user_sgpr_private_segment_buffer 1
		.amdhsa_user_sgpr_dispatch_ptr 0
		.amdhsa_user_sgpr_queue_ptr 0
		.amdhsa_user_sgpr_kernarg_segment_ptr 1
		.amdhsa_user_sgpr_dispatch_id 0
		.amdhsa_user_sgpr_flat_scratch_init 0
		.amdhsa_user_sgpr_private_segment_size 0
		.amdhsa_wavefront_size32 1
		.amdhsa_uses_dynamic_stack 0
		.amdhsa_system_sgpr_private_segment_wavefront_offset 1
		.amdhsa_system_sgpr_workgroup_id_x 1
		.amdhsa_system_sgpr_workgroup_id_y 1
		.amdhsa_system_sgpr_workgroup_id_z 0
		.amdhsa_system_sgpr_workgroup_info 0
		.amdhsa_system_vgpr_workitem_id 1
		.amdhsa_next_free_vgpr 256
		.amdhsa_next_free_sgpr 20
		.amdhsa_reserve_vcc 1
		.amdhsa_reserve_flat_scratch 0
		.amdhsa_float_round_mode_32 0
		.amdhsa_float_round_mode_16_64 0
		.amdhsa_float_denorm_mode_32 3
		.amdhsa_float_denorm_mode_16_64 3
		.amdhsa_dx10_clamp 1
		.amdhsa_ieee_mode 1
		.amdhsa_fp16_overflow 0
		.amdhsa_workgroup_processor_mode 1
		.amdhsa_memory_ordered 1
		.amdhsa_forward_progress 1
		.amdhsa_shared_vgpr_count 0
		.amdhsa_exception_fp_ieee_invalid_op 0
		.amdhsa_exception_fp_denorm_src 0
		.amdhsa_exception_fp_ieee_div_zero 0
		.amdhsa_exception_fp_ieee_overflow 0
		.amdhsa_exception_fp_ieee_underflow 0
		.amdhsa_exception_fp_ieee_inexact 0
		.amdhsa_exception_int_div_zero 0
	.end_amdhsa_kernel
	.section	.text._ZN9rocsolver6v33100L23getf2_npvt_small_kernelILi37E19rocblas_complex_numIdEiiPS3_EEvT1_T3_lS5_lPT2_S5_S5_,"axG",@progbits,_ZN9rocsolver6v33100L23getf2_npvt_small_kernelILi37E19rocblas_complex_numIdEiiPS3_EEvT1_T3_lS5_lPT2_S5_S5_,comdat
.Lfunc_end73:
	.size	_ZN9rocsolver6v33100L23getf2_npvt_small_kernelILi37E19rocblas_complex_numIdEiiPS3_EEvT1_T3_lS5_lPT2_S5_S5_, .Lfunc_end73-_ZN9rocsolver6v33100L23getf2_npvt_small_kernelILi37E19rocblas_complex_numIdEiiPS3_EEvT1_T3_lS5_lPT2_S5_S5_
                                        ; -- End function
	.set _ZN9rocsolver6v33100L23getf2_npvt_small_kernelILi37E19rocblas_complex_numIdEiiPS3_EEvT1_T3_lS5_lPT2_S5_S5_.num_vgpr, 256
	.set _ZN9rocsolver6v33100L23getf2_npvt_small_kernelILi37E19rocblas_complex_numIdEiiPS3_EEvT1_T3_lS5_lPT2_S5_S5_.num_agpr, 0
	.set _ZN9rocsolver6v33100L23getf2_npvt_small_kernelILi37E19rocblas_complex_numIdEiiPS3_EEvT1_T3_lS5_lPT2_S5_S5_.numbered_sgpr, 20
	.set _ZN9rocsolver6v33100L23getf2_npvt_small_kernelILi37E19rocblas_complex_numIdEiiPS3_EEvT1_T3_lS5_lPT2_S5_S5_.num_named_barrier, 0
	.set _ZN9rocsolver6v33100L23getf2_npvt_small_kernelILi37E19rocblas_complex_numIdEiiPS3_EEvT1_T3_lS5_lPT2_S5_S5_.private_seg_size, 508
	.set _ZN9rocsolver6v33100L23getf2_npvt_small_kernelILi37E19rocblas_complex_numIdEiiPS3_EEvT1_T3_lS5_lPT2_S5_S5_.uses_vcc, 1
	.set _ZN9rocsolver6v33100L23getf2_npvt_small_kernelILi37E19rocblas_complex_numIdEiiPS3_EEvT1_T3_lS5_lPT2_S5_S5_.uses_flat_scratch, 0
	.set _ZN9rocsolver6v33100L23getf2_npvt_small_kernelILi37E19rocblas_complex_numIdEiiPS3_EEvT1_T3_lS5_lPT2_S5_S5_.has_dyn_sized_stack, 0
	.set _ZN9rocsolver6v33100L23getf2_npvt_small_kernelILi37E19rocblas_complex_numIdEiiPS3_EEvT1_T3_lS5_lPT2_S5_S5_.has_recursion, 0
	.set _ZN9rocsolver6v33100L23getf2_npvt_small_kernelILi37E19rocblas_complex_numIdEiiPS3_EEvT1_T3_lS5_lPT2_S5_S5_.has_indirect_call, 0
	.section	.AMDGPU.csdata,"",@progbits
; Kernel info:
; codeLenInByte = 74612
; TotalNumSgprs: 22
; NumVgprs: 256
; ScratchSize: 508
; MemoryBound: 1
; FloatMode: 240
; IeeeMode: 1
; LDSByteSize: 0 bytes/workgroup (compile time only)
; SGPRBlocks: 0
; VGPRBlocks: 31
; NumSGPRsForWavesPerEU: 22
; NumVGPRsForWavesPerEU: 256
; Occupancy: 4
; WaveLimiterHint : 0
; COMPUTE_PGM_RSRC2:SCRATCH_EN: 1
; COMPUTE_PGM_RSRC2:USER_SGPR: 6
; COMPUTE_PGM_RSRC2:TRAP_HANDLER: 0
; COMPUTE_PGM_RSRC2:TGID_X_EN: 1
; COMPUTE_PGM_RSRC2:TGID_Y_EN: 1
; COMPUTE_PGM_RSRC2:TGID_Z_EN: 0
; COMPUTE_PGM_RSRC2:TIDIG_COMP_CNT: 1
	.section	.text._ZN9rocsolver6v33100L18getf2_small_kernelILi38E19rocblas_complex_numIdEiiPS3_EEvT1_T3_lS5_lPS5_llPT2_S5_S5_S7_l,"axG",@progbits,_ZN9rocsolver6v33100L18getf2_small_kernelILi38E19rocblas_complex_numIdEiiPS3_EEvT1_T3_lS5_lPS5_llPT2_S5_S5_S7_l,comdat
	.globl	_ZN9rocsolver6v33100L18getf2_small_kernelILi38E19rocblas_complex_numIdEiiPS3_EEvT1_T3_lS5_lPS5_llPT2_S5_S5_S7_l ; -- Begin function _ZN9rocsolver6v33100L18getf2_small_kernelILi38E19rocblas_complex_numIdEiiPS3_EEvT1_T3_lS5_lPS5_llPT2_S5_S5_S7_l
	.p2align	8
	.type	_ZN9rocsolver6v33100L18getf2_small_kernelILi38E19rocblas_complex_numIdEiiPS3_EEvT1_T3_lS5_lPS5_llPT2_S5_S5_S7_l,@function
_ZN9rocsolver6v33100L18getf2_small_kernelILi38E19rocblas_complex_numIdEiiPS3_EEvT1_T3_lS5_lPS5_llPT2_S5_S5_S7_l: ; @_ZN9rocsolver6v33100L18getf2_small_kernelILi38E19rocblas_complex_numIdEiiPS3_EEvT1_T3_lS5_lPS5_llPT2_S5_S5_S7_l
; %bb.0:
	s_clause 0x1
	s_load_dword s0, s[4:5], 0x6c
	s_load_dwordx2 s[16:17], s[4:5], 0x48
	s_waitcnt lgkmcnt(0)
	s_lshr_b32 s0, s0, 16
	v_mad_u64_u32 v[158:159], null, s7, s0, v[1:2]
	s_mov_b32 s0, exec_lo
	v_cmpx_gt_i32_e64 s16, v158
	s_cbranch_execz .LBB74_801
; %bb.1:
	s_load_dwordx4 s[0:3], s[4:5], 0x50
	v_mov_b32_e32 v160, 0
	v_ashrrev_i32_e32 v159, 31, v158
	v_mov_b32_e32 v161, 0
	s_waitcnt lgkmcnt(0)
	s_cmp_eq_u64 s[0:1], 0
	s_cselect_b32 s16, -1, 0
	s_and_b32 vcc_lo, exec_lo, s16
	s_cbranch_vccnz .LBB74_3
; %bb.2:
	v_mul_lo_u32 v4, s3, v158
	v_mul_lo_u32 v5, s2, v159
	v_mad_u64_u32 v[2:3], null, s2, v158, 0
	v_add3_u32 v3, v3, v5, v4
	v_lshlrev_b64 v[2:3], 2, v[2:3]
	v_add_co_u32 v160, vcc_lo, s0, v2
	v_add_co_ci_u32_e64 v161, null, s1, v3, vcc_lo
.LBB74_3:
	s_clause 0x2
	s_load_dwordx8 s[8:15], s[4:5], 0x20
	s_load_dword s2, s[4:5], 0x18
	s_load_dwordx4 s[20:23], s[4:5], 0x8
	v_lshlrev_b32_e32 v162, 4, v0
	s_clause 0x1
	s_load_dword s1, s[4:5], 0x0
	s_load_dwordx2 s[4:5], s[4:5], 0x40
	s_waitcnt lgkmcnt(0)
	v_mul_lo_u32 v5, s9, v158
	v_add3_u32 v4, s2, s2, v0
	v_mul_lo_u32 v7, s8, v159
	v_mad_u64_u32 v[2:3], null, s8, v158, 0
	s_lshl_b64 s[8:9], s[22:23], 4
	v_add_nc_u32_e32 v6, s2, v4
	s_ashr_i32 s3, s2, 31
	s_max_i32 s0, s1, 38
	s_lshl_b64 s[6:7], s[2:3], 4
	v_mul_lo_u32 v163, s0, v1
	v_add3_u32 v3, v3, v7, v5
	v_add_nc_u32_e32 v8, s2, v6
	v_ashrrev_i32_e32 v5, 31, v4
	v_ashrrev_i32_e32 v7, 31, v6
	s_cmp_lt_i32 s1, 2
	v_lshlrev_b64 v[2:3], 4, v[2:3]
	v_add_nc_u32_e32 v10, s2, v8
	v_ashrrev_i32_e32 v9, 31, v8
	v_lshlrev_b64 v[4:5], 4, v[4:5]
	v_lshlrev_b64 v[6:7], 4, v[6:7]
	v_lshl_add_u32 v1, v163, 4, 0
	v_add_co_u32 v12, vcc_lo, s20, v2
	v_add_nc_u32_e32 v2, s2, v10
	v_add_co_ci_u32_e64 v3, null, s21, v3, vcc_lo
	v_add_co_u32 v165, vcc_lo, v12, s8
	v_add_nc_u32_e32 v12, s2, v2
	v_ashrrev_i32_e32 v11, 31, v10
	v_add_co_ci_u32_e64 v166, null, s9, v3, vcc_lo
	v_lshlrev_b64 v[8:9], 4, v[8:9]
	v_add_co_u32 v14, vcc_lo, v165, v162
	v_add_nc_u32_e32 v16, s2, v12
	v_ashrrev_i32_e32 v3, 31, v2
	v_lshlrev_b64 v[10:11], 4, v[10:11]
	v_add_co_ci_u32_e64 v15, null, 0, v166, vcc_lo
	v_add_co_u32 v4, vcc_lo, v165, v4
	v_ashrrev_i32_e32 v13, 31, v12
	v_add_co_ci_u32_e64 v5, null, v166, v5, vcc_lo
	v_add_co_u32 v6, vcc_lo, v165, v6
	v_add_nc_u32_e32 v18, s2, v16
	v_lshlrev_b64 v[2:3], 4, v[2:3]
	v_add_co_ci_u32_e64 v7, null, v166, v7, vcc_lo
	v_add_co_u32 v8, vcc_lo, v165, v8
	v_add_co_ci_u32_e64 v9, null, v166, v9, vcc_lo
	v_add_co_u32 v10, vcc_lo, v165, v10
	v_lshlrev_b64 v[12:13], 4, v[12:13]
	v_add_co_ci_u32_e64 v11, null, v166, v11, vcc_lo
	v_ashrrev_i32_e32 v17, 31, v16
	v_add_co_u32 v20, vcc_lo, v14, s6
	s_clause 0x1
	global_load_dwordx4 v[142:145], v[4:5], off
	global_load_dwordx4 v[130:133], v[6:7], off
	v_add_nc_u32_e32 v6, s2, v18
	v_add_co_ci_u32_e64 v21, null, s7, v15, vcc_lo
	v_add_co_u32 v2, vcc_lo, v165, v2
	v_ashrrev_i32_e32 v19, 31, v18
	v_add_co_ci_u32_e64 v3, null, v166, v3, vcc_lo
	s_clause 0x1
	global_load_dwordx4 v[138:141], v[8:9], off
	global_load_dwordx4 v[134:137], v[10:11], off
	v_add_co_u32 v8, vcc_lo, v165, v12
	v_lshlrev_b64 v[4:5], 4, v[16:17]
	v_ashrrev_i32_e32 v7, 31, v6
	v_add_nc_u32_e32 v12, s2, v6
	v_add_co_ci_u32_e64 v9, null, v166, v13, vcc_lo
	v_lshlrev_b64 v[10:11], 4, v[18:19]
	s_clause 0x3
	global_load_dwordx4 v[150:153], v[14:15], off
	global_load_dwordx4 v[146:149], v[20:21], off
	;; [unrolled: 1-line block ×4, first 2 shown]
	v_lshlrev_b64 v[2:3], 4, v[6:7]
	v_ashrrev_i32_e32 v13, 31, v12
	v_add_nc_u32_e32 v6, s2, v12
	v_add_co_u32 v4, vcc_lo, v165, v4
	v_add_co_ci_u32_e64 v5, null, v166, v5, vcc_lo
	v_add_co_u32 v8, vcc_lo, v165, v10
	v_add_co_ci_u32_e64 v9, null, v166, v11, vcc_lo
	v_lshlrev_b64 v[10:11], 4, v[12:13]
	v_ashrrev_i32_e32 v7, 31, v6
	v_add_nc_u32_e32 v12, s2, v6
	s_clause 0x1
	global_load_dwordx4 v[114:117], v[4:5], off
	global_load_dwordx4 v[110:113], v[8:9], off
	v_add_co_u32 v2, vcc_lo, v165, v2
	v_lshlrev_b64 v[4:5], 4, v[6:7]
	v_ashrrev_i32_e32 v13, 31, v12
	v_add_nc_u32_e32 v6, s2, v12
	v_add_co_ci_u32_e64 v3, null, v166, v3, vcc_lo
	v_add_co_u32 v8, vcc_lo, v165, v10
	v_add_co_ci_u32_e64 v9, null, v166, v11, vcc_lo
	v_lshlrev_b64 v[10:11], 4, v[12:13]
	v_ashrrev_i32_e32 v7, 31, v6
	v_add_nc_u32_e32 v12, s2, v6
	s_clause 0x1
	global_load_dwordx4 v[118:121], v[2:3], off
	global_load_dwordx4 v[102:105], v[8:9], off
	v_add_co_u32 v4, vcc_lo, v165, v4
	v_lshlrev_b64 v[2:3], 4, v[6:7]
	v_ashrrev_i32_e32 v13, 31, v12
	v_add_nc_u32_e32 v6, s2, v12
	;; [unrolled: 13-line block ×11, first 2 shown]
	v_add_co_ci_u32_e64 v3, null, v166, v3, vcc_lo
	v_add_co_u32 v8, vcc_lo, v165, v10
	v_add_co_ci_u32_e64 v9, null, v166, v11, vcc_lo
	v_lshlrev_b64 v[10:11], 4, v[12:13]
	v_add_nc_u32_e32 v12, s2, v6
	v_ashrrev_i32_e32 v7, 31, v6
	v_add_co_u32 v4, vcc_lo, v165, v4
	v_add_co_ci_u32_e64 v5, null, v166, v5, vcc_lo
	v_add_nc_u32_e32 v14, s2, v12
	v_ashrrev_i32_e32 v13, 31, v12
	v_lshlrev_b64 v[6:7], 4, v[6:7]
	v_add_co_u32 v10, vcc_lo, v165, v10
	v_add_nc_u32_e32 v16, s2, v14
	v_ashrrev_i32_e32 v15, 31, v14
	v_lshlrev_b64 v[12:13], 4, v[12:13]
	v_add_co_ci_u32_e64 v11, null, v166, v11, vcc_lo
	v_ashrrev_i32_e32 v17, 31, v16
	v_lshlrev_b64 v[14:15], 4, v[14:15]
	v_add_co_u32 v6, vcc_lo, v165, v6
	v_add_co_ci_u32_e64 v7, null, v166, v7, vcc_lo
	v_lshlrev_b64 v[16:17], 4, v[16:17]
	v_add_co_u32 v12, vcc_lo, v165, v12
	v_add_co_ci_u32_e64 v13, null, v166, v13, vcc_lo
	v_add_co_u32 v154, vcc_lo, v165, v14
	v_add_co_ci_u32_e64 v155, null, v166, v15, vcc_lo
	;; [unrolled: 2-line block ×3, first 2 shown]
	s_clause 0x7
	global_load_dwordx4 v[46:49], v[2:3], off
	global_load_dwordx4 v[26:29], v[8:9], off
	;; [unrolled: 1-line block ×8, first 2 shown]
	v_add_nc_u32_e32 v154, v1, v162
	v_lshlrev_b32_e32 v164, 4, v163
	v_mov_b32_e32 v162, 0
	s_waitcnt vmcnt(33)
	ds_write2_b64 v154, v[150:151], v[152:153] offset1:1
	s_waitcnt vmcnt(0) lgkmcnt(0)
	s_barrier
	buffer_gl0_inv
	ds_read2_b64 v[154:157], v1 offset1:1
	s_cbranch_scc1 .LBB74_6
; %bb.4:
	v_add3_u32 v163, v164, 0, 16
	v_mov_b32_e32 v162, 0
	s_mov_b32 s3, 1
	s_inst_prefetch 0x1
	.p2align	6
.LBB74_5:                               ; =>This Inner Loop Header: Depth=1
	s_waitcnt lgkmcnt(0)
	v_cmp_gt_f64_e32 vcc_lo, 0, v[156:157]
	v_cmp_gt_f64_e64 s0, 0, v[154:155]
	ds_read2_b64 v[167:170], v163 offset1:1
	v_xor_b32_e32 v172, 0x80000000, v155
	v_xor_b32_e32 v174, 0x80000000, v157
	v_mov_b32_e32 v171, v154
	v_mov_b32_e32 v173, v156
	v_add_nc_u32_e32 v163, 16, v163
	s_waitcnt lgkmcnt(0)
	v_xor_b32_e32 v176, 0x80000000, v170
	v_cndmask_b32_e64 v172, v155, v172, s0
	v_cndmask_b32_e32 v174, v157, v174, vcc_lo
	v_cmp_gt_f64_e32 vcc_lo, 0, v[169:170]
	v_cmp_gt_f64_e64 s0, 0, v[167:168]
	v_mov_b32_e32 v175, v169
	v_add_f64 v[171:172], v[171:172], v[173:174]
	v_xor_b32_e32 v174, 0x80000000, v168
	v_mov_b32_e32 v173, v167
	v_cndmask_b32_e32 v176, v170, v176, vcc_lo
	v_cndmask_b32_e64 v174, v168, v174, s0
	v_add_f64 v[173:174], v[173:174], v[175:176]
	v_cmp_lt_f64_e32 vcc_lo, v[171:172], v[173:174]
	v_cndmask_b32_e32 v155, v155, v168, vcc_lo
	v_cndmask_b32_e32 v154, v154, v167, vcc_lo
	;; [unrolled: 1-line block ×4, first 2 shown]
	v_cndmask_b32_e64 v162, v162, s3, vcc_lo
	s_add_i32 s3, s3, 1
	s_cmp_eq_u32 s1, s3
	s_cbranch_scc0 .LBB74_5
.LBB74_6:
	s_inst_prefetch 0x2
	s_waitcnt lgkmcnt(0)
	v_cmp_neq_f64_e32 vcc_lo, 0, v[154:155]
	v_cmp_neq_f64_e64 s0, 0, v[156:157]
	v_mov_b32_e32 v167, 1
	v_mov_b32_e32 v169, 1
	s_or_b32 s3, vcc_lo, s0
	s_and_saveexec_b32 s0, s3
	s_cbranch_execz .LBB74_12
; %bb.7:
	v_cmp_ngt_f64_e64 s3, |v[154:155]|, |v[156:157]|
	s_and_saveexec_b32 s8, s3
	s_xor_b32 s3, exec_lo, s8
	s_cbranch_execz .LBB74_9
; %bb.8:
	v_div_scale_f64 v[167:168], null, v[156:157], v[156:157], v[154:155]
	v_div_scale_f64 v[173:174], vcc_lo, v[154:155], v[156:157], v[154:155]
	v_rcp_f64_e32 v[169:170], v[167:168]
	v_fma_f64 v[171:172], -v[167:168], v[169:170], 1.0
	v_fma_f64 v[169:170], v[169:170], v[171:172], v[169:170]
	v_fma_f64 v[171:172], -v[167:168], v[169:170], 1.0
	v_fma_f64 v[169:170], v[169:170], v[171:172], v[169:170]
	v_mul_f64 v[171:172], v[173:174], v[169:170]
	v_fma_f64 v[167:168], -v[167:168], v[171:172], v[173:174]
	v_div_fmas_f64 v[167:168], v[167:168], v[169:170], v[171:172]
	v_div_fixup_f64 v[167:168], v[167:168], v[156:157], v[154:155]
	v_fma_f64 v[154:155], v[154:155], v[167:168], v[156:157]
	v_div_scale_f64 v[156:157], null, v[154:155], v[154:155], 1.0
	v_rcp_f64_e32 v[169:170], v[156:157]
	v_fma_f64 v[171:172], -v[156:157], v[169:170], 1.0
	v_fma_f64 v[169:170], v[169:170], v[171:172], v[169:170]
	v_fma_f64 v[171:172], -v[156:157], v[169:170], 1.0
	v_fma_f64 v[169:170], v[169:170], v[171:172], v[169:170]
	v_div_scale_f64 v[171:172], vcc_lo, 1.0, v[154:155], 1.0
	v_mul_f64 v[173:174], v[171:172], v[169:170]
	v_fma_f64 v[156:157], -v[156:157], v[173:174], v[171:172]
	v_div_fmas_f64 v[156:157], v[156:157], v[169:170], v[173:174]
	v_div_fixup_f64 v[156:157], v[156:157], v[154:155], 1.0
	v_mul_f64 v[154:155], v[167:168], v[156:157]
	v_xor_b32_e32 v157, 0x80000000, v157
.LBB74_9:
	s_andn2_saveexec_b32 s3, s3
	s_cbranch_execz .LBB74_11
; %bb.10:
	v_div_scale_f64 v[167:168], null, v[154:155], v[154:155], v[156:157]
	v_div_scale_f64 v[173:174], vcc_lo, v[156:157], v[154:155], v[156:157]
	v_rcp_f64_e32 v[169:170], v[167:168]
	v_fma_f64 v[171:172], -v[167:168], v[169:170], 1.0
	v_fma_f64 v[169:170], v[169:170], v[171:172], v[169:170]
	v_fma_f64 v[171:172], -v[167:168], v[169:170], 1.0
	v_fma_f64 v[169:170], v[169:170], v[171:172], v[169:170]
	v_mul_f64 v[171:172], v[173:174], v[169:170]
	v_fma_f64 v[167:168], -v[167:168], v[171:172], v[173:174]
	v_div_fmas_f64 v[167:168], v[167:168], v[169:170], v[171:172]
	v_div_fixup_f64 v[167:168], v[167:168], v[154:155], v[156:157]
	v_fma_f64 v[154:155], v[156:157], v[167:168], v[154:155]
	v_div_scale_f64 v[156:157], null, v[154:155], v[154:155], 1.0
	v_rcp_f64_e32 v[169:170], v[156:157]
	v_fma_f64 v[171:172], -v[156:157], v[169:170], 1.0
	v_fma_f64 v[169:170], v[169:170], v[171:172], v[169:170]
	v_fma_f64 v[171:172], -v[156:157], v[169:170], 1.0
	v_fma_f64 v[169:170], v[169:170], v[171:172], v[169:170]
	v_div_scale_f64 v[171:172], vcc_lo, 1.0, v[154:155], 1.0
	v_mul_f64 v[173:174], v[171:172], v[169:170]
	v_fma_f64 v[156:157], -v[156:157], v[173:174], v[171:172]
	v_div_fmas_f64 v[156:157], v[156:157], v[169:170], v[173:174]
	v_div_fixup_f64 v[154:155], v[156:157], v[154:155], 1.0
	v_mul_f64 v[156:157], v[167:168], -v[154:155]
.LBB74_11:
	s_or_b32 exec_lo, exec_lo, s3
	v_mov_b32_e32 v169, 0
	v_mov_b32_e32 v167, 2
.LBB74_12:
	s_or_b32 exec_lo, exec_lo, s0
	s_mov_b32 s0, exec_lo
	v_cmpx_ne_u32_e64 v0, v162
	s_xor_b32 s0, exec_lo, s0
	s_cbranch_execz .LBB74_18
; %bb.13:
	s_mov_b32 s3, exec_lo
	v_cmpx_eq_u32_e32 0, v0
	s_cbranch_execz .LBB74_17
; %bb.14:
	v_cmp_ne_u32_e32 vcc_lo, 0, v162
	s_xor_b32 s8, s16, -1
	s_and_b32 s9, s8, vcc_lo
	s_and_saveexec_b32 s8, s9
	s_cbranch_execz .LBB74_16
; %bb.15:
	v_ashrrev_i32_e32 v163, 31, v162
	v_lshlrev_b64 v[170:171], 2, v[162:163]
	v_add_co_u32 v170, vcc_lo, v160, v170
	v_add_co_ci_u32_e64 v171, null, v161, v171, vcc_lo
	s_clause 0x1
	global_load_dword v0, v[170:171], off
	global_load_dword v163, v[160:161], off
	s_waitcnt vmcnt(1)
	global_store_dword v[160:161], v0, off
	s_waitcnt vmcnt(0)
	global_store_dword v[170:171], v163, off
.LBB74_16:
	s_or_b32 exec_lo, exec_lo, s8
	v_mov_b32_e32 v0, v162
.LBB74_17:
	s_or_b32 exec_lo, exec_lo, s3
.LBB74_18:
	s_or_saveexec_b32 s0, s0
	v_mov_b32_e32 v168, v0
	s_xor_b32 exec_lo, exec_lo, s0
	s_cbranch_execz .LBB74_20
; %bb.19:
	v_mov_b32_e32 v168, 0
	ds_write2_b64 v1, v[146:147], v[148:149] offset0:2 offset1:3
	ds_write2_b64 v1, v[142:143], v[144:145] offset0:4 offset1:5
	;; [unrolled: 1-line block ×37, first 2 shown]
.LBB74_20:
	s_or_b32 exec_lo, exec_lo, s0
	s_mov_b32 s0, exec_lo
	s_waitcnt lgkmcnt(0)
	s_waitcnt_vscnt null, 0x0
	s_barrier
	buffer_gl0_inv
	v_cmpx_lt_i32_e32 0, v168
	s_cbranch_execz .LBB74_22
; %bb.21:
	v_mul_f64 v[162:163], v[156:157], v[152:153]
	v_mul_f64 v[152:153], v[154:155], v[152:153]
	v_fma_f64 v[162:163], v[154:155], v[150:151], -v[162:163]
	v_fma_f64 v[152:153], v[156:157], v[150:151], v[152:153]
	ds_read2_b64 v[154:157], v1 offset0:2 offset1:3
	s_waitcnt lgkmcnt(0)
	v_mul_f64 v[150:151], v[156:157], v[152:153]
	v_fma_f64 v[150:151], v[154:155], v[162:163], -v[150:151]
	v_mul_f64 v[154:155], v[154:155], v[152:153]
	v_add_f64 v[146:147], v[146:147], -v[150:151]
	v_fma_f64 v[154:155], v[156:157], v[162:163], v[154:155]
	v_add_f64 v[148:149], v[148:149], -v[154:155]
	ds_read2_b64 v[154:157], v1 offset0:4 offset1:5
	s_waitcnt lgkmcnt(0)
	v_mul_f64 v[150:151], v[156:157], v[152:153]
	v_fma_f64 v[150:151], v[154:155], v[162:163], -v[150:151]
	v_mul_f64 v[154:155], v[154:155], v[152:153]
	v_add_f64 v[142:143], v[142:143], -v[150:151]
	v_fma_f64 v[154:155], v[156:157], v[162:163], v[154:155]
	v_add_f64 v[144:145], v[144:145], -v[154:155]
	;; [unrolled: 8-line block ×36, first 2 shown]
	ds_read2_b64 v[154:157], v1 offset0:74 offset1:75
	s_waitcnt lgkmcnt(0)
	v_mul_f64 v[150:151], v[156:157], v[152:153]
	v_fma_f64 v[150:151], v[154:155], v[162:163], -v[150:151]
	v_mul_f64 v[154:155], v[154:155], v[152:153]
	v_add_f64 v[2:3], v[2:3], -v[150:151]
	v_fma_f64 v[154:155], v[156:157], v[162:163], v[154:155]
	v_mov_b32_e32 v150, v162
	v_mov_b32_e32 v151, v163
	v_add_f64 v[4:5], v[4:5], -v[154:155]
.LBB74_22:
	s_or_b32 exec_lo, exec_lo, s0
	v_lshl_add_u32 v154, v168, 4, v1
	s_barrier
	buffer_gl0_inv
	v_mov_b32_e32 v162, 1
	ds_write2_b64 v154, v[146:147], v[148:149] offset1:1
	s_waitcnt lgkmcnt(0)
	s_barrier
	buffer_gl0_inv
	ds_read2_b64 v[154:157], v1 offset0:2 offset1:3
	s_cmp_lt_i32 s1, 3
	s_cbranch_scc1 .LBB74_25
; %bb.23:
	v_add3_u32 v163, v164, 0, 32
	v_mov_b32_e32 v162, 1
	s_mov_b32 s3, 2
	s_inst_prefetch 0x1
	.p2align	6
.LBB74_24:                              ; =>This Inner Loop Header: Depth=1
	s_waitcnt lgkmcnt(0)
	v_cmp_gt_f64_e32 vcc_lo, 0, v[156:157]
	v_cmp_gt_f64_e64 s0, 0, v[154:155]
	ds_read2_b64 v[170:173], v163 offset1:1
	v_xor_b32_e32 v175, 0x80000000, v155
	v_xor_b32_e32 v177, 0x80000000, v157
	v_mov_b32_e32 v174, v154
	v_mov_b32_e32 v176, v156
	v_add_nc_u32_e32 v163, 16, v163
	s_waitcnt lgkmcnt(0)
	v_xor_b32_e32 v179, 0x80000000, v173
	v_cndmask_b32_e64 v175, v155, v175, s0
	v_cndmask_b32_e32 v177, v157, v177, vcc_lo
	v_cmp_gt_f64_e32 vcc_lo, 0, v[172:173]
	v_cmp_gt_f64_e64 s0, 0, v[170:171]
	v_mov_b32_e32 v178, v172
	v_add_f64 v[174:175], v[174:175], v[176:177]
	v_xor_b32_e32 v177, 0x80000000, v171
	v_mov_b32_e32 v176, v170
	v_cndmask_b32_e32 v179, v173, v179, vcc_lo
	v_cndmask_b32_e64 v177, v171, v177, s0
	v_add_f64 v[176:177], v[176:177], v[178:179]
	v_cmp_lt_f64_e32 vcc_lo, v[174:175], v[176:177]
	v_cndmask_b32_e32 v155, v155, v171, vcc_lo
	v_cndmask_b32_e32 v154, v154, v170, vcc_lo
	;; [unrolled: 1-line block ×4, first 2 shown]
	v_cndmask_b32_e64 v162, v162, s3, vcc_lo
	s_add_i32 s3, s3, 1
	s_cmp_lg_u32 s1, s3
	s_cbranch_scc1 .LBB74_24
.LBB74_25:
	s_inst_prefetch 0x2
	s_waitcnt lgkmcnt(0)
	v_cmp_neq_f64_e32 vcc_lo, 0, v[154:155]
	v_cmp_neq_f64_e64 s0, 0, v[156:157]
	s_or_b32 s3, vcc_lo, s0
	s_and_saveexec_b32 s0, s3
	s_cbranch_execz .LBB74_31
; %bb.26:
	v_cmp_ngt_f64_e64 s3, |v[154:155]|, |v[156:157]|
	s_and_saveexec_b32 s8, s3
	s_xor_b32 s3, exec_lo, s8
	s_cbranch_execz .LBB74_28
; %bb.27:
	v_div_scale_f64 v[170:171], null, v[156:157], v[156:157], v[154:155]
	v_div_scale_f64 v[176:177], vcc_lo, v[154:155], v[156:157], v[154:155]
	v_rcp_f64_e32 v[172:173], v[170:171]
	v_fma_f64 v[174:175], -v[170:171], v[172:173], 1.0
	v_fma_f64 v[172:173], v[172:173], v[174:175], v[172:173]
	v_fma_f64 v[174:175], -v[170:171], v[172:173], 1.0
	v_fma_f64 v[172:173], v[172:173], v[174:175], v[172:173]
	v_mul_f64 v[174:175], v[176:177], v[172:173]
	v_fma_f64 v[170:171], -v[170:171], v[174:175], v[176:177]
	v_div_fmas_f64 v[170:171], v[170:171], v[172:173], v[174:175]
	v_div_fixup_f64 v[170:171], v[170:171], v[156:157], v[154:155]
	v_fma_f64 v[154:155], v[154:155], v[170:171], v[156:157]
	v_div_scale_f64 v[156:157], null, v[154:155], v[154:155], 1.0
	v_rcp_f64_e32 v[172:173], v[156:157]
	v_fma_f64 v[174:175], -v[156:157], v[172:173], 1.0
	v_fma_f64 v[172:173], v[172:173], v[174:175], v[172:173]
	v_fma_f64 v[174:175], -v[156:157], v[172:173], 1.0
	v_fma_f64 v[172:173], v[172:173], v[174:175], v[172:173]
	v_div_scale_f64 v[174:175], vcc_lo, 1.0, v[154:155], 1.0
	v_mul_f64 v[176:177], v[174:175], v[172:173]
	v_fma_f64 v[156:157], -v[156:157], v[176:177], v[174:175]
	v_div_fmas_f64 v[156:157], v[156:157], v[172:173], v[176:177]
	v_div_fixup_f64 v[156:157], v[156:157], v[154:155], 1.0
	v_mul_f64 v[154:155], v[170:171], v[156:157]
	v_xor_b32_e32 v157, 0x80000000, v157
.LBB74_28:
	s_andn2_saveexec_b32 s3, s3
	s_cbranch_execz .LBB74_30
; %bb.29:
	v_div_scale_f64 v[170:171], null, v[154:155], v[154:155], v[156:157]
	v_div_scale_f64 v[176:177], vcc_lo, v[156:157], v[154:155], v[156:157]
	v_rcp_f64_e32 v[172:173], v[170:171]
	v_fma_f64 v[174:175], -v[170:171], v[172:173], 1.0
	v_fma_f64 v[172:173], v[172:173], v[174:175], v[172:173]
	v_fma_f64 v[174:175], -v[170:171], v[172:173], 1.0
	v_fma_f64 v[172:173], v[172:173], v[174:175], v[172:173]
	v_mul_f64 v[174:175], v[176:177], v[172:173]
	v_fma_f64 v[170:171], -v[170:171], v[174:175], v[176:177]
	v_div_fmas_f64 v[170:171], v[170:171], v[172:173], v[174:175]
	v_div_fixup_f64 v[170:171], v[170:171], v[154:155], v[156:157]
	v_fma_f64 v[154:155], v[156:157], v[170:171], v[154:155]
	v_div_scale_f64 v[156:157], null, v[154:155], v[154:155], 1.0
	v_rcp_f64_e32 v[172:173], v[156:157]
	v_fma_f64 v[174:175], -v[156:157], v[172:173], 1.0
	v_fma_f64 v[172:173], v[172:173], v[174:175], v[172:173]
	v_fma_f64 v[174:175], -v[156:157], v[172:173], 1.0
	v_fma_f64 v[172:173], v[172:173], v[174:175], v[172:173]
	v_div_scale_f64 v[174:175], vcc_lo, 1.0, v[154:155], 1.0
	v_mul_f64 v[176:177], v[174:175], v[172:173]
	v_fma_f64 v[156:157], -v[156:157], v[176:177], v[174:175]
	v_div_fmas_f64 v[156:157], v[156:157], v[172:173], v[176:177]
	v_div_fixup_f64 v[154:155], v[156:157], v[154:155], 1.0
	v_mul_f64 v[156:157], v[170:171], -v[154:155]
.LBB74_30:
	s_or_b32 exec_lo, exec_lo, s3
	v_mov_b32_e32 v167, v169
.LBB74_31:
	s_or_b32 exec_lo, exec_lo, s0
	s_mov_b32 s0, exec_lo
	v_cmpx_ne_u32_e64 v168, v162
	s_xor_b32 s0, exec_lo, s0
	s_cbranch_execz .LBB74_37
; %bb.32:
	s_mov_b32 s3, exec_lo
	v_cmpx_eq_u32_e32 1, v168
	s_cbranch_execz .LBB74_36
; %bb.33:
	v_cmp_ne_u32_e32 vcc_lo, 1, v162
	s_xor_b32 s8, s16, -1
	s_and_b32 s9, s8, vcc_lo
	s_and_saveexec_b32 s8, s9
	s_cbranch_execz .LBB74_35
; %bb.34:
	v_ashrrev_i32_e32 v163, 31, v162
	v_lshlrev_b64 v[168:169], 2, v[162:163]
	v_add_co_u32 v168, vcc_lo, v160, v168
	v_add_co_ci_u32_e64 v169, null, v161, v169, vcc_lo
	s_clause 0x1
	global_load_dword v0, v[168:169], off
	global_load_dword v163, v[160:161], off offset:4
	s_waitcnt vmcnt(1)
	global_store_dword v[160:161], v0, off offset:4
	s_waitcnt vmcnt(0)
	global_store_dword v[168:169], v163, off
.LBB74_35:
	s_or_b32 exec_lo, exec_lo, s8
	v_mov_b32_e32 v168, v162
	v_mov_b32_e32 v0, v162
.LBB74_36:
	s_or_b32 exec_lo, exec_lo, s3
.LBB74_37:
	s_andn2_saveexec_b32 s0, s0
	s_cbranch_execz .LBB74_39
; %bb.38:
	v_mov_b32_e32 v168, 1
	ds_write2_b64 v1, v[142:143], v[144:145] offset0:4 offset1:5
	ds_write2_b64 v1, v[130:131], v[132:133] offset0:6 offset1:7
	ds_write2_b64 v1, v[138:139], v[140:141] offset0:8 offset1:9
	ds_write2_b64 v1, v[134:135], v[136:137] offset0:10 offset1:11
	ds_write2_b64 v1, v[126:127], v[128:129] offset0:12 offset1:13
	ds_write2_b64 v1, v[122:123], v[124:125] offset0:14 offset1:15
	ds_write2_b64 v1, v[114:115], v[116:117] offset0:16 offset1:17
	ds_write2_b64 v1, v[110:111], v[112:113] offset0:18 offset1:19
	ds_write2_b64 v1, v[118:119], v[120:121] offset0:20 offset1:21
	ds_write2_b64 v1, v[102:103], v[104:105] offset0:22 offset1:23
	ds_write2_b64 v1, v[106:107], v[108:109] offset0:24 offset1:25
	ds_write2_b64 v1, v[90:91], v[92:93] offset0:26 offset1:27
	ds_write2_b64 v1, v[98:99], v[100:101] offset0:28 offset1:29
	ds_write2_b64 v1, v[94:95], v[96:97] offset0:30 offset1:31
	ds_write2_b64 v1, v[86:87], v[88:89] offset0:32 offset1:33
	ds_write2_b64 v1, v[82:83], v[84:85] offset0:34 offset1:35
	ds_write2_b64 v1, v[74:75], v[76:77] offset0:36 offset1:37
	ds_write2_b64 v1, v[70:71], v[72:73] offset0:38 offset1:39
	ds_write2_b64 v1, v[78:79], v[80:81] offset0:40 offset1:41
	ds_write2_b64 v1, v[62:63], v[64:65] offset0:42 offset1:43
	ds_write2_b64 v1, v[66:67], v[68:69] offset0:44 offset1:45
	ds_write2_b64 v1, v[50:51], v[52:53] offset0:46 offset1:47
	ds_write2_b64 v1, v[58:59], v[60:61] offset0:48 offset1:49
	ds_write2_b64 v1, v[54:55], v[56:57] offset0:50 offset1:51
	ds_write2_b64 v1, v[42:43], v[44:45] offset0:52 offset1:53
	ds_write2_b64 v1, v[38:39], v[40:41] offset0:54 offset1:55
	ds_write2_b64 v1, v[34:35], v[36:37] offset0:56 offset1:57
	ds_write2_b64 v1, v[30:31], v[32:33] offset0:58 offset1:59
	ds_write2_b64 v1, v[46:47], v[48:49] offset0:60 offset1:61
	ds_write2_b64 v1, v[26:27], v[28:29] offset0:62 offset1:63
	ds_write2_b64 v1, v[22:23], v[24:25] offset0:64 offset1:65
	ds_write2_b64 v1, v[18:19], v[20:21] offset0:66 offset1:67
	ds_write2_b64 v1, v[14:15], v[16:17] offset0:68 offset1:69
	ds_write2_b64 v1, v[10:11], v[12:13] offset0:70 offset1:71
	ds_write2_b64 v1, v[6:7], v[8:9] offset0:72 offset1:73
	ds_write2_b64 v1, v[2:3], v[4:5] offset0:74 offset1:75
.LBB74_39:
	s_or_b32 exec_lo, exec_lo, s0
	s_mov_b32 s0, exec_lo
	s_waitcnt lgkmcnt(0)
	s_waitcnt_vscnt null, 0x0
	s_barrier
	buffer_gl0_inv
	v_cmpx_lt_i32_e32 1, v168
	s_cbranch_execz .LBB74_41
; %bb.40:
	v_mul_f64 v[162:163], v[156:157], v[148:149]
	v_mul_f64 v[148:149], v[154:155], v[148:149]
	v_fma_f64 v[162:163], v[154:155], v[146:147], -v[162:163]
	v_fma_f64 v[148:149], v[156:157], v[146:147], v[148:149]
	ds_read2_b64 v[154:157], v1 offset0:4 offset1:5
	s_waitcnt lgkmcnt(0)
	v_mul_f64 v[146:147], v[156:157], v[148:149]
	v_fma_f64 v[146:147], v[154:155], v[162:163], -v[146:147]
	v_mul_f64 v[154:155], v[154:155], v[148:149]
	v_add_f64 v[142:143], v[142:143], -v[146:147]
	v_fma_f64 v[154:155], v[156:157], v[162:163], v[154:155]
	v_add_f64 v[144:145], v[144:145], -v[154:155]
	ds_read2_b64 v[154:157], v1 offset0:6 offset1:7
	s_waitcnt lgkmcnt(0)
	v_mul_f64 v[146:147], v[156:157], v[148:149]
	v_fma_f64 v[146:147], v[154:155], v[162:163], -v[146:147]
	v_mul_f64 v[154:155], v[154:155], v[148:149]
	v_add_f64 v[130:131], v[130:131], -v[146:147]
	v_fma_f64 v[154:155], v[156:157], v[162:163], v[154:155]
	v_add_f64 v[132:133], v[132:133], -v[154:155]
	;; [unrolled: 8-line block ×35, first 2 shown]
	ds_read2_b64 v[154:157], v1 offset0:74 offset1:75
	s_waitcnt lgkmcnt(0)
	v_mul_f64 v[146:147], v[156:157], v[148:149]
	v_fma_f64 v[146:147], v[154:155], v[162:163], -v[146:147]
	v_mul_f64 v[154:155], v[154:155], v[148:149]
	v_add_f64 v[2:3], v[2:3], -v[146:147]
	v_fma_f64 v[154:155], v[156:157], v[162:163], v[154:155]
	v_mov_b32_e32 v146, v162
	v_mov_b32_e32 v147, v163
	v_add_f64 v[4:5], v[4:5], -v[154:155]
.LBB74_41:
	s_or_b32 exec_lo, exec_lo, s0
	v_lshl_add_u32 v154, v168, 4, v1
	s_barrier
	buffer_gl0_inv
	v_mov_b32_e32 v162, 2
	ds_write2_b64 v154, v[142:143], v[144:145] offset1:1
	s_waitcnt lgkmcnt(0)
	s_barrier
	buffer_gl0_inv
	ds_read2_b64 v[154:157], v1 offset0:4 offset1:5
	s_cmp_lt_i32 s1, 4
	s_cbranch_scc1 .LBB74_44
; %bb.42:
	v_add3_u32 v163, v164, 0, 48
	v_mov_b32_e32 v162, 2
	s_mov_b32 s3, 3
	s_inst_prefetch 0x1
	.p2align	6
.LBB74_43:                              ; =>This Inner Loop Header: Depth=1
	s_waitcnt lgkmcnt(0)
	v_cmp_gt_f64_e32 vcc_lo, 0, v[156:157]
	v_cmp_gt_f64_e64 s0, 0, v[154:155]
	ds_read2_b64 v[169:172], v163 offset1:1
	v_xor_b32_e32 v174, 0x80000000, v155
	v_xor_b32_e32 v176, 0x80000000, v157
	v_mov_b32_e32 v173, v154
	v_mov_b32_e32 v175, v156
	v_add_nc_u32_e32 v163, 16, v163
	s_waitcnt lgkmcnt(0)
	v_xor_b32_e32 v178, 0x80000000, v172
	v_cndmask_b32_e64 v174, v155, v174, s0
	v_cndmask_b32_e32 v176, v157, v176, vcc_lo
	v_cmp_gt_f64_e32 vcc_lo, 0, v[171:172]
	v_cmp_gt_f64_e64 s0, 0, v[169:170]
	v_mov_b32_e32 v177, v171
	v_add_f64 v[173:174], v[173:174], v[175:176]
	v_xor_b32_e32 v176, 0x80000000, v170
	v_mov_b32_e32 v175, v169
	v_cndmask_b32_e32 v178, v172, v178, vcc_lo
	v_cndmask_b32_e64 v176, v170, v176, s0
	v_add_f64 v[175:176], v[175:176], v[177:178]
	v_cmp_lt_f64_e32 vcc_lo, v[173:174], v[175:176]
	v_cndmask_b32_e32 v155, v155, v170, vcc_lo
	v_cndmask_b32_e32 v154, v154, v169, vcc_lo
	;; [unrolled: 1-line block ×4, first 2 shown]
	v_cndmask_b32_e64 v162, v162, s3, vcc_lo
	s_add_i32 s3, s3, 1
	s_cmp_lg_u32 s1, s3
	s_cbranch_scc1 .LBB74_43
.LBB74_44:
	s_inst_prefetch 0x2
	s_waitcnt lgkmcnt(0)
	v_cmp_eq_f64_e32 vcc_lo, 0, v[154:155]
	v_cmp_eq_f64_e64 s0, 0, v[156:157]
	s_and_b32 s0, vcc_lo, s0
	s_and_saveexec_b32 s3, s0
	s_xor_b32 s0, exec_lo, s3
; %bb.45:
	v_cmp_ne_u32_e32 vcc_lo, 0, v167
	v_cndmask_b32_e32 v167, 3, v167, vcc_lo
; %bb.46:
	s_andn2_saveexec_b32 s0, s0
	s_cbranch_execz .LBB74_52
; %bb.47:
	v_cmp_ngt_f64_e64 s3, |v[154:155]|, |v[156:157]|
	s_and_saveexec_b32 s8, s3
	s_xor_b32 s3, exec_lo, s8
	s_cbranch_execz .LBB74_49
; %bb.48:
	v_div_scale_f64 v[169:170], null, v[156:157], v[156:157], v[154:155]
	v_div_scale_f64 v[175:176], vcc_lo, v[154:155], v[156:157], v[154:155]
	v_rcp_f64_e32 v[171:172], v[169:170]
	v_fma_f64 v[173:174], -v[169:170], v[171:172], 1.0
	v_fma_f64 v[171:172], v[171:172], v[173:174], v[171:172]
	v_fma_f64 v[173:174], -v[169:170], v[171:172], 1.0
	v_fma_f64 v[171:172], v[171:172], v[173:174], v[171:172]
	v_mul_f64 v[173:174], v[175:176], v[171:172]
	v_fma_f64 v[169:170], -v[169:170], v[173:174], v[175:176]
	v_div_fmas_f64 v[169:170], v[169:170], v[171:172], v[173:174]
	v_div_fixup_f64 v[169:170], v[169:170], v[156:157], v[154:155]
	v_fma_f64 v[154:155], v[154:155], v[169:170], v[156:157]
	v_div_scale_f64 v[156:157], null, v[154:155], v[154:155], 1.0
	v_rcp_f64_e32 v[171:172], v[156:157]
	v_fma_f64 v[173:174], -v[156:157], v[171:172], 1.0
	v_fma_f64 v[171:172], v[171:172], v[173:174], v[171:172]
	v_fma_f64 v[173:174], -v[156:157], v[171:172], 1.0
	v_fma_f64 v[171:172], v[171:172], v[173:174], v[171:172]
	v_div_scale_f64 v[173:174], vcc_lo, 1.0, v[154:155], 1.0
	v_mul_f64 v[175:176], v[173:174], v[171:172]
	v_fma_f64 v[156:157], -v[156:157], v[175:176], v[173:174]
	v_div_fmas_f64 v[156:157], v[156:157], v[171:172], v[175:176]
	v_div_fixup_f64 v[156:157], v[156:157], v[154:155], 1.0
	v_mul_f64 v[154:155], v[169:170], v[156:157]
	v_xor_b32_e32 v157, 0x80000000, v157
.LBB74_49:
	s_andn2_saveexec_b32 s3, s3
	s_cbranch_execz .LBB74_51
; %bb.50:
	v_div_scale_f64 v[169:170], null, v[154:155], v[154:155], v[156:157]
	v_div_scale_f64 v[175:176], vcc_lo, v[156:157], v[154:155], v[156:157]
	v_rcp_f64_e32 v[171:172], v[169:170]
	v_fma_f64 v[173:174], -v[169:170], v[171:172], 1.0
	v_fma_f64 v[171:172], v[171:172], v[173:174], v[171:172]
	v_fma_f64 v[173:174], -v[169:170], v[171:172], 1.0
	v_fma_f64 v[171:172], v[171:172], v[173:174], v[171:172]
	v_mul_f64 v[173:174], v[175:176], v[171:172]
	v_fma_f64 v[169:170], -v[169:170], v[173:174], v[175:176]
	v_div_fmas_f64 v[169:170], v[169:170], v[171:172], v[173:174]
	v_div_fixup_f64 v[169:170], v[169:170], v[154:155], v[156:157]
	v_fma_f64 v[154:155], v[156:157], v[169:170], v[154:155]
	v_div_scale_f64 v[156:157], null, v[154:155], v[154:155], 1.0
	v_rcp_f64_e32 v[171:172], v[156:157]
	v_fma_f64 v[173:174], -v[156:157], v[171:172], 1.0
	v_fma_f64 v[171:172], v[171:172], v[173:174], v[171:172]
	v_fma_f64 v[173:174], -v[156:157], v[171:172], 1.0
	v_fma_f64 v[171:172], v[171:172], v[173:174], v[171:172]
	v_div_scale_f64 v[173:174], vcc_lo, 1.0, v[154:155], 1.0
	v_mul_f64 v[175:176], v[173:174], v[171:172]
	v_fma_f64 v[156:157], -v[156:157], v[175:176], v[173:174]
	v_div_fmas_f64 v[156:157], v[156:157], v[171:172], v[175:176]
	v_div_fixup_f64 v[154:155], v[156:157], v[154:155], 1.0
	v_mul_f64 v[156:157], v[169:170], -v[154:155]
.LBB74_51:
	s_or_b32 exec_lo, exec_lo, s3
.LBB74_52:
	s_or_b32 exec_lo, exec_lo, s0
	s_mov_b32 s0, exec_lo
	v_cmpx_ne_u32_e64 v168, v162
	s_xor_b32 s0, exec_lo, s0
	s_cbranch_execz .LBB74_58
; %bb.53:
	s_mov_b32 s3, exec_lo
	v_cmpx_eq_u32_e32 2, v168
	s_cbranch_execz .LBB74_57
; %bb.54:
	v_cmp_ne_u32_e32 vcc_lo, 2, v162
	s_xor_b32 s8, s16, -1
	s_and_b32 s9, s8, vcc_lo
	s_and_saveexec_b32 s8, s9
	s_cbranch_execz .LBB74_56
; %bb.55:
	v_ashrrev_i32_e32 v163, 31, v162
	v_lshlrev_b64 v[168:169], 2, v[162:163]
	v_add_co_u32 v168, vcc_lo, v160, v168
	v_add_co_ci_u32_e64 v169, null, v161, v169, vcc_lo
	s_clause 0x1
	global_load_dword v0, v[168:169], off
	global_load_dword v163, v[160:161], off offset:8
	s_waitcnt vmcnt(1)
	global_store_dword v[160:161], v0, off offset:8
	s_waitcnt vmcnt(0)
	global_store_dword v[168:169], v163, off
.LBB74_56:
	s_or_b32 exec_lo, exec_lo, s8
	v_mov_b32_e32 v168, v162
	v_mov_b32_e32 v0, v162
.LBB74_57:
	s_or_b32 exec_lo, exec_lo, s3
.LBB74_58:
	s_andn2_saveexec_b32 s0, s0
	s_cbranch_execz .LBB74_60
; %bb.59:
	v_mov_b32_e32 v168, 2
	ds_write2_b64 v1, v[130:131], v[132:133] offset0:6 offset1:7
	ds_write2_b64 v1, v[138:139], v[140:141] offset0:8 offset1:9
	;; [unrolled: 1-line block ×35, first 2 shown]
.LBB74_60:
	s_or_b32 exec_lo, exec_lo, s0
	s_mov_b32 s0, exec_lo
	s_waitcnt lgkmcnt(0)
	s_waitcnt_vscnt null, 0x0
	s_barrier
	buffer_gl0_inv
	v_cmpx_lt_i32_e32 2, v168
	s_cbranch_execz .LBB74_62
; %bb.61:
	v_mul_f64 v[162:163], v[156:157], v[144:145]
	v_mul_f64 v[144:145], v[154:155], v[144:145]
	v_fma_f64 v[162:163], v[154:155], v[142:143], -v[162:163]
	v_fma_f64 v[144:145], v[156:157], v[142:143], v[144:145]
	ds_read2_b64 v[154:157], v1 offset0:6 offset1:7
	s_waitcnt lgkmcnt(0)
	v_mul_f64 v[142:143], v[156:157], v[144:145]
	v_fma_f64 v[142:143], v[154:155], v[162:163], -v[142:143]
	v_mul_f64 v[154:155], v[154:155], v[144:145]
	v_add_f64 v[130:131], v[130:131], -v[142:143]
	v_fma_f64 v[154:155], v[156:157], v[162:163], v[154:155]
	v_add_f64 v[132:133], v[132:133], -v[154:155]
	ds_read2_b64 v[154:157], v1 offset0:8 offset1:9
	s_waitcnt lgkmcnt(0)
	v_mul_f64 v[142:143], v[156:157], v[144:145]
	v_fma_f64 v[142:143], v[154:155], v[162:163], -v[142:143]
	v_mul_f64 v[154:155], v[154:155], v[144:145]
	v_add_f64 v[138:139], v[138:139], -v[142:143]
	v_fma_f64 v[154:155], v[156:157], v[162:163], v[154:155]
	v_add_f64 v[140:141], v[140:141], -v[154:155]
	;; [unrolled: 8-line block ×34, first 2 shown]
	ds_read2_b64 v[154:157], v1 offset0:74 offset1:75
	s_waitcnt lgkmcnt(0)
	v_mul_f64 v[142:143], v[156:157], v[144:145]
	v_fma_f64 v[142:143], v[154:155], v[162:163], -v[142:143]
	v_mul_f64 v[154:155], v[154:155], v[144:145]
	v_add_f64 v[2:3], v[2:3], -v[142:143]
	v_fma_f64 v[154:155], v[156:157], v[162:163], v[154:155]
	v_mov_b32_e32 v142, v162
	v_mov_b32_e32 v143, v163
	v_add_f64 v[4:5], v[4:5], -v[154:155]
.LBB74_62:
	s_or_b32 exec_lo, exec_lo, s0
	v_lshl_add_u32 v154, v168, 4, v1
	s_barrier
	buffer_gl0_inv
	v_mov_b32_e32 v162, 3
	ds_write2_b64 v154, v[130:131], v[132:133] offset1:1
	s_waitcnt lgkmcnt(0)
	s_barrier
	buffer_gl0_inv
	ds_read2_b64 v[154:157], v1 offset0:6 offset1:7
	s_cmp_lt_i32 s1, 5
	s_mov_b32 s3, 4
	s_cbranch_scc1 .LBB74_65
; %bb.63:
	v_add3_u32 v163, v164, 0, 64
	v_mov_b32_e32 v162, 3
	s_inst_prefetch 0x1
	.p2align	6
.LBB74_64:                              ; =>This Inner Loop Header: Depth=1
	s_waitcnt lgkmcnt(0)
	v_cmp_gt_f64_e32 vcc_lo, 0, v[156:157]
	v_cmp_gt_f64_e64 s0, 0, v[154:155]
	ds_read2_b64 v[169:172], v163 offset1:1
	v_xor_b32_e32 v174, 0x80000000, v155
	v_xor_b32_e32 v176, 0x80000000, v157
	v_mov_b32_e32 v173, v154
	v_mov_b32_e32 v175, v156
	v_add_nc_u32_e32 v163, 16, v163
	s_waitcnt lgkmcnt(0)
	v_xor_b32_e32 v178, 0x80000000, v172
	v_cndmask_b32_e64 v174, v155, v174, s0
	v_cndmask_b32_e32 v176, v157, v176, vcc_lo
	v_cmp_gt_f64_e32 vcc_lo, 0, v[171:172]
	v_cmp_gt_f64_e64 s0, 0, v[169:170]
	v_mov_b32_e32 v177, v171
	v_add_f64 v[173:174], v[173:174], v[175:176]
	v_xor_b32_e32 v176, 0x80000000, v170
	v_mov_b32_e32 v175, v169
	v_cndmask_b32_e32 v178, v172, v178, vcc_lo
	v_cndmask_b32_e64 v176, v170, v176, s0
	v_add_f64 v[175:176], v[175:176], v[177:178]
	v_cmp_lt_f64_e32 vcc_lo, v[173:174], v[175:176]
	v_cndmask_b32_e32 v155, v155, v170, vcc_lo
	v_cndmask_b32_e32 v154, v154, v169, vcc_lo
	;; [unrolled: 1-line block ×4, first 2 shown]
	v_cndmask_b32_e64 v162, v162, s3, vcc_lo
	s_add_i32 s3, s3, 1
	s_cmp_lg_u32 s1, s3
	s_cbranch_scc1 .LBB74_64
.LBB74_65:
	s_inst_prefetch 0x2
	s_waitcnt lgkmcnt(0)
	v_cmp_eq_f64_e32 vcc_lo, 0, v[154:155]
	v_cmp_eq_f64_e64 s0, 0, v[156:157]
	s_and_b32 s0, vcc_lo, s0
	s_and_saveexec_b32 s3, s0
	s_xor_b32 s0, exec_lo, s3
; %bb.66:
	v_cmp_ne_u32_e32 vcc_lo, 0, v167
	v_cndmask_b32_e32 v167, 4, v167, vcc_lo
; %bb.67:
	s_andn2_saveexec_b32 s0, s0
	s_cbranch_execz .LBB74_73
; %bb.68:
	v_cmp_ngt_f64_e64 s3, |v[154:155]|, |v[156:157]|
	s_and_saveexec_b32 s8, s3
	s_xor_b32 s3, exec_lo, s8
	s_cbranch_execz .LBB74_70
; %bb.69:
	v_div_scale_f64 v[169:170], null, v[156:157], v[156:157], v[154:155]
	v_div_scale_f64 v[175:176], vcc_lo, v[154:155], v[156:157], v[154:155]
	v_rcp_f64_e32 v[171:172], v[169:170]
	v_fma_f64 v[173:174], -v[169:170], v[171:172], 1.0
	v_fma_f64 v[171:172], v[171:172], v[173:174], v[171:172]
	v_fma_f64 v[173:174], -v[169:170], v[171:172], 1.0
	v_fma_f64 v[171:172], v[171:172], v[173:174], v[171:172]
	v_mul_f64 v[173:174], v[175:176], v[171:172]
	v_fma_f64 v[169:170], -v[169:170], v[173:174], v[175:176]
	v_div_fmas_f64 v[169:170], v[169:170], v[171:172], v[173:174]
	v_div_fixup_f64 v[169:170], v[169:170], v[156:157], v[154:155]
	v_fma_f64 v[154:155], v[154:155], v[169:170], v[156:157]
	v_div_scale_f64 v[156:157], null, v[154:155], v[154:155], 1.0
	v_rcp_f64_e32 v[171:172], v[156:157]
	v_fma_f64 v[173:174], -v[156:157], v[171:172], 1.0
	v_fma_f64 v[171:172], v[171:172], v[173:174], v[171:172]
	v_fma_f64 v[173:174], -v[156:157], v[171:172], 1.0
	v_fma_f64 v[171:172], v[171:172], v[173:174], v[171:172]
	v_div_scale_f64 v[173:174], vcc_lo, 1.0, v[154:155], 1.0
	v_mul_f64 v[175:176], v[173:174], v[171:172]
	v_fma_f64 v[156:157], -v[156:157], v[175:176], v[173:174]
	v_div_fmas_f64 v[156:157], v[156:157], v[171:172], v[175:176]
	v_div_fixup_f64 v[156:157], v[156:157], v[154:155], 1.0
	v_mul_f64 v[154:155], v[169:170], v[156:157]
	v_xor_b32_e32 v157, 0x80000000, v157
.LBB74_70:
	s_andn2_saveexec_b32 s3, s3
	s_cbranch_execz .LBB74_72
; %bb.71:
	v_div_scale_f64 v[169:170], null, v[154:155], v[154:155], v[156:157]
	v_div_scale_f64 v[175:176], vcc_lo, v[156:157], v[154:155], v[156:157]
	v_rcp_f64_e32 v[171:172], v[169:170]
	v_fma_f64 v[173:174], -v[169:170], v[171:172], 1.0
	v_fma_f64 v[171:172], v[171:172], v[173:174], v[171:172]
	v_fma_f64 v[173:174], -v[169:170], v[171:172], 1.0
	v_fma_f64 v[171:172], v[171:172], v[173:174], v[171:172]
	v_mul_f64 v[173:174], v[175:176], v[171:172]
	v_fma_f64 v[169:170], -v[169:170], v[173:174], v[175:176]
	v_div_fmas_f64 v[169:170], v[169:170], v[171:172], v[173:174]
	v_div_fixup_f64 v[169:170], v[169:170], v[154:155], v[156:157]
	v_fma_f64 v[154:155], v[156:157], v[169:170], v[154:155]
	v_div_scale_f64 v[156:157], null, v[154:155], v[154:155], 1.0
	v_rcp_f64_e32 v[171:172], v[156:157]
	v_fma_f64 v[173:174], -v[156:157], v[171:172], 1.0
	v_fma_f64 v[171:172], v[171:172], v[173:174], v[171:172]
	v_fma_f64 v[173:174], -v[156:157], v[171:172], 1.0
	v_fma_f64 v[171:172], v[171:172], v[173:174], v[171:172]
	v_div_scale_f64 v[173:174], vcc_lo, 1.0, v[154:155], 1.0
	v_mul_f64 v[175:176], v[173:174], v[171:172]
	v_fma_f64 v[156:157], -v[156:157], v[175:176], v[173:174]
	v_div_fmas_f64 v[156:157], v[156:157], v[171:172], v[175:176]
	v_div_fixup_f64 v[154:155], v[156:157], v[154:155], 1.0
	v_mul_f64 v[156:157], v[169:170], -v[154:155]
.LBB74_72:
	s_or_b32 exec_lo, exec_lo, s3
.LBB74_73:
	s_or_b32 exec_lo, exec_lo, s0
	s_mov_b32 s0, exec_lo
	v_cmpx_ne_u32_e64 v168, v162
	s_xor_b32 s0, exec_lo, s0
	s_cbranch_execz .LBB74_79
; %bb.74:
	s_mov_b32 s3, exec_lo
	v_cmpx_eq_u32_e32 3, v168
	s_cbranch_execz .LBB74_78
; %bb.75:
	v_cmp_ne_u32_e32 vcc_lo, 3, v162
	s_xor_b32 s8, s16, -1
	s_and_b32 s9, s8, vcc_lo
	s_and_saveexec_b32 s8, s9
	s_cbranch_execz .LBB74_77
; %bb.76:
	v_ashrrev_i32_e32 v163, 31, v162
	v_lshlrev_b64 v[168:169], 2, v[162:163]
	v_add_co_u32 v168, vcc_lo, v160, v168
	v_add_co_ci_u32_e64 v169, null, v161, v169, vcc_lo
	s_clause 0x1
	global_load_dword v0, v[168:169], off
	global_load_dword v163, v[160:161], off offset:12
	s_waitcnt vmcnt(1)
	global_store_dword v[160:161], v0, off offset:12
	s_waitcnt vmcnt(0)
	global_store_dword v[168:169], v163, off
.LBB74_77:
	s_or_b32 exec_lo, exec_lo, s8
	v_mov_b32_e32 v168, v162
	v_mov_b32_e32 v0, v162
.LBB74_78:
	s_or_b32 exec_lo, exec_lo, s3
.LBB74_79:
	s_andn2_saveexec_b32 s0, s0
	s_cbranch_execz .LBB74_81
; %bb.80:
	v_mov_b32_e32 v168, 3
	ds_write2_b64 v1, v[138:139], v[140:141] offset0:8 offset1:9
	ds_write2_b64 v1, v[134:135], v[136:137] offset0:10 offset1:11
	;; [unrolled: 1-line block ×34, first 2 shown]
.LBB74_81:
	s_or_b32 exec_lo, exec_lo, s0
	s_mov_b32 s0, exec_lo
	s_waitcnt lgkmcnt(0)
	s_waitcnt_vscnt null, 0x0
	s_barrier
	buffer_gl0_inv
	v_cmpx_lt_i32_e32 3, v168
	s_cbranch_execz .LBB74_83
; %bb.82:
	v_mul_f64 v[162:163], v[156:157], v[132:133]
	v_mul_f64 v[132:133], v[154:155], v[132:133]
	v_fma_f64 v[162:163], v[154:155], v[130:131], -v[162:163]
	v_fma_f64 v[132:133], v[156:157], v[130:131], v[132:133]
	ds_read2_b64 v[154:157], v1 offset0:8 offset1:9
	s_waitcnt lgkmcnt(0)
	v_mul_f64 v[130:131], v[156:157], v[132:133]
	v_fma_f64 v[130:131], v[154:155], v[162:163], -v[130:131]
	v_mul_f64 v[154:155], v[154:155], v[132:133]
	v_add_f64 v[138:139], v[138:139], -v[130:131]
	v_fma_f64 v[154:155], v[156:157], v[162:163], v[154:155]
	v_add_f64 v[140:141], v[140:141], -v[154:155]
	ds_read2_b64 v[154:157], v1 offset0:10 offset1:11
	s_waitcnt lgkmcnt(0)
	v_mul_f64 v[130:131], v[156:157], v[132:133]
	v_fma_f64 v[130:131], v[154:155], v[162:163], -v[130:131]
	v_mul_f64 v[154:155], v[154:155], v[132:133]
	v_add_f64 v[134:135], v[134:135], -v[130:131]
	v_fma_f64 v[154:155], v[156:157], v[162:163], v[154:155]
	v_add_f64 v[136:137], v[136:137], -v[154:155]
	;; [unrolled: 8-line block ×33, first 2 shown]
	ds_read2_b64 v[154:157], v1 offset0:74 offset1:75
	s_waitcnt lgkmcnt(0)
	v_mul_f64 v[130:131], v[156:157], v[132:133]
	v_fma_f64 v[130:131], v[154:155], v[162:163], -v[130:131]
	v_mul_f64 v[154:155], v[154:155], v[132:133]
	v_add_f64 v[2:3], v[2:3], -v[130:131]
	v_fma_f64 v[154:155], v[156:157], v[162:163], v[154:155]
	v_mov_b32_e32 v130, v162
	v_mov_b32_e32 v131, v163
	v_add_f64 v[4:5], v[4:5], -v[154:155]
.LBB74_83:
	s_or_b32 exec_lo, exec_lo, s0
	v_lshl_add_u32 v154, v168, 4, v1
	s_barrier
	buffer_gl0_inv
	v_mov_b32_e32 v162, 4
	ds_write2_b64 v154, v[138:139], v[140:141] offset1:1
	s_waitcnt lgkmcnt(0)
	s_barrier
	buffer_gl0_inv
	ds_read2_b64 v[154:157], v1 offset0:8 offset1:9
	s_cmp_lt_i32 s1, 6
	s_cbranch_scc1 .LBB74_86
; %bb.84:
	v_mov_b32_e32 v162, 4
	v_add3_u32 v163, v164, 0, 0x50
	s_mov_b32 s3, 5
	s_inst_prefetch 0x1
	.p2align	6
.LBB74_85:                              ; =>This Inner Loop Header: Depth=1
	s_waitcnt lgkmcnt(0)
	v_cmp_gt_f64_e32 vcc_lo, 0, v[156:157]
	v_cmp_gt_f64_e64 s0, 0, v[154:155]
	ds_read2_b64 v[169:172], v163 offset1:1
	v_xor_b32_e32 v174, 0x80000000, v155
	v_xor_b32_e32 v176, 0x80000000, v157
	v_mov_b32_e32 v173, v154
	v_mov_b32_e32 v175, v156
	v_add_nc_u32_e32 v163, 16, v163
	s_waitcnt lgkmcnt(0)
	v_xor_b32_e32 v178, 0x80000000, v172
	v_cndmask_b32_e64 v174, v155, v174, s0
	v_cndmask_b32_e32 v176, v157, v176, vcc_lo
	v_cmp_gt_f64_e32 vcc_lo, 0, v[171:172]
	v_cmp_gt_f64_e64 s0, 0, v[169:170]
	v_mov_b32_e32 v177, v171
	v_add_f64 v[173:174], v[173:174], v[175:176]
	v_xor_b32_e32 v176, 0x80000000, v170
	v_mov_b32_e32 v175, v169
	v_cndmask_b32_e32 v178, v172, v178, vcc_lo
	v_cndmask_b32_e64 v176, v170, v176, s0
	v_add_f64 v[175:176], v[175:176], v[177:178]
	v_cmp_lt_f64_e32 vcc_lo, v[173:174], v[175:176]
	v_cndmask_b32_e32 v155, v155, v170, vcc_lo
	v_cndmask_b32_e32 v154, v154, v169, vcc_lo
	;; [unrolled: 1-line block ×4, first 2 shown]
	v_cndmask_b32_e64 v162, v162, s3, vcc_lo
	s_add_i32 s3, s3, 1
	s_cmp_lg_u32 s1, s3
	s_cbranch_scc1 .LBB74_85
.LBB74_86:
	s_inst_prefetch 0x2
	s_waitcnt lgkmcnt(0)
	v_cmp_eq_f64_e32 vcc_lo, 0, v[154:155]
	v_cmp_eq_f64_e64 s0, 0, v[156:157]
	s_and_b32 s0, vcc_lo, s0
	s_and_saveexec_b32 s3, s0
	s_xor_b32 s0, exec_lo, s3
; %bb.87:
	v_cmp_ne_u32_e32 vcc_lo, 0, v167
	v_cndmask_b32_e32 v167, 5, v167, vcc_lo
; %bb.88:
	s_andn2_saveexec_b32 s0, s0
	s_cbranch_execz .LBB74_94
; %bb.89:
	v_cmp_ngt_f64_e64 s3, |v[154:155]|, |v[156:157]|
	s_and_saveexec_b32 s8, s3
	s_xor_b32 s3, exec_lo, s8
	s_cbranch_execz .LBB74_91
; %bb.90:
	v_div_scale_f64 v[169:170], null, v[156:157], v[156:157], v[154:155]
	v_div_scale_f64 v[175:176], vcc_lo, v[154:155], v[156:157], v[154:155]
	v_rcp_f64_e32 v[171:172], v[169:170]
	v_fma_f64 v[173:174], -v[169:170], v[171:172], 1.0
	v_fma_f64 v[171:172], v[171:172], v[173:174], v[171:172]
	v_fma_f64 v[173:174], -v[169:170], v[171:172], 1.0
	v_fma_f64 v[171:172], v[171:172], v[173:174], v[171:172]
	v_mul_f64 v[173:174], v[175:176], v[171:172]
	v_fma_f64 v[169:170], -v[169:170], v[173:174], v[175:176]
	v_div_fmas_f64 v[169:170], v[169:170], v[171:172], v[173:174]
	v_div_fixup_f64 v[169:170], v[169:170], v[156:157], v[154:155]
	v_fma_f64 v[154:155], v[154:155], v[169:170], v[156:157]
	v_div_scale_f64 v[156:157], null, v[154:155], v[154:155], 1.0
	v_rcp_f64_e32 v[171:172], v[156:157]
	v_fma_f64 v[173:174], -v[156:157], v[171:172], 1.0
	v_fma_f64 v[171:172], v[171:172], v[173:174], v[171:172]
	v_fma_f64 v[173:174], -v[156:157], v[171:172], 1.0
	v_fma_f64 v[171:172], v[171:172], v[173:174], v[171:172]
	v_div_scale_f64 v[173:174], vcc_lo, 1.0, v[154:155], 1.0
	v_mul_f64 v[175:176], v[173:174], v[171:172]
	v_fma_f64 v[156:157], -v[156:157], v[175:176], v[173:174]
	v_div_fmas_f64 v[156:157], v[156:157], v[171:172], v[175:176]
	v_div_fixup_f64 v[156:157], v[156:157], v[154:155], 1.0
	v_mul_f64 v[154:155], v[169:170], v[156:157]
	v_xor_b32_e32 v157, 0x80000000, v157
.LBB74_91:
	s_andn2_saveexec_b32 s3, s3
	s_cbranch_execz .LBB74_93
; %bb.92:
	v_div_scale_f64 v[169:170], null, v[154:155], v[154:155], v[156:157]
	v_div_scale_f64 v[175:176], vcc_lo, v[156:157], v[154:155], v[156:157]
	v_rcp_f64_e32 v[171:172], v[169:170]
	v_fma_f64 v[173:174], -v[169:170], v[171:172], 1.0
	v_fma_f64 v[171:172], v[171:172], v[173:174], v[171:172]
	v_fma_f64 v[173:174], -v[169:170], v[171:172], 1.0
	v_fma_f64 v[171:172], v[171:172], v[173:174], v[171:172]
	v_mul_f64 v[173:174], v[175:176], v[171:172]
	v_fma_f64 v[169:170], -v[169:170], v[173:174], v[175:176]
	v_div_fmas_f64 v[169:170], v[169:170], v[171:172], v[173:174]
	v_div_fixup_f64 v[169:170], v[169:170], v[154:155], v[156:157]
	v_fma_f64 v[154:155], v[156:157], v[169:170], v[154:155]
	v_div_scale_f64 v[156:157], null, v[154:155], v[154:155], 1.0
	v_rcp_f64_e32 v[171:172], v[156:157]
	v_fma_f64 v[173:174], -v[156:157], v[171:172], 1.0
	v_fma_f64 v[171:172], v[171:172], v[173:174], v[171:172]
	v_fma_f64 v[173:174], -v[156:157], v[171:172], 1.0
	v_fma_f64 v[171:172], v[171:172], v[173:174], v[171:172]
	v_div_scale_f64 v[173:174], vcc_lo, 1.0, v[154:155], 1.0
	v_mul_f64 v[175:176], v[173:174], v[171:172]
	v_fma_f64 v[156:157], -v[156:157], v[175:176], v[173:174]
	v_div_fmas_f64 v[156:157], v[156:157], v[171:172], v[175:176]
	v_div_fixup_f64 v[154:155], v[156:157], v[154:155], 1.0
	v_mul_f64 v[156:157], v[169:170], -v[154:155]
.LBB74_93:
	s_or_b32 exec_lo, exec_lo, s3
.LBB74_94:
	s_or_b32 exec_lo, exec_lo, s0
	s_mov_b32 s0, exec_lo
	v_cmpx_ne_u32_e64 v168, v162
	s_xor_b32 s0, exec_lo, s0
	s_cbranch_execz .LBB74_100
; %bb.95:
	s_mov_b32 s3, exec_lo
	v_cmpx_eq_u32_e32 4, v168
	s_cbranch_execz .LBB74_99
; %bb.96:
	v_cmp_ne_u32_e32 vcc_lo, 4, v162
	s_xor_b32 s8, s16, -1
	s_and_b32 s9, s8, vcc_lo
	s_and_saveexec_b32 s8, s9
	s_cbranch_execz .LBB74_98
; %bb.97:
	v_ashrrev_i32_e32 v163, 31, v162
	v_lshlrev_b64 v[168:169], 2, v[162:163]
	v_add_co_u32 v168, vcc_lo, v160, v168
	v_add_co_ci_u32_e64 v169, null, v161, v169, vcc_lo
	s_clause 0x1
	global_load_dword v0, v[168:169], off
	global_load_dword v163, v[160:161], off offset:16
	s_waitcnt vmcnt(1)
	global_store_dword v[160:161], v0, off offset:16
	s_waitcnt vmcnt(0)
	global_store_dword v[168:169], v163, off
.LBB74_98:
	s_or_b32 exec_lo, exec_lo, s8
	v_mov_b32_e32 v168, v162
	v_mov_b32_e32 v0, v162
.LBB74_99:
	s_or_b32 exec_lo, exec_lo, s3
.LBB74_100:
	s_andn2_saveexec_b32 s0, s0
	s_cbranch_execz .LBB74_102
; %bb.101:
	v_mov_b32_e32 v168, 4
	ds_write2_b64 v1, v[134:135], v[136:137] offset0:10 offset1:11
	ds_write2_b64 v1, v[126:127], v[128:129] offset0:12 offset1:13
	;; [unrolled: 1-line block ×33, first 2 shown]
.LBB74_102:
	s_or_b32 exec_lo, exec_lo, s0
	s_mov_b32 s0, exec_lo
	s_waitcnt lgkmcnt(0)
	s_waitcnt_vscnt null, 0x0
	s_barrier
	buffer_gl0_inv
	v_cmpx_lt_i32_e32 4, v168
	s_cbranch_execz .LBB74_104
; %bb.103:
	v_mul_f64 v[162:163], v[156:157], v[140:141]
	v_mul_f64 v[140:141], v[154:155], v[140:141]
	v_fma_f64 v[162:163], v[154:155], v[138:139], -v[162:163]
	v_fma_f64 v[140:141], v[156:157], v[138:139], v[140:141]
	ds_read2_b64 v[154:157], v1 offset0:10 offset1:11
	s_waitcnt lgkmcnt(0)
	v_mul_f64 v[138:139], v[156:157], v[140:141]
	v_fma_f64 v[138:139], v[154:155], v[162:163], -v[138:139]
	v_mul_f64 v[154:155], v[154:155], v[140:141]
	v_add_f64 v[134:135], v[134:135], -v[138:139]
	v_fma_f64 v[154:155], v[156:157], v[162:163], v[154:155]
	v_add_f64 v[136:137], v[136:137], -v[154:155]
	ds_read2_b64 v[154:157], v1 offset0:12 offset1:13
	s_waitcnt lgkmcnt(0)
	v_mul_f64 v[138:139], v[156:157], v[140:141]
	v_fma_f64 v[138:139], v[154:155], v[162:163], -v[138:139]
	v_mul_f64 v[154:155], v[154:155], v[140:141]
	v_add_f64 v[126:127], v[126:127], -v[138:139]
	v_fma_f64 v[154:155], v[156:157], v[162:163], v[154:155]
	v_add_f64 v[128:129], v[128:129], -v[154:155]
	;; [unrolled: 8-line block ×32, first 2 shown]
	ds_read2_b64 v[154:157], v1 offset0:74 offset1:75
	s_waitcnt lgkmcnt(0)
	v_mul_f64 v[138:139], v[156:157], v[140:141]
	v_fma_f64 v[138:139], v[154:155], v[162:163], -v[138:139]
	v_mul_f64 v[154:155], v[154:155], v[140:141]
	v_add_f64 v[2:3], v[2:3], -v[138:139]
	v_fma_f64 v[154:155], v[156:157], v[162:163], v[154:155]
	v_mov_b32_e32 v138, v162
	v_mov_b32_e32 v139, v163
	v_add_f64 v[4:5], v[4:5], -v[154:155]
.LBB74_104:
	s_or_b32 exec_lo, exec_lo, s0
	v_lshl_add_u32 v154, v168, 4, v1
	s_barrier
	buffer_gl0_inv
	v_mov_b32_e32 v162, 5
	ds_write2_b64 v154, v[134:135], v[136:137] offset1:1
	s_waitcnt lgkmcnt(0)
	s_barrier
	buffer_gl0_inv
	ds_read2_b64 v[154:157], v1 offset0:10 offset1:11
	s_cmp_lt_i32 s1, 7
	s_cbranch_scc1 .LBB74_107
; %bb.105:
	v_add3_u32 v163, v164, 0, 0x60
	v_mov_b32_e32 v162, 5
	s_mov_b32 s3, 6
	s_inst_prefetch 0x1
	.p2align	6
.LBB74_106:                             ; =>This Inner Loop Header: Depth=1
	s_waitcnt lgkmcnt(0)
	v_cmp_gt_f64_e32 vcc_lo, 0, v[156:157]
	v_cmp_gt_f64_e64 s0, 0, v[154:155]
	ds_read2_b64 v[169:172], v163 offset1:1
	v_xor_b32_e32 v174, 0x80000000, v155
	v_xor_b32_e32 v176, 0x80000000, v157
	v_mov_b32_e32 v173, v154
	v_mov_b32_e32 v175, v156
	v_add_nc_u32_e32 v163, 16, v163
	s_waitcnt lgkmcnt(0)
	v_xor_b32_e32 v178, 0x80000000, v172
	v_cndmask_b32_e64 v174, v155, v174, s0
	v_cndmask_b32_e32 v176, v157, v176, vcc_lo
	v_cmp_gt_f64_e32 vcc_lo, 0, v[171:172]
	v_cmp_gt_f64_e64 s0, 0, v[169:170]
	v_mov_b32_e32 v177, v171
	v_add_f64 v[173:174], v[173:174], v[175:176]
	v_xor_b32_e32 v176, 0x80000000, v170
	v_mov_b32_e32 v175, v169
	v_cndmask_b32_e32 v178, v172, v178, vcc_lo
	v_cndmask_b32_e64 v176, v170, v176, s0
	v_add_f64 v[175:176], v[175:176], v[177:178]
	v_cmp_lt_f64_e32 vcc_lo, v[173:174], v[175:176]
	v_cndmask_b32_e32 v155, v155, v170, vcc_lo
	v_cndmask_b32_e32 v154, v154, v169, vcc_lo
	;; [unrolled: 1-line block ×4, first 2 shown]
	v_cndmask_b32_e64 v162, v162, s3, vcc_lo
	s_add_i32 s3, s3, 1
	s_cmp_lg_u32 s1, s3
	s_cbranch_scc1 .LBB74_106
.LBB74_107:
	s_inst_prefetch 0x2
	s_waitcnt lgkmcnt(0)
	v_cmp_eq_f64_e32 vcc_lo, 0, v[154:155]
	v_cmp_eq_f64_e64 s0, 0, v[156:157]
	s_and_b32 s0, vcc_lo, s0
	s_and_saveexec_b32 s3, s0
	s_xor_b32 s0, exec_lo, s3
; %bb.108:
	v_cmp_ne_u32_e32 vcc_lo, 0, v167
	v_cndmask_b32_e32 v167, 6, v167, vcc_lo
; %bb.109:
	s_andn2_saveexec_b32 s0, s0
	s_cbranch_execz .LBB74_115
; %bb.110:
	v_cmp_ngt_f64_e64 s3, |v[154:155]|, |v[156:157]|
	s_and_saveexec_b32 s8, s3
	s_xor_b32 s3, exec_lo, s8
	s_cbranch_execz .LBB74_112
; %bb.111:
	v_div_scale_f64 v[169:170], null, v[156:157], v[156:157], v[154:155]
	v_div_scale_f64 v[175:176], vcc_lo, v[154:155], v[156:157], v[154:155]
	v_rcp_f64_e32 v[171:172], v[169:170]
	v_fma_f64 v[173:174], -v[169:170], v[171:172], 1.0
	v_fma_f64 v[171:172], v[171:172], v[173:174], v[171:172]
	v_fma_f64 v[173:174], -v[169:170], v[171:172], 1.0
	v_fma_f64 v[171:172], v[171:172], v[173:174], v[171:172]
	v_mul_f64 v[173:174], v[175:176], v[171:172]
	v_fma_f64 v[169:170], -v[169:170], v[173:174], v[175:176]
	v_div_fmas_f64 v[169:170], v[169:170], v[171:172], v[173:174]
	v_div_fixup_f64 v[169:170], v[169:170], v[156:157], v[154:155]
	v_fma_f64 v[154:155], v[154:155], v[169:170], v[156:157]
	v_div_scale_f64 v[156:157], null, v[154:155], v[154:155], 1.0
	v_rcp_f64_e32 v[171:172], v[156:157]
	v_fma_f64 v[173:174], -v[156:157], v[171:172], 1.0
	v_fma_f64 v[171:172], v[171:172], v[173:174], v[171:172]
	v_fma_f64 v[173:174], -v[156:157], v[171:172], 1.0
	v_fma_f64 v[171:172], v[171:172], v[173:174], v[171:172]
	v_div_scale_f64 v[173:174], vcc_lo, 1.0, v[154:155], 1.0
	v_mul_f64 v[175:176], v[173:174], v[171:172]
	v_fma_f64 v[156:157], -v[156:157], v[175:176], v[173:174]
	v_div_fmas_f64 v[156:157], v[156:157], v[171:172], v[175:176]
	v_div_fixup_f64 v[156:157], v[156:157], v[154:155], 1.0
	v_mul_f64 v[154:155], v[169:170], v[156:157]
	v_xor_b32_e32 v157, 0x80000000, v157
.LBB74_112:
	s_andn2_saveexec_b32 s3, s3
	s_cbranch_execz .LBB74_114
; %bb.113:
	v_div_scale_f64 v[169:170], null, v[154:155], v[154:155], v[156:157]
	v_div_scale_f64 v[175:176], vcc_lo, v[156:157], v[154:155], v[156:157]
	v_rcp_f64_e32 v[171:172], v[169:170]
	v_fma_f64 v[173:174], -v[169:170], v[171:172], 1.0
	v_fma_f64 v[171:172], v[171:172], v[173:174], v[171:172]
	v_fma_f64 v[173:174], -v[169:170], v[171:172], 1.0
	v_fma_f64 v[171:172], v[171:172], v[173:174], v[171:172]
	v_mul_f64 v[173:174], v[175:176], v[171:172]
	v_fma_f64 v[169:170], -v[169:170], v[173:174], v[175:176]
	v_div_fmas_f64 v[169:170], v[169:170], v[171:172], v[173:174]
	v_div_fixup_f64 v[169:170], v[169:170], v[154:155], v[156:157]
	v_fma_f64 v[154:155], v[156:157], v[169:170], v[154:155]
	v_div_scale_f64 v[156:157], null, v[154:155], v[154:155], 1.0
	v_rcp_f64_e32 v[171:172], v[156:157]
	v_fma_f64 v[173:174], -v[156:157], v[171:172], 1.0
	v_fma_f64 v[171:172], v[171:172], v[173:174], v[171:172]
	v_fma_f64 v[173:174], -v[156:157], v[171:172], 1.0
	v_fma_f64 v[171:172], v[171:172], v[173:174], v[171:172]
	v_div_scale_f64 v[173:174], vcc_lo, 1.0, v[154:155], 1.0
	v_mul_f64 v[175:176], v[173:174], v[171:172]
	v_fma_f64 v[156:157], -v[156:157], v[175:176], v[173:174]
	v_div_fmas_f64 v[156:157], v[156:157], v[171:172], v[175:176]
	v_div_fixup_f64 v[154:155], v[156:157], v[154:155], 1.0
	v_mul_f64 v[156:157], v[169:170], -v[154:155]
.LBB74_114:
	s_or_b32 exec_lo, exec_lo, s3
.LBB74_115:
	s_or_b32 exec_lo, exec_lo, s0
	s_mov_b32 s0, exec_lo
	v_cmpx_ne_u32_e64 v168, v162
	s_xor_b32 s0, exec_lo, s0
	s_cbranch_execz .LBB74_121
; %bb.116:
	s_mov_b32 s3, exec_lo
	v_cmpx_eq_u32_e32 5, v168
	s_cbranch_execz .LBB74_120
; %bb.117:
	v_cmp_ne_u32_e32 vcc_lo, 5, v162
	s_xor_b32 s8, s16, -1
	s_and_b32 s9, s8, vcc_lo
	s_and_saveexec_b32 s8, s9
	s_cbranch_execz .LBB74_119
; %bb.118:
	v_ashrrev_i32_e32 v163, 31, v162
	v_lshlrev_b64 v[168:169], 2, v[162:163]
	v_add_co_u32 v168, vcc_lo, v160, v168
	v_add_co_ci_u32_e64 v169, null, v161, v169, vcc_lo
	s_clause 0x1
	global_load_dword v0, v[168:169], off
	global_load_dword v163, v[160:161], off offset:20
	s_waitcnt vmcnt(1)
	global_store_dword v[160:161], v0, off offset:20
	s_waitcnt vmcnt(0)
	global_store_dword v[168:169], v163, off
.LBB74_119:
	s_or_b32 exec_lo, exec_lo, s8
	v_mov_b32_e32 v168, v162
	v_mov_b32_e32 v0, v162
.LBB74_120:
	s_or_b32 exec_lo, exec_lo, s3
.LBB74_121:
	s_andn2_saveexec_b32 s0, s0
	s_cbranch_execz .LBB74_123
; %bb.122:
	v_mov_b32_e32 v168, 5
	ds_write2_b64 v1, v[126:127], v[128:129] offset0:12 offset1:13
	ds_write2_b64 v1, v[122:123], v[124:125] offset0:14 offset1:15
	;; [unrolled: 1-line block ×32, first 2 shown]
.LBB74_123:
	s_or_b32 exec_lo, exec_lo, s0
	s_mov_b32 s0, exec_lo
	s_waitcnt lgkmcnt(0)
	s_waitcnt_vscnt null, 0x0
	s_barrier
	buffer_gl0_inv
	v_cmpx_lt_i32_e32 5, v168
	s_cbranch_execz .LBB74_125
; %bb.124:
	v_mul_f64 v[162:163], v[156:157], v[136:137]
	v_mul_f64 v[136:137], v[154:155], v[136:137]
	v_fma_f64 v[162:163], v[154:155], v[134:135], -v[162:163]
	v_fma_f64 v[136:137], v[156:157], v[134:135], v[136:137]
	ds_read2_b64 v[154:157], v1 offset0:12 offset1:13
	s_waitcnt lgkmcnt(0)
	v_mul_f64 v[134:135], v[156:157], v[136:137]
	v_fma_f64 v[134:135], v[154:155], v[162:163], -v[134:135]
	v_mul_f64 v[154:155], v[154:155], v[136:137]
	v_add_f64 v[126:127], v[126:127], -v[134:135]
	v_fma_f64 v[154:155], v[156:157], v[162:163], v[154:155]
	v_add_f64 v[128:129], v[128:129], -v[154:155]
	ds_read2_b64 v[154:157], v1 offset0:14 offset1:15
	s_waitcnt lgkmcnt(0)
	v_mul_f64 v[134:135], v[156:157], v[136:137]
	v_fma_f64 v[134:135], v[154:155], v[162:163], -v[134:135]
	v_mul_f64 v[154:155], v[154:155], v[136:137]
	v_add_f64 v[122:123], v[122:123], -v[134:135]
	v_fma_f64 v[154:155], v[156:157], v[162:163], v[154:155]
	v_add_f64 v[124:125], v[124:125], -v[154:155]
	;; [unrolled: 8-line block ×31, first 2 shown]
	ds_read2_b64 v[154:157], v1 offset0:74 offset1:75
	s_waitcnt lgkmcnt(0)
	v_mul_f64 v[134:135], v[156:157], v[136:137]
	v_fma_f64 v[134:135], v[154:155], v[162:163], -v[134:135]
	v_mul_f64 v[154:155], v[154:155], v[136:137]
	v_add_f64 v[2:3], v[2:3], -v[134:135]
	v_fma_f64 v[154:155], v[156:157], v[162:163], v[154:155]
	v_mov_b32_e32 v134, v162
	v_mov_b32_e32 v135, v163
	v_add_f64 v[4:5], v[4:5], -v[154:155]
.LBB74_125:
	s_or_b32 exec_lo, exec_lo, s0
	v_lshl_add_u32 v154, v168, 4, v1
	s_barrier
	buffer_gl0_inv
	v_mov_b32_e32 v162, 6
	ds_write2_b64 v154, v[126:127], v[128:129] offset1:1
	s_waitcnt lgkmcnt(0)
	s_barrier
	buffer_gl0_inv
	ds_read2_b64 v[154:157], v1 offset0:12 offset1:13
	s_cmp_lt_i32 s1, 8
	s_cbranch_scc1 .LBB74_128
; %bb.126:
	v_add3_u32 v163, v164, 0, 0x70
	v_mov_b32_e32 v162, 6
	s_mov_b32 s3, 7
	s_inst_prefetch 0x1
	.p2align	6
.LBB74_127:                             ; =>This Inner Loop Header: Depth=1
	s_waitcnt lgkmcnt(0)
	v_cmp_gt_f64_e32 vcc_lo, 0, v[156:157]
	v_cmp_gt_f64_e64 s0, 0, v[154:155]
	ds_read2_b64 v[169:172], v163 offset1:1
	v_xor_b32_e32 v174, 0x80000000, v155
	v_xor_b32_e32 v176, 0x80000000, v157
	v_mov_b32_e32 v173, v154
	v_mov_b32_e32 v175, v156
	v_add_nc_u32_e32 v163, 16, v163
	s_waitcnt lgkmcnt(0)
	v_xor_b32_e32 v178, 0x80000000, v172
	v_cndmask_b32_e64 v174, v155, v174, s0
	v_cndmask_b32_e32 v176, v157, v176, vcc_lo
	v_cmp_gt_f64_e32 vcc_lo, 0, v[171:172]
	v_cmp_gt_f64_e64 s0, 0, v[169:170]
	v_mov_b32_e32 v177, v171
	v_add_f64 v[173:174], v[173:174], v[175:176]
	v_xor_b32_e32 v176, 0x80000000, v170
	v_mov_b32_e32 v175, v169
	v_cndmask_b32_e32 v178, v172, v178, vcc_lo
	v_cndmask_b32_e64 v176, v170, v176, s0
	v_add_f64 v[175:176], v[175:176], v[177:178]
	v_cmp_lt_f64_e32 vcc_lo, v[173:174], v[175:176]
	v_cndmask_b32_e32 v155, v155, v170, vcc_lo
	v_cndmask_b32_e32 v154, v154, v169, vcc_lo
	v_cndmask_b32_e32 v157, v157, v172, vcc_lo
	v_cndmask_b32_e32 v156, v156, v171, vcc_lo
	v_cndmask_b32_e64 v162, v162, s3, vcc_lo
	s_add_i32 s3, s3, 1
	s_cmp_lg_u32 s1, s3
	s_cbranch_scc1 .LBB74_127
.LBB74_128:
	s_inst_prefetch 0x2
	s_waitcnt lgkmcnt(0)
	v_cmp_eq_f64_e32 vcc_lo, 0, v[154:155]
	v_cmp_eq_f64_e64 s0, 0, v[156:157]
	s_and_b32 s0, vcc_lo, s0
	s_and_saveexec_b32 s3, s0
	s_xor_b32 s0, exec_lo, s3
; %bb.129:
	v_cmp_ne_u32_e32 vcc_lo, 0, v167
	v_cndmask_b32_e32 v167, 7, v167, vcc_lo
; %bb.130:
	s_andn2_saveexec_b32 s0, s0
	s_cbranch_execz .LBB74_136
; %bb.131:
	v_cmp_ngt_f64_e64 s3, |v[154:155]|, |v[156:157]|
	s_and_saveexec_b32 s8, s3
	s_xor_b32 s3, exec_lo, s8
	s_cbranch_execz .LBB74_133
; %bb.132:
	v_div_scale_f64 v[169:170], null, v[156:157], v[156:157], v[154:155]
	v_div_scale_f64 v[175:176], vcc_lo, v[154:155], v[156:157], v[154:155]
	v_rcp_f64_e32 v[171:172], v[169:170]
	v_fma_f64 v[173:174], -v[169:170], v[171:172], 1.0
	v_fma_f64 v[171:172], v[171:172], v[173:174], v[171:172]
	v_fma_f64 v[173:174], -v[169:170], v[171:172], 1.0
	v_fma_f64 v[171:172], v[171:172], v[173:174], v[171:172]
	v_mul_f64 v[173:174], v[175:176], v[171:172]
	v_fma_f64 v[169:170], -v[169:170], v[173:174], v[175:176]
	v_div_fmas_f64 v[169:170], v[169:170], v[171:172], v[173:174]
	v_div_fixup_f64 v[169:170], v[169:170], v[156:157], v[154:155]
	v_fma_f64 v[154:155], v[154:155], v[169:170], v[156:157]
	v_div_scale_f64 v[156:157], null, v[154:155], v[154:155], 1.0
	v_rcp_f64_e32 v[171:172], v[156:157]
	v_fma_f64 v[173:174], -v[156:157], v[171:172], 1.0
	v_fma_f64 v[171:172], v[171:172], v[173:174], v[171:172]
	v_fma_f64 v[173:174], -v[156:157], v[171:172], 1.0
	v_fma_f64 v[171:172], v[171:172], v[173:174], v[171:172]
	v_div_scale_f64 v[173:174], vcc_lo, 1.0, v[154:155], 1.0
	v_mul_f64 v[175:176], v[173:174], v[171:172]
	v_fma_f64 v[156:157], -v[156:157], v[175:176], v[173:174]
	v_div_fmas_f64 v[156:157], v[156:157], v[171:172], v[175:176]
	v_div_fixup_f64 v[156:157], v[156:157], v[154:155], 1.0
	v_mul_f64 v[154:155], v[169:170], v[156:157]
	v_xor_b32_e32 v157, 0x80000000, v157
.LBB74_133:
	s_andn2_saveexec_b32 s3, s3
	s_cbranch_execz .LBB74_135
; %bb.134:
	v_div_scale_f64 v[169:170], null, v[154:155], v[154:155], v[156:157]
	v_div_scale_f64 v[175:176], vcc_lo, v[156:157], v[154:155], v[156:157]
	v_rcp_f64_e32 v[171:172], v[169:170]
	v_fma_f64 v[173:174], -v[169:170], v[171:172], 1.0
	v_fma_f64 v[171:172], v[171:172], v[173:174], v[171:172]
	v_fma_f64 v[173:174], -v[169:170], v[171:172], 1.0
	v_fma_f64 v[171:172], v[171:172], v[173:174], v[171:172]
	v_mul_f64 v[173:174], v[175:176], v[171:172]
	v_fma_f64 v[169:170], -v[169:170], v[173:174], v[175:176]
	v_div_fmas_f64 v[169:170], v[169:170], v[171:172], v[173:174]
	v_div_fixup_f64 v[169:170], v[169:170], v[154:155], v[156:157]
	v_fma_f64 v[154:155], v[156:157], v[169:170], v[154:155]
	v_div_scale_f64 v[156:157], null, v[154:155], v[154:155], 1.0
	v_rcp_f64_e32 v[171:172], v[156:157]
	v_fma_f64 v[173:174], -v[156:157], v[171:172], 1.0
	v_fma_f64 v[171:172], v[171:172], v[173:174], v[171:172]
	v_fma_f64 v[173:174], -v[156:157], v[171:172], 1.0
	v_fma_f64 v[171:172], v[171:172], v[173:174], v[171:172]
	v_div_scale_f64 v[173:174], vcc_lo, 1.0, v[154:155], 1.0
	v_mul_f64 v[175:176], v[173:174], v[171:172]
	v_fma_f64 v[156:157], -v[156:157], v[175:176], v[173:174]
	v_div_fmas_f64 v[156:157], v[156:157], v[171:172], v[175:176]
	v_div_fixup_f64 v[154:155], v[156:157], v[154:155], 1.0
	v_mul_f64 v[156:157], v[169:170], -v[154:155]
.LBB74_135:
	s_or_b32 exec_lo, exec_lo, s3
.LBB74_136:
	s_or_b32 exec_lo, exec_lo, s0
	s_mov_b32 s0, exec_lo
	v_cmpx_ne_u32_e64 v168, v162
	s_xor_b32 s0, exec_lo, s0
	s_cbranch_execz .LBB74_142
; %bb.137:
	s_mov_b32 s3, exec_lo
	v_cmpx_eq_u32_e32 6, v168
	s_cbranch_execz .LBB74_141
; %bb.138:
	v_cmp_ne_u32_e32 vcc_lo, 6, v162
	s_xor_b32 s8, s16, -1
	s_and_b32 s9, s8, vcc_lo
	s_and_saveexec_b32 s8, s9
	s_cbranch_execz .LBB74_140
; %bb.139:
	v_ashrrev_i32_e32 v163, 31, v162
	v_lshlrev_b64 v[168:169], 2, v[162:163]
	v_add_co_u32 v168, vcc_lo, v160, v168
	v_add_co_ci_u32_e64 v169, null, v161, v169, vcc_lo
	s_clause 0x1
	global_load_dword v0, v[168:169], off
	global_load_dword v163, v[160:161], off offset:24
	s_waitcnt vmcnt(1)
	global_store_dword v[160:161], v0, off offset:24
	s_waitcnt vmcnt(0)
	global_store_dword v[168:169], v163, off
.LBB74_140:
	s_or_b32 exec_lo, exec_lo, s8
	v_mov_b32_e32 v168, v162
	v_mov_b32_e32 v0, v162
.LBB74_141:
	s_or_b32 exec_lo, exec_lo, s3
.LBB74_142:
	s_andn2_saveexec_b32 s0, s0
	s_cbranch_execz .LBB74_144
; %bb.143:
	v_mov_b32_e32 v168, 6
	ds_write2_b64 v1, v[122:123], v[124:125] offset0:14 offset1:15
	ds_write2_b64 v1, v[114:115], v[116:117] offset0:16 offset1:17
	;; [unrolled: 1-line block ×31, first 2 shown]
.LBB74_144:
	s_or_b32 exec_lo, exec_lo, s0
	s_mov_b32 s0, exec_lo
	s_waitcnt lgkmcnt(0)
	s_waitcnt_vscnt null, 0x0
	s_barrier
	buffer_gl0_inv
	v_cmpx_lt_i32_e32 6, v168
	s_cbranch_execz .LBB74_146
; %bb.145:
	v_mul_f64 v[162:163], v[156:157], v[128:129]
	v_mul_f64 v[128:129], v[154:155], v[128:129]
	v_fma_f64 v[162:163], v[154:155], v[126:127], -v[162:163]
	v_fma_f64 v[128:129], v[156:157], v[126:127], v[128:129]
	ds_read2_b64 v[154:157], v1 offset0:14 offset1:15
	s_waitcnt lgkmcnt(0)
	v_mul_f64 v[126:127], v[156:157], v[128:129]
	v_fma_f64 v[126:127], v[154:155], v[162:163], -v[126:127]
	v_mul_f64 v[154:155], v[154:155], v[128:129]
	v_add_f64 v[122:123], v[122:123], -v[126:127]
	v_fma_f64 v[154:155], v[156:157], v[162:163], v[154:155]
	v_add_f64 v[124:125], v[124:125], -v[154:155]
	ds_read2_b64 v[154:157], v1 offset0:16 offset1:17
	s_waitcnt lgkmcnt(0)
	v_mul_f64 v[126:127], v[156:157], v[128:129]
	v_fma_f64 v[126:127], v[154:155], v[162:163], -v[126:127]
	v_mul_f64 v[154:155], v[154:155], v[128:129]
	v_add_f64 v[114:115], v[114:115], -v[126:127]
	v_fma_f64 v[154:155], v[156:157], v[162:163], v[154:155]
	v_add_f64 v[116:117], v[116:117], -v[154:155]
	;; [unrolled: 8-line block ×30, first 2 shown]
	ds_read2_b64 v[154:157], v1 offset0:74 offset1:75
	s_waitcnt lgkmcnt(0)
	v_mul_f64 v[126:127], v[156:157], v[128:129]
	v_fma_f64 v[126:127], v[154:155], v[162:163], -v[126:127]
	v_mul_f64 v[154:155], v[154:155], v[128:129]
	v_add_f64 v[2:3], v[2:3], -v[126:127]
	v_fma_f64 v[154:155], v[156:157], v[162:163], v[154:155]
	v_mov_b32_e32 v126, v162
	v_mov_b32_e32 v127, v163
	v_add_f64 v[4:5], v[4:5], -v[154:155]
.LBB74_146:
	s_or_b32 exec_lo, exec_lo, s0
	v_lshl_add_u32 v154, v168, 4, v1
	s_barrier
	buffer_gl0_inv
	v_mov_b32_e32 v162, 7
	ds_write2_b64 v154, v[122:123], v[124:125] offset1:1
	s_waitcnt lgkmcnt(0)
	s_barrier
	buffer_gl0_inv
	ds_read2_b64 v[154:157], v1 offset0:14 offset1:15
	s_cmp_lt_i32 s1, 9
	s_cbranch_scc1 .LBB74_149
; %bb.147:
	v_add3_u32 v163, v164, 0, 0x80
	v_mov_b32_e32 v162, 7
	s_mov_b32 s3, 8
	s_inst_prefetch 0x1
	.p2align	6
.LBB74_148:                             ; =>This Inner Loop Header: Depth=1
	s_waitcnt lgkmcnt(0)
	v_cmp_gt_f64_e32 vcc_lo, 0, v[156:157]
	v_cmp_gt_f64_e64 s0, 0, v[154:155]
	ds_read2_b64 v[169:172], v163 offset1:1
	v_xor_b32_e32 v174, 0x80000000, v155
	v_xor_b32_e32 v176, 0x80000000, v157
	v_mov_b32_e32 v173, v154
	v_mov_b32_e32 v175, v156
	v_add_nc_u32_e32 v163, 16, v163
	s_waitcnt lgkmcnt(0)
	v_xor_b32_e32 v178, 0x80000000, v172
	v_cndmask_b32_e64 v174, v155, v174, s0
	v_cndmask_b32_e32 v176, v157, v176, vcc_lo
	v_cmp_gt_f64_e32 vcc_lo, 0, v[171:172]
	v_cmp_gt_f64_e64 s0, 0, v[169:170]
	v_mov_b32_e32 v177, v171
	v_add_f64 v[173:174], v[173:174], v[175:176]
	v_xor_b32_e32 v176, 0x80000000, v170
	v_mov_b32_e32 v175, v169
	v_cndmask_b32_e32 v178, v172, v178, vcc_lo
	v_cndmask_b32_e64 v176, v170, v176, s0
	v_add_f64 v[175:176], v[175:176], v[177:178]
	v_cmp_lt_f64_e32 vcc_lo, v[173:174], v[175:176]
	v_cndmask_b32_e32 v155, v155, v170, vcc_lo
	v_cndmask_b32_e32 v154, v154, v169, vcc_lo
	;; [unrolled: 1-line block ×4, first 2 shown]
	v_cndmask_b32_e64 v162, v162, s3, vcc_lo
	s_add_i32 s3, s3, 1
	s_cmp_lg_u32 s1, s3
	s_cbranch_scc1 .LBB74_148
.LBB74_149:
	s_inst_prefetch 0x2
	s_waitcnt lgkmcnt(0)
	v_cmp_eq_f64_e32 vcc_lo, 0, v[154:155]
	v_cmp_eq_f64_e64 s0, 0, v[156:157]
	s_and_b32 s0, vcc_lo, s0
	s_and_saveexec_b32 s3, s0
	s_xor_b32 s0, exec_lo, s3
; %bb.150:
	v_cmp_ne_u32_e32 vcc_lo, 0, v167
	v_cndmask_b32_e32 v167, 8, v167, vcc_lo
; %bb.151:
	s_andn2_saveexec_b32 s0, s0
	s_cbranch_execz .LBB74_157
; %bb.152:
	v_cmp_ngt_f64_e64 s3, |v[154:155]|, |v[156:157]|
	s_and_saveexec_b32 s8, s3
	s_xor_b32 s3, exec_lo, s8
	s_cbranch_execz .LBB74_154
; %bb.153:
	v_div_scale_f64 v[169:170], null, v[156:157], v[156:157], v[154:155]
	v_div_scale_f64 v[175:176], vcc_lo, v[154:155], v[156:157], v[154:155]
	v_rcp_f64_e32 v[171:172], v[169:170]
	v_fma_f64 v[173:174], -v[169:170], v[171:172], 1.0
	v_fma_f64 v[171:172], v[171:172], v[173:174], v[171:172]
	v_fma_f64 v[173:174], -v[169:170], v[171:172], 1.0
	v_fma_f64 v[171:172], v[171:172], v[173:174], v[171:172]
	v_mul_f64 v[173:174], v[175:176], v[171:172]
	v_fma_f64 v[169:170], -v[169:170], v[173:174], v[175:176]
	v_div_fmas_f64 v[169:170], v[169:170], v[171:172], v[173:174]
	v_div_fixup_f64 v[169:170], v[169:170], v[156:157], v[154:155]
	v_fma_f64 v[154:155], v[154:155], v[169:170], v[156:157]
	v_div_scale_f64 v[156:157], null, v[154:155], v[154:155], 1.0
	v_rcp_f64_e32 v[171:172], v[156:157]
	v_fma_f64 v[173:174], -v[156:157], v[171:172], 1.0
	v_fma_f64 v[171:172], v[171:172], v[173:174], v[171:172]
	v_fma_f64 v[173:174], -v[156:157], v[171:172], 1.0
	v_fma_f64 v[171:172], v[171:172], v[173:174], v[171:172]
	v_div_scale_f64 v[173:174], vcc_lo, 1.0, v[154:155], 1.0
	v_mul_f64 v[175:176], v[173:174], v[171:172]
	v_fma_f64 v[156:157], -v[156:157], v[175:176], v[173:174]
	v_div_fmas_f64 v[156:157], v[156:157], v[171:172], v[175:176]
	v_div_fixup_f64 v[156:157], v[156:157], v[154:155], 1.0
	v_mul_f64 v[154:155], v[169:170], v[156:157]
	v_xor_b32_e32 v157, 0x80000000, v157
.LBB74_154:
	s_andn2_saveexec_b32 s3, s3
	s_cbranch_execz .LBB74_156
; %bb.155:
	v_div_scale_f64 v[169:170], null, v[154:155], v[154:155], v[156:157]
	v_div_scale_f64 v[175:176], vcc_lo, v[156:157], v[154:155], v[156:157]
	v_rcp_f64_e32 v[171:172], v[169:170]
	v_fma_f64 v[173:174], -v[169:170], v[171:172], 1.0
	v_fma_f64 v[171:172], v[171:172], v[173:174], v[171:172]
	v_fma_f64 v[173:174], -v[169:170], v[171:172], 1.0
	v_fma_f64 v[171:172], v[171:172], v[173:174], v[171:172]
	v_mul_f64 v[173:174], v[175:176], v[171:172]
	v_fma_f64 v[169:170], -v[169:170], v[173:174], v[175:176]
	v_div_fmas_f64 v[169:170], v[169:170], v[171:172], v[173:174]
	v_div_fixup_f64 v[169:170], v[169:170], v[154:155], v[156:157]
	v_fma_f64 v[154:155], v[156:157], v[169:170], v[154:155]
	v_div_scale_f64 v[156:157], null, v[154:155], v[154:155], 1.0
	v_rcp_f64_e32 v[171:172], v[156:157]
	v_fma_f64 v[173:174], -v[156:157], v[171:172], 1.0
	v_fma_f64 v[171:172], v[171:172], v[173:174], v[171:172]
	v_fma_f64 v[173:174], -v[156:157], v[171:172], 1.0
	v_fma_f64 v[171:172], v[171:172], v[173:174], v[171:172]
	v_div_scale_f64 v[173:174], vcc_lo, 1.0, v[154:155], 1.0
	v_mul_f64 v[175:176], v[173:174], v[171:172]
	v_fma_f64 v[156:157], -v[156:157], v[175:176], v[173:174]
	v_div_fmas_f64 v[156:157], v[156:157], v[171:172], v[175:176]
	v_div_fixup_f64 v[154:155], v[156:157], v[154:155], 1.0
	v_mul_f64 v[156:157], v[169:170], -v[154:155]
.LBB74_156:
	s_or_b32 exec_lo, exec_lo, s3
.LBB74_157:
	s_or_b32 exec_lo, exec_lo, s0
	s_mov_b32 s0, exec_lo
	v_cmpx_ne_u32_e64 v168, v162
	s_xor_b32 s0, exec_lo, s0
	s_cbranch_execz .LBB74_163
; %bb.158:
	s_mov_b32 s3, exec_lo
	v_cmpx_eq_u32_e32 7, v168
	s_cbranch_execz .LBB74_162
; %bb.159:
	v_cmp_ne_u32_e32 vcc_lo, 7, v162
	s_xor_b32 s8, s16, -1
	s_and_b32 s9, s8, vcc_lo
	s_and_saveexec_b32 s8, s9
	s_cbranch_execz .LBB74_161
; %bb.160:
	v_ashrrev_i32_e32 v163, 31, v162
	v_lshlrev_b64 v[168:169], 2, v[162:163]
	v_add_co_u32 v168, vcc_lo, v160, v168
	v_add_co_ci_u32_e64 v169, null, v161, v169, vcc_lo
	s_clause 0x1
	global_load_dword v0, v[168:169], off
	global_load_dword v163, v[160:161], off offset:28
	s_waitcnt vmcnt(1)
	global_store_dword v[160:161], v0, off offset:28
	s_waitcnt vmcnt(0)
	global_store_dword v[168:169], v163, off
.LBB74_161:
	s_or_b32 exec_lo, exec_lo, s8
	v_mov_b32_e32 v168, v162
	v_mov_b32_e32 v0, v162
.LBB74_162:
	s_or_b32 exec_lo, exec_lo, s3
.LBB74_163:
	s_andn2_saveexec_b32 s0, s0
	s_cbranch_execz .LBB74_165
; %bb.164:
	v_mov_b32_e32 v168, 7
	ds_write2_b64 v1, v[114:115], v[116:117] offset0:16 offset1:17
	ds_write2_b64 v1, v[110:111], v[112:113] offset0:18 offset1:19
	;; [unrolled: 1-line block ×30, first 2 shown]
.LBB74_165:
	s_or_b32 exec_lo, exec_lo, s0
	s_mov_b32 s0, exec_lo
	s_waitcnt lgkmcnt(0)
	s_waitcnt_vscnt null, 0x0
	s_barrier
	buffer_gl0_inv
	v_cmpx_lt_i32_e32 7, v168
	s_cbranch_execz .LBB74_167
; %bb.166:
	v_mul_f64 v[162:163], v[156:157], v[124:125]
	v_mul_f64 v[124:125], v[154:155], v[124:125]
	v_fma_f64 v[162:163], v[154:155], v[122:123], -v[162:163]
	v_fma_f64 v[124:125], v[156:157], v[122:123], v[124:125]
	ds_read2_b64 v[154:157], v1 offset0:16 offset1:17
	s_waitcnt lgkmcnt(0)
	v_mul_f64 v[122:123], v[156:157], v[124:125]
	v_fma_f64 v[122:123], v[154:155], v[162:163], -v[122:123]
	v_mul_f64 v[154:155], v[154:155], v[124:125]
	v_add_f64 v[114:115], v[114:115], -v[122:123]
	v_fma_f64 v[154:155], v[156:157], v[162:163], v[154:155]
	v_add_f64 v[116:117], v[116:117], -v[154:155]
	ds_read2_b64 v[154:157], v1 offset0:18 offset1:19
	s_waitcnt lgkmcnt(0)
	v_mul_f64 v[122:123], v[156:157], v[124:125]
	v_fma_f64 v[122:123], v[154:155], v[162:163], -v[122:123]
	v_mul_f64 v[154:155], v[154:155], v[124:125]
	v_add_f64 v[110:111], v[110:111], -v[122:123]
	v_fma_f64 v[154:155], v[156:157], v[162:163], v[154:155]
	v_add_f64 v[112:113], v[112:113], -v[154:155]
	;; [unrolled: 8-line block ×29, first 2 shown]
	ds_read2_b64 v[154:157], v1 offset0:74 offset1:75
	s_waitcnt lgkmcnt(0)
	v_mul_f64 v[122:123], v[156:157], v[124:125]
	v_fma_f64 v[122:123], v[154:155], v[162:163], -v[122:123]
	v_mul_f64 v[154:155], v[154:155], v[124:125]
	v_add_f64 v[2:3], v[2:3], -v[122:123]
	v_fma_f64 v[154:155], v[156:157], v[162:163], v[154:155]
	v_mov_b32_e32 v122, v162
	v_mov_b32_e32 v123, v163
	v_add_f64 v[4:5], v[4:5], -v[154:155]
.LBB74_167:
	s_or_b32 exec_lo, exec_lo, s0
	v_lshl_add_u32 v154, v168, 4, v1
	s_barrier
	buffer_gl0_inv
	v_mov_b32_e32 v162, 8
	ds_write2_b64 v154, v[114:115], v[116:117] offset1:1
	s_waitcnt lgkmcnt(0)
	s_barrier
	buffer_gl0_inv
	ds_read2_b64 v[154:157], v1 offset0:16 offset1:17
	s_cmp_lt_i32 s1, 10
	s_cbranch_scc1 .LBB74_170
; %bb.168:
	v_add3_u32 v163, v164, 0, 0x90
	v_mov_b32_e32 v162, 8
	s_mov_b32 s3, 9
	s_inst_prefetch 0x1
	.p2align	6
.LBB74_169:                             ; =>This Inner Loop Header: Depth=1
	s_waitcnt lgkmcnt(0)
	v_cmp_gt_f64_e32 vcc_lo, 0, v[156:157]
	v_cmp_gt_f64_e64 s0, 0, v[154:155]
	ds_read2_b64 v[169:172], v163 offset1:1
	v_xor_b32_e32 v174, 0x80000000, v155
	v_xor_b32_e32 v176, 0x80000000, v157
	v_mov_b32_e32 v173, v154
	v_mov_b32_e32 v175, v156
	v_add_nc_u32_e32 v163, 16, v163
	s_waitcnt lgkmcnt(0)
	v_xor_b32_e32 v178, 0x80000000, v172
	v_cndmask_b32_e64 v174, v155, v174, s0
	v_cndmask_b32_e32 v176, v157, v176, vcc_lo
	v_cmp_gt_f64_e32 vcc_lo, 0, v[171:172]
	v_cmp_gt_f64_e64 s0, 0, v[169:170]
	v_mov_b32_e32 v177, v171
	v_add_f64 v[173:174], v[173:174], v[175:176]
	v_xor_b32_e32 v176, 0x80000000, v170
	v_mov_b32_e32 v175, v169
	v_cndmask_b32_e32 v178, v172, v178, vcc_lo
	v_cndmask_b32_e64 v176, v170, v176, s0
	v_add_f64 v[175:176], v[175:176], v[177:178]
	v_cmp_lt_f64_e32 vcc_lo, v[173:174], v[175:176]
	v_cndmask_b32_e32 v155, v155, v170, vcc_lo
	v_cndmask_b32_e32 v154, v154, v169, vcc_lo
	;; [unrolled: 1-line block ×4, first 2 shown]
	v_cndmask_b32_e64 v162, v162, s3, vcc_lo
	s_add_i32 s3, s3, 1
	s_cmp_lg_u32 s1, s3
	s_cbranch_scc1 .LBB74_169
.LBB74_170:
	s_inst_prefetch 0x2
	s_waitcnt lgkmcnt(0)
	v_cmp_eq_f64_e32 vcc_lo, 0, v[154:155]
	v_cmp_eq_f64_e64 s0, 0, v[156:157]
	s_and_b32 s0, vcc_lo, s0
	s_and_saveexec_b32 s3, s0
	s_xor_b32 s0, exec_lo, s3
; %bb.171:
	v_cmp_ne_u32_e32 vcc_lo, 0, v167
	v_cndmask_b32_e32 v167, 9, v167, vcc_lo
; %bb.172:
	s_andn2_saveexec_b32 s0, s0
	s_cbranch_execz .LBB74_178
; %bb.173:
	v_cmp_ngt_f64_e64 s3, |v[154:155]|, |v[156:157]|
	s_and_saveexec_b32 s8, s3
	s_xor_b32 s3, exec_lo, s8
	s_cbranch_execz .LBB74_175
; %bb.174:
	v_div_scale_f64 v[169:170], null, v[156:157], v[156:157], v[154:155]
	v_div_scale_f64 v[175:176], vcc_lo, v[154:155], v[156:157], v[154:155]
	v_rcp_f64_e32 v[171:172], v[169:170]
	v_fma_f64 v[173:174], -v[169:170], v[171:172], 1.0
	v_fma_f64 v[171:172], v[171:172], v[173:174], v[171:172]
	v_fma_f64 v[173:174], -v[169:170], v[171:172], 1.0
	v_fma_f64 v[171:172], v[171:172], v[173:174], v[171:172]
	v_mul_f64 v[173:174], v[175:176], v[171:172]
	v_fma_f64 v[169:170], -v[169:170], v[173:174], v[175:176]
	v_div_fmas_f64 v[169:170], v[169:170], v[171:172], v[173:174]
	v_div_fixup_f64 v[169:170], v[169:170], v[156:157], v[154:155]
	v_fma_f64 v[154:155], v[154:155], v[169:170], v[156:157]
	v_div_scale_f64 v[156:157], null, v[154:155], v[154:155], 1.0
	v_rcp_f64_e32 v[171:172], v[156:157]
	v_fma_f64 v[173:174], -v[156:157], v[171:172], 1.0
	v_fma_f64 v[171:172], v[171:172], v[173:174], v[171:172]
	v_fma_f64 v[173:174], -v[156:157], v[171:172], 1.0
	v_fma_f64 v[171:172], v[171:172], v[173:174], v[171:172]
	v_div_scale_f64 v[173:174], vcc_lo, 1.0, v[154:155], 1.0
	v_mul_f64 v[175:176], v[173:174], v[171:172]
	v_fma_f64 v[156:157], -v[156:157], v[175:176], v[173:174]
	v_div_fmas_f64 v[156:157], v[156:157], v[171:172], v[175:176]
	v_div_fixup_f64 v[156:157], v[156:157], v[154:155], 1.0
	v_mul_f64 v[154:155], v[169:170], v[156:157]
	v_xor_b32_e32 v157, 0x80000000, v157
.LBB74_175:
	s_andn2_saveexec_b32 s3, s3
	s_cbranch_execz .LBB74_177
; %bb.176:
	v_div_scale_f64 v[169:170], null, v[154:155], v[154:155], v[156:157]
	v_div_scale_f64 v[175:176], vcc_lo, v[156:157], v[154:155], v[156:157]
	v_rcp_f64_e32 v[171:172], v[169:170]
	v_fma_f64 v[173:174], -v[169:170], v[171:172], 1.0
	v_fma_f64 v[171:172], v[171:172], v[173:174], v[171:172]
	v_fma_f64 v[173:174], -v[169:170], v[171:172], 1.0
	v_fma_f64 v[171:172], v[171:172], v[173:174], v[171:172]
	v_mul_f64 v[173:174], v[175:176], v[171:172]
	v_fma_f64 v[169:170], -v[169:170], v[173:174], v[175:176]
	v_div_fmas_f64 v[169:170], v[169:170], v[171:172], v[173:174]
	v_div_fixup_f64 v[169:170], v[169:170], v[154:155], v[156:157]
	v_fma_f64 v[154:155], v[156:157], v[169:170], v[154:155]
	v_div_scale_f64 v[156:157], null, v[154:155], v[154:155], 1.0
	v_rcp_f64_e32 v[171:172], v[156:157]
	v_fma_f64 v[173:174], -v[156:157], v[171:172], 1.0
	v_fma_f64 v[171:172], v[171:172], v[173:174], v[171:172]
	v_fma_f64 v[173:174], -v[156:157], v[171:172], 1.0
	v_fma_f64 v[171:172], v[171:172], v[173:174], v[171:172]
	v_div_scale_f64 v[173:174], vcc_lo, 1.0, v[154:155], 1.0
	v_mul_f64 v[175:176], v[173:174], v[171:172]
	v_fma_f64 v[156:157], -v[156:157], v[175:176], v[173:174]
	v_div_fmas_f64 v[156:157], v[156:157], v[171:172], v[175:176]
	v_div_fixup_f64 v[154:155], v[156:157], v[154:155], 1.0
	v_mul_f64 v[156:157], v[169:170], -v[154:155]
.LBB74_177:
	s_or_b32 exec_lo, exec_lo, s3
.LBB74_178:
	s_or_b32 exec_lo, exec_lo, s0
	s_mov_b32 s0, exec_lo
	v_cmpx_ne_u32_e64 v168, v162
	s_xor_b32 s0, exec_lo, s0
	s_cbranch_execz .LBB74_184
; %bb.179:
	s_mov_b32 s3, exec_lo
	v_cmpx_eq_u32_e32 8, v168
	s_cbranch_execz .LBB74_183
; %bb.180:
	v_cmp_ne_u32_e32 vcc_lo, 8, v162
	s_xor_b32 s8, s16, -1
	s_and_b32 s9, s8, vcc_lo
	s_and_saveexec_b32 s8, s9
	s_cbranch_execz .LBB74_182
; %bb.181:
	v_ashrrev_i32_e32 v163, 31, v162
	v_lshlrev_b64 v[168:169], 2, v[162:163]
	v_add_co_u32 v168, vcc_lo, v160, v168
	v_add_co_ci_u32_e64 v169, null, v161, v169, vcc_lo
	s_clause 0x1
	global_load_dword v0, v[168:169], off
	global_load_dword v163, v[160:161], off offset:32
	s_waitcnt vmcnt(1)
	global_store_dword v[160:161], v0, off offset:32
	s_waitcnt vmcnt(0)
	global_store_dword v[168:169], v163, off
.LBB74_182:
	s_or_b32 exec_lo, exec_lo, s8
	v_mov_b32_e32 v168, v162
	v_mov_b32_e32 v0, v162
.LBB74_183:
	s_or_b32 exec_lo, exec_lo, s3
.LBB74_184:
	s_andn2_saveexec_b32 s0, s0
	s_cbranch_execz .LBB74_186
; %bb.185:
	v_mov_b32_e32 v168, 8
	ds_write2_b64 v1, v[110:111], v[112:113] offset0:18 offset1:19
	ds_write2_b64 v1, v[118:119], v[120:121] offset0:20 offset1:21
	;; [unrolled: 1-line block ×29, first 2 shown]
.LBB74_186:
	s_or_b32 exec_lo, exec_lo, s0
	s_mov_b32 s0, exec_lo
	s_waitcnt lgkmcnt(0)
	s_waitcnt_vscnt null, 0x0
	s_barrier
	buffer_gl0_inv
	v_cmpx_lt_i32_e32 8, v168
	s_cbranch_execz .LBB74_188
; %bb.187:
	v_mul_f64 v[162:163], v[156:157], v[116:117]
	v_mul_f64 v[116:117], v[154:155], v[116:117]
	v_fma_f64 v[162:163], v[154:155], v[114:115], -v[162:163]
	v_fma_f64 v[116:117], v[156:157], v[114:115], v[116:117]
	ds_read2_b64 v[154:157], v1 offset0:18 offset1:19
	s_waitcnt lgkmcnt(0)
	v_mul_f64 v[114:115], v[156:157], v[116:117]
	v_fma_f64 v[114:115], v[154:155], v[162:163], -v[114:115]
	v_mul_f64 v[154:155], v[154:155], v[116:117]
	v_add_f64 v[110:111], v[110:111], -v[114:115]
	v_fma_f64 v[154:155], v[156:157], v[162:163], v[154:155]
	v_add_f64 v[112:113], v[112:113], -v[154:155]
	ds_read2_b64 v[154:157], v1 offset0:20 offset1:21
	s_waitcnt lgkmcnt(0)
	v_mul_f64 v[114:115], v[156:157], v[116:117]
	v_fma_f64 v[114:115], v[154:155], v[162:163], -v[114:115]
	v_mul_f64 v[154:155], v[154:155], v[116:117]
	v_add_f64 v[118:119], v[118:119], -v[114:115]
	v_fma_f64 v[154:155], v[156:157], v[162:163], v[154:155]
	v_add_f64 v[120:121], v[120:121], -v[154:155]
	;; [unrolled: 8-line block ×28, first 2 shown]
	ds_read2_b64 v[154:157], v1 offset0:74 offset1:75
	s_waitcnt lgkmcnt(0)
	v_mul_f64 v[114:115], v[156:157], v[116:117]
	v_fma_f64 v[114:115], v[154:155], v[162:163], -v[114:115]
	v_mul_f64 v[154:155], v[154:155], v[116:117]
	v_add_f64 v[2:3], v[2:3], -v[114:115]
	v_fma_f64 v[154:155], v[156:157], v[162:163], v[154:155]
	v_mov_b32_e32 v114, v162
	v_mov_b32_e32 v115, v163
	v_add_f64 v[4:5], v[4:5], -v[154:155]
.LBB74_188:
	s_or_b32 exec_lo, exec_lo, s0
	v_lshl_add_u32 v154, v168, 4, v1
	s_barrier
	buffer_gl0_inv
	v_mov_b32_e32 v162, 9
	ds_write2_b64 v154, v[110:111], v[112:113] offset1:1
	s_waitcnt lgkmcnt(0)
	s_barrier
	buffer_gl0_inv
	ds_read2_b64 v[154:157], v1 offset0:18 offset1:19
	s_cmp_lt_i32 s1, 11
	s_cbranch_scc1 .LBB74_191
; %bb.189:
	v_add3_u32 v163, v164, 0, 0xa0
	v_mov_b32_e32 v162, 9
	s_mov_b32 s3, 10
	s_inst_prefetch 0x1
	.p2align	6
.LBB74_190:                             ; =>This Inner Loop Header: Depth=1
	s_waitcnt lgkmcnt(0)
	v_cmp_gt_f64_e32 vcc_lo, 0, v[156:157]
	v_cmp_gt_f64_e64 s0, 0, v[154:155]
	ds_read2_b64 v[169:172], v163 offset1:1
	v_xor_b32_e32 v174, 0x80000000, v155
	v_xor_b32_e32 v176, 0x80000000, v157
	v_mov_b32_e32 v173, v154
	v_mov_b32_e32 v175, v156
	v_add_nc_u32_e32 v163, 16, v163
	s_waitcnt lgkmcnt(0)
	v_xor_b32_e32 v178, 0x80000000, v172
	v_cndmask_b32_e64 v174, v155, v174, s0
	v_cndmask_b32_e32 v176, v157, v176, vcc_lo
	v_cmp_gt_f64_e32 vcc_lo, 0, v[171:172]
	v_cmp_gt_f64_e64 s0, 0, v[169:170]
	v_mov_b32_e32 v177, v171
	v_add_f64 v[173:174], v[173:174], v[175:176]
	v_xor_b32_e32 v176, 0x80000000, v170
	v_mov_b32_e32 v175, v169
	v_cndmask_b32_e32 v178, v172, v178, vcc_lo
	v_cndmask_b32_e64 v176, v170, v176, s0
	v_add_f64 v[175:176], v[175:176], v[177:178]
	v_cmp_lt_f64_e32 vcc_lo, v[173:174], v[175:176]
	v_cndmask_b32_e32 v155, v155, v170, vcc_lo
	v_cndmask_b32_e32 v154, v154, v169, vcc_lo
	;; [unrolled: 1-line block ×4, first 2 shown]
	v_cndmask_b32_e64 v162, v162, s3, vcc_lo
	s_add_i32 s3, s3, 1
	s_cmp_lg_u32 s1, s3
	s_cbranch_scc1 .LBB74_190
.LBB74_191:
	s_inst_prefetch 0x2
	s_waitcnt lgkmcnt(0)
	v_cmp_eq_f64_e32 vcc_lo, 0, v[154:155]
	v_cmp_eq_f64_e64 s0, 0, v[156:157]
	s_and_b32 s0, vcc_lo, s0
	s_and_saveexec_b32 s3, s0
	s_xor_b32 s0, exec_lo, s3
; %bb.192:
	v_cmp_ne_u32_e32 vcc_lo, 0, v167
	v_cndmask_b32_e32 v167, 10, v167, vcc_lo
; %bb.193:
	s_andn2_saveexec_b32 s0, s0
	s_cbranch_execz .LBB74_199
; %bb.194:
	v_cmp_ngt_f64_e64 s3, |v[154:155]|, |v[156:157]|
	s_and_saveexec_b32 s8, s3
	s_xor_b32 s3, exec_lo, s8
	s_cbranch_execz .LBB74_196
; %bb.195:
	v_div_scale_f64 v[169:170], null, v[156:157], v[156:157], v[154:155]
	v_div_scale_f64 v[175:176], vcc_lo, v[154:155], v[156:157], v[154:155]
	v_rcp_f64_e32 v[171:172], v[169:170]
	v_fma_f64 v[173:174], -v[169:170], v[171:172], 1.0
	v_fma_f64 v[171:172], v[171:172], v[173:174], v[171:172]
	v_fma_f64 v[173:174], -v[169:170], v[171:172], 1.0
	v_fma_f64 v[171:172], v[171:172], v[173:174], v[171:172]
	v_mul_f64 v[173:174], v[175:176], v[171:172]
	v_fma_f64 v[169:170], -v[169:170], v[173:174], v[175:176]
	v_div_fmas_f64 v[169:170], v[169:170], v[171:172], v[173:174]
	v_div_fixup_f64 v[169:170], v[169:170], v[156:157], v[154:155]
	v_fma_f64 v[154:155], v[154:155], v[169:170], v[156:157]
	v_div_scale_f64 v[156:157], null, v[154:155], v[154:155], 1.0
	v_rcp_f64_e32 v[171:172], v[156:157]
	v_fma_f64 v[173:174], -v[156:157], v[171:172], 1.0
	v_fma_f64 v[171:172], v[171:172], v[173:174], v[171:172]
	v_fma_f64 v[173:174], -v[156:157], v[171:172], 1.0
	v_fma_f64 v[171:172], v[171:172], v[173:174], v[171:172]
	v_div_scale_f64 v[173:174], vcc_lo, 1.0, v[154:155], 1.0
	v_mul_f64 v[175:176], v[173:174], v[171:172]
	v_fma_f64 v[156:157], -v[156:157], v[175:176], v[173:174]
	v_div_fmas_f64 v[156:157], v[156:157], v[171:172], v[175:176]
	v_div_fixup_f64 v[156:157], v[156:157], v[154:155], 1.0
	v_mul_f64 v[154:155], v[169:170], v[156:157]
	v_xor_b32_e32 v157, 0x80000000, v157
.LBB74_196:
	s_andn2_saveexec_b32 s3, s3
	s_cbranch_execz .LBB74_198
; %bb.197:
	v_div_scale_f64 v[169:170], null, v[154:155], v[154:155], v[156:157]
	v_div_scale_f64 v[175:176], vcc_lo, v[156:157], v[154:155], v[156:157]
	v_rcp_f64_e32 v[171:172], v[169:170]
	v_fma_f64 v[173:174], -v[169:170], v[171:172], 1.0
	v_fma_f64 v[171:172], v[171:172], v[173:174], v[171:172]
	v_fma_f64 v[173:174], -v[169:170], v[171:172], 1.0
	v_fma_f64 v[171:172], v[171:172], v[173:174], v[171:172]
	v_mul_f64 v[173:174], v[175:176], v[171:172]
	v_fma_f64 v[169:170], -v[169:170], v[173:174], v[175:176]
	v_div_fmas_f64 v[169:170], v[169:170], v[171:172], v[173:174]
	v_div_fixup_f64 v[169:170], v[169:170], v[154:155], v[156:157]
	v_fma_f64 v[154:155], v[156:157], v[169:170], v[154:155]
	v_div_scale_f64 v[156:157], null, v[154:155], v[154:155], 1.0
	v_rcp_f64_e32 v[171:172], v[156:157]
	v_fma_f64 v[173:174], -v[156:157], v[171:172], 1.0
	v_fma_f64 v[171:172], v[171:172], v[173:174], v[171:172]
	v_fma_f64 v[173:174], -v[156:157], v[171:172], 1.0
	v_fma_f64 v[171:172], v[171:172], v[173:174], v[171:172]
	v_div_scale_f64 v[173:174], vcc_lo, 1.0, v[154:155], 1.0
	v_mul_f64 v[175:176], v[173:174], v[171:172]
	v_fma_f64 v[156:157], -v[156:157], v[175:176], v[173:174]
	v_div_fmas_f64 v[156:157], v[156:157], v[171:172], v[175:176]
	v_div_fixup_f64 v[154:155], v[156:157], v[154:155], 1.0
	v_mul_f64 v[156:157], v[169:170], -v[154:155]
.LBB74_198:
	s_or_b32 exec_lo, exec_lo, s3
.LBB74_199:
	s_or_b32 exec_lo, exec_lo, s0
	s_mov_b32 s0, exec_lo
	v_cmpx_ne_u32_e64 v168, v162
	s_xor_b32 s0, exec_lo, s0
	s_cbranch_execz .LBB74_205
; %bb.200:
	s_mov_b32 s3, exec_lo
	v_cmpx_eq_u32_e32 9, v168
	s_cbranch_execz .LBB74_204
; %bb.201:
	v_cmp_ne_u32_e32 vcc_lo, 9, v162
	s_xor_b32 s8, s16, -1
	s_and_b32 s9, s8, vcc_lo
	s_and_saveexec_b32 s8, s9
	s_cbranch_execz .LBB74_203
; %bb.202:
	v_ashrrev_i32_e32 v163, 31, v162
	v_lshlrev_b64 v[168:169], 2, v[162:163]
	v_add_co_u32 v168, vcc_lo, v160, v168
	v_add_co_ci_u32_e64 v169, null, v161, v169, vcc_lo
	s_clause 0x1
	global_load_dword v0, v[168:169], off
	global_load_dword v163, v[160:161], off offset:36
	s_waitcnt vmcnt(1)
	global_store_dword v[160:161], v0, off offset:36
	s_waitcnt vmcnt(0)
	global_store_dword v[168:169], v163, off
.LBB74_203:
	s_or_b32 exec_lo, exec_lo, s8
	v_mov_b32_e32 v168, v162
	v_mov_b32_e32 v0, v162
.LBB74_204:
	s_or_b32 exec_lo, exec_lo, s3
.LBB74_205:
	s_andn2_saveexec_b32 s0, s0
	s_cbranch_execz .LBB74_207
; %bb.206:
	v_mov_b32_e32 v168, 9
	ds_write2_b64 v1, v[118:119], v[120:121] offset0:20 offset1:21
	ds_write2_b64 v1, v[102:103], v[104:105] offset0:22 offset1:23
	;; [unrolled: 1-line block ×28, first 2 shown]
.LBB74_207:
	s_or_b32 exec_lo, exec_lo, s0
	s_mov_b32 s0, exec_lo
	s_waitcnt lgkmcnt(0)
	s_waitcnt_vscnt null, 0x0
	s_barrier
	buffer_gl0_inv
	v_cmpx_lt_i32_e32 9, v168
	s_cbranch_execz .LBB74_209
; %bb.208:
	v_mul_f64 v[162:163], v[156:157], v[112:113]
	v_mul_f64 v[112:113], v[154:155], v[112:113]
	v_fma_f64 v[162:163], v[154:155], v[110:111], -v[162:163]
	v_fma_f64 v[112:113], v[156:157], v[110:111], v[112:113]
	ds_read2_b64 v[154:157], v1 offset0:20 offset1:21
	s_waitcnt lgkmcnt(0)
	v_mul_f64 v[110:111], v[156:157], v[112:113]
	v_fma_f64 v[110:111], v[154:155], v[162:163], -v[110:111]
	v_mul_f64 v[154:155], v[154:155], v[112:113]
	v_add_f64 v[118:119], v[118:119], -v[110:111]
	v_fma_f64 v[154:155], v[156:157], v[162:163], v[154:155]
	v_add_f64 v[120:121], v[120:121], -v[154:155]
	ds_read2_b64 v[154:157], v1 offset0:22 offset1:23
	s_waitcnt lgkmcnt(0)
	v_mul_f64 v[110:111], v[156:157], v[112:113]
	v_fma_f64 v[110:111], v[154:155], v[162:163], -v[110:111]
	v_mul_f64 v[154:155], v[154:155], v[112:113]
	v_add_f64 v[102:103], v[102:103], -v[110:111]
	v_fma_f64 v[154:155], v[156:157], v[162:163], v[154:155]
	v_add_f64 v[104:105], v[104:105], -v[154:155]
	;; [unrolled: 8-line block ×27, first 2 shown]
	ds_read2_b64 v[154:157], v1 offset0:74 offset1:75
	s_waitcnt lgkmcnt(0)
	v_mul_f64 v[110:111], v[156:157], v[112:113]
	v_fma_f64 v[110:111], v[154:155], v[162:163], -v[110:111]
	v_mul_f64 v[154:155], v[154:155], v[112:113]
	v_add_f64 v[2:3], v[2:3], -v[110:111]
	v_fma_f64 v[154:155], v[156:157], v[162:163], v[154:155]
	v_mov_b32_e32 v110, v162
	v_mov_b32_e32 v111, v163
	v_add_f64 v[4:5], v[4:5], -v[154:155]
.LBB74_209:
	s_or_b32 exec_lo, exec_lo, s0
	v_lshl_add_u32 v154, v168, 4, v1
	s_barrier
	buffer_gl0_inv
	v_mov_b32_e32 v162, 10
	ds_write2_b64 v154, v[118:119], v[120:121] offset1:1
	s_waitcnt lgkmcnt(0)
	s_barrier
	buffer_gl0_inv
	ds_read2_b64 v[154:157], v1 offset0:20 offset1:21
	s_cmp_lt_i32 s1, 12
	s_cbranch_scc1 .LBB74_212
; %bb.210:
	v_add3_u32 v163, v164, 0, 0xb0
	v_mov_b32_e32 v162, 10
	s_mov_b32 s3, 11
	s_inst_prefetch 0x1
	.p2align	6
.LBB74_211:                             ; =>This Inner Loop Header: Depth=1
	s_waitcnt lgkmcnt(0)
	v_cmp_gt_f64_e32 vcc_lo, 0, v[156:157]
	v_cmp_gt_f64_e64 s0, 0, v[154:155]
	ds_read2_b64 v[169:172], v163 offset1:1
	v_xor_b32_e32 v174, 0x80000000, v155
	v_xor_b32_e32 v176, 0x80000000, v157
	v_mov_b32_e32 v173, v154
	v_mov_b32_e32 v175, v156
	v_add_nc_u32_e32 v163, 16, v163
	s_waitcnt lgkmcnt(0)
	v_xor_b32_e32 v178, 0x80000000, v172
	v_cndmask_b32_e64 v174, v155, v174, s0
	v_cndmask_b32_e32 v176, v157, v176, vcc_lo
	v_cmp_gt_f64_e32 vcc_lo, 0, v[171:172]
	v_cmp_gt_f64_e64 s0, 0, v[169:170]
	v_mov_b32_e32 v177, v171
	v_add_f64 v[173:174], v[173:174], v[175:176]
	v_xor_b32_e32 v176, 0x80000000, v170
	v_mov_b32_e32 v175, v169
	v_cndmask_b32_e32 v178, v172, v178, vcc_lo
	v_cndmask_b32_e64 v176, v170, v176, s0
	v_add_f64 v[175:176], v[175:176], v[177:178]
	v_cmp_lt_f64_e32 vcc_lo, v[173:174], v[175:176]
	v_cndmask_b32_e32 v155, v155, v170, vcc_lo
	v_cndmask_b32_e32 v154, v154, v169, vcc_lo
	;; [unrolled: 1-line block ×4, first 2 shown]
	v_cndmask_b32_e64 v162, v162, s3, vcc_lo
	s_add_i32 s3, s3, 1
	s_cmp_lg_u32 s1, s3
	s_cbranch_scc1 .LBB74_211
.LBB74_212:
	s_inst_prefetch 0x2
	s_waitcnt lgkmcnt(0)
	v_cmp_eq_f64_e32 vcc_lo, 0, v[154:155]
	v_cmp_eq_f64_e64 s0, 0, v[156:157]
	s_and_b32 s0, vcc_lo, s0
	s_and_saveexec_b32 s3, s0
	s_xor_b32 s0, exec_lo, s3
; %bb.213:
	v_cmp_ne_u32_e32 vcc_lo, 0, v167
	v_cndmask_b32_e32 v167, 11, v167, vcc_lo
; %bb.214:
	s_andn2_saveexec_b32 s0, s0
	s_cbranch_execz .LBB74_220
; %bb.215:
	v_cmp_ngt_f64_e64 s3, |v[154:155]|, |v[156:157]|
	s_and_saveexec_b32 s8, s3
	s_xor_b32 s3, exec_lo, s8
	s_cbranch_execz .LBB74_217
; %bb.216:
	v_div_scale_f64 v[169:170], null, v[156:157], v[156:157], v[154:155]
	v_div_scale_f64 v[175:176], vcc_lo, v[154:155], v[156:157], v[154:155]
	v_rcp_f64_e32 v[171:172], v[169:170]
	v_fma_f64 v[173:174], -v[169:170], v[171:172], 1.0
	v_fma_f64 v[171:172], v[171:172], v[173:174], v[171:172]
	v_fma_f64 v[173:174], -v[169:170], v[171:172], 1.0
	v_fma_f64 v[171:172], v[171:172], v[173:174], v[171:172]
	v_mul_f64 v[173:174], v[175:176], v[171:172]
	v_fma_f64 v[169:170], -v[169:170], v[173:174], v[175:176]
	v_div_fmas_f64 v[169:170], v[169:170], v[171:172], v[173:174]
	v_div_fixup_f64 v[169:170], v[169:170], v[156:157], v[154:155]
	v_fma_f64 v[154:155], v[154:155], v[169:170], v[156:157]
	v_div_scale_f64 v[156:157], null, v[154:155], v[154:155], 1.0
	v_rcp_f64_e32 v[171:172], v[156:157]
	v_fma_f64 v[173:174], -v[156:157], v[171:172], 1.0
	v_fma_f64 v[171:172], v[171:172], v[173:174], v[171:172]
	v_fma_f64 v[173:174], -v[156:157], v[171:172], 1.0
	v_fma_f64 v[171:172], v[171:172], v[173:174], v[171:172]
	v_div_scale_f64 v[173:174], vcc_lo, 1.0, v[154:155], 1.0
	v_mul_f64 v[175:176], v[173:174], v[171:172]
	v_fma_f64 v[156:157], -v[156:157], v[175:176], v[173:174]
	v_div_fmas_f64 v[156:157], v[156:157], v[171:172], v[175:176]
	v_div_fixup_f64 v[156:157], v[156:157], v[154:155], 1.0
	v_mul_f64 v[154:155], v[169:170], v[156:157]
	v_xor_b32_e32 v157, 0x80000000, v157
.LBB74_217:
	s_andn2_saveexec_b32 s3, s3
	s_cbranch_execz .LBB74_219
; %bb.218:
	v_div_scale_f64 v[169:170], null, v[154:155], v[154:155], v[156:157]
	v_div_scale_f64 v[175:176], vcc_lo, v[156:157], v[154:155], v[156:157]
	v_rcp_f64_e32 v[171:172], v[169:170]
	v_fma_f64 v[173:174], -v[169:170], v[171:172], 1.0
	v_fma_f64 v[171:172], v[171:172], v[173:174], v[171:172]
	v_fma_f64 v[173:174], -v[169:170], v[171:172], 1.0
	v_fma_f64 v[171:172], v[171:172], v[173:174], v[171:172]
	v_mul_f64 v[173:174], v[175:176], v[171:172]
	v_fma_f64 v[169:170], -v[169:170], v[173:174], v[175:176]
	v_div_fmas_f64 v[169:170], v[169:170], v[171:172], v[173:174]
	v_div_fixup_f64 v[169:170], v[169:170], v[154:155], v[156:157]
	v_fma_f64 v[154:155], v[156:157], v[169:170], v[154:155]
	v_div_scale_f64 v[156:157], null, v[154:155], v[154:155], 1.0
	v_rcp_f64_e32 v[171:172], v[156:157]
	v_fma_f64 v[173:174], -v[156:157], v[171:172], 1.0
	v_fma_f64 v[171:172], v[171:172], v[173:174], v[171:172]
	v_fma_f64 v[173:174], -v[156:157], v[171:172], 1.0
	v_fma_f64 v[171:172], v[171:172], v[173:174], v[171:172]
	v_div_scale_f64 v[173:174], vcc_lo, 1.0, v[154:155], 1.0
	v_mul_f64 v[175:176], v[173:174], v[171:172]
	v_fma_f64 v[156:157], -v[156:157], v[175:176], v[173:174]
	v_div_fmas_f64 v[156:157], v[156:157], v[171:172], v[175:176]
	v_div_fixup_f64 v[154:155], v[156:157], v[154:155], 1.0
	v_mul_f64 v[156:157], v[169:170], -v[154:155]
.LBB74_219:
	s_or_b32 exec_lo, exec_lo, s3
.LBB74_220:
	s_or_b32 exec_lo, exec_lo, s0
	s_mov_b32 s0, exec_lo
	v_cmpx_ne_u32_e64 v168, v162
	s_xor_b32 s0, exec_lo, s0
	s_cbranch_execz .LBB74_226
; %bb.221:
	s_mov_b32 s3, exec_lo
	v_cmpx_eq_u32_e32 10, v168
	s_cbranch_execz .LBB74_225
; %bb.222:
	v_cmp_ne_u32_e32 vcc_lo, 10, v162
	s_xor_b32 s8, s16, -1
	s_and_b32 s9, s8, vcc_lo
	s_and_saveexec_b32 s8, s9
	s_cbranch_execz .LBB74_224
; %bb.223:
	v_ashrrev_i32_e32 v163, 31, v162
	v_lshlrev_b64 v[168:169], 2, v[162:163]
	v_add_co_u32 v168, vcc_lo, v160, v168
	v_add_co_ci_u32_e64 v169, null, v161, v169, vcc_lo
	s_clause 0x1
	global_load_dword v0, v[168:169], off
	global_load_dword v163, v[160:161], off offset:40
	s_waitcnt vmcnt(1)
	global_store_dword v[160:161], v0, off offset:40
	s_waitcnt vmcnt(0)
	global_store_dword v[168:169], v163, off
.LBB74_224:
	s_or_b32 exec_lo, exec_lo, s8
	v_mov_b32_e32 v168, v162
	v_mov_b32_e32 v0, v162
.LBB74_225:
	s_or_b32 exec_lo, exec_lo, s3
.LBB74_226:
	s_andn2_saveexec_b32 s0, s0
	s_cbranch_execz .LBB74_228
; %bb.227:
	v_mov_b32_e32 v168, 10
	ds_write2_b64 v1, v[102:103], v[104:105] offset0:22 offset1:23
	ds_write2_b64 v1, v[106:107], v[108:109] offset0:24 offset1:25
	;; [unrolled: 1-line block ×27, first 2 shown]
.LBB74_228:
	s_or_b32 exec_lo, exec_lo, s0
	s_mov_b32 s0, exec_lo
	s_waitcnt lgkmcnt(0)
	s_waitcnt_vscnt null, 0x0
	s_barrier
	buffer_gl0_inv
	v_cmpx_lt_i32_e32 10, v168
	s_cbranch_execz .LBB74_230
; %bb.229:
	v_mul_f64 v[162:163], v[156:157], v[120:121]
	v_mul_f64 v[120:121], v[154:155], v[120:121]
	v_fma_f64 v[162:163], v[154:155], v[118:119], -v[162:163]
	v_fma_f64 v[120:121], v[156:157], v[118:119], v[120:121]
	ds_read2_b64 v[154:157], v1 offset0:22 offset1:23
	s_waitcnt lgkmcnt(0)
	v_mul_f64 v[118:119], v[156:157], v[120:121]
	v_fma_f64 v[118:119], v[154:155], v[162:163], -v[118:119]
	v_mul_f64 v[154:155], v[154:155], v[120:121]
	v_add_f64 v[102:103], v[102:103], -v[118:119]
	v_fma_f64 v[154:155], v[156:157], v[162:163], v[154:155]
	v_add_f64 v[104:105], v[104:105], -v[154:155]
	ds_read2_b64 v[154:157], v1 offset0:24 offset1:25
	s_waitcnt lgkmcnt(0)
	v_mul_f64 v[118:119], v[156:157], v[120:121]
	v_fma_f64 v[118:119], v[154:155], v[162:163], -v[118:119]
	v_mul_f64 v[154:155], v[154:155], v[120:121]
	v_add_f64 v[106:107], v[106:107], -v[118:119]
	v_fma_f64 v[154:155], v[156:157], v[162:163], v[154:155]
	v_add_f64 v[108:109], v[108:109], -v[154:155]
	;; [unrolled: 8-line block ×26, first 2 shown]
	ds_read2_b64 v[154:157], v1 offset0:74 offset1:75
	s_waitcnt lgkmcnt(0)
	v_mul_f64 v[118:119], v[156:157], v[120:121]
	v_fma_f64 v[118:119], v[154:155], v[162:163], -v[118:119]
	v_mul_f64 v[154:155], v[154:155], v[120:121]
	v_add_f64 v[2:3], v[2:3], -v[118:119]
	v_fma_f64 v[154:155], v[156:157], v[162:163], v[154:155]
	v_mov_b32_e32 v118, v162
	v_mov_b32_e32 v119, v163
	v_add_f64 v[4:5], v[4:5], -v[154:155]
.LBB74_230:
	s_or_b32 exec_lo, exec_lo, s0
	v_lshl_add_u32 v154, v168, 4, v1
	s_barrier
	buffer_gl0_inv
	v_mov_b32_e32 v162, 11
	ds_write2_b64 v154, v[102:103], v[104:105] offset1:1
	s_waitcnt lgkmcnt(0)
	s_barrier
	buffer_gl0_inv
	ds_read2_b64 v[154:157], v1 offset0:22 offset1:23
	s_cmp_lt_i32 s1, 13
	s_cbranch_scc1 .LBB74_233
; %bb.231:
	v_add3_u32 v163, v164, 0, 0xc0
	v_mov_b32_e32 v162, 11
	s_mov_b32 s3, 12
	s_inst_prefetch 0x1
	.p2align	6
.LBB74_232:                             ; =>This Inner Loop Header: Depth=1
	s_waitcnt lgkmcnt(0)
	v_cmp_gt_f64_e32 vcc_lo, 0, v[156:157]
	v_cmp_gt_f64_e64 s0, 0, v[154:155]
	ds_read2_b64 v[169:172], v163 offset1:1
	v_xor_b32_e32 v174, 0x80000000, v155
	v_xor_b32_e32 v176, 0x80000000, v157
	v_mov_b32_e32 v173, v154
	v_mov_b32_e32 v175, v156
	v_add_nc_u32_e32 v163, 16, v163
	s_waitcnt lgkmcnt(0)
	v_xor_b32_e32 v178, 0x80000000, v172
	v_cndmask_b32_e64 v174, v155, v174, s0
	v_cndmask_b32_e32 v176, v157, v176, vcc_lo
	v_cmp_gt_f64_e32 vcc_lo, 0, v[171:172]
	v_cmp_gt_f64_e64 s0, 0, v[169:170]
	v_mov_b32_e32 v177, v171
	v_add_f64 v[173:174], v[173:174], v[175:176]
	v_xor_b32_e32 v176, 0x80000000, v170
	v_mov_b32_e32 v175, v169
	v_cndmask_b32_e32 v178, v172, v178, vcc_lo
	v_cndmask_b32_e64 v176, v170, v176, s0
	v_add_f64 v[175:176], v[175:176], v[177:178]
	v_cmp_lt_f64_e32 vcc_lo, v[173:174], v[175:176]
	v_cndmask_b32_e32 v155, v155, v170, vcc_lo
	v_cndmask_b32_e32 v154, v154, v169, vcc_lo
	;; [unrolled: 1-line block ×4, first 2 shown]
	v_cndmask_b32_e64 v162, v162, s3, vcc_lo
	s_add_i32 s3, s3, 1
	s_cmp_lg_u32 s1, s3
	s_cbranch_scc1 .LBB74_232
.LBB74_233:
	s_inst_prefetch 0x2
	s_waitcnt lgkmcnt(0)
	v_cmp_eq_f64_e32 vcc_lo, 0, v[154:155]
	v_cmp_eq_f64_e64 s0, 0, v[156:157]
	s_and_b32 s0, vcc_lo, s0
	s_and_saveexec_b32 s3, s0
	s_xor_b32 s0, exec_lo, s3
; %bb.234:
	v_cmp_ne_u32_e32 vcc_lo, 0, v167
	v_cndmask_b32_e32 v167, 12, v167, vcc_lo
; %bb.235:
	s_andn2_saveexec_b32 s0, s0
	s_cbranch_execz .LBB74_241
; %bb.236:
	v_cmp_ngt_f64_e64 s3, |v[154:155]|, |v[156:157]|
	s_and_saveexec_b32 s8, s3
	s_xor_b32 s3, exec_lo, s8
	s_cbranch_execz .LBB74_238
; %bb.237:
	v_div_scale_f64 v[169:170], null, v[156:157], v[156:157], v[154:155]
	v_div_scale_f64 v[175:176], vcc_lo, v[154:155], v[156:157], v[154:155]
	v_rcp_f64_e32 v[171:172], v[169:170]
	v_fma_f64 v[173:174], -v[169:170], v[171:172], 1.0
	v_fma_f64 v[171:172], v[171:172], v[173:174], v[171:172]
	v_fma_f64 v[173:174], -v[169:170], v[171:172], 1.0
	v_fma_f64 v[171:172], v[171:172], v[173:174], v[171:172]
	v_mul_f64 v[173:174], v[175:176], v[171:172]
	v_fma_f64 v[169:170], -v[169:170], v[173:174], v[175:176]
	v_div_fmas_f64 v[169:170], v[169:170], v[171:172], v[173:174]
	v_div_fixup_f64 v[169:170], v[169:170], v[156:157], v[154:155]
	v_fma_f64 v[154:155], v[154:155], v[169:170], v[156:157]
	v_div_scale_f64 v[156:157], null, v[154:155], v[154:155], 1.0
	v_rcp_f64_e32 v[171:172], v[156:157]
	v_fma_f64 v[173:174], -v[156:157], v[171:172], 1.0
	v_fma_f64 v[171:172], v[171:172], v[173:174], v[171:172]
	v_fma_f64 v[173:174], -v[156:157], v[171:172], 1.0
	v_fma_f64 v[171:172], v[171:172], v[173:174], v[171:172]
	v_div_scale_f64 v[173:174], vcc_lo, 1.0, v[154:155], 1.0
	v_mul_f64 v[175:176], v[173:174], v[171:172]
	v_fma_f64 v[156:157], -v[156:157], v[175:176], v[173:174]
	v_div_fmas_f64 v[156:157], v[156:157], v[171:172], v[175:176]
	v_div_fixup_f64 v[156:157], v[156:157], v[154:155], 1.0
	v_mul_f64 v[154:155], v[169:170], v[156:157]
	v_xor_b32_e32 v157, 0x80000000, v157
.LBB74_238:
	s_andn2_saveexec_b32 s3, s3
	s_cbranch_execz .LBB74_240
; %bb.239:
	v_div_scale_f64 v[169:170], null, v[154:155], v[154:155], v[156:157]
	v_div_scale_f64 v[175:176], vcc_lo, v[156:157], v[154:155], v[156:157]
	v_rcp_f64_e32 v[171:172], v[169:170]
	v_fma_f64 v[173:174], -v[169:170], v[171:172], 1.0
	v_fma_f64 v[171:172], v[171:172], v[173:174], v[171:172]
	v_fma_f64 v[173:174], -v[169:170], v[171:172], 1.0
	v_fma_f64 v[171:172], v[171:172], v[173:174], v[171:172]
	v_mul_f64 v[173:174], v[175:176], v[171:172]
	v_fma_f64 v[169:170], -v[169:170], v[173:174], v[175:176]
	v_div_fmas_f64 v[169:170], v[169:170], v[171:172], v[173:174]
	v_div_fixup_f64 v[169:170], v[169:170], v[154:155], v[156:157]
	v_fma_f64 v[154:155], v[156:157], v[169:170], v[154:155]
	v_div_scale_f64 v[156:157], null, v[154:155], v[154:155], 1.0
	v_rcp_f64_e32 v[171:172], v[156:157]
	v_fma_f64 v[173:174], -v[156:157], v[171:172], 1.0
	v_fma_f64 v[171:172], v[171:172], v[173:174], v[171:172]
	v_fma_f64 v[173:174], -v[156:157], v[171:172], 1.0
	v_fma_f64 v[171:172], v[171:172], v[173:174], v[171:172]
	v_div_scale_f64 v[173:174], vcc_lo, 1.0, v[154:155], 1.0
	v_mul_f64 v[175:176], v[173:174], v[171:172]
	v_fma_f64 v[156:157], -v[156:157], v[175:176], v[173:174]
	v_div_fmas_f64 v[156:157], v[156:157], v[171:172], v[175:176]
	v_div_fixup_f64 v[154:155], v[156:157], v[154:155], 1.0
	v_mul_f64 v[156:157], v[169:170], -v[154:155]
.LBB74_240:
	s_or_b32 exec_lo, exec_lo, s3
.LBB74_241:
	s_or_b32 exec_lo, exec_lo, s0
	s_mov_b32 s0, exec_lo
	v_cmpx_ne_u32_e64 v168, v162
	s_xor_b32 s0, exec_lo, s0
	s_cbranch_execz .LBB74_247
; %bb.242:
	s_mov_b32 s3, exec_lo
	v_cmpx_eq_u32_e32 11, v168
	s_cbranch_execz .LBB74_246
; %bb.243:
	v_cmp_ne_u32_e32 vcc_lo, 11, v162
	s_xor_b32 s8, s16, -1
	s_and_b32 s9, s8, vcc_lo
	s_and_saveexec_b32 s8, s9
	s_cbranch_execz .LBB74_245
; %bb.244:
	v_ashrrev_i32_e32 v163, 31, v162
	v_lshlrev_b64 v[168:169], 2, v[162:163]
	v_add_co_u32 v168, vcc_lo, v160, v168
	v_add_co_ci_u32_e64 v169, null, v161, v169, vcc_lo
	s_clause 0x1
	global_load_dword v0, v[168:169], off
	global_load_dword v163, v[160:161], off offset:44
	s_waitcnt vmcnt(1)
	global_store_dword v[160:161], v0, off offset:44
	s_waitcnt vmcnt(0)
	global_store_dword v[168:169], v163, off
.LBB74_245:
	s_or_b32 exec_lo, exec_lo, s8
	v_mov_b32_e32 v168, v162
	v_mov_b32_e32 v0, v162
.LBB74_246:
	s_or_b32 exec_lo, exec_lo, s3
.LBB74_247:
	s_andn2_saveexec_b32 s0, s0
	s_cbranch_execz .LBB74_249
; %bb.248:
	v_mov_b32_e32 v168, 11
	ds_write2_b64 v1, v[106:107], v[108:109] offset0:24 offset1:25
	ds_write2_b64 v1, v[90:91], v[92:93] offset0:26 offset1:27
	;; [unrolled: 1-line block ×26, first 2 shown]
.LBB74_249:
	s_or_b32 exec_lo, exec_lo, s0
	s_mov_b32 s0, exec_lo
	s_waitcnt lgkmcnt(0)
	s_waitcnt_vscnt null, 0x0
	s_barrier
	buffer_gl0_inv
	v_cmpx_lt_i32_e32 11, v168
	s_cbranch_execz .LBB74_251
; %bb.250:
	v_mul_f64 v[162:163], v[156:157], v[104:105]
	v_mul_f64 v[104:105], v[154:155], v[104:105]
	v_fma_f64 v[162:163], v[154:155], v[102:103], -v[162:163]
	v_fma_f64 v[104:105], v[156:157], v[102:103], v[104:105]
	ds_read2_b64 v[154:157], v1 offset0:24 offset1:25
	s_waitcnt lgkmcnt(0)
	v_mul_f64 v[102:103], v[156:157], v[104:105]
	v_fma_f64 v[102:103], v[154:155], v[162:163], -v[102:103]
	v_mul_f64 v[154:155], v[154:155], v[104:105]
	v_add_f64 v[106:107], v[106:107], -v[102:103]
	v_fma_f64 v[154:155], v[156:157], v[162:163], v[154:155]
	v_add_f64 v[108:109], v[108:109], -v[154:155]
	ds_read2_b64 v[154:157], v1 offset0:26 offset1:27
	s_waitcnt lgkmcnt(0)
	v_mul_f64 v[102:103], v[156:157], v[104:105]
	v_fma_f64 v[102:103], v[154:155], v[162:163], -v[102:103]
	v_mul_f64 v[154:155], v[154:155], v[104:105]
	v_add_f64 v[90:91], v[90:91], -v[102:103]
	v_fma_f64 v[154:155], v[156:157], v[162:163], v[154:155]
	v_add_f64 v[92:93], v[92:93], -v[154:155]
	;; [unrolled: 8-line block ×25, first 2 shown]
	ds_read2_b64 v[154:157], v1 offset0:74 offset1:75
	s_waitcnt lgkmcnt(0)
	v_mul_f64 v[102:103], v[156:157], v[104:105]
	v_fma_f64 v[102:103], v[154:155], v[162:163], -v[102:103]
	v_mul_f64 v[154:155], v[154:155], v[104:105]
	v_add_f64 v[2:3], v[2:3], -v[102:103]
	v_fma_f64 v[154:155], v[156:157], v[162:163], v[154:155]
	v_mov_b32_e32 v102, v162
	v_mov_b32_e32 v103, v163
	v_add_f64 v[4:5], v[4:5], -v[154:155]
.LBB74_251:
	s_or_b32 exec_lo, exec_lo, s0
	v_lshl_add_u32 v154, v168, 4, v1
	s_barrier
	buffer_gl0_inv
	v_mov_b32_e32 v162, 12
	ds_write2_b64 v154, v[106:107], v[108:109] offset1:1
	s_waitcnt lgkmcnt(0)
	s_barrier
	buffer_gl0_inv
	ds_read2_b64 v[154:157], v1 offset0:24 offset1:25
	s_cmp_lt_i32 s1, 14
	s_cbranch_scc1 .LBB74_254
; %bb.252:
	v_add3_u32 v163, v164, 0, 0xd0
	v_mov_b32_e32 v162, 12
	s_mov_b32 s3, 13
	s_inst_prefetch 0x1
	.p2align	6
.LBB74_253:                             ; =>This Inner Loop Header: Depth=1
	s_waitcnt lgkmcnt(0)
	v_cmp_gt_f64_e32 vcc_lo, 0, v[156:157]
	v_cmp_gt_f64_e64 s0, 0, v[154:155]
	ds_read2_b64 v[169:172], v163 offset1:1
	v_xor_b32_e32 v174, 0x80000000, v155
	v_xor_b32_e32 v176, 0x80000000, v157
	v_mov_b32_e32 v173, v154
	v_mov_b32_e32 v175, v156
	v_add_nc_u32_e32 v163, 16, v163
	s_waitcnt lgkmcnt(0)
	v_xor_b32_e32 v178, 0x80000000, v172
	v_cndmask_b32_e64 v174, v155, v174, s0
	v_cndmask_b32_e32 v176, v157, v176, vcc_lo
	v_cmp_gt_f64_e32 vcc_lo, 0, v[171:172]
	v_cmp_gt_f64_e64 s0, 0, v[169:170]
	v_mov_b32_e32 v177, v171
	v_add_f64 v[173:174], v[173:174], v[175:176]
	v_xor_b32_e32 v176, 0x80000000, v170
	v_mov_b32_e32 v175, v169
	v_cndmask_b32_e32 v178, v172, v178, vcc_lo
	v_cndmask_b32_e64 v176, v170, v176, s0
	v_add_f64 v[175:176], v[175:176], v[177:178]
	v_cmp_lt_f64_e32 vcc_lo, v[173:174], v[175:176]
	v_cndmask_b32_e32 v155, v155, v170, vcc_lo
	v_cndmask_b32_e32 v154, v154, v169, vcc_lo
	;; [unrolled: 1-line block ×4, first 2 shown]
	v_cndmask_b32_e64 v162, v162, s3, vcc_lo
	s_add_i32 s3, s3, 1
	s_cmp_lg_u32 s1, s3
	s_cbranch_scc1 .LBB74_253
.LBB74_254:
	s_inst_prefetch 0x2
	s_waitcnt lgkmcnt(0)
	v_cmp_eq_f64_e32 vcc_lo, 0, v[154:155]
	v_cmp_eq_f64_e64 s0, 0, v[156:157]
	s_and_b32 s0, vcc_lo, s0
	s_and_saveexec_b32 s3, s0
	s_xor_b32 s0, exec_lo, s3
; %bb.255:
	v_cmp_ne_u32_e32 vcc_lo, 0, v167
	v_cndmask_b32_e32 v167, 13, v167, vcc_lo
; %bb.256:
	s_andn2_saveexec_b32 s0, s0
	s_cbranch_execz .LBB74_262
; %bb.257:
	v_cmp_ngt_f64_e64 s3, |v[154:155]|, |v[156:157]|
	s_and_saveexec_b32 s8, s3
	s_xor_b32 s3, exec_lo, s8
	s_cbranch_execz .LBB74_259
; %bb.258:
	v_div_scale_f64 v[169:170], null, v[156:157], v[156:157], v[154:155]
	v_div_scale_f64 v[175:176], vcc_lo, v[154:155], v[156:157], v[154:155]
	v_rcp_f64_e32 v[171:172], v[169:170]
	v_fma_f64 v[173:174], -v[169:170], v[171:172], 1.0
	v_fma_f64 v[171:172], v[171:172], v[173:174], v[171:172]
	v_fma_f64 v[173:174], -v[169:170], v[171:172], 1.0
	v_fma_f64 v[171:172], v[171:172], v[173:174], v[171:172]
	v_mul_f64 v[173:174], v[175:176], v[171:172]
	v_fma_f64 v[169:170], -v[169:170], v[173:174], v[175:176]
	v_div_fmas_f64 v[169:170], v[169:170], v[171:172], v[173:174]
	v_div_fixup_f64 v[169:170], v[169:170], v[156:157], v[154:155]
	v_fma_f64 v[154:155], v[154:155], v[169:170], v[156:157]
	v_div_scale_f64 v[156:157], null, v[154:155], v[154:155], 1.0
	v_rcp_f64_e32 v[171:172], v[156:157]
	v_fma_f64 v[173:174], -v[156:157], v[171:172], 1.0
	v_fma_f64 v[171:172], v[171:172], v[173:174], v[171:172]
	v_fma_f64 v[173:174], -v[156:157], v[171:172], 1.0
	v_fma_f64 v[171:172], v[171:172], v[173:174], v[171:172]
	v_div_scale_f64 v[173:174], vcc_lo, 1.0, v[154:155], 1.0
	v_mul_f64 v[175:176], v[173:174], v[171:172]
	v_fma_f64 v[156:157], -v[156:157], v[175:176], v[173:174]
	v_div_fmas_f64 v[156:157], v[156:157], v[171:172], v[175:176]
	v_div_fixup_f64 v[156:157], v[156:157], v[154:155], 1.0
	v_mul_f64 v[154:155], v[169:170], v[156:157]
	v_xor_b32_e32 v157, 0x80000000, v157
.LBB74_259:
	s_andn2_saveexec_b32 s3, s3
	s_cbranch_execz .LBB74_261
; %bb.260:
	v_div_scale_f64 v[169:170], null, v[154:155], v[154:155], v[156:157]
	v_div_scale_f64 v[175:176], vcc_lo, v[156:157], v[154:155], v[156:157]
	v_rcp_f64_e32 v[171:172], v[169:170]
	v_fma_f64 v[173:174], -v[169:170], v[171:172], 1.0
	v_fma_f64 v[171:172], v[171:172], v[173:174], v[171:172]
	v_fma_f64 v[173:174], -v[169:170], v[171:172], 1.0
	v_fma_f64 v[171:172], v[171:172], v[173:174], v[171:172]
	v_mul_f64 v[173:174], v[175:176], v[171:172]
	v_fma_f64 v[169:170], -v[169:170], v[173:174], v[175:176]
	v_div_fmas_f64 v[169:170], v[169:170], v[171:172], v[173:174]
	v_div_fixup_f64 v[169:170], v[169:170], v[154:155], v[156:157]
	v_fma_f64 v[154:155], v[156:157], v[169:170], v[154:155]
	v_div_scale_f64 v[156:157], null, v[154:155], v[154:155], 1.0
	v_rcp_f64_e32 v[171:172], v[156:157]
	v_fma_f64 v[173:174], -v[156:157], v[171:172], 1.0
	v_fma_f64 v[171:172], v[171:172], v[173:174], v[171:172]
	v_fma_f64 v[173:174], -v[156:157], v[171:172], 1.0
	v_fma_f64 v[171:172], v[171:172], v[173:174], v[171:172]
	v_div_scale_f64 v[173:174], vcc_lo, 1.0, v[154:155], 1.0
	v_mul_f64 v[175:176], v[173:174], v[171:172]
	v_fma_f64 v[156:157], -v[156:157], v[175:176], v[173:174]
	v_div_fmas_f64 v[156:157], v[156:157], v[171:172], v[175:176]
	v_div_fixup_f64 v[154:155], v[156:157], v[154:155], 1.0
	v_mul_f64 v[156:157], v[169:170], -v[154:155]
.LBB74_261:
	s_or_b32 exec_lo, exec_lo, s3
.LBB74_262:
	s_or_b32 exec_lo, exec_lo, s0
	s_mov_b32 s0, exec_lo
	v_cmpx_ne_u32_e64 v168, v162
	s_xor_b32 s0, exec_lo, s0
	s_cbranch_execz .LBB74_268
; %bb.263:
	s_mov_b32 s3, exec_lo
	v_cmpx_eq_u32_e32 12, v168
	s_cbranch_execz .LBB74_267
; %bb.264:
	v_cmp_ne_u32_e32 vcc_lo, 12, v162
	s_xor_b32 s8, s16, -1
	s_and_b32 s9, s8, vcc_lo
	s_and_saveexec_b32 s8, s9
	s_cbranch_execz .LBB74_266
; %bb.265:
	v_ashrrev_i32_e32 v163, 31, v162
	v_lshlrev_b64 v[168:169], 2, v[162:163]
	v_add_co_u32 v168, vcc_lo, v160, v168
	v_add_co_ci_u32_e64 v169, null, v161, v169, vcc_lo
	s_clause 0x1
	global_load_dword v0, v[168:169], off
	global_load_dword v163, v[160:161], off offset:48
	s_waitcnt vmcnt(1)
	global_store_dword v[160:161], v0, off offset:48
	s_waitcnt vmcnt(0)
	global_store_dword v[168:169], v163, off
.LBB74_266:
	s_or_b32 exec_lo, exec_lo, s8
	v_mov_b32_e32 v168, v162
	v_mov_b32_e32 v0, v162
.LBB74_267:
	s_or_b32 exec_lo, exec_lo, s3
.LBB74_268:
	s_andn2_saveexec_b32 s0, s0
	s_cbranch_execz .LBB74_270
; %bb.269:
	v_mov_b32_e32 v168, 12
	ds_write2_b64 v1, v[90:91], v[92:93] offset0:26 offset1:27
	ds_write2_b64 v1, v[98:99], v[100:101] offset0:28 offset1:29
	;; [unrolled: 1-line block ×25, first 2 shown]
.LBB74_270:
	s_or_b32 exec_lo, exec_lo, s0
	s_mov_b32 s0, exec_lo
	s_waitcnt lgkmcnt(0)
	s_waitcnt_vscnt null, 0x0
	s_barrier
	buffer_gl0_inv
	v_cmpx_lt_i32_e32 12, v168
	s_cbranch_execz .LBB74_272
; %bb.271:
	v_mul_f64 v[162:163], v[156:157], v[108:109]
	v_mul_f64 v[108:109], v[154:155], v[108:109]
	v_fma_f64 v[162:163], v[154:155], v[106:107], -v[162:163]
	v_fma_f64 v[108:109], v[156:157], v[106:107], v[108:109]
	ds_read2_b64 v[154:157], v1 offset0:26 offset1:27
	s_waitcnt lgkmcnt(0)
	v_mul_f64 v[106:107], v[156:157], v[108:109]
	v_fma_f64 v[106:107], v[154:155], v[162:163], -v[106:107]
	v_mul_f64 v[154:155], v[154:155], v[108:109]
	v_add_f64 v[90:91], v[90:91], -v[106:107]
	v_fma_f64 v[154:155], v[156:157], v[162:163], v[154:155]
	v_add_f64 v[92:93], v[92:93], -v[154:155]
	ds_read2_b64 v[154:157], v1 offset0:28 offset1:29
	s_waitcnt lgkmcnt(0)
	v_mul_f64 v[106:107], v[156:157], v[108:109]
	v_fma_f64 v[106:107], v[154:155], v[162:163], -v[106:107]
	v_mul_f64 v[154:155], v[154:155], v[108:109]
	v_add_f64 v[98:99], v[98:99], -v[106:107]
	v_fma_f64 v[154:155], v[156:157], v[162:163], v[154:155]
	v_add_f64 v[100:101], v[100:101], -v[154:155]
	;; [unrolled: 8-line block ×24, first 2 shown]
	ds_read2_b64 v[154:157], v1 offset0:74 offset1:75
	s_waitcnt lgkmcnt(0)
	v_mul_f64 v[106:107], v[156:157], v[108:109]
	v_fma_f64 v[106:107], v[154:155], v[162:163], -v[106:107]
	v_mul_f64 v[154:155], v[154:155], v[108:109]
	v_add_f64 v[2:3], v[2:3], -v[106:107]
	v_fma_f64 v[154:155], v[156:157], v[162:163], v[154:155]
	v_mov_b32_e32 v106, v162
	v_mov_b32_e32 v107, v163
	v_add_f64 v[4:5], v[4:5], -v[154:155]
.LBB74_272:
	s_or_b32 exec_lo, exec_lo, s0
	v_lshl_add_u32 v154, v168, 4, v1
	s_barrier
	buffer_gl0_inv
	v_mov_b32_e32 v162, 13
	ds_write2_b64 v154, v[90:91], v[92:93] offset1:1
	s_waitcnt lgkmcnt(0)
	s_barrier
	buffer_gl0_inv
	ds_read2_b64 v[154:157], v1 offset0:26 offset1:27
	s_cmp_lt_i32 s1, 15
	s_cbranch_scc1 .LBB74_275
; %bb.273:
	v_add3_u32 v163, v164, 0, 0xe0
	v_mov_b32_e32 v162, 13
	s_mov_b32 s3, 14
	s_inst_prefetch 0x1
	.p2align	6
.LBB74_274:                             ; =>This Inner Loop Header: Depth=1
	s_waitcnt lgkmcnt(0)
	v_cmp_gt_f64_e32 vcc_lo, 0, v[156:157]
	v_cmp_gt_f64_e64 s0, 0, v[154:155]
	ds_read2_b64 v[169:172], v163 offset1:1
	v_xor_b32_e32 v174, 0x80000000, v155
	v_xor_b32_e32 v176, 0x80000000, v157
	v_mov_b32_e32 v173, v154
	v_mov_b32_e32 v175, v156
	v_add_nc_u32_e32 v163, 16, v163
	s_waitcnt lgkmcnt(0)
	v_xor_b32_e32 v178, 0x80000000, v172
	v_cndmask_b32_e64 v174, v155, v174, s0
	v_cndmask_b32_e32 v176, v157, v176, vcc_lo
	v_cmp_gt_f64_e32 vcc_lo, 0, v[171:172]
	v_cmp_gt_f64_e64 s0, 0, v[169:170]
	v_mov_b32_e32 v177, v171
	v_add_f64 v[173:174], v[173:174], v[175:176]
	v_xor_b32_e32 v176, 0x80000000, v170
	v_mov_b32_e32 v175, v169
	v_cndmask_b32_e32 v178, v172, v178, vcc_lo
	v_cndmask_b32_e64 v176, v170, v176, s0
	v_add_f64 v[175:176], v[175:176], v[177:178]
	v_cmp_lt_f64_e32 vcc_lo, v[173:174], v[175:176]
	v_cndmask_b32_e32 v155, v155, v170, vcc_lo
	v_cndmask_b32_e32 v154, v154, v169, vcc_lo
	;; [unrolled: 1-line block ×4, first 2 shown]
	v_cndmask_b32_e64 v162, v162, s3, vcc_lo
	s_add_i32 s3, s3, 1
	s_cmp_lg_u32 s1, s3
	s_cbranch_scc1 .LBB74_274
.LBB74_275:
	s_inst_prefetch 0x2
	s_waitcnt lgkmcnt(0)
	v_cmp_eq_f64_e32 vcc_lo, 0, v[154:155]
	v_cmp_eq_f64_e64 s0, 0, v[156:157]
	s_and_b32 s0, vcc_lo, s0
	s_and_saveexec_b32 s3, s0
	s_xor_b32 s0, exec_lo, s3
; %bb.276:
	v_cmp_ne_u32_e32 vcc_lo, 0, v167
	v_cndmask_b32_e32 v167, 14, v167, vcc_lo
; %bb.277:
	s_andn2_saveexec_b32 s0, s0
	s_cbranch_execz .LBB74_283
; %bb.278:
	v_cmp_ngt_f64_e64 s3, |v[154:155]|, |v[156:157]|
	s_and_saveexec_b32 s8, s3
	s_xor_b32 s3, exec_lo, s8
	s_cbranch_execz .LBB74_280
; %bb.279:
	v_div_scale_f64 v[169:170], null, v[156:157], v[156:157], v[154:155]
	v_div_scale_f64 v[175:176], vcc_lo, v[154:155], v[156:157], v[154:155]
	v_rcp_f64_e32 v[171:172], v[169:170]
	v_fma_f64 v[173:174], -v[169:170], v[171:172], 1.0
	v_fma_f64 v[171:172], v[171:172], v[173:174], v[171:172]
	v_fma_f64 v[173:174], -v[169:170], v[171:172], 1.0
	v_fma_f64 v[171:172], v[171:172], v[173:174], v[171:172]
	v_mul_f64 v[173:174], v[175:176], v[171:172]
	v_fma_f64 v[169:170], -v[169:170], v[173:174], v[175:176]
	v_div_fmas_f64 v[169:170], v[169:170], v[171:172], v[173:174]
	v_div_fixup_f64 v[169:170], v[169:170], v[156:157], v[154:155]
	v_fma_f64 v[154:155], v[154:155], v[169:170], v[156:157]
	v_div_scale_f64 v[156:157], null, v[154:155], v[154:155], 1.0
	v_rcp_f64_e32 v[171:172], v[156:157]
	v_fma_f64 v[173:174], -v[156:157], v[171:172], 1.0
	v_fma_f64 v[171:172], v[171:172], v[173:174], v[171:172]
	v_fma_f64 v[173:174], -v[156:157], v[171:172], 1.0
	v_fma_f64 v[171:172], v[171:172], v[173:174], v[171:172]
	v_div_scale_f64 v[173:174], vcc_lo, 1.0, v[154:155], 1.0
	v_mul_f64 v[175:176], v[173:174], v[171:172]
	v_fma_f64 v[156:157], -v[156:157], v[175:176], v[173:174]
	v_div_fmas_f64 v[156:157], v[156:157], v[171:172], v[175:176]
	v_div_fixup_f64 v[156:157], v[156:157], v[154:155], 1.0
	v_mul_f64 v[154:155], v[169:170], v[156:157]
	v_xor_b32_e32 v157, 0x80000000, v157
.LBB74_280:
	s_andn2_saveexec_b32 s3, s3
	s_cbranch_execz .LBB74_282
; %bb.281:
	v_div_scale_f64 v[169:170], null, v[154:155], v[154:155], v[156:157]
	v_div_scale_f64 v[175:176], vcc_lo, v[156:157], v[154:155], v[156:157]
	v_rcp_f64_e32 v[171:172], v[169:170]
	v_fma_f64 v[173:174], -v[169:170], v[171:172], 1.0
	v_fma_f64 v[171:172], v[171:172], v[173:174], v[171:172]
	v_fma_f64 v[173:174], -v[169:170], v[171:172], 1.0
	v_fma_f64 v[171:172], v[171:172], v[173:174], v[171:172]
	v_mul_f64 v[173:174], v[175:176], v[171:172]
	v_fma_f64 v[169:170], -v[169:170], v[173:174], v[175:176]
	v_div_fmas_f64 v[169:170], v[169:170], v[171:172], v[173:174]
	v_div_fixup_f64 v[169:170], v[169:170], v[154:155], v[156:157]
	v_fma_f64 v[154:155], v[156:157], v[169:170], v[154:155]
	v_div_scale_f64 v[156:157], null, v[154:155], v[154:155], 1.0
	v_rcp_f64_e32 v[171:172], v[156:157]
	v_fma_f64 v[173:174], -v[156:157], v[171:172], 1.0
	v_fma_f64 v[171:172], v[171:172], v[173:174], v[171:172]
	v_fma_f64 v[173:174], -v[156:157], v[171:172], 1.0
	v_fma_f64 v[171:172], v[171:172], v[173:174], v[171:172]
	v_div_scale_f64 v[173:174], vcc_lo, 1.0, v[154:155], 1.0
	v_mul_f64 v[175:176], v[173:174], v[171:172]
	v_fma_f64 v[156:157], -v[156:157], v[175:176], v[173:174]
	v_div_fmas_f64 v[156:157], v[156:157], v[171:172], v[175:176]
	v_div_fixup_f64 v[154:155], v[156:157], v[154:155], 1.0
	v_mul_f64 v[156:157], v[169:170], -v[154:155]
.LBB74_282:
	s_or_b32 exec_lo, exec_lo, s3
.LBB74_283:
	s_or_b32 exec_lo, exec_lo, s0
	s_mov_b32 s0, exec_lo
	v_cmpx_ne_u32_e64 v168, v162
	s_xor_b32 s0, exec_lo, s0
	s_cbranch_execz .LBB74_289
; %bb.284:
	s_mov_b32 s3, exec_lo
	v_cmpx_eq_u32_e32 13, v168
	s_cbranch_execz .LBB74_288
; %bb.285:
	v_cmp_ne_u32_e32 vcc_lo, 13, v162
	s_xor_b32 s8, s16, -1
	s_and_b32 s9, s8, vcc_lo
	s_and_saveexec_b32 s8, s9
	s_cbranch_execz .LBB74_287
; %bb.286:
	v_ashrrev_i32_e32 v163, 31, v162
	v_lshlrev_b64 v[168:169], 2, v[162:163]
	v_add_co_u32 v168, vcc_lo, v160, v168
	v_add_co_ci_u32_e64 v169, null, v161, v169, vcc_lo
	s_clause 0x1
	global_load_dword v0, v[168:169], off
	global_load_dword v163, v[160:161], off offset:52
	s_waitcnt vmcnt(1)
	global_store_dword v[160:161], v0, off offset:52
	s_waitcnt vmcnt(0)
	global_store_dword v[168:169], v163, off
.LBB74_287:
	s_or_b32 exec_lo, exec_lo, s8
	v_mov_b32_e32 v168, v162
	v_mov_b32_e32 v0, v162
.LBB74_288:
	s_or_b32 exec_lo, exec_lo, s3
.LBB74_289:
	s_andn2_saveexec_b32 s0, s0
	s_cbranch_execz .LBB74_291
; %bb.290:
	v_mov_b32_e32 v168, 13
	ds_write2_b64 v1, v[98:99], v[100:101] offset0:28 offset1:29
	ds_write2_b64 v1, v[94:95], v[96:97] offset0:30 offset1:31
	ds_write2_b64 v1, v[86:87], v[88:89] offset0:32 offset1:33
	ds_write2_b64 v1, v[82:83], v[84:85] offset0:34 offset1:35
	ds_write2_b64 v1, v[74:75], v[76:77] offset0:36 offset1:37
	ds_write2_b64 v1, v[70:71], v[72:73] offset0:38 offset1:39
	ds_write2_b64 v1, v[78:79], v[80:81] offset0:40 offset1:41
	ds_write2_b64 v1, v[62:63], v[64:65] offset0:42 offset1:43
	ds_write2_b64 v1, v[66:67], v[68:69] offset0:44 offset1:45
	ds_write2_b64 v1, v[50:51], v[52:53] offset0:46 offset1:47
	ds_write2_b64 v1, v[58:59], v[60:61] offset0:48 offset1:49
	ds_write2_b64 v1, v[54:55], v[56:57] offset0:50 offset1:51
	ds_write2_b64 v1, v[42:43], v[44:45] offset0:52 offset1:53
	ds_write2_b64 v1, v[38:39], v[40:41] offset0:54 offset1:55
	ds_write2_b64 v1, v[34:35], v[36:37] offset0:56 offset1:57
	ds_write2_b64 v1, v[30:31], v[32:33] offset0:58 offset1:59
	ds_write2_b64 v1, v[46:47], v[48:49] offset0:60 offset1:61
	ds_write2_b64 v1, v[26:27], v[28:29] offset0:62 offset1:63
	ds_write2_b64 v1, v[22:23], v[24:25] offset0:64 offset1:65
	ds_write2_b64 v1, v[18:19], v[20:21] offset0:66 offset1:67
	ds_write2_b64 v1, v[14:15], v[16:17] offset0:68 offset1:69
	ds_write2_b64 v1, v[10:11], v[12:13] offset0:70 offset1:71
	ds_write2_b64 v1, v[6:7], v[8:9] offset0:72 offset1:73
	ds_write2_b64 v1, v[2:3], v[4:5] offset0:74 offset1:75
.LBB74_291:
	s_or_b32 exec_lo, exec_lo, s0
	s_mov_b32 s0, exec_lo
	s_waitcnt lgkmcnt(0)
	s_waitcnt_vscnt null, 0x0
	s_barrier
	buffer_gl0_inv
	v_cmpx_lt_i32_e32 13, v168
	s_cbranch_execz .LBB74_293
; %bb.292:
	v_mul_f64 v[162:163], v[156:157], v[92:93]
	v_mul_f64 v[92:93], v[154:155], v[92:93]
	v_fma_f64 v[162:163], v[154:155], v[90:91], -v[162:163]
	v_fma_f64 v[92:93], v[156:157], v[90:91], v[92:93]
	ds_read2_b64 v[154:157], v1 offset0:28 offset1:29
	s_waitcnt lgkmcnt(0)
	v_mul_f64 v[90:91], v[156:157], v[92:93]
	v_fma_f64 v[90:91], v[154:155], v[162:163], -v[90:91]
	v_mul_f64 v[154:155], v[154:155], v[92:93]
	v_add_f64 v[98:99], v[98:99], -v[90:91]
	v_fma_f64 v[154:155], v[156:157], v[162:163], v[154:155]
	v_add_f64 v[100:101], v[100:101], -v[154:155]
	ds_read2_b64 v[154:157], v1 offset0:30 offset1:31
	s_waitcnt lgkmcnt(0)
	v_mul_f64 v[90:91], v[156:157], v[92:93]
	v_fma_f64 v[90:91], v[154:155], v[162:163], -v[90:91]
	v_mul_f64 v[154:155], v[154:155], v[92:93]
	v_add_f64 v[94:95], v[94:95], -v[90:91]
	v_fma_f64 v[154:155], v[156:157], v[162:163], v[154:155]
	v_add_f64 v[96:97], v[96:97], -v[154:155]
	;; [unrolled: 8-line block ×23, first 2 shown]
	ds_read2_b64 v[154:157], v1 offset0:74 offset1:75
	s_waitcnt lgkmcnt(0)
	v_mul_f64 v[90:91], v[156:157], v[92:93]
	v_fma_f64 v[90:91], v[154:155], v[162:163], -v[90:91]
	v_mul_f64 v[154:155], v[154:155], v[92:93]
	v_add_f64 v[2:3], v[2:3], -v[90:91]
	v_fma_f64 v[154:155], v[156:157], v[162:163], v[154:155]
	v_mov_b32_e32 v90, v162
	v_mov_b32_e32 v91, v163
	v_add_f64 v[4:5], v[4:5], -v[154:155]
.LBB74_293:
	s_or_b32 exec_lo, exec_lo, s0
	v_lshl_add_u32 v154, v168, 4, v1
	s_barrier
	buffer_gl0_inv
	v_mov_b32_e32 v162, 14
	ds_write2_b64 v154, v[98:99], v[100:101] offset1:1
	s_waitcnt lgkmcnt(0)
	s_barrier
	buffer_gl0_inv
	ds_read2_b64 v[154:157], v1 offset0:28 offset1:29
	s_cmp_lt_i32 s1, 16
	s_cbranch_scc1 .LBB74_296
; %bb.294:
	v_add3_u32 v163, v164, 0, 0xf0
	v_mov_b32_e32 v162, 14
	s_mov_b32 s3, 15
	s_inst_prefetch 0x1
	.p2align	6
.LBB74_295:                             ; =>This Inner Loop Header: Depth=1
	s_waitcnt lgkmcnt(0)
	v_cmp_gt_f64_e32 vcc_lo, 0, v[156:157]
	v_cmp_gt_f64_e64 s0, 0, v[154:155]
	ds_read2_b64 v[169:172], v163 offset1:1
	v_xor_b32_e32 v174, 0x80000000, v155
	v_xor_b32_e32 v176, 0x80000000, v157
	v_mov_b32_e32 v173, v154
	v_mov_b32_e32 v175, v156
	v_add_nc_u32_e32 v163, 16, v163
	s_waitcnt lgkmcnt(0)
	v_xor_b32_e32 v178, 0x80000000, v172
	v_cndmask_b32_e64 v174, v155, v174, s0
	v_cndmask_b32_e32 v176, v157, v176, vcc_lo
	v_cmp_gt_f64_e32 vcc_lo, 0, v[171:172]
	v_cmp_gt_f64_e64 s0, 0, v[169:170]
	v_mov_b32_e32 v177, v171
	v_add_f64 v[173:174], v[173:174], v[175:176]
	v_xor_b32_e32 v176, 0x80000000, v170
	v_mov_b32_e32 v175, v169
	v_cndmask_b32_e32 v178, v172, v178, vcc_lo
	v_cndmask_b32_e64 v176, v170, v176, s0
	v_add_f64 v[175:176], v[175:176], v[177:178]
	v_cmp_lt_f64_e32 vcc_lo, v[173:174], v[175:176]
	v_cndmask_b32_e32 v155, v155, v170, vcc_lo
	v_cndmask_b32_e32 v154, v154, v169, vcc_lo
	;; [unrolled: 1-line block ×4, first 2 shown]
	v_cndmask_b32_e64 v162, v162, s3, vcc_lo
	s_add_i32 s3, s3, 1
	s_cmp_lg_u32 s1, s3
	s_cbranch_scc1 .LBB74_295
.LBB74_296:
	s_inst_prefetch 0x2
	s_waitcnt lgkmcnt(0)
	v_cmp_eq_f64_e32 vcc_lo, 0, v[154:155]
	v_cmp_eq_f64_e64 s0, 0, v[156:157]
	s_and_b32 s0, vcc_lo, s0
	s_and_saveexec_b32 s3, s0
	s_xor_b32 s0, exec_lo, s3
; %bb.297:
	v_cmp_ne_u32_e32 vcc_lo, 0, v167
	v_cndmask_b32_e32 v167, 15, v167, vcc_lo
; %bb.298:
	s_andn2_saveexec_b32 s0, s0
	s_cbranch_execz .LBB74_304
; %bb.299:
	v_cmp_ngt_f64_e64 s3, |v[154:155]|, |v[156:157]|
	s_and_saveexec_b32 s8, s3
	s_xor_b32 s3, exec_lo, s8
	s_cbranch_execz .LBB74_301
; %bb.300:
	v_div_scale_f64 v[169:170], null, v[156:157], v[156:157], v[154:155]
	v_div_scale_f64 v[175:176], vcc_lo, v[154:155], v[156:157], v[154:155]
	v_rcp_f64_e32 v[171:172], v[169:170]
	v_fma_f64 v[173:174], -v[169:170], v[171:172], 1.0
	v_fma_f64 v[171:172], v[171:172], v[173:174], v[171:172]
	v_fma_f64 v[173:174], -v[169:170], v[171:172], 1.0
	v_fma_f64 v[171:172], v[171:172], v[173:174], v[171:172]
	v_mul_f64 v[173:174], v[175:176], v[171:172]
	v_fma_f64 v[169:170], -v[169:170], v[173:174], v[175:176]
	v_div_fmas_f64 v[169:170], v[169:170], v[171:172], v[173:174]
	v_div_fixup_f64 v[169:170], v[169:170], v[156:157], v[154:155]
	v_fma_f64 v[154:155], v[154:155], v[169:170], v[156:157]
	v_div_scale_f64 v[156:157], null, v[154:155], v[154:155], 1.0
	v_rcp_f64_e32 v[171:172], v[156:157]
	v_fma_f64 v[173:174], -v[156:157], v[171:172], 1.0
	v_fma_f64 v[171:172], v[171:172], v[173:174], v[171:172]
	v_fma_f64 v[173:174], -v[156:157], v[171:172], 1.0
	v_fma_f64 v[171:172], v[171:172], v[173:174], v[171:172]
	v_div_scale_f64 v[173:174], vcc_lo, 1.0, v[154:155], 1.0
	v_mul_f64 v[175:176], v[173:174], v[171:172]
	v_fma_f64 v[156:157], -v[156:157], v[175:176], v[173:174]
	v_div_fmas_f64 v[156:157], v[156:157], v[171:172], v[175:176]
	v_div_fixup_f64 v[156:157], v[156:157], v[154:155], 1.0
	v_mul_f64 v[154:155], v[169:170], v[156:157]
	v_xor_b32_e32 v157, 0x80000000, v157
.LBB74_301:
	s_andn2_saveexec_b32 s3, s3
	s_cbranch_execz .LBB74_303
; %bb.302:
	v_div_scale_f64 v[169:170], null, v[154:155], v[154:155], v[156:157]
	v_div_scale_f64 v[175:176], vcc_lo, v[156:157], v[154:155], v[156:157]
	v_rcp_f64_e32 v[171:172], v[169:170]
	v_fma_f64 v[173:174], -v[169:170], v[171:172], 1.0
	v_fma_f64 v[171:172], v[171:172], v[173:174], v[171:172]
	v_fma_f64 v[173:174], -v[169:170], v[171:172], 1.0
	v_fma_f64 v[171:172], v[171:172], v[173:174], v[171:172]
	v_mul_f64 v[173:174], v[175:176], v[171:172]
	v_fma_f64 v[169:170], -v[169:170], v[173:174], v[175:176]
	v_div_fmas_f64 v[169:170], v[169:170], v[171:172], v[173:174]
	v_div_fixup_f64 v[169:170], v[169:170], v[154:155], v[156:157]
	v_fma_f64 v[154:155], v[156:157], v[169:170], v[154:155]
	v_div_scale_f64 v[156:157], null, v[154:155], v[154:155], 1.0
	v_rcp_f64_e32 v[171:172], v[156:157]
	v_fma_f64 v[173:174], -v[156:157], v[171:172], 1.0
	v_fma_f64 v[171:172], v[171:172], v[173:174], v[171:172]
	v_fma_f64 v[173:174], -v[156:157], v[171:172], 1.0
	v_fma_f64 v[171:172], v[171:172], v[173:174], v[171:172]
	v_div_scale_f64 v[173:174], vcc_lo, 1.0, v[154:155], 1.0
	v_mul_f64 v[175:176], v[173:174], v[171:172]
	v_fma_f64 v[156:157], -v[156:157], v[175:176], v[173:174]
	v_div_fmas_f64 v[156:157], v[156:157], v[171:172], v[175:176]
	v_div_fixup_f64 v[154:155], v[156:157], v[154:155], 1.0
	v_mul_f64 v[156:157], v[169:170], -v[154:155]
.LBB74_303:
	s_or_b32 exec_lo, exec_lo, s3
.LBB74_304:
	s_or_b32 exec_lo, exec_lo, s0
	s_mov_b32 s0, exec_lo
	v_cmpx_ne_u32_e64 v168, v162
	s_xor_b32 s0, exec_lo, s0
	s_cbranch_execz .LBB74_310
; %bb.305:
	s_mov_b32 s3, exec_lo
	v_cmpx_eq_u32_e32 14, v168
	s_cbranch_execz .LBB74_309
; %bb.306:
	v_cmp_ne_u32_e32 vcc_lo, 14, v162
	s_xor_b32 s8, s16, -1
	s_and_b32 s9, s8, vcc_lo
	s_and_saveexec_b32 s8, s9
	s_cbranch_execz .LBB74_308
; %bb.307:
	v_ashrrev_i32_e32 v163, 31, v162
	v_lshlrev_b64 v[168:169], 2, v[162:163]
	v_add_co_u32 v168, vcc_lo, v160, v168
	v_add_co_ci_u32_e64 v169, null, v161, v169, vcc_lo
	s_clause 0x1
	global_load_dword v0, v[168:169], off
	global_load_dword v163, v[160:161], off offset:56
	s_waitcnt vmcnt(1)
	global_store_dword v[160:161], v0, off offset:56
	s_waitcnt vmcnt(0)
	global_store_dword v[168:169], v163, off
.LBB74_308:
	s_or_b32 exec_lo, exec_lo, s8
	v_mov_b32_e32 v168, v162
	v_mov_b32_e32 v0, v162
.LBB74_309:
	s_or_b32 exec_lo, exec_lo, s3
.LBB74_310:
	s_andn2_saveexec_b32 s0, s0
	s_cbranch_execz .LBB74_312
; %bb.311:
	v_mov_b32_e32 v168, 14
	ds_write2_b64 v1, v[94:95], v[96:97] offset0:30 offset1:31
	ds_write2_b64 v1, v[86:87], v[88:89] offset0:32 offset1:33
	;; [unrolled: 1-line block ×23, first 2 shown]
.LBB74_312:
	s_or_b32 exec_lo, exec_lo, s0
	s_mov_b32 s0, exec_lo
	s_waitcnt lgkmcnt(0)
	s_waitcnt_vscnt null, 0x0
	s_barrier
	buffer_gl0_inv
	v_cmpx_lt_i32_e32 14, v168
	s_cbranch_execz .LBB74_314
; %bb.313:
	v_mul_f64 v[162:163], v[156:157], v[100:101]
	v_mul_f64 v[100:101], v[154:155], v[100:101]
	v_fma_f64 v[162:163], v[154:155], v[98:99], -v[162:163]
	v_fma_f64 v[100:101], v[156:157], v[98:99], v[100:101]
	ds_read2_b64 v[154:157], v1 offset0:30 offset1:31
	s_waitcnt lgkmcnt(0)
	v_mul_f64 v[98:99], v[156:157], v[100:101]
	v_fma_f64 v[98:99], v[154:155], v[162:163], -v[98:99]
	v_mul_f64 v[154:155], v[154:155], v[100:101]
	v_add_f64 v[94:95], v[94:95], -v[98:99]
	v_fma_f64 v[154:155], v[156:157], v[162:163], v[154:155]
	v_add_f64 v[96:97], v[96:97], -v[154:155]
	ds_read2_b64 v[154:157], v1 offset0:32 offset1:33
	s_waitcnt lgkmcnt(0)
	v_mul_f64 v[98:99], v[156:157], v[100:101]
	v_fma_f64 v[98:99], v[154:155], v[162:163], -v[98:99]
	v_mul_f64 v[154:155], v[154:155], v[100:101]
	v_add_f64 v[86:87], v[86:87], -v[98:99]
	v_fma_f64 v[154:155], v[156:157], v[162:163], v[154:155]
	v_add_f64 v[88:89], v[88:89], -v[154:155]
	;; [unrolled: 8-line block ×22, first 2 shown]
	ds_read2_b64 v[154:157], v1 offset0:74 offset1:75
	s_waitcnt lgkmcnt(0)
	v_mul_f64 v[98:99], v[156:157], v[100:101]
	v_fma_f64 v[98:99], v[154:155], v[162:163], -v[98:99]
	v_mul_f64 v[154:155], v[154:155], v[100:101]
	v_add_f64 v[2:3], v[2:3], -v[98:99]
	v_fma_f64 v[154:155], v[156:157], v[162:163], v[154:155]
	v_mov_b32_e32 v98, v162
	v_mov_b32_e32 v99, v163
	v_add_f64 v[4:5], v[4:5], -v[154:155]
.LBB74_314:
	s_or_b32 exec_lo, exec_lo, s0
	v_lshl_add_u32 v154, v168, 4, v1
	s_barrier
	buffer_gl0_inv
	v_mov_b32_e32 v162, 15
	ds_write2_b64 v154, v[94:95], v[96:97] offset1:1
	s_waitcnt lgkmcnt(0)
	s_barrier
	buffer_gl0_inv
	ds_read2_b64 v[154:157], v1 offset0:30 offset1:31
	s_cmp_lt_i32 s1, 17
	s_cbranch_scc1 .LBB74_317
; %bb.315:
	v_add3_u32 v163, v164, 0, 0x100
	v_mov_b32_e32 v162, 15
	s_mov_b32 s3, 16
	s_inst_prefetch 0x1
	.p2align	6
.LBB74_316:                             ; =>This Inner Loop Header: Depth=1
	s_waitcnt lgkmcnt(0)
	v_cmp_gt_f64_e32 vcc_lo, 0, v[156:157]
	v_cmp_gt_f64_e64 s0, 0, v[154:155]
	ds_read2_b64 v[169:172], v163 offset1:1
	v_xor_b32_e32 v174, 0x80000000, v155
	v_xor_b32_e32 v176, 0x80000000, v157
	v_mov_b32_e32 v173, v154
	v_mov_b32_e32 v175, v156
	v_add_nc_u32_e32 v163, 16, v163
	s_waitcnt lgkmcnt(0)
	v_xor_b32_e32 v178, 0x80000000, v172
	v_cndmask_b32_e64 v174, v155, v174, s0
	v_cndmask_b32_e32 v176, v157, v176, vcc_lo
	v_cmp_gt_f64_e32 vcc_lo, 0, v[171:172]
	v_cmp_gt_f64_e64 s0, 0, v[169:170]
	v_mov_b32_e32 v177, v171
	v_add_f64 v[173:174], v[173:174], v[175:176]
	v_xor_b32_e32 v176, 0x80000000, v170
	v_mov_b32_e32 v175, v169
	v_cndmask_b32_e32 v178, v172, v178, vcc_lo
	v_cndmask_b32_e64 v176, v170, v176, s0
	v_add_f64 v[175:176], v[175:176], v[177:178]
	v_cmp_lt_f64_e32 vcc_lo, v[173:174], v[175:176]
	v_cndmask_b32_e32 v155, v155, v170, vcc_lo
	v_cndmask_b32_e32 v154, v154, v169, vcc_lo
	v_cndmask_b32_e32 v157, v157, v172, vcc_lo
	v_cndmask_b32_e32 v156, v156, v171, vcc_lo
	v_cndmask_b32_e64 v162, v162, s3, vcc_lo
	s_add_i32 s3, s3, 1
	s_cmp_lg_u32 s1, s3
	s_cbranch_scc1 .LBB74_316
.LBB74_317:
	s_inst_prefetch 0x2
	s_waitcnt lgkmcnt(0)
	v_cmp_eq_f64_e32 vcc_lo, 0, v[154:155]
	v_cmp_eq_f64_e64 s0, 0, v[156:157]
	s_and_b32 s0, vcc_lo, s0
	s_and_saveexec_b32 s3, s0
	s_xor_b32 s0, exec_lo, s3
; %bb.318:
	v_cmp_ne_u32_e32 vcc_lo, 0, v167
	v_cndmask_b32_e32 v167, 16, v167, vcc_lo
; %bb.319:
	s_andn2_saveexec_b32 s0, s0
	s_cbranch_execz .LBB74_325
; %bb.320:
	v_cmp_ngt_f64_e64 s3, |v[154:155]|, |v[156:157]|
	s_and_saveexec_b32 s8, s3
	s_xor_b32 s3, exec_lo, s8
	s_cbranch_execz .LBB74_322
; %bb.321:
	v_div_scale_f64 v[169:170], null, v[156:157], v[156:157], v[154:155]
	v_div_scale_f64 v[175:176], vcc_lo, v[154:155], v[156:157], v[154:155]
	v_rcp_f64_e32 v[171:172], v[169:170]
	v_fma_f64 v[173:174], -v[169:170], v[171:172], 1.0
	v_fma_f64 v[171:172], v[171:172], v[173:174], v[171:172]
	v_fma_f64 v[173:174], -v[169:170], v[171:172], 1.0
	v_fma_f64 v[171:172], v[171:172], v[173:174], v[171:172]
	v_mul_f64 v[173:174], v[175:176], v[171:172]
	v_fma_f64 v[169:170], -v[169:170], v[173:174], v[175:176]
	v_div_fmas_f64 v[169:170], v[169:170], v[171:172], v[173:174]
	v_div_fixup_f64 v[169:170], v[169:170], v[156:157], v[154:155]
	v_fma_f64 v[154:155], v[154:155], v[169:170], v[156:157]
	v_div_scale_f64 v[156:157], null, v[154:155], v[154:155], 1.0
	v_rcp_f64_e32 v[171:172], v[156:157]
	v_fma_f64 v[173:174], -v[156:157], v[171:172], 1.0
	v_fma_f64 v[171:172], v[171:172], v[173:174], v[171:172]
	v_fma_f64 v[173:174], -v[156:157], v[171:172], 1.0
	v_fma_f64 v[171:172], v[171:172], v[173:174], v[171:172]
	v_div_scale_f64 v[173:174], vcc_lo, 1.0, v[154:155], 1.0
	v_mul_f64 v[175:176], v[173:174], v[171:172]
	v_fma_f64 v[156:157], -v[156:157], v[175:176], v[173:174]
	v_div_fmas_f64 v[156:157], v[156:157], v[171:172], v[175:176]
	v_div_fixup_f64 v[156:157], v[156:157], v[154:155], 1.0
	v_mul_f64 v[154:155], v[169:170], v[156:157]
	v_xor_b32_e32 v157, 0x80000000, v157
.LBB74_322:
	s_andn2_saveexec_b32 s3, s3
	s_cbranch_execz .LBB74_324
; %bb.323:
	v_div_scale_f64 v[169:170], null, v[154:155], v[154:155], v[156:157]
	v_div_scale_f64 v[175:176], vcc_lo, v[156:157], v[154:155], v[156:157]
	v_rcp_f64_e32 v[171:172], v[169:170]
	v_fma_f64 v[173:174], -v[169:170], v[171:172], 1.0
	v_fma_f64 v[171:172], v[171:172], v[173:174], v[171:172]
	v_fma_f64 v[173:174], -v[169:170], v[171:172], 1.0
	v_fma_f64 v[171:172], v[171:172], v[173:174], v[171:172]
	v_mul_f64 v[173:174], v[175:176], v[171:172]
	v_fma_f64 v[169:170], -v[169:170], v[173:174], v[175:176]
	v_div_fmas_f64 v[169:170], v[169:170], v[171:172], v[173:174]
	v_div_fixup_f64 v[169:170], v[169:170], v[154:155], v[156:157]
	v_fma_f64 v[154:155], v[156:157], v[169:170], v[154:155]
	v_div_scale_f64 v[156:157], null, v[154:155], v[154:155], 1.0
	v_rcp_f64_e32 v[171:172], v[156:157]
	v_fma_f64 v[173:174], -v[156:157], v[171:172], 1.0
	v_fma_f64 v[171:172], v[171:172], v[173:174], v[171:172]
	v_fma_f64 v[173:174], -v[156:157], v[171:172], 1.0
	v_fma_f64 v[171:172], v[171:172], v[173:174], v[171:172]
	v_div_scale_f64 v[173:174], vcc_lo, 1.0, v[154:155], 1.0
	v_mul_f64 v[175:176], v[173:174], v[171:172]
	v_fma_f64 v[156:157], -v[156:157], v[175:176], v[173:174]
	v_div_fmas_f64 v[156:157], v[156:157], v[171:172], v[175:176]
	v_div_fixup_f64 v[154:155], v[156:157], v[154:155], 1.0
	v_mul_f64 v[156:157], v[169:170], -v[154:155]
.LBB74_324:
	s_or_b32 exec_lo, exec_lo, s3
.LBB74_325:
	s_or_b32 exec_lo, exec_lo, s0
	s_mov_b32 s0, exec_lo
	v_cmpx_ne_u32_e64 v168, v162
	s_xor_b32 s0, exec_lo, s0
	s_cbranch_execz .LBB74_331
; %bb.326:
	s_mov_b32 s3, exec_lo
	v_cmpx_eq_u32_e32 15, v168
	s_cbranch_execz .LBB74_330
; %bb.327:
	v_cmp_ne_u32_e32 vcc_lo, 15, v162
	s_xor_b32 s8, s16, -1
	s_and_b32 s9, s8, vcc_lo
	s_and_saveexec_b32 s8, s9
	s_cbranch_execz .LBB74_329
; %bb.328:
	v_ashrrev_i32_e32 v163, 31, v162
	v_lshlrev_b64 v[168:169], 2, v[162:163]
	v_add_co_u32 v168, vcc_lo, v160, v168
	v_add_co_ci_u32_e64 v169, null, v161, v169, vcc_lo
	s_clause 0x1
	global_load_dword v0, v[168:169], off
	global_load_dword v163, v[160:161], off offset:60
	s_waitcnt vmcnt(1)
	global_store_dword v[160:161], v0, off offset:60
	s_waitcnt vmcnt(0)
	global_store_dword v[168:169], v163, off
.LBB74_329:
	s_or_b32 exec_lo, exec_lo, s8
	v_mov_b32_e32 v168, v162
	v_mov_b32_e32 v0, v162
.LBB74_330:
	s_or_b32 exec_lo, exec_lo, s3
.LBB74_331:
	s_andn2_saveexec_b32 s0, s0
	s_cbranch_execz .LBB74_333
; %bb.332:
	v_mov_b32_e32 v168, 15
	ds_write2_b64 v1, v[86:87], v[88:89] offset0:32 offset1:33
	ds_write2_b64 v1, v[82:83], v[84:85] offset0:34 offset1:35
	;; [unrolled: 1-line block ×22, first 2 shown]
.LBB74_333:
	s_or_b32 exec_lo, exec_lo, s0
	s_mov_b32 s0, exec_lo
	s_waitcnt lgkmcnt(0)
	s_waitcnt_vscnt null, 0x0
	s_barrier
	buffer_gl0_inv
	v_cmpx_lt_i32_e32 15, v168
	s_cbranch_execz .LBB74_335
; %bb.334:
	v_mul_f64 v[162:163], v[156:157], v[96:97]
	v_mul_f64 v[96:97], v[154:155], v[96:97]
	v_fma_f64 v[162:163], v[154:155], v[94:95], -v[162:163]
	v_fma_f64 v[96:97], v[156:157], v[94:95], v[96:97]
	ds_read2_b64 v[154:157], v1 offset0:32 offset1:33
	s_waitcnt lgkmcnt(0)
	v_mul_f64 v[94:95], v[156:157], v[96:97]
	v_fma_f64 v[94:95], v[154:155], v[162:163], -v[94:95]
	v_mul_f64 v[154:155], v[154:155], v[96:97]
	v_add_f64 v[86:87], v[86:87], -v[94:95]
	v_fma_f64 v[154:155], v[156:157], v[162:163], v[154:155]
	v_add_f64 v[88:89], v[88:89], -v[154:155]
	ds_read2_b64 v[154:157], v1 offset0:34 offset1:35
	s_waitcnt lgkmcnt(0)
	v_mul_f64 v[94:95], v[156:157], v[96:97]
	v_fma_f64 v[94:95], v[154:155], v[162:163], -v[94:95]
	v_mul_f64 v[154:155], v[154:155], v[96:97]
	v_add_f64 v[82:83], v[82:83], -v[94:95]
	v_fma_f64 v[154:155], v[156:157], v[162:163], v[154:155]
	v_add_f64 v[84:85], v[84:85], -v[154:155]
	ds_read2_b64 v[154:157], v1 offset0:36 offset1:37
	s_waitcnt lgkmcnt(0)
	v_mul_f64 v[94:95], v[156:157], v[96:97]
	v_fma_f64 v[94:95], v[154:155], v[162:163], -v[94:95]
	v_mul_f64 v[154:155], v[154:155], v[96:97]
	v_add_f64 v[74:75], v[74:75], -v[94:95]
	v_fma_f64 v[154:155], v[156:157], v[162:163], v[154:155]
	v_add_f64 v[76:77], v[76:77], -v[154:155]
	ds_read2_b64 v[154:157], v1 offset0:38 offset1:39
	s_waitcnt lgkmcnt(0)
	v_mul_f64 v[94:95], v[156:157], v[96:97]
	v_fma_f64 v[94:95], v[154:155], v[162:163], -v[94:95]
	v_mul_f64 v[154:155], v[154:155], v[96:97]
	v_add_f64 v[70:71], v[70:71], -v[94:95]
	v_fma_f64 v[154:155], v[156:157], v[162:163], v[154:155]
	v_add_f64 v[72:73], v[72:73], -v[154:155]
	ds_read2_b64 v[154:157], v1 offset0:40 offset1:41
	s_waitcnt lgkmcnt(0)
	v_mul_f64 v[94:95], v[156:157], v[96:97]
	v_fma_f64 v[94:95], v[154:155], v[162:163], -v[94:95]
	v_mul_f64 v[154:155], v[154:155], v[96:97]
	v_add_f64 v[78:79], v[78:79], -v[94:95]
	v_fma_f64 v[154:155], v[156:157], v[162:163], v[154:155]
	v_add_f64 v[80:81], v[80:81], -v[154:155]
	ds_read2_b64 v[154:157], v1 offset0:42 offset1:43
	s_waitcnt lgkmcnt(0)
	v_mul_f64 v[94:95], v[156:157], v[96:97]
	v_fma_f64 v[94:95], v[154:155], v[162:163], -v[94:95]
	v_mul_f64 v[154:155], v[154:155], v[96:97]
	v_add_f64 v[62:63], v[62:63], -v[94:95]
	v_fma_f64 v[154:155], v[156:157], v[162:163], v[154:155]
	v_add_f64 v[64:65], v[64:65], -v[154:155]
	ds_read2_b64 v[154:157], v1 offset0:44 offset1:45
	s_waitcnt lgkmcnt(0)
	v_mul_f64 v[94:95], v[156:157], v[96:97]
	v_fma_f64 v[94:95], v[154:155], v[162:163], -v[94:95]
	v_mul_f64 v[154:155], v[154:155], v[96:97]
	v_add_f64 v[66:67], v[66:67], -v[94:95]
	v_fma_f64 v[154:155], v[156:157], v[162:163], v[154:155]
	v_add_f64 v[68:69], v[68:69], -v[154:155]
	ds_read2_b64 v[154:157], v1 offset0:46 offset1:47
	s_waitcnt lgkmcnt(0)
	v_mul_f64 v[94:95], v[156:157], v[96:97]
	v_fma_f64 v[94:95], v[154:155], v[162:163], -v[94:95]
	v_mul_f64 v[154:155], v[154:155], v[96:97]
	v_add_f64 v[50:51], v[50:51], -v[94:95]
	v_fma_f64 v[154:155], v[156:157], v[162:163], v[154:155]
	v_add_f64 v[52:53], v[52:53], -v[154:155]
	ds_read2_b64 v[154:157], v1 offset0:48 offset1:49
	s_waitcnt lgkmcnt(0)
	v_mul_f64 v[94:95], v[156:157], v[96:97]
	v_fma_f64 v[94:95], v[154:155], v[162:163], -v[94:95]
	v_mul_f64 v[154:155], v[154:155], v[96:97]
	v_add_f64 v[58:59], v[58:59], -v[94:95]
	v_fma_f64 v[154:155], v[156:157], v[162:163], v[154:155]
	v_add_f64 v[60:61], v[60:61], -v[154:155]
	ds_read2_b64 v[154:157], v1 offset0:50 offset1:51
	s_waitcnt lgkmcnt(0)
	v_mul_f64 v[94:95], v[156:157], v[96:97]
	v_fma_f64 v[94:95], v[154:155], v[162:163], -v[94:95]
	v_mul_f64 v[154:155], v[154:155], v[96:97]
	v_add_f64 v[54:55], v[54:55], -v[94:95]
	v_fma_f64 v[154:155], v[156:157], v[162:163], v[154:155]
	v_add_f64 v[56:57], v[56:57], -v[154:155]
	ds_read2_b64 v[154:157], v1 offset0:52 offset1:53
	s_waitcnt lgkmcnt(0)
	v_mul_f64 v[94:95], v[156:157], v[96:97]
	v_fma_f64 v[94:95], v[154:155], v[162:163], -v[94:95]
	v_mul_f64 v[154:155], v[154:155], v[96:97]
	v_add_f64 v[42:43], v[42:43], -v[94:95]
	v_fma_f64 v[154:155], v[156:157], v[162:163], v[154:155]
	v_add_f64 v[44:45], v[44:45], -v[154:155]
	ds_read2_b64 v[154:157], v1 offset0:54 offset1:55
	s_waitcnt lgkmcnt(0)
	v_mul_f64 v[94:95], v[156:157], v[96:97]
	v_fma_f64 v[94:95], v[154:155], v[162:163], -v[94:95]
	v_mul_f64 v[154:155], v[154:155], v[96:97]
	v_add_f64 v[38:39], v[38:39], -v[94:95]
	v_fma_f64 v[154:155], v[156:157], v[162:163], v[154:155]
	v_add_f64 v[40:41], v[40:41], -v[154:155]
	ds_read2_b64 v[154:157], v1 offset0:56 offset1:57
	s_waitcnt lgkmcnt(0)
	v_mul_f64 v[94:95], v[156:157], v[96:97]
	v_fma_f64 v[94:95], v[154:155], v[162:163], -v[94:95]
	v_mul_f64 v[154:155], v[154:155], v[96:97]
	v_add_f64 v[34:35], v[34:35], -v[94:95]
	v_fma_f64 v[154:155], v[156:157], v[162:163], v[154:155]
	v_add_f64 v[36:37], v[36:37], -v[154:155]
	ds_read2_b64 v[154:157], v1 offset0:58 offset1:59
	s_waitcnt lgkmcnt(0)
	v_mul_f64 v[94:95], v[156:157], v[96:97]
	v_fma_f64 v[94:95], v[154:155], v[162:163], -v[94:95]
	v_mul_f64 v[154:155], v[154:155], v[96:97]
	v_add_f64 v[30:31], v[30:31], -v[94:95]
	v_fma_f64 v[154:155], v[156:157], v[162:163], v[154:155]
	v_add_f64 v[32:33], v[32:33], -v[154:155]
	ds_read2_b64 v[154:157], v1 offset0:60 offset1:61
	s_waitcnt lgkmcnt(0)
	v_mul_f64 v[94:95], v[156:157], v[96:97]
	v_fma_f64 v[94:95], v[154:155], v[162:163], -v[94:95]
	v_mul_f64 v[154:155], v[154:155], v[96:97]
	v_add_f64 v[46:47], v[46:47], -v[94:95]
	v_fma_f64 v[154:155], v[156:157], v[162:163], v[154:155]
	v_add_f64 v[48:49], v[48:49], -v[154:155]
	ds_read2_b64 v[154:157], v1 offset0:62 offset1:63
	s_waitcnt lgkmcnt(0)
	v_mul_f64 v[94:95], v[156:157], v[96:97]
	v_fma_f64 v[94:95], v[154:155], v[162:163], -v[94:95]
	v_mul_f64 v[154:155], v[154:155], v[96:97]
	v_add_f64 v[26:27], v[26:27], -v[94:95]
	v_fma_f64 v[154:155], v[156:157], v[162:163], v[154:155]
	v_add_f64 v[28:29], v[28:29], -v[154:155]
	ds_read2_b64 v[154:157], v1 offset0:64 offset1:65
	s_waitcnt lgkmcnt(0)
	v_mul_f64 v[94:95], v[156:157], v[96:97]
	v_fma_f64 v[94:95], v[154:155], v[162:163], -v[94:95]
	v_mul_f64 v[154:155], v[154:155], v[96:97]
	v_add_f64 v[22:23], v[22:23], -v[94:95]
	v_fma_f64 v[154:155], v[156:157], v[162:163], v[154:155]
	v_add_f64 v[24:25], v[24:25], -v[154:155]
	ds_read2_b64 v[154:157], v1 offset0:66 offset1:67
	s_waitcnt lgkmcnt(0)
	v_mul_f64 v[94:95], v[156:157], v[96:97]
	v_fma_f64 v[94:95], v[154:155], v[162:163], -v[94:95]
	v_mul_f64 v[154:155], v[154:155], v[96:97]
	v_add_f64 v[18:19], v[18:19], -v[94:95]
	v_fma_f64 v[154:155], v[156:157], v[162:163], v[154:155]
	v_add_f64 v[20:21], v[20:21], -v[154:155]
	ds_read2_b64 v[154:157], v1 offset0:68 offset1:69
	s_waitcnt lgkmcnt(0)
	v_mul_f64 v[94:95], v[156:157], v[96:97]
	v_fma_f64 v[94:95], v[154:155], v[162:163], -v[94:95]
	v_mul_f64 v[154:155], v[154:155], v[96:97]
	v_add_f64 v[14:15], v[14:15], -v[94:95]
	v_fma_f64 v[154:155], v[156:157], v[162:163], v[154:155]
	v_add_f64 v[16:17], v[16:17], -v[154:155]
	ds_read2_b64 v[154:157], v1 offset0:70 offset1:71
	s_waitcnt lgkmcnt(0)
	v_mul_f64 v[94:95], v[156:157], v[96:97]
	v_fma_f64 v[94:95], v[154:155], v[162:163], -v[94:95]
	v_mul_f64 v[154:155], v[154:155], v[96:97]
	v_add_f64 v[10:11], v[10:11], -v[94:95]
	v_fma_f64 v[154:155], v[156:157], v[162:163], v[154:155]
	v_add_f64 v[12:13], v[12:13], -v[154:155]
	ds_read2_b64 v[154:157], v1 offset0:72 offset1:73
	s_waitcnt lgkmcnt(0)
	v_mul_f64 v[94:95], v[156:157], v[96:97]
	v_fma_f64 v[94:95], v[154:155], v[162:163], -v[94:95]
	v_mul_f64 v[154:155], v[154:155], v[96:97]
	v_add_f64 v[6:7], v[6:7], -v[94:95]
	v_fma_f64 v[154:155], v[156:157], v[162:163], v[154:155]
	v_add_f64 v[8:9], v[8:9], -v[154:155]
	ds_read2_b64 v[154:157], v1 offset0:74 offset1:75
	s_waitcnt lgkmcnt(0)
	v_mul_f64 v[94:95], v[156:157], v[96:97]
	v_fma_f64 v[94:95], v[154:155], v[162:163], -v[94:95]
	v_mul_f64 v[154:155], v[154:155], v[96:97]
	v_add_f64 v[2:3], v[2:3], -v[94:95]
	v_fma_f64 v[154:155], v[156:157], v[162:163], v[154:155]
	v_mov_b32_e32 v94, v162
	v_mov_b32_e32 v95, v163
	v_add_f64 v[4:5], v[4:5], -v[154:155]
.LBB74_335:
	s_or_b32 exec_lo, exec_lo, s0
	v_lshl_add_u32 v154, v168, 4, v1
	s_barrier
	buffer_gl0_inv
	v_mov_b32_e32 v162, 16
	ds_write2_b64 v154, v[86:87], v[88:89] offset1:1
	s_waitcnt lgkmcnt(0)
	s_barrier
	buffer_gl0_inv
	ds_read2_b64 v[154:157], v1 offset0:32 offset1:33
	s_cmp_lt_i32 s1, 18
	s_cbranch_scc1 .LBB74_338
; %bb.336:
	v_add3_u32 v163, v164, 0, 0x110
	v_mov_b32_e32 v162, 16
	s_mov_b32 s3, 17
	s_inst_prefetch 0x1
	.p2align	6
.LBB74_337:                             ; =>This Inner Loop Header: Depth=1
	s_waitcnt lgkmcnt(0)
	v_cmp_gt_f64_e32 vcc_lo, 0, v[156:157]
	v_cmp_gt_f64_e64 s0, 0, v[154:155]
	ds_read2_b64 v[169:172], v163 offset1:1
	v_xor_b32_e32 v174, 0x80000000, v155
	v_xor_b32_e32 v176, 0x80000000, v157
	v_mov_b32_e32 v173, v154
	v_mov_b32_e32 v175, v156
	v_add_nc_u32_e32 v163, 16, v163
	s_waitcnt lgkmcnt(0)
	v_xor_b32_e32 v178, 0x80000000, v172
	v_cndmask_b32_e64 v174, v155, v174, s0
	v_cndmask_b32_e32 v176, v157, v176, vcc_lo
	v_cmp_gt_f64_e32 vcc_lo, 0, v[171:172]
	v_cmp_gt_f64_e64 s0, 0, v[169:170]
	v_mov_b32_e32 v177, v171
	v_add_f64 v[173:174], v[173:174], v[175:176]
	v_xor_b32_e32 v176, 0x80000000, v170
	v_mov_b32_e32 v175, v169
	v_cndmask_b32_e32 v178, v172, v178, vcc_lo
	v_cndmask_b32_e64 v176, v170, v176, s0
	v_add_f64 v[175:176], v[175:176], v[177:178]
	v_cmp_lt_f64_e32 vcc_lo, v[173:174], v[175:176]
	v_cndmask_b32_e32 v155, v155, v170, vcc_lo
	v_cndmask_b32_e32 v154, v154, v169, vcc_lo
	;; [unrolled: 1-line block ×4, first 2 shown]
	v_cndmask_b32_e64 v162, v162, s3, vcc_lo
	s_add_i32 s3, s3, 1
	s_cmp_lg_u32 s1, s3
	s_cbranch_scc1 .LBB74_337
.LBB74_338:
	s_inst_prefetch 0x2
	s_waitcnt lgkmcnt(0)
	v_cmp_eq_f64_e32 vcc_lo, 0, v[154:155]
	v_cmp_eq_f64_e64 s0, 0, v[156:157]
	s_and_b32 s0, vcc_lo, s0
	s_and_saveexec_b32 s3, s0
	s_xor_b32 s0, exec_lo, s3
; %bb.339:
	v_cmp_ne_u32_e32 vcc_lo, 0, v167
	v_cndmask_b32_e32 v167, 17, v167, vcc_lo
; %bb.340:
	s_andn2_saveexec_b32 s0, s0
	s_cbranch_execz .LBB74_346
; %bb.341:
	v_cmp_ngt_f64_e64 s3, |v[154:155]|, |v[156:157]|
	s_and_saveexec_b32 s8, s3
	s_xor_b32 s3, exec_lo, s8
	s_cbranch_execz .LBB74_343
; %bb.342:
	v_div_scale_f64 v[169:170], null, v[156:157], v[156:157], v[154:155]
	v_div_scale_f64 v[175:176], vcc_lo, v[154:155], v[156:157], v[154:155]
	v_rcp_f64_e32 v[171:172], v[169:170]
	v_fma_f64 v[173:174], -v[169:170], v[171:172], 1.0
	v_fma_f64 v[171:172], v[171:172], v[173:174], v[171:172]
	v_fma_f64 v[173:174], -v[169:170], v[171:172], 1.0
	v_fma_f64 v[171:172], v[171:172], v[173:174], v[171:172]
	v_mul_f64 v[173:174], v[175:176], v[171:172]
	v_fma_f64 v[169:170], -v[169:170], v[173:174], v[175:176]
	v_div_fmas_f64 v[169:170], v[169:170], v[171:172], v[173:174]
	v_div_fixup_f64 v[169:170], v[169:170], v[156:157], v[154:155]
	v_fma_f64 v[154:155], v[154:155], v[169:170], v[156:157]
	v_div_scale_f64 v[156:157], null, v[154:155], v[154:155], 1.0
	v_rcp_f64_e32 v[171:172], v[156:157]
	v_fma_f64 v[173:174], -v[156:157], v[171:172], 1.0
	v_fma_f64 v[171:172], v[171:172], v[173:174], v[171:172]
	v_fma_f64 v[173:174], -v[156:157], v[171:172], 1.0
	v_fma_f64 v[171:172], v[171:172], v[173:174], v[171:172]
	v_div_scale_f64 v[173:174], vcc_lo, 1.0, v[154:155], 1.0
	v_mul_f64 v[175:176], v[173:174], v[171:172]
	v_fma_f64 v[156:157], -v[156:157], v[175:176], v[173:174]
	v_div_fmas_f64 v[156:157], v[156:157], v[171:172], v[175:176]
	v_div_fixup_f64 v[156:157], v[156:157], v[154:155], 1.0
	v_mul_f64 v[154:155], v[169:170], v[156:157]
	v_xor_b32_e32 v157, 0x80000000, v157
.LBB74_343:
	s_andn2_saveexec_b32 s3, s3
	s_cbranch_execz .LBB74_345
; %bb.344:
	v_div_scale_f64 v[169:170], null, v[154:155], v[154:155], v[156:157]
	v_div_scale_f64 v[175:176], vcc_lo, v[156:157], v[154:155], v[156:157]
	v_rcp_f64_e32 v[171:172], v[169:170]
	v_fma_f64 v[173:174], -v[169:170], v[171:172], 1.0
	v_fma_f64 v[171:172], v[171:172], v[173:174], v[171:172]
	v_fma_f64 v[173:174], -v[169:170], v[171:172], 1.0
	v_fma_f64 v[171:172], v[171:172], v[173:174], v[171:172]
	v_mul_f64 v[173:174], v[175:176], v[171:172]
	v_fma_f64 v[169:170], -v[169:170], v[173:174], v[175:176]
	v_div_fmas_f64 v[169:170], v[169:170], v[171:172], v[173:174]
	v_div_fixup_f64 v[169:170], v[169:170], v[154:155], v[156:157]
	v_fma_f64 v[154:155], v[156:157], v[169:170], v[154:155]
	v_div_scale_f64 v[156:157], null, v[154:155], v[154:155], 1.0
	v_rcp_f64_e32 v[171:172], v[156:157]
	v_fma_f64 v[173:174], -v[156:157], v[171:172], 1.0
	v_fma_f64 v[171:172], v[171:172], v[173:174], v[171:172]
	v_fma_f64 v[173:174], -v[156:157], v[171:172], 1.0
	v_fma_f64 v[171:172], v[171:172], v[173:174], v[171:172]
	v_div_scale_f64 v[173:174], vcc_lo, 1.0, v[154:155], 1.0
	v_mul_f64 v[175:176], v[173:174], v[171:172]
	v_fma_f64 v[156:157], -v[156:157], v[175:176], v[173:174]
	v_div_fmas_f64 v[156:157], v[156:157], v[171:172], v[175:176]
	v_div_fixup_f64 v[154:155], v[156:157], v[154:155], 1.0
	v_mul_f64 v[156:157], v[169:170], -v[154:155]
.LBB74_345:
	s_or_b32 exec_lo, exec_lo, s3
.LBB74_346:
	s_or_b32 exec_lo, exec_lo, s0
	s_mov_b32 s0, exec_lo
	v_cmpx_ne_u32_e64 v168, v162
	s_xor_b32 s0, exec_lo, s0
	s_cbranch_execz .LBB74_352
; %bb.347:
	s_mov_b32 s3, exec_lo
	v_cmpx_eq_u32_e32 16, v168
	s_cbranch_execz .LBB74_351
; %bb.348:
	v_cmp_ne_u32_e32 vcc_lo, 16, v162
	s_xor_b32 s8, s16, -1
	s_and_b32 s9, s8, vcc_lo
	s_and_saveexec_b32 s8, s9
	s_cbranch_execz .LBB74_350
; %bb.349:
	v_ashrrev_i32_e32 v163, 31, v162
	v_lshlrev_b64 v[168:169], 2, v[162:163]
	v_add_co_u32 v168, vcc_lo, v160, v168
	v_add_co_ci_u32_e64 v169, null, v161, v169, vcc_lo
	s_clause 0x1
	global_load_dword v0, v[168:169], off
	global_load_dword v163, v[160:161], off offset:64
	s_waitcnt vmcnt(1)
	global_store_dword v[160:161], v0, off offset:64
	s_waitcnt vmcnt(0)
	global_store_dword v[168:169], v163, off
.LBB74_350:
	s_or_b32 exec_lo, exec_lo, s8
	v_mov_b32_e32 v168, v162
	v_mov_b32_e32 v0, v162
.LBB74_351:
	s_or_b32 exec_lo, exec_lo, s3
.LBB74_352:
	s_andn2_saveexec_b32 s0, s0
	s_cbranch_execz .LBB74_354
; %bb.353:
	v_mov_b32_e32 v168, 16
	ds_write2_b64 v1, v[82:83], v[84:85] offset0:34 offset1:35
	ds_write2_b64 v1, v[74:75], v[76:77] offset0:36 offset1:37
	;; [unrolled: 1-line block ×21, first 2 shown]
.LBB74_354:
	s_or_b32 exec_lo, exec_lo, s0
	s_mov_b32 s0, exec_lo
	s_waitcnt lgkmcnt(0)
	s_waitcnt_vscnt null, 0x0
	s_barrier
	buffer_gl0_inv
	v_cmpx_lt_i32_e32 16, v168
	s_cbranch_execz .LBB74_356
; %bb.355:
	v_mul_f64 v[162:163], v[156:157], v[88:89]
	v_mul_f64 v[88:89], v[154:155], v[88:89]
	v_fma_f64 v[162:163], v[154:155], v[86:87], -v[162:163]
	v_fma_f64 v[88:89], v[156:157], v[86:87], v[88:89]
	ds_read2_b64 v[154:157], v1 offset0:34 offset1:35
	s_waitcnt lgkmcnt(0)
	v_mul_f64 v[86:87], v[156:157], v[88:89]
	v_fma_f64 v[86:87], v[154:155], v[162:163], -v[86:87]
	v_mul_f64 v[154:155], v[154:155], v[88:89]
	v_add_f64 v[82:83], v[82:83], -v[86:87]
	v_fma_f64 v[154:155], v[156:157], v[162:163], v[154:155]
	v_add_f64 v[84:85], v[84:85], -v[154:155]
	ds_read2_b64 v[154:157], v1 offset0:36 offset1:37
	s_waitcnt lgkmcnt(0)
	v_mul_f64 v[86:87], v[156:157], v[88:89]
	v_fma_f64 v[86:87], v[154:155], v[162:163], -v[86:87]
	v_mul_f64 v[154:155], v[154:155], v[88:89]
	v_add_f64 v[74:75], v[74:75], -v[86:87]
	v_fma_f64 v[154:155], v[156:157], v[162:163], v[154:155]
	v_add_f64 v[76:77], v[76:77], -v[154:155]
	ds_read2_b64 v[154:157], v1 offset0:38 offset1:39
	s_waitcnt lgkmcnt(0)
	v_mul_f64 v[86:87], v[156:157], v[88:89]
	v_fma_f64 v[86:87], v[154:155], v[162:163], -v[86:87]
	v_mul_f64 v[154:155], v[154:155], v[88:89]
	v_add_f64 v[70:71], v[70:71], -v[86:87]
	v_fma_f64 v[154:155], v[156:157], v[162:163], v[154:155]
	v_add_f64 v[72:73], v[72:73], -v[154:155]
	ds_read2_b64 v[154:157], v1 offset0:40 offset1:41
	s_waitcnt lgkmcnt(0)
	v_mul_f64 v[86:87], v[156:157], v[88:89]
	v_fma_f64 v[86:87], v[154:155], v[162:163], -v[86:87]
	v_mul_f64 v[154:155], v[154:155], v[88:89]
	v_add_f64 v[78:79], v[78:79], -v[86:87]
	v_fma_f64 v[154:155], v[156:157], v[162:163], v[154:155]
	v_add_f64 v[80:81], v[80:81], -v[154:155]
	ds_read2_b64 v[154:157], v1 offset0:42 offset1:43
	s_waitcnt lgkmcnt(0)
	v_mul_f64 v[86:87], v[156:157], v[88:89]
	v_fma_f64 v[86:87], v[154:155], v[162:163], -v[86:87]
	v_mul_f64 v[154:155], v[154:155], v[88:89]
	v_add_f64 v[62:63], v[62:63], -v[86:87]
	v_fma_f64 v[154:155], v[156:157], v[162:163], v[154:155]
	v_add_f64 v[64:65], v[64:65], -v[154:155]
	ds_read2_b64 v[154:157], v1 offset0:44 offset1:45
	s_waitcnt lgkmcnt(0)
	v_mul_f64 v[86:87], v[156:157], v[88:89]
	v_fma_f64 v[86:87], v[154:155], v[162:163], -v[86:87]
	v_mul_f64 v[154:155], v[154:155], v[88:89]
	v_add_f64 v[66:67], v[66:67], -v[86:87]
	v_fma_f64 v[154:155], v[156:157], v[162:163], v[154:155]
	v_add_f64 v[68:69], v[68:69], -v[154:155]
	ds_read2_b64 v[154:157], v1 offset0:46 offset1:47
	s_waitcnt lgkmcnt(0)
	v_mul_f64 v[86:87], v[156:157], v[88:89]
	v_fma_f64 v[86:87], v[154:155], v[162:163], -v[86:87]
	v_mul_f64 v[154:155], v[154:155], v[88:89]
	v_add_f64 v[50:51], v[50:51], -v[86:87]
	v_fma_f64 v[154:155], v[156:157], v[162:163], v[154:155]
	v_add_f64 v[52:53], v[52:53], -v[154:155]
	ds_read2_b64 v[154:157], v1 offset0:48 offset1:49
	s_waitcnt lgkmcnt(0)
	v_mul_f64 v[86:87], v[156:157], v[88:89]
	v_fma_f64 v[86:87], v[154:155], v[162:163], -v[86:87]
	v_mul_f64 v[154:155], v[154:155], v[88:89]
	v_add_f64 v[58:59], v[58:59], -v[86:87]
	v_fma_f64 v[154:155], v[156:157], v[162:163], v[154:155]
	v_add_f64 v[60:61], v[60:61], -v[154:155]
	ds_read2_b64 v[154:157], v1 offset0:50 offset1:51
	s_waitcnt lgkmcnt(0)
	v_mul_f64 v[86:87], v[156:157], v[88:89]
	v_fma_f64 v[86:87], v[154:155], v[162:163], -v[86:87]
	v_mul_f64 v[154:155], v[154:155], v[88:89]
	v_add_f64 v[54:55], v[54:55], -v[86:87]
	v_fma_f64 v[154:155], v[156:157], v[162:163], v[154:155]
	v_add_f64 v[56:57], v[56:57], -v[154:155]
	ds_read2_b64 v[154:157], v1 offset0:52 offset1:53
	s_waitcnt lgkmcnt(0)
	v_mul_f64 v[86:87], v[156:157], v[88:89]
	v_fma_f64 v[86:87], v[154:155], v[162:163], -v[86:87]
	v_mul_f64 v[154:155], v[154:155], v[88:89]
	v_add_f64 v[42:43], v[42:43], -v[86:87]
	v_fma_f64 v[154:155], v[156:157], v[162:163], v[154:155]
	v_add_f64 v[44:45], v[44:45], -v[154:155]
	ds_read2_b64 v[154:157], v1 offset0:54 offset1:55
	s_waitcnt lgkmcnt(0)
	v_mul_f64 v[86:87], v[156:157], v[88:89]
	v_fma_f64 v[86:87], v[154:155], v[162:163], -v[86:87]
	v_mul_f64 v[154:155], v[154:155], v[88:89]
	v_add_f64 v[38:39], v[38:39], -v[86:87]
	v_fma_f64 v[154:155], v[156:157], v[162:163], v[154:155]
	v_add_f64 v[40:41], v[40:41], -v[154:155]
	ds_read2_b64 v[154:157], v1 offset0:56 offset1:57
	s_waitcnt lgkmcnt(0)
	v_mul_f64 v[86:87], v[156:157], v[88:89]
	v_fma_f64 v[86:87], v[154:155], v[162:163], -v[86:87]
	v_mul_f64 v[154:155], v[154:155], v[88:89]
	v_add_f64 v[34:35], v[34:35], -v[86:87]
	v_fma_f64 v[154:155], v[156:157], v[162:163], v[154:155]
	v_add_f64 v[36:37], v[36:37], -v[154:155]
	ds_read2_b64 v[154:157], v1 offset0:58 offset1:59
	s_waitcnt lgkmcnt(0)
	v_mul_f64 v[86:87], v[156:157], v[88:89]
	v_fma_f64 v[86:87], v[154:155], v[162:163], -v[86:87]
	v_mul_f64 v[154:155], v[154:155], v[88:89]
	v_add_f64 v[30:31], v[30:31], -v[86:87]
	v_fma_f64 v[154:155], v[156:157], v[162:163], v[154:155]
	v_add_f64 v[32:33], v[32:33], -v[154:155]
	ds_read2_b64 v[154:157], v1 offset0:60 offset1:61
	s_waitcnt lgkmcnt(0)
	v_mul_f64 v[86:87], v[156:157], v[88:89]
	v_fma_f64 v[86:87], v[154:155], v[162:163], -v[86:87]
	v_mul_f64 v[154:155], v[154:155], v[88:89]
	v_add_f64 v[46:47], v[46:47], -v[86:87]
	v_fma_f64 v[154:155], v[156:157], v[162:163], v[154:155]
	v_add_f64 v[48:49], v[48:49], -v[154:155]
	ds_read2_b64 v[154:157], v1 offset0:62 offset1:63
	s_waitcnt lgkmcnt(0)
	v_mul_f64 v[86:87], v[156:157], v[88:89]
	v_fma_f64 v[86:87], v[154:155], v[162:163], -v[86:87]
	v_mul_f64 v[154:155], v[154:155], v[88:89]
	v_add_f64 v[26:27], v[26:27], -v[86:87]
	v_fma_f64 v[154:155], v[156:157], v[162:163], v[154:155]
	v_add_f64 v[28:29], v[28:29], -v[154:155]
	ds_read2_b64 v[154:157], v1 offset0:64 offset1:65
	s_waitcnt lgkmcnt(0)
	v_mul_f64 v[86:87], v[156:157], v[88:89]
	v_fma_f64 v[86:87], v[154:155], v[162:163], -v[86:87]
	v_mul_f64 v[154:155], v[154:155], v[88:89]
	v_add_f64 v[22:23], v[22:23], -v[86:87]
	v_fma_f64 v[154:155], v[156:157], v[162:163], v[154:155]
	v_add_f64 v[24:25], v[24:25], -v[154:155]
	ds_read2_b64 v[154:157], v1 offset0:66 offset1:67
	s_waitcnt lgkmcnt(0)
	v_mul_f64 v[86:87], v[156:157], v[88:89]
	v_fma_f64 v[86:87], v[154:155], v[162:163], -v[86:87]
	v_mul_f64 v[154:155], v[154:155], v[88:89]
	v_add_f64 v[18:19], v[18:19], -v[86:87]
	v_fma_f64 v[154:155], v[156:157], v[162:163], v[154:155]
	v_add_f64 v[20:21], v[20:21], -v[154:155]
	ds_read2_b64 v[154:157], v1 offset0:68 offset1:69
	s_waitcnt lgkmcnt(0)
	v_mul_f64 v[86:87], v[156:157], v[88:89]
	v_fma_f64 v[86:87], v[154:155], v[162:163], -v[86:87]
	v_mul_f64 v[154:155], v[154:155], v[88:89]
	v_add_f64 v[14:15], v[14:15], -v[86:87]
	v_fma_f64 v[154:155], v[156:157], v[162:163], v[154:155]
	v_add_f64 v[16:17], v[16:17], -v[154:155]
	ds_read2_b64 v[154:157], v1 offset0:70 offset1:71
	s_waitcnt lgkmcnt(0)
	v_mul_f64 v[86:87], v[156:157], v[88:89]
	v_fma_f64 v[86:87], v[154:155], v[162:163], -v[86:87]
	v_mul_f64 v[154:155], v[154:155], v[88:89]
	v_add_f64 v[10:11], v[10:11], -v[86:87]
	v_fma_f64 v[154:155], v[156:157], v[162:163], v[154:155]
	v_add_f64 v[12:13], v[12:13], -v[154:155]
	ds_read2_b64 v[154:157], v1 offset0:72 offset1:73
	s_waitcnt lgkmcnt(0)
	v_mul_f64 v[86:87], v[156:157], v[88:89]
	v_fma_f64 v[86:87], v[154:155], v[162:163], -v[86:87]
	v_mul_f64 v[154:155], v[154:155], v[88:89]
	v_add_f64 v[6:7], v[6:7], -v[86:87]
	v_fma_f64 v[154:155], v[156:157], v[162:163], v[154:155]
	v_add_f64 v[8:9], v[8:9], -v[154:155]
	ds_read2_b64 v[154:157], v1 offset0:74 offset1:75
	s_waitcnt lgkmcnt(0)
	v_mul_f64 v[86:87], v[156:157], v[88:89]
	v_fma_f64 v[86:87], v[154:155], v[162:163], -v[86:87]
	v_mul_f64 v[154:155], v[154:155], v[88:89]
	v_add_f64 v[2:3], v[2:3], -v[86:87]
	v_fma_f64 v[154:155], v[156:157], v[162:163], v[154:155]
	v_mov_b32_e32 v86, v162
	v_mov_b32_e32 v87, v163
	v_add_f64 v[4:5], v[4:5], -v[154:155]
.LBB74_356:
	s_or_b32 exec_lo, exec_lo, s0
	v_lshl_add_u32 v154, v168, 4, v1
	s_barrier
	buffer_gl0_inv
	v_mov_b32_e32 v162, 17
	ds_write2_b64 v154, v[82:83], v[84:85] offset1:1
	s_waitcnt lgkmcnt(0)
	s_barrier
	buffer_gl0_inv
	ds_read2_b64 v[154:157], v1 offset0:34 offset1:35
	s_cmp_lt_i32 s1, 19
	s_cbranch_scc1 .LBB74_359
; %bb.357:
	v_add3_u32 v163, v164, 0, 0x120
	v_mov_b32_e32 v162, 17
	s_mov_b32 s3, 18
	s_inst_prefetch 0x1
	.p2align	6
.LBB74_358:                             ; =>This Inner Loop Header: Depth=1
	s_waitcnt lgkmcnt(0)
	v_cmp_gt_f64_e32 vcc_lo, 0, v[156:157]
	v_cmp_gt_f64_e64 s0, 0, v[154:155]
	ds_read2_b64 v[169:172], v163 offset1:1
	v_xor_b32_e32 v174, 0x80000000, v155
	v_xor_b32_e32 v176, 0x80000000, v157
	v_mov_b32_e32 v173, v154
	v_mov_b32_e32 v175, v156
	v_add_nc_u32_e32 v163, 16, v163
	s_waitcnt lgkmcnt(0)
	v_xor_b32_e32 v178, 0x80000000, v172
	v_cndmask_b32_e64 v174, v155, v174, s0
	v_cndmask_b32_e32 v176, v157, v176, vcc_lo
	v_cmp_gt_f64_e32 vcc_lo, 0, v[171:172]
	v_cmp_gt_f64_e64 s0, 0, v[169:170]
	v_mov_b32_e32 v177, v171
	v_add_f64 v[173:174], v[173:174], v[175:176]
	v_xor_b32_e32 v176, 0x80000000, v170
	v_mov_b32_e32 v175, v169
	v_cndmask_b32_e32 v178, v172, v178, vcc_lo
	v_cndmask_b32_e64 v176, v170, v176, s0
	v_add_f64 v[175:176], v[175:176], v[177:178]
	v_cmp_lt_f64_e32 vcc_lo, v[173:174], v[175:176]
	v_cndmask_b32_e32 v155, v155, v170, vcc_lo
	v_cndmask_b32_e32 v154, v154, v169, vcc_lo
	;; [unrolled: 1-line block ×4, first 2 shown]
	v_cndmask_b32_e64 v162, v162, s3, vcc_lo
	s_add_i32 s3, s3, 1
	s_cmp_lg_u32 s1, s3
	s_cbranch_scc1 .LBB74_358
.LBB74_359:
	s_inst_prefetch 0x2
	s_waitcnt lgkmcnt(0)
	v_cmp_eq_f64_e32 vcc_lo, 0, v[154:155]
	v_cmp_eq_f64_e64 s0, 0, v[156:157]
	s_and_b32 s0, vcc_lo, s0
	s_and_saveexec_b32 s3, s0
	s_xor_b32 s0, exec_lo, s3
; %bb.360:
	v_cmp_ne_u32_e32 vcc_lo, 0, v167
	v_cndmask_b32_e32 v167, 18, v167, vcc_lo
; %bb.361:
	s_andn2_saveexec_b32 s0, s0
	s_cbranch_execz .LBB74_367
; %bb.362:
	v_cmp_ngt_f64_e64 s3, |v[154:155]|, |v[156:157]|
	s_and_saveexec_b32 s8, s3
	s_xor_b32 s3, exec_lo, s8
	s_cbranch_execz .LBB74_364
; %bb.363:
	v_div_scale_f64 v[169:170], null, v[156:157], v[156:157], v[154:155]
	v_div_scale_f64 v[175:176], vcc_lo, v[154:155], v[156:157], v[154:155]
	v_rcp_f64_e32 v[171:172], v[169:170]
	v_fma_f64 v[173:174], -v[169:170], v[171:172], 1.0
	v_fma_f64 v[171:172], v[171:172], v[173:174], v[171:172]
	v_fma_f64 v[173:174], -v[169:170], v[171:172], 1.0
	v_fma_f64 v[171:172], v[171:172], v[173:174], v[171:172]
	v_mul_f64 v[173:174], v[175:176], v[171:172]
	v_fma_f64 v[169:170], -v[169:170], v[173:174], v[175:176]
	v_div_fmas_f64 v[169:170], v[169:170], v[171:172], v[173:174]
	v_div_fixup_f64 v[169:170], v[169:170], v[156:157], v[154:155]
	v_fma_f64 v[154:155], v[154:155], v[169:170], v[156:157]
	v_div_scale_f64 v[156:157], null, v[154:155], v[154:155], 1.0
	v_rcp_f64_e32 v[171:172], v[156:157]
	v_fma_f64 v[173:174], -v[156:157], v[171:172], 1.0
	v_fma_f64 v[171:172], v[171:172], v[173:174], v[171:172]
	v_fma_f64 v[173:174], -v[156:157], v[171:172], 1.0
	v_fma_f64 v[171:172], v[171:172], v[173:174], v[171:172]
	v_div_scale_f64 v[173:174], vcc_lo, 1.0, v[154:155], 1.0
	v_mul_f64 v[175:176], v[173:174], v[171:172]
	v_fma_f64 v[156:157], -v[156:157], v[175:176], v[173:174]
	v_div_fmas_f64 v[156:157], v[156:157], v[171:172], v[175:176]
	v_div_fixup_f64 v[156:157], v[156:157], v[154:155], 1.0
	v_mul_f64 v[154:155], v[169:170], v[156:157]
	v_xor_b32_e32 v157, 0x80000000, v157
.LBB74_364:
	s_andn2_saveexec_b32 s3, s3
	s_cbranch_execz .LBB74_366
; %bb.365:
	v_div_scale_f64 v[169:170], null, v[154:155], v[154:155], v[156:157]
	v_div_scale_f64 v[175:176], vcc_lo, v[156:157], v[154:155], v[156:157]
	v_rcp_f64_e32 v[171:172], v[169:170]
	v_fma_f64 v[173:174], -v[169:170], v[171:172], 1.0
	v_fma_f64 v[171:172], v[171:172], v[173:174], v[171:172]
	v_fma_f64 v[173:174], -v[169:170], v[171:172], 1.0
	v_fma_f64 v[171:172], v[171:172], v[173:174], v[171:172]
	v_mul_f64 v[173:174], v[175:176], v[171:172]
	v_fma_f64 v[169:170], -v[169:170], v[173:174], v[175:176]
	v_div_fmas_f64 v[169:170], v[169:170], v[171:172], v[173:174]
	v_div_fixup_f64 v[169:170], v[169:170], v[154:155], v[156:157]
	v_fma_f64 v[154:155], v[156:157], v[169:170], v[154:155]
	v_div_scale_f64 v[156:157], null, v[154:155], v[154:155], 1.0
	v_rcp_f64_e32 v[171:172], v[156:157]
	v_fma_f64 v[173:174], -v[156:157], v[171:172], 1.0
	v_fma_f64 v[171:172], v[171:172], v[173:174], v[171:172]
	v_fma_f64 v[173:174], -v[156:157], v[171:172], 1.0
	v_fma_f64 v[171:172], v[171:172], v[173:174], v[171:172]
	v_div_scale_f64 v[173:174], vcc_lo, 1.0, v[154:155], 1.0
	v_mul_f64 v[175:176], v[173:174], v[171:172]
	v_fma_f64 v[156:157], -v[156:157], v[175:176], v[173:174]
	v_div_fmas_f64 v[156:157], v[156:157], v[171:172], v[175:176]
	v_div_fixup_f64 v[154:155], v[156:157], v[154:155], 1.0
	v_mul_f64 v[156:157], v[169:170], -v[154:155]
.LBB74_366:
	s_or_b32 exec_lo, exec_lo, s3
.LBB74_367:
	s_or_b32 exec_lo, exec_lo, s0
	s_mov_b32 s0, exec_lo
	v_cmpx_ne_u32_e64 v168, v162
	s_xor_b32 s0, exec_lo, s0
	s_cbranch_execz .LBB74_373
; %bb.368:
	s_mov_b32 s3, exec_lo
	v_cmpx_eq_u32_e32 17, v168
	s_cbranch_execz .LBB74_372
; %bb.369:
	v_cmp_ne_u32_e32 vcc_lo, 17, v162
	s_xor_b32 s8, s16, -1
	s_and_b32 s9, s8, vcc_lo
	s_and_saveexec_b32 s8, s9
	s_cbranch_execz .LBB74_371
; %bb.370:
	v_ashrrev_i32_e32 v163, 31, v162
	v_lshlrev_b64 v[168:169], 2, v[162:163]
	v_add_co_u32 v168, vcc_lo, v160, v168
	v_add_co_ci_u32_e64 v169, null, v161, v169, vcc_lo
	s_clause 0x1
	global_load_dword v0, v[168:169], off
	global_load_dword v163, v[160:161], off offset:68
	s_waitcnt vmcnt(1)
	global_store_dword v[160:161], v0, off offset:68
	s_waitcnt vmcnt(0)
	global_store_dword v[168:169], v163, off
.LBB74_371:
	s_or_b32 exec_lo, exec_lo, s8
	v_mov_b32_e32 v168, v162
	v_mov_b32_e32 v0, v162
.LBB74_372:
	s_or_b32 exec_lo, exec_lo, s3
.LBB74_373:
	s_andn2_saveexec_b32 s0, s0
	s_cbranch_execz .LBB74_375
; %bb.374:
	v_mov_b32_e32 v168, 17
	ds_write2_b64 v1, v[74:75], v[76:77] offset0:36 offset1:37
	ds_write2_b64 v1, v[70:71], v[72:73] offset0:38 offset1:39
	;; [unrolled: 1-line block ×20, first 2 shown]
.LBB74_375:
	s_or_b32 exec_lo, exec_lo, s0
	s_mov_b32 s0, exec_lo
	s_waitcnt lgkmcnt(0)
	s_waitcnt_vscnt null, 0x0
	s_barrier
	buffer_gl0_inv
	v_cmpx_lt_i32_e32 17, v168
	s_cbranch_execz .LBB74_377
; %bb.376:
	v_mul_f64 v[162:163], v[156:157], v[84:85]
	v_mul_f64 v[84:85], v[154:155], v[84:85]
	v_fma_f64 v[162:163], v[154:155], v[82:83], -v[162:163]
	v_fma_f64 v[84:85], v[156:157], v[82:83], v[84:85]
	ds_read2_b64 v[154:157], v1 offset0:36 offset1:37
	s_waitcnt lgkmcnt(0)
	v_mul_f64 v[82:83], v[156:157], v[84:85]
	v_fma_f64 v[82:83], v[154:155], v[162:163], -v[82:83]
	v_mul_f64 v[154:155], v[154:155], v[84:85]
	v_add_f64 v[74:75], v[74:75], -v[82:83]
	v_fma_f64 v[154:155], v[156:157], v[162:163], v[154:155]
	v_add_f64 v[76:77], v[76:77], -v[154:155]
	ds_read2_b64 v[154:157], v1 offset0:38 offset1:39
	s_waitcnt lgkmcnt(0)
	v_mul_f64 v[82:83], v[156:157], v[84:85]
	v_fma_f64 v[82:83], v[154:155], v[162:163], -v[82:83]
	v_mul_f64 v[154:155], v[154:155], v[84:85]
	v_add_f64 v[70:71], v[70:71], -v[82:83]
	v_fma_f64 v[154:155], v[156:157], v[162:163], v[154:155]
	v_add_f64 v[72:73], v[72:73], -v[154:155]
	;; [unrolled: 8-line block ×19, first 2 shown]
	ds_read2_b64 v[154:157], v1 offset0:74 offset1:75
	s_waitcnt lgkmcnt(0)
	v_mul_f64 v[82:83], v[156:157], v[84:85]
	v_fma_f64 v[82:83], v[154:155], v[162:163], -v[82:83]
	v_mul_f64 v[154:155], v[154:155], v[84:85]
	v_add_f64 v[2:3], v[2:3], -v[82:83]
	v_fma_f64 v[154:155], v[156:157], v[162:163], v[154:155]
	v_mov_b32_e32 v82, v162
	v_mov_b32_e32 v83, v163
	v_add_f64 v[4:5], v[4:5], -v[154:155]
.LBB74_377:
	s_or_b32 exec_lo, exec_lo, s0
	v_lshl_add_u32 v154, v168, 4, v1
	s_barrier
	buffer_gl0_inv
	v_mov_b32_e32 v162, 18
	ds_write2_b64 v154, v[74:75], v[76:77] offset1:1
	s_waitcnt lgkmcnt(0)
	s_barrier
	buffer_gl0_inv
	ds_read2_b64 v[154:157], v1 offset0:36 offset1:37
	s_cmp_lt_i32 s1, 20
	s_cbranch_scc1 .LBB74_380
; %bb.378:
	v_add3_u32 v163, v164, 0, 0x130
	v_mov_b32_e32 v162, 18
	s_mov_b32 s3, 19
	s_inst_prefetch 0x1
	.p2align	6
.LBB74_379:                             ; =>This Inner Loop Header: Depth=1
	s_waitcnt lgkmcnt(0)
	v_cmp_gt_f64_e32 vcc_lo, 0, v[156:157]
	v_cmp_gt_f64_e64 s0, 0, v[154:155]
	ds_read2_b64 v[169:172], v163 offset1:1
	v_xor_b32_e32 v174, 0x80000000, v155
	v_xor_b32_e32 v176, 0x80000000, v157
	v_mov_b32_e32 v173, v154
	v_mov_b32_e32 v175, v156
	v_add_nc_u32_e32 v163, 16, v163
	s_waitcnt lgkmcnt(0)
	v_xor_b32_e32 v178, 0x80000000, v172
	v_cndmask_b32_e64 v174, v155, v174, s0
	v_cndmask_b32_e32 v176, v157, v176, vcc_lo
	v_cmp_gt_f64_e32 vcc_lo, 0, v[171:172]
	v_cmp_gt_f64_e64 s0, 0, v[169:170]
	v_mov_b32_e32 v177, v171
	v_add_f64 v[173:174], v[173:174], v[175:176]
	v_xor_b32_e32 v176, 0x80000000, v170
	v_mov_b32_e32 v175, v169
	v_cndmask_b32_e32 v178, v172, v178, vcc_lo
	v_cndmask_b32_e64 v176, v170, v176, s0
	v_add_f64 v[175:176], v[175:176], v[177:178]
	v_cmp_lt_f64_e32 vcc_lo, v[173:174], v[175:176]
	v_cndmask_b32_e32 v155, v155, v170, vcc_lo
	v_cndmask_b32_e32 v154, v154, v169, vcc_lo
	;; [unrolled: 1-line block ×4, first 2 shown]
	v_cndmask_b32_e64 v162, v162, s3, vcc_lo
	s_add_i32 s3, s3, 1
	s_cmp_lg_u32 s1, s3
	s_cbranch_scc1 .LBB74_379
.LBB74_380:
	s_inst_prefetch 0x2
	s_waitcnt lgkmcnt(0)
	v_cmp_eq_f64_e32 vcc_lo, 0, v[154:155]
	v_cmp_eq_f64_e64 s0, 0, v[156:157]
	s_and_b32 s0, vcc_lo, s0
	s_and_saveexec_b32 s3, s0
	s_xor_b32 s0, exec_lo, s3
; %bb.381:
	v_cmp_ne_u32_e32 vcc_lo, 0, v167
	v_cndmask_b32_e32 v167, 19, v167, vcc_lo
; %bb.382:
	s_andn2_saveexec_b32 s0, s0
	s_cbranch_execz .LBB74_388
; %bb.383:
	v_cmp_ngt_f64_e64 s3, |v[154:155]|, |v[156:157]|
	s_and_saveexec_b32 s8, s3
	s_xor_b32 s3, exec_lo, s8
	s_cbranch_execz .LBB74_385
; %bb.384:
	v_div_scale_f64 v[169:170], null, v[156:157], v[156:157], v[154:155]
	v_div_scale_f64 v[175:176], vcc_lo, v[154:155], v[156:157], v[154:155]
	v_rcp_f64_e32 v[171:172], v[169:170]
	v_fma_f64 v[173:174], -v[169:170], v[171:172], 1.0
	v_fma_f64 v[171:172], v[171:172], v[173:174], v[171:172]
	v_fma_f64 v[173:174], -v[169:170], v[171:172], 1.0
	v_fma_f64 v[171:172], v[171:172], v[173:174], v[171:172]
	v_mul_f64 v[173:174], v[175:176], v[171:172]
	v_fma_f64 v[169:170], -v[169:170], v[173:174], v[175:176]
	v_div_fmas_f64 v[169:170], v[169:170], v[171:172], v[173:174]
	v_div_fixup_f64 v[169:170], v[169:170], v[156:157], v[154:155]
	v_fma_f64 v[154:155], v[154:155], v[169:170], v[156:157]
	v_div_scale_f64 v[156:157], null, v[154:155], v[154:155], 1.0
	v_rcp_f64_e32 v[171:172], v[156:157]
	v_fma_f64 v[173:174], -v[156:157], v[171:172], 1.0
	v_fma_f64 v[171:172], v[171:172], v[173:174], v[171:172]
	v_fma_f64 v[173:174], -v[156:157], v[171:172], 1.0
	v_fma_f64 v[171:172], v[171:172], v[173:174], v[171:172]
	v_div_scale_f64 v[173:174], vcc_lo, 1.0, v[154:155], 1.0
	v_mul_f64 v[175:176], v[173:174], v[171:172]
	v_fma_f64 v[156:157], -v[156:157], v[175:176], v[173:174]
	v_div_fmas_f64 v[156:157], v[156:157], v[171:172], v[175:176]
	v_div_fixup_f64 v[156:157], v[156:157], v[154:155], 1.0
	v_mul_f64 v[154:155], v[169:170], v[156:157]
	v_xor_b32_e32 v157, 0x80000000, v157
.LBB74_385:
	s_andn2_saveexec_b32 s3, s3
	s_cbranch_execz .LBB74_387
; %bb.386:
	v_div_scale_f64 v[169:170], null, v[154:155], v[154:155], v[156:157]
	v_div_scale_f64 v[175:176], vcc_lo, v[156:157], v[154:155], v[156:157]
	v_rcp_f64_e32 v[171:172], v[169:170]
	v_fma_f64 v[173:174], -v[169:170], v[171:172], 1.0
	v_fma_f64 v[171:172], v[171:172], v[173:174], v[171:172]
	v_fma_f64 v[173:174], -v[169:170], v[171:172], 1.0
	v_fma_f64 v[171:172], v[171:172], v[173:174], v[171:172]
	v_mul_f64 v[173:174], v[175:176], v[171:172]
	v_fma_f64 v[169:170], -v[169:170], v[173:174], v[175:176]
	v_div_fmas_f64 v[169:170], v[169:170], v[171:172], v[173:174]
	v_div_fixup_f64 v[169:170], v[169:170], v[154:155], v[156:157]
	v_fma_f64 v[154:155], v[156:157], v[169:170], v[154:155]
	v_div_scale_f64 v[156:157], null, v[154:155], v[154:155], 1.0
	v_rcp_f64_e32 v[171:172], v[156:157]
	v_fma_f64 v[173:174], -v[156:157], v[171:172], 1.0
	v_fma_f64 v[171:172], v[171:172], v[173:174], v[171:172]
	v_fma_f64 v[173:174], -v[156:157], v[171:172], 1.0
	v_fma_f64 v[171:172], v[171:172], v[173:174], v[171:172]
	v_div_scale_f64 v[173:174], vcc_lo, 1.0, v[154:155], 1.0
	v_mul_f64 v[175:176], v[173:174], v[171:172]
	v_fma_f64 v[156:157], -v[156:157], v[175:176], v[173:174]
	v_div_fmas_f64 v[156:157], v[156:157], v[171:172], v[175:176]
	v_div_fixup_f64 v[154:155], v[156:157], v[154:155], 1.0
	v_mul_f64 v[156:157], v[169:170], -v[154:155]
.LBB74_387:
	s_or_b32 exec_lo, exec_lo, s3
.LBB74_388:
	s_or_b32 exec_lo, exec_lo, s0
	s_mov_b32 s0, exec_lo
	v_cmpx_ne_u32_e64 v168, v162
	s_xor_b32 s0, exec_lo, s0
	s_cbranch_execz .LBB74_394
; %bb.389:
	s_mov_b32 s3, exec_lo
	v_cmpx_eq_u32_e32 18, v168
	s_cbranch_execz .LBB74_393
; %bb.390:
	v_cmp_ne_u32_e32 vcc_lo, 18, v162
	s_xor_b32 s8, s16, -1
	s_and_b32 s9, s8, vcc_lo
	s_and_saveexec_b32 s8, s9
	s_cbranch_execz .LBB74_392
; %bb.391:
	v_ashrrev_i32_e32 v163, 31, v162
	v_lshlrev_b64 v[168:169], 2, v[162:163]
	v_add_co_u32 v168, vcc_lo, v160, v168
	v_add_co_ci_u32_e64 v169, null, v161, v169, vcc_lo
	s_clause 0x1
	global_load_dword v0, v[168:169], off
	global_load_dword v163, v[160:161], off offset:72
	s_waitcnt vmcnt(1)
	global_store_dword v[160:161], v0, off offset:72
	s_waitcnt vmcnt(0)
	global_store_dword v[168:169], v163, off
.LBB74_392:
	s_or_b32 exec_lo, exec_lo, s8
	v_mov_b32_e32 v168, v162
	v_mov_b32_e32 v0, v162
.LBB74_393:
	s_or_b32 exec_lo, exec_lo, s3
.LBB74_394:
	s_andn2_saveexec_b32 s0, s0
	s_cbranch_execz .LBB74_396
; %bb.395:
	v_mov_b32_e32 v168, 18
	ds_write2_b64 v1, v[70:71], v[72:73] offset0:38 offset1:39
	ds_write2_b64 v1, v[78:79], v[80:81] offset0:40 offset1:41
	;; [unrolled: 1-line block ×19, first 2 shown]
.LBB74_396:
	s_or_b32 exec_lo, exec_lo, s0
	s_mov_b32 s0, exec_lo
	s_waitcnt lgkmcnt(0)
	s_waitcnt_vscnt null, 0x0
	s_barrier
	buffer_gl0_inv
	v_cmpx_lt_i32_e32 18, v168
	s_cbranch_execz .LBB74_398
; %bb.397:
	v_mul_f64 v[162:163], v[156:157], v[76:77]
	v_mul_f64 v[76:77], v[154:155], v[76:77]
	v_fma_f64 v[162:163], v[154:155], v[74:75], -v[162:163]
	v_fma_f64 v[76:77], v[156:157], v[74:75], v[76:77]
	ds_read2_b64 v[154:157], v1 offset0:38 offset1:39
	s_waitcnt lgkmcnt(0)
	v_mul_f64 v[74:75], v[156:157], v[76:77]
	v_fma_f64 v[74:75], v[154:155], v[162:163], -v[74:75]
	v_mul_f64 v[154:155], v[154:155], v[76:77]
	v_add_f64 v[70:71], v[70:71], -v[74:75]
	v_fma_f64 v[154:155], v[156:157], v[162:163], v[154:155]
	v_add_f64 v[72:73], v[72:73], -v[154:155]
	ds_read2_b64 v[154:157], v1 offset0:40 offset1:41
	s_waitcnt lgkmcnt(0)
	v_mul_f64 v[74:75], v[156:157], v[76:77]
	v_fma_f64 v[74:75], v[154:155], v[162:163], -v[74:75]
	v_mul_f64 v[154:155], v[154:155], v[76:77]
	v_add_f64 v[78:79], v[78:79], -v[74:75]
	v_fma_f64 v[154:155], v[156:157], v[162:163], v[154:155]
	v_add_f64 v[80:81], v[80:81], -v[154:155]
	;; [unrolled: 8-line block ×18, first 2 shown]
	ds_read2_b64 v[154:157], v1 offset0:74 offset1:75
	s_waitcnt lgkmcnt(0)
	v_mul_f64 v[74:75], v[156:157], v[76:77]
	v_fma_f64 v[74:75], v[154:155], v[162:163], -v[74:75]
	v_mul_f64 v[154:155], v[154:155], v[76:77]
	v_add_f64 v[2:3], v[2:3], -v[74:75]
	v_fma_f64 v[154:155], v[156:157], v[162:163], v[154:155]
	v_mov_b32_e32 v74, v162
	v_mov_b32_e32 v75, v163
	v_add_f64 v[4:5], v[4:5], -v[154:155]
.LBB74_398:
	s_or_b32 exec_lo, exec_lo, s0
	v_lshl_add_u32 v154, v168, 4, v1
	s_barrier
	buffer_gl0_inv
	v_mov_b32_e32 v162, 19
	ds_write2_b64 v154, v[70:71], v[72:73] offset1:1
	s_waitcnt lgkmcnt(0)
	s_barrier
	buffer_gl0_inv
	ds_read2_b64 v[154:157], v1 offset0:38 offset1:39
	s_cmp_lt_i32 s1, 21
	s_cbranch_scc1 .LBB74_401
; %bb.399:
	v_add3_u32 v163, v164, 0, 0x140
	v_mov_b32_e32 v162, 19
	s_mov_b32 s3, 20
	s_inst_prefetch 0x1
	.p2align	6
.LBB74_400:                             ; =>This Inner Loop Header: Depth=1
	s_waitcnt lgkmcnt(0)
	v_cmp_gt_f64_e32 vcc_lo, 0, v[156:157]
	v_cmp_gt_f64_e64 s0, 0, v[154:155]
	ds_read2_b64 v[169:172], v163 offset1:1
	v_xor_b32_e32 v174, 0x80000000, v155
	v_xor_b32_e32 v176, 0x80000000, v157
	v_mov_b32_e32 v173, v154
	v_mov_b32_e32 v175, v156
	v_add_nc_u32_e32 v163, 16, v163
	s_waitcnt lgkmcnt(0)
	v_xor_b32_e32 v178, 0x80000000, v172
	v_cndmask_b32_e64 v174, v155, v174, s0
	v_cndmask_b32_e32 v176, v157, v176, vcc_lo
	v_cmp_gt_f64_e32 vcc_lo, 0, v[171:172]
	v_cmp_gt_f64_e64 s0, 0, v[169:170]
	v_mov_b32_e32 v177, v171
	v_add_f64 v[173:174], v[173:174], v[175:176]
	v_xor_b32_e32 v176, 0x80000000, v170
	v_mov_b32_e32 v175, v169
	v_cndmask_b32_e32 v178, v172, v178, vcc_lo
	v_cndmask_b32_e64 v176, v170, v176, s0
	v_add_f64 v[175:176], v[175:176], v[177:178]
	v_cmp_lt_f64_e32 vcc_lo, v[173:174], v[175:176]
	v_cndmask_b32_e32 v155, v155, v170, vcc_lo
	v_cndmask_b32_e32 v154, v154, v169, vcc_lo
	;; [unrolled: 1-line block ×4, first 2 shown]
	v_cndmask_b32_e64 v162, v162, s3, vcc_lo
	s_add_i32 s3, s3, 1
	s_cmp_lg_u32 s1, s3
	s_cbranch_scc1 .LBB74_400
.LBB74_401:
	s_inst_prefetch 0x2
	s_waitcnt lgkmcnt(0)
	v_cmp_eq_f64_e32 vcc_lo, 0, v[154:155]
	v_cmp_eq_f64_e64 s0, 0, v[156:157]
	s_and_b32 s0, vcc_lo, s0
	s_and_saveexec_b32 s3, s0
	s_xor_b32 s0, exec_lo, s3
; %bb.402:
	v_cmp_ne_u32_e32 vcc_lo, 0, v167
	v_cndmask_b32_e32 v167, 20, v167, vcc_lo
; %bb.403:
	s_andn2_saveexec_b32 s0, s0
	s_cbranch_execz .LBB74_409
; %bb.404:
	v_cmp_ngt_f64_e64 s3, |v[154:155]|, |v[156:157]|
	s_and_saveexec_b32 s8, s3
	s_xor_b32 s3, exec_lo, s8
	s_cbranch_execz .LBB74_406
; %bb.405:
	v_div_scale_f64 v[169:170], null, v[156:157], v[156:157], v[154:155]
	v_div_scale_f64 v[175:176], vcc_lo, v[154:155], v[156:157], v[154:155]
	v_rcp_f64_e32 v[171:172], v[169:170]
	v_fma_f64 v[173:174], -v[169:170], v[171:172], 1.0
	v_fma_f64 v[171:172], v[171:172], v[173:174], v[171:172]
	v_fma_f64 v[173:174], -v[169:170], v[171:172], 1.0
	v_fma_f64 v[171:172], v[171:172], v[173:174], v[171:172]
	v_mul_f64 v[173:174], v[175:176], v[171:172]
	v_fma_f64 v[169:170], -v[169:170], v[173:174], v[175:176]
	v_div_fmas_f64 v[169:170], v[169:170], v[171:172], v[173:174]
	v_div_fixup_f64 v[169:170], v[169:170], v[156:157], v[154:155]
	v_fma_f64 v[154:155], v[154:155], v[169:170], v[156:157]
	v_div_scale_f64 v[156:157], null, v[154:155], v[154:155], 1.0
	v_rcp_f64_e32 v[171:172], v[156:157]
	v_fma_f64 v[173:174], -v[156:157], v[171:172], 1.0
	v_fma_f64 v[171:172], v[171:172], v[173:174], v[171:172]
	v_fma_f64 v[173:174], -v[156:157], v[171:172], 1.0
	v_fma_f64 v[171:172], v[171:172], v[173:174], v[171:172]
	v_div_scale_f64 v[173:174], vcc_lo, 1.0, v[154:155], 1.0
	v_mul_f64 v[175:176], v[173:174], v[171:172]
	v_fma_f64 v[156:157], -v[156:157], v[175:176], v[173:174]
	v_div_fmas_f64 v[156:157], v[156:157], v[171:172], v[175:176]
	v_div_fixup_f64 v[156:157], v[156:157], v[154:155], 1.0
	v_mul_f64 v[154:155], v[169:170], v[156:157]
	v_xor_b32_e32 v157, 0x80000000, v157
.LBB74_406:
	s_andn2_saveexec_b32 s3, s3
	s_cbranch_execz .LBB74_408
; %bb.407:
	v_div_scale_f64 v[169:170], null, v[154:155], v[154:155], v[156:157]
	v_div_scale_f64 v[175:176], vcc_lo, v[156:157], v[154:155], v[156:157]
	v_rcp_f64_e32 v[171:172], v[169:170]
	v_fma_f64 v[173:174], -v[169:170], v[171:172], 1.0
	v_fma_f64 v[171:172], v[171:172], v[173:174], v[171:172]
	v_fma_f64 v[173:174], -v[169:170], v[171:172], 1.0
	v_fma_f64 v[171:172], v[171:172], v[173:174], v[171:172]
	v_mul_f64 v[173:174], v[175:176], v[171:172]
	v_fma_f64 v[169:170], -v[169:170], v[173:174], v[175:176]
	v_div_fmas_f64 v[169:170], v[169:170], v[171:172], v[173:174]
	v_div_fixup_f64 v[169:170], v[169:170], v[154:155], v[156:157]
	v_fma_f64 v[154:155], v[156:157], v[169:170], v[154:155]
	v_div_scale_f64 v[156:157], null, v[154:155], v[154:155], 1.0
	v_rcp_f64_e32 v[171:172], v[156:157]
	v_fma_f64 v[173:174], -v[156:157], v[171:172], 1.0
	v_fma_f64 v[171:172], v[171:172], v[173:174], v[171:172]
	v_fma_f64 v[173:174], -v[156:157], v[171:172], 1.0
	v_fma_f64 v[171:172], v[171:172], v[173:174], v[171:172]
	v_div_scale_f64 v[173:174], vcc_lo, 1.0, v[154:155], 1.0
	v_mul_f64 v[175:176], v[173:174], v[171:172]
	v_fma_f64 v[156:157], -v[156:157], v[175:176], v[173:174]
	v_div_fmas_f64 v[156:157], v[156:157], v[171:172], v[175:176]
	v_div_fixup_f64 v[154:155], v[156:157], v[154:155], 1.0
	v_mul_f64 v[156:157], v[169:170], -v[154:155]
.LBB74_408:
	s_or_b32 exec_lo, exec_lo, s3
.LBB74_409:
	s_or_b32 exec_lo, exec_lo, s0
	s_mov_b32 s0, exec_lo
	v_cmpx_ne_u32_e64 v168, v162
	s_xor_b32 s0, exec_lo, s0
	s_cbranch_execz .LBB74_415
; %bb.410:
	s_mov_b32 s3, exec_lo
	v_cmpx_eq_u32_e32 19, v168
	s_cbranch_execz .LBB74_414
; %bb.411:
	v_cmp_ne_u32_e32 vcc_lo, 19, v162
	s_xor_b32 s8, s16, -1
	s_and_b32 s9, s8, vcc_lo
	s_and_saveexec_b32 s8, s9
	s_cbranch_execz .LBB74_413
; %bb.412:
	v_ashrrev_i32_e32 v163, 31, v162
	v_lshlrev_b64 v[168:169], 2, v[162:163]
	v_add_co_u32 v168, vcc_lo, v160, v168
	v_add_co_ci_u32_e64 v169, null, v161, v169, vcc_lo
	s_clause 0x1
	global_load_dword v0, v[168:169], off
	global_load_dword v163, v[160:161], off offset:76
	s_waitcnt vmcnt(1)
	global_store_dword v[160:161], v0, off offset:76
	s_waitcnt vmcnt(0)
	global_store_dword v[168:169], v163, off
.LBB74_413:
	s_or_b32 exec_lo, exec_lo, s8
	v_mov_b32_e32 v168, v162
	v_mov_b32_e32 v0, v162
.LBB74_414:
	s_or_b32 exec_lo, exec_lo, s3
.LBB74_415:
	s_andn2_saveexec_b32 s0, s0
	s_cbranch_execz .LBB74_417
; %bb.416:
	v_mov_b32_e32 v168, 19
	ds_write2_b64 v1, v[78:79], v[80:81] offset0:40 offset1:41
	ds_write2_b64 v1, v[62:63], v[64:65] offset0:42 offset1:43
	;; [unrolled: 1-line block ×18, first 2 shown]
.LBB74_417:
	s_or_b32 exec_lo, exec_lo, s0
	s_mov_b32 s0, exec_lo
	s_waitcnt lgkmcnt(0)
	s_waitcnt_vscnt null, 0x0
	s_barrier
	buffer_gl0_inv
	v_cmpx_lt_i32_e32 19, v168
	s_cbranch_execz .LBB74_419
; %bb.418:
	v_mul_f64 v[162:163], v[156:157], v[72:73]
	v_mul_f64 v[72:73], v[154:155], v[72:73]
	v_fma_f64 v[162:163], v[154:155], v[70:71], -v[162:163]
	v_fma_f64 v[72:73], v[156:157], v[70:71], v[72:73]
	ds_read2_b64 v[154:157], v1 offset0:40 offset1:41
	s_waitcnt lgkmcnt(0)
	v_mul_f64 v[70:71], v[156:157], v[72:73]
	v_fma_f64 v[70:71], v[154:155], v[162:163], -v[70:71]
	v_mul_f64 v[154:155], v[154:155], v[72:73]
	v_add_f64 v[78:79], v[78:79], -v[70:71]
	v_fma_f64 v[154:155], v[156:157], v[162:163], v[154:155]
	v_add_f64 v[80:81], v[80:81], -v[154:155]
	ds_read2_b64 v[154:157], v1 offset0:42 offset1:43
	s_waitcnt lgkmcnt(0)
	v_mul_f64 v[70:71], v[156:157], v[72:73]
	v_fma_f64 v[70:71], v[154:155], v[162:163], -v[70:71]
	v_mul_f64 v[154:155], v[154:155], v[72:73]
	v_add_f64 v[62:63], v[62:63], -v[70:71]
	v_fma_f64 v[154:155], v[156:157], v[162:163], v[154:155]
	v_add_f64 v[64:65], v[64:65], -v[154:155]
	;; [unrolled: 8-line block ×17, first 2 shown]
	ds_read2_b64 v[154:157], v1 offset0:74 offset1:75
	s_waitcnt lgkmcnt(0)
	v_mul_f64 v[70:71], v[156:157], v[72:73]
	v_fma_f64 v[70:71], v[154:155], v[162:163], -v[70:71]
	v_mul_f64 v[154:155], v[154:155], v[72:73]
	v_add_f64 v[2:3], v[2:3], -v[70:71]
	v_fma_f64 v[154:155], v[156:157], v[162:163], v[154:155]
	v_mov_b32_e32 v70, v162
	v_mov_b32_e32 v71, v163
	v_add_f64 v[4:5], v[4:5], -v[154:155]
.LBB74_419:
	s_or_b32 exec_lo, exec_lo, s0
	v_lshl_add_u32 v154, v168, 4, v1
	s_barrier
	buffer_gl0_inv
	v_mov_b32_e32 v162, 20
	ds_write2_b64 v154, v[78:79], v[80:81] offset1:1
	s_waitcnt lgkmcnt(0)
	s_barrier
	buffer_gl0_inv
	ds_read2_b64 v[154:157], v1 offset0:40 offset1:41
	s_cmp_lt_i32 s1, 22
	s_cbranch_scc1 .LBB74_422
; %bb.420:
	v_add3_u32 v163, v164, 0, 0x150
	v_mov_b32_e32 v162, 20
	s_mov_b32 s3, 21
	s_inst_prefetch 0x1
	.p2align	6
.LBB74_421:                             ; =>This Inner Loop Header: Depth=1
	s_waitcnt lgkmcnt(0)
	v_cmp_gt_f64_e32 vcc_lo, 0, v[156:157]
	v_cmp_gt_f64_e64 s0, 0, v[154:155]
	ds_read2_b64 v[169:172], v163 offset1:1
	v_xor_b32_e32 v174, 0x80000000, v155
	v_xor_b32_e32 v176, 0x80000000, v157
	v_mov_b32_e32 v173, v154
	v_mov_b32_e32 v175, v156
	v_add_nc_u32_e32 v163, 16, v163
	s_waitcnt lgkmcnt(0)
	v_xor_b32_e32 v178, 0x80000000, v172
	v_cndmask_b32_e64 v174, v155, v174, s0
	v_cndmask_b32_e32 v176, v157, v176, vcc_lo
	v_cmp_gt_f64_e32 vcc_lo, 0, v[171:172]
	v_cmp_gt_f64_e64 s0, 0, v[169:170]
	v_mov_b32_e32 v177, v171
	v_add_f64 v[173:174], v[173:174], v[175:176]
	v_xor_b32_e32 v176, 0x80000000, v170
	v_mov_b32_e32 v175, v169
	v_cndmask_b32_e32 v178, v172, v178, vcc_lo
	v_cndmask_b32_e64 v176, v170, v176, s0
	v_add_f64 v[175:176], v[175:176], v[177:178]
	v_cmp_lt_f64_e32 vcc_lo, v[173:174], v[175:176]
	v_cndmask_b32_e32 v155, v155, v170, vcc_lo
	v_cndmask_b32_e32 v154, v154, v169, vcc_lo
	;; [unrolled: 1-line block ×4, first 2 shown]
	v_cndmask_b32_e64 v162, v162, s3, vcc_lo
	s_add_i32 s3, s3, 1
	s_cmp_lg_u32 s1, s3
	s_cbranch_scc1 .LBB74_421
.LBB74_422:
	s_inst_prefetch 0x2
	s_waitcnt lgkmcnt(0)
	v_cmp_eq_f64_e32 vcc_lo, 0, v[154:155]
	v_cmp_eq_f64_e64 s0, 0, v[156:157]
	s_and_b32 s0, vcc_lo, s0
	s_and_saveexec_b32 s3, s0
	s_xor_b32 s0, exec_lo, s3
; %bb.423:
	v_cmp_ne_u32_e32 vcc_lo, 0, v167
	v_cndmask_b32_e32 v167, 21, v167, vcc_lo
; %bb.424:
	s_andn2_saveexec_b32 s0, s0
	s_cbranch_execz .LBB74_430
; %bb.425:
	v_cmp_ngt_f64_e64 s3, |v[154:155]|, |v[156:157]|
	s_and_saveexec_b32 s8, s3
	s_xor_b32 s3, exec_lo, s8
	s_cbranch_execz .LBB74_427
; %bb.426:
	v_div_scale_f64 v[169:170], null, v[156:157], v[156:157], v[154:155]
	v_div_scale_f64 v[175:176], vcc_lo, v[154:155], v[156:157], v[154:155]
	v_rcp_f64_e32 v[171:172], v[169:170]
	v_fma_f64 v[173:174], -v[169:170], v[171:172], 1.0
	v_fma_f64 v[171:172], v[171:172], v[173:174], v[171:172]
	v_fma_f64 v[173:174], -v[169:170], v[171:172], 1.0
	v_fma_f64 v[171:172], v[171:172], v[173:174], v[171:172]
	v_mul_f64 v[173:174], v[175:176], v[171:172]
	v_fma_f64 v[169:170], -v[169:170], v[173:174], v[175:176]
	v_div_fmas_f64 v[169:170], v[169:170], v[171:172], v[173:174]
	v_div_fixup_f64 v[169:170], v[169:170], v[156:157], v[154:155]
	v_fma_f64 v[154:155], v[154:155], v[169:170], v[156:157]
	v_div_scale_f64 v[156:157], null, v[154:155], v[154:155], 1.0
	v_rcp_f64_e32 v[171:172], v[156:157]
	v_fma_f64 v[173:174], -v[156:157], v[171:172], 1.0
	v_fma_f64 v[171:172], v[171:172], v[173:174], v[171:172]
	v_fma_f64 v[173:174], -v[156:157], v[171:172], 1.0
	v_fma_f64 v[171:172], v[171:172], v[173:174], v[171:172]
	v_div_scale_f64 v[173:174], vcc_lo, 1.0, v[154:155], 1.0
	v_mul_f64 v[175:176], v[173:174], v[171:172]
	v_fma_f64 v[156:157], -v[156:157], v[175:176], v[173:174]
	v_div_fmas_f64 v[156:157], v[156:157], v[171:172], v[175:176]
	v_div_fixup_f64 v[156:157], v[156:157], v[154:155], 1.0
	v_mul_f64 v[154:155], v[169:170], v[156:157]
	v_xor_b32_e32 v157, 0x80000000, v157
.LBB74_427:
	s_andn2_saveexec_b32 s3, s3
	s_cbranch_execz .LBB74_429
; %bb.428:
	v_div_scale_f64 v[169:170], null, v[154:155], v[154:155], v[156:157]
	v_div_scale_f64 v[175:176], vcc_lo, v[156:157], v[154:155], v[156:157]
	v_rcp_f64_e32 v[171:172], v[169:170]
	v_fma_f64 v[173:174], -v[169:170], v[171:172], 1.0
	v_fma_f64 v[171:172], v[171:172], v[173:174], v[171:172]
	v_fma_f64 v[173:174], -v[169:170], v[171:172], 1.0
	v_fma_f64 v[171:172], v[171:172], v[173:174], v[171:172]
	v_mul_f64 v[173:174], v[175:176], v[171:172]
	v_fma_f64 v[169:170], -v[169:170], v[173:174], v[175:176]
	v_div_fmas_f64 v[169:170], v[169:170], v[171:172], v[173:174]
	v_div_fixup_f64 v[169:170], v[169:170], v[154:155], v[156:157]
	v_fma_f64 v[154:155], v[156:157], v[169:170], v[154:155]
	v_div_scale_f64 v[156:157], null, v[154:155], v[154:155], 1.0
	v_rcp_f64_e32 v[171:172], v[156:157]
	v_fma_f64 v[173:174], -v[156:157], v[171:172], 1.0
	v_fma_f64 v[171:172], v[171:172], v[173:174], v[171:172]
	v_fma_f64 v[173:174], -v[156:157], v[171:172], 1.0
	v_fma_f64 v[171:172], v[171:172], v[173:174], v[171:172]
	v_div_scale_f64 v[173:174], vcc_lo, 1.0, v[154:155], 1.0
	v_mul_f64 v[175:176], v[173:174], v[171:172]
	v_fma_f64 v[156:157], -v[156:157], v[175:176], v[173:174]
	v_div_fmas_f64 v[156:157], v[156:157], v[171:172], v[175:176]
	v_div_fixup_f64 v[154:155], v[156:157], v[154:155], 1.0
	v_mul_f64 v[156:157], v[169:170], -v[154:155]
.LBB74_429:
	s_or_b32 exec_lo, exec_lo, s3
.LBB74_430:
	s_or_b32 exec_lo, exec_lo, s0
	s_mov_b32 s0, exec_lo
	v_cmpx_ne_u32_e64 v168, v162
	s_xor_b32 s0, exec_lo, s0
	s_cbranch_execz .LBB74_436
; %bb.431:
	s_mov_b32 s3, exec_lo
	v_cmpx_eq_u32_e32 20, v168
	s_cbranch_execz .LBB74_435
; %bb.432:
	v_cmp_ne_u32_e32 vcc_lo, 20, v162
	s_xor_b32 s8, s16, -1
	s_and_b32 s9, s8, vcc_lo
	s_and_saveexec_b32 s8, s9
	s_cbranch_execz .LBB74_434
; %bb.433:
	v_ashrrev_i32_e32 v163, 31, v162
	v_lshlrev_b64 v[168:169], 2, v[162:163]
	v_add_co_u32 v168, vcc_lo, v160, v168
	v_add_co_ci_u32_e64 v169, null, v161, v169, vcc_lo
	s_clause 0x1
	global_load_dword v0, v[168:169], off
	global_load_dword v163, v[160:161], off offset:80
	s_waitcnt vmcnt(1)
	global_store_dword v[160:161], v0, off offset:80
	s_waitcnt vmcnt(0)
	global_store_dword v[168:169], v163, off
.LBB74_434:
	s_or_b32 exec_lo, exec_lo, s8
	v_mov_b32_e32 v168, v162
	v_mov_b32_e32 v0, v162
.LBB74_435:
	s_or_b32 exec_lo, exec_lo, s3
.LBB74_436:
	s_andn2_saveexec_b32 s0, s0
	s_cbranch_execz .LBB74_438
; %bb.437:
	v_mov_b32_e32 v168, 20
	ds_write2_b64 v1, v[62:63], v[64:65] offset0:42 offset1:43
	ds_write2_b64 v1, v[66:67], v[68:69] offset0:44 offset1:45
	;; [unrolled: 1-line block ×17, first 2 shown]
.LBB74_438:
	s_or_b32 exec_lo, exec_lo, s0
	s_mov_b32 s0, exec_lo
	s_waitcnt lgkmcnt(0)
	s_waitcnt_vscnt null, 0x0
	s_barrier
	buffer_gl0_inv
	v_cmpx_lt_i32_e32 20, v168
	s_cbranch_execz .LBB74_440
; %bb.439:
	v_mul_f64 v[162:163], v[156:157], v[80:81]
	v_mul_f64 v[80:81], v[154:155], v[80:81]
	v_fma_f64 v[162:163], v[154:155], v[78:79], -v[162:163]
	v_fma_f64 v[80:81], v[156:157], v[78:79], v[80:81]
	ds_read2_b64 v[154:157], v1 offset0:42 offset1:43
	s_waitcnt lgkmcnt(0)
	v_mul_f64 v[78:79], v[156:157], v[80:81]
	v_fma_f64 v[78:79], v[154:155], v[162:163], -v[78:79]
	v_mul_f64 v[154:155], v[154:155], v[80:81]
	v_add_f64 v[62:63], v[62:63], -v[78:79]
	v_fma_f64 v[154:155], v[156:157], v[162:163], v[154:155]
	v_add_f64 v[64:65], v[64:65], -v[154:155]
	ds_read2_b64 v[154:157], v1 offset0:44 offset1:45
	s_waitcnt lgkmcnt(0)
	v_mul_f64 v[78:79], v[156:157], v[80:81]
	v_fma_f64 v[78:79], v[154:155], v[162:163], -v[78:79]
	v_mul_f64 v[154:155], v[154:155], v[80:81]
	v_add_f64 v[66:67], v[66:67], -v[78:79]
	v_fma_f64 v[154:155], v[156:157], v[162:163], v[154:155]
	v_add_f64 v[68:69], v[68:69], -v[154:155]
	;; [unrolled: 8-line block ×16, first 2 shown]
	ds_read2_b64 v[154:157], v1 offset0:74 offset1:75
	s_waitcnt lgkmcnt(0)
	v_mul_f64 v[78:79], v[156:157], v[80:81]
	v_fma_f64 v[78:79], v[154:155], v[162:163], -v[78:79]
	v_mul_f64 v[154:155], v[154:155], v[80:81]
	v_add_f64 v[2:3], v[2:3], -v[78:79]
	v_fma_f64 v[154:155], v[156:157], v[162:163], v[154:155]
	v_mov_b32_e32 v78, v162
	v_mov_b32_e32 v79, v163
	v_add_f64 v[4:5], v[4:5], -v[154:155]
.LBB74_440:
	s_or_b32 exec_lo, exec_lo, s0
	v_lshl_add_u32 v154, v168, 4, v1
	s_barrier
	buffer_gl0_inv
	v_mov_b32_e32 v162, 21
	ds_write2_b64 v154, v[62:63], v[64:65] offset1:1
	s_waitcnt lgkmcnt(0)
	s_barrier
	buffer_gl0_inv
	ds_read2_b64 v[154:157], v1 offset0:42 offset1:43
	s_cmp_lt_i32 s1, 23
	s_cbranch_scc1 .LBB74_443
; %bb.441:
	v_add3_u32 v163, v164, 0, 0x160
	v_mov_b32_e32 v162, 21
	s_mov_b32 s3, 22
	s_inst_prefetch 0x1
	.p2align	6
.LBB74_442:                             ; =>This Inner Loop Header: Depth=1
	s_waitcnt lgkmcnt(0)
	v_cmp_gt_f64_e32 vcc_lo, 0, v[156:157]
	v_cmp_gt_f64_e64 s0, 0, v[154:155]
	ds_read2_b64 v[169:172], v163 offset1:1
	v_xor_b32_e32 v174, 0x80000000, v155
	v_xor_b32_e32 v176, 0x80000000, v157
	v_mov_b32_e32 v173, v154
	v_mov_b32_e32 v175, v156
	v_add_nc_u32_e32 v163, 16, v163
	s_waitcnt lgkmcnt(0)
	v_xor_b32_e32 v178, 0x80000000, v172
	v_cndmask_b32_e64 v174, v155, v174, s0
	v_cndmask_b32_e32 v176, v157, v176, vcc_lo
	v_cmp_gt_f64_e32 vcc_lo, 0, v[171:172]
	v_cmp_gt_f64_e64 s0, 0, v[169:170]
	v_mov_b32_e32 v177, v171
	v_add_f64 v[173:174], v[173:174], v[175:176]
	v_xor_b32_e32 v176, 0x80000000, v170
	v_mov_b32_e32 v175, v169
	v_cndmask_b32_e32 v178, v172, v178, vcc_lo
	v_cndmask_b32_e64 v176, v170, v176, s0
	v_add_f64 v[175:176], v[175:176], v[177:178]
	v_cmp_lt_f64_e32 vcc_lo, v[173:174], v[175:176]
	v_cndmask_b32_e32 v155, v155, v170, vcc_lo
	v_cndmask_b32_e32 v154, v154, v169, vcc_lo
	;; [unrolled: 1-line block ×4, first 2 shown]
	v_cndmask_b32_e64 v162, v162, s3, vcc_lo
	s_add_i32 s3, s3, 1
	s_cmp_lg_u32 s1, s3
	s_cbranch_scc1 .LBB74_442
.LBB74_443:
	s_inst_prefetch 0x2
	s_waitcnt lgkmcnt(0)
	v_cmp_eq_f64_e32 vcc_lo, 0, v[154:155]
	v_cmp_eq_f64_e64 s0, 0, v[156:157]
	s_and_b32 s0, vcc_lo, s0
	s_and_saveexec_b32 s3, s0
	s_xor_b32 s0, exec_lo, s3
; %bb.444:
	v_cmp_ne_u32_e32 vcc_lo, 0, v167
	v_cndmask_b32_e32 v167, 22, v167, vcc_lo
; %bb.445:
	s_andn2_saveexec_b32 s0, s0
	s_cbranch_execz .LBB74_451
; %bb.446:
	v_cmp_ngt_f64_e64 s3, |v[154:155]|, |v[156:157]|
	s_and_saveexec_b32 s8, s3
	s_xor_b32 s3, exec_lo, s8
	s_cbranch_execz .LBB74_448
; %bb.447:
	v_div_scale_f64 v[169:170], null, v[156:157], v[156:157], v[154:155]
	v_div_scale_f64 v[175:176], vcc_lo, v[154:155], v[156:157], v[154:155]
	v_rcp_f64_e32 v[171:172], v[169:170]
	v_fma_f64 v[173:174], -v[169:170], v[171:172], 1.0
	v_fma_f64 v[171:172], v[171:172], v[173:174], v[171:172]
	v_fma_f64 v[173:174], -v[169:170], v[171:172], 1.0
	v_fma_f64 v[171:172], v[171:172], v[173:174], v[171:172]
	v_mul_f64 v[173:174], v[175:176], v[171:172]
	v_fma_f64 v[169:170], -v[169:170], v[173:174], v[175:176]
	v_div_fmas_f64 v[169:170], v[169:170], v[171:172], v[173:174]
	v_div_fixup_f64 v[169:170], v[169:170], v[156:157], v[154:155]
	v_fma_f64 v[154:155], v[154:155], v[169:170], v[156:157]
	v_div_scale_f64 v[156:157], null, v[154:155], v[154:155], 1.0
	v_rcp_f64_e32 v[171:172], v[156:157]
	v_fma_f64 v[173:174], -v[156:157], v[171:172], 1.0
	v_fma_f64 v[171:172], v[171:172], v[173:174], v[171:172]
	v_fma_f64 v[173:174], -v[156:157], v[171:172], 1.0
	v_fma_f64 v[171:172], v[171:172], v[173:174], v[171:172]
	v_div_scale_f64 v[173:174], vcc_lo, 1.0, v[154:155], 1.0
	v_mul_f64 v[175:176], v[173:174], v[171:172]
	v_fma_f64 v[156:157], -v[156:157], v[175:176], v[173:174]
	v_div_fmas_f64 v[156:157], v[156:157], v[171:172], v[175:176]
	v_div_fixup_f64 v[156:157], v[156:157], v[154:155], 1.0
	v_mul_f64 v[154:155], v[169:170], v[156:157]
	v_xor_b32_e32 v157, 0x80000000, v157
.LBB74_448:
	s_andn2_saveexec_b32 s3, s3
	s_cbranch_execz .LBB74_450
; %bb.449:
	v_div_scale_f64 v[169:170], null, v[154:155], v[154:155], v[156:157]
	v_div_scale_f64 v[175:176], vcc_lo, v[156:157], v[154:155], v[156:157]
	v_rcp_f64_e32 v[171:172], v[169:170]
	v_fma_f64 v[173:174], -v[169:170], v[171:172], 1.0
	v_fma_f64 v[171:172], v[171:172], v[173:174], v[171:172]
	v_fma_f64 v[173:174], -v[169:170], v[171:172], 1.0
	v_fma_f64 v[171:172], v[171:172], v[173:174], v[171:172]
	v_mul_f64 v[173:174], v[175:176], v[171:172]
	v_fma_f64 v[169:170], -v[169:170], v[173:174], v[175:176]
	v_div_fmas_f64 v[169:170], v[169:170], v[171:172], v[173:174]
	v_div_fixup_f64 v[169:170], v[169:170], v[154:155], v[156:157]
	v_fma_f64 v[154:155], v[156:157], v[169:170], v[154:155]
	v_div_scale_f64 v[156:157], null, v[154:155], v[154:155], 1.0
	v_rcp_f64_e32 v[171:172], v[156:157]
	v_fma_f64 v[173:174], -v[156:157], v[171:172], 1.0
	v_fma_f64 v[171:172], v[171:172], v[173:174], v[171:172]
	v_fma_f64 v[173:174], -v[156:157], v[171:172], 1.0
	v_fma_f64 v[171:172], v[171:172], v[173:174], v[171:172]
	v_div_scale_f64 v[173:174], vcc_lo, 1.0, v[154:155], 1.0
	v_mul_f64 v[175:176], v[173:174], v[171:172]
	v_fma_f64 v[156:157], -v[156:157], v[175:176], v[173:174]
	v_div_fmas_f64 v[156:157], v[156:157], v[171:172], v[175:176]
	v_div_fixup_f64 v[154:155], v[156:157], v[154:155], 1.0
	v_mul_f64 v[156:157], v[169:170], -v[154:155]
.LBB74_450:
	s_or_b32 exec_lo, exec_lo, s3
.LBB74_451:
	s_or_b32 exec_lo, exec_lo, s0
	s_mov_b32 s0, exec_lo
	v_cmpx_ne_u32_e64 v168, v162
	s_xor_b32 s0, exec_lo, s0
	s_cbranch_execz .LBB74_457
; %bb.452:
	s_mov_b32 s3, exec_lo
	v_cmpx_eq_u32_e32 21, v168
	s_cbranch_execz .LBB74_456
; %bb.453:
	v_cmp_ne_u32_e32 vcc_lo, 21, v162
	s_xor_b32 s8, s16, -1
	s_and_b32 s9, s8, vcc_lo
	s_and_saveexec_b32 s8, s9
	s_cbranch_execz .LBB74_455
; %bb.454:
	v_ashrrev_i32_e32 v163, 31, v162
	v_lshlrev_b64 v[168:169], 2, v[162:163]
	v_add_co_u32 v168, vcc_lo, v160, v168
	v_add_co_ci_u32_e64 v169, null, v161, v169, vcc_lo
	s_clause 0x1
	global_load_dword v0, v[168:169], off
	global_load_dword v163, v[160:161], off offset:84
	s_waitcnt vmcnt(1)
	global_store_dword v[160:161], v0, off offset:84
	s_waitcnt vmcnt(0)
	global_store_dword v[168:169], v163, off
.LBB74_455:
	s_or_b32 exec_lo, exec_lo, s8
	v_mov_b32_e32 v168, v162
	v_mov_b32_e32 v0, v162
.LBB74_456:
	s_or_b32 exec_lo, exec_lo, s3
.LBB74_457:
	s_andn2_saveexec_b32 s0, s0
	s_cbranch_execz .LBB74_459
; %bb.458:
	v_mov_b32_e32 v168, 21
	ds_write2_b64 v1, v[66:67], v[68:69] offset0:44 offset1:45
	ds_write2_b64 v1, v[50:51], v[52:53] offset0:46 offset1:47
	;; [unrolled: 1-line block ×16, first 2 shown]
.LBB74_459:
	s_or_b32 exec_lo, exec_lo, s0
	s_mov_b32 s0, exec_lo
	s_waitcnt lgkmcnt(0)
	s_waitcnt_vscnt null, 0x0
	s_barrier
	buffer_gl0_inv
	v_cmpx_lt_i32_e32 21, v168
	s_cbranch_execz .LBB74_461
; %bb.460:
	v_mul_f64 v[162:163], v[154:155], v[64:65]
	v_mul_f64 v[64:65], v[156:157], v[64:65]
	v_fma_f64 v[162:163], v[156:157], v[62:63], v[162:163]
	v_fma_f64 v[62:63], v[154:155], v[62:63], -v[64:65]
	ds_read2_b64 v[154:157], v1 offset0:44 offset1:45
	s_waitcnt lgkmcnt(0)
	v_mul_f64 v[64:65], v[156:157], v[162:163]
	v_fma_f64 v[64:65], v[154:155], v[62:63], -v[64:65]
	v_mul_f64 v[154:155], v[154:155], v[162:163]
	v_add_f64 v[66:67], v[66:67], -v[64:65]
	v_fma_f64 v[154:155], v[156:157], v[62:63], v[154:155]
	v_add_f64 v[68:69], v[68:69], -v[154:155]
	ds_read2_b64 v[154:157], v1 offset0:46 offset1:47
	s_waitcnt lgkmcnt(0)
	v_mul_f64 v[64:65], v[156:157], v[162:163]
	v_fma_f64 v[64:65], v[154:155], v[62:63], -v[64:65]
	v_mul_f64 v[154:155], v[154:155], v[162:163]
	v_add_f64 v[50:51], v[50:51], -v[64:65]
	v_fma_f64 v[154:155], v[156:157], v[62:63], v[154:155]
	v_add_f64 v[52:53], v[52:53], -v[154:155]
	;; [unrolled: 8-line block ×15, first 2 shown]
	ds_read2_b64 v[154:157], v1 offset0:74 offset1:75
	s_waitcnt lgkmcnt(0)
	v_mul_f64 v[64:65], v[156:157], v[162:163]
	v_fma_f64 v[64:65], v[154:155], v[62:63], -v[64:65]
	v_mul_f64 v[154:155], v[154:155], v[162:163]
	v_add_f64 v[2:3], v[2:3], -v[64:65]
	v_fma_f64 v[154:155], v[156:157], v[62:63], v[154:155]
	v_mov_b32_e32 v64, v162
	v_mov_b32_e32 v65, v163
	v_add_f64 v[4:5], v[4:5], -v[154:155]
.LBB74_461:
	s_or_b32 exec_lo, exec_lo, s0
	v_lshl_add_u32 v154, v168, 4, v1
	s_barrier
	buffer_gl0_inv
	v_mov_b32_e32 v162, 22
	ds_write2_b64 v154, v[66:67], v[68:69] offset1:1
	s_waitcnt lgkmcnt(0)
	s_barrier
	buffer_gl0_inv
	ds_read2_b64 v[154:157], v1 offset0:44 offset1:45
	s_cmp_lt_i32 s1, 24
	s_cbranch_scc1 .LBB74_464
; %bb.462:
	v_add3_u32 v163, v164, 0, 0x170
	v_mov_b32_e32 v162, 22
	s_mov_b32 s3, 23
	s_inst_prefetch 0x1
	.p2align	6
.LBB74_463:                             ; =>This Inner Loop Header: Depth=1
	s_waitcnt lgkmcnt(0)
	v_cmp_gt_f64_e32 vcc_lo, 0, v[156:157]
	v_cmp_gt_f64_e64 s0, 0, v[154:155]
	ds_read2_b64 v[169:172], v163 offset1:1
	v_xor_b32_e32 v174, 0x80000000, v155
	v_xor_b32_e32 v176, 0x80000000, v157
	v_mov_b32_e32 v173, v154
	v_mov_b32_e32 v175, v156
	v_add_nc_u32_e32 v163, 16, v163
	s_waitcnt lgkmcnt(0)
	v_xor_b32_e32 v178, 0x80000000, v172
	v_cndmask_b32_e64 v174, v155, v174, s0
	v_cndmask_b32_e32 v176, v157, v176, vcc_lo
	v_cmp_gt_f64_e32 vcc_lo, 0, v[171:172]
	v_cmp_gt_f64_e64 s0, 0, v[169:170]
	v_mov_b32_e32 v177, v171
	v_add_f64 v[173:174], v[173:174], v[175:176]
	v_xor_b32_e32 v176, 0x80000000, v170
	v_mov_b32_e32 v175, v169
	v_cndmask_b32_e32 v178, v172, v178, vcc_lo
	v_cndmask_b32_e64 v176, v170, v176, s0
	v_add_f64 v[175:176], v[175:176], v[177:178]
	v_cmp_lt_f64_e32 vcc_lo, v[173:174], v[175:176]
	v_cndmask_b32_e32 v155, v155, v170, vcc_lo
	v_cndmask_b32_e32 v154, v154, v169, vcc_lo
	;; [unrolled: 1-line block ×4, first 2 shown]
	v_cndmask_b32_e64 v162, v162, s3, vcc_lo
	s_add_i32 s3, s3, 1
	s_cmp_lg_u32 s1, s3
	s_cbranch_scc1 .LBB74_463
.LBB74_464:
	s_inst_prefetch 0x2
	s_waitcnt lgkmcnt(0)
	v_cmp_eq_f64_e32 vcc_lo, 0, v[154:155]
	v_cmp_eq_f64_e64 s0, 0, v[156:157]
	s_and_b32 s0, vcc_lo, s0
	s_and_saveexec_b32 s3, s0
	s_xor_b32 s0, exec_lo, s3
; %bb.465:
	v_cmp_ne_u32_e32 vcc_lo, 0, v167
	v_cndmask_b32_e32 v167, 23, v167, vcc_lo
; %bb.466:
	s_andn2_saveexec_b32 s0, s0
	s_cbranch_execz .LBB74_472
; %bb.467:
	v_cmp_ngt_f64_e64 s3, |v[154:155]|, |v[156:157]|
	s_and_saveexec_b32 s8, s3
	s_xor_b32 s3, exec_lo, s8
	s_cbranch_execz .LBB74_469
; %bb.468:
	v_div_scale_f64 v[169:170], null, v[156:157], v[156:157], v[154:155]
	v_div_scale_f64 v[175:176], vcc_lo, v[154:155], v[156:157], v[154:155]
	v_rcp_f64_e32 v[171:172], v[169:170]
	v_fma_f64 v[173:174], -v[169:170], v[171:172], 1.0
	v_fma_f64 v[171:172], v[171:172], v[173:174], v[171:172]
	v_fma_f64 v[173:174], -v[169:170], v[171:172], 1.0
	v_fma_f64 v[171:172], v[171:172], v[173:174], v[171:172]
	v_mul_f64 v[173:174], v[175:176], v[171:172]
	v_fma_f64 v[169:170], -v[169:170], v[173:174], v[175:176]
	v_div_fmas_f64 v[169:170], v[169:170], v[171:172], v[173:174]
	v_div_fixup_f64 v[169:170], v[169:170], v[156:157], v[154:155]
	v_fma_f64 v[154:155], v[154:155], v[169:170], v[156:157]
	v_div_scale_f64 v[156:157], null, v[154:155], v[154:155], 1.0
	v_rcp_f64_e32 v[171:172], v[156:157]
	v_fma_f64 v[173:174], -v[156:157], v[171:172], 1.0
	v_fma_f64 v[171:172], v[171:172], v[173:174], v[171:172]
	v_fma_f64 v[173:174], -v[156:157], v[171:172], 1.0
	v_fma_f64 v[171:172], v[171:172], v[173:174], v[171:172]
	v_div_scale_f64 v[173:174], vcc_lo, 1.0, v[154:155], 1.0
	v_mul_f64 v[175:176], v[173:174], v[171:172]
	v_fma_f64 v[156:157], -v[156:157], v[175:176], v[173:174]
	v_div_fmas_f64 v[156:157], v[156:157], v[171:172], v[175:176]
	v_div_fixup_f64 v[156:157], v[156:157], v[154:155], 1.0
	v_mul_f64 v[154:155], v[169:170], v[156:157]
	v_xor_b32_e32 v157, 0x80000000, v157
.LBB74_469:
	s_andn2_saveexec_b32 s3, s3
	s_cbranch_execz .LBB74_471
; %bb.470:
	v_div_scale_f64 v[169:170], null, v[154:155], v[154:155], v[156:157]
	v_div_scale_f64 v[175:176], vcc_lo, v[156:157], v[154:155], v[156:157]
	v_rcp_f64_e32 v[171:172], v[169:170]
	v_fma_f64 v[173:174], -v[169:170], v[171:172], 1.0
	v_fma_f64 v[171:172], v[171:172], v[173:174], v[171:172]
	v_fma_f64 v[173:174], -v[169:170], v[171:172], 1.0
	v_fma_f64 v[171:172], v[171:172], v[173:174], v[171:172]
	v_mul_f64 v[173:174], v[175:176], v[171:172]
	v_fma_f64 v[169:170], -v[169:170], v[173:174], v[175:176]
	v_div_fmas_f64 v[169:170], v[169:170], v[171:172], v[173:174]
	v_div_fixup_f64 v[169:170], v[169:170], v[154:155], v[156:157]
	v_fma_f64 v[154:155], v[156:157], v[169:170], v[154:155]
	v_div_scale_f64 v[156:157], null, v[154:155], v[154:155], 1.0
	v_rcp_f64_e32 v[171:172], v[156:157]
	v_fma_f64 v[173:174], -v[156:157], v[171:172], 1.0
	v_fma_f64 v[171:172], v[171:172], v[173:174], v[171:172]
	v_fma_f64 v[173:174], -v[156:157], v[171:172], 1.0
	v_fma_f64 v[171:172], v[171:172], v[173:174], v[171:172]
	v_div_scale_f64 v[173:174], vcc_lo, 1.0, v[154:155], 1.0
	v_mul_f64 v[175:176], v[173:174], v[171:172]
	v_fma_f64 v[156:157], -v[156:157], v[175:176], v[173:174]
	v_div_fmas_f64 v[156:157], v[156:157], v[171:172], v[175:176]
	v_div_fixup_f64 v[154:155], v[156:157], v[154:155], 1.0
	v_mul_f64 v[156:157], v[169:170], -v[154:155]
.LBB74_471:
	s_or_b32 exec_lo, exec_lo, s3
.LBB74_472:
	s_or_b32 exec_lo, exec_lo, s0
	s_mov_b32 s0, exec_lo
	v_cmpx_ne_u32_e64 v168, v162
	s_xor_b32 s0, exec_lo, s0
	s_cbranch_execz .LBB74_478
; %bb.473:
	s_mov_b32 s3, exec_lo
	v_cmpx_eq_u32_e32 22, v168
	s_cbranch_execz .LBB74_477
; %bb.474:
	v_cmp_ne_u32_e32 vcc_lo, 22, v162
	s_xor_b32 s8, s16, -1
	s_and_b32 s9, s8, vcc_lo
	s_and_saveexec_b32 s8, s9
	s_cbranch_execz .LBB74_476
; %bb.475:
	v_ashrrev_i32_e32 v163, 31, v162
	v_lshlrev_b64 v[168:169], 2, v[162:163]
	v_add_co_u32 v168, vcc_lo, v160, v168
	v_add_co_ci_u32_e64 v169, null, v161, v169, vcc_lo
	s_clause 0x1
	global_load_dword v0, v[168:169], off
	global_load_dword v163, v[160:161], off offset:88
	s_waitcnt vmcnt(1)
	global_store_dword v[160:161], v0, off offset:88
	s_waitcnt vmcnt(0)
	global_store_dword v[168:169], v163, off
.LBB74_476:
	s_or_b32 exec_lo, exec_lo, s8
	v_mov_b32_e32 v168, v162
	v_mov_b32_e32 v0, v162
.LBB74_477:
	s_or_b32 exec_lo, exec_lo, s3
.LBB74_478:
	s_andn2_saveexec_b32 s0, s0
	s_cbranch_execz .LBB74_480
; %bb.479:
	v_mov_b32_e32 v168, 22
	ds_write2_b64 v1, v[50:51], v[52:53] offset0:46 offset1:47
	ds_write2_b64 v1, v[58:59], v[60:61] offset0:48 offset1:49
	;; [unrolled: 1-line block ×15, first 2 shown]
.LBB74_480:
	s_or_b32 exec_lo, exec_lo, s0
	s_mov_b32 s0, exec_lo
	s_waitcnt lgkmcnt(0)
	s_waitcnt_vscnt null, 0x0
	s_barrier
	buffer_gl0_inv
	v_cmpx_lt_i32_e32 22, v168
	s_cbranch_execz .LBB74_482
; %bb.481:
	v_mul_f64 v[162:163], v[154:155], v[68:69]
	v_mul_f64 v[68:69], v[156:157], v[68:69]
	v_fma_f64 v[162:163], v[156:157], v[66:67], v[162:163]
	v_fma_f64 v[66:67], v[154:155], v[66:67], -v[68:69]
	ds_read2_b64 v[154:157], v1 offset0:46 offset1:47
	s_waitcnt lgkmcnt(0)
	v_mul_f64 v[68:69], v[156:157], v[162:163]
	v_fma_f64 v[68:69], v[154:155], v[66:67], -v[68:69]
	v_mul_f64 v[154:155], v[154:155], v[162:163]
	v_add_f64 v[50:51], v[50:51], -v[68:69]
	v_fma_f64 v[154:155], v[156:157], v[66:67], v[154:155]
	v_add_f64 v[52:53], v[52:53], -v[154:155]
	ds_read2_b64 v[154:157], v1 offset0:48 offset1:49
	s_waitcnt lgkmcnt(0)
	v_mul_f64 v[68:69], v[156:157], v[162:163]
	v_fma_f64 v[68:69], v[154:155], v[66:67], -v[68:69]
	v_mul_f64 v[154:155], v[154:155], v[162:163]
	v_add_f64 v[58:59], v[58:59], -v[68:69]
	v_fma_f64 v[154:155], v[156:157], v[66:67], v[154:155]
	v_add_f64 v[60:61], v[60:61], -v[154:155]
	ds_read2_b64 v[154:157], v1 offset0:50 offset1:51
	s_waitcnt lgkmcnt(0)
	v_mul_f64 v[68:69], v[156:157], v[162:163]
	v_fma_f64 v[68:69], v[154:155], v[66:67], -v[68:69]
	v_mul_f64 v[154:155], v[154:155], v[162:163]
	v_add_f64 v[54:55], v[54:55], -v[68:69]
	v_fma_f64 v[154:155], v[156:157], v[66:67], v[154:155]
	v_add_f64 v[56:57], v[56:57], -v[154:155]
	ds_read2_b64 v[154:157], v1 offset0:52 offset1:53
	s_waitcnt lgkmcnt(0)
	v_mul_f64 v[68:69], v[156:157], v[162:163]
	v_fma_f64 v[68:69], v[154:155], v[66:67], -v[68:69]
	v_mul_f64 v[154:155], v[154:155], v[162:163]
	v_add_f64 v[42:43], v[42:43], -v[68:69]
	v_fma_f64 v[154:155], v[156:157], v[66:67], v[154:155]
	v_add_f64 v[44:45], v[44:45], -v[154:155]
	ds_read2_b64 v[154:157], v1 offset0:54 offset1:55
	s_waitcnt lgkmcnt(0)
	v_mul_f64 v[68:69], v[156:157], v[162:163]
	v_fma_f64 v[68:69], v[154:155], v[66:67], -v[68:69]
	v_mul_f64 v[154:155], v[154:155], v[162:163]
	v_add_f64 v[38:39], v[38:39], -v[68:69]
	v_fma_f64 v[154:155], v[156:157], v[66:67], v[154:155]
	v_add_f64 v[40:41], v[40:41], -v[154:155]
	ds_read2_b64 v[154:157], v1 offset0:56 offset1:57
	s_waitcnt lgkmcnt(0)
	v_mul_f64 v[68:69], v[156:157], v[162:163]
	v_fma_f64 v[68:69], v[154:155], v[66:67], -v[68:69]
	v_mul_f64 v[154:155], v[154:155], v[162:163]
	v_add_f64 v[34:35], v[34:35], -v[68:69]
	v_fma_f64 v[154:155], v[156:157], v[66:67], v[154:155]
	v_add_f64 v[36:37], v[36:37], -v[154:155]
	ds_read2_b64 v[154:157], v1 offset0:58 offset1:59
	s_waitcnt lgkmcnt(0)
	v_mul_f64 v[68:69], v[156:157], v[162:163]
	v_fma_f64 v[68:69], v[154:155], v[66:67], -v[68:69]
	v_mul_f64 v[154:155], v[154:155], v[162:163]
	v_add_f64 v[30:31], v[30:31], -v[68:69]
	v_fma_f64 v[154:155], v[156:157], v[66:67], v[154:155]
	v_add_f64 v[32:33], v[32:33], -v[154:155]
	ds_read2_b64 v[154:157], v1 offset0:60 offset1:61
	s_waitcnt lgkmcnt(0)
	v_mul_f64 v[68:69], v[156:157], v[162:163]
	v_fma_f64 v[68:69], v[154:155], v[66:67], -v[68:69]
	v_mul_f64 v[154:155], v[154:155], v[162:163]
	v_add_f64 v[46:47], v[46:47], -v[68:69]
	v_fma_f64 v[154:155], v[156:157], v[66:67], v[154:155]
	v_add_f64 v[48:49], v[48:49], -v[154:155]
	ds_read2_b64 v[154:157], v1 offset0:62 offset1:63
	s_waitcnt lgkmcnt(0)
	v_mul_f64 v[68:69], v[156:157], v[162:163]
	v_fma_f64 v[68:69], v[154:155], v[66:67], -v[68:69]
	v_mul_f64 v[154:155], v[154:155], v[162:163]
	v_add_f64 v[26:27], v[26:27], -v[68:69]
	v_fma_f64 v[154:155], v[156:157], v[66:67], v[154:155]
	v_add_f64 v[28:29], v[28:29], -v[154:155]
	ds_read2_b64 v[154:157], v1 offset0:64 offset1:65
	s_waitcnt lgkmcnt(0)
	v_mul_f64 v[68:69], v[156:157], v[162:163]
	v_fma_f64 v[68:69], v[154:155], v[66:67], -v[68:69]
	v_mul_f64 v[154:155], v[154:155], v[162:163]
	v_add_f64 v[22:23], v[22:23], -v[68:69]
	v_fma_f64 v[154:155], v[156:157], v[66:67], v[154:155]
	v_add_f64 v[24:25], v[24:25], -v[154:155]
	ds_read2_b64 v[154:157], v1 offset0:66 offset1:67
	s_waitcnt lgkmcnt(0)
	v_mul_f64 v[68:69], v[156:157], v[162:163]
	v_fma_f64 v[68:69], v[154:155], v[66:67], -v[68:69]
	v_mul_f64 v[154:155], v[154:155], v[162:163]
	v_add_f64 v[18:19], v[18:19], -v[68:69]
	v_fma_f64 v[154:155], v[156:157], v[66:67], v[154:155]
	v_add_f64 v[20:21], v[20:21], -v[154:155]
	ds_read2_b64 v[154:157], v1 offset0:68 offset1:69
	s_waitcnt lgkmcnt(0)
	v_mul_f64 v[68:69], v[156:157], v[162:163]
	v_fma_f64 v[68:69], v[154:155], v[66:67], -v[68:69]
	v_mul_f64 v[154:155], v[154:155], v[162:163]
	v_add_f64 v[14:15], v[14:15], -v[68:69]
	v_fma_f64 v[154:155], v[156:157], v[66:67], v[154:155]
	v_add_f64 v[16:17], v[16:17], -v[154:155]
	ds_read2_b64 v[154:157], v1 offset0:70 offset1:71
	s_waitcnt lgkmcnt(0)
	v_mul_f64 v[68:69], v[156:157], v[162:163]
	v_fma_f64 v[68:69], v[154:155], v[66:67], -v[68:69]
	v_mul_f64 v[154:155], v[154:155], v[162:163]
	v_add_f64 v[10:11], v[10:11], -v[68:69]
	v_fma_f64 v[154:155], v[156:157], v[66:67], v[154:155]
	v_add_f64 v[12:13], v[12:13], -v[154:155]
	ds_read2_b64 v[154:157], v1 offset0:72 offset1:73
	s_waitcnt lgkmcnt(0)
	v_mul_f64 v[68:69], v[156:157], v[162:163]
	v_fma_f64 v[68:69], v[154:155], v[66:67], -v[68:69]
	v_mul_f64 v[154:155], v[154:155], v[162:163]
	v_add_f64 v[6:7], v[6:7], -v[68:69]
	v_fma_f64 v[154:155], v[156:157], v[66:67], v[154:155]
	v_add_f64 v[8:9], v[8:9], -v[154:155]
	ds_read2_b64 v[154:157], v1 offset0:74 offset1:75
	s_waitcnt lgkmcnt(0)
	v_mul_f64 v[68:69], v[156:157], v[162:163]
	v_fma_f64 v[68:69], v[154:155], v[66:67], -v[68:69]
	v_mul_f64 v[154:155], v[154:155], v[162:163]
	v_add_f64 v[2:3], v[2:3], -v[68:69]
	v_fma_f64 v[154:155], v[156:157], v[66:67], v[154:155]
	v_mov_b32_e32 v68, v162
	v_mov_b32_e32 v69, v163
	v_add_f64 v[4:5], v[4:5], -v[154:155]
.LBB74_482:
	s_or_b32 exec_lo, exec_lo, s0
	v_lshl_add_u32 v154, v168, 4, v1
	s_barrier
	buffer_gl0_inv
	v_mov_b32_e32 v162, 23
	ds_write2_b64 v154, v[50:51], v[52:53] offset1:1
	s_waitcnt lgkmcnt(0)
	s_barrier
	buffer_gl0_inv
	ds_read2_b64 v[154:157], v1 offset0:46 offset1:47
	s_cmp_lt_i32 s1, 25
	s_cbranch_scc1 .LBB74_485
; %bb.483:
	v_add3_u32 v163, v164, 0, 0x180
	v_mov_b32_e32 v162, 23
	s_mov_b32 s3, 24
	s_inst_prefetch 0x1
	.p2align	6
.LBB74_484:                             ; =>This Inner Loop Header: Depth=1
	s_waitcnt lgkmcnt(0)
	v_cmp_gt_f64_e32 vcc_lo, 0, v[156:157]
	v_cmp_gt_f64_e64 s0, 0, v[154:155]
	ds_read2_b64 v[169:172], v163 offset1:1
	v_xor_b32_e32 v174, 0x80000000, v155
	v_xor_b32_e32 v176, 0x80000000, v157
	v_mov_b32_e32 v173, v154
	v_mov_b32_e32 v175, v156
	v_add_nc_u32_e32 v163, 16, v163
	s_waitcnt lgkmcnt(0)
	v_xor_b32_e32 v178, 0x80000000, v172
	v_cndmask_b32_e64 v174, v155, v174, s0
	v_cndmask_b32_e32 v176, v157, v176, vcc_lo
	v_cmp_gt_f64_e32 vcc_lo, 0, v[171:172]
	v_cmp_gt_f64_e64 s0, 0, v[169:170]
	v_mov_b32_e32 v177, v171
	v_add_f64 v[173:174], v[173:174], v[175:176]
	v_xor_b32_e32 v176, 0x80000000, v170
	v_mov_b32_e32 v175, v169
	v_cndmask_b32_e32 v178, v172, v178, vcc_lo
	v_cndmask_b32_e64 v176, v170, v176, s0
	v_add_f64 v[175:176], v[175:176], v[177:178]
	v_cmp_lt_f64_e32 vcc_lo, v[173:174], v[175:176]
	v_cndmask_b32_e32 v155, v155, v170, vcc_lo
	v_cndmask_b32_e32 v154, v154, v169, vcc_lo
	;; [unrolled: 1-line block ×4, first 2 shown]
	v_cndmask_b32_e64 v162, v162, s3, vcc_lo
	s_add_i32 s3, s3, 1
	s_cmp_lg_u32 s1, s3
	s_cbranch_scc1 .LBB74_484
.LBB74_485:
	s_inst_prefetch 0x2
	s_waitcnt lgkmcnt(0)
	v_cmp_eq_f64_e32 vcc_lo, 0, v[154:155]
	v_cmp_eq_f64_e64 s0, 0, v[156:157]
	s_and_b32 s0, vcc_lo, s0
	s_and_saveexec_b32 s3, s0
	s_xor_b32 s0, exec_lo, s3
; %bb.486:
	v_cmp_ne_u32_e32 vcc_lo, 0, v167
	v_cndmask_b32_e32 v167, 24, v167, vcc_lo
; %bb.487:
	s_andn2_saveexec_b32 s0, s0
	s_cbranch_execz .LBB74_493
; %bb.488:
	v_cmp_ngt_f64_e64 s3, |v[154:155]|, |v[156:157]|
	s_and_saveexec_b32 s8, s3
	s_xor_b32 s3, exec_lo, s8
	s_cbranch_execz .LBB74_490
; %bb.489:
	v_div_scale_f64 v[169:170], null, v[156:157], v[156:157], v[154:155]
	v_div_scale_f64 v[175:176], vcc_lo, v[154:155], v[156:157], v[154:155]
	v_rcp_f64_e32 v[171:172], v[169:170]
	v_fma_f64 v[173:174], -v[169:170], v[171:172], 1.0
	v_fma_f64 v[171:172], v[171:172], v[173:174], v[171:172]
	v_fma_f64 v[173:174], -v[169:170], v[171:172], 1.0
	v_fma_f64 v[171:172], v[171:172], v[173:174], v[171:172]
	v_mul_f64 v[173:174], v[175:176], v[171:172]
	v_fma_f64 v[169:170], -v[169:170], v[173:174], v[175:176]
	v_div_fmas_f64 v[169:170], v[169:170], v[171:172], v[173:174]
	v_div_fixup_f64 v[169:170], v[169:170], v[156:157], v[154:155]
	v_fma_f64 v[154:155], v[154:155], v[169:170], v[156:157]
	v_div_scale_f64 v[156:157], null, v[154:155], v[154:155], 1.0
	v_rcp_f64_e32 v[171:172], v[156:157]
	v_fma_f64 v[173:174], -v[156:157], v[171:172], 1.0
	v_fma_f64 v[171:172], v[171:172], v[173:174], v[171:172]
	v_fma_f64 v[173:174], -v[156:157], v[171:172], 1.0
	v_fma_f64 v[171:172], v[171:172], v[173:174], v[171:172]
	v_div_scale_f64 v[173:174], vcc_lo, 1.0, v[154:155], 1.0
	v_mul_f64 v[175:176], v[173:174], v[171:172]
	v_fma_f64 v[156:157], -v[156:157], v[175:176], v[173:174]
	v_div_fmas_f64 v[156:157], v[156:157], v[171:172], v[175:176]
	v_div_fixup_f64 v[156:157], v[156:157], v[154:155], 1.0
	v_mul_f64 v[154:155], v[169:170], v[156:157]
	v_xor_b32_e32 v157, 0x80000000, v157
.LBB74_490:
	s_andn2_saveexec_b32 s3, s3
	s_cbranch_execz .LBB74_492
; %bb.491:
	v_div_scale_f64 v[169:170], null, v[154:155], v[154:155], v[156:157]
	v_div_scale_f64 v[175:176], vcc_lo, v[156:157], v[154:155], v[156:157]
	v_rcp_f64_e32 v[171:172], v[169:170]
	v_fma_f64 v[173:174], -v[169:170], v[171:172], 1.0
	v_fma_f64 v[171:172], v[171:172], v[173:174], v[171:172]
	v_fma_f64 v[173:174], -v[169:170], v[171:172], 1.0
	v_fma_f64 v[171:172], v[171:172], v[173:174], v[171:172]
	v_mul_f64 v[173:174], v[175:176], v[171:172]
	v_fma_f64 v[169:170], -v[169:170], v[173:174], v[175:176]
	v_div_fmas_f64 v[169:170], v[169:170], v[171:172], v[173:174]
	v_div_fixup_f64 v[169:170], v[169:170], v[154:155], v[156:157]
	v_fma_f64 v[154:155], v[156:157], v[169:170], v[154:155]
	v_div_scale_f64 v[156:157], null, v[154:155], v[154:155], 1.0
	v_rcp_f64_e32 v[171:172], v[156:157]
	v_fma_f64 v[173:174], -v[156:157], v[171:172], 1.0
	v_fma_f64 v[171:172], v[171:172], v[173:174], v[171:172]
	v_fma_f64 v[173:174], -v[156:157], v[171:172], 1.0
	v_fma_f64 v[171:172], v[171:172], v[173:174], v[171:172]
	v_div_scale_f64 v[173:174], vcc_lo, 1.0, v[154:155], 1.0
	v_mul_f64 v[175:176], v[173:174], v[171:172]
	v_fma_f64 v[156:157], -v[156:157], v[175:176], v[173:174]
	v_div_fmas_f64 v[156:157], v[156:157], v[171:172], v[175:176]
	v_div_fixup_f64 v[154:155], v[156:157], v[154:155], 1.0
	v_mul_f64 v[156:157], v[169:170], -v[154:155]
.LBB74_492:
	s_or_b32 exec_lo, exec_lo, s3
.LBB74_493:
	s_or_b32 exec_lo, exec_lo, s0
	s_mov_b32 s0, exec_lo
	v_cmpx_ne_u32_e64 v168, v162
	s_xor_b32 s0, exec_lo, s0
	s_cbranch_execz .LBB74_499
; %bb.494:
	s_mov_b32 s3, exec_lo
	v_cmpx_eq_u32_e32 23, v168
	s_cbranch_execz .LBB74_498
; %bb.495:
	v_cmp_ne_u32_e32 vcc_lo, 23, v162
	s_xor_b32 s8, s16, -1
	s_and_b32 s9, s8, vcc_lo
	s_and_saveexec_b32 s8, s9
	s_cbranch_execz .LBB74_497
; %bb.496:
	v_ashrrev_i32_e32 v163, 31, v162
	v_lshlrev_b64 v[168:169], 2, v[162:163]
	v_add_co_u32 v168, vcc_lo, v160, v168
	v_add_co_ci_u32_e64 v169, null, v161, v169, vcc_lo
	s_clause 0x1
	global_load_dword v0, v[168:169], off
	global_load_dword v163, v[160:161], off offset:92
	s_waitcnt vmcnt(1)
	global_store_dword v[160:161], v0, off offset:92
	s_waitcnt vmcnt(0)
	global_store_dword v[168:169], v163, off
.LBB74_497:
	s_or_b32 exec_lo, exec_lo, s8
	v_mov_b32_e32 v168, v162
	v_mov_b32_e32 v0, v162
.LBB74_498:
	s_or_b32 exec_lo, exec_lo, s3
.LBB74_499:
	s_andn2_saveexec_b32 s0, s0
	s_cbranch_execz .LBB74_501
; %bb.500:
	v_mov_b32_e32 v168, 23
	ds_write2_b64 v1, v[58:59], v[60:61] offset0:48 offset1:49
	ds_write2_b64 v1, v[54:55], v[56:57] offset0:50 offset1:51
	;; [unrolled: 1-line block ×14, first 2 shown]
.LBB74_501:
	s_or_b32 exec_lo, exec_lo, s0
	s_mov_b32 s0, exec_lo
	s_waitcnt lgkmcnt(0)
	s_waitcnt_vscnt null, 0x0
	s_barrier
	buffer_gl0_inv
	v_cmpx_lt_i32_e32 23, v168
	s_cbranch_execz .LBB74_503
; %bb.502:
	v_mul_f64 v[162:163], v[154:155], v[52:53]
	v_mul_f64 v[52:53], v[156:157], v[52:53]
	v_fma_f64 v[162:163], v[156:157], v[50:51], v[162:163]
	v_fma_f64 v[50:51], v[154:155], v[50:51], -v[52:53]
	ds_read2_b64 v[154:157], v1 offset0:48 offset1:49
	s_waitcnt lgkmcnt(0)
	v_mul_f64 v[52:53], v[156:157], v[162:163]
	v_fma_f64 v[52:53], v[154:155], v[50:51], -v[52:53]
	v_mul_f64 v[154:155], v[154:155], v[162:163]
	v_add_f64 v[58:59], v[58:59], -v[52:53]
	v_fma_f64 v[154:155], v[156:157], v[50:51], v[154:155]
	v_add_f64 v[60:61], v[60:61], -v[154:155]
	ds_read2_b64 v[154:157], v1 offset0:50 offset1:51
	s_waitcnt lgkmcnt(0)
	v_mul_f64 v[52:53], v[156:157], v[162:163]
	v_fma_f64 v[52:53], v[154:155], v[50:51], -v[52:53]
	v_mul_f64 v[154:155], v[154:155], v[162:163]
	v_add_f64 v[54:55], v[54:55], -v[52:53]
	v_fma_f64 v[154:155], v[156:157], v[50:51], v[154:155]
	v_add_f64 v[56:57], v[56:57], -v[154:155]
	;; [unrolled: 8-line block ×13, first 2 shown]
	ds_read2_b64 v[154:157], v1 offset0:74 offset1:75
	s_waitcnt lgkmcnt(0)
	v_mul_f64 v[52:53], v[156:157], v[162:163]
	v_fma_f64 v[52:53], v[154:155], v[50:51], -v[52:53]
	v_mul_f64 v[154:155], v[154:155], v[162:163]
	v_add_f64 v[2:3], v[2:3], -v[52:53]
	v_fma_f64 v[154:155], v[156:157], v[50:51], v[154:155]
	v_mov_b32_e32 v52, v162
	v_mov_b32_e32 v53, v163
	v_add_f64 v[4:5], v[4:5], -v[154:155]
.LBB74_503:
	s_or_b32 exec_lo, exec_lo, s0
	v_lshl_add_u32 v154, v168, 4, v1
	s_barrier
	buffer_gl0_inv
	v_mov_b32_e32 v162, 24
	ds_write2_b64 v154, v[58:59], v[60:61] offset1:1
	s_waitcnt lgkmcnt(0)
	s_barrier
	buffer_gl0_inv
	ds_read2_b64 v[154:157], v1 offset0:48 offset1:49
	s_cmp_lt_i32 s1, 26
	s_cbranch_scc1 .LBB74_506
; %bb.504:
	v_add3_u32 v163, v164, 0, 0x190
	v_mov_b32_e32 v162, 24
	s_mov_b32 s3, 25
	s_inst_prefetch 0x1
	.p2align	6
.LBB74_505:                             ; =>This Inner Loop Header: Depth=1
	s_waitcnt lgkmcnt(0)
	v_cmp_gt_f64_e32 vcc_lo, 0, v[156:157]
	v_cmp_gt_f64_e64 s0, 0, v[154:155]
	ds_read2_b64 v[169:172], v163 offset1:1
	v_xor_b32_e32 v174, 0x80000000, v155
	v_xor_b32_e32 v176, 0x80000000, v157
	v_mov_b32_e32 v173, v154
	v_mov_b32_e32 v175, v156
	v_add_nc_u32_e32 v163, 16, v163
	s_waitcnt lgkmcnt(0)
	v_xor_b32_e32 v178, 0x80000000, v172
	v_cndmask_b32_e64 v174, v155, v174, s0
	v_cndmask_b32_e32 v176, v157, v176, vcc_lo
	v_cmp_gt_f64_e32 vcc_lo, 0, v[171:172]
	v_cmp_gt_f64_e64 s0, 0, v[169:170]
	v_mov_b32_e32 v177, v171
	v_add_f64 v[173:174], v[173:174], v[175:176]
	v_xor_b32_e32 v176, 0x80000000, v170
	v_mov_b32_e32 v175, v169
	v_cndmask_b32_e32 v178, v172, v178, vcc_lo
	v_cndmask_b32_e64 v176, v170, v176, s0
	v_add_f64 v[175:176], v[175:176], v[177:178]
	v_cmp_lt_f64_e32 vcc_lo, v[173:174], v[175:176]
	v_cndmask_b32_e32 v155, v155, v170, vcc_lo
	v_cndmask_b32_e32 v154, v154, v169, vcc_lo
	;; [unrolled: 1-line block ×4, first 2 shown]
	v_cndmask_b32_e64 v162, v162, s3, vcc_lo
	s_add_i32 s3, s3, 1
	s_cmp_lg_u32 s1, s3
	s_cbranch_scc1 .LBB74_505
.LBB74_506:
	s_inst_prefetch 0x2
	s_waitcnt lgkmcnt(0)
	v_cmp_eq_f64_e32 vcc_lo, 0, v[154:155]
	v_cmp_eq_f64_e64 s0, 0, v[156:157]
	s_and_b32 s0, vcc_lo, s0
	s_and_saveexec_b32 s3, s0
	s_xor_b32 s0, exec_lo, s3
; %bb.507:
	v_cmp_ne_u32_e32 vcc_lo, 0, v167
	v_cndmask_b32_e32 v167, 25, v167, vcc_lo
; %bb.508:
	s_andn2_saveexec_b32 s0, s0
	s_cbranch_execz .LBB74_514
; %bb.509:
	v_cmp_ngt_f64_e64 s3, |v[154:155]|, |v[156:157]|
	s_and_saveexec_b32 s8, s3
	s_xor_b32 s3, exec_lo, s8
	s_cbranch_execz .LBB74_511
; %bb.510:
	v_div_scale_f64 v[169:170], null, v[156:157], v[156:157], v[154:155]
	v_div_scale_f64 v[175:176], vcc_lo, v[154:155], v[156:157], v[154:155]
	v_rcp_f64_e32 v[171:172], v[169:170]
	v_fma_f64 v[173:174], -v[169:170], v[171:172], 1.0
	v_fma_f64 v[171:172], v[171:172], v[173:174], v[171:172]
	v_fma_f64 v[173:174], -v[169:170], v[171:172], 1.0
	v_fma_f64 v[171:172], v[171:172], v[173:174], v[171:172]
	v_mul_f64 v[173:174], v[175:176], v[171:172]
	v_fma_f64 v[169:170], -v[169:170], v[173:174], v[175:176]
	v_div_fmas_f64 v[169:170], v[169:170], v[171:172], v[173:174]
	v_div_fixup_f64 v[169:170], v[169:170], v[156:157], v[154:155]
	v_fma_f64 v[154:155], v[154:155], v[169:170], v[156:157]
	v_div_scale_f64 v[156:157], null, v[154:155], v[154:155], 1.0
	v_rcp_f64_e32 v[171:172], v[156:157]
	v_fma_f64 v[173:174], -v[156:157], v[171:172], 1.0
	v_fma_f64 v[171:172], v[171:172], v[173:174], v[171:172]
	v_fma_f64 v[173:174], -v[156:157], v[171:172], 1.0
	v_fma_f64 v[171:172], v[171:172], v[173:174], v[171:172]
	v_div_scale_f64 v[173:174], vcc_lo, 1.0, v[154:155], 1.0
	v_mul_f64 v[175:176], v[173:174], v[171:172]
	v_fma_f64 v[156:157], -v[156:157], v[175:176], v[173:174]
	v_div_fmas_f64 v[156:157], v[156:157], v[171:172], v[175:176]
	v_div_fixup_f64 v[156:157], v[156:157], v[154:155], 1.0
	v_mul_f64 v[154:155], v[169:170], v[156:157]
	v_xor_b32_e32 v157, 0x80000000, v157
.LBB74_511:
	s_andn2_saveexec_b32 s3, s3
	s_cbranch_execz .LBB74_513
; %bb.512:
	v_div_scale_f64 v[169:170], null, v[154:155], v[154:155], v[156:157]
	v_div_scale_f64 v[175:176], vcc_lo, v[156:157], v[154:155], v[156:157]
	v_rcp_f64_e32 v[171:172], v[169:170]
	v_fma_f64 v[173:174], -v[169:170], v[171:172], 1.0
	v_fma_f64 v[171:172], v[171:172], v[173:174], v[171:172]
	v_fma_f64 v[173:174], -v[169:170], v[171:172], 1.0
	v_fma_f64 v[171:172], v[171:172], v[173:174], v[171:172]
	v_mul_f64 v[173:174], v[175:176], v[171:172]
	v_fma_f64 v[169:170], -v[169:170], v[173:174], v[175:176]
	v_div_fmas_f64 v[169:170], v[169:170], v[171:172], v[173:174]
	v_div_fixup_f64 v[169:170], v[169:170], v[154:155], v[156:157]
	v_fma_f64 v[154:155], v[156:157], v[169:170], v[154:155]
	v_div_scale_f64 v[156:157], null, v[154:155], v[154:155], 1.0
	v_rcp_f64_e32 v[171:172], v[156:157]
	v_fma_f64 v[173:174], -v[156:157], v[171:172], 1.0
	v_fma_f64 v[171:172], v[171:172], v[173:174], v[171:172]
	v_fma_f64 v[173:174], -v[156:157], v[171:172], 1.0
	v_fma_f64 v[171:172], v[171:172], v[173:174], v[171:172]
	v_div_scale_f64 v[173:174], vcc_lo, 1.0, v[154:155], 1.0
	v_mul_f64 v[175:176], v[173:174], v[171:172]
	v_fma_f64 v[156:157], -v[156:157], v[175:176], v[173:174]
	v_div_fmas_f64 v[156:157], v[156:157], v[171:172], v[175:176]
	v_div_fixup_f64 v[154:155], v[156:157], v[154:155], 1.0
	v_mul_f64 v[156:157], v[169:170], -v[154:155]
.LBB74_513:
	s_or_b32 exec_lo, exec_lo, s3
.LBB74_514:
	s_or_b32 exec_lo, exec_lo, s0
	s_mov_b32 s0, exec_lo
	v_cmpx_ne_u32_e64 v168, v162
	s_xor_b32 s0, exec_lo, s0
	s_cbranch_execz .LBB74_520
; %bb.515:
	s_mov_b32 s3, exec_lo
	v_cmpx_eq_u32_e32 24, v168
	s_cbranch_execz .LBB74_519
; %bb.516:
	v_cmp_ne_u32_e32 vcc_lo, 24, v162
	s_xor_b32 s8, s16, -1
	s_and_b32 s9, s8, vcc_lo
	s_and_saveexec_b32 s8, s9
	s_cbranch_execz .LBB74_518
; %bb.517:
	v_ashrrev_i32_e32 v163, 31, v162
	v_lshlrev_b64 v[168:169], 2, v[162:163]
	v_add_co_u32 v168, vcc_lo, v160, v168
	v_add_co_ci_u32_e64 v169, null, v161, v169, vcc_lo
	s_clause 0x1
	global_load_dword v0, v[168:169], off
	global_load_dword v163, v[160:161], off offset:96
	s_waitcnt vmcnt(1)
	global_store_dword v[160:161], v0, off offset:96
	s_waitcnt vmcnt(0)
	global_store_dword v[168:169], v163, off
.LBB74_518:
	s_or_b32 exec_lo, exec_lo, s8
	v_mov_b32_e32 v168, v162
	v_mov_b32_e32 v0, v162
.LBB74_519:
	s_or_b32 exec_lo, exec_lo, s3
.LBB74_520:
	s_andn2_saveexec_b32 s0, s0
	s_cbranch_execz .LBB74_522
; %bb.521:
	v_mov_b32_e32 v168, 24
	ds_write2_b64 v1, v[54:55], v[56:57] offset0:50 offset1:51
	ds_write2_b64 v1, v[42:43], v[44:45] offset0:52 offset1:53
	;; [unrolled: 1-line block ×13, first 2 shown]
.LBB74_522:
	s_or_b32 exec_lo, exec_lo, s0
	s_mov_b32 s0, exec_lo
	s_waitcnt lgkmcnt(0)
	s_waitcnt_vscnt null, 0x0
	s_barrier
	buffer_gl0_inv
	v_cmpx_lt_i32_e32 24, v168
	s_cbranch_execz .LBB74_524
; %bb.523:
	v_mul_f64 v[162:163], v[154:155], v[60:61]
	v_mul_f64 v[60:61], v[156:157], v[60:61]
	v_fma_f64 v[162:163], v[156:157], v[58:59], v[162:163]
	v_fma_f64 v[58:59], v[154:155], v[58:59], -v[60:61]
	ds_read2_b64 v[154:157], v1 offset0:50 offset1:51
	s_waitcnt lgkmcnt(0)
	v_mul_f64 v[60:61], v[156:157], v[162:163]
	v_fma_f64 v[60:61], v[154:155], v[58:59], -v[60:61]
	v_mul_f64 v[154:155], v[154:155], v[162:163]
	v_add_f64 v[54:55], v[54:55], -v[60:61]
	v_fma_f64 v[154:155], v[156:157], v[58:59], v[154:155]
	v_add_f64 v[56:57], v[56:57], -v[154:155]
	ds_read2_b64 v[154:157], v1 offset0:52 offset1:53
	s_waitcnt lgkmcnt(0)
	v_mul_f64 v[60:61], v[156:157], v[162:163]
	v_fma_f64 v[60:61], v[154:155], v[58:59], -v[60:61]
	v_mul_f64 v[154:155], v[154:155], v[162:163]
	v_add_f64 v[42:43], v[42:43], -v[60:61]
	v_fma_f64 v[154:155], v[156:157], v[58:59], v[154:155]
	v_add_f64 v[44:45], v[44:45], -v[154:155]
	;; [unrolled: 8-line block ×12, first 2 shown]
	ds_read2_b64 v[154:157], v1 offset0:74 offset1:75
	s_waitcnt lgkmcnt(0)
	v_mul_f64 v[60:61], v[156:157], v[162:163]
	v_fma_f64 v[60:61], v[154:155], v[58:59], -v[60:61]
	v_mul_f64 v[154:155], v[154:155], v[162:163]
	v_add_f64 v[2:3], v[2:3], -v[60:61]
	v_fma_f64 v[154:155], v[156:157], v[58:59], v[154:155]
	v_mov_b32_e32 v60, v162
	v_mov_b32_e32 v61, v163
	v_add_f64 v[4:5], v[4:5], -v[154:155]
.LBB74_524:
	s_or_b32 exec_lo, exec_lo, s0
	v_lshl_add_u32 v154, v168, 4, v1
	s_barrier
	buffer_gl0_inv
	v_mov_b32_e32 v162, 25
	ds_write2_b64 v154, v[54:55], v[56:57] offset1:1
	s_waitcnt lgkmcnt(0)
	s_barrier
	buffer_gl0_inv
	ds_read2_b64 v[154:157], v1 offset0:50 offset1:51
	s_cmp_lt_i32 s1, 27
	s_cbranch_scc1 .LBB74_527
; %bb.525:
	v_add3_u32 v163, v164, 0, 0x1a0
	v_mov_b32_e32 v162, 25
	s_mov_b32 s3, 26
	s_inst_prefetch 0x1
	.p2align	6
.LBB74_526:                             ; =>This Inner Loop Header: Depth=1
	s_waitcnt lgkmcnt(0)
	v_cmp_gt_f64_e32 vcc_lo, 0, v[156:157]
	v_cmp_gt_f64_e64 s0, 0, v[154:155]
	ds_read2_b64 v[169:172], v163 offset1:1
	v_xor_b32_e32 v174, 0x80000000, v155
	v_xor_b32_e32 v176, 0x80000000, v157
	v_mov_b32_e32 v173, v154
	v_mov_b32_e32 v175, v156
	v_add_nc_u32_e32 v163, 16, v163
	s_waitcnt lgkmcnt(0)
	v_xor_b32_e32 v178, 0x80000000, v172
	v_cndmask_b32_e64 v174, v155, v174, s0
	v_cndmask_b32_e32 v176, v157, v176, vcc_lo
	v_cmp_gt_f64_e32 vcc_lo, 0, v[171:172]
	v_cmp_gt_f64_e64 s0, 0, v[169:170]
	v_mov_b32_e32 v177, v171
	v_add_f64 v[173:174], v[173:174], v[175:176]
	v_xor_b32_e32 v176, 0x80000000, v170
	v_mov_b32_e32 v175, v169
	v_cndmask_b32_e32 v178, v172, v178, vcc_lo
	v_cndmask_b32_e64 v176, v170, v176, s0
	v_add_f64 v[175:176], v[175:176], v[177:178]
	v_cmp_lt_f64_e32 vcc_lo, v[173:174], v[175:176]
	v_cndmask_b32_e32 v155, v155, v170, vcc_lo
	v_cndmask_b32_e32 v154, v154, v169, vcc_lo
	;; [unrolled: 1-line block ×4, first 2 shown]
	v_cndmask_b32_e64 v162, v162, s3, vcc_lo
	s_add_i32 s3, s3, 1
	s_cmp_lg_u32 s1, s3
	s_cbranch_scc1 .LBB74_526
.LBB74_527:
	s_inst_prefetch 0x2
	s_waitcnt lgkmcnt(0)
	v_cmp_eq_f64_e32 vcc_lo, 0, v[154:155]
	v_cmp_eq_f64_e64 s0, 0, v[156:157]
	s_and_b32 s0, vcc_lo, s0
	s_and_saveexec_b32 s3, s0
	s_xor_b32 s0, exec_lo, s3
; %bb.528:
	v_cmp_ne_u32_e32 vcc_lo, 0, v167
	v_cndmask_b32_e32 v167, 26, v167, vcc_lo
; %bb.529:
	s_andn2_saveexec_b32 s0, s0
	s_cbranch_execz .LBB74_535
; %bb.530:
	v_cmp_ngt_f64_e64 s3, |v[154:155]|, |v[156:157]|
	s_and_saveexec_b32 s8, s3
	s_xor_b32 s3, exec_lo, s8
	s_cbranch_execz .LBB74_532
; %bb.531:
	v_div_scale_f64 v[169:170], null, v[156:157], v[156:157], v[154:155]
	v_div_scale_f64 v[175:176], vcc_lo, v[154:155], v[156:157], v[154:155]
	v_rcp_f64_e32 v[171:172], v[169:170]
	v_fma_f64 v[173:174], -v[169:170], v[171:172], 1.0
	v_fma_f64 v[171:172], v[171:172], v[173:174], v[171:172]
	v_fma_f64 v[173:174], -v[169:170], v[171:172], 1.0
	v_fma_f64 v[171:172], v[171:172], v[173:174], v[171:172]
	v_mul_f64 v[173:174], v[175:176], v[171:172]
	v_fma_f64 v[169:170], -v[169:170], v[173:174], v[175:176]
	v_div_fmas_f64 v[169:170], v[169:170], v[171:172], v[173:174]
	v_div_fixup_f64 v[169:170], v[169:170], v[156:157], v[154:155]
	v_fma_f64 v[154:155], v[154:155], v[169:170], v[156:157]
	v_div_scale_f64 v[156:157], null, v[154:155], v[154:155], 1.0
	v_rcp_f64_e32 v[171:172], v[156:157]
	v_fma_f64 v[173:174], -v[156:157], v[171:172], 1.0
	v_fma_f64 v[171:172], v[171:172], v[173:174], v[171:172]
	v_fma_f64 v[173:174], -v[156:157], v[171:172], 1.0
	v_fma_f64 v[171:172], v[171:172], v[173:174], v[171:172]
	v_div_scale_f64 v[173:174], vcc_lo, 1.0, v[154:155], 1.0
	v_mul_f64 v[175:176], v[173:174], v[171:172]
	v_fma_f64 v[156:157], -v[156:157], v[175:176], v[173:174]
	v_div_fmas_f64 v[156:157], v[156:157], v[171:172], v[175:176]
	v_div_fixup_f64 v[156:157], v[156:157], v[154:155], 1.0
	v_mul_f64 v[154:155], v[169:170], v[156:157]
	v_xor_b32_e32 v157, 0x80000000, v157
.LBB74_532:
	s_andn2_saveexec_b32 s3, s3
	s_cbranch_execz .LBB74_534
; %bb.533:
	v_div_scale_f64 v[169:170], null, v[154:155], v[154:155], v[156:157]
	v_div_scale_f64 v[175:176], vcc_lo, v[156:157], v[154:155], v[156:157]
	v_rcp_f64_e32 v[171:172], v[169:170]
	v_fma_f64 v[173:174], -v[169:170], v[171:172], 1.0
	v_fma_f64 v[171:172], v[171:172], v[173:174], v[171:172]
	v_fma_f64 v[173:174], -v[169:170], v[171:172], 1.0
	v_fma_f64 v[171:172], v[171:172], v[173:174], v[171:172]
	v_mul_f64 v[173:174], v[175:176], v[171:172]
	v_fma_f64 v[169:170], -v[169:170], v[173:174], v[175:176]
	v_div_fmas_f64 v[169:170], v[169:170], v[171:172], v[173:174]
	v_div_fixup_f64 v[169:170], v[169:170], v[154:155], v[156:157]
	v_fma_f64 v[154:155], v[156:157], v[169:170], v[154:155]
	v_div_scale_f64 v[156:157], null, v[154:155], v[154:155], 1.0
	v_rcp_f64_e32 v[171:172], v[156:157]
	v_fma_f64 v[173:174], -v[156:157], v[171:172], 1.0
	v_fma_f64 v[171:172], v[171:172], v[173:174], v[171:172]
	v_fma_f64 v[173:174], -v[156:157], v[171:172], 1.0
	v_fma_f64 v[171:172], v[171:172], v[173:174], v[171:172]
	v_div_scale_f64 v[173:174], vcc_lo, 1.0, v[154:155], 1.0
	v_mul_f64 v[175:176], v[173:174], v[171:172]
	v_fma_f64 v[156:157], -v[156:157], v[175:176], v[173:174]
	v_div_fmas_f64 v[156:157], v[156:157], v[171:172], v[175:176]
	v_div_fixup_f64 v[154:155], v[156:157], v[154:155], 1.0
	v_mul_f64 v[156:157], v[169:170], -v[154:155]
.LBB74_534:
	s_or_b32 exec_lo, exec_lo, s3
.LBB74_535:
	s_or_b32 exec_lo, exec_lo, s0
	s_mov_b32 s0, exec_lo
	v_cmpx_ne_u32_e64 v168, v162
	s_xor_b32 s0, exec_lo, s0
	s_cbranch_execz .LBB74_541
; %bb.536:
	s_mov_b32 s3, exec_lo
	v_cmpx_eq_u32_e32 25, v168
	s_cbranch_execz .LBB74_540
; %bb.537:
	v_cmp_ne_u32_e32 vcc_lo, 25, v162
	s_xor_b32 s8, s16, -1
	s_and_b32 s9, s8, vcc_lo
	s_and_saveexec_b32 s8, s9
	s_cbranch_execz .LBB74_539
; %bb.538:
	v_ashrrev_i32_e32 v163, 31, v162
	v_lshlrev_b64 v[168:169], 2, v[162:163]
	v_add_co_u32 v168, vcc_lo, v160, v168
	v_add_co_ci_u32_e64 v169, null, v161, v169, vcc_lo
	s_clause 0x1
	global_load_dword v0, v[168:169], off
	global_load_dword v163, v[160:161], off offset:100
	s_waitcnt vmcnt(1)
	global_store_dword v[160:161], v0, off offset:100
	s_waitcnt vmcnt(0)
	global_store_dword v[168:169], v163, off
.LBB74_539:
	s_or_b32 exec_lo, exec_lo, s8
	v_mov_b32_e32 v168, v162
	v_mov_b32_e32 v0, v162
.LBB74_540:
	s_or_b32 exec_lo, exec_lo, s3
.LBB74_541:
	s_andn2_saveexec_b32 s0, s0
	s_cbranch_execz .LBB74_543
; %bb.542:
	v_mov_b32_e32 v168, 25
	ds_write2_b64 v1, v[42:43], v[44:45] offset0:52 offset1:53
	ds_write2_b64 v1, v[38:39], v[40:41] offset0:54 offset1:55
	;; [unrolled: 1-line block ×12, first 2 shown]
.LBB74_543:
	s_or_b32 exec_lo, exec_lo, s0
	s_mov_b32 s0, exec_lo
	s_waitcnt lgkmcnt(0)
	s_waitcnt_vscnt null, 0x0
	s_barrier
	buffer_gl0_inv
	v_cmpx_lt_i32_e32 25, v168
	s_cbranch_execz .LBB74_545
; %bb.544:
	v_mul_f64 v[162:163], v[154:155], v[56:57]
	v_mul_f64 v[56:57], v[156:157], v[56:57]
	v_fma_f64 v[162:163], v[156:157], v[54:55], v[162:163]
	v_fma_f64 v[54:55], v[154:155], v[54:55], -v[56:57]
	ds_read2_b64 v[154:157], v1 offset0:52 offset1:53
	s_waitcnt lgkmcnt(0)
	v_mul_f64 v[56:57], v[156:157], v[162:163]
	v_fma_f64 v[56:57], v[154:155], v[54:55], -v[56:57]
	v_mul_f64 v[154:155], v[154:155], v[162:163]
	v_add_f64 v[42:43], v[42:43], -v[56:57]
	v_fma_f64 v[154:155], v[156:157], v[54:55], v[154:155]
	v_add_f64 v[44:45], v[44:45], -v[154:155]
	ds_read2_b64 v[154:157], v1 offset0:54 offset1:55
	s_waitcnt lgkmcnt(0)
	v_mul_f64 v[56:57], v[156:157], v[162:163]
	v_fma_f64 v[56:57], v[154:155], v[54:55], -v[56:57]
	v_mul_f64 v[154:155], v[154:155], v[162:163]
	v_add_f64 v[38:39], v[38:39], -v[56:57]
	v_fma_f64 v[154:155], v[156:157], v[54:55], v[154:155]
	v_add_f64 v[40:41], v[40:41], -v[154:155]
	;; [unrolled: 8-line block ×11, first 2 shown]
	ds_read2_b64 v[154:157], v1 offset0:74 offset1:75
	s_waitcnt lgkmcnt(0)
	v_mul_f64 v[56:57], v[156:157], v[162:163]
	v_fma_f64 v[56:57], v[154:155], v[54:55], -v[56:57]
	v_mul_f64 v[154:155], v[154:155], v[162:163]
	v_add_f64 v[2:3], v[2:3], -v[56:57]
	v_fma_f64 v[154:155], v[156:157], v[54:55], v[154:155]
	v_mov_b32_e32 v56, v162
	v_mov_b32_e32 v57, v163
	v_add_f64 v[4:5], v[4:5], -v[154:155]
.LBB74_545:
	s_or_b32 exec_lo, exec_lo, s0
	v_lshl_add_u32 v154, v168, 4, v1
	s_barrier
	buffer_gl0_inv
	v_mov_b32_e32 v162, 26
	ds_write2_b64 v154, v[42:43], v[44:45] offset1:1
	s_waitcnt lgkmcnt(0)
	s_barrier
	buffer_gl0_inv
	ds_read2_b64 v[154:157], v1 offset0:52 offset1:53
	s_cmp_lt_i32 s1, 28
	s_cbranch_scc1 .LBB74_548
; %bb.546:
	v_add3_u32 v163, v164, 0, 0x1b0
	v_mov_b32_e32 v162, 26
	s_mov_b32 s3, 27
	s_inst_prefetch 0x1
	.p2align	6
.LBB74_547:                             ; =>This Inner Loop Header: Depth=1
	s_waitcnt lgkmcnt(0)
	v_cmp_gt_f64_e32 vcc_lo, 0, v[156:157]
	v_cmp_gt_f64_e64 s0, 0, v[154:155]
	ds_read2_b64 v[169:172], v163 offset1:1
	v_xor_b32_e32 v174, 0x80000000, v155
	v_xor_b32_e32 v176, 0x80000000, v157
	v_mov_b32_e32 v173, v154
	v_mov_b32_e32 v175, v156
	v_add_nc_u32_e32 v163, 16, v163
	s_waitcnt lgkmcnt(0)
	v_xor_b32_e32 v178, 0x80000000, v172
	v_cndmask_b32_e64 v174, v155, v174, s0
	v_cndmask_b32_e32 v176, v157, v176, vcc_lo
	v_cmp_gt_f64_e32 vcc_lo, 0, v[171:172]
	v_cmp_gt_f64_e64 s0, 0, v[169:170]
	v_mov_b32_e32 v177, v171
	v_add_f64 v[173:174], v[173:174], v[175:176]
	v_xor_b32_e32 v176, 0x80000000, v170
	v_mov_b32_e32 v175, v169
	v_cndmask_b32_e32 v178, v172, v178, vcc_lo
	v_cndmask_b32_e64 v176, v170, v176, s0
	v_add_f64 v[175:176], v[175:176], v[177:178]
	v_cmp_lt_f64_e32 vcc_lo, v[173:174], v[175:176]
	v_cndmask_b32_e32 v155, v155, v170, vcc_lo
	v_cndmask_b32_e32 v154, v154, v169, vcc_lo
	;; [unrolled: 1-line block ×4, first 2 shown]
	v_cndmask_b32_e64 v162, v162, s3, vcc_lo
	s_add_i32 s3, s3, 1
	s_cmp_lg_u32 s1, s3
	s_cbranch_scc1 .LBB74_547
.LBB74_548:
	s_inst_prefetch 0x2
	s_waitcnt lgkmcnt(0)
	v_cmp_eq_f64_e32 vcc_lo, 0, v[154:155]
	v_cmp_eq_f64_e64 s0, 0, v[156:157]
	s_and_b32 s0, vcc_lo, s0
	s_and_saveexec_b32 s3, s0
	s_xor_b32 s0, exec_lo, s3
; %bb.549:
	v_cmp_ne_u32_e32 vcc_lo, 0, v167
	v_cndmask_b32_e32 v167, 27, v167, vcc_lo
; %bb.550:
	s_andn2_saveexec_b32 s0, s0
	s_cbranch_execz .LBB74_556
; %bb.551:
	v_cmp_ngt_f64_e64 s3, |v[154:155]|, |v[156:157]|
	s_and_saveexec_b32 s8, s3
	s_xor_b32 s3, exec_lo, s8
	s_cbranch_execz .LBB74_553
; %bb.552:
	v_div_scale_f64 v[169:170], null, v[156:157], v[156:157], v[154:155]
	v_div_scale_f64 v[175:176], vcc_lo, v[154:155], v[156:157], v[154:155]
	v_rcp_f64_e32 v[171:172], v[169:170]
	v_fma_f64 v[173:174], -v[169:170], v[171:172], 1.0
	v_fma_f64 v[171:172], v[171:172], v[173:174], v[171:172]
	v_fma_f64 v[173:174], -v[169:170], v[171:172], 1.0
	v_fma_f64 v[171:172], v[171:172], v[173:174], v[171:172]
	v_mul_f64 v[173:174], v[175:176], v[171:172]
	v_fma_f64 v[169:170], -v[169:170], v[173:174], v[175:176]
	v_div_fmas_f64 v[169:170], v[169:170], v[171:172], v[173:174]
	v_div_fixup_f64 v[169:170], v[169:170], v[156:157], v[154:155]
	v_fma_f64 v[154:155], v[154:155], v[169:170], v[156:157]
	v_div_scale_f64 v[156:157], null, v[154:155], v[154:155], 1.0
	v_rcp_f64_e32 v[171:172], v[156:157]
	v_fma_f64 v[173:174], -v[156:157], v[171:172], 1.0
	v_fma_f64 v[171:172], v[171:172], v[173:174], v[171:172]
	v_fma_f64 v[173:174], -v[156:157], v[171:172], 1.0
	v_fma_f64 v[171:172], v[171:172], v[173:174], v[171:172]
	v_div_scale_f64 v[173:174], vcc_lo, 1.0, v[154:155], 1.0
	v_mul_f64 v[175:176], v[173:174], v[171:172]
	v_fma_f64 v[156:157], -v[156:157], v[175:176], v[173:174]
	v_div_fmas_f64 v[156:157], v[156:157], v[171:172], v[175:176]
	v_div_fixup_f64 v[156:157], v[156:157], v[154:155], 1.0
	v_mul_f64 v[154:155], v[169:170], v[156:157]
	v_xor_b32_e32 v157, 0x80000000, v157
.LBB74_553:
	s_andn2_saveexec_b32 s3, s3
	s_cbranch_execz .LBB74_555
; %bb.554:
	v_div_scale_f64 v[169:170], null, v[154:155], v[154:155], v[156:157]
	v_div_scale_f64 v[175:176], vcc_lo, v[156:157], v[154:155], v[156:157]
	v_rcp_f64_e32 v[171:172], v[169:170]
	v_fma_f64 v[173:174], -v[169:170], v[171:172], 1.0
	v_fma_f64 v[171:172], v[171:172], v[173:174], v[171:172]
	v_fma_f64 v[173:174], -v[169:170], v[171:172], 1.0
	v_fma_f64 v[171:172], v[171:172], v[173:174], v[171:172]
	v_mul_f64 v[173:174], v[175:176], v[171:172]
	v_fma_f64 v[169:170], -v[169:170], v[173:174], v[175:176]
	v_div_fmas_f64 v[169:170], v[169:170], v[171:172], v[173:174]
	v_div_fixup_f64 v[169:170], v[169:170], v[154:155], v[156:157]
	v_fma_f64 v[154:155], v[156:157], v[169:170], v[154:155]
	v_div_scale_f64 v[156:157], null, v[154:155], v[154:155], 1.0
	v_rcp_f64_e32 v[171:172], v[156:157]
	v_fma_f64 v[173:174], -v[156:157], v[171:172], 1.0
	v_fma_f64 v[171:172], v[171:172], v[173:174], v[171:172]
	v_fma_f64 v[173:174], -v[156:157], v[171:172], 1.0
	v_fma_f64 v[171:172], v[171:172], v[173:174], v[171:172]
	v_div_scale_f64 v[173:174], vcc_lo, 1.0, v[154:155], 1.0
	v_mul_f64 v[175:176], v[173:174], v[171:172]
	v_fma_f64 v[156:157], -v[156:157], v[175:176], v[173:174]
	v_div_fmas_f64 v[156:157], v[156:157], v[171:172], v[175:176]
	v_div_fixup_f64 v[154:155], v[156:157], v[154:155], 1.0
	v_mul_f64 v[156:157], v[169:170], -v[154:155]
.LBB74_555:
	s_or_b32 exec_lo, exec_lo, s3
.LBB74_556:
	s_or_b32 exec_lo, exec_lo, s0
	s_mov_b32 s0, exec_lo
	v_cmpx_ne_u32_e64 v168, v162
	s_xor_b32 s0, exec_lo, s0
	s_cbranch_execz .LBB74_562
; %bb.557:
	s_mov_b32 s3, exec_lo
	v_cmpx_eq_u32_e32 26, v168
	s_cbranch_execz .LBB74_561
; %bb.558:
	v_cmp_ne_u32_e32 vcc_lo, 26, v162
	s_xor_b32 s8, s16, -1
	s_and_b32 s9, s8, vcc_lo
	s_and_saveexec_b32 s8, s9
	s_cbranch_execz .LBB74_560
; %bb.559:
	v_ashrrev_i32_e32 v163, 31, v162
	v_lshlrev_b64 v[168:169], 2, v[162:163]
	v_add_co_u32 v168, vcc_lo, v160, v168
	v_add_co_ci_u32_e64 v169, null, v161, v169, vcc_lo
	s_clause 0x1
	global_load_dword v0, v[168:169], off
	global_load_dword v163, v[160:161], off offset:104
	s_waitcnt vmcnt(1)
	global_store_dword v[160:161], v0, off offset:104
	s_waitcnt vmcnt(0)
	global_store_dword v[168:169], v163, off
.LBB74_560:
	s_or_b32 exec_lo, exec_lo, s8
	v_mov_b32_e32 v168, v162
	v_mov_b32_e32 v0, v162
.LBB74_561:
	s_or_b32 exec_lo, exec_lo, s3
.LBB74_562:
	s_andn2_saveexec_b32 s0, s0
	s_cbranch_execz .LBB74_564
; %bb.563:
	v_mov_b32_e32 v168, 26
	ds_write2_b64 v1, v[38:39], v[40:41] offset0:54 offset1:55
	ds_write2_b64 v1, v[34:35], v[36:37] offset0:56 offset1:57
	;; [unrolled: 1-line block ×11, first 2 shown]
.LBB74_564:
	s_or_b32 exec_lo, exec_lo, s0
	s_mov_b32 s0, exec_lo
	s_waitcnt lgkmcnt(0)
	s_waitcnt_vscnt null, 0x0
	s_barrier
	buffer_gl0_inv
	v_cmpx_lt_i32_e32 26, v168
	s_cbranch_execz .LBB74_566
; %bb.565:
	v_mul_f64 v[162:163], v[154:155], v[44:45]
	v_mul_f64 v[44:45], v[156:157], v[44:45]
	v_fma_f64 v[162:163], v[156:157], v[42:43], v[162:163]
	v_fma_f64 v[42:43], v[154:155], v[42:43], -v[44:45]
	ds_read2_b64 v[154:157], v1 offset0:54 offset1:55
	s_waitcnt lgkmcnt(0)
	v_mul_f64 v[44:45], v[156:157], v[162:163]
	v_fma_f64 v[44:45], v[154:155], v[42:43], -v[44:45]
	v_mul_f64 v[154:155], v[154:155], v[162:163]
	v_add_f64 v[38:39], v[38:39], -v[44:45]
	v_fma_f64 v[154:155], v[156:157], v[42:43], v[154:155]
	v_add_f64 v[40:41], v[40:41], -v[154:155]
	ds_read2_b64 v[154:157], v1 offset0:56 offset1:57
	s_waitcnt lgkmcnt(0)
	v_mul_f64 v[44:45], v[156:157], v[162:163]
	v_fma_f64 v[44:45], v[154:155], v[42:43], -v[44:45]
	v_mul_f64 v[154:155], v[154:155], v[162:163]
	v_add_f64 v[34:35], v[34:35], -v[44:45]
	v_fma_f64 v[154:155], v[156:157], v[42:43], v[154:155]
	v_add_f64 v[36:37], v[36:37], -v[154:155]
	;; [unrolled: 8-line block ×10, first 2 shown]
	ds_read2_b64 v[154:157], v1 offset0:74 offset1:75
	s_waitcnt lgkmcnt(0)
	v_mul_f64 v[44:45], v[156:157], v[162:163]
	v_fma_f64 v[44:45], v[154:155], v[42:43], -v[44:45]
	v_mul_f64 v[154:155], v[154:155], v[162:163]
	v_add_f64 v[2:3], v[2:3], -v[44:45]
	v_fma_f64 v[154:155], v[156:157], v[42:43], v[154:155]
	v_mov_b32_e32 v44, v162
	v_mov_b32_e32 v45, v163
	v_add_f64 v[4:5], v[4:5], -v[154:155]
.LBB74_566:
	s_or_b32 exec_lo, exec_lo, s0
	v_lshl_add_u32 v154, v168, 4, v1
	s_barrier
	buffer_gl0_inv
	v_mov_b32_e32 v162, 27
	ds_write2_b64 v154, v[38:39], v[40:41] offset1:1
	s_waitcnt lgkmcnt(0)
	s_barrier
	buffer_gl0_inv
	ds_read2_b64 v[154:157], v1 offset0:54 offset1:55
	s_cmp_lt_i32 s1, 29
	s_cbranch_scc1 .LBB74_569
; %bb.567:
	v_add3_u32 v163, v164, 0, 0x1c0
	v_mov_b32_e32 v162, 27
	s_mov_b32 s3, 28
	s_inst_prefetch 0x1
	.p2align	6
.LBB74_568:                             ; =>This Inner Loop Header: Depth=1
	s_waitcnt lgkmcnt(0)
	v_cmp_gt_f64_e32 vcc_lo, 0, v[156:157]
	v_cmp_gt_f64_e64 s0, 0, v[154:155]
	ds_read2_b64 v[169:172], v163 offset1:1
	v_xor_b32_e32 v174, 0x80000000, v155
	v_xor_b32_e32 v176, 0x80000000, v157
	v_mov_b32_e32 v173, v154
	v_mov_b32_e32 v175, v156
	v_add_nc_u32_e32 v163, 16, v163
	s_waitcnt lgkmcnt(0)
	v_xor_b32_e32 v178, 0x80000000, v172
	v_cndmask_b32_e64 v174, v155, v174, s0
	v_cndmask_b32_e32 v176, v157, v176, vcc_lo
	v_cmp_gt_f64_e32 vcc_lo, 0, v[171:172]
	v_cmp_gt_f64_e64 s0, 0, v[169:170]
	v_mov_b32_e32 v177, v171
	v_add_f64 v[173:174], v[173:174], v[175:176]
	v_xor_b32_e32 v176, 0x80000000, v170
	v_mov_b32_e32 v175, v169
	v_cndmask_b32_e32 v178, v172, v178, vcc_lo
	v_cndmask_b32_e64 v176, v170, v176, s0
	v_add_f64 v[175:176], v[175:176], v[177:178]
	v_cmp_lt_f64_e32 vcc_lo, v[173:174], v[175:176]
	v_cndmask_b32_e32 v155, v155, v170, vcc_lo
	v_cndmask_b32_e32 v154, v154, v169, vcc_lo
	;; [unrolled: 1-line block ×4, first 2 shown]
	v_cndmask_b32_e64 v162, v162, s3, vcc_lo
	s_add_i32 s3, s3, 1
	s_cmp_lg_u32 s1, s3
	s_cbranch_scc1 .LBB74_568
.LBB74_569:
	s_inst_prefetch 0x2
	s_waitcnt lgkmcnt(0)
	v_cmp_eq_f64_e32 vcc_lo, 0, v[154:155]
	v_cmp_eq_f64_e64 s0, 0, v[156:157]
	s_and_b32 s0, vcc_lo, s0
	s_and_saveexec_b32 s3, s0
	s_xor_b32 s0, exec_lo, s3
; %bb.570:
	v_cmp_ne_u32_e32 vcc_lo, 0, v167
	v_cndmask_b32_e32 v167, 28, v167, vcc_lo
; %bb.571:
	s_andn2_saveexec_b32 s0, s0
	s_cbranch_execz .LBB74_577
; %bb.572:
	v_cmp_ngt_f64_e64 s3, |v[154:155]|, |v[156:157]|
	s_and_saveexec_b32 s8, s3
	s_xor_b32 s3, exec_lo, s8
	s_cbranch_execz .LBB74_574
; %bb.573:
	v_div_scale_f64 v[169:170], null, v[156:157], v[156:157], v[154:155]
	v_div_scale_f64 v[175:176], vcc_lo, v[154:155], v[156:157], v[154:155]
	v_rcp_f64_e32 v[171:172], v[169:170]
	v_fma_f64 v[173:174], -v[169:170], v[171:172], 1.0
	v_fma_f64 v[171:172], v[171:172], v[173:174], v[171:172]
	v_fma_f64 v[173:174], -v[169:170], v[171:172], 1.0
	v_fma_f64 v[171:172], v[171:172], v[173:174], v[171:172]
	v_mul_f64 v[173:174], v[175:176], v[171:172]
	v_fma_f64 v[169:170], -v[169:170], v[173:174], v[175:176]
	v_div_fmas_f64 v[169:170], v[169:170], v[171:172], v[173:174]
	v_div_fixup_f64 v[169:170], v[169:170], v[156:157], v[154:155]
	v_fma_f64 v[154:155], v[154:155], v[169:170], v[156:157]
	v_div_scale_f64 v[156:157], null, v[154:155], v[154:155], 1.0
	v_rcp_f64_e32 v[171:172], v[156:157]
	v_fma_f64 v[173:174], -v[156:157], v[171:172], 1.0
	v_fma_f64 v[171:172], v[171:172], v[173:174], v[171:172]
	v_fma_f64 v[173:174], -v[156:157], v[171:172], 1.0
	v_fma_f64 v[171:172], v[171:172], v[173:174], v[171:172]
	v_div_scale_f64 v[173:174], vcc_lo, 1.0, v[154:155], 1.0
	v_mul_f64 v[175:176], v[173:174], v[171:172]
	v_fma_f64 v[156:157], -v[156:157], v[175:176], v[173:174]
	v_div_fmas_f64 v[156:157], v[156:157], v[171:172], v[175:176]
	v_div_fixup_f64 v[156:157], v[156:157], v[154:155], 1.0
	v_mul_f64 v[154:155], v[169:170], v[156:157]
	v_xor_b32_e32 v157, 0x80000000, v157
.LBB74_574:
	s_andn2_saveexec_b32 s3, s3
	s_cbranch_execz .LBB74_576
; %bb.575:
	v_div_scale_f64 v[169:170], null, v[154:155], v[154:155], v[156:157]
	v_div_scale_f64 v[175:176], vcc_lo, v[156:157], v[154:155], v[156:157]
	v_rcp_f64_e32 v[171:172], v[169:170]
	v_fma_f64 v[173:174], -v[169:170], v[171:172], 1.0
	v_fma_f64 v[171:172], v[171:172], v[173:174], v[171:172]
	v_fma_f64 v[173:174], -v[169:170], v[171:172], 1.0
	v_fma_f64 v[171:172], v[171:172], v[173:174], v[171:172]
	v_mul_f64 v[173:174], v[175:176], v[171:172]
	v_fma_f64 v[169:170], -v[169:170], v[173:174], v[175:176]
	v_div_fmas_f64 v[169:170], v[169:170], v[171:172], v[173:174]
	v_div_fixup_f64 v[169:170], v[169:170], v[154:155], v[156:157]
	v_fma_f64 v[154:155], v[156:157], v[169:170], v[154:155]
	v_div_scale_f64 v[156:157], null, v[154:155], v[154:155], 1.0
	v_rcp_f64_e32 v[171:172], v[156:157]
	v_fma_f64 v[173:174], -v[156:157], v[171:172], 1.0
	v_fma_f64 v[171:172], v[171:172], v[173:174], v[171:172]
	v_fma_f64 v[173:174], -v[156:157], v[171:172], 1.0
	v_fma_f64 v[171:172], v[171:172], v[173:174], v[171:172]
	v_div_scale_f64 v[173:174], vcc_lo, 1.0, v[154:155], 1.0
	v_mul_f64 v[175:176], v[173:174], v[171:172]
	v_fma_f64 v[156:157], -v[156:157], v[175:176], v[173:174]
	v_div_fmas_f64 v[156:157], v[156:157], v[171:172], v[175:176]
	v_div_fixup_f64 v[154:155], v[156:157], v[154:155], 1.0
	v_mul_f64 v[156:157], v[169:170], -v[154:155]
.LBB74_576:
	s_or_b32 exec_lo, exec_lo, s3
.LBB74_577:
	s_or_b32 exec_lo, exec_lo, s0
	s_mov_b32 s0, exec_lo
	v_cmpx_ne_u32_e64 v168, v162
	s_xor_b32 s0, exec_lo, s0
	s_cbranch_execz .LBB74_583
; %bb.578:
	s_mov_b32 s3, exec_lo
	v_cmpx_eq_u32_e32 27, v168
	s_cbranch_execz .LBB74_582
; %bb.579:
	v_cmp_ne_u32_e32 vcc_lo, 27, v162
	s_xor_b32 s8, s16, -1
	s_and_b32 s9, s8, vcc_lo
	s_and_saveexec_b32 s8, s9
	s_cbranch_execz .LBB74_581
; %bb.580:
	v_ashrrev_i32_e32 v163, 31, v162
	v_lshlrev_b64 v[168:169], 2, v[162:163]
	v_add_co_u32 v168, vcc_lo, v160, v168
	v_add_co_ci_u32_e64 v169, null, v161, v169, vcc_lo
	s_clause 0x1
	global_load_dword v0, v[168:169], off
	global_load_dword v163, v[160:161], off offset:108
	s_waitcnt vmcnt(1)
	global_store_dword v[160:161], v0, off offset:108
	s_waitcnt vmcnt(0)
	global_store_dword v[168:169], v163, off
.LBB74_581:
	s_or_b32 exec_lo, exec_lo, s8
	v_mov_b32_e32 v168, v162
	v_mov_b32_e32 v0, v162
.LBB74_582:
	s_or_b32 exec_lo, exec_lo, s3
.LBB74_583:
	s_andn2_saveexec_b32 s0, s0
	s_cbranch_execz .LBB74_585
; %bb.584:
	v_mov_b32_e32 v168, 27
	ds_write2_b64 v1, v[34:35], v[36:37] offset0:56 offset1:57
	ds_write2_b64 v1, v[30:31], v[32:33] offset0:58 offset1:59
	;; [unrolled: 1-line block ×10, first 2 shown]
.LBB74_585:
	s_or_b32 exec_lo, exec_lo, s0
	s_mov_b32 s0, exec_lo
	s_waitcnt lgkmcnt(0)
	s_waitcnt_vscnt null, 0x0
	s_barrier
	buffer_gl0_inv
	v_cmpx_lt_i32_e32 27, v168
	s_cbranch_execz .LBB74_587
; %bb.586:
	v_mul_f64 v[162:163], v[154:155], v[40:41]
	v_mul_f64 v[40:41], v[156:157], v[40:41]
	v_fma_f64 v[162:163], v[156:157], v[38:39], v[162:163]
	v_fma_f64 v[38:39], v[154:155], v[38:39], -v[40:41]
	ds_read2_b64 v[154:157], v1 offset0:56 offset1:57
	s_waitcnt lgkmcnt(0)
	v_mul_f64 v[40:41], v[156:157], v[162:163]
	v_fma_f64 v[40:41], v[154:155], v[38:39], -v[40:41]
	v_mul_f64 v[154:155], v[154:155], v[162:163]
	v_add_f64 v[34:35], v[34:35], -v[40:41]
	v_fma_f64 v[154:155], v[156:157], v[38:39], v[154:155]
	v_add_f64 v[36:37], v[36:37], -v[154:155]
	ds_read2_b64 v[154:157], v1 offset0:58 offset1:59
	s_waitcnt lgkmcnt(0)
	v_mul_f64 v[40:41], v[156:157], v[162:163]
	v_fma_f64 v[40:41], v[154:155], v[38:39], -v[40:41]
	v_mul_f64 v[154:155], v[154:155], v[162:163]
	v_add_f64 v[30:31], v[30:31], -v[40:41]
	v_fma_f64 v[154:155], v[156:157], v[38:39], v[154:155]
	v_add_f64 v[32:33], v[32:33], -v[154:155]
	;; [unrolled: 8-line block ×9, first 2 shown]
	ds_read2_b64 v[154:157], v1 offset0:74 offset1:75
	s_waitcnt lgkmcnt(0)
	v_mul_f64 v[40:41], v[156:157], v[162:163]
	v_fma_f64 v[40:41], v[154:155], v[38:39], -v[40:41]
	v_mul_f64 v[154:155], v[154:155], v[162:163]
	v_add_f64 v[2:3], v[2:3], -v[40:41]
	v_fma_f64 v[154:155], v[156:157], v[38:39], v[154:155]
	v_mov_b32_e32 v40, v162
	v_mov_b32_e32 v41, v163
	v_add_f64 v[4:5], v[4:5], -v[154:155]
.LBB74_587:
	s_or_b32 exec_lo, exec_lo, s0
	v_lshl_add_u32 v154, v168, 4, v1
	s_barrier
	buffer_gl0_inv
	v_mov_b32_e32 v162, 28
	ds_write2_b64 v154, v[34:35], v[36:37] offset1:1
	s_waitcnt lgkmcnt(0)
	s_barrier
	buffer_gl0_inv
	ds_read2_b64 v[154:157], v1 offset0:56 offset1:57
	s_cmp_lt_i32 s1, 30
	s_cbranch_scc1 .LBB74_590
; %bb.588:
	v_add3_u32 v163, v164, 0, 0x1d0
	v_mov_b32_e32 v162, 28
	s_mov_b32 s3, 29
	s_inst_prefetch 0x1
	.p2align	6
.LBB74_589:                             ; =>This Inner Loop Header: Depth=1
	s_waitcnt lgkmcnt(0)
	v_cmp_gt_f64_e32 vcc_lo, 0, v[156:157]
	v_cmp_gt_f64_e64 s0, 0, v[154:155]
	ds_read2_b64 v[169:172], v163 offset1:1
	v_xor_b32_e32 v174, 0x80000000, v155
	v_xor_b32_e32 v176, 0x80000000, v157
	v_mov_b32_e32 v173, v154
	v_mov_b32_e32 v175, v156
	v_add_nc_u32_e32 v163, 16, v163
	s_waitcnt lgkmcnt(0)
	v_xor_b32_e32 v178, 0x80000000, v172
	v_cndmask_b32_e64 v174, v155, v174, s0
	v_cndmask_b32_e32 v176, v157, v176, vcc_lo
	v_cmp_gt_f64_e32 vcc_lo, 0, v[171:172]
	v_cmp_gt_f64_e64 s0, 0, v[169:170]
	v_mov_b32_e32 v177, v171
	v_add_f64 v[173:174], v[173:174], v[175:176]
	v_xor_b32_e32 v176, 0x80000000, v170
	v_mov_b32_e32 v175, v169
	v_cndmask_b32_e32 v178, v172, v178, vcc_lo
	v_cndmask_b32_e64 v176, v170, v176, s0
	v_add_f64 v[175:176], v[175:176], v[177:178]
	v_cmp_lt_f64_e32 vcc_lo, v[173:174], v[175:176]
	v_cndmask_b32_e32 v155, v155, v170, vcc_lo
	v_cndmask_b32_e32 v154, v154, v169, vcc_lo
	;; [unrolled: 1-line block ×4, first 2 shown]
	v_cndmask_b32_e64 v162, v162, s3, vcc_lo
	s_add_i32 s3, s3, 1
	s_cmp_lg_u32 s1, s3
	s_cbranch_scc1 .LBB74_589
.LBB74_590:
	s_inst_prefetch 0x2
	s_waitcnt lgkmcnt(0)
	v_cmp_eq_f64_e32 vcc_lo, 0, v[154:155]
	v_cmp_eq_f64_e64 s0, 0, v[156:157]
	s_and_b32 s0, vcc_lo, s0
	s_and_saveexec_b32 s3, s0
	s_xor_b32 s0, exec_lo, s3
; %bb.591:
	v_cmp_ne_u32_e32 vcc_lo, 0, v167
	v_cndmask_b32_e32 v167, 29, v167, vcc_lo
; %bb.592:
	s_andn2_saveexec_b32 s0, s0
	s_cbranch_execz .LBB74_598
; %bb.593:
	v_cmp_ngt_f64_e64 s3, |v[154:155]|, |v[156:157]|
	s_and_saveexec_b32 s8, s3
	s_xor_b32 s3, exec_lo, s8
	s_cbranch_execz .LBB74_595
; %bb.594:
	v_div_scale_f64 v[169:170], null, v[156:157], v[156:157], v[154:155]
	v_div_scale_f64 v[175:176], vcc_lo, v[154:155], v[156:157], v[154:155]
	v_rcp_f64_e32 v[171:172], v[169:170]
	v_fma_f64 v[173:174], -v[169:170], v[171:172], 1.0
	v_fma_f64 v[171:172], v[171:172], v[173:174], v[171:172]
	v_fma_f64 v[173:174], -v[169:170], v[171:172], 1.0
	v_fma_f64 v[171:172], v[171:172], v[173:174], v[171:172]
	v_mul_f64 v[173:174], v[175:176], v[171:172]
	v_fma_f64 v[169:170], -v[169:170], v[173:174], v[175:176]
	v_div_fmas_f64 v[169:170], v[169:170], v[171:172], v[173:174]
	v_div_fixup_f64 v[169:170], v[169:170], v[156:157], v[154:155]
	v_fma_f64 v[154:155], v[154:155], v[169:170], v[156:157]
	v_div_scale_f64 v[156:157], null, v[154:155], v[154:155], 1.0
	v_rcp_f64_e32 v[171:172], v[156:157]
	v_fma_f64 v[173:174], -v[156:157], v[171:172], 1.0
	v_fma_f64 v[171:172], v[171:172], v[173:174], v[171:172]
	v_fma_f64 v[173:174], -v[156:157], v[171:172], 1.0
	v_fma_f64 v[171:172], v[171:172], v[173:174], v[171:172]
	v_div_scale_f64 v[173:174], vcc_lo, 1.0, v[154:155], 1.0
	v_mul_f64 v[175:176], v[173:174], v[171:172]
	v_fma_f64 v[156:157], -v[156:157], v[175:176], v[173:174]
	v_div_fmas_f64 v[156:157], v[156:157], v[171:172], v[175:176]
	v_div_fixup_f64 v[156:157], v[156:157], v[154:155], 1.0
	v_mul_f64 v[154:155], v[169:170], v[156:157]
	v_xor_b32_e32 v157, 0x80000000, v157
.LBB74_595:
	s_andn2_saveexec_b32 s3, s3
	s_cbranch_execz .LBB74_597
; %bb.596:
	v_div_scale_f64 v[169:170], null, v[154:155], v[154:155], v[156:157]
	v_div_scale_f64 v[175:176], vcc_lo, v[156:157], v[154:155], v[156:157]
	v_rcp_f64_e32 v[171:172], v[169:170]
	v_fma_f64 v[173:174], -v[169:170], v[171:172], 1.0
	v_fma_f64 v[171:172], v[171:172], v[173:174], v[171:172]
	v_fma_f64 v[173:174], -v[169:170], v[171:172], 1.0
	v_fma_f64 v[171:172], v[171:172], v[173:174], v[171:172]
	v_mul_f64 v[173:174], v[175:176], v[171:172]
	v_fma_f64 v[169:170], -v[169:170], v[173:174], v[175:176]
	v_div_fmas_f64 v[169:170], v[169:170], v[171:172], v[173:174]
	v_div_fixup_f64 v[169:170], v[169:170], v[154:155], v[156:157]
	v_fma_f64 v[154:155], v[156:157], v[169:170], v[154:155]
	v_div_scale_f64 v[156:157], null, v[154:155], v[154:155], 1.0
	v_rcp_f64_e32 v[171:172], v[156:157]
	v_fma_f64 v[173:174], -v[156:157], v[171:172], 1.0
	v_fma_f64 v[171:172], v[171:172], v[173:174], v[171:172]
	v_fma_f64 v[173:174], -v[156:157], v[171:172], 1.0
	v_fma_f64 v[171:172], v[171:172], v[173:174], v[171:172]
	v_div_scale_f64 v[173:174], vcc_lo, 1.0, v[154:155], 1.0
	v_mul_f64 v[175:176], v[173:174], v[171:172]
	v_fma_f64 v[156:157], -v[156:157], v[175:176], v[173:174]
	v_div_fmas_f64 v[156:157], v[156:157], v[171:172], v[175:176]
	v_div_fixup_f64 v[154:155], v[156:157], v[154:155], 1.0
	v_mul_f64 v[156:157], v[169:170], -v[154:155]
.LBB74_597:
	s_or_b32 exec_lo, exec_lo, s3
.LBB74_598:
	s_or_b32 exec_lo, exec_lo, s0
	s_mov_b32 s0, exec_lo
	v_cmpx_ne_u32_e64 v168, v162
	s_xor_b32 s0, exec_lo, s0
	s_cbranch_execz .LBB74_604
; %bb.599:
	s_mov_b32 s3, exec_lo
	v_cmpx_eq_u32_e32 28, v168
	s_cbranch_execz .LBB74_603
; %bb.600:
	v_cmp_ne_u32_e32 vcc_lo, 28, v162
	s_xor_b32 s8, s16, -1
	s_and_b32 s9, s8, vcc_lo
	s_and_saveexec_b32 s8, s9
	s_cbranch_execz .LBB74_602
; %bb.601:
	v_ashrrev_i32_e32 v163, 31, v162
	v_lshlrev_b64 v[168:169], 2, v[162:163]
	v_add_co_u32 v168, vcc_lo, v160, v168
	v_add_co_ci_u32_e64 v169, null, v161, v169, vcc_lo
	s_clause 0x1
	global_load_dword v0, v[168:169], off
	global_load_dword v163, v[160:161], off offset:112
	s_waitcnt vmcnt(1)
	global_store_dword v[160:161], v0, off offset:112
	s_waitcnt vmcnt(0)
	global_store_dword v[168:169], v163, off
.LBB74_602:
	s_or_b32 exec_lo, exec_lo, s8
	v_mov_b32_e32 v168, v162
	v_mov_b32_e32 v0, v162
.LBB74_603:
	s_or_b32 exec_lo, exec_lo, s3
.LBB74_604:
	s_andn2_saveexec_b32 s0, s0
	s_cbranch_execz .LBB74_606
; %bb.605:
	v_mov_b32_e32 v168, 28
	ds_write2_b64 v1, v[30:31], v[32:33] offset0:58 offset1:59
	ds_write2_b64 v1, v[46:47], v[48:49] offset0:60 offset1:61
	;; [unrolled: 1-line block ×9, first 2 shown]
.LBB74_606:
	s_or_b32 exec_lo, exec_lo, s0
	s_mov_b32 s0, exec_lo
	s_waitcnt lgkmcnt(0)
	s_waitcnt_vscnt null, 0x0
	s_barrier
	buffer_gl0_inv
	v_cmpx_lt_i32_e32 28, v168
	s_cbranch_execz .LBB74_608
; %bb.607:
	v_mul_f64 v[162:163], v[154:155], v[36:37]
	v_mul_f64 v[36:37], v[156:157], v[36:37]
	v_fma_f64 v[162:163], v[156:157], v[34:35], v[162:163]
	v_fma_f64 v[34:35], v[154:155], v[34:35], -v[36:37]
	ds_read2_b64 v[154:157], v1 offset0:58 offset1:59
	s_waitcnt lgkmcnt(0)
	v_mul_f64 v[36:37], v[156:157], v[162:163]
	v_fma_f64 v[36:37], v[154:155], v[34:35], -v[36:37]
	v_mul_f64 v[154:155], v[154:155], v[162:163]
	v_add_f64 v[30:31], v[30:31], -v[36:37]
	v_fma_f64 v[154:155], v[156:157], v[34:35], v[154:155]
	v_add_f64 v[32:33], v[32:33], -v[154:155]
	ds_read2_b64 v[154:157], v1 offset0:60 offset1:61
	s_waitcnt lgkmcnt(0)
	v_mul_f64 v[36:37], v[156:157], v[162:163]
	v_fma_f64 v[36:37], v[154:155], v[34:35], -v[36:37]
	v_mul_f64 v[154:155], v[154:155], v[162:163]
	v_add_f64 v[46:47], v[46:47], -v[36:37]
	v_fma_f64 v[154:155], v[156:157], v[34:35], v[154:155]
	v_add_f64 v[48:49], v[48:49], -v[154:155]
	;; [unrolled: 8-line block ×8, first 2 shown]
	ds_read2_b64 v[154:157], v1 offset0:74 offset1:75
	s_waitcnt lgkmcnt(0)
	v_mul_f64 v[36:37], v[156:157], v[162:163]
	v_fma_f64 v[36:37], v[154:155], v[34:35], -v[36:37]
	v_mul_f64 v[154:155], v[154:155], v[162:163]
	v_add_f64 v[2:3], v[2:3], -v[36:37]
	v_fma_f64 v[154:155], v[156:157], v[34:35], v[154:155]
	v_mov_b32_e32 v36, v162
	v_mov_b32_e32 v37, v163
	v_add_f64 v[4:5], v[4:5], -v[154:155]
.LBB74_608:
	s_or_b32 exec_lo, exec_lo, s0
	v_lshl_add_u32 v154, v168, 4, v1
	s_barrier
	buffer_gl0_inv
	v_mov_b32_e32 v162, 29
	ds_write2_b64 v154, v[30:31], v[32:33] offset1:1
	s_waitcnt lgkmcnt(0)
	s_barrier
	buffer_gl0_inv
	ds_read2_b64 v[154:157], v1 offset0:58 offset1:59
	s_cmp_lt_i32 s1, 31
	s_cbranch_scc1 .LBB74_611
; %bb.609:
	v_add3_u32 v163, v164, 0, 0x1e0
	v_mov_b32_e32 v162, 29
	s_mov_b32 s3, 30
	s_inst_prefetch 0x1
	.p2align	6
.LBB74_610:                             ; =>This Inner Loop Header: Depth=1
	s_waitcnt lgkmcnt(0)
	v_cmp_gt_f64_e32 vcc_lo, 0, v[156:157]
	v_cmp_gt_f64_e64 s0, 0, v[154:155]
	ds_read2_b64 v[169:172], v163 offset1:1
	v_xor_b32_e32 v174, 0x80000000, v155
	v_xor_b32_e32 v176, 0x80000000, v157
	v_mov_b32_e32 v173, v154
	v_mov_b32_e32 v175, v156
	v_add_nc_u32_e32 v163, 16, v163
	s_waitcnt lgkmcnt(0)
	v_xor_b32_e32 v178, 0x80000000, v172
	v_cndmask_b32_e64 v174, v155, v174, s0
	v_cndmask_b32_e32 v176, v157, v176, vcc_lo
	v_cmp_gt_f64_e32 vcc_lo, 0, v[171:172]
	v_cmp_gt_f64_e64 s0, 0, v[169:170]
	v_mov_b32_e32 v177, v171
	v_add_f64 v[173:174], v[173:174], v[175:176]
	v_xor_b32_e32 v176, 0x80000000, v170
	v_mov_b32_e32 v175, v169
	v_cndmask_b32_e32 v178, v172, v178, vcc_lo
	v_cndmask_b32_e64 v176, v170, v176, s0
	v_add_f64 v[175:176], v[175:176], v[177:178]
	v_cmp_lt_f64_e32 vcc_lo, v[173:174], v[175:176]
	v_cndmask_b32_e32 v155, v155, v170, vcc_lo
	v_cndmask_b32_e32 v154, v154, v169, vcc_lo
	;; [unrolled: 1-line block ×4, first 2 shown]
	v_cndmask_b32_e64 v162, v162, s3, vcc_lo
	s_add_i32 s3, s3, 1
	s_cmp_lg_u32 s1, s3
	s_cbranch_scc1 .LBB74_610
.LBB74_611:
	s_inst_prefetch 0x2
	s_waitcnt lgkmcnt(0)
	v_cmp_eq_f64_e32 vcc_lo, 0, v[154:155]
	v_cmp_eq_f64_e64 s0, 0, v[156:157]
	s_and_b32 s0, vcc_lo, s0
	s_and_saveexec_b32 s3, s0
	s_xor_b32 s0, exec_lo, s3
; %bb.612:
	v_cmp_ne_u32_e32 vcc_lo, 0, v167
	v_cndmask_b32_e32 v167, 30, v167, vcc_lo
; %bb.613:
	s_andn2_saveexec_b32 s0, s0
	s_cbranch_execz .LBB74_619
; %bb.614:
	v_cmp_ngt_f64_e64 s3, |v[154:155]|, |v[156:157]|
	s_and_saveexec_b32 s8, s3
	s_xor_b32 s3, exec_lo, s8
	s_cbranch_execz .LBB74_616
; %bb.615:
	v_div_scale_f64 v[169:170], null, v[156:157], v[156:157], v[154:155]
	v_div_scale_f64 v[175:176], vcc_lo, v[154:155], v[156:157], v[154:155]
	v_rcp_f64_e32 v[171:172], v[169:170]
	v_fma_f64 v[173:174], -v[169:170], v[171:172], 1.0
	v_fma_f64 v[171:172], v[171:172], v[173:174], v[171:172]
	v_fma_f64 v[173:174], -v[169:170], v[171:172], 1.0
	v_fma_f64 v[171:172], v[171:172], v[173:174], v[171:172]
	v_mul_f64 v[173:174], v[175:176], v[171:172]
	v_fma_f64 v[169:170], -v[169:170], v[173:174], v[175:176]
	v_div_fmas_f64 v[169:170], v[169:170], v[171:172], v[173:174]
	v_div_fixup_f64 v[169:170], v[169:170], v[156:157], v[154:155]
	v_fma_f64 v[154:155], v[154:155], v[169:170], v[156:157]
	v_div_scale_f64 v[156:157], null, v[154:155], v[154:155], 1.0
	v_rcp_f64_e32 v[171:172], v[156:157]
	v_fma_f64 v[173:174], -v[156:157], v[171:172], 1.0
	v_fma_f64 v[171:172], v[171:172], v[173:174], v[171:172]
	v_fma_f64 v[173:174], -v[156:157], v[171:172], 1.0
	v_fma_f64 v[171:172], v[171:172], v[173:174], v[171:172]
	v_div_scale_f64 v[173:174], vcc_lo, 1.0, v[154:155], 1.0
	v_mul_f64 v[175:176], v[173:174], v[171:172]
	v_fma_f64 v[156:157], -v[156:157], v[175:176], v[173:174]
	v_div_fmas_f64 v[156:157], v[156:157], v[171:172], v[175:176]
	v_div_fixup_f64 v[156:157], v[156:157], v[154:155], 1.0
	v_mul_f64 v[154:155], v[169:170], v[156:157]
	v_xor_b32_e32 v157, 0x80000000, v157
.LBB74_616:
	s_andn2_saveexec_b32 s3, s3
	s_cbranch_execz .LBB74_618
; %bb.617:
	v_div_scale_f64 v[169:170], null, v[154:155], v[154:155], v[156:157]
	v_div_scale_f64 v[175:176], vcc_lo, v[156:157], v[154:155], v[156:157]
	v_rcp_f64_e32 v[171:172], v[169:170]
	v_fma_f64 v[173:174], -v[169:170], v[171:172], 1.0
	v_fma_f64 v[171:172], v[171:172], v[173:174], v[171:172]
	v_fma_f64 v[173:174], -v[169:170], v[171:172], 1.0
	v_fma_f64 v[171:172], v[171:172], v[173:174], v[171:172]
	v_mul_f64 v[173:174], v[175:176], v[171:172]
	v_fma_f64 v[169:170], -v[169:170], v[173:174], v[175:176]
	v_div_fmas_f64 v[169:170], v[169:170], v[171:172], v[173:174]
	v_div_fixup_f64 v[169:170], v[169:170], v[154:155], v[156:157]
	v_fma_f64 v[154:155], v[156:157], v[169:170], v[154:155]
	v_div_scale_f64 v[156:157], null, v[154:155], v[154:155], 1.0
	v_rcp_f64_e32 v[171:172], v[156:157]
	v_fma_f64 v[173:174], -v[156:157], v[171:172], 1.0
	v_fma_f64 v[171:172], v[171:172], v[173:174], v[171:172]
	v_fma_f64 v[173:174], -v[156:157], v[171:172], 1.0
	v_fma_f64 v[171:172], v[171:172], v[173:174], v[171:172]
	v_div_scale_f64 v[173:174], vcc_lo, 1.0, v[154:155], 1.0
	v_mul_f64 v[175:176], v[173:174], v[171:172]
	v_fma_f64 v[156:157], -v[156:157], v[175:176], v[173:174]
	v_div_fmas_f64 v[156:157], v[156:157], v[171:172], v[175:176]
	v_div_fixup_f64 v[154:155], v[156:157], v[154:155], 1.0
	v_mul_f64 v[156:157], v[169:170], -v[154:155]
.LBB74_618:
	s_or_b32 exec_lo, exec_lo, s3
.LBB74_619:
	s_or_b32 exec_lo, exec_lo, s0
	s_mov_b32 s0, exec_lo
	v_cmpx_ne_u32_e64 v168, v162
	s_xor_b32 s0, exec_lo, s0
	s_cbranch_execz .LBB74_625
; %bb.620:
	s_mov_b32 s3, exec_lo
	v_cmpx_eq_u32_e32 29, v168
	s_cbranch_execz .LBB74_624
; %bb.621:
	v_cmp_ne_u32_e32 vcc_lo, 29, v162
	s_xor_b32 s8, s16, -1
	s_and_b32 s9, s8, vcc_lo
	s_and_saveexec_b32 s8, s9
	s_cbranch_execz .LBB74_623
; %bb.622:
	v_ashrrev_i32_e32 v163, 31, v162
	v_lshlrev_b64 v[168:169], 2, v[162:163]
	v_add_co_u32 v168, vcc_lo, v160, v168
	v_add_co_ci_u32_e64 v169, null, v161, v169, vcc_lo
	s_clause 0x1
	global_load_dword v0, v[168:169], off
	global_load_dword v163, v[160:161], off offset:116
	s_waitcnt vmcnt(1)
	global_store_dword v[160:161], v0, off offset:116
	s_waitcnt vmcnt(0)
	global_store_dword v[168:169], v163, off
.LBB74_623:
	s_or_b32 exec_lo, exec_lo, s8
	v_mov_b32_e32 v168, v162
	v_mov_b32_e32 v0, v162
.LBB74_624:
	s_or_b32 exec_lo, exec_lo, s3
.LBB74_625:
	s_andn2_saveexec_b32 s0, s0
	s_cbranch_execz .LBB74_627
; %bb.626:
	v_mov_b32_e32 v168, 29
	ds_write2_b64 v1, v[46:47], v[48:49] offset0:60 offset1:61
	ds_write2_b64 v1, v[26:27], v[28:29] offset0:62 offset1:63
	;; [unrolled: 1-line block ×8, first 2 shown]
.LBB74_627:
	s_or_b32 exec_lo, exec_lo, s0
	s_mov_b32 s0, exec_lo
	s_waitcnt lgkmcnt(0)
	s_waitcnt_vscnt null, 0x0
	s_barrier
	buffer_gl0_inv
	v_cmpx_lt_i32_e32 29, v168
	s_cbranch_execz .LBB74_629
; %bb.628:
	v_mul_f64 v[162:163], v[154:155], v[32:33]
	v_mul_f64 v[32:33], v[156:157], v[32:33]
	v_fma_f64 v[162:163], v[156:157], v[30:31], v[162:163]
	v_fma_f64 v[30:31], v[154:155], v[30:31], -v[32:33]
	ds_read2_b64 v[154:157], v1 offset0:60 offset1:61
	s_waitcnt lgkmcnt(0)
	v_mul_f64 v[32:33], v[156:157], v[162:163]
	v_fma_f64 v[32:33], v[154:155], v[30:31], -v[32:33]
	v_mul_f64 v[154:155], v[154:155], v[162:163]
	v_add_f64 v[46:47], v[46:47], -v[32:33]
	v_fma_f64 v[154:155], v[156:157], v[30:31], v[154:155]
	v_add_f64 v[48:49], v[48:49], -v[154:155]
	ds_read2_b64 v[154:157], v1 offset0:62 offset1:63
	s_waitcnt lgkmcnt(0)
	v_mul_f64 v[32:33], v[156:157], v[162:163]
	v_fma_f64 v[32:33], v[154:155], v[30:31], -v[32:33]
	v_mul_f64 v[154:155], v[154:155], v[162:163]
	v_add_f64 v[26:27], v[26:27], -v[32:33]
	v_fma_f64 v[154:155], v[156:157], v[30:31], v[154:155]
	v_add_f64 v[28:29], v[28:29], -v[154:155]
	ds_read2_b64 v[154:157], v1 offset0:64 offset1:65
	s_waitcnt lgkmcnt(0)
	v_mul_f64 v[32:33], v[156:157], v[162:163]
	v_fma_f64 v[32:33], v[154:155], v[30:31], -v[32:33]
	v_mul_f64 v[154:155], v[154:155], v[162:163]
	v_add_f64 v[22:23], v[22:23], -v[32:33]
	v_fma_f64 v[154:155], v[156:157], v[30:31], v[154:155]
	v_add_f64 v[24:25], v[24:25], -v[154:155]
	ds_read2_b64 v[154:157], v1 offset0:66 offset1:67
	s_waitcnt lgkmcnt(0)
	v_mul_f64 v[32:33], v[156:157], v[162:163]
	v_fma_f64 v[32:33], v[154:155], v[30:31], -v[32:33]
	v_mul_f64 v[154:155], v[154:155], v[162:163]
	v_add_f64 v[18:19], v[18:19], -v[32:33]
	v_fma_f64 v[154:155], v[156:157], v[30:31], v[154:155]
	v_add_f64 v[20:21], v[20:21], -v[154:155]
	ds_read2_b64 v[154:157], v1 offset0:68 offset1:69
	s_waitcnt lgkmcnt(0)
	v_mul_f64 v[32:33], v[156:157], v[162:163]
	v_fma_f64 v[32:33], v[154:155], v[30:31], -v[32:33]
	v_mul_f64 v[154:155], v[154:155], v[162:163]
	v_add_f64 v[14:15], v[14:15], -v[32:33]
	v_fma_f64 v[154:155], v[156:157], v[30:31], v[154:155]
	v_add_f64 v[16:17], v[16:17], -v[154:155]
	ds_read2_b64 v[154:157], v1 offset0:70 offset1:71
	s_waitcnt lgkmcnt(0)
	v_mul_f64 v[32:33], v[156:157], v[162:163]
	v_fma_f64 v[32:33], v[154:155], v[30:31], -v[32:33]
	v_mul_f64 v[154:155], v[154:155], v[162:163]
	v_add_f64 v[10:11], v[10:11], -v[32:33]
	v_fma_f64 v[154:155], v[156:157], v[30:31], v[154:155]
	v_add_f64 v[12:13], v[12:13], -v[154:155]
	ds_read2_b64 v[154:157], v1 offset0:72 offset1:73
	s_waitcnt lgkmcnt(0)
	v_mul_f64 v[32:33], v[156:157], v[162:163]
	v_fma_f64 v[32:33], v[154:155], v[30:31], -v[32:33]
	v_mul_f64 v[154:155], v[154:155], v[162:163]
	v_add_f64 v[6:7], v[6:7], -v[32:33]
	v_fma_f64 v[154:155], v[156:157], v[30:31], v[154:155]
	v_add_f64 v[8:9], v[8:9], -v[154:155]
	ds_read2_b64 v[154:157], v1 offset0:74 offset1:75
	s_waitcnt lgkmcnt(0)
	v_mul_f64 v[32:33], v[156:157], v[162:163]
	v_fma_f64 v[32:33], v[154:155], v[30:31], -v[32:33]
	v_mul_f64 v[154:155], v[154:155], v[162:163]
	v_add_f64 v[2:3], v[2:3], -v[32:33]
	v_fma_f64 v[154:155], v[156:157], v[30:31], v[154:155]
	v_mov_b32_e32 v32, v162
	v_mov_b32_e32 v33, v163
	v_add_f64 v[4:5], v[4:5], -v[154:155]
.LBB74_629:
	s_or_b32 exec_lo, exec_lo, s0
	v_lshl_add_u32 v154, v168, 4, v1
	s_barrier
	buffer_gl0_inv
	v_mov_b32_e32 v162, 30
	ds_write2_b64 v154, v[46:47], v[48:49] offset1:1
	s_waitcnt lgkmcnt(0)
	s_barrier
	buffer_gl0_inv
	ds_read2_b64 v[154:157], v1 offset0:60 offset1:61
	s_cmp_lt_i32 s1, 32
	s_cbranch_scc1 .LBB74_632
; %bb.630:
	v_add3_u32 v163, v164, 0, 0x1f0
	v_mov_b32_e32 v162, 30
	s_mov_b32 s3, 31
	s_inst_prefetch 0x1
	.p2align	6
.LBB74_631:                             ; =>This Inner Loop Header: Depth=1
	s_waitcnt lgkmcnt(0)
	v_cmp_gt_f64_e32 vcc_lo, 0, v[156:157]
	v_cmp_gt_f64_e64 s0, 0, v[154:155]
	ds_read2_b64 v[169:172], v163 offset1:1
	v_xor_b32_e32 v174, 0x80000000, v155
	v_xor_b32_e32 v176, 0x80000000, v157
	v_mov_b32_e32 v173, v154
	v_mov_b32_e32 v175, v156
	v_add_nc_u32_e32 v163, 16, v163
	s_waitcnt lgkmcnt(0)
	v_xor_b32_e32 v178, 0x80000000, v172
	v_cndmask_b32_e64 v174, v155, v174, s0
	v_cndmask_b32_e32 v176, v157, v176, vcc_lo
	v_cmp_gt_f64_e32 vcc_lo, 0, v[171:172]
	v_cmp_gt_f64_e64 s0, 0, v[169:170]
	v_mov_b32_e32 v177, v171
	v_add_f64 v[173:174], v[173:174], v[175:176]
	v_xor_b32_e32 v176, 0x80000000, v170
	v_mov_b32_e32 v175, v169
	v_cndmask_b32_e32 v178, v172, v178, vcc_lo
	v_cndmask_b32_e64 v176, v170, v176, s0
	v_add_f64 v[175:176], v[175:176], v[177:178]
	v_cmp_lt_f64_e32 vcc_lo, v[173:174], v[175:176]
	v_cndmask_b32_e32 v155, v155, v170, vcc_lo
	v_cndmask_b32_e32 v154, v154, v169, vcc_lo
	;; [unrolled: 1-line block ×4, first 2 shown]
	v_cndmask_b32_e64 v162, v162, s3, vcc_lo
	s_add_i32 s3, s3, 1
	s_cmp_lg_u32 s1, s3
	s_cbranch_scc1 .LBB74_631
.LBB74_632:
	s_inst_prefetch 0x2
	s_waitcnt lgkmcnt(0)
	v_cmp_eq_f64_e32 vcc_lo, 0, v[154:155]
	v_cmp_eq_f64_e64 s0, 0, v[156:157]
	s_and_b32 s0, vcc_lo, s0
	s_and_saveexec_b32 s3, s0
	s_xor_b32 s0, exec_lo, s3
; %bb.633:
	v_cmp_ne_u32_e32 vcc_lo, 0, v167
	v_cndmask_b32_e32 v167, 31, v167, vcc_lo
; %bb.634:
	s_andn2_saveexec_b32 s0, s0
	s_cbranch_execz .LBB74_640
; %bb.635:
	v_cmp_ngt_f64_e64 s3, |v[154:155]|, |v[156:157]|
	s_and_saveexec_b32 s8, s3
	s_xor_b32 s3, exec_lo, s8
	s_cbranch_execz .LBB74_637
; %bb.636:
	v_div_scale_f64 v[169:170], null, v[156:157], v[156:157], v[154:155]
	v_div_scale_f64 v[175:176], vcc_lo, v[154:155], v[156:157], v[154:155]
	v_rcp_f64_e32 v[171:172], v[169:170]
	v_fma_f64 v[173:174], -v[169:170], v[171:172], 1.0
	v_fma_f64 v[171:172], v[171:172], v[173:174], v[171:172]
	v_fma_f64 v[173:174], -v[169:170], v[171:172], 1.0
	v_fma_f64 v[171:172], v[171:172], v[173:174], v[171:172]
	v_mul_f64 v[173:174], v[175:176], v[171:172]
	v_fma_f64 v[169:170], -v[169:170], v[173:174], v[175:176]
	v_div_fmas_f64 v[169:170], v[169:170], v[171:172], v[173:174]
	v_div_fixup_f64 v[169:170], v[169:170], v[156:157], v[154:155]
	v_fma_f64 v[154:155], v[154:155], v[169:170], v[156:157]
	v_div_scale_f64 v[156:157], null, v[154:155], v[154:155], 1.0
	v_rcp_f64_e32 v[171:172], v[156:157]
	v_fma_f64 v[173:174], -v[156:157], v[171:172], 1.0
	v_fma_f64 v[171:172], v[171:172], v[173:174], v[171:172]
	v_fma_f64 v[173:174], -v[156:157], v[171:172], 1.0
	v_fma_f64 v[171:172], v[171:172], v[173:174], v[171:172]
	v_div_scale_f64 v[173:174], vcc_lo, 1.0, v[154:155], 1.0
	v_mul_f64 v[175:176], v[173:174], v[171:172]
	v_fma_f64 v[156:157], -v[156:157], v[175:176], v[173:174]
	v_div_fmas_f64 v[156:157], v[156:157], v[171:172], v[175:176]
	v_div_fixup_f64 v[156:157], v[156:157], v[154:155], 1.0
	v_mul_f64 v[154:155], v[169:170], v[156:157]
	v_xor_b32_e32 v157, 0x80000000, v157
.LBB74_637:
	s_andn2_saveexec_b32 s3, s3
	s_cbranch_execz .LBB74_639
; %bb.638:
	v_div_scale_f64 v[169:170], null, v[154:155], v[154:155], v[156:157]
	v_div_scale_f64 v[175:176], vcc_lo, v[156:157], v[154:155], v[156:157]
	v_rcp_f64_e32 v[171:172], v[169:170]
	v_fma_f64 v[173:174], -v[169:170], v[171:172], 1.0
	v_fma_f64 v[171:172], v[171:172], v[173:174], v[171:172]
	v_fma_f64 v[173:174], -v[169:170], v[171:172], 1.0
	v_fma_f64 v[171:172], v[171:172], v[173:174], v[171:172]
	v_mul_f64 v[173:174], v[175:176], v[171:172]
	v_fma_f64 v[169:170], -v[169:170], v[173:174], v[175:176]
	v_div_fmas_f64 v[169:170], v[169:170], v[171:172], v[173:174]
	v_div_fixup_f64 v[169:170], v[169:170], v[154:155], v[156:157]
	v_fma_f64 v[154:155], v[156:157], v[169:170], v[154:155]
	v_div_scale_f64 v[156:157], null, v[154:155], v[154:155], 1.0
	v_rcp_f64_e32 v[171:172], v[156:157]
	v_fma_f64 v[173:174], -v[156:157], v[171:172], 1.0
	v_fma_f64 v[171:172], v[171:172], v[173:174], v[171:172]
	v_fma_f64 v[173:174], -v[156:157], v[171:172], 1.0
	v_fma_f64 v[171:172], v[171:172], v[173:174], v[171:172]
	v_div_scale_f64 v[173:174], vcc_lo, 1.0, v[154:155], 1.0
	v_mul_f64 v[175:176], v[173:174], v[171:172]
	v_fma_f64 v[156:157], -v[156:157], v[175:176], v[173:174]
	v_div_fmas_f64 v[156:157], v[156:157], v[171:172], v[175:176]
	v_div_fixup_f64 v[154:155], v[156:157], v[154:155], 1.0
	v_mul_f64 v[156:157], v[169:170], -v[154:155]
.LBB74_639:
	s_or_b32 exec_lo, exec_lo, s3
.LBB74_640:
	s_or_b32 exec_lo, exec_lo, s0
	s_mov_b32 s0, exec_lo
	v_cmpx_ne_u32_e64 v168, v162
	s_xor_b32 s0, exec_lo, s0
	s_cbranch_execz .LBB74_646
; %bb.641:
	s_mov_b32 s3, exec_lo
	v_cmpx_eq_u32_e32 30, v168
	s_cbranch_execz .LBB74_645
; %bb.642:
	v_cmp_ne_u32_e32 vcc_lo, 30, v162
	s_xor_b32 s8, s16, -1
	s_and_b32 s9, s8, vcc_lo
	s_and_saveexec_b32 s8, s9
	s_cbranch_execz .LBB74_644
; %bb.643:
	v_ashrrev_i32_e32 v163, 31, v162
	v_lshlrev_b64 v[168:169], 2, v[162:163]
	v_add_co_u32 v168, vcc_lo, v160, v168
	v_add_co_ci_u32_e64 v169, null, v161, v169, vcc_lo
	s_clause 0x1
	global_load_dword v0, v[168:169], off
	global_load_dword v163, v[160:161], off offset:120
	s_waitcnt vmcnt(1)
	global_store_dword v[160:161], v0, off offset:120
	s_waitcnt vmcnt(0)
	global_store_dword v[168:169], v163, off
.LBB74_644:
	s_or_b32 exec_lo, exec_lo, s8
	v_mov_b32_e32 v168, v162
	v_mov_b32_e32 v0, v162
.LBB74_645:
	s_or_b32 exec_lo, exec_lo, s3
.LBB74_646:
	s_andn2_saveexec_b32 s0, s0
	s_cbranch_execz .LBB74_648
; %bb.647:
	v_mov_b32_e32 v168, 30
	ds_write2_b64 v1, v[26:27], v[28:29] offset0:62 offset1:63
	ds_write2_b64 v1, v[22:23], v[24:25] offset0:64 offset1:65
	;; [unrolled: 1-line block ×7, first 2 shown]
.LBB74_648:
	s_or_b32 exec_lo, exec_lo, s0
	s_mov_b32 s0, exec_lo
	s_waitcnt lgkmcnt(0)
	s_waitcnt_vscnt null, 0x0
	s_barrier
	buffer_gl0_inv
	v_cmpx_lt_i32_e32 30, v168
	s_cbranch_execz .LBB74_650
; %bb.649:
	v_mul_f64 v[162:163], v[154:155], v[48:49]
	v_mul_f64 v[48:49], v[156:157], v[48:49]
	v_fma_f64 v[162:163], v[156:157], v[46:47], v[162:163]
	v_fma_f64 v[46:47], v[154:155], v[46:47], -v[48:49]
	ds_read2_b64 v[154:157], v1 offset0:62 offset1:63
	s_waitcnt lgkmcnt(0)
	v_mul_f64 v[48:49], v[156:157], v[162:163]
	v_fma_f64 v[48:49], v[154:155], v[46:47], -v[48:49]
	v_mul_f64 v[154:155], v[154:155], v[162:163]
	v_add_f64 v[26:27], v[26:27], -v[48:49]
	v_fma_f64 v[154:155], v[156:157], v[46:47], v[154:155]
	v_add_f64 v[28:29], v[28:29], -v[154:155]
	ds_read2_b64 v[154:157], v1 offset0:64 offset1:65
	s_waitcnt lgkmcnt(0)
	v_mul_f64 v[48:49], v[156:157], v[162:163]
	v_fma_f64 v[48:49], v[154:155], v[46:47], -v[48:49]
	v_mul_f64 v[154:155], v[154:155], v[162:163]
	v_add_f64 v[22:23], v[22:23], -v[48:49]
	v_fma_f64 v[154:155], v[156:157], v[46:47], v[154:155]
	v_add_f64 v[24:25], v[24:25], -v[154:155]
	;; [unrolled: 8-line block ×6, first 2 shown]
	ds_read2_b64 v[154:157], v1 offset0:74 offset1:75
	s_waitcnt lgkmcnt(0)
	v_mul_f64 v[48:49], v[156:157], v[162:163]
	v_fma_f64 v[48:49], v[154:155], v[46:47], -v[48:49]
	v_mul_f64 v[154:155], v[154:155], v[162:163]
	v_add_f64 v[2:3], v[2:3], -v[48:49]
	v_fma_f64 v[154:155], v[156:157], v[46:47], v[154:155]
	v_mov_b32_e32 v48, v162
	v_mov_b32_e32 v49, v163
	v_add_f64 v[4:5], v[4:5], -v[154:155]
.LBB74_650:
	s_or_b32 exec_lo, exec_lo, s0
	v_lshl_add_u32 v154, v168, 4, v1
	s_barrier
	buffer_gl0_inv
	v_mov_b32_e32 v162, 31
	ds_write2_b64 v154, v[26:27], v[28:29] offset1:1
	s_waitcnt lgkmcnt(0)
	s_barrier
	buffer_gl0_inv
	ds_read2_b64 v[154:157], v1 offset0:62 offset1:63
	s_cmp_lt_i32 s1, 33
	s_cbranch_scc1 .LBB74_653
; %bb.651:
	v_add3_u32 v163, v164, 0, 0x200
	v_mov_b32_e32 v162, 31
	s_mov_b32 s3, 32
	s_inst_prefetch 0x1
	.p2align	6
.LBB74_652:                             ; =>This Inner Loop Header: Depth=1
	s_waitcnt lgkmcnt(0)
	v_cmp_gt_f64_e32 vcc_lo, 0, v[156:157]
	v_cmp_gt_f64_e64 s0, 0, v[154:155]
	ds_read2_b64 v[169:172], v163 offset1:1
	v_xor_b32_e32 v174, 0x80000000, v155
	v_xor_b32_e32 v176, 0x80000000, v157
	v_mov_b32_e32 v173, v154
	v_mov_b32_e32 v175, v156
	v_add_nc_u32_e32 v163, 16, v163
	s_waitcnt lgkmcnt(0)
	v_xor_b32_e32 v178, 0x80000000, v172
	v_cndmask_b32_e64 v174, v155, v174, s0
	v_cndmask_b32_e32 v176, v157, v176, vcc_lo
	v_cmp_gt_f64_e32 vcc_lo, 0, v[171:172]
	v_cmp_gt_f64_e64 s0, 0, v[169:170]
	v_mov_b32_e32 v177, v171
	v_add_f64 v[173:174], v[173:174], v[175:176]
	v_xor_b32_e32 v176, 0x80000000, v170
	v_mov_b32_e32 v175, v169
	v_cndmask_b32_e32 v178, v172, v178, vcc_lo
	v_cndmask_b32_e64 v176, v170, v176, s0
	v_add_f64 v[175:176], v[175:176], v[177:178]
	v_cmp_lt_f64_e32 vcc_lo, v[173:174], v[175:176]
	v_cndmask_b32_e32 v155, v155, v170, vcc_lo
	v_cndmask_b32_e32 v154, v154, v169, vcc_lo
	;; [unrolled: 1-line block ×4, first 2 shown]
	v_cndmask_b32_e64 v162, v162, s3, vcc_lo
	s_add_i32 s3, s3, 1
	s_cmp_lg_u32 s1, s3
	s_cbranch_scc1 .LBB74_652
.LBB74_653:
	s_inst_prefetch 0x2
	s_waitcnt lgkmcnt(0)
	v_cmp_eq_f64_e32 vcc_lo, 0, v[154:155]
	v_cmp_eq_f64_e64 s0, 0, v[156:157]
	s_and_b32 s0, vcc_lo, s0
	s_and_saveexec_b32 s3, s0
	s_xor_b32 s0, exec_lo, s3
; %bb.654:
	v_cmp_ne_u32_e32 vcc_lo, 0, v167
	v_cndmask_b32_e32 v167, 32, v167, vcc_lo
; %bb.655:
	s_andn2_saveexec_b32 s0, s0
	s_cbranch_execz .LBB74_661
; %bb.656:
	v_cmp_ngt_f64_e64 s3, |v[154:155]|, |v[156:157]|
	s_and_saveexec_b32 s8, s3
	s_xor_b32 s3, exec_lo, s8
	s_cbranch_execz .LBB74_658
; %bb.657:
	v_div_scale_f64 v[169:170], null, v[156:157], v[156:157], v[154:155]
	v_div_scale_f64 v[175:176], vcc_lo, v[154:155], v[156:157], v[154:155]
	v_rcp_f64_e32 v[171:172], v[169:170]
	v_fma_f64 v[173:174], -v[169:170], v[171:172], 1.0
	v_fma_f64 v[171:172], v[171:172], v[173:174], v[171:172]
	v_fma_f64 v[173:174], -v[169:170], v[171:172], 1.0
	v_fma_f64 v[171:172], v[171:172], v[173:174], v[171:172]
	v_mul_f64 v[173:174], v[175:176], v[171:172]
	v_fma_f64 v[169:170], -v[169:170], v[173:174], v[175:176]
	v_div_fmas_f64 v[169:170], v[169:170], v[171:172], v[173:174]
	v_div_fixup_f64 v[169:170], v[169:170], v[156:157], v[154:155]
	v_fma_f64 v[154:155], v[154:155], v[169:170], v[156:157]
	v_div_scale_f64 v[156:157], null, v[154:155], v[154:155], 1.0
	v_rcp_f64_e32 v[171:172], v[156:157]
	v_fma_f64 v[173:174], -v[156:157], v[171:172], 1.0
	v_fma_f64 v[171:172], v[171:172], v[173:174], v[171:172]
	v_fma_f64 v[173:174], -v[156:157], v[171:172], 1.0
	v_fma_f64 v[171:172], v[171:172], v[173:174], v[171:172]
	v_div_scale_f64 v[173:174], vcc_lo, 1.0, v[154:155], 1.0
	v_mul_f64 v[175:176], v[173:174], v[171:172]
	v_fma_f64 v[156:157], -v[156:157], v[175:176], v[173:174]
	v_div_fmas_f64 v[156:157], v[156:157], v[171:172], v[175:176]
	v_div_fixup_f64 v[156:157], v[156:157], v[154:155], 1.0
	v_mul_f64 v[154:155], v[169:170], v[156:157]
	v_xor_b32_e32 v157, 0x80000000, v157
.LBB74_658:
	s_andn2_saveexec_b32 s3, s3
	s_cbranch_execz .LBB74_660
; %bb.659:
	v_div_scale_f64 v[169:170], null, v[154:155], v[154:155], v[156:157]
	v_div_scale_f64 v[175:176], vcc_lo, v[156:157], v[154:155], v[156:157]
	v_rcp_f64_e32 v[171:172], v[169:170]
	v_fma_f64 v[173:174], -v[169:170], v[171:172], 1.0
	v_fma_f64 v[171:172], v[171:172], v[173:174], v[171:172]
	v_fma_f64 v[173:174], -v[169:170], v[171:172], 1.0
	v_fma_f64 v[171:172], v[171:172], v[173:174], v[171:172]
	v_mul_f64 v[173:174], v[175:176], v[171:172]
	v_fma_f64 v[169:170], -v[169:170], v[173:174], v[175:176]
	v_div_fmas_f64 v[169:170], v[169:170], v[171:172], v[173:174]
	v_div_fixup_f64 v[169:170], v[169:170], v[154:155], v[156:157]
	v_fma_f64 v[154:155], v[156:157], v[169:170], v[154:155]
	v_div_scale_f64 v[156:157], null, v[154:155], v[154:155], 1.0
	v_rcp_f64_e32 v[171:172], v[156:157]
	v_fma_f64 v[173:174], -v[156:157], v[171:172], 1.0
	v_fma_f64 v[171:172], v[171:172], v[173:174], v[171:172]
	v_fma_f64 v[173:174], -v[156:157], v[171:172], 1.0
	v_fma_f64 v[171:172], v[171:172], v[173:174], v[171:172]
	v_div_scale_f64 v[173:174], vcc_lo, 1.0, v[154:155], 1.0
	v_mul_f64 v[175:176], v[173:174], v[171:172]
	v_fma_f64 v[156:157], -v[156:157], v[175:176], v[173:174]
	v_div_fmas_f64 v[156:157], v[156:157], v[171:172], v[175:176]
	v_div_fixup_f64 v[154:155], v[156:157], v[154:155], 1.0
	v_mul_f64 v[156:157], v[169:170], -v[154:155]
.LBB74_660:
	s_or_b32 exec_lo, exec_lo, s3
.LBB74_661:
	s_or_b32 exec_lo, exec_lo, s0
	s_mov_b32 s0, exec_lo
	v_cmpx_ne_u32_e64 v168, v162
	s_xor_b32 s0, exec_lo, s0
	s_cbranch_execz .LBB74_667
; %bb.662:
	s_mov_b32 s3, exec_lo
	v_cmpx_eq_u32_e32 31, v168
	s_cbranch_execz .LBB74_666
; %bb.663:
	v_cmp_ne_u32_e32 vcc_lo, 31, v162
	s_xor_b32 s8, s16, -1
	s_and_b32 s9, s8, vcc_lo
	s_and_saveexec_b32 s8, s9
	s_cbranch_execz .LBB74_665
; %bb.664:
	v_ashrrev_i32_e32 v163, 31, v162
	v_lshlrev_b64 v[168:169], 2, v[162:163]
	v_add_co_u32 v168, vcc_lo, v160, v168
	v_add_co_ci_u32_e64 v169, null, v161, v169, vcc_lo
	s_clause 0x1
	global_load_dword v0, v[168:169], off
	global_load_dword v163, v[160:161], off offset:124
	s_waitcnt vmcnt(1)
	global_store_dword v[160:161], v0, off offset:124
	s_waitcnt vmcnt(0)
	global_store_dword v[168:169], v163, off
.LBB74_665:
	s_or_b32 exec_lo, exec_lo, s8
	v_mov_b32_e32 v168, v162
	v_mov_b32_e32 v0, v162
.LBB74_666:
	s_or_b32 exec_lo, exec_lo, s3
.LBB74_667:
	s_andn2_saveexec_b32 s0, s0
	s_cbranch_execz .LBB74_669
; %bb.668:
	v_mov_b32_e32 v168, 31
	ds_write2_b64 v1, v[22:23], v[24:25] offset0:64 offset1:65
	ds_write2_b64 v1, v[18:19], v[20:21] offset0:66 offset1:67
	;; [unrolled: 1-line block ×6, first 2 shown]
.LBB74_669:
	s_or_b32 exec_lo, exec_lo, s0
	s_mov_b32 s0, exec_lo
	s_waitcnt lgkmcnt(0)
	s_waitcnt_vscnt null, 0x0
	s_barrier
	buffer_gl0_inv
	v_cmpx_lt_i32_e32 31, v168
	s_cbranch_execz .LBB74_671
; %bb.670:
	v_mul_f64 v[162:163], v[154:155], v[28:29]
	v_mul_f64 v[28:29], v[156:157], v[28:29]
	v_fma_f64 v[162:163], v[156:157], v[26:27], v[162:163]
	v_fma_f64 v[26:27], v[154:155], v[26:27], -v[28:29]
	ds_read2_b64 v[154:157], v1 offset0:64 offset1:65
	s_waitcnt lgkmcnt(0)
	v_mul_f64 v[28:29], v[156:157], v[162:163]
	v_fma_f64 v[28:29], v[154:155], v[26:27], -v[28:29]
	v_mul_f64 v[154:155], v[154:155], v[162:163]
	v_add_f64 v[22:23], v[22:23], -v[28:29]
	v_fma_f64 v[154:155], v[156:157], v[26:27], v[154:155]
	v_add_f64 v[24:25], v[24:25], -v[154:155]
	ds_read2_b64 v[154:157], v1 offset0:66 offset1:67
	s_waitcnt lgkmcnt(0)
	v_mul_f64 v[28:29], v[156:157], v[162:163]
	v_fma_f64 v[28:29], v[154:155], v[26:27], -v[28:29]
	v_mul_f64 v[154:155], v[154:155], v[162:163]
	v_add_f64 v[18:19], v[18:19], -v[28:29]
	v_fma_f64 v[154:155], v[156:157], v[26:27], v[154:155]
	v_add_f64 v[20:21], v[20:21], -v[154:155]
	ds_read2_b64 v[154:157], v1 offset0:68 offset1:69
	s_waitcnt lgkmcnt(0)
	v_mul_f64 v[28:29], v[156:157], v[162:163]
	v_fma_f64 v[28:29], v[154:155], v[26:27], -v[28:29]
	v_mul_f64 v[154:155], v[154:155], v[162:163]
	v_add_f64 v[14:15], v[14:15], -v[28:29]
	v_fma_f64 v[154:155], v[156:157], v[26:27], v[154:155]
	v_add_f64 v[16:17], v[16:17], -v[154:155]
	ds_read2_b64 v[154:157], v1 offset0:70 offset1:71
	s_waitcnt lgkmcnt(0)
	v_mul_f64 v[28:29], v[156:157], v[162:163]
	v_fma_f64 v[28:29], v[154:155], v[26:27], -v[28:29]
	v_mul_f64 v[154:155], v[154:155], v[162:163]
	v_add_f64 v[10:11], v[10:11], -v[28:29]
	v_fma_f64 v[154:155], v[156:157], v[26:27], v[154:155]
	v_add_f64 v[12:13], v[12:13], -v[154:155]
	ds_read2_b64 v[154:157], v1 offset0:72 offset1:73
	s_waitcnt lgkmcnt(0)
	v_mul_f64 v[28:29], v[156:157], v[162:163]
	v_fma_f64 v[28:29], v[154:155], v[26:27], -v[28:29]
	v_mul_f64 v[154:155], v[154:155], v[162:163]
	v_add_f64 v[6:7], v[6:7], -v[28:29]
	v_fma_f64 v[154:155], v[156:157], v[26:27], v[154:155]
	v_add_f64 v[8:9], v[8:9], -v[154:155]
	ds_read2_b64 v[154:157], v1 offset0:74 offset1:75
	s_waitcnt lgkmcnt(0)
	v_mul_f64 v[28:29], v[156:157], v[162:163]
	v_fma_f64 v[28:29], v[154:155], v[26:27], -v[28:29]
	v_mul_f64 v[154:155], v[154:155], v[162:163]
	v_add_f64 v[2:3], v[2:3], -v[28:29]
	v_fma_f64 v[154:155], v[156:157], v[26:27], v[154:155]
	v_mov_b32_e32 v28, v162
	v_mov_b32_e32 v29, v163
	v_add_f64 v[4:5], v[4:5], -v[154:155]
.LBB74_671:
	s_or_b32 exec_lo, exec_lo, s0
	v_lshl_add_u32 v154, v168, 4, v1
	s_barrier
	buffer_gl0_inv
	v_mov_b32_e32 v162, 32
	ds_write2_b64 v154, v[22:23], v[24:25] offset1:1
	s_waitcnt lgkmcnt(0)
	s_barrier
	buffer_gl0_inv
	ds_read2_b64 v[154:157], v1 offset0:64 offset1:65
	s_cmp_lt_i32 s1, 34
	s_cbranch_scc1 .LBB74_674
; %bb.672:
	v_add3_u32 v163, v164, 0, 0x210
	v_mov_b32_e32 v162, 32
	s_mov_b32 s3, 33
	s_inst_prefetch 0x1
	.p2align	6
.LBB74_673:                             ; =>This Inner Loop Header: Depth=1
	s_waitcnt lgkmcnt(0)
	v_cmp_gt_f64_e32 vcc_lo, 0, v[156:157]
	v_cmp_gt_f64_e64 s0, 0, v[154:155]
	ds_read2_b64 v[169:172], v163 offset1:1
	v_xor_b32_e32 v174, 0x80000000, v155
	v_xor_b32_e32 v176, 0x80000000, v157
	v_mov_b32_e32 v173, v154
	v_mov_b32_e32 v175, v156
	v_add_nc_u32_e32 v163, 16, v163
	s_waitcnt lgkmcnt(0)
	v_xor_b32_e32 v178, 0x80000000, v172
	v_cndmask_b32_e64 v174, v155, v174, s0
	v_cndmask_b32_e32 v176, v157, v176, vcc_lo
	v_cmp_gt_f64_e32 vcc_lo, 0, v[171:172]
	v_cmp_gt_f64_e64 s0, 0, v[169:170]
	v_mov_b32_e32 v177, v171
	v_add_f64 v[173:174], v[173:174], v[175:176]
	v_xor_b32_e32 v176, 0x80000000, v170
	v_mov_b32_e32 v175, v169
	v_cndmask_b32_e32 v178, v172, v178, vcc_lo
	v_cndmask_b32_e64 v176, v170, v176, s0
	v_add_f64 v[175:176], v[175:176], v[177:178]
	v_cmp_lt_f64_e32 vcc_lo, v[173:174], v[175:176]
	v_cndmask_b32_e32 v155, v155, v170, vcc_lo
	v_cndmask_b32_e32 v154, v154, v169, vcc_lo
	;; [unrolled: 1-line block ×4, first 2 shown]
	v_cndmask_b32_e64 v162, v162, s3, vcc_lo
	s_add_i32 s3, s3, 1
	s_cmp_lg_u32 s1, s3
	s_cbranch_scc1 .LBB74_673
.LBB74_674:
	s_inst_prefetch 0x2
	s_waitcnt lgkmcnt(0)
	v_cmp_eq_f64_e32 vcc_lo, 0, v[154:155]
	v_cmp_eq_f64_e64 s0, 0, v[156:157]
	s_and_b32 s0, vcc_lo, s0
	s_and_saveexec_b32 s3, s0
	s_xor_b32 s0, exec_lo, s3
; %bb.675:
	v_cmp_ne_u32_e32 vcc_lo, 0, v167
	v_cndmask_b32_e32 v167, 33, v167, vcc_lo
; %bb.676:
	s_andn2_saveexec_b32 s0, s0
	s_cbranch_execz .LBB74_682
; %bb.677:
	v_cmp_ngt_f64_e64 s3, |v[154:155]|, |v[156:157]|
	s_and_saveexec_b32 s8, s3
	s_xor_b32 s3, exec_lo, s8
	s_cbranch_execz .LBB74_679
; %bb.678:
	v_div_scale_f64 v[169:170], null, v[156:157], v[156:157], v[154:155]
	v_div_scale_f64 v[175:176], vcc_lo, v[154:155], v[156:157], v[154:155]
	v_rcp_f64_e32 v[171:172], v[169:170]
	v_fma_f64 v[173:174], -v[169:170], v[171:172], 1.0
	v_fma_f64 v[171:172], v[171:172], v[173:174], v[171:172]
	v_fma_f64 v[173:174], -v[169:170], v[171:172], 1.0
	v_fma_f64 v[171:172], v[171:172], v[173:174], v[171:172]
	v_mul_f64 v[173:174], v[175:176], v[171:172]
	v_fma_f64 v[169:170], -v[169:170], v[173:174], v[175:176]
	v_div_fmas_f64 v[169:170], v[169:170], v[171:172], v[173:174]
	v_div_fixup_f64 v[169:170], v[169:170], v[156:157], v[154:155]
	v_fma_f64 v[154:155], v[154:155], v[169:170], v[156:157]
	v_div_scale_f64 v[156:157], null, v[154:155], v[154:155], 1.0
	v_rcp_f64_e32 v[171:172], v[156:157]
	v_fma_f64 v[173:174], -v[156:157], v[171:172], 1.0
	v_fma_f64 v[171:172], v[171:172], v[173:174], v[171:172]
	v_fma_f64 v[173:174], -v[156:157], v[171:172], 1.0
	v_fma_f64 v[171:172], v[171:172], v[173:174], v[171:172]
	v_div_scale_f64 v[173:174], vcc_lo, 1.0, v[154:155], 1.0
	v_mul_f64 v[175:176], v[173:174], v[171:172]
	v_fma_f64 v[156:157], -v[156:157], v[175:176], v[173:174]
	v_div_fmas_f64 v[156:157], v[156:157], v[171:172], v[175:176]
	v_div_fixup_f64 v[156:157], v[156:157], v[154:155], 1.0
	v_mul_f64 v[154:155], v[169:170], v[156:157]
	v_xor_b32_e32 v157, 0x80000000, v157
.LBB74_679:
	s_andn2_saveexec_b32 s3, s3
	s_cbranch_execz .LBB74_681
; %bb.680:
	v_div_scale_f64 v[169:170], null, v[154:155], v[154:155], v[156:157]
	v_div_scale_f64 v[175:176], vcc_lo, v[156:157], v[154:155], v[156:157]
	v_rcp_f64_e32 v[171:172], v[169:170]
	v_fma_f64 v[173:174], -v[169:170], v[171:172], 1.0
	v_fma_f64 v[171:172], v[171:172], v[173:174], v[171:172]
	v_fma_f64 v[173:174], -v[169:170], v[171:172], 1.0
	v_fma_f64 v[171:172], v[171:172], v[173:174], v[171:172]
	v_mul_f64 v[173:174], v[175:176], v[171:172]
	v_fma_f64 v[169:170], -v[169:170], v[173:174], v[175:176]
	v_div_fmas_f64 v[169:170], v[169:170], v[171:172], v[173:174]
	v_div_fixup_f64 v[169:170], v[169:170], v[154:155], v[156:157]
	v_fma_f64 v[154:155], v[156:157], v[169:170], v[154:155]
	v_div_scale_f64 v[156:157], null, v[154:155], v[154:155], 1.0
	v_rcp_f64_e32 v[171:172], v[156:157]
	v_fma_f64 v[173:174], -v[156:157], v[171:172], 1.0
	v_fma_f64 v[171:172], v[171:172], v[173:174], v[171:172]
	v_fma_f64 v[173:174], -v[156:157], v[171:172], 1.0
	v_fma_f64 v[171:172], v[171:172], v[173:174], v[171:172]
	v_div_scale_f64 v[173:174], vcc_lo, 1.0, v[154:155], 1.0
	v_mul_f64 v[175:176], v[173:174], v[171:172]
	v_fma_f64 v[156:157], -v[156:157], v[175:176], v[173:174]
	v_div_fmas_f64 v[156:157], v[156:157], v[171:172], v[175:176]
	v_div_fixup_f64 v[154:155], v[156:157], v[154:155], 1.0
	v_mul_f64 v[156:157], v[169:170], -v[154:155]
.LBB74_681:
	s_or_b32 exec_lo, exec_lo, s3
.LBB74_682:
	s_or_b32 exec_lo, exec_lo, s0
	s_mov_b32 s0, exec_lo
	v_cmpx_ne_u32_e64 v168, v162
	s_xor_b32 s0, exec_lo, s0
	s_cbranch_execz .LBB74_688
; %bb.683:
	s_mov_b32 s3, exec_lo
	v_cmpx_eq_u32_e32 32, v168
	s_cbranch_execz .LBB74_687
; %bb.684:
	v_cmp_ne_u32_e32 vcc_lo, 32, v162
	s_xor_b32 s8, s16, -1
	s_and_b32 s9, s8, vcc_lo
	s_and_saveexec_b32 s8, s9
	s_cbranch_execz .LBB74_686
; %bb.685:
	v_ashrrev_i32_e32 v163, 31, v162
	v_lshlrev_b64 v[168:169], 2, v[162:163]
	v_add_co_u32 v168, vcc_lo, v160, v168
	v_add_co_ci_u32_e64 v169, null, v161, v169, vcc_lo
	s_clause 0x1
	global_load_dword v0, v[168:169], off
	global_load_dword v163, v[160:161], off offset:128
	s_waitcnt vmcnt(1)
	global_store_dword v[160:161], v0, off offset:128
	s_waitcnt vmcnt(0)
	global_store_dword v[168:169], v163, off
.LBB74_686:
	s_or_b32 exec_lo, exec_lo, s8
	v_mov_b32_e32 v168, v162
	v_mov_b32_e32 v0, v162
.LBB74_687:
	s_or_b32 exec_lo, exec_lo, s3
.LBB74_688:
	s_andn2_saveexec_b32 s0, s0
	s_cbranch_execz .LBB74_690
; %bb.689:
	v_mov_b32_e32 v168, 32
	ds_write2_b64 v1, v[18:19], v[20:21] offset0:66 offset1:67
	ds_write2_b64 v1, v[14:15], v[16:17] offset0:68 offset1:69
	;; [unrolled: 1-line block ×5, first 2 shown]
.LBB74_690:
	s_or_b32 exec_lo, exec_lo, s0
	s_mov_b32 s0, exec_lo
	s_waitcnt lgkmcnt(0)
	s_waitcnt_vscnt null, 0x0
	s_barrier
	buffer_gl0_inv
	v_cmpx_lt_i32_e32 32, v168
	s_cbranch_execz .LBB74_692
; %bb.691:
	v_mul_f64 v[162:163], v[154:155], v[24:25]
	v_mul_f64 v[24:25], v[156:157], v[24:25]
	v_fma_f64 v[162:163], v[156:157], v[22:23], v[162:163]
	v_fma_f64 v[22:23], v[154:155], v[22:23], -v[24:25]
	ds_read2_b64 v[154:157], v1 offset0:66 offset1:67
	s_waitcnt lgkmcnt(0)
	v_mul_f64 v[24:25], v[156:157], v[162:163]
	v_fma_f64 v[24:25], v[154:155], v[22:23], -v[24:25]
	v_mul_f64 v[154:155], v[154:155], v[162:163]
	v_add_f64 v[18:19], v[18:19], -v[24:25]
	v_fma_f64 v[154:155], v[156:157], v[22:23], v[154:155]
	v_add_f64 v[20:21], v[20:21], -v[154:155]
	ds_read2_b64 v[154:157], v1 offset0:68 offset1:69
	s_waitcnt lgkmcnt(0)
	v_mul_f64 v[24:25], v[156:157], v[162:163]
	v_fma_f64 v[24:25], v[154:155], v[22:23], -v[24:25]
	v_mul_f64 v[154:155], v[154:155], v[162:163]
	v_add_f64 v[14:15], v[14:15], -v[24:25]
	v_fma_f64 v[154:155], v[156:157], v[22:23], v[154:155]
	v_add_f64 v[16:17], v[16:17], -v[154:155]
	;; [unrolled: 8-line block ×4, first 2 shown]
	ds_read2_b64 v[154:157], v1 offset0:74 offset1:75
	s_waitcnt lgkmcnt(0)
	v_mul_f64 v[24:25], v[156:157], v[162:163]
	v_fma_f64 v[24:25], v[154:155], v[22:23], -v[24:25]
	v_mul_f64 v[154:155], v[154:155], v[162:163]
	v_add_f64 v[2:3], v[2:3], -v[24:25]
	v_fma_f64 v[154:155], v[156:157], v[22:23], v[154:155]
	v_mov_b32_e32 v24, v162
	v_mov_b32_e32 v25, v163
	v_add_f64 v[4:5], v[4:5], -v[154:155]
.LBB74_692:
	s_or_b32 exec_lo, exec_lo, s0
	v_lshl_add_u32 v154, v168, 4, v1
	s_barrier
	buffer_gl0_inv
	v_mov_b32_e32 v162, 33
	ds_write2_b64 v154, v[18:19], v[20:21] offset1:1
	s_waitcnt lgkmcnt(0)
	s_barrier
	buffer_gl0_inv
	ds_read2_b64 v[154:157], v1 offset0:66 offset1:67
	s_cmp_lt_i32 s1, 35
	s_cbranch_scc1 .LBB74_695
; %bb.693:
	v_add3_u32 v163, v164, 0, 0x220
	v_mov_b32_e32 v162, 33
	s_mov_b32 s3, 34
	s_inst_prefetch 0x1
	.p2align	6
.LBB74_694:                             ; =>This Inner Loop Header: Depth=1
	s_waitcnt lgkmcnt(0)
	v_cmp_gt_f64_e32 vcc_lo, 0, v[156:157]
	v_cmp_gt_f64_e64 s0, 0, v[154:155]
	ds_read2_b64 v[169:172], v163 offset1:1
	v_xor_b32_e32 v174, 0x80000000, v155
	v_xor_b32_e32 v176, 0x80000000, v157
	v_mov_b32_e32 v173, v154
	v_mov_b32_e32 v175, v156
	v_add_nc_u32_e32 v163, 16, v163
	s_waitcnt lgkmcnt(0)
	v_xor_b32_e32 v178, 0x80000000, v172
	v_cndmask_b32_e64 v174, v155, v174, s0
	v_cndmask_b32_e32 v176, v157, v176, vcc_lo
	v_cmp_gt_f64_e32 vcc_lo, 0, v[171:172]
	v_cmp_gt_f64_e64 s0, 0, v[169:170]
	v_mov_b32_e32 v177, v171
	v_add_f64 v[173:174], v[173:174], v[175:176]
	v_xor_b32_e32 v176, 0x80000000, v170
	v_mov_b32_e32 v175, v169
	v_cndmask_b32_e32 v178, v172, v178, vcc_lo
	v_cndmask_b32_e64 v176, v170, v176, s0
	v_add_f64 v[175:176], v[175:176], v[177:178]
	v_cmp_lt_f64_e32 vcc_lo, v[173:174], v[175:176]
	v_cndmask_b32_e32 v155, v155, v170, vcc_lo
	v_cndmask_b32_e32 v154, v154, v169, vcc_lo
	;; [unrolled: 1-line block ×4, first 2 shown]
	v_cndmask_b32_e64 v162, v162, s3, vcc_lo
	s_add_i32 s3, s3, 1
	s_cmp_lg_u32 s1, s3
	s_cbranch_scc1 .LBB74_694
.LBB74_695:
	s_inst_prefetch 0x2
	s_waitcnt lgkmcnt(0)
	v_cmp_eq_f64_e32 vcc_lo, 0, v[154:155]
	v_cmp_eq_f64_e64 s0, 0, v[156:157]
	s_and_b32 s0, vcc_lo, s0
	s_and_saveexec_b32 s3, s0
	s_xor_b32 s0, exec_lo, s3
; %bb.696:
	v_cmp_ne_u32_e32 vcc_lo, 0, v167
	v_cndmask_b32_e32 v167, 34, v167, vcc_lo
; %bb.697:
	s_andn2_saveexec_b32 s0, s0
	s_cbranch_execz .LBB74_703
; %bb.698:
	v_cmp_ngt_f64_e64 s3, |v[154:155]|, |v[156:157]|
	s_and_saveexec_b32 s8, s3
	s_xor_b32 s3, exec_lo, s8
	s_cbranch_execz .LBB74_700
; %bb.699:
	v_div_scale_f64 v[169:170], null, v[156:157], v[156:157], v[154:155]
	v_div_scale_f64 v[175:176], vcc_lo, v[154:155], v[156:157], v[154:155]
	v_rcp_f64_e32 v[171:172], v[169:170]
	v_fma_f64 v[173:174], -v[169:170], v[171:172], 1.0
	v_fma_f64 v[171:172], v[171:172], v[173:174], v[171:172]
	v_fma_f64 v[173:174], -v[169:170], v[171:172], 1.0
	v_fma_f64 v[171:172], v[171:172], v[173:174], v[171:172]
	v_mul_f64 v[173:174], v[175:176], v[171:172]
	v_fma_f64 v[169:170], -v[169:170], v[173:174], v[175:176]
	v_div_fmas_f64 v[169:170], v[169:170], v[171:172], v[173:174]
	v_div_fixup_f64 v[169:170], v[169:170], v[156:157], v[154:155]
	v_fma_f64 v[154:155], v[154:155], v[169:170], v[156:157]
	v_div_scale_f64 v[156:157], null, v[154:155], v[154:155], 1.0
	v_rcp_f64_e32 v[171:172], v[156:157]
	v_fma_f64 v[173:174], -v[156:157], v[171:172], 1.0
	v_fma_f64 v[171:172], v[171:172], v[173:174], v[171:172]
	v_fma_f64 v[173:174], -v[156:157], v[171:172], 1.0
	v_fma_f64 v[171:172], v[171:172], v[173:174], v[171:172]
	v_div_scale_f64 v[173:174], vcc_lo, 1.0, v[154:155], 1.0
	v_mul_f64 v[175:176], v[173:174], v[171:172]
	v_fma_f64 v[156:157], -v[156:157], v[175:176], v[173:174]
	v_div_fmas_f64 v[156:157], v[156:157], v[171:172], v[175:176]
	v_div_fixup_f64 v[156:157], v[156:157], v[154:155], 1.0
	v_mul_f64 v[154:155], v[169:170], v[156:157]
	v_xor_b32_e32 v157, 0x80000000, v157
.LBB74_700:
	s_andn2_saveexec_b32 s3, s3
	s_cbranch_execz .LBB74_702
; %bb.701:
	v_div_scale_f64 v[169:170], null, v[154:155], v[154:155], v[156:157]
	v_div_scale_f64 v[175:176], vcc_lo, v[156:157], v[154:155], v[156:157]
	v_rcp_f64_e32 v[171:172], v[169:170]
	v_fma_f64 v[173:174], -v[169:170], v[171:172], 1.0
	v_fma_f64 v[171:172], v[171:172], v[173:174], v[171:172]
	v_fma_f64 v[173:174], -v[169:170], v[171:172], 1.0
	v_fma_f64 v[171:172], v[171:172], v[173:174], v[171:172]
	v_mul_f64 v[173:174], v[175:176], v[171:172]
	v_fma_f64 v[169:170], -v[169:170], v[173:174], v[175:176]
	v_div_fmas_f64 v[169:170], v[169:170], v[171:172], v[173:174]
	v_div_fixup_f64 v[169:170], v[169:170], v[154:155], v[156:157]
	v_fma_f64 v[154:155], v[156:157], v[169:170], v[154:155]
	v_div_scale_f64 v[156:157], null, v[154:155], v[154:155], 1.0
	v_rcp_f64_e32 v[171:172], v[156:157]
	v_fma_f64 v[173:174], -v[156:157], v[171:172], 1.0
	v_fma_f64 v[171:172], v[171:172], v[173:174], v[171:172]
	v_fma_f64 v[173:174], -v[156:157], v[171:172], 1.0
	v_fma_f64 v[171:172], v[171:172], v[173:174], v[171:172]
	v_div_scale_f64 v[173:174], vcc_lo, 1.0, v[154:155], 1.0
	v_mul_f64 v[175:176], v[173:174], v[171:172]
	v_fma_f64 v[156:157], -v[156:157], v[175:176], v[173:174]
	v_div_fmas_f64 v[156:157], v[156:157], v[171:172], v[175:176]
	v_div_fixup_f64 v[154:155], v[156:157], v[154:155], 1.0
	v_mul_f64 v[156:157], v[169:170], -v[154:155]
.LBB74_702:
	s_or_b32 exec_lo, exec_lo, s3
.LBB74_703:
	s_or_b32 exec_lo, exec_lo, s0
	s_mov_b32 s0, exec_lo
	v_cmpx_ne_u32_e64 v168, v162
	s_xor_b32 s0, exec_lo, s0
	s_cbranch_execz .LBB74_709
; %bb.704:
	s_mov_b32 s3, exec_lo
	v_cmpx_eq_u32_e32 33, v168
	s_cbranch_execz .LBB74_708
; %bb.705:
	v_cmp_ne_u32_e32 vcc_lo, 33, v162
	s_xor_b32 s8, s16, -1
	s_and_b32 s9, s8, vcc_lo
	s_and_saveexec_b32 s8, s9
	s_cbranch_execz .LBB74_707
; %bb.706:
	v_ashrrev_i32_e32 v163, 31, v162
	v_lshlrev_b64 v[168:169], 2, v[162:163]
	v_add_co_u32 v168, vcc_lo, v160, v168
	v_add_co_ci_u32_e64 v169, null, v161, v169, vcc_lo
	s_clause 0x1
	global_load_dword v0, v[168:169], off
	global_load_dword v163, v[160:161], off offset:132
	s_waitcnt vmcnt(1)
	global_store_dword v[160:161], v0, off offset:132
	s_waitcnt vmcnt(0)
	global_store_dword v[168:169], v163, off
.LBB74_707:
	s_or_b32 exec_lo, exec_lo, s8
	v_mov_b32_e32 v168, v162
	v_mov_b32_e32 v0, v162
.LBB74_708:
	s_or_b32 exec_lo, exec_lo, s3
.LBB74_709:
	s_andn2_saveexec_b32 s0, s0
	s_cbranch_execz .LBB74_711
; %bb.710:
	v_mov_b32_e32 v168, 33
	ds_write2_b64 v1, v[14:15], v[16:17] offset0:68 offset1:69
	ds_write2_b64 v1, v[10:11], v[12:13] offset0:70 offset1:71
	;; [unrolled: 1-line block ×4, first 2 shown]
.LBB74_711:
	s_or_b32 exec_lo, exec_lo, s0
	s_mov_b32 s0, exec_lo
	s_waitcnt lgkmcnt(0)
	s_waitcnt_vscnt null, 0x0
	s_barrier
	buffer_gl0_inv
	v_cmpx_lt_i32_e32 33, v168
	s_cbranch_execz .LBB74_713
; %bb.712:
	v_mul_f64 v[162:163], v[154:155], v[20:21]
	v_mul_f64 v[20:21], v[156:157], v[20:21]
	v_fma_f64 v[162:163], v[156:157], v[18:19], v[162:163]
	v_fma_f64 v[18:19], v[154:155], v[18:19], -v[20:21]
	ds_read2_b64 v[154:157], v1 offset0:68 offset1:69
	s_waitcnt lgkmcnt(0)
	v_mul_f64 v[20:21], v[156:157], v[162:163]
	v_fma_f64 v[20:21], v[154:155], v[18:19], -v[20:21]
	v_mul_f64 v[154:155], v[154:155], v[162:163]
	v_add_f64 v[14:15], v[14:15], -v[20:21]
	v_fma_f64 v[154:155], v[156:157], v[18:19], v[154:155]
	v_add_f64 v[16:17], v[16:17], -v[154:155]
	ds_read2_b64 v[154:157], v1 offset0:70 offset1:71
	s_waitcnt lgkmcnt(0)
	v_mul_f64 v[20:21], v[156:157], v[162:163]
	v_fma_f64 v[20:21], v[154:155], v[18:19], -v[20:21]
	v_mul_f64 v[154:155], v[154:155], v[162:163]
	v_add_f64 v[10:11], v[10:11], -v[20:21]
	v_fma_f64 v[154:155], v[156:157], v[18:19], v[154:155]
	v_add_f64 v[12:13], v[12:13], -v[154:155]
	;; [unrolled: 8-line block ×3, first 2 shown]
	ds_read2_b64 v[154:157], v1 offset0:74 offset1:75
	s_waitcnt lgkmcnt(0)
	v_mul_f64 v[20:21], v[156:157], v[162:163]
	v_fma_f64 v[20:21], v[154:155], v[18:19], -v[20:21]
	v_mul_f64 v[154:155], v[154:155], v[162:163]
	v_add_f64 v[2:3], v[2:3], -v[20:21]
	v_fma_f64 v[154:155], v[156:157], v[18:19], v[154:155]
	v_mov_b32_e32 v20, v162
	v_mov_b32_e32 v21, v163
	v_add_f64 v[4:5], v[4:5], -v[154:155]
.LBB74_713:
	s_or_b32 exec_lo, exec_lo, s0
	v_lshl_add_u32 v154, v168, 4, v1
	s_barrier
	buffer_gl0_inv
	v_mov_b32_e32 v162, 34
	ds_write2_b64 v154, v[14:15], v[16:17] offset1:1
	s_waitcnt lgkmcnt(0)
	s_barrier
	buffer_gl0_inv
	ds_read2_b64 v[154:157], v1 offset0:68 offset1:69
	s_cmp_lt_i32 s1, 36
	s_cbranch_scc1 .LBB74_716
; %bb.714:
	v_add3_u32 v163, v164, 0, 0x230
	v_mov_b32_e32 v162, 34
	s_mov_b32 s3, 35
	s_inst_prefetch 0x1
	.p2align	6
.LBB74_715:                             ; =>This Inner Loop Header: Depth=1
	s_waitcnt lgkmcnt(0)
	v_cmp_gt_f64_e32 vcc_lo, 0, v[156:157]
	v_cmp_gt_f64_e64 s0, 0, v[154:155]
	ds_read2_b64 v[169:172], v163 offset1:1
	v_xor_b32_e32 v174, 0x80000000, v155
	v_xor_b32_e32 v176, 0x80000000, v157
	v_mov_b32_e32 v173, v154
	v_mov_b32_e32 v175, v156
	v_add_nc_u32_e32 v163, 16, v163
	s_waitcnt lgkmcnt(0)
	v_xor_b32_e32 v178, 0x80000000, v172
	v_cndmask_b32_e64 v174, v155, v174, s0
	v_cndmask_b32_e32 v176, v157, v176, vcc_lo
	v_cmp_gt_f64_e32 vcc_lo, 0, v[171:172]
	v_cmp_gt_f64_e64 s0, 0, v[169:170]
	v_mov_b32_e32 v177, v171
	v_add_f64 v[173:174], v[173:174], v[175:176]
	v_xor_b32_e32 v176, 0x80000000, v170
	v_mov_b32_e32 v175, v169
	v_cndmask_b32_e32 v178, v172, v178, vcc_lo
	v_cndmask_b32_e64 v176, v170, v176, s0
	v_add_f64 v[175:176], v[175:176], v[177:178]
	v_cmp_lt_f64_e32 vcc_lo, v[173:174], v[175:176]
	v_cndmask_b32_e32 v155, v155, v170, vcc_lo
	v_cndmask_b32_e32 v154, v154, v169, vcc_lo
	v_cndmask_b32_e32 v157, v157, v172, vcc_lo
	v_cndmask_b32_e32 v156, v156, v171, vcc_lo
	v_cndmask_b32_e64 v162, v162, s3, vcc_lo
	s_add_i32 s3, s3, 1
	s_cmp_lg_u32 s1, s3
	s_cbranch_scc1 .LBB74_715
.LBB74_716:
	s_inst_prefetch 0x2
	s_waitcnt lgkmcnt(0)
	v_cmp_eq_f64_e32 vcc_lo, 0, v[154:155]
	v_cmp_eq_f64_e64 s0, 0, v[156:157]
	s_and_b32 s0, vcc_lo, s0
	s_and_saveexec_b32 s3, s0
	s_xor_b32 s0, exec_lo, s3
; %bb.717:
	v_cmp_ne_u32_e32 vcc_lo, 0, v167
	v_cndmask_b32_e32 v167, 35, v167, vcc_lo
; %bb.718:
	s_andn2_saveexec_b32 s0, s0
	s_cbranch_execz .LBB74_724
; %bb.719:
	v_cmp_ngt_f64_e64 s3, |v[154:155]|, |v[156:157]|
	s_and_saveexec_b32 s8, s3
	s_xor_b32 s3, exec_lo, s8
	s_cbranch_execz .LBB74_721
; %bb.720:
	v_div_scale_f64 v[169:170], null, v[156:157], v[156:157], v[154:155]
	v_div_scale_f64 v[175:176], vcc_lo, v[154:155], v[156:157], v[154:155]
	v_rcp_f64_e32 v[171:172], v[169:170]
	v_fma_f64 v[173:174], -v[169:170], v[171:172], 1.0
	v_fma_f64 v[171:172], v[171:172], v[173:174], v[171:172]
	v_fma_f64 v[173:174], -v[169:170], v[171:172], 1.0
	v_fma_f64 v[171:172], v[171:172], v[173:174], v[171:172]
	v_mul_f64 v[173:174], v[175:176], v[171:172]
	v_fma_f64 v[169:170], -v[169:170], v[173:174], v[175:176]
	v_div_fmas_f64 v[169:170], v[169:170], v[171:172], v[173:174]
	v_div_fixup_f64 v[169:170], v[169:170], v[156:157], v[154:155]
	v_fma_f64 v[154:155], v[154:155], v[169:170], v[156:157]
	v_div_scale_f64 v[156:157], null, v[154:155], v[154:155], 1.0
	v_rcp_f64_e32 v[171:172], v[156:157]
	v_fma_f64 v[173:174], -v[156:157], v[171:172], 1.0
	v_fma_f64 v[171:172], v[171:172], v[173:174], v[171:172]
	v_fma_f64 v[173:174], -v[156:157], v[171:172], 1.0
	v_fma_f64 v[171:172], v[171:172], v[173:174], v[171:172]
	v_div_scale_f64 v[173:174], vcc_lo, 1.0, v[154:155], 1.0
	v_mul_f64 v[175:176], v[173:174], v[171:172]
	v_fma_f64 v[156:157], -v[156:157], v[175:176], v[173:174]
	v_div_fmas_f64 v[156:157], v[156:157], v[171:172], v[175:176]
	v_div_fixup_f64 v[156:157], v[156:157], v[154:155], 1.0
	v_mul_f64 v[154:155], v[169:170], v[156:157]
	v_xor_b32_e32 v157, 0x80000000, v157
.LBB74_721:
	s_andn2_saveexec_b32 s3, s3
	s_cbranch_execz .LBB74_723
; %bb.722:
	v_div_scale_f64 v[169:170], null, v[154:155], v[154:155], v[156:157]
	v_div_scale_f64 v[175:176], vcc_lo, v[156:157], v[154:155], v[156:157]
	v_rcp_f64_e32 v[171:172], v[169:170]
	v_fma_f64 v[173:174], -v[169:170], v[171:172], 1.0
	v_fma_f64 v[171:172], v[171:172], v[173:174], v[171:172]
	v_fma_f64 v[173:174], -v[169:170], v[171:172], 1.0
	v_fma_f64 v[171:172], v[171:172], v[173:174], v[171:172]
	v_mul_f64 v[173:174], v[175:176], v[171:172]
	v_fma_f64 v[169:170], -v[169:170], v[173:174], v[175:176]
	v_div_fmas_f64 v[169:170], v[169:170], v[171:172], v[173:174]
	v_div_fixup_f64 v[169:170], v[169:170], v[154:155], v[156:157]
	v_fma_f64 v[154:155], v[156:157], v[169:170], v[154:155]
	v_div_scale_f64 v[156:157], null, v[154:155], v[154:155], 1.0
	v_rcp_f64_e32 v[171:172], v[156:157]
	v_fma_f64 v[173:174], -v[156:157], v[171:172], 1.0
	v_fma_f64 v[171:172], v[171:172], v[173:174], v[171:172]
	v_fma_f64 v[173:174], -v[156:157], v[171:172], 1.0
	v_fma_f64 v[171:172], v[171:172], v[173:174], v[171:172]
	v_div_scale_f64 v[173:174], vcc_lo, 1.0, v[154:155], 1.0
	v_mul_f64 v[175:176], v[173:174], v[171:172]
	v_fma_f64 v[156:157], -v[156:157], v[175:176], v[173:174]
	v_div_fmas_f64 v[156:157], v[156:157], v[171:172], v[175:176]
	v_div_fixup_f64 v[154:155], v[156:157], v[154:155], 1.0
	v_mul_f64 v[156:157], v[169:170], -v[154:155]
.LBB74_723:
	s_or_b32 exec_lo, exec_lo, s3
.LBB74_724:
	s_or_b32 exec_lo, exec_lo, s0
	s_mov_b32 s0, exec_lo
	v_cmpx_ne_u32_e64 v168, v162
	s_xor_b32 s0, exec_lo, s0
	s_cbranch_execz .LBB74_730
; %bb.725:
	s_mov_b32 s3, exec_lo
	v_cmpx_eq_u32_e32 34, v168
	s_cbranch_execz .LBB74_729
; %bb.726:
	v_cmp_ne_u32_e32 vcc_lo, 34, v162
	s_xor_b32 s8, s16, -1
	s_and_b32 s9, s8, vcc_lo
	s_and_saveexec_b32 s8, s9
	s_cbranch_execz .LBB74_728
; %bb.727:
	v_ashrrev_i32_e32 v163, 31, v162
	v_lshlrev_b64 v[168:169], 2, v[162:163]
	v_add_co_u32 v168, vcc_lo, v160, v168
	v_add_co_ci_u32_e64 v169, null, v161, v169, vcc_lo
	s_clause 0x1
	global_load_dword v0, v[168:169], off
	global_load_dword v163, v[160:161], off offset:136
	s_waitcnt vmcnt(1)
	global_store_dword v[160:161], v0, off offset:136
	s_waitcnt vmcnt(0)
	global_store_dword v[168:169], v163, off
.LBB74_728:
	s_or_b32 exec_lo, exec_lo, s8
	v_mov_b32_e32 v168, v162
	v_mov_b32_e32 v0, v162
.LBB74_729:
	s_or_b32 exec_lo, exec_lo, s3
.LBB74_730:
	s_andn2_saveexec_b32 s0, s0
	s_cbranch_execz .LBB74_732
; %bb.731:
	v_mov_b32_e32 v168, 34
	ds_write2_b64 v1, v[10:11], v[12:13] offset0:70 offset1:71
	ds_write2_b64 v1, v[6:7], v[8:9] offset0:72 offset1:73
	;; [unrolled: 1-line block ×3, first 2 shown]
.LBB74_732:
	s_or_b32 exec_lo, exec_lo, s0
	s_mov_b32 s0, exec_lo
	s_waitcnt lgkmcnt(0)
	s_waitcnt_vscnt null, 0x0
	s_barrier
	buffer_gl0_inv
	v_cmpx_lt_i32_e32 34, v168
	s_cbranch_execz .LBB74_734
; %bb.733:
	v_mul_f64 v[162:163], v[154:155], v[16:17]
	v_mul_f64 v[16:17], v[156:157], v[16:17]
	ds_read2_b64 v[169:172], v1 offset0:70 offset1:71
	ds_read2_b64 v[173:176], v1 offset0:72 offset1:73
	;; [unrolled: 1-line block ×3, first 2 shown]
	v_fma_f64 v[156:157], v[156:157], v[14:15], v[162:163]
	v_fma_f64 v[14:15], v[154:155], v[14:15], -v[16:17]
	s_waitcnt lgkmcnt(2)
	v_mul_f64 v[16:17], v[171:172], v[156:157]
	v_mul_f64 v[154:155], v[169:170], v[156:157]
	s_waitcnt lgkmcnt(1)
	v_mul_f64 v[162:163], v[175:176], v[156:157]
	v_mul_f64 v[181:182], v[173:174], v[156:157]
	;; [unrolled: 3-line block ×3, first 2 shown]
	v_fma_f64 v[16:17], v[169:170], v[14:15], -v[16:17]
	v_fma_f64 v[154:155], v[171:172], v[14:15], v[154:155]
	v_fma_f64 v[162:163], v[173:174], v[14:15], -v[162:163]
	v_fma_f64 v[169:170], v[175:176], v[14:15], v[181:182]
	v_fma_f64 v[171:172], v[177:178], v[14:15], -v[183:184]
	v_fma_f64 v[173:174], v[179:180], v[14:15], v[185:186]
	v_add_f64 v[10:11], v[10:11], -v[16:17]
	v_add_f64 v[12:13], v[12:13], -v[154:155]
	;; [unrolled: 1-line block ×6, first 2 shown]
	v_mov_b32_e32 v16, v156
	v_mov_b32_e32 v17, v157
.LBB74_734:
	s_or_b32 exec_lo, exec_lo, s0
	v_lshl_add_u32 v154, v168, 4, v1
	s_barrier
	buffer_gl0_inv
	v_mov_b32_e32 v162, 35
	ds_write2_b64 v154, v[10:11], v[12:13] offset1:1
	s_waitcnt lgkmcnt(0)
	s_barrier
	buffer_gl0_inv
	ds_read2_b64 v[154:157], v1 offset0:70 offset1:71
	s_cmp_lt_i32 s1, 37
	s_cbranch_scc1 .LBB74_737
; %bb.735:
	v_add3_u32 v163, v164, 0, 0x240
	v_mov_b32_e32 v162, 35
	s_mov_b32 s3, 36
	s_inst_prefetch 0x1
	.p2align	6
.LBB74_736:                             ; =>This Inner Loop Header: Depth=1
	s_waitcnt lgkmcnt(0)
	v_cmp_gt_f64_e32 vcc_lo, 0, v[156:157]
	v_cmp_gt_f64_e64 s0, 0, v[154:155]
	ds_read2_b64 v[169:172], v163 offset1:1
	v_xor_b32_e32 v174, 0x80000000, v155
	v_xor_b32_e32 v176, 0x80000000, v157
	v_mov_b32_e32 v173, v154
	v_mov_b32_e32 v175, v156
	v_add_nc_u32_e32 v163, 16, v163
	s_waitcnt lgkmcnt(0)
	v_xor_b32_e32 v178, 0x80000000, v172
	v_cndmask_b32_e64 v174, v155, v174, s0
	v_cndmask_b32_e32 v176, v157, v176, vcc_lo
	v_cmp_gt_f64_e32 vcc_lo, 0, v[171:172]
	v_cmp_gt_f64_e64 s0, 0, v[169:170]
	v_mov_b32_e32 v177, v171
	v_add_f64 v[173:174], v[173:174], v[175:176]
	v_xor_b32_e32 v176, 0x80000000, v170
	v_mov_b32_e32 v175, v169
	v_cndmask_b32_e32 v178, v172, v178, vcc_lo
	v_cndmask_b32_e64 v176, v170, v176, s0
	v_add_f64 v[175:176], v[175:176], v[177:178]
	v_cmp_lt_f64_e32 vcc_lo, v[173:174], v[175:176]
	v_cndmask_b32_e32 v155, v155, v170, vcc_lo
	v_cndmask_b32_e32 v154, v154, v169, vcc_lo
	;; [unrolled: 1-line block ×4, first 2 shown]
	v_cndmask_b32_e64 v162, v162, s3, vcc_lo
	s_add_i32 s3, s3, 1
	s_cmp_lg_u32 s1, s3
	s_cbranch_scc1 .LBB74_736
.LBB74_737:
	s_inst_prefetch 0x2
	s_waitcnt lgkmcnt(0)
	v_cmp_eq_f64_e32 vcc_lo, 0, v[154:155]
	v_cmp_eq_f64_e64 s0, 0, v[156:157]
	s_and_b32 s0, vcc_lo, s0
	s_and_saveexec_b32 s3, s0
	s_xor_b32 s0, exec_lo, s3
; %bb.738:
	v_cmp_ne_u32_e32 vcc_lo, 0, v167
	v_cndmask_b32_e32 v167, 36, v167, vcc_lo
; %bb.739:
	s_andn2_saveexec_b32 s0, s0
	s_cbranch_execz .LBB74_745
; %bb.740:
	v_cmp_ngt_f64_e64 s3, |v[154:155]|, |v[156:157]|
	s_and_saveexec_b32 s8, s3
	s_xor_b32 s3, exec_lo, s8
	s_cbranch_execz .LBB74_742
; %bb.741:
	v_div_scale_f64 v[169:170], null, v[156:157], v[156:157], v[154:155]
	v_div_scale_f64 v[175:176], vcc_lo, v[154:155], v[156:157], v[154:155]
	v_rcp_f64_e32 v[171:172], v[169:170]
	v_fma_f64 v[173:174], -v[169:170], v[171:172], 1.0
	v_fma_f64 v[171:172], v[171:172], v[173:174], v[171:172]
	v_fma_f64 v[173:174], -v[169:170], v[171:172], 1.0
	v_fma_f64 v[171:172], v[171:172], v[173:174], v[171:172]
	v_mul_f64 v[173:174], v[175:176], v[171:172]
	v_fma_f64 v[169:170], -v[169:170], v[173:174], v[175:176]
	v_div_fmas_f64 v[169:170], v[169:170], v[171:172], v[173:174]
	v_div_fixup_f64 v[169:170], v[169:170], v[156:157], v[154:155]
	v_fma_f64 v[154:155], v[154:155], v[169:170], v[156:157]
	v_div_scale_f64 v[156:157], null, v[154:155], v[154:155], 1.0
	v_rcp_f64_e32 v[171:172], v[156:157]
	v_fma_f64 v[173:174], -v[156:157], v[171:172], 1.0
	v_fma_f64 v[171:172], v[171:172], v[173:174], v[171:172]
	v_fma_f64 v[173:174], -v[156:157], v[171:172], 1.0
	v_fma_f64 v[171:172], v[171:172], v[173:174], v[171:172]
	v_div_scale_f64 v[173:174], vcc_lo, 1.0, v[154:155], 1.0
	v_mul_f64 v[175:176], v[173:174], v[171:172]
	v_fma_f64 v[156:157], -v[156:157], v[175:176], v[173:174]
	v_div_fmas_f64 v[156:157], v[156:157], v[171:172], v[175:176]
	v_div_fixup_f64 v[156:157], v[156:157], v[154:155], 1.0
	v_mul_f64 v[154:155], v[169:170], v[156:157]
	v_xor_b32_e32 v157, 0x80000000, v157
.LBB74_742:
	s_andn2_saveexec_b32 s3, s3
	s_cbranch_execz .LBB74_744
; %bb.743:
	v_div_scale_f64 v[169:170], null, v[154:155], v[154:155], v[156:157]
	v_div_scale_f64 v[175:176], vcc_lo, v[156:157], v[154:155], v[156:157]
	v_rcp_f64_e32 v[171:172], v[169:170]
	v_fma_f64 v[173:174], -v[169:170], v[171:172], 1.0
	v_fma_f64 v[171:172], v[171:172], v[173:174], v[171:172]
	v_fma_f64 v[173:174], -v[169:170], v[171:172], 1.0
	v_fma_f64 v[171:172], v[171:172], v[173:174], v[171:172]
	v_mul_f64 v[173:174], v[175:176], v[171:172]
	v_fma_f64 v[169:170], -v[169:170], v[173:174], v[175:176]
	v_div_fmas_f64 v[169:170], v[169:170], v[171:172], v[173:174]
	v_div_fixup_f64 v[169:170], v[169:170], v[154:155], v[156:157]
	v_fma_f64 v[154:155], v[156:157], v[169:170], v[154:155]
	v_div_scale_f64 v[156:157], null, v[154:155], v[154:155], 1.0
	v_rcp_f64_e32 v[171:172], v[156:157]
	v_fma_f64 v[173:174], -v[156:157], v[171:172], 1.0
	v_fma_f64 v[171:172], v[171:172], v[173:174], v[171:172]
	v_fma_f64 v[173:174], -v[156:157], v[171:172], 1.0
	v_fma_f64 v[171:172], v[171:172], v[173:174], v[171:172]
	v_div_scale_f64 v[173:174], vcc_lo, 1.0, v[154:155], 1.0
	v_mul_f64 v[175:176], v[173:174], v[171:172]
	v_fma_f64 v[156:157], -v[156:157], v[175:176], v[173:174]
	v_div_fmas_f64 v[156:157], v[156:157], v[171:172], v[175:176]
	v_div_fixup_f64 v[154:155], v[156:157], v[154:155], 1.0
	v_mul_f64 v[156:157], v[169:170], -v[154:155]
.LBB74_744:
	s_or_b32 exec_lo, exec_lo, s3
.LBB74_745:
	s_or_b32 exec_lo, exec_lo, s0
	s_mov_b32 s0, exec_lo
	v_cmpx_ne_u32_e64 v168, v162
	s_xor_b32 s0, exec_lo, s0
	s_cbranch_execz .LBB74_751
; %bb.746:
	s_mov_b32 s3, exec_lo
	v_cmpx_eq_u32_e32 35, v168
	s_cbranch_execz .LBB74_750
; %bb.747:
	v_cmp_ne_u32_e32 vcc_lo, 35, v162
	s_xor_b32 s8, s16, -1
	s_and_b32 s9, s8, vcc_lo
	s_and_saveexec_b32 s8, s9
	s_cbranch_execz .LBB74_749
; %bb.748:
	v_ashrrev_i32_e32 v163, 31, v162
	v_lshlrev_b64 v[168:169], 2, v[162:163]
	v_add_co_u32 v168, vcc_lo, v160, v168
	v_add_co_ci_u32_e64 v169, null, v161, v169, vcc_lo
	s_clause 0x1
	global_load_dword v0, v[168:169], off
	global_load_dword v163, v[160:161], off offset:140
	s_waitcnt vmcnt(1)
	global_store_dword v[160:161], v0, off offset:140
	s_waitcnt vmcnt(0)
	global_store_dword v[168:169], v163, off
.LBB74_749:
	s_or_b32 exec_lo, exec_lo, s8
	v_mov_b32_e32 v168, v162
	v_mov_b32_e32 v0, v162
.LBB74_750:
	s_or_b32 exec_lo, exec_lo, s3
.LBB74_751:
	s_andn2_saveexec_b32 s0, s0
	s_cbranch_execz .LBB74_753
; %bb.752:
	v_mov_b32_e32 v168, 35
	ds_write2_b64 v1, v[6:7], v[8:9] offset0:72 offset1:73
	ds_write2_b64 v1, v[2:3], v[4:5] offset0:74 offset1:75
.LBB74_753:
	s_or_b32 exec_lo, exec_lo, s0
	s_mov_b32 s0, exec_lo
	s_waitcnt lgkmcnt(0)
	s_waitcnt_vscnt null, 0x0
	s_barrier
	buffer_gl0_inv
	v_cmpx_lt_i32_e32 35, v168
	s_cbranch_execz .LBB74_755
; %bb.754:
	v_mul_f64 v[162:163], v[154:155], v[12:13]
	v_mul_f64 v[12:13], v[156:157], v[12:13]
	ds_read2_b64 v[169:172], v1 offset0:72 offset1:73
	ds_read2_b64 v[173:176], v1 offset0:74 offset1:75
	v_fma_f64 v[156:157], v[156:157], v[10:11], v[162:163]
	v_fma_f64 v[10:11], v[154:155], v[10:11], -v[12:13]
	s_waitcnt lgkmcnt(1)
	v_mul_f64 v[12:13], v[171:172], v[156:157]
	v_mul_f64 v[154:155], v[169:170], v[156:157]
	s_waitcnt lgkmcnt(0)
	v_mul_f64 v[162:163], v[175:176], v[156:157]
	v_mul_f64 v[177:178], v[173:174], v[156:157]
	v_fma_f64 v[12:13], v[169:170], v[10:11], -v[12:13]
	v_fma_f64 v[154:155], v[171:172], v[10:11], v[154:155]
	v_fma_f64 v[162:163], v[173:174], v[10:11], -v[162:163]
	v_fma_f64 v[169:170], v[175:176], v[10:11], v[177:178]
	v_add_f64 v[6:7], v[6:7], -v[12:13]
	v_add_f64 v[8:9], v[8:9], -v[154:155]
	;; [unrolled: 1-line block ×4, first 2 shown]
	v_mov_b32_e32 v12, v156
	v_mov_b32_e32 v13, v157
.LBB74_755:
	s_or_b32 exec_lo, exec_lo, s0
	v_lshl_add_u32 v154, v168, 4, v1
	s_barrier
	buffer_gl0_inv
	v_mov_b32_e32 v162, 36
	ds_write2_b64 v154, v[6:7], v[8:9] offset1:1
	s_waitcnt lgkmcnt(0)
	s_barrier
	buffer_gl0_inv
	ds_read2_b64 v[154:157], v1 offset0:72 offset1:73
	s_cmp_lt_i32 s1, 38
	s_cbranch_scc1 .LBB74_758
; %bb.756:
	v_add3_u32 v163, v164, 0, 0x250
	v_mov_b32_e32 v162, 36
	s_mov_b32 s3, 37
	s_inst_prefetch 0x1
	.p2align	6
.LBB74_757:                             ; =>This Inner Loop Header: Depth=1
	s_waitcnt lgkmcnt(0)
	v_cmp_gt_f64_e32 vcc_lo, 0, v[156:157]
	v_cmp_gt_f64_e64 s0, 0, v[154:155]
	ds_read2_b64 v[169:172], v163 offset1:1
	v_xor_b32_e32 v174, 0x80000000, v155
	v_xor_b32_e32 v176, 0x80000000, v157
	v_mov_b32_e32 v173, v154
	v_mov_b32_e32 v175, v156
	v_add_nc_u32_e32 v163, 16, v163
	s_waitcnt lgkmcnt(0)
	v_xor_b32_e32 v178, 0x80000000, v172
	v_cndmask_b32_e64 v174, v155, v174, s0
	v_cndmask_b32_e32 v176, v157, v176, vcc_lo
	v_cmp_gt_f64_e32 vcc_lo, 0, v[171:172]
	v_cmp_gt_f64_e64 s0, 0, v[169:170]
	v_mov_b32_e32 v177, v171
	v_add_f64 v[173:174], v[173:174], v[175:176]
	v_xor_b32_e32 v176, 0x80000000, v170
	v_mov_b32_e32 v175, v169
	v_cndmask_b32_e32 v178, v172, v178, vcc_lo
	v_cndmask_b32_e64 v176, v170, v176, s0
	v_add_f64 v[175:176], v[175:176], v[177:178]
	v_cmp_lt_f64_e32 vcc_lo, v[173:174], v[175:176]
	v_cndmask_b32_e32 v155, v155, v170, vcc_lo
	v_cndmask_b32_e32 v154, v154, v169, vcc_lo
	;; [unrolled: 1-line block ×4, first 2 shown]
	v_cndmask_b32_e64 v162, v162, s3, vcc_lo
	s_add_i32 s3, s3, 1
	s_cmp_lg_u32 s1, s3
	s_cbranch_scc1 .LBB74_757
.LBB74_758:
	s_inst_prefetch 0x2
	s_waitcnt lgkmcnt(0)
	v_cmp_eq_f64_e32 vcc_lo, 0, v[154:155]
	v_cmp_eq_f64_e64 s0, 0, v[156:157]
	s_and_b32 s0, vcc_lo, s0
	s_and_saveexec_b32 s3, s0
	s_xor_b32 s0, exec_lo, s3
; %bb.759:
	v_cmp_ne_u32_e32 vcc_lo, 0, v167
	v_cndmask_b32_e32 v167, 37, v167, vcc_lo
; %bb.760:
	s_andn2_saveexec_b32 s0, s0
	s_cbranch_execz .LBB74_766
; %bb.761:
	v_cmp_ngt_f64_e64 s3, |v[154:155]|, |v[156:157]|
	s_and_saveexec_b32 s8, s3
	s_xor_b32 s3, exec_lo, s8
	s_cbranch_execz .LBB74_763
; %bb.762:
	v_div_scale_f64 v[169:170], null, v[156:157], v[156:157], v[154:155]
	v_div_scale_f64 v[175:176], vcc_lo, v[154:155], v[156:157], v[154:155]
	v_rcp_f64_e32 v[171:172], v[169:170]
	v_fma_f64 v[173:174], -v[169:170], v[171:172], 1.0
	v_fma_f64 v[171:172], v[171:172], v[173:174], v[171:172]
	v_fma_f64 v[173:174], -v[169:170], v[171:172], 1.0
	v_fma_f64 v[171:172], v[171:172], v[173:174], v[171:172]
	v_mul_f64 v[173:174], v[175:176], v[171:172]
	v_fma_f64 v[169:170], -v[169:170], v[173:174], v[175:176]
	v_div_fmas_f64 v[169:170], v[169:170], v[171:172], v[173:174]
	v_div_fixup_f64 v[169:170], v[169:170], v[156:157], v[154:155]
	v_fma_f64 v[154:155], v[154:155], v[169:170], v[156:157]
	v_div_scale_f64 v[156:157], null, v[154:155], v[154:155], 1.0
	v_rcp_f64_e32 v[171:172], v[156:157]
	v_fma_f64 v[173:174], -v[156:157], v[171:172], 1.0
	v_fma_f64 v[171:172], v[171:172], v[173:174], v[171:172]
	v_fma_f64 v[173:174], -v[156:157], v[171:172], 1.0
	v_fma_f64 v[171:172], v[171:172], v[173:174], v[171:172]
	v_div_scale_f64 v[173:174], vcc_lo, 1.0, v[154:155], 1.0
	v_mul_f64 v[175:176], v[173:174], v[171:172]
	v_fma_f64 v[156:157], -v[156:157], v[175:176], v[173:174]
	v_div_fmas_f64 v[156:157], v[156:157], v[171:172], v[175:176]
	v_div_fixup_f64 v[156:157], v[156:157], v[154:155], 1.0
	v_mul_f64 v[154:155], v[169:170], v[156:157]
	v_xor_b32_e32 v157, 0x80000000, v157
.LBB74_763:
	s_andn2_saveexec_b32 s3, s3
	s_cbranch_execz .LBB74_765
; %bb.764:
	v_div_scale_f64 v[169:170], null, v[154:155], v[154:155], v[156:157]
	v_div_scale_f64 v[175:176], vcc_lo, v[156:157], v[154:155], v[156:157]
	v_rcp_f64_e32 v[171:172], v[169:170]
	v_fma_f64 v[173:174], -v[169:170], v[171:172], 1.0
	v_fma_f64 v[171:172], v[171:172], v[173:174], v[171:172]
	v_fma_f64 v[173:174], -v[169:170], v[171:172], 1.0
	v_fma_f64 v[171:172], v[171:172], v[173:174], v[171:172]
	v_mul_f64 v[173:174], v[175:176], v[171:172]
	v_fma_f64 v[169:170], -v[169:170], v[173:174], v[175:176]
	v_div_fmas_f64 v[169:170], v[169:170], v[171:172], v[173:174]
	v_div_fixup_f64 v[169:170], v[169:170], v[154:155], v[156:157]
	v_fma_f64 v[154:155], v[156:157], v[169:170], v[154:155]
	v_div_scale_f64 v[156:157], null, v[154:155], v[154:155], 1.0
	v_rcp_f64_e32 v[171:172], v[156:157]
	v_fma_f64 v[173:174], -v[156:157], v[171:172], 1.0
	v_fma_f64 v[171:172], v[171:172], v[173:174], v[171:172]
	v_fma_f64 v[173:174], -v[156:157], v[171:172], 1.0
	v_fma_f64 v[171:172], v[171:172], v[173:174], v[171:172]
	v_div_scale_f64 v[173:174], vcc_lo, 1.0, v[154:155], 1.0
	v_mul_f64 v[175:176], v[173:174], v[171:172]
	v_fma_f64 v[156:157], -v[156:157], v[175:176], v[173:174]
	v_div_fmas_f64 v[156:157], v[156:157], v[171:172], v[175:176]
	v_div_fixup_f64 v[154:155], v[156:157], v[154:155], 1.0
	v_mul_f64 v[156:157], v[169:170], -v[154:155]
.LBB74_765:
	s_or_b32 exec_lo, exec_lo, s3
.LBB74_766:
	s_or_b32 exec_lo, exec_lo, s0
	s_mov_b32 s0, exec_lo
	v_cmpx_ne_u32_e64 v168, v162
	s_xor_b32 s0, exec_lo, s0
	s_cbranch_execz .LBB74_772
; %bb.767:
	s_mov_b32 s3, exec_lo
	v_cmpx_eq_u32_e32 36, v168
	s_cbranch_execz .LBB74_771
; %bb.768:
	v_cmp_ne_u32_e32 vcc_lo, 36, v162
	s_xor_b32 s8, s16, -1
	s_and_b32 s9, s8, vcc_lo
	s_and_saveexec_b32 s8, s9
	s_cbranch_execz .LBB74_770
; %bb.769:
	v_ashrrev_i32_e32 v163, 31, v162
	v_lshlrev_b64 v[168:169], 2, v[162:163]
	v_add_co_u32 v168, vcc_lo, v160, v168
	v_add_co_ci_u32_e64 v169, null, v161, v169, vcc_lo
	s_clause 0x1
	global_load_dword v0, v[168:169], off
	global_load_dword v163, v[160:161], off offset:144
	s_waitcnt vmcnt(1)
	global_store_dword v[160:161], v0, off offset:144
	s_waitcnt vmcnt(0)
	global_store_dword v[168:169], v163, off
.LBB74_770:
	s_or_b32 exec_lo, exec_lo, s8
	v_mov_b32_e32 v168, v162
	v_mov_b32_e32 v0, v162
.LBB74_771:
	s_or_b32 exec_lo, exec_lo, s3
.LBB74_772:
	s_andn2_saveexec_b32 s0, s0
; %bb.773:
	v_mov_b32_e32 v168, 36
	ds_write2_b64 v1, v[2:3], v[4:5] offset0:74 offset1:75
; %bb.774:
	s_or_b32 exec_lo, exec_lo, s0
	s_mov_b32 s0, exec_lo
	s_waitcnt lgkmcnt(0)
	s_waitcnt_vscnt null, 0x0
	s_barrier
	buffer_gl0_inv
	v_cmpx_lt_i32_e32 36, v168
	s_cbranch_execz .LBB74_776
; %bb.775:
	v_mul_f64 v[162:163], v[154:155], v[8:9]
	v_mul_f64 v[8:9], v[156:157], v[8:9]
	ds_read2_b64 v[169:172], v1 offset0:74 offset1:75
	v_fma_f64 v[156:157], v[156:157], v[6:7], v[162:163]
	v_fma_f64 v[6:7], v[154:155], v[6:7], -v[8:9]
	s_waitcnt lgkmcnt(0)
	v_mul_f64 v[8:9], v[171:172], v[156:157]
	v_mul_f64 v[154:155], v[169:170], v[156:157]
	v_fma_f64 v[8:9], v[169:170], v[6:7], -v[8:9]
	v_fma_f64 v[154:155], v[171:172], v[6:7], v[154:155]
	v_add_f64 v[2:3], v[2:3], -v[8:9]
	v_add_f64 v[4:5], v[4:5], -v[154:155]
	v_mov_b32_e32 v8, v156
	v_mov_b32_e32 v9, v157
.LBB74_776:
	s_or_b32 exec_lo, exec_lo, s0
	v_lshl_add_u32 v154, v168, 4, v1
	s_barrier
	buffer_gl0_inv
	v_mov_b32_e32 v162, 37
	ds_write2_b64 v154, v[2:3], v[4:5] offset1:1
	s_waitcnt lgkmcnt(0)
	s_barrier
	buffer_gl0_inv
	ds_read2_b64 v[154:157], v1 offset0:74 offset1:75
	s_cmp_lt_i32 s1, 39
	s_cbranch_scc1 .LBB74_779
; %bb.777:
	v_add3_u32 v1, v164, 0, 0x260
	v_mov_b32_e32 v162, 37
	s_mov_b32 s3, 38
	s_inst_prefetch 0x1
	.p2align	6
.LBB74_778:                             ; =>This Inner Loop Header: Depth=1
	s_waitcnt lgkmcnt(0)
	v_cmp_gt_f64_e32 vcc_lo, 0, v[156:157]
	v_cmp_gt_f64_e64 s0, 0, v[154:155]
	ds_read2_b64 v[169:172], v1 offset1:1
	v_xor_b32_e32 v164, 0x80000000, v155
	v_xor_b32_e32 v174, 0x80000000, v157
	v_mov_b32_e32 v163, v154
	v_mov_b32_e32 v173, v156
	v_add_nc_u32_e32 v1, 16, v1
	s_waitcnt lgkmcnt(0)
	v_xor_b32_e32 v176, 0x80000000, v172
	v_cndmask_b32_e64 v164, v155, v164, s0
	v_cndmask_b32_e32 v174, v157, v174, vcc_lo
	v_cmp_gt_f64_e32 vcc_lo, 0, v[171:172]
	v_cmp_gt_f64_e64 s0, 0, v[169:170]
	v_mov_b32_e32 v175, v171
	v_add_f64 v[163:164], v[163:164], v[173:174]
	v_xor_b32_e32 v174, 0x80000000, v170
	v_mov_b32_e32 v173, v169
	v_cndmask_b32_e32 v176, v172, v176, vcc_lo
	v_cndmask_b32_e64 v174, v170, v174, s0
	v_add_f64 v[173:174], v[173:174], v[175:176]
	v_cmp_lt_f64_e32 vcc_lo, v[163:164], v[173:174]
	v_cndmask_b32_e32 v155, v155, v170, vcc_lo
	v_cndmask_b32_e32 v154, v154, v169, vcc_lo
	;; [unrolled: 1-line block ×4, first 2 shown]
	v_cndmask_b32_e64 v162, v162, s3, vcc_lo
	s_add_i32 s3, s3, 1
	s_cmp_lg_u32 s1, s3
	s_cbranch_scc1 .LBB74_778
.LBB74_779:
	s_inst_prefetch 0x2
	s_waitcnt lgkmcnt(0)
	v_cmp_eq_f64_e32 vcc_lo, 0, v[154:155]
	v_cmp_eq_f64_e64 s0, 0, v[156:157]
	s_and_b32 s0, vcc_lo, s0
	s_and_saveexec_b32 s1, s0
	s_xor_b32 s0, exec_lo, s1
; %bb.780:
	v_cmp_ne_u32_e32 vcc_lo, 0, v167
	v_cndmask_b32_e32 v167, 38, v167, vcc_lo
; %bb.781:
	s_andn2_saveexec_b32 s0, s0
	s_cbranch_execz .LBB74_787
; %bb.782:
	v_cmp_ngt_f64_e64 s1, |v[154:155]|, |v[156:157]|
	s_and_saveexec_b32 s3, s1
	s_xor_b32 s1, exec_lo, s3
	s_cbranch_execz .LBB74_784
; %bb.783:
	v_div_scale_f64 v[163:164], null, v[156:157], v[156:157], v[154:155]
	v_div_scale_f64 v[173:174], vcc_lo, v[154:155], v[156:157], v[154:155]
	v_rcp_f64_e32 v[169:170], v[163:164]
	v_fma_f64 v[171:172], -v[163:164], v[169:170], 1.0
	v_fma_f64 v[169:170], v[169:170], v[171:172], v[169:170]
	v_fma_f64 v[171:172], -v[163:164], v[169:170], 1.0
	v_fma_f64 v[169:170], v[169:170], v[171:172], v[169:170]
	v_mul_f64 v[171:172], v[173:174], v[169:170]
	v_fma_f64 v[163:164], -v[163:164], v[171:172], v[173:174]
	v_div_fmas_f64 v[163:164], v[163:164], v[169:170], v[171:172]
	v_div_fixup_f64 v[163:164], v[163:164], v[156:157], v[154:155]
	v_fma_f64 v[154:155], v[154:155], v[163:164], v[156:157]
	v_div_scale_f64 v[156:157], null, v[154:155], v[154:155], 1.0
	v_rcp_f64_e32 v[169:170], v[156:157]
	v_fma_f64 v[171:172], -v[156:157], v[169:170], 1.0
	v_fma_f64 v[169:170], v[169:170], v[171:172], v[169:170]
	v_fma_f64 v[171:172], -v[156:157], v[169:170], 1.0
	v_fma_f64 v[169:170], v[169:170], v[171:172], v[169:170]
	v_div_scale_f64 v[171:172], vcc_lo, 1.0, v[154:155], 1.0
	v_mul_f64 v[173:174], v[171:172], v[169:170]
	v_fma_f64 v[156:157], -v[156:157], v[173:174], v[171:172]
	v_div_fmas_f64 v[156:157], v[156:157], v[169:170], v[173:174]
	v_div_fixup_f64 v[156:157], v[156:157], v[154:155], 1.0
	v_mul_f64 v[154:155], v[163:164], v[156:157]
	v_xor_b32_e32 v157, 0x80000000, v157
.LBB74_784:
	s_andn2_saveexec_b32 s1, s1
	s_cbranch_execz .LBB74_786
; %bb.785:
	v_div_scale_f64 v[163:164], null, v[154:155], v[154:155], v[156:157]
	v_div_scale_f64 v[173:174], vcc_lo, v[156:157], v[154:155], v[156:157]
	v_rcp_f64_e32 v[169:170], v[163:164]
	v_fma_f64 v[171:172], -v[163:164], v[169:170], 1.0
	v_fma_f64 v[169:170], v[169:170], v[171:172], v[169:170]
	v_fma_f64 v[171:172], -v[163:164], v[169:170], 1.0
	v_fma_f64 v[169:170], v[169:170], v[171:172], v[169:170]
	v_mul_f64 v[171:172], v[173:174], v[169:170]
	v_fma_f64 v[163:164], -v[163:164], v[171:172], v[173:174]
	v_div_fmas_f64 v[163:164], v[163:164], v[169:170], v[171:172]
	v_div_fixup_f64 v[163:164], v[163:164], v[154:155], v[156:157]
	v_fma_f64 v[154:155], v[156:157], v[163:164], v[154:155]
	v_div_scale_f64 v[156:157], null, v[154:155], v[154:155], 1.0
	v_rcp_f64_e32 v[169:170], v[156:157]
	v_fma_f64 v[171:172], -v[156:157], v[169:170], 1.0
	v_fma_f64 v[169:170], v[169:170], v[171:172], v[169:170]
	v_fma_f64 v[171:172], -v[156:157], v[169:170], 1.0
	v_fma_f64 v[169:170], v[169:170], v[171:172], v[169:170]
	v_div_scale_f64 v[171:172], vcc_lo, 1.0, v[154:155], 1.0
	v_mul_f64 v[173:174], v[171:172], v[169:170]
	v_fma_f64 v[156:157], -v[156:157], v[173:174], v[171:172]
	v_div_fmas_f64 v[156:157], v[156:157], v[169:170], v[173:174]
	v_div_fixup_f64 v[154:155], v[156:157], v[154:155], 1.0
	v_mul_f64 v[156:157], v[163:164], -v[154:155]
.LBB74_786:
	s_or_b32 exec_lo, exec_lo, s1
.LBB74_787:
	s_or_b32 exec_lo, exec_lo, s0
	v_mov_b32_e32 v163, 37
	s_mov_b32 s0, exec_lo
	v_cmpx_ne_u32_e64 v168, v162
	s_cbranch_execz .LBB74_793
; %bb.788:
	s_mov_b32 s1, exec_lo
	v_cmpx_eq_u32_e32 37, v168
	s_cbranch_execz .LBB74_792
; %bb.789:
	v_cmp_ne_u32_e32 vcc_lo, 37, v162
	s_xor_b32 s3, s16, -1
	s_and_b32 s8, s3, vcc_lo
	s_and_saveexec_b32 s3, s8
	s_cbranch_execz .LBB74_791
; %bb.790:
	v_ashrrev_i32_e32 v163, 31, v162
	v_lshlrev_b64 v[0:1], 2, v[162:163]
	v_add_co_u32 v0, vcc_lo, v160, v0
	v_add_co_ci_u32_e64 v1, null, v161, v1, vcc_lo
	s_clause 0x1
	global_load_dword v163, v[0:1], off
	global_load_dword v164, v[160:161], off offset:148
	s_waitcnt vmcnt(1)
	global_store_dword v[160:161], v163, off offset:148
	s_waitcnt vmcnt(0)
	global_store_dword v[0:1], v164, off
.LBB74_791:
	s_or_b32 exec_lo, exec_lo, s3
	v_mov_b32_e32 v168, v162
	v_mov_b32_e32 v0, v162
.LBB74_792:
	s_or_b32 exec_lo, exec_lo, s1
	v_mov_b32_e32 v163, v168
.LBB74_793:
	s_or_b32 exec_lo, exec_lo, s0
	s_mov_b32 s0, exec_lo
	s_waitcnt_vscnt null, 0x0
	s_barrier
	buffer_gl0_inv
	v_cmpx_lt_i32_e32 37, v163
	s_cbranch_execz .LBB74_795
; %bb.794:
	v_mul_f64 v[160:161], v[156:157], v[4:5]
	v_mul_f64 v[4:5], v[154:155], v[4:5]
	v_fma_f64 v[154:155], v[154:155], v[2:3], -v[160:161]
	v_fma_f64 v[4:5], v[156:157], v[2:3], v[4:5]
	v_mov_b32_e32 v2, v154
	v_mov_b32_e32 v3, v155
.LBB74_795:
	s_or_b32 exec_lo, exec_lo, s0
	v_ashrrev_i32_e32 v164, 31, v163
	s_mov_b32 s0, exec_lo
	s_barrier
	buffer_gl0_inv
	v_cmpx_gt_i32_e32 38, v163
	s_cbranch_execz .LBB74_797
; %bb.796:
	v_mul_lo_u32 v1, s15, v158
	v_mul_lo_u32 v156, s14, v159
	v_mad_u64_u32 v[154:155], null, s14, v158, 0
	s_lshl_b64 s[8:9], s[12:13], 2
	v_add3_u32 v0, v0, s17, 1
	v_add3_u32 v155, v155, v156, v1
	v_lshlrev_b64 v[154:155], 2, v[154:155]
	v_add_co_u32 v1, vcc_lo, s10, v154
	v_add_co_ci_u32_e64 v156, null, s11, v155, vcc_lo
	v_lshlrev_b64 v[154:155], 2, v[163:164]
	v_add_co_u32 v1, vcc_lo, v1, s8
	v_add_co_ci_u32_e64 v156, null, s9, v156, vcc_lo
	v_add_co_u32 v154, vcc_lo, v1, v154
	v_add_co_ci_u32_e64 v155, null, v156, v155, vcc_lo
	global_store_dword v[154:155], v0, off
.LBB74_797:
	s_or_b32 exec_lo, exec_lo, s0
	s_mov_b32 s1, exec_lo
	v_cmpx_eq_u32_e32 0, v163
	s_cbranch_execz .LBB74_800
; %bb.798:
	v_lshlrev_b64 v[0:1], 2, v[158:159]
	v_cmp_ne_u32_e64 s0, 0, v167
	v_add_co_u32 v0, vcc_lo, s4, v0
	v_add_co_ci_u32_e64 v1, null, s5, v1, vcc_lo
	global_load_dword v154, v[0:1], off
	s_waitcnt vmcnt(0)
	v_cmp_eq_u32_e32 vcc_lo, 0, v154
	s_and_b32 s0, vcc_lo, s0
	s_and_b32 exec_lo, exec_lo, s0
	s_cbranch_execz .LBB74_800
; %bb.799:
	v_add_nc_u32_e32 v154, s17, v167
	global_store_dword v[0:1], v154, off
.LBB74_800:
	s_or_b32 exec_lo, exec_lo, s1
	v_lshlrev_b64 v[154:155], 4, v[163:164]
	v_add3_u32 v0, s2, s2, v163
	v_ashrrev_i32_e32 v1, 31, v0
	v_add_co_u32 v154, vcc_lo, v165, v154
	v_add_co_ci_u32_e64 v155, null, v166, v155, vcc_lo
	v_add_nc_u32_e32 v156, s2, v0
	v_lshlrev_b64 v[0:1], 4, v[0:1]
	global_store_dwordx4 v[154:155], v[150:153], off
	v_add_co_u32 v150, vcc_lo, v154, s6
	v_add_nc_u32_e32 v152, s2, v156
	v_ashrrev_i32_e32 v157, 31, v156
	v_add_co_ci_u32_e64 v151, null, s7, v155, vcc_lo
	v_add_co_u32 v0, vcc_lo, v165, v0
	v_add_nc_u32_e32 v154, s2, v152
	v_add_co_ci_u32_e64 v1, null, v166, v1, vcc_lo
	v_ashrrev_i32_e32 v153, 31, v152
	v_lshlrev_b64 v[156:157], 4, v[156:157]
	v_ashrrev_i32_e32 v155, 31, v154
	global_store_dwordx4 v[150:151], v[146:149], off
	global_store_dwordx4 v[0:1], v[142:145], off
	v_add_nc_u32_e32 v146, s2, v154
	v_lshlrev_b64 v[0:1], 4, v[152:153]
	v_add_co_u32 v142, vcc_lo, v165, v156
	v_lshlrev_b64 v[144:145], 4, v[154:155]
	v_add_co_ci_u32_e64 v143, null, v166, v157, vcc_lo
	v_add_nc_u32_e32 v148, s2, v146
	v_add_co_u32 v0, vcc_lo, v165, v0
	v_add_co_ci_u32_e64 v1, null, v166, v1, vcc_lo
	v_ashrrev_i32_e32 v147, 31, v146
	v_add_co_u32 v144, vcc_lo, v165, v144
	global_store_dwordx4 v[142:143], v[130:133], off
	v_add_nc_u32_e32 v132, s2, v148
	v_add_co_ci_u32_e64 v145, null, v166, v145, vcc_lo
	v_ashrrev_i32_e32 v149, 31, v148
	v_lshlrev_b64 v[130:131], 4, v[146:147]
	global_store_dwordx4 v[0:1], v[138:141], off
	global_store_dwordx4 v[144:145], v[134:137], off
	v_add_nc_u32_e32 v134, s2, v132
	v_ashrrev_i32_e32 v133, 31, v132
	v_lshlrev_b64 v[0:1], 4, v[148:149]
	v_add_co_u32 v130, vcc_lo, v165, v130
	v_add_nc_u32_e32 v136, s2, v134
	v_add_co_ci_u32_e64 v131, null, v166, v131, vcc_lo
	v_add_co_u32 v0, vcc_lo, v165, v0
	v_ashrrev_i32_e32 v135, 31, v134
	v_add_co_ci_u32_e64 v1, null, v166, v1, vcc_lo
	v_ashrrev_i32_e32 v137, 31, v136
	v_lshlrev_b64 v[132:133], 4, v[132:133]
	global_store_dwordx4 v[130:131], v[126:129], off
	global_store_dwordx4 v[0:1], v[122:125], off
	v_lshlrev_b64 v[0:1], 4, v[134:135]
	v_add_nc_u32_e32 v126, s2, v136
	v_lshlrev_b64 v[124:125], 4, v[136:137]
	v_add_co_u32 v122, vcc_lo, v165, v132
	v_add_co_ci_u32_e64 v123, null, v166, v133, vcc_lo
	v_add_co_u32 v0, vcc_lo, v165, v0
	v_add_co_ci_u32_e64 v1, null, v166, v1, vcc_lo
	v_ashrrev_i32_e32 v127, 31, v126
	v_add_co_u32 v124, vcc_lo, v165, v124
	v_add_nc_u32_e32 v128, s2, v126
	v_add_co_ci_u32_e64 v125, null, v166, v125, vcc_lo
	global_store_dwordx4 v[122:123], v[114:117], off
	v_lshlrev_b64 v[114:115], 4, v[126:127]
	v_ashrrev_i32_e32 v129, 31, v128
	global_store_dwordx4 v[0:1], v[110:113], off
	global_store_dwordx4 v[124:125], v[118:121], off
	v_add_nc_u32_e32 v110, s2, v128
	v_lshlrev_b64 v[0:1], 4, v[128:129]
	v_add_co_u32 v112, vcc_lo, v165, v114
	v_add_nc_u32_e32 v114, s2, v110
	v_ashrrev_i32_e32 v111, 31, v110
	v_add_co_ci_u32_e64 v113, null, v166, v115, vcc_lo
	v_add_co_u32 v0, vcc_lo, v165, v0
	v_add_nc_u32_e32 v116, s2, v114
	v_add_co_ci_u32_e64 v1, null, v166, v1, vcc_lo
	v_ashrrev_i32_e32 v115, 31, v114
	v_lshlrev_b64 v[110:111], 4, v[110:111]
	v_ashrrev_i32_e32 v117, 31, v116
	global_store_dwordx4 v[112:113], v[102:105], off
	global_store_dwordx4 v[0:1], v[106:109], off
	v_add_nc_u32_e32 v106, s2, v116
	v_lshlrev_b64 v[0:1], 4, v[114:115]
	v_add_co_u32 v102, vcc_lo, v165, v110
	v_lshlrev_b64 v[104:105], 4, v[116:117]
	v_add_co_ci_u32_e64 v103, null, v166, v111, vcc_lo
	v_add_nc_u32_e32 v108, s2, v106
	v_add_co_u32 v0, vcc_lo, v165, v0
	v_add_co_ci_u32_e64 v1, null, v166, v1, vcc_lo
	v_ashrrev_i32_e32 v107, 31, v106
	v_add_co_u32 v104, vcc_lo, v165, v104
	global_store_dwordx4 v[102:103], v[90:93], off
	v_add_nc_u32_e32 v92, s2, v108
	v_add_co_ci_u32_e64 v105, null, v166, v105, vcc_lo
	v_ashrrev_i32_e32 v109, 31, v108
	v_lshlrev_b64 v[90:91], 4, v[106:107]
	global_store_dwordx4 v[0:1], v[98:101], off
	global_store_dwordx4 v[104:105], v[94:97], off
	v_add_nc_u32_e32 v94, s2, v92
	v_ashrrev_i32_e32 v93, 31, v92
	v_lshlrev_b64 v[0:1], 4, v[108:109]
	v_add_co_u32 v90, vcc_lo, v165, v90
	v_add_nc_u32_e32 v96, s2, v94
	v_add_co_ci_u32_e64 v91, null, v166, v91, vcc_lo
	v_add_co_u32 v0, vcc_lo, v165, v0
	v_ashrrev_i32_e32 v95, 31, v94
	v_add_co_ci_u32_e64 v1, null, v166, v1, vcc_lo
	v_ashrrev_i32_e32 v97, 31, v96
	v_lshlrev_b64 v[92:93], 4, v[92:93]
	global_store_dwordx4 v[90:91], v[86:89], off
	global_store_dwordx4 v[0:1], v[82:85], off
	v_lshlrev_b64 v[0:1], 4, v[94:95]
	v_add_nc_u32_e32 v86, s2, v96
	v_lshlrev_b64 v[84:85], 4, v[96:97]
	v_add_co_u32 v82, vcc_lo, v165, v92
	v_add_co_ci_u32_e64 v83, null, v166, v93, vcc_lo
	v_add_co_u32 v0, vcc_lo, v165, v0
	v_add_co_ci_u32_e64 v1, null, v166, v1, vcc_lo
	v_ashrrev_i32_e32 v87, 31, v86
	v_add_co_u32 v84, vcc_lo, v165, v84
	v_add_nc_u32_e32 v88, s2, v86
	v_add_co_ci_u32_e64 v85, null, v166, v85, vcc_lo
	global_store_dwordx4 v[82:83], v[74:77], off
	v_lshlrev_b64 v[74:75], 4, v[86:87]
	v_ashrrev_i32_e32 v89, 31, v88
	global_store_dwordx4 v[0:1], v[70:73], off
	global_store_dwordx4 v[84:85], v[78:81], off
	v_add_nc_u32_e32 v70, s2, v88
	v_lshlrev_b64 v[0:1], 4, v[88:89]
	v_add_co_u32 v72, vcc_lo, v165, v74
	v_add_nc_u32_e32 v74, s2, v70
	v_ashrrev_i32_e32 v71, 31, v70
	v_add_co_ci_u32_e64 v73, null, v166, v75, vcc_lo
	v_add_co_u32 v0, vcc_lo, v165, v0
	v_add_nc_u32_e32 v76, s2, v74
	v_add_co_ci_u32_e64 v1, null, v166, v1, vcc_lo
	v_ashrrev_i32_e32 v75, 31, v74
	v_lshlrev_b64 v[70:71], 4, v[70:71]
	v_ashrrev_i32_e32 v77, 31, v76
	global_store_dwordx4 v[72:73], v[62:65], off
	global_store_dwordx4 v[0:1], v[66:69], off
	v_add_nc_u32_e32 v66, s2, v76
	v_lshlrev_b64 v[0:1], 4, v[74:75]
	v_add_co_u32 v62, vcc_lo, v165, v70
	v_lshlrev_b64 v[64:65], 4, v[76:77]
	v_add_co_ci_u32_e64 v63, null, v166, v71, vcc_lo
	v_add_nc_u32_e32 v68, s2, v66
	v_add_co_u32 v0, vcc_lo, v165, v0
	v_add_co_ci_u32_e64 v1, null, v166, v1, vcc_lo
	v_ashrrev_i32_e32 v67, 31, v66
	v_add_co_u32 v64, vcc_lo, v165, v64
	global_store_dwordx4 v[62:63], v[50:53], off
	v_add_nc_u32_e32 v52, s2, v68
	v_add_co_ci_u32_e64 v65, null, v166, v65, vcc_lo
	v_ashrrev_i32_e32 v69, 31, v68
	v_lshlrev_b64 v[50:51], 4, v[66:67]
	global_store_dwordx4 v[0:1], v[58:61], off
	global_store_dwordx4 v[64:65], v[54:57], off
	v_add_nc_u32_e32 v54, s2, v52
	v_ashrrev_i32_e32 v53, 31, v52
	v_lshlrev_b64 v[0:1], 4, v[68:69]
	v_add_co_u32 v50, vcc_lo, v165, v50
	v_add_nc_u32_e32 v56, s2, v54
	v_add_co_ci_u32_e64 v51, null, v166, v51, vcc_lo
	v_add_co_u32 v0, vcc_lo, v165, v0
	v_ashrrev_i32_e32 v55, 31, v54
	v_add_co_ci_u32_e64 v1, null, v166, v1, vcc_lo
	v_ashrrev_i32_e32 v57, 31, v56
	v_lshlrev_b64 v[52:53], 4, v[52:53]
	global_store_dwordx4 v[50:51], v[42:45], off
	global_store_dwordx4 v[0:1], v[38:41], off
	v_lshlrev_b64 v[0:1], 4, v[54:55]
	v_add_nc_u32_e32 v42, s2, v56
	v_lshlrev_b64 v[40:41], 4, v[56:57]
	v_add_co_u32 v38, vcc_lo, v165, v52
	v_add_co_ci_u32_e64 v39, null, v166, v53, vcc_lo
	v_add_co_u32 v0, vcc_lo, v165, v0
	v_add_nc_u32_e32 v44, s2, v42
	v_add_co_ci_u32_e64 v1, null, v166, v1, vcc_lo
	v_ashrrev_i32_e32 v43, 31, v42
	v_add_co_u32 v40, vcc_lo, v165, v40
	v_add_co_ci_u32_e64 v41, null, v166, v41, vcc_lo
	v_ashrrev_i32_e32 v45, 31, v44
	global_store_dwordx4 v[38:39], v[34:37], off
	v_lshlrev_b64 v[34:35], 4, v[42:43]
	global_store_dwordx4 v[0:1], v[30:33], off
	global_store_dwordx4 v[40:41], v[46:49], off
	v_add_nc_u32_e32 v30, s2, v44
	v_lshlrev_b64 v[0:1], 4, v[44:45]
	v_add_co_u32 v32, vcc_lo, v165, v34
	v_add_nc_u32_e32 v34, s2, v30
	v_add_co_ci_u32_e64 v33, null, v166, v35, vcc_lo
	v_add_co_u32 v0, vcc_lo, v165, v0
	v_add_co_ci_u32_e64 v1, null, v166, v1, vcc_lo
	v_add_nc_u32_e32 v36, s2, v34
	v_ashrrev_i32_e32 v31, 31, v30
	global_store_dwordx4 v[32:33], v[26:29], off
	global_store_dwordx4 v[0:1], v[22:25], off
	v_ashrrev_i32_e32 v35, 31, v34
	v_add_nc_u32_e32 v22, s2, v36
	v_lshlrev_b64 v[26:27], 4, v[30:31]
	v_ashrrev_i32_e32 v37, 31, v36
	v_lshlrev_b64 v[0:1], 4, v[34:35]
	v_add_nc_u32_e32 v28, s2, v22
	v_ashrrev_i32_e32 v23, 31, v22
	v_add_co_u32 v24, vcc_lo, v165, v26
	v_add_co_ci_u32_e64 v25, null, v166, v27, vcc_lo
	v_ashrrev_i32_e32 v29, 31, v28
	v_lshlrev_b64 v[26:27], 4, v[36:37]
	v_lshlrev_b64 v[22:23], 4, v[22:23]
	v_add_co_u32 v0, vcc_lo, v165, v0
	v_lshlrev_b64 v[28:29], 4, v[28:29]
	v_add_co_ci_u32_e64 v1, null, v166, v1, vcc_lo
	v_add_co_u32 v26, vcc_lo, v165, v26
	v_add_co_ci_u32_e64 v27, null, v166, v27, vcc_lo
	v_add_co_u32 v22, vcc_lo, v165, v22
	;; [unrolled: 2-line block ×3, first 2 shown]
	v_add_co_ci_u32_e64 v29, null, v166, v29, vcc_lo
	global_store_dwordx4 v[24:25], v[18:21], off
	global_store_dwordx4 v[0:1], v[14:17], off
	;; [unrolled: 1-line block ×5, first 2 shown]
.LBB74_801:
	s_endpgm
	.section	.rodata,"a",@progbits
	.p2align	6, 0x0
	.amdhsa_kernel _ZN9rocsolver6v33100L18getf2_small_kernelILi38E19rocblas_complex_numIdEiiPS3_EEvT1_T3_lS5_lPS5_llPT2_S5_S5_S7_l
		.amdhsa_group_segment_fixed_size 0
		.amdhsa_private_segment_fixed_size 0
		.amdhsa_kernarg_size 352
		.amdhsa_user_sgpr_count 6
		.amdhsa_user_sgpr_private_segment_buffer 1
		.amdhsa_user_sgpr_dispatch_ptr 0
		.amdhsa_user_sgpr_queue_ptr 0
		.amdhsa_user_sgpr_kernarg_segment_ptr 1
		.amdhsa_user_sgpr_dispatch_id 0
		.amdhsa_user_sgpr_flat_scratch_init 0
		.amdhsa_user_sgpr_private_segment_size 0
		.amdhsa_wavefront_size32 1
		.amdhsa_uses_dynamic_stack 0
		.amdhsa_system_sgpr_private_segment_wavefront_offset 0
		.amdhsa_system_sgpr_workgroup_id_x 1
		.amdhsa_system_sgpr_workgroup_id_y 1
		.amdhsa_system_sgpr_workgroup_id_z 0
		.amdhsa_system_sgpr_workgroup_info 0
		.amdhsa_system_vgpr_workitem_id 1
		.amdhsa_next_free_vgpr 187
		.amdhsa_next_free_sgpr 24
		.amdhsa_reserve_vcc 1
		.amdhsa_reserve_flat_scratch 0
		.amdhsa_float_round_mode_32 0
		.amdhsa_float_round_mode_16_64 0
		.amdhsa_float_denorm_mode_32 3
		.amdhsa_float_denorm_mode_16_64 3
		.amdhsa_dx10_clamp 1
		.amdhsa_ieee_mode 1
		.amdhsa_fp16_overflow 0
		.amdhsa_workgroup_processor_mode 1
		.amdhsa_memory_ordered 1
		.amdhsa_forward_progress 1
		.amdhsa_shared_vgpr_count 0
		.amdhsa_exception_fp_ieee_invalid_op 0
		.amdhsa_exception_fp_denorm_src 0
		.amdhsa_exception_fp_ieee_div_zero 0
		.amdhsa_exception_fp_ieee_overflow 0
		.amdhsa_exception_fp_ieee_underflow 0
		.amdhsa_exception_fp_ieee_inexact 0
		.amdhsa_exception_int_div_zero 0
	.end_amdhsa_kernel
	.section	.text._ZN9rocsolver6v33100L18getf2_small_kernelILi38E19rocblas_complex_numIdEiiPS3_EEvT1_T3_lS5_lPS5_llPT2_S5_S5_S7_l,"axG",@progbits,_ZN9rocsolver6v33100L18getf2_small_kernelILi38E19rocblas_complex_numIdEiiPS3_EEvT1_T3_lS5_lPS5_llPT2_S5_S5_S7_l,comdat
.Lfunc_end74:
	.size	_ZN9rocsolver6v33100L18getf2_small_kernelILi38E19rocblas_complex_numIdEiiPS3_EEvT1_T3_lS5_lPS5_llPT2_S5_S5_S7_l, .Lfunc_end74-_ZN9rocsolver6v33100L18getf2_small_kernelILi38E19rocblas_complex_numIdEiiPS3_EEvT1_T3_lS5_lPS5_llPT2_S5_S5_S7_l
                                        ; -- End function
	.set _ZN9rocsolver6v33100L18getf2_small_kernelILi38E19rocblas_complex_numIdEiiPS3_EEvT1_T3_lS5_lPS5_llPT2_S5_S5_S7_l.num_vgpr, 187
	.set _ZN9rocsolver6v33100L18getf2_small_kernelILi38E19rocblas_complex_numIdEiiPS3_EEvT1_T3_lS5_lPS5_llPT2_S5_S5_S7_l.num_agpr, 0
	.set _ZN9rocsolver6v33100L18getf2_small_kernelILi38E19rocblas_complex_numIdEiiPS3_EEvT1_T3_lS5_lPS5_llPT2_S5_S5_S7_l.numbered_sgpr, 24
	.set _ZN9rocsolver6v33100L18getf2_small_kernelILi38E19rocblas_complex_numIdEiiPS3_EEvT1_T3_lS5_lPS5_llPT2_S5_S5_S7_l.num_named_barrier, 0
	.set _ZN9rocsolver6v33100L18getf2_small_kernelILi38E19rocblas_complex_numIdEiiPS3_EEvT1_T3_lS5_lPS5_llPT2_S5_S5_S7_l.private_seg_size, 0
	.set _ZN9rocsolver6v33100L18getf2_small_kernelILi38E19rocblas_complex_numIdEiiPS3_EEvT1_T3_lS5_lPS5_llPT2_S5_S5_S7_l.uses_vcc, 1
	.set _ZN9rocsolver6v33100L18getf2_small_kernelILi38E19rocblas_complex_numIdEiiPS3_EEvT1_T3_lS5_lPS5_llPT2_S5_S5_S7_l.uses_flat_scratch, 0
	.set _ZN9rocsolver6v33100L18getf2_small_kernelILi38E19rocblas_complex_numIdEiiPS3_EEvT1_T3_lS5_lPS5_llPT2_S5_S5_S7_l.has_dyn_sized_stack, 0
	.set _ZN9rocsolver6v33100L18getf2_small_kernelILi38E19rocblas_complex_numIdEiiPS3_EEvT1_T3_lS5_lPS5_llPT2_S5_S5_S7_l.has_recursion, 0
	.set _ZN9rocsolver6v33100L18getf2_small_kernelILi38E19rocblas_complex_numIdEiiPS3_EEvT1_T3_lS5_lPS5_llPT2_S5_S5_S7_l.has_indirect_call, 0
	.section	.AMDGPU.csdata,"",@progbits
; Kernel info:
; codeLenInByte = 88608
; TotalNumSgprs: 26
; NumVgprs: 187
; ScratchSize: 0
; MemoryBound: 0
; FloatMode: 240
; IeeeMode: 1
; LDSByteSize: 0 bytes/workgroup (compile time only)
; SGPRBlocks: 0
; VGPRBlocks: 23
; NumSGPRsForWavesPerEU: 26
; NumVGPRsForWavesPerEU: 187
; Occupancy: 5
; WaveLimiterHint : 0
; COMPUTE_PGM_RSRC2:SCRATCH_EN: 0
; COMPUTE_PGM_RSRC2:USER_SGPR: 6
; COMPUTE_PGM_RSRC2:TRAP_HANDLER: 0
; COMPUTE_PGM_RSRC2:TGID_X_EN: 1
; COMPUTE_PGM_RSRC2:TGID_Y_EN: 1
; COMPUTE_PGM_RSRC2:TGID_Z_EN: 0
; COMPUTE_PGM_RSRC2:TIDIG_COMP_CNT: 1
	.section	.text._ZN9rocsolver6v33100L23getf2_npvt_small_kernelILi38E19rocblas_complex_numIdEiiPS3_EEvT1_T3_lS5_lPT2_S5_S5_,"axG",@progbits,_ZN9rocsolver6v33100L23getf2_npvt_small_kernelILi38E19rocblas_complex_numIdEiiPS3_EEvT1_T3_lS5_lPT2_S5_S5_,comdat
	.globl	_ZN9rocsolver6v33100L23getf2_npvt_small_kernelILi38E19rocblas_complex_numIdEiiPS3_EEvT1_T3_lS5_lPT2_S5_S5_ ; -- Begin function _ZN9rocsolver6v33100L23getf2_npvt_small_kernelILi38E19rocblas_complex_numIdEiiPS3_EEvT1_T3_lS5_lPT2_S5_S5_
	.p2align	8
	.type	_ZN9rocsolver6v33100L23getf2_npvt_small_kernelILi38E19rocblas_complex_numIdEiiPS3_EEvT1_T3_lS5_lPT2_S5_S5_,@function
_ZN9rocsolver6v33100L23getf2_npvt_small_kernelILi38E19rocblas_complex_numIdEiiPS3_EEvT1_T3_lS5_lPT2_S5_S5_: ; @_ZN9rocsolver6v33100L23getf2_npvt_small_kernelILi38E19rocblas_complex_numIdEiiPS3_EEvT1_T3_lS5_lPT2_S5_S5_
; %bb.0:
	s_mov_b64 s[18:19], s[2:3]
	s_mov_b64 s[16:17], s[0:1]
	s_clause 0x1
	s_load_dword s0, s[4:5], 0x44
	s_load_dwordx2 s[12:13], s[4:5], 0x30
	s_add_u32 s16, s16, s8
	s_addc_u32 s17, s17, 0
	s_waitcnt lgkmcnt(0)
	s_lshr_b32 s14, s0, 16
	s_mov_b32 s0, exec_lo
	v_mad_u64_u32 v[2:3], null, s7, s14, v[1:2]
	v_cmpx_gt_i32_e64 s12, v2
	s_cbranch_execz .LBB75_347
; %bb.1:
	s_clause 0x2
	s_load_dwordx4 s[8:11], s[4:5], 0x20
	s_load_dword s6, s[4:5], 0x18
	s_load_dwordx4 s[0:3], s[4:5], 0x8
	v_ashrrev_i32_e32 v3, 31, v2
	s_mulk_i32 s14, 0x260
	v_mad_u32_u24 v206, 0x260, v1, 0
	s_waitcnt lgkmcnt(0)
	v_mul_lo_u32 v5, s9, v2
	v_mul_lo_u32 v7, s8, v3
	buffer_store_dword v2, off, s[16:19], 0 offset:536 ; 4-byte Folded Spill
	buffer_store_dword v3, off, s[16:19], 0 offset:540 ; 4-byte Folded Spill
	v_add3_u32 v4, s6, s6, v0
	s_lshl_b64 s[2:3], s[2:3], 4
	s_ashr_i32 s7, s6, 31
	v_add_nc_u32_e32 v6, s6, v4
	v_add_nc_u32_e32 v8, s6, v6
	;; [unrolled: 1-line block ×3, first 2 shown]
	v_ashrrev_i32_e32 v9, 31, v8
	v_add_nc_u32_e32 v12, s6, v10
	v_ashrrev_i32_e32 v11, 31, v10
	v_lshlrev_b64 v[8:9], 4, v[8:9]
	v_add_nc_u32_e32 v14, s6, v12
	v_ashrrev_i32_e32 v13, 31, v12
	v_lshlrev_b64 v[10:11], 4, v[10:11]
	v_ashrrev_i32_e32 v15, 31, v14
	v_mad_u64_u32 v[2:3], null, s8, v2, 0
	v_add3_u32 v3, v3, v7, v5
	v_ashrrev_i32_e32 v5, 31, v4
	v_ashrrev_i32_e32 v7, 31, v6
	v_lshlrev_b64 v[2:3], 4, v[2:3]
	v_lshlrev_b64 v[4:5], 4, v[4:5]
	;; [unrolled: 1-line block ×3, first 2 shown]
	v_add_co_u32 v2, vcc_lo, s0, v2
	v_add_co_ci_u32_e64 v3, null, s1, v3, vcc_lo
	s_lshl_b64 s[0:1], s[6:7], 4
	v_add_co_u32 v2, vcc_lo, v2, s2
	v_add_co_ci_u32_e64 v3, null, s3, v3, vcc_lo
	v_add_co_u32 v215, vcc_lo, v2, v4
	v_add_co_ci_u32_e64 v216, null, v3, v5, vcc_lo
	v_add_co_u32 v254, vcc_lo, v2, v6
	v_add_nc_u32_e32 v6, s6, v14
	v_lshlrev_b64 v[4:5], 4, v[12:13]
	v_add_co_ci_u32_e64 v255, null, v3, v7, vcc_lo
	v_add_co_u32 v211, vcc_lo, v2, v8
	v_add_co_ci_u32_e64 v212, null, v3, v9, vcc_lo
	v_add_co_u32 v213, vcc_lo, v2, v10
	v_ashrrev_i32_e32 v7, 31, v6
	v_add_nc_u32_e32 v10, s6, v6
	v_lshlrev_b64 v[8:9], 4, v[14:15]
	v_add_co_ci_u32_e64 v214, null, v3, v11, vcc_lo
	v_add_co_u32 v219, vcc_lo, v2, v4
	v_add_co_ci_u32_e64 v220, null, v3, v5, vcc_lo
	v_lshlrev_b64 v[4:5], 4, v[6:7]
	v_ashrrev_i32_e32 v11, 31, v10
	v_add_nc_u32_e32 v6, s6, v10
	v_add_co_u32 v217, vcc_lo, v2, v8
	v_add_co_ci_u32_e64 v218, null, v3, v9, vcc_lo
	v_lshlrev_b64 v[8:9], 4, v[10:11]
	v_ashrrev_i32_e32 v7, 31, v6
	v_add_nc_u32_e32 v10, s6, v6
	;; [unrolled: 5-line block ×26, first 2 shown]
	v_add_co_u32 v154, vcc_lo, v2, v4
	v_add_co_ci_u32_e64 v155, null, v3, v5, vcc_lo
	v_lshlrev_b64 v[4:5], 4, v[6:7]
	v_add_nc_u32_e32 v6, s6, v10
	v_ashrrev_i32_e32 v11, 31, v10
	v_add_co_u32 v156, vcc_lo, v2, v8
	v_add_co_ci_u32_e64 v157, null, v3, v9, vcc_lo
	v_ashrrev_i32_e32 v7, 31, v6
	v_lshlrev_b64 v[8:9], 4, v[10:11]
	v_add_co_u32 v10, vcc_lo, v2, v4
	v_add_co_ci_u32_e64 v11, null, v3, v5, vcc_lo
	v_lshlrev_b64 v[4:5], 4, v[6:7]
	v_add_nc_u32_e32 v6, s6, v6
	v_add_co_u32 v158, vcc_lo, v2, v8
	v_lshlrev_b32_e32 v8, 4, v0
	v_add_co_ci_u32_e64 v159, null, v3, v9, vcc_lo
	v_add_co_u32 v160, vcc_lo, v2, v4
	v_ashrrev_i32_e32 v7, 31, v6
	v_add_co_ci_u32_e64 v161, null, v3, v5, vcc_lo
	v_add_co_u32 v8, vcc_lo, v2, v8
	v_add_co_ci_u32_e64 v9, null, 0, v3, vcc_lo
	v_lshlrev_b64 v[4:5], 4, v[6:7]
	v_add_co_u32 v6, vcc_lo, v8, s0
	v_add_co_ci_u32_e64 v7, null, s1, v9, vcc_lo
	buffer_store_dword v8, off, s[16:19], 0 offset:112 ; 4-byte Folded Spill
	buffer_store_dword v9, off, s[16:19], 0 offset:116 ; 4-byte Folded Spill
	v_add_co_u32 v2, vcc_lo, v2, v4
	v_add_co_ci_u32_e64 v3, null, v3, v5, vcc_lo
	v_cmp_ne_u32_e64 s1, 0, v0
	v_cmp_eq_u32_e64 s0, 0, v0
	global_load_dwordx4 v[150:153], v[8:9], off
	buffer_store_dword v6, off, s[16:19], 0 offset:104 ; 4-byte Folded Spill
	buffer_store_dword v7, off, s[16:19], 0 offset:108 ; 4-byte Folded Spill
	s_clause 0x17
	global_load_dwordx4 v[146:149], v[6:7], off
	global_load_dwordx4 v[142:145], v[215:216], off
	;; [unrolled: 1-line block ×24, first 2 shown]
	buffer_store_dword v12, off, s[16:19], 0 ; 4-byte Folded Spill
	buffer_store_dword v13, off, s[16:19], 0 offset:4 ; 4-byte Folded Spill
	global_load_dwordx4 v[50:53], v[12:13], off
	buffer_store_dword v14, off, s[16:19], 0 offset:8 ; 4-byte Folded Spill
	buffer_store_dword v15, off, s[16:19], 0 offset:12 ; 4-byte Folded Spill
	global_load_dwordx4 v[46:49], v[14:15], off
	buffer_store_dword v16, off, s[16:19], 0 offset:16 ; 4-byte Folded Spill
	;; [unrolled: 3-line block ×8, first 2 shown]
	buffer_store_dword v157, off, s[16:19], 0 offset:76 ; 4-byte Folded Spill
	v_lshlrev_b32_e32 v154, 4, v1
	v_add3_u32 v1, 0, s14, v154
	global_load_dwordx4 v[18:21], v[156:157], off
	buffer_store_dword v10, off, s[16:19], 0 offset:64 ; 4-byte Folded Spill
	buffer_store_dword v11, off, s[16:19], 0 offset:68 ; 4-byte Folded Spill
	global_load_dwordx4 v[14:17], v[10:11], off
	buffer_store_dword v158, off, s[16:19], 0 offset:80 ; 4-byte Folded Spill
	buffer_store_dword v159, off, s[16:19], 0 offset:84 ; 4-byte Folded Spill
	;; [unrolled: 3-line block ×4, first 2 shown]
	global_load_dwordx4 v[2:5], v[2:3], off
	s_and_saveexec_b32 s3, s0
	s_cbranch_execz .LBB75_8
; %bb.2:
	s_waitcnt vmcnt(37)
	ds_write2_b64 v1, v[150:151], v[152:153] offset1:1
	s_waitcnt vmcnt(36)
	ds_write2_b64 v206, v[146:147], v[148:149] offset0:2 offset1:3
	s_waitcnt vmcnt(35)
	ds_write2_b64 v206, v[142:143], v[144:145] offset0:4 offset1:5
	;; [unrolled: 2-line block ×37, first 2 shown]
	ds_read2_b64 v[154:157], v1 offset1:1
	s_waitcnt lgkmcnt(0)
	v_cmp_neq_f64_e32 vcc_lo, 0, v[154:155]
	v_cmp_neq_f64_e64 s2, 0, v[156:157]
	s_or_b32 s2, vcc_lo, s2
	s_and_b32 exec_lo, exec_lo, s2
	s_cbranch_execz .LBB75_8
; %bb.3:
	v_cmp_ngt_f64_e64 s2, |v[154:155]|, |v[156:157]|
                                        ; implicit-def: $vgpr158_vgpr159
	s_and_saveexec_b32 s4, s2
	s_xor_b32 s2, exec_lo, s4
                                        ; implicit-def: $vgpr160_vgpr161
	s_cbranch_execz .LBB75_5
; %bb.4:
	v_div_scale_f64 v[158:159], null, v[156:157], v[156:157], v[154:155]
	v_div_scale_f64 v[164:165], vcc_lo, v[154:155], v[156:157], v[154:155]
	v_rcp_f64_e32 v[160:161], v[158:159]
	v_fma_f64 v[162:163], -v[158:159], v[160:161], 1.0
	v_fma_f64 v[160:161], v[160:161], v[162:163], v[160:161]
	v_fma_f64 v[162:163], -v[158:159], v[160:161], 1.0
	v_fma_f64 v[160:161], v[160:161], v[162:163], v[160:161]
	v_mul_f64 v[162:163], v[164:165], v[160:161]
	v_fma_f64 v[158:159], -v[158:159], v[162:163], v[164:165]
	v_div_fmas_f64 v[158:159], v[158:159], v[160:161], v[162:163]
	v_div_fixup_f64 v[158:159], v[158:159], v[156:157], v[154:155]
	v_fma_f64 v[154:155], v[154:155], v[158:159], v[156:157]
	v_div_scale_f64 v[156:157], null, v[154:155], v[154:155], 1.0
	v_rcp_f64_e32 v[160:161], v[156:157]
	v_fma_f64 v[162:163], -v[156:157], v[160:161], 1.0
	v_fma_f64 v[160:161], v[160:161], v[162:163], v[160:161]
	v_fma_f64 v[162:163], -v[156:157], v[160:161], 1.0
	v_fma_f64 v[160:161], v[160:161], v[162:163], v[160:161]
	v_div_scale_f64 v[162:163], vcc_lo, 1.0, v[154:155], 1.0
	v_mul_f64 v[164:165], v[162:163], v[160:161]
	v_fma_f64 v[156:157], -v[156:157], v[164:165], v[162:163]
	v_div_fmas_f64 v[156:157], v[156:157], v[160:161], v[164:165]
	v_div_fixup_f64 v[160:161], v[156:157], v[154:155], 1.0
                                        ; implicit-def: $vgpr154_vgpr155
	v_mul_f64 v[158:159], v[158:159], v[160:161]
	v_xor_b32_e32 v161, 0x80000000, v161
.LBB75_5:
	s_andn2_saveexec_b32 s2, s2
	s_cbranch_execz .LBB75_7
; %bb.6:
	v_div_scale_f64 v[158:159], null, v[154:155], v[154:155], v[156:157]
	v_div_scale_f64 v[164:165], vcc_lo, v[156:157], v[154:155], v[156:157]
	v_rcp_f64_e32 v[160:161], v[158:159]
	v_fma_f64 v[162:163], -v[158:159], v[160:161], 1.0
	v_fma_f64 v[160:161], v[160:161], v[162:163], v[160:161]
	v_fma_f64 v[162:163], -v[158:159], v[160:161], 1.0
	v_fma_f64 v[160:161], v[160:161], v[162:163], v[160:161]
	v_mul_f64 v[162:163], v[164:165], v[160:161]
	v_fma_f64 v[158:159], -v[158:159], v[162:163], v[164:165]
	v_div_fmas_f64 v[158:159], v[158:159], v[160:161], v[162:163]
	v_div_fixup_f64 v[160:161], v[158:159], v[154:155], v[156:157]
	v_fma_f64 v[154:155], v[156:157], v[160:161], v[154:155]
	v_div_scale_f64 v[156:157], null, v[154:155], v[154:155], 1.0
	v_rcp_f64_e32 v[158:159], v[156:157]
	v_fma_f64 v[162:163], -v[156:157], v[158:159], 1.0
	v_fma_f64 v[158:159], v[158:159], v[162:163], v[158:159]
	v_fma_f64 v[162:163], -v[156:157], v[158:159], 1.0
	v_fma_f64 v[158:159], v[158:159], v[162:163], v[158:159]
	v_div_scale_f64 v[162:163], vcc_lo, 1.0, v[154:155], 1.0
	v_mul_f64 v[164:165], v[162:163], v[158:159]
	v_fma_f64 v[156:157], -v[156:157], v[164:165], v[162:163]
	v_div_fmas_f64 v[156:157], v[156:157], v[158:159], v[164:165]
	v_div_fixup_f64 v[158:159], v[156:157], v[154:155], 1.0
	v_mul_f64 v[160:161], v[160:161], -v[158:159]
.LBB75_7:
	s_or_b32 exec_lo, exec_lo, s2
	ds_write2_b64 v1, v[158:159], v[160:161] offset1:1
.LBB75_8:
	s_or_b32 exec_lo, exec_lo, s3
	s_waitcnt vmcnt(0) lgkmcnt(0)
	s_waitcnt_vscnt null, 0x0
	s_barrier
	buffer_gl0_inv
	ds_read2_b64 v[154:157], v1 offset1:1
	s_waitcnt lgkmcnt(0)
	buffer_store_dword v154, off, s[16:19], 0 offset:120 ; 4-byte Folded Spill
	buffer_store_dword v155, off, s[16:19], 0 offset:124 ; 4-byte Folded Spill
	;; [unrolled: 1-line block ×4, first 2 shown]
	s_and_saveexec_b32 s2, s1
	s_cbranch_execz .LBB75_10
; %bb.9:
	s_clause 0x3
	buffer_load_dword v156, off, s[16:19], 0 offset:120
	buffer_load_dword v157, off, s[16:19], 0 offset:124
	;; [unrolled: 1-line block ×4, first 2 shown]
	s_waitcnt vmcnt(0)
	v_mul_f64 v[154:155], v[158:159], v[152:153]
	v_mul_f64 v[152:153], v[156:157], v[152:153]
	v_fma_f64 v[154:155], v[156:157], v[150:151], -v[154:155]
	v_fma_f64 v[152:153], v[158:159], v[150:151], v[152:153]
	ds_read2_b64 v[156:159], v206 offset0:2 offset1:3
	s_waitcnt lgkmcnt(0)
	v_mul_f64 v[150:151], v[158:159], v[152:153]
	v_fma_f64 v[150:151], v[156:157], v[154:155], -v[150:151]
	v_mul_f64 v[156:157], v[156:157], v[152:153]
	v_add_f64 v[146:147], v[146:147], -v[150:151]
	v_fma_f64 v[156:157], v[158:159], v[154:155], v[156:157]
	v_add_f64 v[148:149], v[148:149], -v[156:157]
	ds_read2_b64 v[156:159], v206 offset0:4 offset1:5
	s_waitcnt lgkmcnt(0)
	v_mul_f64 v[150:151], v[158:159], v[152:153]
	v_fma_f64 v[150:151], v[156:157], v[154:155], -v[150:151]
	v_mul_f64 v[156:157], v[156:157], v[152:153]
	v_add_f64 v[142:143], v[142:143], -v[150:151]
	v_fma_f64 v[156:157], v[158:159], v[154:155], v[156:157]
	v_add_f64 v[144:145], v[144:145], -v[156:157]
	;; [unrolled: 8-line block ×36, first 2 shown]
	ds_read2_b64 v[156:159], v206 offset0:74 offset1:75
	s_waitcnt lgkmcnt(0)
	v_mul_f64 v[150:151], v[158:159], v[152:153]
	v_fma_f64 v[150:151], v[156:157], v[154:155], -v[150:151]
	v_mul_f64 v[156:157], v[156:157], v[152:153]
	v_add_f64 v[2:3], v[2:3], -v[150:151]
	v_fma_f64 v[156:157], v[158:159], v[154:155], v[156:157]
	v_mov_b32_e32 v150, v154
	v_mov_b32_e32 v151, v155
	v_add_f64 v[4:5], v[4:5], -v[156:157]
.LBB75_10:
	s_or_b32 exec_lo, exec_lo, s2
	s_mov_b32 s2, exec_lo
	s_waitcnt_vscnt null, 0x0
	s_barrier
	buffer_gl0_inv
	v_cmpx_eq_u32_e32 1, v0
	s_cbranch_execz .LBB75_17
; %bb.11:
	ds_write2_b64 v1, v[146:147], v[148:149] offset1:1
	ds_write2_b64 v206, v[142:143], v[144:145] offset0:4 offset1:5
	ds_write2_b64 v206, v[138:139], v[140:141] offset0:6 offset1:7
	ds_write2_b64 v206, v[134:135], v[136:137] offset0:8 offset1:9
	ds_write2_b64 v206, v[130:131], v[132:133] offset0:10 offset1:11
	ds_write2_b64 v206, v[126:127], v[128:129] offset0:12 offset1:13
	ds_write2_b64 v206, v[122:123], v[124:125] offset0:14 offset1:15
	ds_write2_b64 v206, v[118:119], v[120:121] offset0:16 offset1:17
	ds_write2_b64 v206, v[114:115], v[116:117] offset0:18 offset1:19
	ds_write2_b64 v206, v[110:111], v[112:113] offset0:20 offset1:21
	ds_write2_b64 v206, v[106:107], v[108:109] offset0:22 offset1:23
	ds_write2_b64 v206, v[102:103], v[104:105] offset0:24 offset1:25
	ds_write2_b64 v206, v[98:99], v[100:101] offset0:26 offset1:27
	ds_write2_b64 v206, v[94:95], v[96:97] offset0:28 offset1:29
	ds_write2_b64 v206, v[90:91], v[92:93] offset0:30 offset1:31
	ds_write2_b64 v206, v[86:87], v[88:89] offset0:32 offset1:33
	ds_write2_b64 v206, v[82:83], v[84:85] offset0:34 offset1:35
	ds_write2_b64 v206, v[78:79], v[80:81] offset0:36 offset1:37
	ds_write2_b64 v206, v[74:75], v[76:77] offset0:38 offset1:39
	ds_write2_b64 v206, v[70:71], v[72:73] offset0:40 offset1:41
	ds_write2_b64 v206, v[66:67], v[68:69] offset0:42 offset1:43
	ds_write2_b64 v206, v[62:63], v[64:65] offset0:44 offset1:45
	ds_write2_b64 v206, v[58:59], v[60:61] offset0:46 offset1:47
	ds_write2_b64 v206, v[54:55], v[56:57] offset0:48 offset1:49
	ds_write2_b64 v206, v[50:51], v[52:53] offset0:50 offset1:51
	ds_write2_b64 v206, v[46:47], v[48:49] offset0:52 offset1:53
	ds_write2_b64 v206, v[42:43], v[44:45] offset0:54 offset1:55
	ds_write2_b64 v206, v[38:39], v[40:41] offset0:56 offset1:57
	ds_write2_b64 v206, v[34:35], v[36:37] offset0:58 offset1:59
	ds_write2_b64 v206, v[30:31], v[32:33] offset0:60 offset1:61
	ds_write2_b64 v206, v[26:27], v[28:29] offset0:62 offset1:63
	ds_write2_b64 v206, v[22:23], v[24:25] offset0:64 offset1:65
	ds_write2_b64 v206, v[18:19], v[20:21] offset0:66 offset1:67
	ds_write2_b64 v206, v[14:15], v[16:17] offset0:68 offset1:69
	ds_write2_b64 v206, v[10:11], v[12:13] offset0:70 offset1:71
	ds_write2_b64 v206, v[6:7], v[8:9] offset0:72 offset1:73
	ds_write2_b64 v206, v[2:3], v[4:5] offset0:74 offset1:75
	ds_read2_b64 v[154:157], v1 offset1:1
	s_waitcnt lgkmcnt(0)
	v_cmp_neq_f64_e32 vcc_lo, 0, v[154:155]
	v_cmp_neq_f64_e64 s1, 0, v[156:157]
	s_or_b32 s1, vcc_lo, s1
	s_and_b32 exec_lo, exec_lo, s1
	s_cbranch_execz .LBB75_17
; %bb.12:
	v_cmp_ngt_f64_e64 s1, |v[154:155]|, |v[156:157]|
                                        ; implicit-def: $vgpr158_vgpr159
	s_and_saveexec_b32 s3, s1
	s_xor_b32 s1, exec_lo, s3
                                        ; implicit-def: $vgpr160_vgpr161
	s_cbranch_execz .LBB75_14
; %bb.13:
	v_div_scale_f64 v[158:159], null, v[156:157], v[156:157], v[154:155]
	v_div_scale_f64 v[164:165], vcc_lo, v[154:155], v[156:157], v[154:155]
	v_rcp_f64_e32 v[160:161], v[158:159]
	v_fma_f64 v[162:163], -v[158:159], v[160:161], 1.0
	v_fma_f64 v[160:161], v[160:161], v[162:163], v[160:161]
	v_fma_f64 v[162:163], -v[158:159], v[160:161], 1.0
	v_fma_f64 v[160:161], v[160:161], v[162:163], v[160:161]
	v_mul_f64 v[162:163], v[164:165], v[160:161]
	v_fma_f64 v[158:159], -v[158:159], v[162:163], v[164:165]
	v_div_fmas_f64 v[158:159], v[158:159], v[160:161], v[162:163]
	v_div_fixup_f64 v[158:159], v[158:159], v[156:157], v[154:155]
	v_fma_f64 v[154:155], v[154:155], v[158:159], v[156:157]
	v_div_scale_f64 v[156:157], null, v[154:155], v[154:155], 1.0
	v_rcp_f64_e32 v[160:161], v[156:157]
	v_fma_f64 v[162:163], -v[156:157], v[160:161], 1.0
	v_fma_f64 v[160:161], v[160:161], v[162:163], v[160:161]
	v_fma_f64 v[162:163], -v[156:157], v[160:161], 1.0
	v_fma_f64 v[160:161], v[160:161], v[162:163], v[160:161]
	v_div_scale_f64 v[162:163], vcc_lo, 1.0, v[154:155], 1.0
	v_mul_f64 v[164:165], v[162:163], v[160:161]
	v_fma_f64 v[156:157], -v[156:157], v[164:165], v[162:163]
	v_div_fmas_f64 v[156:157], v[156:157], v[160:161], v[164:165]
	v_div_fixup_f64 v[160:161], v[156:157], v[154:155], 1.0
                                        ; implicit-def: $vgpr154_vgpr155
	v_mul_f64 v[158:159], v[158:159], v[160:161]
	v_xor_b32_e32 v161, 0x80000000, v161
.LBB75_14:
	s_andn2_saveexec_b32 s1, s1
	s_cbranch_execz .LBB75_16
; %bb.15:
	v_div_scale_f64 v[158:159], null, v[154:155], v[154:155], v[156:157]
	v_div_scale_f64 v[164:165], vcc_lo, v[156:157], v[154:155], v[156:157]
	v_rcp_f64_e32 v[160:161], v[158:159]
	v_fma_f64 v[162:163], -v[158:159], v[160:161], 1.0
	v_fma_f64 v[160:161], v[160:161], v[162:163], v[160:161]
	v_fma_f64 v[162:163], -v[158:159], v[160:161], 1.0
	v_fma_f64 v[160:161], v[160:161], v[162:163], v[160:161]
	v_mul_f64 v[162:163], v[164:165], v[160:161]
	v_fma_f64 v[158:159], -v[158:159], v[162:163], v[164:165]
	v_div_fmas_f64 v[158:159], v[158:159], v[160:161], v[162:163]
	v_div_fixup_f64 v[160:161], v[158:159], v[154:155], v[156:157]
	v_fma_f64 v[154:155], v[156:157], v[160:161], v[154:155]
	v_div_scale_f64 v[156:157], null, v[154:155], v[154:155], 1.0
	v_rcp_f64_e32 v[158:159], v[156:157]
	v_fma_f64 v[162:163], -v[156:157], v[158:159], 1.0
	v_fma_f64 v[158:159], v[158:159], v[162:163], v[158:159]
	v_fma_f64 v[162:163], -v[156:157], v[158:159], 1.0
	v_fma_f64 v[158:159], v[158:159], v[162:163], v[158:159]
	v_div_scale_f64 v[162:163], vcc_lo, 1.0, v[154:155], 1.0
	v_mul_f64 v[164:165], v[162:163], v[158:159]
	v_fma_f64 v[156:157], -v[156:157], v[164:165], v[162:163]
	v_div_fmas_f64 v[156:157], v[156:157], v[158:159], v[164:165]
	v_div_fixup_f64 v[158:159], v[156:157], v[154:155], 1.0
	v_mul_f64 v[160:161], v[160:161], -v[158:159]
.LBB75_16:
	s_or_b32 exec_lo, exec_lo, s1
	ds_write2_b64 v1, v[158:159], v[160:161] offset1:1
.LBB75_17:
	s_or_b32 exec_lo, exec_lo, s2
	s_waitcnt lgkmcnt(0)
	s_barrier
	buffer_gl0_inv
	ds_read2_b64 v[154:157], v1 offset1:1
	s_mov_b32 s1, exec_lo
	s_waitcnt lgkmcnt(0)
	buffer_store_dword v154, off, s[16:19], 0 offset:136 ; 4-byte Folded Spill
	buffer_store_dword v155, off, s[16:19], 0 offset:140 ; 4-byte Folded Spill
	;; [unrolled: 1-line block ×4, first 2 shown]
	v_cmpx_lt_u32_e32 1, v0
	s_cbranch_execz .LBB75_19
; %bb.18:
	s_clause 0x3
	buffer_load_dword v156, off, s[16:19], 0 offset:136
	buffer_load_dword v157, off, s[16:19], 0 offset:140
	;; [unrolled: 1-line block ×4, first 2 shown]
	s_waitcnt vmcnt(0)
	v_mul_f64 v[154:155], v[158:159], v[148:149]
	v_mul_f64 v[148:149], v[156:157], v[148:149]
	v_fma_f64 v[154:155], v[156:157], v[146:147], -v[154:155]
	v_fma_f64 v[148:149], v[158:159], v[146:147], v[148:149]
	ds_read2_b64 v[156:159], v206 offset0:4 offset1:5
	s_waitcnt lgkmcnt(0)
	v_mul_f64 v[146:147], v[158:159], v[148:149]
	v_fma_f64 v[146:147], v[156:157], v[154:155], -v[146:147]
	v_mul_f64 v[156:157], v[156:157], v[148:149]
	v_add_f64 v[142:143], v[142:143], -v[146:147]
	v_fma_f64 v[156:157], v[158:159], v[154:155], v[156:157]
	v_add_f64 v[144:145], v[144:145], -v[156:157]
	ds_read2_b64 v[156:159], v206 offset0:6 offset1:7
	s_waitcnt lgkmcnt(0)
	v_mul_f64 v[146:147], v[158:159], v[148:149]
	v_fma_f64 v[146:147], v[156:157], v[154:155], -v[146:147]
	v_mul_f64 v[156:157], v[156:157], v[148:149]
	v_add_f64 v[138:139], v[138:139], -v[146:147]
	v_fma_f64 v[156:157], v[158:159], v[154:155], v[156:157]
	v_add_f64 v[140:141], v[140:141], -v[156:157]
	;; [unrolled: 8-line block ×35, first 2 shown]
	ds_read2_b64 v[156:159], v206 offset0:74 offset1:75
	s_waitcnt lgkmcnt(0)
	v_mul_f64 v[146:147], v[158:159], v[148:149]
	v_fma_f64 v[146:147], v[156:157], v[154:155], -v[146:147]
	v_mul_f64 v[156:157], v[156:157], v[148:149]
	v_add_f64 v[2:3], v[2:3], -v[146:147]
	v_fma_f64 v[156:157], v[158:159], v[154:155], v[156:157]
	v_mov_b32_e32 v146, v154
	v_mov_b32_e32 v147, v155
	v_add_f64 v[4:5], v[4:5], -v[156:157]
.LBB75_19:
	s_or_b32 exec_lo, exec_lo, s1
	s_mov_b32 s2, exec_lo
	s_waitcnt_vscnt null, 0x0
	s_barrier
	buffer_gl0_inv
	v_cmpx_eq_u32_e32 2, v0
	s_cbranch_execz .LBB75_26
; %bb.20:
	ds_write2_b64 v1, v[142:143], v[144:145] offset1:1
	ds_write2_b64 v206, v[138:139], v[140:141] offset0:6 offset1:7
	ds_write2_b64 v206, v[134:135], v[136:137] offset0:8 offset1:9
	;; [unrolled: 1-line block ×35, first 2 shown]
	ds_read2_b64 v[154:157], v1 offset1:1
	s_waitcnt lgkmcnt(0)
	v_cmp_neq_f64_e32 vcc_lo, 0, v[154:155]
	v_cmp_neq_f64_e64 s1, 0, v[156:157]
	s_or_b32 s1, vcc_lo, s1
	s_and_b32 exec_lo, exec_lo, s1
	s_cbranch_execz .LBB75_26
; %bb.21:
	v_cmp_ngt_f64_e64 s1, |v[154:155]|, |v[156:157]|
                                        ; implicit-def: $vgpr158_vgpr159
	s_and_saveexec_b32 s3, s1
	s_xor_b32 s1, exec_lo, s3
                                        ; implicit-def: $vgpr160_vgpr161
	s_cbranch_execz .LBB75_23
; %bb.22:
	v_div_scale_f64 v[158:159], null, v[156:157], v[156:157], v[154:155]
	v_div_scale_f64 v[164:165], vcc_lo, v[154:155], v[156:157], v[154:155]
	v_rcp_f64_e32 v[160:161], v[158:159]
	v_fma_f64 v[162:163], -v[158:159], v[160:161], 1.0
	v_fma_f64 v[160:161], v[160:161], v[162:163], v[160:161]
	v_fma_f64 v[162:163], -v[158:159], v[160:161], 1.0
	v_fma_f64 v[160:161], v[160:161], v[162:163], v[160:161]
	v_mul_f64 v[162:163], v[164:165], v[160:161]
	v_fma_f64 v[158:159], -v[158:159], v[162:163], v[164:165]
	v_div_fmas_f64 v[158:159], v[158:159], v[160:161], v[162:163]
	v_div_fixup_f64 v[158:159], v[158:159], v[156:157], v[154:155]
	v_fma_f64 v[154:155], v[154:155], v[158:159], v[156:157]
	v_div_scale_f64 v[156:157], null, v[154:155], v[154:155], 1.0
	v_rcp_f64_e32 v[160:161], v[156:157]
	v_fma_f64 v[162:163], -v[156:157], v[160:161], 1.0
	v_fma_f64 v[160:161], v[160:161], v[162:163], v[160:161]
	v_fma_f64 v[162:163], -v[156:157], v[160:161], 1.0
	v_fma_f64 v[160:161], v[160:161], v[162:163], v[160:161]
	v_div_scale_f64 v[162:163], vcc_lo, 1.0, v[154:155], 1.0
	v_mul_f64 v[164:165], v[162:163], v[160:161]
	v_fma_f64 v[156:157], -v[156:157], v[164:165], v[162:163]
	v_div_fmas_f64 v[156:157], v[156:157], v[160:161], v[164:165]
	v_div_fixup_f64 v[160:161], v[156:157], v[154:155], 1.0
                                        ; implicit-def: $vgpr154_vgpr155
	v_mul_f64 v[158:159], v[158:159], v[160:161]
	v_xor_b32_e32 v161, 0x80000000, v161
.LBB75_23:
	s_andn2_saveexec_b32 s1, s1
	s_cbranch_execz .LBB75_25
; %bb.24:
	v_div_scale_f64 v[158:159], null, v[154:155], v[154:155], v[156:157]
	v_div_scale_f64 v[164:165], vcc_lo, v[156:157], v[154:155], v[156:157]
	v_rcp_f64_e32 v[160:161], v[158:159]
	v_fma_f64 v[162:163], -v[158:159], v[160:161], 1.0
	v_fma_f64 v[160:161], v[160:161], v[162:163], v[160:161]
	v_fma_f64 v[162:163], -v[158:159], v[160:161], 1.0
	v_fma_f64 v[160:161], v[160:161], v[162:163], v[160:161]
	v_mul_f64 v[162:163], v[164:165], v[160:161]
	v_fma_f64 v[158:159], -v[158:159], v[162:163], v[164:165]
	v_div_fmas_f64 v[158:159], v[158:159], v[160:161], v[162:163]
	v_div_fixup_f64 v[160:161], v[158:159], v[154:155], v[156:157]
	v_fma_f64 v[154:155], v[156:157], v[160:161], v[154:155]
	v_div_scale_f64 v[156:157], null, v[154:155], v[154:155], 1.0
	v_rcp_f64_e32 v[158:159], v[156:157]
	v_fma_f64 v[162:163], -v[156:157], v[158:159], 1.0
	v_fma_f64 v[158:159], v[158:159], v[162:163], v[158:159]
	v_fma_f64 v[162:163], -v[156:157], v[158:159], 1.0
	v_fma_f64 v[158:159], v[158:159], v[162:163], v[158:159]
	v_div_scale_f64 v[162:163], vcc_lo, 1.0, v[154:155], 1.0
	v_mul_f64 v[164:165], v[162:163], v[158:159]
	v_fma_f64 v[156:157], -v[156:157], v[164:165], v[162:163]
	v_div_fmas_f64 v[156:157], v[156:157], v[158:159], v[164:165]
	v_div_fixup_f64 v[158:159], v[156:157], v[154:155], 1.0
	v_mul_f64 v[160:161], v[160:161], -v[158:159]
.LBB75_25:
	s_or_b32 exec_lo, exec_lo, s1
	ds_write2_b64 v1, v[158:159], v[160:161] offset1:1
.LBB75_26:
	s_or_b32 exec_lo, exec_lo, s2
	s_waitcnt lgkmcnt(0)
	s_barrier
	buffer_gl0_inv
	ds_read2_b64 v[154:157], v1 offset1:1
	s_mov_b32 s1, exec_lo
	s_waitcnt lgkmcnt(0)
	buffer_store_dword v154, off, s[16:19], 0 offset:152 ; 4-byte Folded Spill
	buffer_store_dword v155, off, s[16:19], 0 offset:156 ; 4-byte Folded Spill
	;; [unrolled: 1-line block ×4, first 2 shown]
	v_cmpx_lt_u32_e32 2, v0
	s_cbranch_execz .LBB75_28
; %bb.27:
	s_clause 0x3
	buffer_load_dword v156, off, s[16:19], 0 offset:152
	buffer_load_dword v157, off, s[16:19], 0 offset:156
	buffer_load_dword v158, off, s[16:19], 0 offset:160
	buffer_load_dword v159, off, s[16:19], 0 offset:164
	s_waitcnt vmcnt(0)
	v_mul_f64 v[154:155], v[158:159], v[144:145]
	v_mul_f64 v[144:145], v[156:157], v[144:145]
	v_fma_f64 v[154:155], v[156:157], v[142:143], -v[154:155]
	v_fma_f64 v[144:145], v[158:159], v[142:143], v[144:145]
	ds_read2_b64 v[156:159], v206 offset0:6 offset1:7
	s_waitcnt lgkmcnt(0)
	v_mul_f64 v[142:143], v[158:159], v[144:145]
	v_fma_f64 v[142:143], v[156:157], v[154:155], -v[142:143]
	v_mul_f64 v[156:157], v[156:157], v[144:145]
	v_add_f64 v[138:139], v[138:139], -v[142:143]
	v_fma_f64 v[156:157], v[158:159], v[154:155], v[156:157]
	v_add_f64 v[140:141], v[140:141], -v[156:157]
	ds_read2_b64 v[156:159], v206 offset0:8 offset1:9
	s_waitcnt lgkmcnt(0)
	v_mul_f64 v[142:143], v[158:159], v[144:145]
	v_fma_f64 v[142:143], v[156:157], v[154:155], -v[142:143]
	v_mul_f64 v[156:157], v[156:157], v[144:145]
	v_add_f64 v[134:135], v[134:135], -v[142:143]
	v_fma_f64 v[156:157], v[158:159], v[154:155], v[156:157]
	v_add_f64 v[136:137], v[136:137], -v[156:157]
	;; [unrolled: 8-line block ×34, first 2 shown]
	ds_read2_b64 v[156:159], v206 offset0:74 offset1:75
	s_waitcnt lgkmcnt(0)
	v_mul_f64 v[142:143], v[158:159], v[144:145]
	v_fma_f64 v[142:143], v[156:157], v[154:155], -v[142:143]
	v_mul_f64 v[156:157], v[156:157], v[144:145]
	v_add_f64 v[2:3], v[2:3], -v[142:143]
	v_fma_f64 v[156:157], v[158:159], v[154:155], v[156:157]
	v_mov_b32_e32 v142, v154
	v_mov_b32_e32 v143, v155
	v_add_f64 v[4:5], v[4:5], -v[156:157]
.LBB75_28:
	s_or_b32 exec_lo, exec_lo, s1
	s_mov_b32 s2, exec_lo
	s_waitcnt_vscnt null, 0x0
	s_barrier
	buffer_gl0_inv
	v_cmpx_eq_u32_e32 3, v0
	s_cbranch_execz .LBB75_35
; %bb.29:
	ds_write2_b64 v1, v[138:139], v[140:141] offset1:1
	ds_write2_b64 v206, v[134:135], v[136:137] offset0:8 offset1:9
	ds_write2_b64 v206, v[130:131], v[132:133] offset0:10 offset1:11
	;; [unrolled: 1-line block ×34, first 2 shown]
	ds_read2_b64 v[154:157], v1 offset1:1
	s_waitcnt lgkmcnt(0)
	v_cmp_neq_f64_e32 vcc_lo, 0, v[154:155]
	v_cmp_neq_f64_e64 s1, 0, v[156:157]
	s_or_b32 s1, vcc_lo, s1
	s_and_b32 exec_lo, exec_lo, s1
	s_cbranch_execz .LBB75_35
; %bb.30:
	v_cmp_ngt_f64_e64 s1, |v[154:155]|, |v[156:157]|
                                        ; implicit-def: $vgpr158_vgpr159
	s_and_saveexec_b32 s3, s1
	s_xor_b32 s1, exec_lo, s3
                                        ; implicit-def: $vgpr160_vgpr161
	s_cbranch_execz .LBB75_32
; %bb.31:
	v_div_scale_f64 v[158:159], null, v[156:157], v[156:157], v[154:155]
	v_div_scale_f64 v[164:165], vcc_lo, v[154:155], v[156:157], v[154:155]
	v_rcp_f64_e32 v[160:161], v[158:159]
	v_fma_f64 v[162:163], -v[158:159], v[160:161], 1.0
	v_fma_f64 v[160:161], v[160:161], v[162:163], v[160:161]
	v_fma_f64 v[162:163], -v[158:159], v[160:161], 1.0
	v_fma_f64 v[160:161], v[160:161], v[162:163], v[160:161]
	v_mul_f64 v[162:163], v[164:165], v[160:161]
	v_fma_f64 v[158:159], -v[158:159], v[162:163], v[164:165]
	v_div_fmas_f64 v[158:159], v[158:159], v[160:161], v[162:163]
	v_div_fixup_f64 v[158:159], v[158:159], v[156:157], v[154:155]
	v_fma_f64 v[154:155], v[154:155], v[158:159], v[156:157]
	v_div_scale_f64 v[156:157], null, v[154:155], v[154:155], 1.0
	v_rcp_f64_e32 v[160:161], v[156:157]
	v_fma_f64 v[162:163], -v[156:157], v[160:161], 1.0
	v_fma_f64 v[160:161], v[160:161], v[162:163], v[160:161]
	v_fma_f64 v[162:163], -v[156:157], v[160:161], 1.0
	v_fma_f64 v[160:161], v[160:161], v[162:163], v[160:161]
	v_div_scale_f64 v[162:163], vcc_lo, 1.0, v[154:155], 1.0
	v_mul_f64 v[164:165], v[162:163], v[160:161]
	v_fma_f64 v[156:157], -v[156:157], v[164:165], v[162:163]
	v_div_fmas_f64 v[156:157], v[156:157], v[160:161], v[164:165]
	v_div_fixup_f64 v[160:161], v[156:157], v[154:155], 1.0
                                        ; implicit-def: $vgpr154_vgpr155
	v_mul_f64 v[158:159], v[158:159], v[160:161]
	v_xor_b32_e32 v161, 0x80000000, v161
.LBB75_32:
	s_andn2_saveexec_b32 s1, s1
	s_cbranch_execz .LBB75_34
; %bb.33:
	v_div_scale_f64 v[158:159], null, v[154:155], v[154:155], v[156:157]
	v_div_scale_f64 v[164:165], vcc_lo, v[156:157], v[154:155], v[156:157]
	v_rcp_f64_e32 v[160:161], v[158:159]
	v_fma_f64 v[162:163], -v[158:159], v[160:161], 1.0
	v_fma_f64 v[160:161], v[160:161], v[162:163], v[160:161]
	v_fma_f64 v[162:163], -v[158:159], v[160:161], 1.0
	v_fma_f64 v[160:161], v[160:161], v[162:163], v[160:161]
	v_mul_f64 v[162:163], v[164:165], v[160:161]
	v_fma_f64 v[158:159], -v[158:159], v[162:163], v[164:165]
	v_div_fmas_f64 v[158:159], v[158:159], v[160:161], v[162:163]
	v_div_fixup_f64 v[160:161], v[158:159], v[154:155], v[156:157]
	v_fma_f64 v[154:155], v[156:157], v[160:161], v[154:155]
	v_div_scale_f64 v[156:157], null, v[154:155], v[154:155], 1.0
	v_rcp_f64_e32 v[158:159], v[156:157]
	v_fma_f64 v[162:163], -v[156:157], v[158:159], 1.0
	v_fma_f64 v[158:159], v[158:159], v[162:163], v[158:159]
	v_fma_f64 v[162:163], -v[156:157], v[158:159], 1.0
	v_fma_f64 v[158:159], v[158:159], v[162:163], v[158:159]
	v_div_scale_f64 v[162:163], vcc_lo, 1.0, v[154:155], 1.0
	v_mul_f64 v[164:165], v[162:163], v[158:159]
	v_fma_f64 v[156:157], -v[156:157], v[164:165], v[162:163]
	v_div_fmas_f64 v[156:157], v[156:157], v[158:159], v[164:165]
	v_div_fixup_f64 v[158:159], v[156:157], v[154:155], 1.0
	v_mul_f64 v[160:161], v[160:161], -v[158:159]
.LBB75_34:
	s_or_b32 exec_lo, exec_lo, s1
	ds_write2_b64 v1, v[158:159], v[160:161] offset1:1
.LBB75_35:
	s_or_b32 exec_lo, exec_lo, s2
	s_waitcnt lgkmcnt(0)
	s_barrier
	buffer_gl0_inv
	ds_read2_b64 v[154:157], v1 offset1:1
	s_mov_b32 s1, exec_lo
	s_waitcnt lgkmcnt(0)
	buffer_store_dword v154, off, s[16:19], 0 offset:168 ; 4-byte Folded Spill
	buffer_store_dword v155, off, s[16:19], 0 offset:172 ; 4-byte Folded Spill
	;; [unrolled: 1-line block ×4, first 2 shown]
	v_cmpx_lt_u32_e32 3, v0
	s_cbranch_execz .LBB75_37
; %bb.36:
	s_clause 0x3
	buffer_load_dword v156, off, s[16:19], 0 offset:168
	buffer_load_dword v157, off, s[16:19], 0 offset:172
	;; [unrolled: 1-line block ×4, first 2 shown]
	s_waitcnt vmcnt(0)
	v_mul_f64 v[154:155], v[158:159], v[140:141]
	v_mul_f64 v[140:141], v[156:157], v[140:141]
	v_fma_f64 v[154:155], v[156:157], v[138:139], -v[154:155]
	v_fma_f64 v[140:141], v[158:159], v[138:139], v[140:141]
	ds_read2_b64 v[156:159], v206 offset0:8 offset1:9
	s_waitcnt lgkmcnt(0)
	v_mul_f64 v[138:139], v[158:159], v[140:141]
	v_fma_f64 v[138:139], v[156:157], v[154:155], -v[138:139]
	v_mul_f64 v[156:157], v[156:157], v[140:141]
	v_add_f64 v[134:135], v[134:135], -v[138:139]
	v_fma_f64 v[156:157], v[158:159], v[154:155], v[156:157]
	v_add_f64 v[136:137], v[136:137], -v[156:157]
	ds_read2_b64 v[156:159], v206 offset0:10 offset1:11
	s_waitcnt lgkmcnt(0)
	v_mul_f64 v[138:139], v[158:159], v[140:141]
	v_fma_f64 v[138:139], v[156:157], v[154:155], -v[138:139]
	v_mul_f64 v[156:157], v[156:157], v[140:141]
	v_add_f64 v[130:131], v[130:131], -v[138:139]
	v_fma_f64 v[156:157], v[158:159], v[154:155], v[156:157]
	v_add_f64 v[132:133], v[132:133], -v[156:157]
	;; [unrolled: 8-line block ×33, first 2 shown]
	ds_read2_b64 v[156:159], v206 offset0:74 offset1:75
	s_waitcnt lgkmcnt(0)
	v_mul_f64 v[138:139], v[158:159], v[140:141]
	v_fma_f64 v[138:139], v[156:157], v[154:155], -v[138:139]
	v_mul_f64 v[156:157], v[156:157], v[140:141]
	v_add_f64 v[2:3], v[2:3], -v[138:139]
	v_fma_f64 v[156:157], v[158:159], v[154:155], v[156:157]
	v_mov_b32_e32 v138, v154
	v_mov_b32_e32 v139, v155
	v_add_f64 v[4:5], v[4:5], -v[156:157]
.LBB75_37:
	s_or_b32 exec_lo, exec_lo, s1
	s_mov_b32 s2, exec_lo
	s_waitcnt_vscnt null, 0x0
	s_barrier
	buffer_gl0_inv
	v_cmpx_eq_u32_e32 4, v0
	s_cbranch_execz .LBB75_44
; %bb.38:
	ds_write2_b64 v1, v[134:135], v[136:137] offset1:1
	ds_write2_b64 v206, v[130:131], v[132:133] offset0:10 offset1:11
	ds_write2_b64 v206, v[126:127], v[128:129] offset0:12 offset1:13
	;; [unrolled: 1-line block ×33, first 2 shown]
	ds_read2_b64 v[154:157], v1 offset1:1
	s_waitcnt lgkmcnt(0)
	v_cmp_neq_f64_e32 vcc_lo, 0, v[154:155]
	v_cmp_neq_f64_e64 s1, 0, v[156:157]
	s_or_b32 s1, vcc_lo, s1
	s_and_b32 exec_lo, exec_lo, s1
	s_cbranch_execz .LBB75_44
; %bb.39:
	v_cmp_ngt_f64_e64 s1, |v[154:155]|, |v[156:157]|
                                        ; implicit-def: $vgpr158_vgpr159
	s_and_saveexec_b32 s3, s1
	s_xor_b32 s1, exec_lo, s3
                                        ; implicit-def: $vgpr160_vgpr161
	s_cbranch_execz .LBB75_41
; %bb.40:
	v_div_scale_f64 v[158:159], null, v[156:157], v[156:157], v[154:155]
	v_div_scale_f64 v[164:165], vcc_lo, v[154:155], v[156:157], v[154:155]
	v_rcp_f64_e32 v[160:161], v[158:159]
	v_fma_f64 v[162:163], -v[158:159], v[160:161], 1.0
	v_fma_f64 v[160:161], v[160:161], v[162:163], v[160:161]
	v_fma_f64 v[162:163], -v[158:159], v[160:161], 1.0
	v_fma_f64 v[160:161], v[160:161], v[162:163], v[160:161]
	v_mul_f64 v[162:163], v[164:165], v[160:161]
	v_fma_f64 v[158:159], -v[158:159], v[162:163], v[164:165]
	v_div_fmas_f64 v[158:159], v[158:159], v[160:161], v[162:163]
	v_div_fixup_f64 v[158:159], v[158:159], v[156:157], v[154:155]
	v_fma_f64 v[154:155], v[154:155], v[158:159], v[156:157]
	v_div_scale_f64 v[156:157], null, v[154:155], v[154:155], 1.0
	v_rcp_f64_e32 v[160:161], v[156:157]
	v_fma_f64 v[162:163], -v[156:157], v[160:161], 1.0
	v_fma_f64 v[160:161], v[160:161], v[162:163], v[160:161]
	v_fma_f64 v[162:163], -v[156:157], v[160:161], 1.0
	v_fma_f64 v[160:161], v[160:161], v[162:163], v[160:161]
	v_div_scale_f64 v[162:163], vcc_lo, 1.0, v[154:155], 1.0
	v_mul_f64 v[164:165], v[162:163], v[160:161]
	v_fma_f64 v[156:157], -v[156:157], v[164:165], v[162:163]
	v_div_fmas_f64 v[156:157], v[156:157], v[160:161], v[164:165]
	v_div_fixup_f64 v[160:161], v[156:157], v[154:155], 1.0
                                        ; implicit-def: $vgpr154_vgpr155
	v_mul_f64 v[158:159], v[158:159], v[160:161]
	v_xor_b32_e32 v161, 0x80000000, v161
.LBB75_41:
	s_andn2_saveexec_b32 s1, s1
	s_cbranch_execz .LBB75_43
; %bb.42:
	v_div_scale_f64 v[158:159], null, v[154:155], v[154:155], v[156:157]
	v_div_scale_f64 v[164:165], vcc_lo, v[156:157], v[154:155], v[156:157]
	v_rcp_f64_e32 v[160:161], v[158:159]
	v_fma_f64 v[162:163], -v[158:159], v[160:161], 1.0
	v_fma_f64 v[160:161], v[160:161], v[162:163], v[160:161]
	v_fma_f64 v[162:163], -v[158:159], v[160:161], 1.0
	v_fma_f64 v[160:161], v[160:161], v[162:163], v[160:161]
	v_mul_f64 v[162:163], v[164:165], v[160:161]
	v_fma_f64 v[158:159], -v[158:159], v[162:163], v[164:165]
	v_div_fmas_f64 v[158:159], v[158:159], v[160:161], v[162:163]
	v_div_fixup_f64 v[160:161], v[158:159], v[154:155], v[156:157]
	v_fma_f64 v[154:155], v[156:157], v[160:161], v[154:155]
	v_div_scale_f64 v[156:157], null, v[154:155], v[154:155], 1.0
	v_rcp_f64_e32 v[158:159], v[156:157]
	v_fma_f64 v[162:163], -v[156:157], v[158:159], 1.0
	v_fma_f64 v[158:159], v[158:159], v[162:163], v[158:159]
	v_fma_f64 v[162:163], -v[156:157], v[158:159], 1.0
	v_fma_f64 v[158:159], v[158:159], v[162:163], v[158:159]
	v_div_scale_f64 v[162:163], vcc_lo, 1.0, v[154:155], 1.0
	v_mul_f64 v[164:165], v[162:163], v[158:159]
	v_fma_f64 v[156:157], -v[156:157], v[164:165], v[162:163]
	v_div_fmas_f64 v[156:157], v[156:157], v[158:159], v[164:165]
	v_div_fixup_f64 v[158:159], v[156:157], v[154:155], 1.0
	v_mul_f64 v[160:161], v[160:161], -v[158:159]
.LBB75_43:
	s_or_b32 exec_lo, exec_lo, s1
	ds_write2_b64 v1, v[158:159], v[160:161] offset1:1
.LBB75_44:
	s_or_b32 exec_lo, exec_lo, s2
	s_waitcnt lgkmcnt(0)
	s_barrier
	buffer_gl0_inv
	ds_read2_b64 v[154:157], v1 offset1:1
	s_mov_b32 s1, exec_lo
	s_waitcnt lgkmcnt(0)
	buffer_store_dword v154, off, s[16:19], 0 offset:184 ; 4-byte Folded Spill
	buffer_store_dword v155, off, s[16:19], 0 offset:188 ; 4-byte Folded Spill
	;; [unrolled: 1-line block ×4, first 2 shown]
	v_cmpx_lt_u32_e32 4, v0
	s_cbranch_execz .LBB75_46
; %bb.45:
	s_clause 0x3
	buffer_load_dword v156, off, s[16:19], 0 offset:184
	buffer_load_dword v157, off, s[16:19], 0 offset:188
	;; [unrolled: 1-line block ×4, first 2 shown]
	s_waitcnt vmcnt(0)
	v_mul_f64 v[154:155], v[158:159], v[136:137]
	v_mul_f64 v[136:137], v[156:157], v[136:137]
	v_fma_f64 v[154:155], v[156:157], v[134:135], -v[154:155]
	v_fma_f64 v[136:137], v[158:159], v[134:135], v[136:137]
	ds_read2_b64 v[156:159], v206 offset0:10 offset1:11
	s_waitcnt lgkmcnt(0)
	v_mul_f64 v[134:135], v[158:159], v[136:137]
	v_fma_f64 v[134:135], v[156:157], v[154:155], -v[134:135]
	v_mul_f64 v[156:157], v[156:157], v[136:137]
	v_add_f64 v[130:131], v[130:131], -v[134:135]
	v_fma_f64 v[156:157], v[158:159], v[154:155], v[156:157]
	v_add_f64 v[132:133], v[132:133], -v[156:157]
	ds_read2_b64 v[156:159], v206 offset0:12 offset1:13
	s_waitcnt lgkmcnt(0)
	v_mul_f64 v[134:135], v[158:159], v[136:137]
	v_fma_f64 v[134:135], v[156:157], v[154:155], -v[134:135]
	v_mul_f64 v[156:157], v[156:157], v[136:137]
	v_add_f64 v[126:127], v[126:127], -v[134:135]
	v_fma_f64 v[156:157], v[158:159], v[154:155], v[156:157]
	v_add_f64 v[128:129], v[128:129], -v[156:157]
	;; [unrolled: 8-line block ×32, first 2 shown]
	ds_read2_b64 v[156:159], v206 offset0:74 offset1:75
	s_waitcnt lgkmcnt(0)
	v_mul_f64 v[134:135], v[158:159], v[136:137]
	v_fma_f64 v[134:135], v[156:157], v[154:155], -v[134:135]
	v_mul_f64 v[156:157], v[156:157], v[136:137]
	v_add_f64 v[2:3], v[2:3], -v[134:135]
	v_fma_f64 v[156:157], v[158:159], v[154:155], v[156:157]
	v_mov_b32_e32 v134, v154
	v_mov_b32_e32 v135, v155
	v_add_f64 v[4:5], v[4:5], -v[156:157]
.LBB75_46:
	s_or_b32 exec_lo, exec_lo, s1
	s_mov_b32 s2, exec_lo
	s_waitcnt_vscnt null, 0x0
	s_barrier
	buffer_gl0_inv
	v_cmpx_eq_u32_e32 5, v0
	s_cbranch_execz .LBB75_53
; %bb.47:
	ds_write2_b64 v1, v[130:131], v[132:133] offset1:1
	ds_write2_b64 v206, v[126:127], v[128:129] offset0:12 offset1:13
	ds_write2_b64 v206, v[122:123], v[124:125] offset0:14 offset1:15
	;; [unrolled: 1-line block ×32, first 2 shown]
	ds_read2_b64 v[154:157], v1 offset1:1
	s_waitcnt lgkmcnt(0)
	v_cmp_neq_f64_e32 vcc_lo, 0, v[154:155]
	v_cmp_neq_f64_e64 s1, 0, v[156:157]
	s_or_b32 s1, vcc_lo, s1
	s_and_b32 exec_lo, exec_lo, s1
	s_cbranch_execz .LBB75_53
; %bb.48:
	v_cmp_ngt_f64_e64 s1, |v[154:155]|, |v[156:157]|
                                        ; implicit-def: $vgpr158_vgpr159
	s_and_saveexec_b32 s3, s1
	s_xor_b32 s1, exec_lo, s3
                                        ; implicit-def: $vgpr160_vgpr161
	s_cbranch_execz .LBB75_50
; %bb.49:
	v_div_scale_f64 v[158:159], null, v[156:157], v[156:157], v[154:155]
	v_div_scale_f64 v[164:165], vcc_lo, v[154:155], v[156:157], v[154:155]
	v_rcp_f64_e32 v[160:161], v[158:159]
	v_fma_f64 v[162:163], -v[158:159], v[160:161], 1.0
	v_fma_f64 v[160:161], v[160:161], v[162:163], v[160:161]
	v_fma_f64 v[162:163], -v[158:159], v[160:161], 1.0
	v_fma_f64 v[160:161], v[160:161], v[162:163], v[160:161]
	v_mul_f64 v[162:163], v[164:165], v[160:161]
	v_fma_f64 v[158:159], -v[158:159], v[162:163], v[164:165]
	v_div_fmas_f64 v[158:159], v[158:159], v[160:161], v[162:163]
	v_div_fixup_f64 v[158:159], v[158:159], v[156:157], v[154:155]
	v_fma_f64 v[154:155], v[154:155], v[158:159], v[156:157]
	v_div_scale_f64 v[156:157], null, v[154:155], v[154:155], 1.0
	v_rcp_f64_e32 v[160:161], v[156:157]
	v_fma_f64 v[162:163], -v[156:157], v[160:161], 1.0
	v_fma_f64 v[160:161], v[160:161], v[162:163], v[160:161]
	v_fma_f64 v[162:163], -v[156:157], v[160:161], 1.0
	v_fma_f64 v[160:161], v[160:161], v[162:163], v[160:161]
	v_div_scale_f64 v[162:163], vcc_lo, 1.0, v[154:155], 1.0
	v_mul_f64 v[164:165], v[162:163], v[160:161]
	v_fma_f64 v[156:157], -v[156:157], v[164:165], v[162:163]
	v_div_fmas_f64 v[156:157], v[156:157], v[160:161], v[164:165]
	v_div_fixup_f64 v[160:161], v[156:157], v[154:155], 1.0
                                        ; implicit-def: $vgpr154_vgpr155
	v_mul_f64 v[158:159], v[158:159], v[160:161]
	v_xor_b32_e32 v161, 0x80000000, v161
.LBB75_50:
	s_andn2_saveexec_b32 s1, s1
	s_cbranch_execz .LBB75_52
; %bb.51:
	v_div_scale_f64 v[158:159], null, v[154:155], v[154:155], v[156:157]
	v_div_scale_f64 v[164:165], vcc_lo, v[156:157], v[154:155], v[156:157]
	v_rcp_f64_e32 v[160:161], v[158:159]
	v_fma_f64 v[162:163], -v[158:159], v[160:161], 1.0
	v_fma_f64 v[160:161], v[160:161], v[162:163], v[160:161]
	v_fma_f64 v[162:163], -v[158:159], v[160:161], 1.0
	v_fma_f64 v[160:161], v[160:161], v[162:163], v[160:161]
	v_mul_f64 v[162:163], v[164:165], v[160:161]
	v_fma_f64 v[158:159], -v[158:159], v[162:163], v[164:165]
	v_div_fmas_f64 v[158:159], v[158:159], v[160:161], v[162:163]
	v_div_fixup_f64 v[160:161], v[158:159], v[154:155], v[156:157]
	v_fma_f64 v[154:155], v[156:157], v[160:161], v[154:155]
	v_div_scale_f64 v[156:157], null, v[154:155], v[154:155], 1.0
	v_rcp_f64_e32 v[158:159], v[156:157]
	v_fma_f64 v[162:163], -v[156:157], v[158:159], 1.0
	v_fma_f64 v[158:159], v[158:159], v[162:163], v[158:159]
	v_fma_f64 v[162:163], -v[156:157], v[158:159], 1.0
	v_fma_f64 v[158:159], v[158:159], v[162:163], v[158:159]
	v_div_scale_f64 v[162:163], vcc_lo, 1.0, v[154:155], 1.0
	v_mul_f64 v[164:165], v[162:163], v[158:159]
	v_fma_f64 v[156:157], -v[156:157], v[164:165], v[162:163]
	v_div_fmas_f64 v[156:157], v[156:157], v[158:159], v[164:165]
	v_div_fixup_f64 v[158:159], v[156:157], v[154:155], 1.0
	v_mul_f64 v[160:161], v[160:161], -v[158:159]
.LBB75_52:
	s_or_b32 exec_lo, exec_lo, s1
	ds_write2_b64 v1, v[158:159], v[160:161] offset1:1
.LBB75_53:
	s_or_b32 exec_lo, exec_lo, s2
	s_waitcnt lgkmcnt(0)
	s_barrier
	buffer_gl0_inv
	ds_read2_b64 v[154:157], v1 offset1:1
	s_mov_b32 s1, exec_lo
	s_waitcnt lgkmcnt(0)
	buffer_store_dword v154, off, s[16:19], 0 offset:200 ; 4-byte Folded Spill
	buffer_store_dword v155, off, s[16:19], 0 offset:204 ; 4-byte Folded Spill
	;; [unrolled: 1-line block ×4, first 2 shown]
	v_cmpx_lt_u32_e32 5, v0
	s_cbranch_execz .LBB75_55
; %bb.54:
	s_clause 0x3
	buffer_load_dword v156, off, s[16:19], 0 offset:200
	buffer_load_dword v157, off, s[16:19], 0 offset:204
	;; [unrolled: 1-line block ×4, first 2 shown]
	s_waitcnt vmcnt(0)
	v_mul_f64 v[154:155], v[158:159], v[132:133]
	v_mul_f64 v[132:133], v[156:157], v[132:133]
	v_fma_f64 v[154:155], v[156:157], v[130:131], -v[154:155]
	v_fma_f64 v[132:133], v[158:159], v[130:131], v[132:133]
	ds_read2_b64 v[156:159], v206 offset0:12 offset1:13
	s_waitcnt lgkmcnt(0)
	v_mul_f64 v[130:131], v[158:159], v[132:133]
	v_fma_f64 v[130:131], v[156:157], v[154:155], -v[130:131]
	v_mul_f64 v[156:157], v[156:157], v[132:133]
	v_add_f64 v[126:127], v[126:127], -v[130:131]
	v_fma_f64 v[156:157], v[158:159], v[154:155], v[156:157]
	v_add_f64 v[128:129], v[128:129], -v[156:157]
	ds_read2_b64 v[156:159], v206 offset0:14 offset1:15
	s_waitcnt lgkmcnt(0)
	v_mul_f64 v[130:131], v[158:159], v[132:133]
	v_fma_f64 v[130:131], v[156:157], v[154:155], -v[130:131]
	v_mul_f64 v[156:157], v[156:157], v[132:133]
	v_add_f64 v[122:123], v[122:123], -v[130:131]
	v_fma_f64 v[156:157], v[158:159], v[154:155], v[156:157]
	v_add_f64 v[124:125], v[124:125], -v[156:157]
	;; [unrolled: 8-line block ×31, first 2 shown]
	ds_read2_b64 v[156:159], v206 offset0:74 offset1:75
	s_waitcnt lgkmcnt(0)
	v_mul_f64 v[130:131], v[158:159], v[132:133]
	v_fma_f64 v[130:131], v[156:157], v[154:155], -v[130:131]
	v_mul_f64 v[156:157], v[156:157], v[132:133]
	v_add_f64 v[2:3], v[2:3], -v[130:131]
	v_fma_f64 v[156:157], v[158:159], v[154:155], v[156:157]
	v_mov_b32_e32 v130, v154
	v_mov_b32_e32 v131, v155
	v_add_f64 v[4:5], v[4:5], -v[156:157]
.LBB75_55:
	s_or_b32 exec_lo, exec_lo, s1
	s_mov_b32 s2, exec_lo
	s_waitcnt_vscnt null, 0x0
	s_barrier
	buffer_gl0_inv
	v_cmpx_eq_u32_e32 6, v0
	s_cbranch_execz .LBB75_62
; %bb.56:
	ds_write2_b64 v1, v[126:127], v[128:129] offset1:1
	ds_write2_b64 v206, v[122:123], v[124:125] offset0:14 offset1:15
	ds_write2_b64 v206, v[118:119], v[120:121] offset0:16 offset1:17
	;; [unrolled: 1-line block ×31, first 2 shown]
	ds_read2_b64 v[154:157], v1 offset1:1
	s_waitcnt lgkmcnt(0)
	v_cmp_neq_f64_e32 vcc_lo, 0, v[154:155]
	v_cmp_neq_f64_e64 s1, 0, v[156:157]
	s_or_b32 s1, vcc_lo, s1
	s_and_b32 exec_lo, exec_lo, s1
	s_cbranch_execz .LBB75_62
; %bb.57:
	v_cmp_ngt_f64_e64 s1, |v[154:155]|, |v[156:157]|
                                        ; implicit-def: $vgpr158_vgpr159
	s_and_saveexec_b32 s3, s1
	s_xor_b32 s1, exec_lo, s3
                                        ; implicit-def: $vgpr160_vgpr161
	s_cbranch_execz .LBB75_59
; %bb.58:
	v_div_scale_f64 v[158:159], null, v[156:157], v[156:157], v[154:155]
	v_div_scale_f64 v[164:165], vcc_lo, v[154:155], v[156:157], v[154:155]
	v_rcp_f64_e32 v[160:161], v[158:159]
	v_fma_f64 v[162:163], -v[158:159], v[160:161], 1.0
	v_fma_f64 v[160:161], v[160:161], v[162:163], v[160:161]
	v_fma_f64 v[162:163], -v[158:159], v[160:161], 1.0
	v_fma_f64 v[160:161], v[160:161], v[162:163], v[160:161]
	v_mul_f64 v[162:163], v[164:165], v[160:161]
	v_fma_f64 v[158:159], -v[158:159], v[162:163], v[164:165]
	v_div_fmas_f64 v[158:159], v[158:159], v[160:161], v[162:163]
	v_div_fixup_f64 v[158:159], v[158:159], v[156:157], v[154:155]
	v_fma_f64 v[154:155], v[154:155], v[158:159], v[156:157]
	v_div_scale_f64 v[156:157], null, v[154:155], v[154:155], 1.0
	v_rcp_f64_e32 v[160:161], v[156:157]
	v_fma_f64 v[162:163], -v[156:157], v[160:161], 1.0
	v_fma_f64 v[160:161], v[160:161], v[162:163], v[160:161]
	v_fma_f64 v[162:163], -v[156:157], v[160:161], 1.0
	v_fma_f64 v[160:161], v[160:161], v[162:163], v[160:161]
	v_div_scale_f64 v[162:163], vcc_lo, 1.0, v[154:155], 1.0
	v_mul_f64 v[164:165], v[162:163], v[160:161]
	v_fma_f64 v[156:157], -v[156:157], v[164:165], v[162:163]
	v_div_fmas_f64 v[156:157], v[156:157], v[160:161], v[164:165]
	v_div_fixup_f64 v[160:161], v[156:157], v[154:155], 1.0
                                        ; implicit-def: $vgpr154_vgpr155
	v_mul_f64 v[158:159], v[158:159], v[160:161]
	v_xor_b32_e32 v161, 0x80000000, v161
.LBB75_59:
	s_andn2_saveexec_b32 s1, s1
	s_cbranch_execz .LBB75_61
; %bb.60:
	v_div_scale_f64 v[158:159], null, v[154:155], v[154:155], v[156:157]
	v_div_scale_f64 v[164:165], vcc_lo, v[156:157], v[154:155], v[156:157]
	v_rcp_f64_e32 v[160:161], v[158:159]
	v_fma_f64 v[162:163], -v[158:159], v[160:161], 1.0
	v_fma_f64 v[160:161], v[160:161], v[162:163], v[160:161]
	v_fma_f64 v[162:163], -v[158:159], v[160:161], 1.0
	v_fma_f64 v[160:161], v[160:161], v[162:163], v[160:161]
	v_mul_f64 v[162:163], v[164:165], v[160:161]
	v_fma_f64 v[158:159], -v[158:159], v[162:163], v[164:165]
	v_div_fmas_f64 v[158:159], v[158:159], v[160:161], v[162:163]
	v_div_fixup_f64 v[160:161], v[158:159], v[154:155], v[156:157]
	v_fma_f64 v[154:155], v[156:157], v[160:161], v[154:155]
	v_div_scale_f64 v[156:157], null, v[154:155], v[154:155], 1.0
	v_rcp_f64_e32 v[158:159], v[156:157]
	v_fma_f64 v[162:163], -v[156:157], v[158:159], 1.0
	v_fma_f64 v[158:159], v[158:159], v[162:163], v[158:159]
	v_fma_f64 v[162:163], -v[156:157], v[158:159], 1.0
	v_fma_f64 v[158:159], v[158:159], v[162:163], v[158:159]
	v_div_scale_f64 v[162:163], vcc_lo, 1.0, v[154:155], 1.0
	v_mul_f64 v[164:165], v[162:163], v[158:159]
	v_fma_f64 v[156:157], -v[156:157], v[164:165], v[162:163]
	v_div_fmas_f64 v[156:157], v[156:157], v[158:159], v[164:165]
	v_div_fixup_f64 v[158:159], v[156:157], v[154:155], 1.0
	v_mul_f64 v[160:161], v[160:161], -v[158:159]
.LBB75_61:
	s_or_b32 exec_lo, exec_lo, s1
	ds_write2_b64 v1, v[158:159], v[160:161] offset1:1
.LBB75_62:
	s_or_b32 exec_lo, exec_lo, s2
	s_waitcnt lgkmcnt(0)
	s_barrier
	buffer_gl0_inv
	ds_read2_b64 v[154:157], v1 offset1:1
	s_mov_b32 s1, exec_lo
	s_waitcnt lgkmcnt(0)
	buffer_store_dword v154, off, s[16:19], 0 offset:216 ; 4-byte Folded Spill
	buffer_store_dword v155, off, s[16:19], 0 offset:220 ; 4-byte Folded Spill
	;; [unrolled: 1-line block ×4, first 2 shown]
	v_cmpx_lt_u32_e32 6, v0
	s_cbranch_execz .LBB75_64
; %bb.63:
	s_clause 0x3
	buffer_load_dword v156, off, s[16:19], 0 offset:216
	buffer_load_dword v157, off, s[16:19], 0 offset:220
	;; [unrolled: 1-line block ×4, first 2 shown]
	s_waitcnt vmcnt(0)
	v_mul_f64 v[154:155], v[158:159], v[128:129]
	v_mul_f64 v[128:129], v[156:157], v[128:129]
	v_fma_f64 v[154:155], v[156:157], v[126:127], -v[154:155]
	v_fma_f64 v[128:129], v[158:159], v[126:127], v[128:129]
	ds_read2_b64 v[156:159], v206 offset0:14 offset1:15
	s_waitcnt lgkmcnt(0)
	v_mul_f64 v[126:127], v[158:159], v[128:129]
	v_fma_f64 v[126:127], v[156:157], v[154:155], -v[126:127]
	v_mul_f64 v[156:157], v[156:157], v[128:129]
	v_add_f64 v[122:123], v[122:123], -v[126:127]
	v_fma_f64 v[156:157], v[158:159], v[154:155], v[156:157]
	v_add_f64 v[124:125], v[124:125], -v[156:157]
	ds_read2_b64 v[156:159], v206 offset0:16 offset1:17
	s_waitcnt lgkmcnt(0)
	v_mul_f64 v[126:127], v[158:159], v[128:129]
	v_fma_f64 v[126:127], v[156:157], v[154:155], -v[126:127]
	v_mul_f64 v[156:157], v[156:157], v[128:129]
	v_add_f64 v[118:119], v[118:119], -v[126:127]
	v_fma_f64 v[156:157], v[158:159], v[154:155], v[156:157]
	v_add_f64 v[120:121], v[120:121], -v[156:157]
	;; [unrolled: 8-line block ×30, first 2 shown]
	ds_read2_b64 v[156:159], v206 offset0:74 offset1:75
	s_waitcnt lgkmcnt(0)
	v_mul_f64 v[126:127], v[158:159], v[128:129]
	v_fma_f64 v[126:127], v[156:157], v[154:155], -v[126:127]
	v_mul_f64 v[156:157], v[156:157], v[128:129]
	v_add_f64 v[2:3], v[2:3], -v[126:127]
	v_fma_f64 v[156:157], v[158:159], v[154:155], v[156:157]
	v_mov_b32_e32 v126, v154
	v_mov_b32_e32 v127, v155
	v_add_f64 v[4:5], v[4:5], -v[156:157]
.LBB75_64:
	s_or_b32 exec_lo, exec_lo, s1
	s_mov_b32 s2, exec_lo
	s_waitcnt_vscnt null, 0x0
	s_barrier
	buffer_gl0_inv
	v_cmpx_eq_u32_e32 7, v0
	s_cbranch_execz .LBB75_71
; %bb.65:
	ds_write2_b64 v1, v[122:123], v[124:125] offset1:1
	ds_write2_b64 v206, v[118:119], v[120:121] offset0:16 offset1:17
	ds_write2_b64 v206, v[114:115], v[116:117] offset0:18 offset1:19
	;; [unrolled: 1-line block ×30, first 2 shown]
	ds_read2_b64 v[154:157], v1 offset1:1
	s_waitcnt lgkmcnt(0)
	v_cmp_neq_f64_e32 vcc_lo, 0, v[154:155]
	v_cmp_neq_f64_e64 s1, 0, v[156:157]
	s_or_b32 s1, vcc_lo, s1
	s_and_b32 exec_lo, exec_lo, s1
	s_cbranch_execz .LBB75_71
; %bb.66:
	v_cmp_ngt_f64_e64 s1, |v[154:155]|, |v[156:157]|
                                        ; implicit-def: $vgpr158_vgpr159
	s_and_saveexec_b32 s3, s1
	s_xor_b32 s1, exec_lo, s3
                                        ; implicit-def: $vgpr160_vgpr161
	s_cbranch_execz .LBB75_68
; %bb.67:
	v_div_scale_f64 v[158:159], null, v[156:157], v[156:157], v[154:155]
	v_div_scale_f64 v[164:165], vcc_lo, v[154:155], v[156:157], v[154:155]
	v_rcp_f64_e32 v[160:161], v[158:159]
	v_fma_f64 v[162:163], -v[158:159], v[160:161], 1.0
	v_fma_f64 v[160:161], v[160:161], v[162:163], v[160:161]
	v_fma_f64 v[162:163], -v[158:159], v[160:161], 1.0
	v_fma_f64 v[160:161], v[160:161], v[162:163], v[160:161]
	v_mul_f64 v[162:163], v[164:165], v[160:161]
	v_fma_f64 v[158:159], -v[158:159], v[162:163], v[164:165]
	v_div_fmas_f64 v[158:159], v[158:159], v[160:161], v[162:163]
	v_div_fixup_f64 v[158:159], v[158:159], v[156:157], v[154:155]
	v_fma_f64 v[154:155], v[154:155], v[158:159], v[156:157]
	v_div_scale_f64 v[156:157], null, v[154:155], v[154:155], 1.0
	v_rcp_f64_e32 v[160:161], v[156:157]
	v_fma_f64 v[162:163], -v[156:157], v[160:161], 1.0
	v_fma_f64 v[160:161], v[160:161], v[162:163], v[160:161]
	v_fma_f64 v[162:163], -v[156:157], v[160:161], 1.0
	v_fma_f64 v[160:161], v[160:161], v[162:163], v[160:161]
	v_div_scale_f64 v[162:163], vcc_lo, 1.0, v[154:155], 1.0
	v_mul_f64 v[164:165], v[162:163], v[160:161]
	v_fma_f64 v[156:157], -v[156:157], v[164:165], v[162:163]
	v_div_fmas_f64 v[156:157], v[156:157], v[160:161], v[164:165]
	v_div_fixup_f64 v[160:161], v[156:157], v[154:155], 1.0
                                        ; implicit-def: $vgpr154_vgpr155
	v_mul_f64 v[158:159], v[158:159], v[160:161]
	v_xor_b32_e32 v161, 0x80000000, v161
.LBB75_68:
	s_andn2_saveexec_b32 s1, s1
	s_cbranch_execz .LBB75_70
; %bb.69:
	v_div_scale_f64 v[158:159], null, v[154:155], v[154:155], v[156:157]
	v_div_scale_f64 v[164:165], vcc_lo, v[156:157], v[154:155], v[156:157]
	v_rcp_f64_e32 v[160:161], v[158:159]
	v_fma_f64 v[162:163], -v[158:159], v[160:161], 1.0
	v_fma_f64 v[160:161], v[160:161], v[162:163], v[160:161]
	v_fma_f64 v[162:163], -v[158:159], v[160:161], 1.0
	v_fma_f64 v[160:161], v[160:161], v[162:163], v[160:161]
	v_mul_f64 v[162:163], v[164:165], v[160:161]
	v_fma_f64 v[158:159], -v[158:159], v[162:163], v[164:165]
	v_div_fmas_f64 v[158:159], v[158:159], v[160:161], v[162:163]
	v_div_fixup_f64 v[160:161], v[158:159], v[154:155], v[156:157]
	v_fma_f64 v[154:155], v[156:157], v[160:161], v[154:155]
	v_div_scale_f64 v[156:157], null, v[154:155], v[154:155], 1.0
	v_rcp_f64_e32 v[158:159], v[156:157]
	v_fma_f64 v[162:163], -v[156:157], v[158:159], 1.0
	v_fma_f64 v[158:159], v[158:159], v[162:163], v[158:159]
	v_fma_f64 v[162:163], -v[156:157], v[158:159], 1.0
	v_fma_f64 v[158:159], v[158:159], v[162:163], v[158:159]
	v_div_scale_f64 v[162:163], vcc_lo, 1.0, v[154:155], 1.0
	v_mul_f64 v[164:165], v[162:163], v[158:159]
	v_fma_f64 v[156:157], -v[156:157], v[164:165], v[162:163]
	v_div_fmas_f64 v[156:157], v[156:157], v[158:159], v[164:165]
	v_div_fixup_f64 v[158:159], v[156:157], v[154:155], 1.0
	v_mul_f64 v[160:161], v[160:161], -v[158:159]
.LBB75_70:
	s_or_b32 exec_lo, exec_lo, s1
	ds_write2_b64 v1, v[158:159], v[160:161] offset1:1
.LBB75_71:
	s_or_b32 exec_lo, exec_lo, s2
	s_waitcnt lgkmcnt(0)
	s_barrier
	buffer_gl0_inv
	ds_read2_b64 v[154:157], v1 offset1:1
	s_mov_b32 s1, exec_lo
	s_waitcnt lgkmcnt(0)
	buffer_store_dword v154, off, s[16:19], 0 offset:232 ; 4-byte Folded Spill
	buffer_store_dword v155, off, s[16:19], 0 offset:236 ; 4-byte Folded Spill
	;; [unrolled: 1-line block ×4, first 2 shown]
	v_cmpx_lt_u32_e32 7, v0
	s_cbranch_execz .LBB75_73
; %bb.72:
	s_clause 0x3
	buffer_load_dword v156, off, s[16:19], 0 offset:232
	buffer_load_dword v157, off, s[16:19], 0 offset:236
	;; [unrolled: 1-line block ×4, first 2 shown]
	s_waitcnt vmcnt(0)
	v_mul_f64 v[154:155], v[158:159], v[124:125]
	v_mul_f64 v[124:125], v[156:157], v[124:125]
	v_fma_f64 v[154:155], v[156:157], v[122:123], -v[154:155]
	v_fma_f64 v[124:125], v[158:159], v[122:123], v[124:125]
	ds_read2_b64 v[156:159], v206 offset0:16 offset1:17
	s_waitcnt lgkmcnt(0)
	v_mul_f64 v[122:123], v[158:159], v[124:125]
	v_fma_f64 v[122:123], v[156:157], v[154:155], -v[122:123]
	v_mul_f64 v[156:157], v[156:157], v[124:125]
	v_add_f64 v[118:119], v[118:119], -v[122:123]
	v_fma_f64 v[156:157], v[158:159], v[154:155], v[156:157]
	v_add_f64 v[120:121], v[120:121], -v[156:157]
	ds_read2_b64 v[156:159], v206 offset0:18 offset1:19
	s_waitcnt lgkmcnt(0)
	v_mul_f64 v[122:123], v[158:159], v[124:125]
	v_fma_f64 v[122:123], v[156:157], v[154:155], -v[122:123]
	v_mul_f64 v[156:157], v[156:157], v[124:125]
	v_add_f64 v[114:115], v[114:115], -v[122:123]
	v_fma_f64 v[156:157], v[158:159], v[154:155], v[156:157]
	v_add_f64 v[116:117], v[116:117], -v[156:157]
	;; [unrolled: 8-line block ×29, first 2 shown]
	ds_read2_b64 v[156:159], v206 offset0:74 offset1:75
	s_waitcnt lgkmcnt(0)
	v_mul_f64 v[122:123], v[158:159], v[124:125]
	v_fma_f64 v[122:123], v[156:157], v[154:155], -v[122:123]
	v_mul_f64 v[156:157], v[156:157], v[124:125]
	v_add_f64 v[2:3], v[2:3], -v[122:123]
	v_fma_f64 v[156:157], v[158:159], v[154:155], v[156:157]
	v_mov_b32_e32 v122, v154
	v_mov_b32_e32 v123, v155
	v_add_f64 v[4:5], v[4:5], -v[156:157]
.LBB75_73:
	s_or_b32 exec_lo, exec_lo, s1
	s_mov_b32 s2, exec_lo
	s_waitcnt_vscnt null, 0x0
	s_barrier
	buffer_gl0_inv
	v_cmpx_eq_u32_e32 8, v0
	s_cbranch_execz .LBB75_80
; %bb.74:
	ds_write2_b64 v1, v[118:119], v[120:121] offset1:1
	ds_write2_b64 v206, v[114:115], v[116:117] offset0:18 offset1:19
	ds_write2_b64 v206, v[110:111], v[112:113] offset0:20 offset1:21
	;; [unrolled: 1-line block ×29, first 2 shown]
	ds_read2_b64 v[154:157], v1 offset1:1
	s_waitcnt lgkmcnt(0)
	v_cmp_neq_f64_e32 vcc_lo, 0, v[154:155]
	v_cmp_neq_f64_e64 s1, 0, v[156:157]
	s_or_b32 s1, vcc_lo, s1
	s_and_b32 exec_lo, exec_lo, s1
	s_cbranch_execz .LBB75_80
; %bb.75:
	v_cmp_ngt_f64_e64 s1, |v[154:155]|, |v[156:157]|
                                        ; implicit-def: $vgpr158_vgpr159
	s_and_saveexec_b32 s3, s1
	s_xor_b32 s1, exec_lo, s3
                                        ; implicit-def: $vgpr160_vgpr161
	s_cbranch_execz .LBB75_77
; %bb.76:
	v_div_scale_f64 v[158:159], null, v[156:157], v[156:157], v[154:155]
	v_div_scale_f64 v[164:165], vcc_lo, v[154:155], v[156:157], v[154:155]
	v_rcp_f64_e32 v[160:161], v[158:159]
	v_fma_f64 v[162:163], -v[158:159], v[160:161], 1.0
	v_fma_f64 v[160:161], v[160:161], v[162:163], v[160:161]
	v_fma_f64 v[162:163], -v[158:159], v[160:161], 1.0
	v_fma_f64 v[160:161], v[160:161], v[162:163], v[160:161]
	v_mul_f64 v[162:163], v[164:165], v[160:161]
	v_fma_f64 v[158:159], -v[158:159], v[162:163], v[164:165]
	v_div_fmas_f64 v[158:159], v[158:159], v[160:161], v[162:163]
	v_div_fixup_f64 v[158:159], v[158:159], v[156:157], v[154:155]
	v_fma_f64 v[154:155], v[154:155], v[158:159], v[156:157]
	v_div_scale_f64 v[156:157], null, v[154:155], v[154:155], 1.0
	v_rcp_f64_e32 v[160:161], v[156:157]
	v_fma_f64 v[162:163], -v[156:157], v[160:161], 1.0
	v_fma_f64 v[160:161], v[160:161], v[162:163], v[160:161]
	v_fma_f64 v[162:163], -v[156:157], v[160:161], 1.0
	v_fma_f64 v[160:161], v[160:161], v[162:163], v[160:161]
	v_div_scale_f64 v[162:163], vcc_lo, 1.0, v[154:155], 1.0
	v_mul_f64 v[164:165], v[162:163], v[160:161]
	v_fma_f64 v[156:157], -v[156:157], v[164:165], v[162:163]
	v_div_fmas_f64 v[156:157], v[156:157], v[160:161], v[164:165]
	v_div_fixup_f64 v[160:161], v[156:157], v[154:155], 1.0
                                        ; implicit-def: $vgpr154_vgpr155
	v_mul_f64 v[158:159], v[158:159], v[160:161]
	v_xor_b32_e32 v161, 0x80000000, v161
.LBB75_77:
	s_andn2_saveexec_b32 s1, s1
	s_cbranch_execz .LBB75_79
; %bb.78:
	v_div_scale_f64 v[158:159], null, v[154:155], v[154:155], v[156:157]
	v_div_scale_f64 v[164:165], vcc_lo, v[156:157], v[154:155], v[156:157]
	v_rcp_f64_e32 v[160:161], v[158:159]
	v_fma_f64 v[162:163], -v[158:159], v[160:161], 1.0
	v_fma_f64 v[160:161], v[160:161], v[162:163], v[160:161]
	v_fma_f64 v[162:163], -v[158:159], v[160:161], 1.0
	v_fma_f64 v[160:161], v[160:161], v[162:163], v[160:161]
	v_mul_f64 v[162:163], v[164:165], v[160:161]
	v_fma_f64 v[158:159], -v[158:159], v[162:163], v[164:165]
	v_div_fmas_f64 v[158:159], v[158:159], v[160:161], v[162:163]
	v_div_fixup_f64 v[160:161], v[158:159], v[154:155], v[156:157]
	v_fma_f64 v[154:155], v[156:157], v[160:161], v[154:155]
	v_div_scale_f64 v[156:157], null, v[154:155], v[154:155], 1.0
	v_rcp_f64_e32 v[158:159], v[156:157]
	v_fma_f64 v[162:163], -v[156:157], v[158:159], 1.0
	v_fma_f64 v[158:159], v[158:159], v[162:163], v[158:159]
	v_fma_f64 v[162:163], -v[156:157], v[158:159], 1.0
	v_fma_f64 v[158:159], v[158:159], v[162:163], v[158:159]
	v_div_scale_f64 v[162:163], vcc_lo, 1.0, v[154:155], 1.0
	v_mul_f64 v[164:165], v[162:163], v[158:159]
	v_fma_f64 v[156:157], -v[156:157], v[164:165], v[162:163]
	v_div_fmas_f64 v[156:157], v[156:157], v[158:159], v[164:165]
	v_div_fixup_f64 v[158:159], v[156:157], v[154:155], 1.0
	v_mul_f64 v[160:161], v[160:161], -v[158:159]
.LBB75_79:
	s_or_b32 exec_lo, exec_lo, s1
	ds_write2_b64 v1, v[158:159], v[160:161] offset1:1
.LBB75_80:
	s_or_b32 exec_lo, exec_lo, s2
	s_waitcnt lgkmcnt(0)
	s_barrier
	buffer_gl0_inv
	ds_read2_b64 v[154:157], v1 offset1:1
	s_mov_b32 s1, exec_lo
	s_waitcnt lgkmcnt(0)
	buffer_store_dword v154, off, s[16:19], 0 offset:248 ; 4-byte Folded Spill
	buffer_store_dword v155, off, s[16:19], 0 offset:252 ; 4-byte Folded Spill
	;; [unrolled: 1-line block ×4, first 2 shown]
	v_cmpx_lt_u32_e32 8, v0
	s_cbranch_execz .LBB75_82
; %bb.81:
	s_clause 0x3
	buffer_load_dword v156, off, s[16:19], 0 offset:248
	buffer_load_dword v157, off, s[16:19], 0 offset:252
	;; [unrolled: 1-line block ×4, first 2 shown]
	s_waitcnt vmcnt(0)
	v_mul_f64 v[154:155], v[158:159], v[120:121]
	v_mul_f64 v[120:121], v[156:157], v[120:121]
	v_fma_f64 v[154:155], v[156:157], v[118:119], -v[154:155]
	v_fma_f64 v[120:121], v[158:159], v[118:119], v[120:121]
	ds_read2_b64 v[156:159], v206 offset0:18 offset1:19
	s_waitcnt lgkmcnt(0)
	v_mul_f64 v[118:119], v[158:159], v[120:121]
	v_fma_f64 v[118:119], v[156:157], v[154:155], -v[118:119]
	v_mul_f64 v[156:157], v[156:157], v[120:121]
	v_add_f64 v[114:115], v[114:115], -v[118:119]
	v_fma_f64 v[156:157], v[158:159], v[154:155], v[156:157]
	v_add_f64 v[116:117], v[116:117], -v[156:157]
	ds_read2_b64 v[156:159], v206 offset0:20 offset1:21
	s_waitcnt lgkmcnt(0)
	v_mul_f64 v[118:119], v[158:159], v[120:121]
	v_fma_f64 v[118:119], v[156:157], v[154:155], -v[118:119]
	v_mul_f64 v[156:157], v[156:157], v[120:121]
	v_add_f64 v[110:111], v[110:111], -v[118:119]
	v_fma_f64 v[156:157], v[158:159], v[154:155], v[156:157]
	v_add_f64 v[112:113], v[112:113], -v[156:157]
	;; [unrolled: 8-line block ×28, first 2 shown]
	ds_read2_b64 v[156:159], v206 offset0:74 offset1:75
	s_waitcnt lgkmcnt(0)
	v_mul_f64 v[118:119], v[158:159], v[120:121]
	v_fma_f64 v[118:119], v[156:157], v[154:155], -v[118:119]
	v_mul_f64 v[156:157], v[156:157], v[120:121]
	v_add_f64 v[2:3], v[2:3], -v[118:119]
	v_fma_f64 v[156:157], v[158:159], v[154:155], v[156:157]
	v_mov_b32_e32 v118, v154
	v_mov_b32_e32 v119, v155
	v_add_f64 v[4:5], v[4:5], -v[156:157]
.LBB75_82:
	s_or_b32 exec_lo, exec_lo, s1
	s_mov_b32 s2, exec_lo
	s_waitcnt_vscnt null, 0x0
	s_barrier
	buffer_gl0_inv
	v_cmpx_eq_u32_e32 9, v0
	s_cbranch_execz .LBB75_89
; %bb.83:
	ds_write2_b64 v1, v[114:115], v[116:117] offset1:1
	ds_write2_b64 v206, v[110:111], v[112:113] offset0:20 offset1:21
	ds_write2_b64 v206, v[106:107], v[108:109] offset0:22 offset1:23
	;; [unrolled: 1-line block ×28, first 2 shown]
	ds_read2_b64 v[154:157], v1 offset1:1
	s_waitcnt lgkmcnt(0)
	v_cmp_neq_f64_e32 vcc_lo, 0, v[154:155]
	v_cmp_neq_f64_e64 s1, 0, v[156:157]
	s_or_b32 s1, vcc_lo, s1
	s_and_b32 exec_lo, exec_lo, s1
	s_cbranch_execz .LBB75_89
; %bb.84:
	v_cmp_ngt_f64_e64 s1, |v[154:155]|, |v[156:157]|
                                        ; implicit-def: $vgpr158_vgpr159
	s_and_saveexec_b32 s3, s1
	s_xor_b32 s1, exec_lo, s3
                                        ; implicit-def: $vgpr160_vgpr161
	s_cbranch_execz .LBB75_86
; %bb.85:
	v_div_scale_f64 v[158:159], null, v[156:157], v[156:157], v[154:155]
	v_div_scale_f64 v[164:165], vcc_lo, v[154:155], v[156:157], v[154:155]
	v_rcp_f64_e32 v[160:161], v[158:159]
	v_fma_f64 v[162:163], -v[158:159], v[160:161], 1.0
	v_fma_f64 v[160:161], v[160:161], v[162:163], v[160:161]
	v_fma_f64 v[162:163], -v[158:159], v[160:161], 1.0
	v_fma_f64 v[160:161], v[160:161], v[162:163], v[160:161]
	v_mul_f64 v[162:163], v[164:165], v[160:161]
	v_fma_f64 v[158:159], -v[158:159], v[162:163], v[164:165]
	v_div_fmas_f64 v[158:159], v[158:159], v[160:161], v[162:163]
	v_div_fixup_f64 v[158:159], v[158:159], v[156:157], v[154:155]
	v_fma_f64 v[154:155], v[154:155], v[158:159], v[156:157]
	v_div_scale_f64 v[156:157], null, v[154:155], v[154:155], 1.0
	v_rcp_f64_e32 v[160:161], v[156:157]
	v_fma_f64 v[162:163], -v[156:157], v[160:161], 1.0
	v_fma_f64 v[160:161], v[160:161], v[162:163], v[160:161]
	v_fma_f64 v[162:163], -v[156:157], v[160:161], 1.0
	v_fma_f64 v[160:161], v[160:161], v[162:163], v[160:161]
	v_div_scale_f64 v[162:163], vcc_lo, 1.0, v[154:155], 1.0
	v_mul_f64 v[164:165], v[162:163], v[160:161]
	v_fma_f64 v[156:157], -v[156:157], v[164:165], v[162:163]
	v_div_fmas_f64 v[156:157], v[156:157], v[160:161], v[164:165]
	v_div_fixup_f64 v[160:161], v[156:157], v[154:155], 1.0
                                        ; implicit-def: $vgpr154_vgpr155
	v_mul_f64 v[158:159], v[158:159], v[160:161]
	v_xor_b32_e32 v161, 0x80000000, v161
.LBB75_86:
	s_andn2_saveexec_b32 s1, s1
	s_cbranch_execz .LBB75_88
; %bb.87:
	v_div_scale_f64 v[158:159], null, v[154:155], v[154:155], v[156:157]
	v_div_scale_f64 v[164:165], vcc_lo, v[156:157], v[154:155], v[156:157]
	v_rcp_f64_e32 v[160:161], v[158:159]
	v_fma_f64 v[162:163], -v[158:159], v[160:161], 1.0
	v_fma_f64 v[160:161], v[160:161], v[162:163], v[160:161]
	v_fma_f64 v[162:163], -v[158:159], v[160:161], 1.0
	v_fma_f64 v[160:161], v[160:161], v[162:163], v[160:161]
	v_mul_f64 v[162:163], v[164:165], v[160:161]
	v_fma_f64 v[158:159], -v[158:159], v[162:163], v[164:165]
	v_div_fmas_f64 v[158:159], v[158:159], v[160:161], v[162:163]
	v_div_fixup_f64 v[160:161], v[158:159], v[154:155], v[156:157]
	v_fma_f64 v[154:155], v[156:157], v[160:161], v[154:155]
	v_div_scale_f64 v[156:157], null, v[154:155], v[154:155], 1.0
	v_rcp_f64_e32 v[158:159], v[156:157]
	v_fma_f64 v[162:163], -v[156:157], v[158:159], 1.0
	v_fma_f64 v[158:159], v[158:159], v[162:163], v[158:159]
	v_fma_f64 v[162:163], -v[156:157], v[158:159], 1.0
	v_fma_f64 v[158:159], v[158:159], v[162:163], v[158:159]
	v_div_scale_f64 v[162:163], vcc_lo, 1.0, v[154:155], 1.0
	v_mul_f64 v[164:165], v[162:163], v[158:159]
	v_fma_f64 v[156:157], -v[156:157], v[164:165], v[162:163]
	v_div_fmas_f64 v[156:157], v[156:157], v[158:159], v[164:165]
	v_div_fixup_f64 v[158:159], v[156:157], v[154:155], 1.0
	v_mul_f64 v[160:161], v[160:161], -v[158:159]
.LBB75_88:
	s_or_b32 exec_lo, exec_lo, s1
	ds_write2_b64 v1, v[158:159], v[160:161] offset1:1
.LBB75_89:
	s_or_b32 exec_lo, exec_lo, s2
	s_waitcnt lgkmcnt(0)
	s_barrier
	buffer_gl0_inv
	ds_read2_b64 v[154:157], v1 offset1:1
	s_mov_b32 s1, exec_lo
	s_waitcnt lgkmcnt(0)
	buffer_store_dword v154, off, s[16:19], 0 offset:264 ; 4-byte Folded Spill
	buffer_store_dword v155, off, s[16:19], 0 offset:268 ; 4-byte Folded Spill
	;; [unrolled: 1-line block ×4, first 2 shown]
	v_cmpx_lt_u32_e32 9, v0
	s_cbranch_execz .LBB75_91
; %bb.90:
	s_clause 0x3
	buffer_load_dword v156, off, s[16:19], 0 offset:264
	buffer_load_dword v157, off, s[16:19], 0 offset:268
	;; [unrolled: 1-line block ×4, first 2 shown]
	s_waitcnt vmcnt(0)
	v_mul_f64 v[154:155], v[158:159], v[116:117]
	v_mul_f64 v[116:117], v[156:157], v[116:117]
	v_fma_f64 v[154:155], v[156:157], v[114:115], -v[154:155]
	v_fma_f64 v[116:117], v[158:159], v[114:115], v[116:117]
	ds_read2_b64 v[156:159], v206 offset0:20 offset1:21
	s_waitcnt lgkmcnt(0)
	v_mul_f64 v[114:115], v[158:159], v[116:117]
	v_fma_f64 v[114:115], v[156:157], v[154:155], -v[114:115]
	v_mul_f64 v[156:157], v[156:157], v[116:117]
	v_add_f64 v[110:111], v[110:111], -v[114:115]
	v_fma_f64 v[156:157], v[158:159], v[154:155], v[156:157]
	v_add_f64 v[112:113], v[112:113], -v[156:157]
	ds_read2_b64 v[156:159], v206 offset0:22 offset1:23
	s_waitcnt lgkmcnt(0)
	v_mul_f64 v[114:115], v[158:159], v[116:117]
	v_fma_f64 v[114:115], v[156:157], v[154:155], -v[114:115]
	v_mul_f64 v[156:157], v[156:157], v[116:117]
	v_add_f64 v[106:107], v[106:107], -v[114:115]
	v_fma_f64 v[156:157], v[158:159], v[154:155], v[156:157]
	v_add_f64 v[108:109], v[108:109], -v[156:157]
	;; [unrolled: 8-line block ×27, first 2 shown]
	ds_read2_b64 v[156:159], v206 offset0:74 offset1:75
	s_waitcnt lgkmcnt(0)
	v_mul_f64 v[114:115], v[158:159], v[116:117]
	v_fma_f64 v[114:115], v[156:157], v[154:155], -v[114:115]
	v_mul_f64 v[156:157], v[156:157], v[116:117]
	v_add_f64 v[2:3], v[2:3], -v[114:115]
	v_fma_f64 v[156:157], v[158:159], v[154:155], v[156:157]
	v_mov_b32_e32 v114, v154
	v_mov_b32_e32 v115, v155
	v_add_f64 v[4:5], v[4:5], -v[156:157]
.LBB75_91:
	s_or_b32 exec_lo, exec_lo, s1
	s_mov_b32 s2, exec_lo
	s_waitcnt_vscnt null, 0x0
	s_barrier
	buffer_gl0_inv
	v_cmpx_eq_u32_e32 10, v0
	s_cbranch_execz .LBB75_98
; %bb.92:
	ds_write2_b64 v1, v[110:111], v[112:113] offset1:1
	ds_write2_b64 v206, v[106:107], v[108:109] offset0:22 offset1:23
	ds_write2_b64 v206, v[102:103], v[104:105] offset0:24 offset1:25
	;; [unrolled: 1-line block ×27, first 2 shown]
	ds_read2_b64 v[154:157], v1 offset1:1
	s_waitcnt lgkmcnt(0)
	v_cmp_neq_f64_e32 vcc_lo, 0, v[154:155]
	v_cmp_neq_f64_e64 s1, 0, v[156:157]
	s_or_b32 s1, vcc_lo, s1
	s_and_b32 exec_lo, exec_lo, s1
	s_cbranch_execz .LBB75_98
; %bb.93:
	v_cmp_ngt_f64_e64 s1, |v[154:155]|, |v[156:157]|
                                        ; implicit-def: $vgpr158_vgpr159
	s_and_saveexec_b32 s3, s1
	s_xor_b32 s1, exec_lo, s3
                                        ; implicit-def: $vgpr160_vgpr161
	s_cbranch_execz .LBB75_95
; %bb.94:
	v_div_scale_f64 v[158:159], null, v[156:157], v[156:157], v[154:155]
	v_div_scale_f64 v[164:165], vcc_lo, v[154:155], v[156:157], v[154:155]
	v_rcp_f64_e32 v[160:161], v[158:159]
	v_fma_f64 v[162:163], -v[158:159], v[160:161], 1.0
	v_fma_f64 v[160:161], v[160:161], v[162:163], v[160:161]
	v_fma_f64 v[162:163], -v[158:159], v[160:161], 1.0
	v_fma_f64 v[160:161], v[160:161], v[162:163], v[160:161]
	v_mul_f64 v[162:163], v[164:165], v[160:161]
	v_fma_f64 v[158:159], -v[158:159], v[162:163], v[164:165]
	v_div_fmas_f64 v[158:159], v[158:159], v[160:161], v[162:163]
	v_div_fixup_f64 v[158:159], v[158:159], v[156:157], v[154:155]
	v_fma_f64 v[154:155], v[154:155], v[158:159], v[156:157]
	v_div_scale_f64 v[156:157], null, v[154:155], v[154:155], 1.0
	v_rcp_f64_e32 v[160:161], v[156:157]
	v_fma_f64 v[162:163], -v[156:157], v[160:161], 1.0
	v_fma_f64 v[160:161], v[160:161], v[162:163], v[160:161]
	v_fma_f64 v[162:163], -v[156:157], v[160:161], 1.0
	v_fma_f64 v[160:161], v[160:161], v[162:163], v[160:161]
	v_div_scale_f64 v[162:163], vcc_lo, 1.0, v[154:155], 1.0
	v_mul_f64 v[164:165], v[162:163], v[160:161]
	v_fma_f64 v[156:157], -v[156:157], v[164:165], v[162:163]
	v_div_fmas_f64 v[156:157], v[156:157], v[160:161], v[164:165]
	v_div_fixup_f64 v[160:161], v[156:157], v[154:155], 1.0
                                        ; implicit-def: $vgpr154_vgpr155
	v_mul_f64 v[158:159], v[158:159], v[160:161]
	v_xor_b32_e32 v161, 0x80000000, v161
.LBB75_95:
	s_andn2_saveexec_b32 s1, s1
	s_cbranch_execz .LBB75_97
; %bb.96:
	v_div_scale_f64 v[158:159], null, v[154:155], v[154:155], v[156:157]
	v_div_scale_f64 v[164:165], vcc_lo, v[156:157], v[154:155], v[156:157]
	v_rcp_f64_e32 v[160:161], v[158:159]
	v_fma_f64 v[162:163], -v[158:159], v[160:161], 1.0
	v_fma_f64 v[160:161], v[160:161], v[162:163], v[160:161]
	v_fma_f64 v[162:163], -v[158:159], v[160:161], 1.0
	v_fma_f64 v[160:161], v[160:161], v[162:163], v[160:161]
	v_mul_f64 v[162:163], v[164:165], v[160:161]
	v_fma_f64 v[158:159], -v[158:159], v[162:163], v[164:165]
	v_div_fmas_f64 v[158:159], v[158:159], v[160:161], v[162:163]
	v_div_fixup_f64 v[160:161], v[158:159], v[154:155], v[156:157]
	v_fma_f64 v[154:155], v[156:157], v[160:161], v[154:155]
	v_div_scale_f64 v[156:157], null, v[154:155], v[154:155], 1.0
	v_rcp_f64_e32 v[158:159], v[156:157]
	v_fma_f64 v[162:163], -v[156:157], v[158:159], 1.0
	v_fma_f64 v[158:159], v[158:159], v[162:163], v[158:159]
	v_fma_f64 v[162:163], -v[156:157], v[158:159], 1.0
	v_fma_f64 v[158:159], v[158:159], v[162:163], v[158:159]
	v_div_scale_f64 v[162:163], vcc_lo, 1.0, v[154:155], 1.0
	v_mul_f64 v[164:165], v[162:163], v[158:159]
	v_fma_f64 v[156:157], -v[156:157], v[164:165], v[162:163]
	v_div_fmas_f64 v[156:157], v[156:157], v[158:159], v[164:165]
	v_div_fixup_f64 v[158:159], v[156:157], v[154:155], 1.0
	v_mul_f64 v[160:161], v[160:161], -v[158:159]
.LBB75_97:
	s_or_b32 exec_lo, exec_lo, s1
	ds_write2_b64 v1, v[158:159], v[160:161] offset1:1
.LBB75_98:
	s_or_b32 exec_lo, exec_lo, s2
	s_waitcnt lgkmcnt(0)
	s_barrier
	buffer_gl0_inv
	ds_read2_b64 v[154:157], v1 offset1:1
	s_mov_b32 s1, exec_lo
	s_waitcnt lgkmcnt(0)
	buffer_store_dword v154, off, s[16:19], 0 offset:280 ; 4-byte Folded Spill
	buffer_store_dword v155, off, s[16:19], 0 offset:284 ; 4-byte Folded Spill
	;; [unrolled: 1-line block ×4, first 2 shown]
	v_cmpx_lt_u32_e32 10, v0
	s_cbranch_execz .LBB75_100
; %bb.99:
	s_clause 0x3
	buffer_load_dword v156, off, s[16:19], 0 offset:280
	buffer_load_dword v157, off, s[16:19], 0 offset:284
	;; [unrolled: 1-line block ×4, first 2 shown]
	s_waitcnt vmcnt(0)
	v_mul_f64 v[154:155], v[158:159], v[112:113]
	v_mul_f64 v[112:113], v[156:157], v[112:113]
	v_fma_f64 v[154:155], v[156:157], v[110:111], -v[154:155]
	v_fma_f64 v[112:113], v[158:159], v[110:111], v[112:113]
	ds_read2_b64 v[156:159], v206 offset0:22 offset1:23
	s_waitcnt lgkmcnt(0)
	v_mul_f64 v[110:111], v[158:159], v[112:113]
	v_fma_f64 v[110:111], v[156:157], v[154:155], -v[110:111]
	v_mul_f64 v[156:157], v[156:157], v[112:113]
	v_add_f64 v[106:107], v[106:107], -v[110:111]
	v_fma_f64 v[156:157], v[158:159], v[154:155], v[156:157]
	v_add_f64 v[108:109], v[108:109], -v[156:157]
	ds_read2_b64 v[156:159], v206 offset0:24 offset1:25
	s_waitcnt lgkmcnt(0)
	v_mul_f64 v[110:111], v[158:159], v[112:113]
	v_fma_f64 v[110:111], v[156:157], v[154:155], -v[110:111]
	v_mul_f64 v[156:157], v[156:157], v[112:113]
	v_add_f64 v[102:103], v[102:103], -v[110:111]
	v_fma_f64 v[156:157], v[158:159], v[154:155], v[156:157]
	v_add_f64 v[104:105], v[104:105], -v[156:157]
	;; [unrolled: 8-line block ×26, first 2 shown]
	ds_read2_b64 v[156:159], v206 offset0:74 offset1:75
	s_waitcnt lgkmcnt(0)
	v_mul_f64 v[110:111], v[158:159], v[112:113]
	v_fma_f64 v[110:111], v[156:157], v[154:155], -v[110:111]
	v_mul_f64 v[156:157], v[156:157], v[112:113]
	v_add_f64 v[2:3], v[2:3], -v[110:111]
	v_fma_f64 v[156:157], v[158:159], v[154:155], v[156:157]
	v_mov_b32_e32 v110, v154
	v_mov_b32_e32 v111, v155
	v_add_f64 v[4:5], v[4:5], -v[156:157]
.LBB75_100:
	s_or_b32 exec_lo, exec_lo, s1
	s_mov_b32 s2, exec_lo
	s_waitcnt_vscnt null, 0x0
	s_barrier
	buffer_gl0_inv
	v_cmpx_eq_u32_e32 11, v0
	s_cbranch_execz .LBB75_107
; %bb.101:
	ds_write2_b64 v1, v[106:107], v[108:109] offset1:1
	ds_write2_b64 v206, v[102:103], v[104:105] offset0:24 offset1:25
	ds_write2_b64 v206, v[98:99], v[100:101] offset0:26 offset1:27
	;; [unrolled: 1-line block ×26, first 2 shown]
	ds_read2_b64 v[154:157], v1 offset1:1
	s_waitcnt lgkmcnt(0)
	v_cmp_neq_f64_e32 vcc_lo, 0, v[154:155]
	v_cmp_neq_f64_e64 s1, 0, v[156:157]
	s_or_b32 s1, vcc_lo, s1
	s_and_b32 exec_lo, exec_lo, s1
	s_cbranch_execz .LBB75_107
; %bb.102:
	v_cmp_ngt_f64_e64 s1, |v[154:155]|, |v[156:157]|
                                        ; implicit-def: $vgpr158_vgpr159
	s_and_saveexec_b32 s3, s1
	s_xor_b32 s1, exec_lo, s3
                                        ; implicit-def: $vgpr160_vgpr161
	s_cbranch_execz .LBB75_104
; %bb.103:
	v_div_scale_f64 v[158:159], null, v[156:157], v[156:157], v[154:155]
	v_div_scale_f64 v[164:165], vcc_lo, v[154:155], v[156:157], v[154:155]
	v_rcp_f64_e32 v[160:161], v[158:159]
	v_fma_f64 v[162:163], -v[158:159], v[160:161], 1.0
	v_fma_f64 v[160:161], v[160:161], v[162:163], v[160:161]
	v_fma_f64 v[162:163], -v[158:159], v[160:161], 1.0
	v_fma_f64 v[160:161], v[160:161], v[162:163], v[160:161]
	v_mul_f64 v[162:163], v[164:165], v[160:161]
	v_fma_f64 v[158:159], -v[158:159], v[162:163], v[164:165]
	v_div_fmas_f64 v[158:159], v[158:159], v[160:161], v[162:163]
	v_div_fixup_f64 v[158:159], v[158:159], v[156:157], v[154:155]
	v_fma_f64 v[154:155], v[154:155], v[158:159], v[156:157]
	v_div_scale_f64 v[156:157], null, v[154:155], v[154:155], 1.0
	v_rcp_f64_e32 v[160:161], v[156:157]
	v_fma_f64 v[162:163], -v[156:157], v[160:161], 1.0
	v_fma_f64 v[160:161], v[160:161], v[162:163], v[160:161]
	v_fma_f64 v[162:163], -v[156:157], v[160:161], 1.0
	v_fma_f64 v[160:161], v[160:161], v[162:163], v[160:161]
	v_div_scale_f64 v[162:163], vcc_lo, 1.0, v[154:155], 1.0
	v_mul_f64 v[164:165], v[162:163], v[160:161]
	v_fma_f64 v[156:157], -v[156:157], v[164:165], v[162:163]
	v_div_fmas_f64 v[156:157], v[156:157], v[160:161], v[164:165]
	v_div_fixup_f64 v[160:161], v[156:157], v[154:155], 1.0
                                        ; implicit-def: $vgpr154_vgpr155
	v_mul_f64 v[158:159], v[158:159], v[160:161]
	v_xor_b32_e32 v161, 0x80000000, v161
.LBB75_104:
	s_andn2_saveexec_b32 s1, s1
	s_cbranch_execz .LBB75_106
; %bb.105:
	v_div_scale_f64 v[158:159], null, v[154:155], v[154:155], v[156:157]
	v_div_scale_f64 v[164:165], vcc_lo, v[156:157], v[154:155], v[156:157]
	v_rcp_f64_e32 v[160:161], v[158:159]
	v_fma_f64 v[162:163], -v[158:159], v[160:161], 1.0
	v_fma_f64 v[160:161], v[160:161], v[162:163], v[160:161]
	v_fma_f64 v[162:163], -v[158:159], v[160:161], 1.0
	v_fma_f64 v[160:161], v[160:161], v[162:163], v[160:161]
	v_mul_f64 v[162:163], v[164:165], v[160:161]
	v_fma_f64 v[158:159], -v[158:159], v[162:163], v[164:165]
	v_div_fmas_f64 v[158:159], v[158:159], v[160:161], v[162:163]
	v_div_fixup_f64 v[160:161], v[158:159], v[154:155], v[156:157]
	v_fma_f64 v[154:155], v[156:157], v[160:161], v[154:155]
	v_div_scale_f64 v[156:157], null, v[154:155], v[154:155], 1.0
	v_rcp_f64_e32 v[158:159], v[156:157]
	v_fma_f64 v[162:163], -v[156:157], v[158:159], 1.0
	v_fma_f64 v[158:159], v[158:159], v[162:163], v[158:159]
	v_fma_f64 v[162:163], -v[156:157], v[158:159], 1.0
	v_fma_f64 v[158:159], v[158:159], v[162:163], v[158:159]
	v_div_scale_f64 v[162:163], vcc_lo, 1.0, v[154:155], 1.0
	v_mul_f64 v[164:165], v[162:163], v[158:159]
	v_fma_f64 v[156:157], -v[156:157], v[164:165], v[162:163]
	v_div_fmas_f64 v[156:157], v[156:157], v[158:159], v[164:165]
	v_div_fixup_f64 v[158:159], v[156:157], v[154:155], 1.0
	v_mul_f64 v[160:161], v[160:161], -v[158:159]
.LBB75_106:
	s_or_b32 exec_lo, exec_lo, s1
	ds_write2_b64 v1, v[158:159], v[160:161] offset1:1
.LBB75_107:
	s_or_b32 exec_lo, exec_lo, s2
	s_waitcnt lgkmcnt(0)
	s_barrier
	buffer_gl0_inv
	ds_read2_b64 v[154:157], v1 offset1:1
	s_mov_b32 s1, exec_lo
	s_waitcnt lgkmcnt(0)
	buffer_store_dword v154, off, s[16:19], 0 offset:296 ; 4-byte Folded Spill
	buffer_store_dword v155, off, s[16:19], 0 offset:300 ; 4-byte Folded Spill
	;; [unrolled: 1-line block ×4, first 2 shown]
	v_cmpx_lt_u32_e32 11, v0
	s_cbranch_execz .LBB75_109
; %bb.108:
	s_clause 0x3
	buffer_load_dword v156, off, s[16:19], 0 offset:296
	buffer_load_dword v157, off, s[16:19], 0 offset:300
	;; [unrolled: 1-line block ×4, first 2 shown]
	s_waitcnt vmcnt(0)
	v_mul_f64 v[154:155], v[158:159], v[108:109]
	v_mul_f64 v[108:109], v[156:157], v[108:109]
	v_fma_f64 v[154:155], v[156:157], v[106:107], -v[154:155]
	v_fma_f64 v[108:109], v[158:159], v[106:107], v[108:109]
	ds_read2_b64 v[156:159], v206 offset0:24 offset1:25
	s_waitcnt lgkmcnt(0)
	v_mul_f64 v[106:107], v[158:159], v[108:109]
	v_fma_f64 v[106:107], v[156:157], v[154:155], -v[106:107]
	v_mul_f64 v[156:157], v[156:157], v[108:109]
	v_add_f64 v[102:103], v[102:103], -v[106:107]
	v_fma_f64 v[156:157], v[158:159], v[154:155], v[156:157]
	v_add_f64 v[104:105], v[104:105], -v[156:157]
	ds_read2_b64 v[156:159], v206 offset0:26 offset1:27
	s_waitcnt lgkmcnt(0)
	v_mul_f64 v[106:107], v[158:159], v[108:109]
	v_fma_f64 v[106:107], v[156:157], v[154:155], -v[106:107]
	v_mul_f64 v[156:157], v[156:157], v[108:109]
	v_add_f64 v[98:99], v[98:99], -v[106:107]
	v_fma_f64 v[156:157], v[158:159], v[154:155], v[156:157]
	v_add_f64 v[100:101], v[100:101], -v[156:157]
	;; [unrolled: 8-line block ×25, first 2 shown]
	ds_read2_b64 v[156:159], v206 offset0:74 offset1:75
	s_waitcnt lgkmcnt(0)
	v_mul_f64 v[106:107], v[158:159], v[108:109]
	v_fma_f64 v[106:107], v[156:157], v[154:155], -v[106:107]
	v_mul_f64 v[156:157], v[156:157], v[108:109]
	v_add_f64 v[2:3], v[2:3], -v[106:107]
	v_fma_f64 v[156:157], v[158:159], v[154:155], v[156:157]
	v_mov_b32_e32 v106, v154
	v_mov_b32_e32 v107, v155
	v_add_f64 v[4:5], v[4:5], -v[156:157]
.LBB75_109:
	s_or_b32 exec_lo, exec_lo, s1
	s_mov_b32 s2, exec_lo
	s_waitcnt_vscnt null, 0x0
	s_barrier
	buffer_gl0_inv
	v_cmpx_eq_u32_e32 12, v0
	s_cbranch_execz .LBB75_116
; %bb.110:
	ds_write2_b64 v1, v[102:103], v[104:105] offset1:1
	ds_write2_b64 v206, v[98:99], v[100:101] offset0:26 offset1:27
	ds_write2_b64 v206, v[94:95], v[96:97] offset0:28 offset1:29
	;; [unrolled: 1-line block ×25, first 2 shown]
	ds_read2_b64 v[154:157], v1 offset1:1
	s_waitcnt lgkmcnt(0)
	v_cmp_neq_f64_e32 vcc_lo, 0, v[154:155]
	v_cmp_neq_f64_e64 s1, 0, v[156:157]
	s_or_b32 s1, vcc_lo, s1
	s_and_b32 exec_lo, exec_lo, s1
	s_cbranch_execz .LBB75_116
; %bb.111:
	v_cmp_ngt_f64_e64 s1, |v[154:155]|, |v[156:157]|
                                        ; implicit-def: $vgpr158_vgpr159
	s_and_saveexec_b32 s3, s1
	s_xor_b32 s1, exec_lo, s3
                                        ; implicit-def: $vgpr160_vgpr161
	s_cbranch_execz .LBB75_113
; %bb.112:
	v_div_scale_f64 v[158:159], null, v[156:157], v[156:157], v[154:155]
	v_div_scale_f64 v[164:165], vcc_lo, v[154:155], v[156:157], v[154:155]
	v_rcp_f64_e32 v[160:161], v[158:159]
	v_fma_f64 v[162:163], -v[158:159], v[160:161], 1.0
	v_fma_f64 v[160:161], v[160:161], v[162:163], v[160:161]
	v_fma_f64 v[162:163], -v[158:159], v[160:161], 1.0
	v_fma_f64 v[160:161], v[160:161], v[162:163], v[160:161]
	v_mul_f64 v[162:163], v[164:165], v[160:161]
	v_fma_f64 v[158:159], -v[158:159], v[162:163], v[164:165]
	v_div_fmas_f64 v[158:159], v[158:159], v[160:161], v[162:163]
	v_div_fixup_f64 v[158:159], v[158:159], v[156:157], v[154:155]
	v_fma_f64 v[154:155], v[154:155], v[158:159], v[156:157]
	v_div_scale_f64 v[156:157], null, v[154:155], v[154:155], 1.0
	v_rcp_f64_e32 v[160:161], v[156:157]
	v_fma_f64 v[162:163], -v[156:157], v[160:161], 1.0
	v_fma_f64 v[160:161], v[160:161], v[162:163], v[160:161]
	v_fma_f64 v[162:163], -v[156:157], v[160:161], 1.0
	v_fma_f64 v[160:161], v[160:161], v[162:163], v[160:161]
	v_div_scale_f64 v[162:163], vcc_lo, 1.0, v[154:155], 1.0
	v_mul_f64 v[164:165], v[162:163], v[160:161]
	v_fma_f64 v[156:157], -v[156:157], v[164:165], v[162:163]
	v_div_fmas_f64 v[156:157], v[156:157], v[160:161], v[164:165]
	v_div_fixup_f64 v[160:161], v[156:157], v[154:155], 1.0
                                        ; implicit-def: $vgpr154_vgpr155
	v_mul_f64 v[158:159], v[158:159], v[160:161]
	v_xor_b32_e32 v161, 0x80000000, v161
.LBB75_113:
	s_andn2_saveexec_b32 s1, s1
	s_cbranch_execz .LBB75_115
; %bb.114:
	v_div_scale_f64 v[158:159], null, v[154:155], v[154:155], v[156:157]
	v_div_scale_f64 v[164:165], vcc_lo, v[156:157], v[154:155], v[156:157]
	v_rcp_f64_e32 v[160:161], v[158:159]
	v_fma_f64 v[162:163], -v[158:159], v[160:161], 1.0
	v_fma_f64 v[160:161], v[160:161], v[162:163], v[160:161]
	v_fma_f64 v[162:163], -v[158:159], v[160:161], 1.0
	v_fma_f64 v[160:161], v[160:161], v[162:163], v[160:161]
	v_mul_f64 v[162:163], v[164:165], v[160:161]
	v_fma_f64 v[158:159], -v[158:159], v[162:163], v[164:165]
	v_div_fmas_f64 v[158:159], v[158:159], v[160:161], v[162:163]
	v_div_fixup_f64 v[160:161], v[158:159], v[154:155], v[156:157]
	v_fma_f64 v[154:155], v[156:157], v[160:161], v[154:155]
	v_div_scale_f64 v[156:157], null, v[154:155], v[154:155], 1.0
	v_rcp_f64_e32 v[158:159], v[156:157]
	v_fma_f64 v[162:163], -v[156:157], v[158:159], 1.0
	v_fma_f64 v[158:159], v[158:159], v[162:163], v[158:159]
	v_fma_f64 v[162:163], -v[156:157], v[158:159], 1.0
	v_fma_f64 v[158:159], v[158:159], v[162:163], v[158:159]
	v_div_scale_f64 v[162:163], vcc_lo, 1.0, v[154:155], 1.0
	v_mul_f64 v[164:165], v[162:163], v[158:159]
	v_fma_f64 v[156:157], -v[156:157], v[164:165], v[162:163]
	v_div_fmas_f64 v[156:157], v[156:157], v[158:159], v[164:165]
	v_div_fixup_f64 v[158:159], v[156:157], v[154:155], 1.0
	v_mul_f64 v[160:161], v[160:161], -v[158:159]
.LBB75_115:
	s_or_b32 exec_lo, exec_lo, s1
	ds_write2_b64 v1, v[158:159], v[160:161] offset1:1
.LBB75_116:
	s_or_b32 exec_lo, exec_lo, s2
	s_waitcnt lgkmcnt(0)
	s_barrier
	buffer_gl0_inv
	ds_read2_b64 v[154:157], v1 offset1:1
	s_mov_b32 s1, exec_lo
	s_waitcnt lgkmcnt(0)
	buffer_store_dword v154, off, s[16:19], 0 offset:312 ; 4-byte Folded Spill
	buffer_store_dword v155, off, s[16:19], 0 offset:316 ; 4-byte Folded Spill
	;; [unrolled: 1-line block ×4, first 2 shown]
	v_cmpx_lt_u32_e32 12, v0
	s_cbranch_execz .LBB75_118
; %bb.117:
	s_clause 0x3
	buffer_load_dword v156, off, s[16:19], 0 offset:312
	buffer_load_dword v157, off, s[16:19], 0 offset:316
	;; [unrolled: 1-line block ×4, first 2 shown]
	s_waitcnt vmcnt(0)
	v_mul_f64 v[154:155], v[158:159], v[104:105]
	v_mul_f64 v[104:105], v[156:157], v[104:105]
	v_fma_f64 v[154:155], v[156:157], v[102:103], -v[154:155]
	v_fma_f64 v[104:105], v[158:159], v[102:103], v[104:105]
	ds_read2_b64 v[156:159], v206 offset0:26 offset1:27
	s_waitcnt lgkmcnt(0)
	v_mul_f64 v[102:103], v[158:159], v[104:105]
	v_fma_f64 v[102:103], v[156:157], v[154:155], -v[102:103]
	v_mul_f64 v[156:157], v[156:157], v[104:105]
	v_add_f64 v[98:99], v[98:99], -v[102:103]
	v_fma_f64 v[156:157], v[158:159], v[154:155], v[156:157]
	v_add_f64 v[100:101], v[100:101], -v[156:157]
	ds_read2_b64 v[156:159], v206 offset0:28 offset1:29
	s_waitcnt lgkmcnt(0)
	v_mul_f64 v[102:103], v[158:159], v[104:105]
	v_fma_f64 v[102:103], v[156:157], v[154:155], -v[102:103]
	v_mul_f64 v[156:157], v[156:157], v[104:105]
	v_add_f64 v[94:95], v[94:95], -v[102:103]
	v_fma_f64 v[156:157], v[158:159], v[154:155], v[156:157]
	v_add_f64 v[96:97], v[96:97], -v[156:157]
	;; [unrolled: 8-line block ×24, first 2 shown]
	ds_read2_b64 v[156:159], v206 offset0:74 offset1:75
	s_waitcnt lgkmcnt(0)
	v_mul_f64 v[102:103], v[158:159], v[104:105]
	v_fma_f64 v[102:103], v[156:157], v[154:155], -v[102:103]
	v_mul_f64 v[156:157], v[156:157], v[104:105]
	v_add_f64 v[2:3], v[2:3], -v[102:103]
	v_fma_f64 v[156:157], v[158:159], v[154:155], v[156:157]
	v_mov_b32_e32 v102, v154
	v_mov_b32_e32 v103, v155
	v_add_f64 v[4:5], v[4:5], -v[156:157]
.LBB75_118:
	s_or_b32 exec_lo, exec_lo, s1
	s_mov_b32 s2, exec_lo
	s_waitcnt_vscnt null, 0x0
	s_barrier
	buffer_gl0_inv
	v_cmpx_eq_u32_e32 13, v0
	s_cbranch_execz .LBB75_125
; %bb.119:
	ds_write2_b64 v1, v[98:99], v[100:101] offset1:1
	ds_write2_b64 v206, v[94:95], v[96:97] offset0:28 offset1:29
	ds_write2_b64 v206, v[90:91], v[92:93] offset0:30 offset1:31
	;; [unrolled: 1-line block ×24, first 2 shown]
	ds_read2_b64 v[154:157], v1 offset1:1
	s_waitcnt lgkmcnt(0)
	v_cmp_neq_f64_e32 vcc_lo, 0, v[154:155]
	v_cmp_neq_f64_e64 s1, 0, v[156:157]
	s_or_b32 s1, vcc_lo, s1
	s_and_b32 exec_lo, exec_lo, s1
	s_cbranch_execz .LBB75_125
; %bb.120:
	v_cmp_ngt_f64_e64 s1, |v[154:155]|, |v[156:157]|
                                        ; implicit-def: $vgpr158_vgpr159
	s_and_saveexec_b32 s3, s1
	s_xor_b32 s1, exec_lo, s3
                                        ; implicit-def: $vgpr160_vgpr161
	s_cbranch_execz .LBB75_122
; %bb.121:
	v_div_scale_f64 v[158:159], null, v[156:157], v[156:157], v[154:155]
	v_div_scale_f64 v[164:165], vcc_lo, v[154:155], v[156:157], v[154:155]
	v_rcp_f64_e32 v[160:161], v[158:159]
	v_fma_f64 v[162:163], -v[158:159], v[160:161], 1.0
	v_fma_f64 v[160:161], v[160:161], v[162:163], v[160:161]
	v_fma_f64 v[162:163], -v[158:159], v[160:161], 1.0
	v_fma_f64 v[160:161], v[160:161], v[162:163], v[160:161]
	v_mul_f64 v[162:163], v[164:165], v[160:161]
	v_fma_f64 v[158:159], -v[158:159], v[162:163], v[164:165]
	v_div_fmas_f64 v[158:159], v[158:159], v[160:161], v[162:163]
	v_div_fixup_f64 v[158:159], v[158:159], v[156:157], v[154:155]
	v_fma_f64 v[154:155], v[154:155], v[158:159], v[156:157]
	v_div_scale_f64 v[156:157], null, v[154:155], v[154:155], 1.0
	v_rcp_f64_e32 v[160:161], v[156:157]
	v_fma_f64 v[162:163], -v[156:157], v[160:161], 1.0
	v_fma_f64 v[160:161], v[160:161], v[162:163], v[160:161]
	v_fma_f64 v[162:163], -v[156:157], v[160:161], 1.0
	v_fma_f64 v[160:161], v[160:161], v[162:163], v[160:161]
	v_div_scale_f64 v[162:163], vcc_lo, 1.0, v[154:155], 1.0
	v_mul_f64 v[164:165], v[162:163], v[160:161]
	v_fma_f64 v[156:157], -v[156:157], v[164:165], v[162:163]
	v_div_fmas_f64 v[156:157], v[156:157], v[160:161], v[164:165]
	v_div_fixup_f64 v[160:161], v[156:157], v[154:155], 1.0
                                        ; implicit-def: $vgpr154_vgpr155
	v_mul_f64 v[158:159], v[158:159], v[160:161]
	v_xor_b32_e32 v161, 0x80000000, v161
.LBB75_122:
	s_andn2_saveexec_b32 s1, s1
	s_cbranch_execz .LBB75_124
; %bb.123:
	v_div_scale_f64 v[158:159], null, v[154:155], v[154:155], v[156:157]
	v_div_scale_f64 v[164:165], vcc_lo, v[156:157], v[154:155], v[156:157]
	v_rcp_f64_e32 v[160:161], v[158:159]
	v_fma_f64 v[162:163], -v[158:159], v[160:161], 1.0
	v_fma_f64 v[160:161], v[160:161], v[162:163], v[160:161]
	v_fma_f64 v[162:163], -v[158:159], v[160:161], 1.0
	v_fma_f64 v[160:161], v[160:161], v[162:163], v[160:161]
	v_mul_f64 v[162:163], v[164:165], v[160:161]
	v_fma_f64 v[158:159], -v[158:159], v[162:163], v[164:165]
	v_div_fmas_f64 v[158:159], v[158:159], v[160:161], v[162:163]
	v_div_fixup_f64 v[160:161], v[158:159], v[154:155], v[156:157]
	v_fma_f64 v[154:155], v[156:157], v[160:161], v[154:155]
	v_div_scale_f64 v[156:157], null, v[154:155], v[154:155], 1.0
	v_rcp_f64_e32 v[158:159], v[156:157]
	v_fma_f64 v[162:163], -v[156:157], v[158:159], 1.0
	v_fma_f64 v[158:159], v[158:159], v[162:163], v[158:159]
	v_fma_f64 v[162:163], -v[156:157], v[158:159], 1.0
	v_fma_f64 v[158:159], v[158:159], v[162:163], v[158:159]
	v_div_scale_f64 v[162:163], vcc_lo, 1.0, v[154:155], 1.0
	v_mul_f64 v[164:165], v[162:163], v[158:159]
	v_fma_f64 v[156:157], -v[156:157], v[164:165], v[162:163]
	v_div_fmas_f64 v[156:157], v[156:157], v[158:159], v[164:165]
	v_div_fixup_f64 v[158:159], v[156:157], v[154:155], 1.0
	v_mul_f64 v[160:161], v[160:161], -v[158:159]
.LBB75_124:
	s_or_b32 exec_lo, exec_lo, s1
	ds_write2_b64 v1, v[158:159], v[160:161] offset1:1
.LBB75_125:
	s_or_b32 exec_lo, exec_lo, s2
	s_waitcnt lgkmcnt(0)
	s_barrier
	buffer_gl0_inv
	ds_read2_b64 v[154:157], v1 offset1:1
	s_mov_b32 s1, exec_lo
	s_waitcnt lgkmcnt(0)
	buffer_store_dword v154, off, s[16:19], 0 offset:328 ; 4-byte Folded Spill
	buffer_store_dword v155, off, s[16:19], 0 offset:332 ; 4-byte Folded Spill
	;; [unrolled: 1-line block ×4, first 2 shown]
	v_cmpx_lt_u32_e32 13, v0
	s_cbranch_execz .LBB75_127
; %bb.126:
	s_clause 0x3
	buffer_load_dword v156, off, s[16:19], 0 offset:328
	buffer_load_dword v157, off, s[16:19], 0 offset:332
	;; [unrolled: 1-line block ×4, first 2 shown]
	s_waitcnt vmcnt(0)
	v_mul_f64 v[154:155], v[158:159], v[100:101]
	v_mul_f64 v[100:101], v[156:157], v[100:101]
	v_fma_f64 v[154:155], v[156:157], v[98:99], -v[154:155]
	v_fma_f64 v[100:101], v[158:159], v[98:99], v[100:101]
	ds_read2_b64 v[156:159], v206 offset0:28 offset1:29
	s_waitcnt lgkmcnt(0)
	v_mul_f64 v[98:99], v[158:159], v[100:101]
	v_fma_f64 v[98:99], v[156:157], v[154:155], -v[98:99]
	v_mul_f64 v[156:157], v[156:157], v[100:101]
	v_add_f64 v[94:95], v[94:95], -v[98:99]
	v_fma_f64 v[156:157], v[158:159], v[154:155], v[156:157]
	v_add_f64 v[96:97], v[96:97], -v[156:157]
	ds_read2_b64 v[156:159], v206 offset0:30 offset1:31
	s_waitcnt lgkmcnt(0)
	v_mul_f64 v[98:99], v[158:159], v[100:101]
	v_fma_f64 v[98:99], v[156:157], v[154:155], -v[98:99]
	v_mul_f64 v[156:157], v[156:157], v[100:101]
	v_add_f64 v[90:91], v[90:91], -v[98:99]
	v_fma_f64 v[156:157], v[158:159], v[154:155], v[156:157]
	v_add_f64 v[92:93], v[92:93], -v[156:157]
	;; [unrolled: 8-line block ×23, first 2 shown]
	ds_read2_b64 v[156:159], v206 offset0:74 offset1:75
	s_waitcnt lgkmcnt(0)
	v_mul_f64 v[98:99], v[158:159], v[100:101]
	v_fma_f64 v[98:99], v[156:157], v[154:155], -v[98:99]
	v_mul_f64 v[156:157], v[156:157], v[100:101]
	v_add_f64 v[2:3], v[2:3], -v[98:99]
	v_fma_f64 v[156:157], v[158:159], v[154:155], v[156:157]
	v_mov_b32_e32 v98, v154
	v_mov_b32_e32 v99, v155
	v_add_f64 v[4:5], v[4:5], -v[156:157]
.LBB75_127:
	s_or_b32 exec_lo, exec_lo, s1
	s_mov_b32 s2, exec_lo
	s_waitcnt_vscnt null, 0x0
	s_barrier
	buffer_gl0_inv
	v_cmpx_eq_u32_e32 14, v0
	s_cbranch_execz .LBB75_134
; %bb.128:
	ds_write2_b64 v1, v[94:95], v[96:97] offset1:1
	ds_write2_b64 v206, v[90:91], v[92:93] offset0:30 offset1:31
	ds_write2_b64 v206, v[86:87], v[88:89] offset0:32 offset1:33
	ds_write2_b64 v206, v[82:83], v[84:85] offset0:34 offset1:35
	ds_write2_b64 v206, v[78:79], v[80:81] offset0:36 offset1:37
	ds_write2_b64 v206, v[74:75], v[76:77] offset0:38 offset1:39
	ds_write2_b64 v206, v[70:71], v[72:73] offset0:40 offset1:41
	ds_write2_b64 v206, v[66:67], v[68:69] offset0:42 offset1:43
	ds_write2_b64 v206, v[62:63], v[64:65] offset0:44 offset1:45
	ds_write2_b64 v206, v[58:59], v[60:61] offset0:46 offset1:47
	ds_write2_b64 v206, v[54:55], v[56:57] offset0:48 offset1:49
	ds_write2_b64 v206, v[50:51], v[52:53] offset0:50 offset1:51
	ds_write2_b64 v206, v[46:47], v[48:49] offset0:52 offset1:53
	ds_write2_b64 v206, v[42:43], v[44:45] offset0:54 offset1:55
	ds_write2_b64 v206, v[38:39], v[40:41] offset0:56 offset1:57
	ds_write2_b64 v206, v[34:35], v[36:37] offset0:58 offset1:59
	ds_write2_b64 v206, v[30:31], v[32:33] offset0:60 offset1:61
	ds_write2_b64 v206, v[26:27], v[28:29] offset0:62 offset1:63
	ds_write2_b64 v206, v[22:23], v[24:25] offset0:64 offset1:65
	ds_write2_b64 v206, v[18:19], v[20:21] offset0:66 offset1:67
	ds_write2_b64 v206, v[14:15], v[16:17] offset0:68 offset1:69
	ds_write2_b64 v206, v[10:11], v[12:13] offset0:70 offset1:71
	ds_write2_b64 v206, v[6:7], v[8:9] offset0:72 offset1:73
	ds_write2_b64 v206, v[2:3], v[4:5] offset0:74 offset1:75
	ds_read2_b64 v[154:157], v1 offset1:1
	s_waitcnt lgkmcnt(0)
	v_cmp_neq_f64_e32 vcc_lo, 0, v[154:155]
	v_cmp_neq_f64_e64 s1, 0, v[156:157]
	s_or_b32 s1, vcc_lo, s1
	s_and_b32 exec_lo, exec_lo, s1
	s_cbranch_execz .LBB75_134
; %bb.129:
	v_cmp_ngt_f64_e64 s1, |v[154:155]|, |v[156:157]|
                                        ; implicit-def: $vgpr158_vgpr159
	s_and_saveexec_b32 s3, s1
	s_xor_b32 s1, exec_lo, s3
                                        ; implicit-def: $vgpr160_vgpr161
	s_cbranch_execz .LBB75_131
; %bb.130:
	v_div_scale_f64 v[158:159], null, v[156:157], v[156:157], v[154:155]
	v_div_scale_f64 v[164:165], vcc_lo, v[154:155], v[156:157], v[154:155]
	v_rcp_f64_e32 v[160:161], v[158:159]
	v_fma_f64 v[162:163], -v[158:159], v[160:161], 1.0
	v_fma_f64 v[160:161], v[160:161], v[162:163], v[160:161]
	v_fma_f64 v[162:163], -v[158:159], v[160:161], 1.0
	v_fma_f64 v[160:161], v[160:161], v[162:163], v[160:161]
	v_mul_f64 v[162:163], v[164:165], v[160:161]
	v_fma_f64 v[158:159], -v[158:159], v[162:163], v[164:165]
	v_div_fmas_f64 v[158:159], v[158:159], v[160:161], v[162:163]
	v_div_fixup_f64 v[158:159], v[158:159], v[156:157], v[154:155]
	v_fma_f64 v[154:155], v[154:155], v[158:159], v[156:157]
	v_div_scale_f64 v[156:157], null, v[154:155], v[154:155], 1.0
	v_rcp_f64_e32 v[160:161], v[156:157]
	v_fma_f64 v[162:163], -v[156:157], v[160:161], 1.0
	v_fma_f64 v[160:161], v[160:161], v[162:163], v[160:161]
	v_fma_f64 v[162:163], -v[156:157], v[160:161], 1.0
	v_fma_f64 v[160:161], v[160:161], v[162:163], v[160:161]
	v_div_scale_f64 v[162:163], vcc_lo, 1.0, v[154:155], 1.0
	v_mul_f64 v[164:165], v[162:163], v[160:161]
	v_fma_f64 v[156:157], -v[156:157], v[164:165], v[162:163]
	v_div_fmas_f64 v[156:157], v[156:157], v[160:161], v[164:165]
	v_div_fixup_f64 v[160:161], v[156:157], v[154:155], 1.0
                                        ; implicit-def: $vgpr154_vgpr155
	v_mul_f64 v[158:159], v[158:159], v[160:161]
	v_xor_b32_e32 v161, 0x80000000, v161
.LBB75_131:
	s_andn2_saveexec_b32 s1, s1
	s_cbranch_execz .LBB75_133
; %bb.132:
	v_div_scale_f64 v[158:159], null, v[154:155], v[154:155], v[156:157]
	v_div_scale_f64 v[164:165], vcc_lo, v[156:157], v[154:155], v[156:157]
	v_rcp_f64_e32 v[160:161], v[158:159]
	v_fma_f64 v[162:163], -v[158:159], v[160:161], 1.0
	v_fma_f64 v[160:161], v[160:161], v[162:163], v[160:161]
	v_fma_f64 v[162:163], -v[158:159], v[160:161], 1.0
	v_fma_f64 v[160:161], v[160:161], v[162:163], v[160:161]
	v_mul_f64 v[162:163], v[164:165], v[160:161]
	v_fma_f64 v[158:159], -v[158:159], v[162:163], v[164:165]
	v_div_fmas_f64 v[158:159], v[158:159], v[160:161], v[162:163]
	v_div_fixup_f64 v[160:161], v[158:159], v[154:155], v[156:157]
	v_fma_f64 v[154:155], v[156:157], v[160:161], v[154:155]
	v_div_scale_f64 v[156:157], null, v[154:155], v[154:155], 1.0
	v_rcp_f64_e32 v[158:159], v[156:157]
	v_fma_f64 v[162:163], -v[156:157], v[158:159], 1.0
	v_fma_f64 v[158:159], v[158:159], v[162:163], v[158:159]
	v_fma_f64 v[162:163], -v[156:157], v[158:159], 1.0
	v_fma_f64 v[158:159], v[158:159], v[162:163], v[158:159]
	v_div_scale_f64 v[162:163], vcc_lo, 1.0, v[154:155], 1.0
	v_mul_f64 v[164:165], v[162:163], v[158:159]
	v_fma_f64 v[156:157], -v[156:157], v[164:165], v[162:163]
	v_div_fmas_f64 v[156:157], v[156:157], v[158:159], v[164:165]
	v_div_fixup_f64 v[158:159], v[156:157], v[154:155], 1.0
	v_mul_f64 v[160:161], v[160:161], -v[158:159]
.LBB75_133:
	s_or_b32 exec_lo, exec_lo, s1
	ds_write2_b64 v1, v[158:159], v[160:161] offset1:1
.LBB75_134:
	s_or_b32 exec_lo, exec_lo, s2
	s_waitcnt lgkmcnt(0)
	s_barrier
	buffer_gl0_inv
	ds_read2_b64 v[154:157], v1 offset1:1
	s_mov_b32 s1, exec_lo
	s_waitcnt lgkmcnt(0)
	buffer_store_dword v154, off, s[16:19], 0 offset:344 ; 4-byte Folded Spill
	buffer_store_dword v155, off, s[16:19], 0 offset:348 ; 4-byte Folded Spill
	;; [unrolled: 1-line block ×4, first 2 shown]
	v_cmpx_lt_u32_e32 14, v0
	s_cbranch_execz .LBB75_136
; %bb.135:
	s_clause 0x3
	buffer_load_dword v156, off, s[16:19], 0 offset:344
	buffer_load_dword v157, off, s[16:19], 0 offset:348
	;; [unrolled: 1-line block ×4, first 2 shown]
	s_waitcnt vmcnt(0)
	v_mul_f64 v[154:155], v[158:159], v[96:97]
	v_mul_f64 v[96:97], v[156:157], v[96:97]
	v_fma_f64 v[154:155], v[156:157], v[94:95], -v[154:155]
	v_fma_f64 v[96:97], v[158:159], v[94:95], v[96:97]
	ds_read2_b64 v[156:159], v206 offset0:30 offset1:31
	s_waitcnt lgkmcnt(0)
	v_mul_f64 v[94:95], v[158:159], v[96:97]
	v_fma_f64 v[94:95], v[156:157], v[154:155], -v[94:95]
	v_mul_f64 v[156:157], v[156:157], v[96:97]
	v_add_f64 v[90:91], v[90:91], -v[94:95]
	v_fma_f64 v[156:157], v[158:159], v[154:155], v[156:157]
	v_add_f64 v[92:93], v[92:93], -v[156:157]
	ds_read2_b64 v[156:159], v206 offset0:32 offset1:33
	s_waitcnt lgkmcnt(0)
	v_mul_f64 v[94:95], v[158:159], v[96:97]
	v_fma_f64 v[94:95], v[156:157], v[154:155], -v[94:95]
	v_mul_f64 v[156:157], v[156:157], v[96:97]
	v_add_f64 v[86:87], v[86:87], -v[94:95]
	v_fma_f64 v[156:157], v[158:159], v[154:155], v[156:157]
	v_add_f64 v[88:89], v[88:89], -v[156:157]
	;; [unrolled: 8-line block ×22, first 2 shown]
	ds_read2_b64 v[156:159], v206 offset0:74 offset1:75
	s_waitcnt lgkmcnt(0)
	v_mul_f64 v[94:95], v[158:159], v[96:97]
	v_fma_f64 v[94:95], v[156:157], v[154:155], -v[94:95]
	v_mul_f64 v[156:157], v[156:157], v[96:97]
	v_add_f64 v[2:3], v[2:3], -v[94:95]
	v_fma_f64 v[156:157], v[158:159], v[154:155], v[156:157]
	v_mov_b32_e32 v94, v154
	v_mov_b32_e32 v95, v155
	v_add_f64 v[4:5], v[4:5], -v[156:157]
.LBB75_136:
	s_or_b32 exec_lo, exec_lo, s1
	s_mov_b32 s2, exec_lo
	s_waitcnt_vscnt null, 0x0
	s_barrier
	buffer_gl0_inv
	v_cmpx_eq_u32_e32 15, v0
	s_cbranch_execz .LBB75_143
; %bb.137:
	ds_write2_b64 v1, v[90:91], v[92:93] offset1:1
	ds_write2_b64 v206, v[86:87], v[88:89] offset0:32 offset1:33
	ds_write2_b64 v206, v[82:83], v[84:85] offset0:34 offset1:35
	;; [unrolled: 1-line block ×22, first 2 shown]
	ds_read2_b64 v[154:157], v1 offset1:1
	s_waitcnt lgkmcnt(0)
	v_cmp_neq_f64_e32 vcc_lo, 0, v[154:155]
	v_cmp_neq_f64_e64 s1, 0, v[156:157]
	s_or_b32 s1, vcc_lo, s1
	s_and_b32 exec_lo, exec_lo, s1
	s_cbranch_execz .LBB75_143
; %bb.138:
	v_cmp_ngt_f64_e64 s1, |v[154:155]|, |v[156:157]|
                                        ; implicit-def: $vgpr158_vgpr159
	s_and_saveexec_b32 s3, s1
	s_xor_b32 s1, exec_lo, s3
                                        ; implicit-def: $vgpr160_vgpr161
	s_cbranch_execz .LBB75_140
; %bb.139:
	v_div_scale_f64 v[158:159], null, v[156:157], v[156:157], v[154:155]
	v_div_scale_f64 v[164:165], vcc_lo, v[154:155], v[156:157], v[154:155]
	v_rcp_f64_e32 v[160:161], v[158:159]
	v_fma_f64 v[162:163], -v[158:159], v[160:161], 1.0
	v_fma_f64 v[160:161], v[160:161], v[162:163], v[160:161]
	v_fma_f64 v[162:163], -v[158:159], v[160:161], 1.0
	v_fma_f64 v[160:161], v[160:161], v[162:163], v[160:161]
	v_mul_f64 v[162:163], v[164:165], v[160:161]
	v_fma_f64 v[158:159], -v[158:159], v[162:163], v[164:165]
	v_div_fmas_f64 v[158:159], v[158:159], v[160:161], v[162:163]
	v_div_fixup_f64 v[158:159], v[158:159], v[156:157], v[154:155]
	v_fma_f64 v[154:155], v[154:155], v[158:159], v[156:157]
	v_div_scale_f64 v[156:157], null, v[154:155], v[154:155], 1.0
	v_rcp_f64_e32 v[160:161], v[156:157]
	v_fma_f64 v[162:163], -v[156:157], v[160:161], 1.0
	v_fma_f64 v[160:161], v[160:161], v[162:163], v[160:161]
	v_fma_f64 v[162:163], -v[156:157], v[160:161], 1.0
	v_fma_f64 v[160:161], v[160:161], v[162:163], v[160:161]
	v_div_scale_f64 v[162:163], vcc_lo, 1.0, v[154:155], 1.0
	v_mul_f64 v[164:165], v[162:163], v[160:161]
	v_fma_f64 v[156:157], -v[156:157], v[164:165], v[162:163]
	v_div_fmas_f64 v[156:157], v[156:157], v[160:161], v[164:165]
	v_div_fixup_f64 v[160:161], v[156:157], v[154:155], 1.0
                                        ; implicit-def: $vgpr154_vgpr155
	v_mul_f64 v[158:159], v[158:159], v[160:161]
	v_xor_b32_e32 v161, 0x80000000, v161
.LBB75_140:
	s_andn2_saveexec_b32 s1, s1
	s_cbranch_execz .LBB75_142
; %bb.141:
	v_div_scale_f64 v[158:159], null, v[154:155], v[154:155], v[156:157]
	v_div_scale_f64 v[164:165], vcc_lo, v[156:157], v[154:155], v[156:157]
	v_rcp_f64_e32 v[160:161], v[158:159]
	v_fma_f64 v[162:163], -v[158:159], v[160:161], 1.0
	v_fma_f64 v[160:161], v[160:161], v[162:163], v[160:161]
	v_fma_f64 v[162:163], -v[158:159], v[160:161], 1.0
	v_fma_f64 v[160:161], v[160:161], v[162:163], v[160:161]
	v_mul_f64 v[162:163], v[164:165], v[160:161]
	v_fma_f64 v[158:159], -v[158:159], v[162:163], v[164:165]
	v_div_fmas_f64 v[158:159], v[158:159], v[160:161], v[162:163]
	v_div_fixup_f64 v[160:161], v[158:159], v[154:155], v[156:157]
	v_fma_f64 v[154:155], v[156:157], v[160:161], v[154:155]
	v_div_scale_f64 v[156:157], null, v[154:155], v[154:155], 1.0
	v_rcp_f64_e32 v[158:159], v[156:157]
	v_fma_f64 v[162:163], -v[156:157], v[158:159], 1.0
	v_fma_f64 v[158:159], v[158:159], v[162:163], v[158:159]
	v_fma_f64 v[162:163], -v[156:157], v[158:159], 1.0
	v_fma_f64 v[158:159], v[158:159], v[162:163], v[158:159]
	v_div_scale_f64 v[162:163], vcc_lo, 1.0, v[154:155], 1.0
	v_mul_f64 v[164:165], v[162:163], v[158:159]
	v_fma_f64 v[156:157], -v[156:157], v[164:165], v[162:163]
	v_div_fmas_f64 v[156:157], v[156:157], v[158:159], v[164:165]
	v_div_fixup_f64 v[158:159], v[156:157], v[154:155], 1.0
	v_mul_f64 v[160:161], v[160:161], -v[158:159]
.LBB75_142:
	s_or_b32 exec_lo, exec_lo, s1
	ds_write2_b64 v1, v[158:159], v[160:161] offset1:1
.LBB75_143:
	s_or_b32 exec_lo, exec_lo, s2
	s_waitcnt lgkmcnt(0)
	s_barrier
	buffer_gl0_inv
	ds_read2_b64 v[154:157], v1 offset1:1
	s_mov_b32 s1, exec_lo
	s_waitcnt lgkmcnt(0)
	buffer_store_dword v154, off, s[16:19], 0 offset:360 ; 4-byte Folded Spill
	buffer_store_dword v155, off, s[16:19], 0 offset:364 ; 4-byte Folded Spill
	;; [unrolled: 1-line block ×4, first 2 shown]
	v_cmpx_lt_u32_e32 15, v0
	s_cbranch_execz .LBB75_145
; %bb.144:
	s_clause 0x3
	buffer_load_dword v156, off, s[16:19], 0 offset:360
	buffer_load_dword v157, off, s[16:19], 0 offset:364
	;; [unrolled: 1-line block ×4, first 2 shown]
	s_waitcnt vmcnt(0)
	v_mul_f64 v[154:155], v[158:159], v[92:93]
	v_mul_f64 v[92:93], v[156:157], v[92:93]
	v_fma_f64 v[154:155], v[156:157], v[90:91], -v[154:155]
	v_fma_f64 v[92:93], v[158:159], v[90:91], v[92:93]
	ds_read2_b64 v[156:159], v206 offset0:32 offset1:33
	s_waitcnt lgkmcnt(0)
	v_mul_f64 v[90:91], v[158:159], v[92:93]
	v_fma_f64 v[90:91], v[156:157], v[154:155], -v[90:91]
	v_mul_f64 v[156:157], v[156:157], v[92:93]
	v_add_f64 v[86:87], v[86:87], -v[90:91]
	v_fma_f64 v[156:157], v[158:159], v[154:155], v[156:157]
	v_add_f64 v[88:89], v[88:89], -v[156:157]
	ds_read2_b64 v[156:159], v206 offset0:34 offset1:35
	s_waitcnt lgkmcnt(0)
	v_mul_f64 v[90:91], v[158:159], v[92:93]
	v_fma_f64 v[90:91], v[156:157], v[154:155], -v[90:91]
	v_mul_f64 v[156:157], v[156:157], v[92:93]
	v_add_f64 v[82:83], v[82:83], -v[90:91]
	v_fma_f64 v[156:157], v[158:159], v[154:155], v[156:157]
	v_add_f64 v[84:85], v[84:85], -v[156:157]
	;; [unrolled: 8-line block ×21, first 2 shown]
	ds_read2_b64 v[156:159], v206 offset0:74 offset1:75
	s_waitcnt lgkmcnt(0)
	v_mul_f64 v[90:91], v[158:159], v[92:93]
	v_fma_f64 v[90:91], v[156:157], v[154:155], -v[90:91]
	v_mul_f64 v[156:157], v[156:157], v[92:93]
	v_add_f64 v[2:3], v[2:3], -v[90:91]
	v_fma_f64 v[156:157], v[158:159], v[154:155], v[156:157]
	v_mov_b32_e32 v90, v154
	v_mov_b32_e32 v91, v155
	v_add_f64 v[4:5], v[4:5], -v[156:157]
.LBB75_145:
	s_or_b32 exec_lo, exec_lo, s1
	s_mov_b32 s2, exec_lo
	s_waitcnt_vscnt null, 0x0
	s_barrier
	buffer_gl0_inv
	v_cmpx_eq_u32_e32 16, v0
	s_cbranch_execz .LBB75_152
; %bb.146:
	ds_write2_b64 v1, v[86:87], v[88:89] offset1:1
	ds_write2_b64 v206, v[82:83], v[84:85] offset0:34 offset1:35
	ds_write2_b64 v206, v[78:79], v[80:81] offset0:36 offset1:37
	;; [unrolled: 1-line block ×21, first 2 shown]
	ds_read2_b64 v[154:157], v1 offset1:1
	s_waitcnt lgkmcnt(0)
	v_cmp_neq_f64_e32 vcc_lo, 0, v[154:155]
	v_cmp_neq_f64_e64 s1, 0, v[156:157]
	s_or_b32 s1, vcc_lo, s1
	s_and_b32 exec_lo, exec_lo, s1
	s_cbranch_execz .LBB75_152
; %bb.147:
	v_cmp_ngt_f64_e64 s1, |v[154:155]|, |v[156:157]|
                                        ; implicit-def: $vgpr158_vgpr159
	s_and_saveexec_b32 s3, s1
	s_xor_b32 s1, exec_lo, s3
                                        ; implicit-def: $vgpr160_vgpr161
	s_cbranch_execz .LBB75_149
; %bb.148:
	v_div_scale_f64 v[158:159], null, v[156:157], v[156:157], v[154:155]
	v_div_scale_f64 v[164:165], vcc_lo, v[154:155], v[156:157], v[154:155]
	v_rcp_f64_e32 v[160:161], v[158:159]
	v_fma_f64 v[162:163], -v[158:159], v[160:161], 1.0
	v_fma_f64 v[160:161], v[160:161], v[162:163], v[160:161]
	v_fma_f64 v[162:163], -v[158:159], v[160:161], 1.0
	v_fma_f64 v[160:161], v[160:161], v[162:163], v[160:161]
	v_mul_f64 v[162:163], v[164:165], v[160:161]
	v_fma_f64 v[158:159], -v[158:159], v[162:163], v[164:165]
	v_div_fmas_f64 v[158:159], v[158:159], v[160:161], v[162:163]
	v_div_fixup_f64 v[158:159], v[158:159], v[156:157], v[154:155]
	v_fma_f64 v[154:155], v[154:155], v[158:159], v[156:157]
	v_div_scale_f64 v[156:157], null, v[154:155], v[154:155], 1.0
	v_rcp_f64_e32 v[160:161], v[156:157]
	v_fma_f64 v[162:163], -v[156:157], v[160:161], 1.0
	v_fma_f64 v[160:161], v[160:161], v[162:163], v[160:161]
	v_fma_f64 v[162:163], -v[156:157], v[160:161], 1.0
	v_fma_f64 v[160:161], v[160:161], v[162:163], v[160:161]
	v_div_scale_f64 v[162:163], vcc_lo, 1.0, v[154:155], 1.0
	v_mul_f64 v[164:165], v[162:163], v[160:161]
	v_fma_f64 v[156:157], -v[156:157], v[164:165], v[162:163]
	v_div_fmas_f64 v[156:157], v[156:157], v[160:161], v[164:165]
	v_div_fixup_f64 v[160:161], v[156:157], v[154:155], 1.0
                                        ; implicit-def: $vgpr154_vgpr155
	v_mul_f64 v[158:159], v[158:159], v[160:161]
	v_xor_b32_e32 v161, 0x80000000, v161
.LBB75_149:
	s_andn2_saveexec_b32 s1, s1
	s_cbranch_execz .LBB75_151
; %bb.150:
	v_div_scale_f64 v[158:159], null, v[154:155], v[154:155], v[156:157]
	v_div_scale_f64 v[164:165], vcc_lo, v[156:157], v[154:155], v[156:157]
	v_rcp_f64_e32 v[160:161], v[158:159]
	v_fma_f64 v[162:163], -v[158:159], v[160:161], 1.0
	v_fma_f64 v[160:161], v[160:161], v[162:163], v[160:161]
	v_fma_f64 v[162:163], -v[158:159], v[160:161], 1.0
	v_fma_f64 v[160:161], v[160:161], v[162:163], v[160:161]
	v_mul_f64 v[162:163], v[164:165], v[160:161]
	v_fma_f64 v[158:159], -v[158:159], v[162:163], v[164:165]
	v_div_fmas_f64 v[158:159], v[158:159], v[160:161], v[162:163]
	v_div_fixup_f64 v[160:161], v[158:159], v[154:155], v[156:157]
	v_fma_f64 v[154:155], v[156:157], v[160:161], v[154:155]
	v_div_scale_f64 v[156:157], null, v[154:155], v[154:155], 1.0
	v_rcp_f64_e32 v[158:159], v[156:157]
	v_fma_f64 v[162:163], -v[156:157], v[158:159], 1.0
	v_fma_f64 v[158:159], v[158:159], v[162:163], v[158:159]
	v_fma_f64 v[162:163], -v[156:157], v[158:159], 1.0
	v_fma_f64 v[158:159], v[158:159], v[162:163], v[158:159]
	v_div_scale_f64 v[162:163], vcc_lo, 1.0, v[154:155], 1.0
	v_mul_f64 v[164:165], v[162:163], v[158:159]
	v_fma_f64 v[156:157], -v[156:157], v[164:165], v[162:163]
	v_div_fmas_f64 v[156:157], v[156:157], v[158:159], v[164:165]
	v_div_fixup_f64 v[158:159], v[156:157], v[154:155], 1.0
	v_mul_f64 v[160:161], v[160:161], -v[158:159]
.LBB75_151:
	s_or_b32 exec_lo, exec_lo, s1
	ds_write2_b64 v1, v[158:159], v[160:161] offset1:1
.LBB75_152:
	s_or_b32 exec_lo, exec_lo, s2
	s_waitcnt lgkmcnt(0)
	s_barrier
	buffer_gl0_inv
	ds_read2_b64 v[154:157], v1 offset1:1
	s_mov_b32 s1, exec_lo
	s_waitcnt lgkmcnt(0)
	buffer_store_dword v154, off, s[16:19], 0 offset:376 ; 4-byte Folded Spill
	buffer_store_dword v155, off, s[16:19], 0 offset:380 ; 4-byte Folded Spill
	;; [unrolled: 1-line block ×4, first 2 shown]
	v_cmpx_lt_u32_e32 16, v0
	s_cbranch_execz .LBB75_154
; %bb.153:
	s_clause 0x3
	buffer_load_dword v156, off, s[16:19], 0 offset:376
	buffer_load_dword v157, off, s[16:19], 0 offset:380
	;; [unrolled: 1-line block ×4, first 2 shown]
	s_waitcnt vmcnt(0)
	v_mul_f64 v[154:155], v[158:159], v[88:89]
	v_mul_f64 v[88:89], v[156:157], v[88:89]
	v_fma_f64 v[154:155], v[156:157], v[86:87], -v[154:155]
	v_fma_f64 v[88:89], v[158:159], v[86:87], v[88:89]
	ds_read2_b64 v[156:159], v206 offset0:34 offset1:35
	s_waitcnt lgkmcnt(0)
	v_mul_f64 v[86:87], v[158:159], v[88:89]
	v_fma_f64 v[86:87], v[156:157], v[154:155], -v[86:87]
	v_mul_f64 v[156:157], v[156:157], v[88:89]
	v_add_f64 v[82:83], v[82:83], -v[86:87]
	v_fma_f64 v[156:157], v[158:159], v[154:155], v[156:157]
	v_add_f64 v[84:85], v[84:85], -v[156:157]
	ds_read2_b64 v[156:159], v206 offset0:36 offset1:37
	s_waitcnt lgkmcnt(0)
	v_mul_f64 v[86:87], v[158:159], v[88:89]
	v_fma_f64 v[86:87], v[156:157], v[154:155], -v[86:87]
	v_mul_f64 v[156:157], v[156:157], v[88:89]
	v_add_f64 v[78:79], v[78:79], -v[86:87]
	v_fma_f64 v[156:157], v[158:159], v[154:155], v[156:157]
	v_add_f64 v[80:81], v[80:81], -v[156:157]
	;; [unrolled: 8-line block ×20, first 2 shown]
	ds_read2_b64 v[156:159], v206 offset0:74 offset1:75
	s_waitcnt lgkmcnt(0)
	v_mul_f64 v[86:87], v[158:159], v[88:89]
	v_fma_f64 v[86:87], v[156:157], v[154:155], -v[86:87]
	v_mul_f64 v[156:157], v[156:157], v[88:89]
	v_add_f64 v[2:3], v[2:3], -v[86:87]
	v_fma_f64 v[156:157], v[158:159], v[154:155], v[156:157]
	v_mov_b32_e32 v86, v154
	v_mov_b32_e32 v87, v155
	v_add_f64 v[4:5], v[4:5], -v[156:157]
.LBB75_154:
	s_or_b32 exec_lo, exec_lo, s1
	s_mov_b32 s2, exec_lo
	s_waitcnt_vscnt null, 0x0
	s_barrier
	buffer_gl0_inv
	v_cmpx_eq_u32_e32 17, v0
	s_cbranch_execz .LBB75_161
; %bb.155:
	ds_write2_b64 v1, v[82:83], v[84:85] offset1:1
	ds_write2_b64 v206, v[78:79], v[80:81] offset0:36 offset1:37
	ds_write2_b64 v206, v[74:75], v[76:77] offset0:38 offset1:39
	;; [unrolled: 1-line block ×20, first 2 shown]
	ds_read2_b64 v[154:157], v1 offset1:1
	s_waitcnt lgkmcnt(0)
	v_cmp_neq_f64_e32 vcc_lo, 0, v[154:155]
	v_cmp_neq_f64_e64 s1, 0, v[156:157]
	s_or_b32 s1, vcc_lo, s1
	s_and_b32 exec_lo, exec_lo, s1
	s_cbranch_execz .LBB75_161
; %bb.156:
	v_cmp_ngt_f64_e64 s1, |v[154:155]|, |v[156:157]|
                                        ; implicit-def: $vgpr158_vgpr159
	s_and_saveexec_b32 s3, s1
	s_xor_b32 s1, exec_lo, s3
                                        ; implicit-def: $vgpr160_vgpr161
	s_cbranch_execz .LBB75_158
; %bb.157:
	v_div_scale_f64 v[158:159], null, v[156:157], v[156:157], v[154:155]
	v_div_scale_f64 v[164:165], vcc_lo, v[154:155], v[156:157], v[154:155]
	v_rcp_f64_e32 v[160:161], v[158:159]
	v_fma_f64 v[162:163], -v[158:159], v[160:161], 1.0
	v_fma_f64 v[160:161], v[160:161], v[162:163], v[160:161]
	v_fma_f64 v[162:163], -v[158:159], v[160:161], 1.0
	v_fma_f64 v[160:161], v[160:161], v[162:163], v[160:161]
	v_mul_f64 v[162:163], v[164:165], v[160:161]
	v_fma_f64 v[158:159], -v[158:159], v[162:163], v[164:165]
	v_div_fmas_f64 v[158:159], v[158:159], v[160:161], v[162:163]
	v_div_fixup_f64 v[158:159], v[158:159], v[156:157], v[154:155]
	v_fma_f64 v[154:155], v[154:155], v[158:159], v[156:157]
	v_div_scale_f64 v[156:157], null, v[154:155], v[154:155], 1.0
	v_rcp_f64_e32 v[160:161], v[156:157]
	v_fma_f64 v[162:163], -v[156:157], v[160:161], 1.0
	v_fma_f64 v[160:161], v[160:161], v[162:163], v[160:161]
	v_fma_f64 v[162:163], -v[156:157], v[160:161], 1.0
	v_fma_f64 v[160:161], v[160:161], v[162:163], v[160:161]
	v_div_scale_f64 v[162:163], vcc_lo, 1.0, v[154:155], 1.0
	v_mul_f64 v[164:165], v[162:163], v[160:161]
	v_fma_f64 v[156:157], -v[156:157], v[164:165], v[162:163]
	v_div_fmas_f64 v[156:157], v[156:157], v[160:161], v[164:165]
	v_div_fixup_f64 v[160:161], v[156:157], v[154:155], 1.0
                                        ; implicit-def: $vgpr154_vgpr155
	v_mul_f64 v[158:159], v[158:159], v[160:161]
	v_xor_b32_e32 v161, 0x80000000, v161
.LBB75_158:
	s_andn2_saveexec_b32 s1, s1
	s_cbranch_execz .LBB75_160
; %bb.159:
	v_div_scale_f64 v[158:159], null, v[154:155], v[154:155], v[156:157]
	v_div_scale_f64 v[164:165], vcc_lo, v[156:157], v[154:155], v[156:157]
	v_rcp_f64_e32 v[160:161], v[158:159]
	v_fma_f64 v[162:163], -v[158:159], v[160:161], 1.0
	v_fma_f64 v[160:161], v[160:161], v[162:163], v[160:161]
	v_fma_f64 v[162:163], -v[158:159], v[160:161], 1.0
	v_fma_f64 v[160:161], v[160:161], v[162:163], v[160:161]
	v_mul_f64 v[162:163], v[164:165], v[160:161]
	v_fma_f64 v[158:159], -v[158:159], v[162:163], v[164:165]
	v_div_fmas_f64 v[158:159], v[158:159], v[160:161], v[162:163]
	v_div_fixup_f64 v[160:161], v[158:159], v[154:155], v[156:157]
	v_fma_f64 v[154:155], v[156:157], v[160:161], v[154:155]
	v_div_scale_f64 v[156:157], null, v[154:155], v[154:155], 1.0
	v_rcp_f64_e32 v[158:159], v[156:157]
	v_fma_f64 v[162:163], -v[156:157], v[158:159], 1.0
	v_fma_f64 v[158:159], v[158:159], v[162:163], v[158:159]
	v_fma_f64 v[162:163], -v[156:157], v[158:159], 1.0
	v_fma_f64 v[158:159], v[158:159], v[162:163], v[158:159]
	v_div_scale_f64 v[162:163], vcc_lo, 1.0, v[154:155], 1.0
	v_mul_f64 v[164:165], v[162:163], v[158:159]
	v_fma_f64 v[156:157], -v[156:157], v[164:165], v[162:163]
	v_div_fmas_f64 v[156:157], v[156:157], v[158:159], v[164:165]
	v_div_fixup_f64 v[158:159], v[156:157], v[154:155], 1.0
	v_mul_f64 v[160:161], v[160:161], -v[158:159]
.LBB75_160:
	s_or_b32 exec_lo, exec_lo, s1
	ds_write2_b64 v1, v[158:159], v[160:161] offset1:1
.LBB75_161:
	s_or_b32 exec_lo, exec_lo, s2
	s_waitcnt lgkmcnt(0)
	s_barrier
	buffer_gl0_inv
	ds_read2_b64 v[154:157], v1 offset1:1
	s_mov_b32 s1, exec_lo
	s_waitcnt lgkmcnt(0)
	buffer_store_dword v154, off, s[16:19], 0 offset:392 ; 4-byte Folded Spill
	buffer_store_dword v155, off, s[16:19], 0 offset:396 ; 4-byte Folded Spill
	;; [unrolled: 1-line block ×4, first 2 shown]
	v_cmpx_lt_u32_e32 17, v0
	s_cbranch_execz .LBB75_163
; %bb.162:
	s_clause 0x3
	buffer_load_dword v156, off, s[16:19], 0 offset:392
	buffer_load_dword v157, off, s[16:19], 0 offset:396
	;; [unrolled: 1-line block ×4, first 2 shown]
	s_waitcnt vmcnt(0)
	v_mul_f64 v[154:155], v[158:159], v[84:85]
	v_mul_f64 v[84:85], v[156:157], v[84:85]
	v_fma_f64 v[154:155], v[156:157], v[82:83], -v[154:155]
	v_fma_f64 v[84:85], v[158:159], v[82:83], v[84:85]
	ds_read2_b64 v[156:159], v206 offset0:36 offset1:37
	s_waitcnt lgkmcnt(0)
	v_mul_f64 v[82:83], v[158:159], v[84:85]
	v_fma_f64 v[82:83], v[156:157], v[154:155], -v[82:83]
	v_mul_f64 v[156:157], v[156:157], v[84:85]
	v_add_f64 v[78:79], v[78:79], -v[82:83]
	v_fma_f64 v[156:157], v[158:159], v[154:155], v[156:157]
	v_add_f64 v[80:81], v[80:81], -v[156:157]
	ds_read2_b64 v[156:159], v206 offset0:38 offset1:39
	s_waitcnt lgkmcnt(0)
	v_mul_f64 v[82:83], v[158:159], v[84:85]
	v_fma_f64 v[82:83], v[156:157], v[154:155], -v[82:83]
	v_mul_f64 v[156:157], v[156:157], v[84:85]
	v_add_f64 v[74:75], v[74:75], -v[82:83]
	v_fma_f64 v[156:157], v[158:159], v[154:155], v[156:157]
	v_add_f64 v[76:77], v[76:77], -v[156:157]
	ds_read2_b64 v[156:159], v206 offset0:40 offset1:41
	s_waitcnt lgkmcnt(0)
	v_mul_f64 v[82:83], v[158:159], v[84:85]
	v_fma_f64 v[82:83], v[156:157], v[154:155], -v[82:83]
	v_mul_f64 v[156:157], v[156:157], v[84:85]
	v_add_f64 v[70:71], v[70:71], -v[82:83]
	v_fma_f64 v[156:157], v[158:159], v[154:155], v[156:157]
	v_add_f64 v[72:73], v[72:73], -v[156:157]
	ds_read2_b64 v[156:159], v206 offset0:42 offset1:43
	s_waitcnt lgkmcnt(0)
	v_mul_f64 v[82:83], v[158:159], v[84:85]
	v_fma_f64 v[82:83], v[156:157], v[154:155], -v[82:83]
	v_mul_f64 v[156:157], v[156:157], v[84:85]
	v_add_f64 v[66:67], v[66:67], -v[82:83]
	v_fma_f64 v[156:157], v[158:159], v[154:155], v[156:157]
	v_add_f64 v[68:69], v[68:69], -v[156:157]
	ds_read2_b64 v[156:159], v206 offset0:44 offset1:45
	s_waitcnt lgkmcnt(0)
	v_mul_f64 v[82:83], v[158:159], v[84:85]
	v_fma_f64 v[82:83], v[156:157], v[154:155], -v[82:83]
	v_mul_f64 v[156:157], v[156:157], v[84:85]
	v_add_f64 v[62:63], v[62:63], -v[82:83]
	v_fma_f64 v[156:157], v[158:159], v[154:155], v[156:157]
	v_add_f64 v[64:65], v[64:65], -v[156:157]
	ds_read2_b64 v[156:159], v206 offset0:46 offset1:47
	s_waitcnt lgkmcnt(0)
	v_mul_f64 v[82:83], v[158:159], v[84:85]
	v_fma_f64 v[82:83], v[156:157], v[154:155], -v[82:83]
	v_mul_f64 v[156:157], v[156:157], v[84:85]
	v_add_f64 v[58:59], v[58:59], -v[82:83]
	v_fma_f64 v[156:157], v[158:159], v[154:155], v[156:157]
	v_add_f64 v[60:61], v[60:61], -v[156:157]
	ds_read2_b64 v[156:159], v206 offset0:48 offset1:49
	s_waitcnt lgkmcnt(0)
	v_mul_f64 v[82:83], v[158:159], v[84:85]
	v_fma_f64 v[82:83], v[156:157], v[154:155], -v[82:83]
	v_mul_f64 v[156:157], v[156:157], v[84:85]
	v_add_f64 v[54:55], v[54:55], -v[82:83]
	v_fma_f64 v[156:157], v[158:159], v[154:155], v[156:157]
	v_add_f64 v[56:57], v[56:57], -v[156:157]
	ds_read2_b64 v[156:159], v206 offset0:50 offset1:51
	s_waitcnt lgkmcnt(0)
	v_mul_f64 v[82:83], v[158:159], v[84:85]
	v_fma_f64 v[82:83], v[156:157], v[154:155], -v[82:83]
	v_mul_f64 v[156:157], v[156:157], v[84:85]
	v_add_f64 v[50:51], v[50:51], -v[82:83]
	v_fma_f64 v[156:157], v[158:159], v[154:155], v[156:157]
	v_add_f64 v[52:53], v[52:53], -v[156:157]
	ds_read2_b64 v[156:159], v206 offset0:52 offset1:53
	s_waitcnt lgkmcnt(0)
	v_mul_f64 v[82:83], v[158:159], v[84:85]
	v_fma_f64 v[82:83], v[156:157], v[154:155], -v[82:83]
	v_mul_f64 v[156:157], v[156:157], v[84:85]
	v_add_f64 v[46:47], v[46:47], -v[82:83]
	v_fma_f64 v[156:157], v[158:159], v[154:155], v[156:157]
	v_add_f64 v[48:49], v[48:49], -v[156:157]
	ds_read2_b64 v[156:159], v206 offset0:54 offset1:55
	s_waitcnt lgkmcnt(0)
	v_mul_f64 v[82:83], v[158:159], v[84:85]
	v_fma_f64 v[82:83], v[156:157], v[154:155], -v[82:83]
	v_mul_f64 v[156:157], v[156:157], v[84:85]
	v_add_f64 v[42:43], v[42:43], -v[82:83]
	v_fma_f64 v[156:157], v[158:159], v[154:155], v[156:157]
	v_add_f64 v[44:45], v[44:45], -v[156:157]
	ds_read2_b64 v[156:159], v206 offset0:56 offset1:57
	s_waitcnt lgkmcnt(0)
	v_mul_f64 v[82:83], v[158:159], v[84:85]
	v_fma_f64 v[82:83], v[156:157], v[154:155], -v[82:83]
	v_mul_f64 v[156:157], v[156:157], v[84:85]
	v_add_f64 v[38:39], v[38:39], -v[82:83]
	v_fma_f64 v[156:157], v[158:159], v[154:155], v[156:157]
	v_add_f64 v[40:41], v[40:41], -v[156:157]
	ds_read2_b64 v[156:159], v206 offset0:58 offset1:59
	s_waitcnt lgkmcnt(0)
	v_mul_f64 v[82:83], v[158:159], v[84:85]
	v_fma_f64 v[82:83], v[156:157], v[154:155], -v[82:83]
	v_mul_f64 v[156:157], v[156:157], v[84:85]
	v_add_f64 v[34:35], v[34:35], -v[82:83]
	v_fma_f64 v[156:157], v[158:159], v[154:155], v[156:157]
	v_add_f64 v[36:37], v[36:37], -v[156:157]
	ds_read2_b64 v[156:159], v206 offset0:60 offset1:61
	s_waitcnt lgkmcnt(0)
	v_mul_f64 v[82:83], v[158:159], v[84:85]
	v_fma_f64 v[82:83], v[156:157], v[154:155], -v[82:83]
	v_mul_f64 v[156:157], v[156:157], v[84:85]
	v_add_f64 v[30:31], v[30:31], -v[82:83]
	v_fma_f64 v[156:157], v[158:159], v[154:155], v[156:157]
	v_add_f64 v[32:33], v[32:33], -v[156:157]
	ds_read2_b64 v[156:159], v206 offset0:62 offset1:63
	s_waitcnt lgkmcnt(0)
	v_mul_f64 v[82:83], v[158:159], v[84:85]
	v_fma_f64 v[82:83], v[156:157], v[154:155], -v[82:83]
	v_mul_f64 v[156:157], v[156:157], v[84:85]
	v_add_f64 v[26:27], v[26:27], -v[82:83]
	v_fma_f64 v[156:157], v[158:159], v[154:155], v[156:157]
	v_add_f64 v[28:29], v[28:29], -v[156:157]
	ds_read2_b64 v[156:159], v206 offset0:64 offset1:65
	s_waitcnt lgkmcnt(0)
	v_mul_f64 v[82:83], v[158:159], v[84:85]
	v_fma_f64 v[82:83], v[156:157], v[154:155], -v[82:83]
	v_mul_f64 v[156:157], v[156:157], v[84:85]
	v_add_f64 v[22:23], v[22:23], -v[82:83]
	v_fma_f64 v[156:157], v[158:159], v[154:155], v[156:157]
	v_add_f64 v[24:25], v[24:25], -v[156:157]
	ds_read2_b64 v[156:159], v206 offset0:66 offset1:67
	s_waitcnt lgkmcnt(0)
	v_mul_f64 v[82:83], v[158:159], v[84:85]
	v_fma_f64 v[82:83], v[156:157], v[154:155], -v[82:83]
	v_mul_f64 v[156:157], v[156:157], v[84:85]
	v_add_f64 v[18:19], v[18:19], -v[82:83]
	v_fma_f64 v[156:157], v[158:159], v[154:155], v[156:157]
	v_add_f64 v[20:21], v[20:21], -v[156:157]
	ds_read2_b64 v[156:159], v206 offset0:68 offset1:69
	s_waitcnt lgkmcnt(0)
	v_mul_f64 v[82:83], v[158:159], v[84:85]
	v_fma_f64 v[82:83], v[156:157], v[154:155], -v[82:83]
	v_mul_f64 v[156:157], v[156:157], v[84:85]
	v_add_f64 v[14:15], v[14:15], -v[82:83]
	v_fma_f64 v[156:157], v[158:159], v[154:155], v[156:157]
	v_add_f64 v[16:17], v[16:17], -v[156:157]
	ds_read2_b64 v[156:159], v206 offset0:70 offset1:71
	s_waitcnt lgkmcnt(0)
	v_mul_f64 v[82:83], v[158:159], v[84:85]
	v_fma_f64 v[82:83], v[156:157], v[154:155], -v[82:83]
	v_mul_f64 v[156:157], v[156:157], v[84:85]
	v_add_f64 v[10:11], v[10:11], -v[82:83]
	v_fma_f64 v[156:157], v[158:159], v[154:155], v[156:157]
	v_add_f64 v[12:13], v[12:13], -v[156:157]
	ds_read2_b64 v[156:159], v206 offset0:72 offset1:73
	s_waitcnt lgkmcnt(0)
	v_mul_f64 v[82:83], v[158:159], v[84:85]
	v_fma_f64 v[82:83], v[156:157], v[154:155], -v[82:83]
	v_mul_f64 v[156:157], v[156:157], v[84:85]
	v_add_f64 v[6:7], v[6:7], -v[82:83]
	v_fma_f64 v[156:157], v[158:159], v[154:155], v[156:157]
	v_add_f64 v[8:9], v[8:9], -v[156:157]
	ds_read2_b64 v[156:159], v206 offset0:74 offset1:75
	s_waitcnt lgkmcnt(0)
	v_mul_f64 v[82:83], v[158:159], v[84:85]
	v_fma_f64 v[82:83], v[156:157], v[154:155], -v[82:83]
	v_mul_f64 v[156:157], v[156:157], v[84:85]
	v_add_f64 v[2:3], v[2:3], -v[82:83]
	v_fma_f64 v[156:157], v[158:159], v[154:155], v[156:157]
	v_mov_b32_e32 v82, v154
	v_mov_b32_e32 v83, v155
	v_add_f64 v[4:5], v[4:5], -v[156:157]
.LBB75_163:
	s_or_b32 exec_lo, exec_lo, s1
	s_mov_b32 s2, exec_lo
	s_waitcnt_vscnt null, 0x0
	s_barrier
	buffer_gl0_inv
	v_cmpx_eq_u32_e32 18, v0
	s_cbranch_execz .LBB75_170
; %bb.164:
	ds_write2_b64 v1, v[78:79], v[80:81] offset1:1
	ds_write2_b64 v206, v[74:75], v[76:77] offset0:38 offset1:39
	ds_write2_b64 v206, v[70:71], v[72:73] offset0:40 offset1:41
	;; [unrolled: 1-line block ×19, first 2 shown]
	ds_read2_b64 v[154:157], v1 offset1:1
	s_waitcnt lgkmcnt(0)
	v_cmp_neq_f64_e32 vcc_lo, 0, v[154:155]
	v_cmp_neq_f64_e64 s1, 0, v[156:157]
	s_or_b32 s1, vcc_lo, s1
	s_and_b32 exec_lo, exec_lo, s1
	s_cbranch_execz .LBB75_170
; %bb.165:
	v_cmp_ngt_f64_e64 s1, |v[154:155]|, |v[156:157]|
                                        ; implicit-def: $vgpr158_vgpr159
	s_and_saveexec_b32 s3, s1
	s_xor_b32 s1, exec_lo, s3
                                        ; implicit-def: $vgpr160_vgpr161
	s_cbranch_execz .LBB75_167
; %bb.166:
	v_div_scale_f64 v[158:159], null, v[156:157], v[156:157], v[154:155]
	v_div_scale_f64 v[164:165], vcc_lo, v[154:155], v[156:157], v[154:155]
	v_rcp_f64_e32 v[160:161], v[158:159]
	v_fma_f64 v[162:163], -v[158:159], v[160:161], 1.0
	v_fma_f64 v[160:161], v[160:161], v[162:163], v[160:161]
	v_fma_f64 v[162:163], -v[158:159], v[160:161], 1.0
	v_fma_f64 v[160:161], v[160:161], v[162:163], v[160:161]
	v_mul_f64 v[162:163], v[164:165], v[160:161]
	v_fma_f64 v[158:159], -v[158:159], v[162:163], v[164:165]
	v_div_fmas_f64 v[158:159], v[158:159], v[160:161], v[162:163]
	v_div_fixup_f64 v[158:159], v[158:159], v[156:157], v[154:155]
	v_fma_f64 v[154:155], v[154:155], v[158:159], v[156:157]
	v_div_scale_f64 v[156:157], null, v[154:155], v[154:155], 1.0
	v_rcp_f64_e32 v[160:161], v[156:157]
	v_fma_f64 v[162:163], -v[156:157], v[160:161], 1.0
	v_fma_f64 v[160:161], v[160:161], v[162:163], v[160:161]
	v_fma_f64 v[162:163], -v[156:157], v[160:161], 1.0
	v_fma_f64 v[160:161], v[160:161], v[162:163], v[160:161]
	v_div_scale_f64 v[162:163], vcc_lo, 1.0, v[154:155], 1.0
	v_mul_f64 v[164:165], v[162:163], v[160:161]
	v_fma_f64 v[156:157], -v[156:157], v[164:165], v[162:163]
	v_div_fmas_f64 v[156:157], v[156:157], v[160:161], v[164:165]
	v_div_fixup_f64 v[160:161], v[156:157], v[154:155], 1.0
                                        ; implicit-def: $vgpr154_vgpr155
	v_mul_f64 v[158:159], v[158:159], v[160:161]
	v_xor_b32_e32 v161, 0x80000000, v161
.LBB75_167:
	s_andn2_saveexec_b32 s1, s1
	s_cbranch_execz .LBB75_169
; %bb.168:
	v_div_scale_f64 v[158:159], null, v[154:155], v[154:155], v[156:157]
	v_div_scale_f64 v[164:165], vcc_lo, v[156:157], v[154:155], v[156:157]
	v_rcp_f64_e32 v[160:161], v[158:159]
	v_fma_f64 v[162:163], -v[158:159], v[160:161], 1.0
	v_fma_f64 v[160:161], v[160:161], v[162:163], v[160:161]
	v_fma_f64 v[162:163], -v[158:159], v[160:161], 1.0
	v_fma_f64 v[160:161], v[160:161], v[162:163], v[160:161]
	v_mul_f64 v[162:163], v[164:165], v[160:161]
	v_fma_f64 v[158:159], -v[158:159], v[162:163], v[164:165]
	v_div_fmas_f64 v[158:159], v[158:159], v[160:161], v[162:163]
	v_div_fixup_f64 v[160:161], v[158:159], v[154:155], v[156:157]
	v_fma_f64 v[154:155], v[156:157], v[160:161], v[154:155]
	v_div_scale_f64 v[156:157], null, v[154:155], v[154:155], 1.0
	v_rcp_f64_e32 v[158:159], v[156:157]
	v_fma_f64 v[162:163], -v[156:157], v[158:159], 1.0
	v_fma_f64 v[158:159], v[158:159], v[162:163], v[158:159]
	v_fma_f64 v[162:163], -v[156:157], v[158:159], 1.0
	v_fma_f64 v[158:159], v[158:159], v[162:163], v[158:159]
	v_div_scale_f64 v[162:163], vcc_lo, 1.0, v[154:155], 1.0
	v_mul_f64 v[164:165], v[162:163], v[158:159]
	v_fma_f64 v[156:157], -v[156:157], v[164:165], v[162:163]
	v_div_fmas_f64 v[156:157], v[156:157], v[158:159], v[164:165]
	v_div_fixup_f64 v[158:159], v[156:157], v[154:155], 1.0
	v_mul_f64 v[160:161], v[160:161], -v[158:159]
.LBB75_169:
	s_or_b32 exec_lo, exec_lo, s1
	ds_write2_b64 v1, v[158:159], v[160:161] offset1:1
.LBB75_170:
	s_or_b32 exec_lo, exec_lo, s2
	s_waitcnt lgkmcnt(0)
	s_barrier
	buffer_gl0_inv
	ds_read2_b64 v[154:157], v1 offset1:1
	s_mov_b32 s1, exec_lo
	s_waitcnt lgkmcnt(0)
	buffer_store_dword v154, off, s[16:19], 0 offset:408 ; 4-byte Folded Spill
	buffer_store_dword v155, off, s[16:19], 0 offset:412 ; 4-byte Folded Spill
	;; [unrolled: 1-line block ×4, first 2 shown]
	v_cmpx_lt_u32_e32 18, v0
	s_cbranch_execz .LBB75_172
; %bb.171:
	s_clause 0x3
	buffer_load_dword v156, off, s[16:19], 0 offset:408
	buffer_load_dword v157, off, s[16:19], 0 offset:412
	;; [unrolled: 1-line block ×4, first 2 shown]
	s_waitcnt vmcnt(0)
	v_mul_f64 v[154:155], v[158:159], v[80:81]
	v_mul_f64 v[80:81], v[156:157], v[80:81]
	v_fma_f64 v[154:155], v[156:157], v[78:79], -v[154:155]
	v_fma_f64 v[80:81], v[158:159], v[78:79], v[80:81]
	ds_read2_b64 v[156:159], v206 offset0:38 offset1:39
	s_waitcnt lgkmcnt(0)
	v_mul_f64 v[78:79], v[158:159], v[80:81]
	v_fma_f64 v[78:79], v[156:157], v[154:155], -v[78:79]
	v_mul_f64 v[156:157], v[156:157], v[80:81]
	v_add_f64 v[74:75], v[74:75], -v[78:79]
	v_fma_f64 v[156:157], v[158:159], v[154:155], v[156:157]
	v_add_f64 v[76:77], v[76:77], -v[156:157]
	ds_read2_b64 v[156:159], v206 offset0:40 offset1:41
	s_waitcnt lgkmcnt(0)
	v_mul_f64 v[78:79], v[158:159], v[80:81]
	v_fma_f64 v[78:79], v[156:157], v[154:155], -v[78:79]
	v_mul_f64 v[156:157], v[156:157], v[80:81]
	v_add_f64 v[70:71], v[70:71], -v[78:79]
	v_fma_f64 v[156:157], v[158:159], v[154:155], v[156:157]
	v_add_f64 v[72:73], v[72:73], -v[156:157]
	;; [unrolled: 8-line block ×18, first 2 shown]
	ds_read2_b64 v[156:159], v206 offset0:74 offset1:75
	s_waitcnt lgkmcnt(0)
	v_mul_f64 v[78:79], v[158:159], v[80:81]
	v_fma_f64 v[78:79], v[156:157], v[154:155], -v[78:79]
	v_mul_f64 v[156:157], v[156:157], v[80:81]
	v_add_f64 v[2:3], v[2:3], -v[78:79]
	v_fma_f64 v[156:157], v[158:159], v[154:155], v[156:157]
	v_mov_b32_e32 v78, v154
	v_mov_b32_e32 v79, v155
	v_add_f64 v[4:5], v[4:5], -v[156:157]
.LBB75_172:
	s_or_b32 exec_lo, exec_lo, s1
	s_mov_b32 s2, exec_lo
	s_waitcnt_vscnt null, 0x0
	s_barrier
	buffer_gl0_inv
	v_cmpx_eq_u32_e32 19, v0
	s_cbranch_execz .LBB75_179
; %bb.173:
	ds_write2_b64 v1, v[74:75], v[76:77] offset1:1
	ds_write2_b64 v206, v[70:71], v[72:73] offset0:40 offset1:41
	ds_write2_b64 v206, v[66:67], v[68:69] offset0:42 offset1:43
	;; [unrolled: 1-line block ×18, first 2 shown]
	ds_read2_b64 v[154:157], v1 offset1:1
	s_waitcnt lgkmcnt(0)
	v_cmp_neq_f64_e32 vcc_lo, 0, v[154:155]
	v_cmp_neq_f64_e64 s1, 0, v[156:157]
	s_or_b32 s1, vcc_lo, s1
	s_and_b32 exec_lo, exec_lo, s1
	s_cbranch_execz .LBB75_179
; %bb.174:
	v_cmp_ngt_f64_e64 s1, |v[154:155]|, |v[156:157]|
                                        ; implicit-def: $vgpr158_vgpr159
	s_and_saveexec_b32 s3, s1
	s_xor_b32 s1, exec_lo, s3
                                        ; implicit-def: $vgpr160_vgpr161
	s_cbranch_execz .LBB75_176
; %bb.175:
	v_div_scale_f64 v[158:159], null, v[156:157], v[156:157], v[154:155]
	v_div_scale_f64 v[164:165], vcc_lo, v[154:155], v[156:157], v[154:155]
	v_rcp_f64_e32 v[160:161], v[158:159]
	v_fma_f64 v[162:163], -v[158:159], v[160:161], 1.0
	v_fma_f64 v[160:161], v[160:161], v[162:163], v[160:161]
	v_fma_f64 v[162:163], -v[158:159], v[160:161], 1.0
	v_fma_f64 v[160:161], v[160:161], v[162:163], v[160:161]
	v_mul_f64 v[162:163], v[164:165], v[160:161]
	v_fma_f64 v[158:159], -v[158:159], v[162:163], v[164:165]
	v_div_fmas_f64 v[158:159], v[158:159], v[160:161], v[162:163]
	v_div_fixup_f64 v[158:159], v[158:159], v[156:157], v[154:155]
	v_fma_f64 v[154:155], v[154:155], v[158:159], v[156:157]
	v_div_scale_f64 v[156:157], null, v[154:155], v[154:155], 1.0
	v_rcp_f64_e32 v[160:161], v[156:157]
	v_fma_f64 v[162:163], -v[156:157], v[160:161], 1.0
	v_fma_f64 v[160:161], v[160:161], v[162:163], v[160:161]
	v_fma_f64 v[162:163], -v[156:157], v[160:161], 1.0
	v_fma_f64 v[160:161], v[160:161], v[162:163], v[160:161]
	v_div_scale_f64 v[162:163], vcc_lo, 1.0, v[154:155], 1.0
	v_mul_f64 v[164:165], v[162:163], v[160:161]
	v_fma_f64 v[156:157], -v[156:157], v[164:165], v[162:163]
	v_div_fmas_f64 v[156:157], v[156:157], v[160:161], v[164:165]
	v_div_fixup_f64 v[160:161], v[156:157], v[154:155], 1.0
                                        ; implicit-def: $vgpr154_vgpr155
	v_mul_f64 v[158:159], v[158:159], v[160:161]
	v_xor_b32_e32 v161, 0x80000000, v161
.LBB75_176:
	s_andn2_saveexec_b32 s1, s1
	s_cbranch_execz .LBB75_178
; %bb.177:
	v_div_scale_f64 v[158:159], null, v[154:155], v[154:155], v[156:157]
	v_div_scale_f64 v[164:165], vcc_lo, v[156:157], v[154:155], v[156:157]
	v_rcp_f64_e32 v[160:161], v[158:159]
	v_fma_f64 v[162:163], -v[158:159], v[160:161], 1.0
	v_fma_f64 v[160:161], v[160:161], v[162:163], v[160:161]
	v_fma_f64 v[162:163], -v[158:159], v[160:161], 1.0
	v_fma_f64 v[160:161], v[160:161], v[162:163], v[160:161]
	v_mul_f64 v[162:163], v[164:165], v[160:161]
	v_fma_f64 v[158:159], -v[158:159], v[162:163], v[164:165]
	v_div_fmas_f64 v[158:159], v[158:159], v[160:161], v[162:163]
	v_div_fixup_f64 v[160:161], v[158:159], v[154:155], v[156:157]
	v_fma_f64 v[154:155], v[156:157], v[160:161], v[154:155]
	v_div_scale_f64 v[156:157], null, v[154:155], v[154:155], 1.0
	v_rcp_f64_e32 v[158:159], v[156:157]
	v_fma_f64 v[162:163], -v[156:157], v[158:159], 1.0
	v_fma_f64 v[158:159], v[158:159], v[162:163], v[158:159]
	v_fma_f64 v[162:163], -v[156:157], v[158:159], 1.0
	v_fma_f64 v[158:159], v[158:159], v[162:163], v[158:159]
	v_div_scale_f64 v[162:163], vcc_lo, 1.0, v[154:155], 1.0
	v_mul_f64 v[164:165], v[162:163], v[158:159]
	v_fma_f64 v[156:157], -v[156:157], v[164:165], v[162:163]
	v_div_fmas_f64 v[156:157], v[156:157], v[158:159], v[164:165]
	v_div_fixup_f64 v[158:159], v[156:157], v[154:155], 1.0
	v_mul_f64 v[160:161], v[160:161], -v[158:159]
.LBB75_178:
	s_or_b32 exec_lo, exec_lo, s1
	ds_write2_b64 v1, v[158:159], v[160:161] offset1:1
.LBB75_179:
	s_or_b32 exec_lo, exec_lo, s2
	s_waitcnt lgkmcnt(0)
	s_barrier
	buffer_gl0_inv
	ds_read2_b64 v[154:157], v1 offset1:1
	s_mov_b32 s1, exec_lo
	s_waitcnt lgkmcnt(0)
	buffer_store_dword v154, off, s[16:19], 0 offset:424 ; 4-byte Folded Spill
	buffer_store_dword v155, off, s[16:19], 0 offset:428 ; 4-byte Folded Spill
	;; [unrolled: 1-line block ×4, first 2 shown]
	v_cmpx_lt_u32_e32 19, v0
	s_cbranch_execz .LBB75_181
; %bb.180:
	s_clause 0x3
	buffer_load_dword v156, off, s[16:19], 0 offset:424
	buffer_load_dword v157, off, s[16:19], 0 offset:428
	;; [unrolled: 1-line block ×4, first 2 shown]
	s_waitcnt vmcnt(0)
	v_mul_f64 v[154:155], v[158:159], v[76:77]
	v_mul_f64 v[76:77], v[156:157], v[76:77]
	v_fma_f64 v[154:155], v[156:157], v[74:75], -v[154:155]
	v_fma_f64 v[76:77], v[158:159], v[74:75], v[76:77]
	ds_read2_b64 v[156:159], v206 offset0:40 offset1:41
	s_waitcnt lgkmcnt(0)
	v_mul_f64 v[74:75], v[158:159], v[76:77]
	v_fma_f64 v[74:75], v[156:157], v[154:155], -v[74:75]
	v_mul_f64 v[156:157], v[156:157], v[76:77]
	v_add_f64 v[70:71], v[70:71], -v[74:75]
	v_fma_f64 v[156:157], v[158:159], v[154:155], v[156:157]
	v_add_f64 v[72:73], v[72:73], -v[156:157]
	ds_read2_b64 v[156:159], v206 offset0:42 offset1:43
	s_waitcnt lgkmcnt(0)
	v_mul_f64 v[74:75], v[158:159], v[76:77]
	v_fma_f64 v[74:75], v[156:157], v[154:155], -v[74:75]
	v_mul_f64 v[156:157], v[156:157], v[76:77]
	v_add_f64 v[66:67], v[66:67], -v[74:75]
	v_fma_f64 v[156:157], v[158:159], v[154:155], v[156:157]
	v_add_f64 v[68:69], v[68:69], -v[156:157]
	ds_read2_b64 v[156:159], v206 offset0:44 offset1:45
	s_waitcnt lgkmcnt(0)
	v_mul_f64 v[74:75], v[158:159], v[76:77]
	v_fma_f64 v[74:75], v[156:157], v[154:155], -v[74:75]
	v_mul_f64 v[156:157], v[156:157], v[76:77]
	v_add_f64 v[62:63], v[62:63], -v[74:75]
	v_fma_f64 v[156:157], v[158:159], v[154:155], v[156:157]
	v_add_f64 v[64:65], v[64:65], -v[156:157]
	ds_read2_b64 v[156:159], v206 offset0:46 offset1:47
	s_waitcnt lgkmcnt(0)
	v_mul_f64 v[74:75], v[158:159], v[76:77]
	v_fma_f64 v[74:75], v[156:157], v[154:155], -v[74:75]
	v_mul_f64 v[156:157], v[156:157], v[76:77]
	v_add_f64 v[58:59], v[58:59], -v[74:75]
	v_fma_f64 v[156:157], v[158:159], v[154:155], v[156:157]
	v_add_f64 v[60:61], v[60:61], -v[156:157]
	ds_read2_b64 v[156:159], v206 offset0:48 offset1:49
	s_waitcnt lgkmcnt(0)
	v_mul_f64 v[74:75], v[158:159], v[76:77]
	v_fma_f64 v[74:75], v[156:157], v[154:155], -v[74:75]
	v_mul_f64 v[156:157], v[156:157], v[76:77]
	v_add_f64 v[54:55], v[54:55], -v[74:75]
	v_fma_f64 v[156:157], v[158:159], v[154:155], v[156:157]
	v_add_f64 v[56:57], v[56:57], -v[156:157]
	ds_read2_b64 v[156:159], v206 offset0:50 offset1:51
	s_waitcnt lgkmcnt(0)
	v_mul_f64 v[74:75], v[158:159], v[76:77]
	v_fma_f64 v[74:75], v[156:157], v[154:155], -v[74:75]
	v_mul_f64 v[156:157], v[156:157], v[76:77]
	v_add_f64 v[50:51], v[50:51], -v[74:75]
	v_fma_f64 v[156:157], v[158:159], v[154:155], v[156:157]
	v_add_f64 v[52:53], v[52:53], -v[156:157]
	ds_read2_b64 v[156:159], v206 offset0:52 offset1:53
	s_waitcnt lgkmcnt(0)
	v_mul_f64 v[74:75], v[158:159], v[76:77]
	v_fma_f64 v[74:75], v[156:157], v[154:155], -v[74:75]
	v_mul_f64 v[156:157], v[156:157], v[76:77]
	v_add_f64 v[46:47], v[46:47], -v[74:75]
	v_fma_f64 v[156:157], v[158:159], v[154:155], v[156:157]
	v_add_f64 v[48:49], v[48:49], -v[156:157]
	ds_read2_b64 v[156:159], v206 offset0:54 offset1:55
	s_waitcnt lgkmcnt(0)
	v_mul_f64 v[74:75], v[158:159], v[76:77]
	v_fma_f64 v[74:75], v[156:157], v[154:155], -v[74:75]
	v_mul_f64 v[156:157], v[156:157], v[76:77]
	v_add_f64 v[42:43], v[42:43], -v[74:75]
	v_fma_f64 v[156:157], v[158:159], v[154:155], v[156:157]
	v_add_f64 v[44:45], v[44:45], -v[156:157]
	ds_read2_b64 v[156:159], v206 offset0:56 offset1:57
	s_waitcnt lgkmcnt(0)
	v_mul_f64 v[74:75], v[158:159], v[76:77]
	v_fma_f64 v[74:75], v[156:157], v[154:155], -v[74:75]
	v_mul_f64 v[156:157], v[156:157], v[76:77]
	v_add_f64 v[38:39], v[38:39], -v[74:75]
	v_fma_f64 v[156:157], v[158:159], v[154:155], v[156:157]
	v_add_f64 v[40:41], v[40:41], -v[156:157]
	ds_read2_b64 v[156:159], v206 offset0:58 offset1:59
	s_waitcnt lgkmcnt(0)
	v_mul_f64 v[74:75], v[158:159], v[76:77]
	v_fma_f64 v[74:75], v[156:157], v[154:155], -v[74:75]
	v_mul_f64 v[156:157], v[156:157], v[76:77]
	v_add_f64 v[34:35], v[34:35], -v[74:75]
	v_fma_f64 v[156:157], v[158:159], v[154:155], v[156:157]
	v_add_f64 v[36:37], v[36:37], -v[156:157]
	ds_read2_b64 v[156:159], v206 offset0:60 offset1:61
	s_waitcnt lgkmcnt(0)
	v_mul_f64 v[74:75], v[158:159], v[76:77]
	v_fma_f64 v[74:75], v[156:157], v[154:155], -v[74:75]
	v_mul_f64 v[156:157], v[156:157], v[76:77]
	v_add_f64 v[30:31], v[30:31], -v[74:75]
	v_fma_f64 v[156:157], v[158:159], v[154:155], v[156:157]
	v_add_f64 v[32:33], v[32:33], -v[156:157]
	ds_read2_b64 v[156:159], v206 offset0:62 offset1:63
	s_waitcnt lgkmcnt(0)
	v_mul_f64 v[74:75], v[158:159], v[76:77]
	v_fma_f64 v[74:75], v[156:157], v[154:155], -v[74:75]
	v_mul_f64 v[156:157], v[156:157], v[76:77]
	v_add_f64 v[26:27], v[26:27], -v[74:75]
	v_fma_f64 v[156:157], v[158:159], v[154:155], v[156:157]
	v_add_f64 v[28:29], v[28:29], -v[156:157]
	ds_read2_b64 v[156:159], v206 offset0:64 offset1:65
	s_waitcnt lgkmcnt(0)
	v_mul_f64 v[74:75], v[158:159], v[76:77]
	v_fma_f64 v[74:75], v[156:157], v[154:155], -v[74:75]
	v_mul_f64 v[156:157], v[156:157], v[76:77]
	v_add_f64 v[22:23], v[22:23], -v[74:75]
	v_fma_f64 v[156:157], v[158:159], v[154:155], v[156:157]
	v_add_f64 v[24:25], v[24:25], -v[156:157]
	ds_read2_b64 v[156:159], v206 offset0:66 offset1:67
	s_waitcnt lgkmcnt(0)
	v_mul_f64 v[74:75], v[158:159], v[76:77]
	v_fma_f64 v[74:75], v[156:157], v[154:155], -v[74:75]
	v_mul_f64 v[156:157], v[156:157], v[76:77]
	v_add_f64 v[18:19], v[18:19], -v[74:75]
	v_fma_f64 v[156:157], v[158:159], v[154:155], v[156:157]
	v_add_f64 v[20:21], v[20:21], -v[156:157]
	ds_read2_b64 v[156:159], v206 offset0:68 offset1:69
	s_waitcnt lgkmcnt(0)
	v_mul_f64 v[74:75], v[158:159], v[76:77]
	v_fma_f64 v[74:75], v[156:157], v[154:155], -v[74:75]
	v_mul_f64 v[156:157], v[156:157], v[76:77]
	v_add_f64 v[14:15], v[14:15], -v[74:75]
	v_fma_f64 v[156:157], v[158:159], v[154:155], v[156:157]
	v_add_f64 v[16:17], v[16:17], -v[156:157]
	ds_read2_b64 v[156:159], v206 offset0:70 offset1:71
	s_waitcnt lgkmcnt(0)
	v_mul_f64 v[74:75], v[158:159], v[76:77]
	v_fma_f64 v[74:75], v[156:157], v[154:155], -v[74:75]
	v_mul_f64 v[156:157], v[156:157], v[76:77]
	v_add_f64 v[10:11], v[10:11], -v[74:75]
	v_fma_f64 v[156:157], v[158:159], v[154:155], v[156:157]
	v_add_f64 v[12:13], v[12:13], -v[156:157]
	ds_read2_b64 v[156:159], v206 offset0:72 offset1:73
	s_waitcnt lgkmcnt(0)
	v_mul_f64 v[74:75], v[158:159], v[76:77]
	v_fma_f64 v[74:75], v[156:157], v[154:155], -v[74:75]
	v_mul_f64 v[156:157], v[156:157], v[76:77]
	v_add_f64 v[6:7], v[6:7], -v[74:75]
	v_fma_f64 v[156:157], v[158:159], v[154:155], v[156:157]
	v_add_f64 v[8:9], v[8:9], -v[156:157]
	ds_read2_b64 v[156:159], v206 offset0:74 offset1:75
	s_waitcnt lgkmcnt(0)
	v_mul_f64 v[74:75], v[158:159], v[76:77]
	v_fma_f64 v[74:75], v[156:157], v[154:155], -v[74:75]
	v_mul_f64 v[156:157], v[156:157], v[76:77]
	v_add_f64 v[2:3], v[2:3], -v[74:75]
	v_fma_f64 v[156:157], v[158:159], v[154:155], v[156:157]
	v_mov_b32_e32 v74, v154
	v_mov_b32_e32 v75, v155
	v_add_f64 v[4:5], v[4:5], -v[156:157]
.LBB75_181:
	s_or_b32 exec_lo, exec_lo, s1
	s_mov_b32 s2, exec_lo
	s_waitcnt_vscnt null, 0x0
	s_barrier
	buffer_gl0_inv
	v_cmpx_eq_u32_e32 20, v0
	s_cbranch_execz .LBB75_188
; %bb.182:
	ds_write2_b64 v1, v[70:71], v[72:73] offset1:1
	ds_write2_b64 v206, v[66:67], v[68:69] offset0:42 offset1:43
	ds_write2_b64 v206, v[62:63], v[64:65] offset0:44 offset1:45
	;; [unrolled: 1-line block ×17, first 2 shown]
	ds_read2_b64 v[154:157], v1 offset1:1
	s_waitcnt lgkmcnt(0)
	v_cmp_neq_f64_e32 vcc_lo, 0, v[154:155]
	v_cmp_neq_f64_e64 s1, 0, v[156:157]
	s_or_b32 s1, vcc_lo, s1
	s_and_b32 exec_lo, exec_lo, s1
	s_cbranch_execz .LBB75_188
; %bb.183:
	v_cmp_ngt_f64_e64 s1, |v[154:155]|, |v[156:157]|
                                        ; implicit-def: $vgpr158_vgpr159
	s_and_saveexec_b32 s3, s1
	s_xor_b32 s1, exec_lo, s3
                                        ; implicit-def: $vgpr160_vgpr161
	s_cbranch_execz .LBB75_185
; %bb.184:
	v_div_scale_f64 v[158:159], null, v[156:157], v[156:157], v[154:155]
	v_div_scale_f64 v[164:165], vcc_lo, v[154:155], v[156:157], v[154:155]
	v_rcp_f64_e32 v[160:161], v[158:159]
	v_fma_f64 v[162:163], -v[158:159], v[160:161], 1.0
	v_fma_f64 v[160:161], v[160:161], v[162:163], v[160:161]
	v_fma_f64 v[162:163], -v[158:159], v[160:161], 1.0
	v_fma_f64 v[160:161], v[160:161], v[162:163], v[160:161]
	v_mul_f64 v[162:163], v[164:165], v[160:161]
	v_fma_f64 v[158:159], -v[158:159], v[162:163], v[164:165]
	v_div_fmas_f64 v[158:159], v[158:159], v[160:161], v[162:163]
	v_div_fixup_f64 v[158:159], v[158:159], v[156:157], v[154:155]
	v_fma_f64 v[154:155], v[154:155], v[158:159], v[156:157]
	v_div_scale_f64 v[156:157], null, v[154:155], v[154:155], 1.0
	v_rcp_f64_e32 v[160:161], v[156:157]
	v_fma_f64 v[162:163], -v[156:157], v[160:161], 1.0
	v_fma_f64 v[160:161], v[160:161], v[162:163], v[160:161]
	v_fma_f64 v[162:163], -v[156:157], v[160:161], 1.0
	v_fma_f64 v[160:161], v[160:161], v[162:163], v[160:161]
	v_div_scale_f64 v[162:163], vcc_lo, 1.0, v[154:155], 1.0
	v_mul_f64 v[164:165], v[162:163], v[160:161]
	v_fma_f64 v[156:157], -v[156:157], v[164:165], v[162:163]
	v_div_fmas_f64 v[156:157], v[156:157], v[160:161], v[164:165]
	v_div_fixup_f64 v[160:161], v[156:157], v[154:155], 1.0
                                        ; implicit-def: $vgpr154_vgpr155
	v_mul_f64 v[158:159], v[158:159], v[160:161]
	v_xor_b32_e32 v161, 0x80000000, v161
.LBB75_185:
	s_andn2_saveexec_b32 s1, s1
	s_cbranch_execz .LBB75_187
; %bb.186:
	v_div_scale_f64 v[158:159], null, v[154:155], v[154:155], v[156:157]
	v_div_scale_f64 v[164:165], vcc_lo, v[156:157], v[154:155], v[156:157]
	v_rcp_f64_e32 v[160:161], v[158:159]
	v_fma_f64 v[162:163], -v[158:159], v[160:161], 1.0
	v_fma_f64 v[160:161], v[160:161], v[162:163], v[160:161]
	v_fma_f64 v[162:163], -v[158:159], v[160:161], 1.0
	v_fma_f64 v[160:161], v[160:161], v[162:163], v[160:161]
	v_mul_f64 v[162:163], v[164:165], v[160:161]
	v_fma_f64 v[158:159], -v[158:159], v[162:163], v[164:165]
	v_div_fmas_f64 v[158:159], v[158:159], v[160:161], v[162:163]
	v_div_fixup_f64 v[160:161], v[158:159], v[154:155], v[156:157]
	v_fma_f64 v[154:155], v[156:157], v[160:161], v[154:155]
	v_div_scale_f64 v[156:157], null, v[154:155], v[154:155], 1.0
	v_rcp_f64_e32 v[158:159], v[156:157]
	v_fma_f64 v[162:163], -v[156:157], v[158:159], 1.0
	v_fma_f64 v[158:159], v[158:159], v[162:163], v[158:159]
	v_fma_f64 v[162:163], -v[156:157], v[158:159], 1.0
	v_fma_f64 v[158:159], v[158:159], v[162:163], v[158:159]
	v_div_scale_f64 v[162:163], vcc_lo, 1.0, v[154:155], 1.0
	v_mul_f64 v[164:165], v[162:163], v[158:159]
	v_fma_f64 v[156:157], -v[156:157], v[164:165], v[162:163]
	v_div_fmas_f64 v[156:157], v[156:157], v[158:159], v[164:165]
	v_div_fixup_f64 v[158:159], v[156:157], v[154:155], 1.0
	v_mul_f64 v[160:161], v[160:161], -v[158:159]
.LBB75_187:
	s_or_b32 exec_lo, exec_lo, s1
	ds_write2_b64 v1, v[158:159], v[160:161] offset1:1
.LBB75_188:
	s_or_b32 exec_lo, exec_lo, s2
	s_waitcnt lgkmcnt(0)
	s_barrier
	buffer_gl0_inv
	ds_read2_b64 v[154:157], v1 offset1:1
	s_mov_b32 s1, exec_lo
	s_waitcnt lgkmcnt(0)
	buffer_store_dword v154, off, s[16:19], 0 offset:440 ; 4-byte Folded Spill
	buffer_store_dword v155, off, s[16:19], 0 offset:444 ; 4-byte Folded Spill
	buffer_store_dword v156, off, s[16:19], 0 offset:448 ; 4-byte Folded Spill
	buffer_store_dword v157, off, s[16:19], 0 offset:452 ; 4-byte Folded Spill
	v_cmpx_lt_u32_e32 20, v0
	s_cbranch_execz .LBB75_190
; %bb.189:
	s_clause 0x3
	buffer_load_dword v156, off, s[16:19], 0 offset:440
	buffer_load_dword v157, off, s[16:19], 0 offset:444
	;; [unrolled: 1-line block ×4, first 2 shown]
	s_waitcnt vmcnt(0)
	v_mul_f64 v[154:155], v[158:159], v[72:73]
	v_mul_f64 v[72:73], v[156:157], v[72:73]
	v_fma_f64 v[154:155], v[156:157], v[70:71], -v[154:155]
	v_fma_f64 v[72:73], v[158:159], v[70:71], v[72:73]
	ds_read2_b64 v[156:159], v206 offset0:42 offset1:43
	s_waitcnt lgkmcnt(0)
	v_mul_f64 v[70:71], v[158:159], v[72:73]
	v_fma_f64 v[70:71], v[156:157], v[154:155], -v[70:71]
	v_mul_f64 v[156:157], v[156:157], v[72:73]
	v_add_f64 v[66:67], v[66:67], -v[70:71]
	v_fma_f64 v[156:157], v[158:159], v[154:155], v[156:157]
	v_add_f64 v[68:69], v[68:69], -v[156:157]
	ds_read2_b64 v[156:159], v206 offset0:44 offset1:45
	s_waitcnt lgkmcnt(0)
	v_mul_f64 v[70:71], v[158:159], v[72:73]
	v_fma_f64 v[70:71], v[156:157], v[154:155], -v[70:71]
	v_mul_f64 v[156:157], v[156:157], v[72:73]
	v_add_f64 v[62:63], v[62:63], -v[70:71]
	v_fma_f64 v[156:157], v[158:159], v[154:155], v[156:157]
	v_add_f64 v[64:65], v[64:65], -v[156:157]
	;; [unrolled: 8-line block ×16, first 2 shown]
	ds_read2_b64 v[156:159], v206 offset0:74 offset1:75
	s_waitcnt lgkmcnt(0)
	v_mul_f64 v[70:71], v[158:159], v[72:73]
	v_fma_f64 v[70:71], v[156:157], v[154:155], -v[70:71]
	v_mul_f64 v[156:157], v[156:157], v[72:73]
	v_add_f64 v[2:3], v[2:3], -v[70:71]
	v_fma_f64 v[156:157], v[158:159], v[154:155], v[156:157]
	v_mov_b32_e32 v70, v154
	v_mov_b32_e32 v71, v155
	v_add_f64 v[4:5], v[4:5], -v[156:157]
.LBB75_190:
	s_or_b32 exec_lo, exec_lo, s1
	s_mov_b32 s2, exec_lo
	s_waitcnt_vscnt null, 0x0
	s_barrier
	buffer_gl0_inv
	v_cmpx_eq_u32_e32 21, v0
	s_cbranch_execz .LBB75_197
; %bb.191:
	ds_write2_b64 v1, v[66:67], v[68:69] offset1:1
	ds_write2_b64 v206, v[62:63], v[64:65] offset0:44 offset1:45
	ds_write2_b64 v206, v[58:59], v[60:61] offset0:46 offset1:47
	;; [unrolled: 1-line block ×16, first 2 shown]
	ds_read2_b64 v[154:157], v1 offset1:1
	s_waitcnt lgkmcnt(0)
	v_cmp_neq_f64_e32 vcc_lo, 0, v[154:155]
	v_cmp_neq_f64_e64 s1, 0, v[156:157]
	s_or_b32 s1, vcc_lo, s1
	s_and_b32 exec_lo, exec_lo, s1
	s_cbranch_execz .LBB75_197
; %bb.192:
	v_cmp_ngt_f64_e64 s1, |v[154:155]|, |v[156:157]|
                                        ; implicit-def: $vgpr158_vgpr159
	s_and_saveexec_b32 s3, s1
	s_xor_b32 s1, exec_lo, s3
                                        ; implicit-def: $vgpr160_vgpr161
	s_cbranch_execz .LBB75_194
; %bb.193:
	v_div_scale_f64 v[158:159], null, v[156:157], v[156:157], v[154:155]
	v_div_scale_f64 v[164:165], vcc_lo, v[154:155], v[156:157], v[154:155]
	v_rcp_f64_e32 v[160:161], v[158:159]
	v_fma_f64 v[162:163], -v[158:159], v[160:161], 1.0
	v_fma_f64 v[160:161], v[160:161], v[162:163], v[160:161]
	v_fma_f64 v[162:163], -v[158:159], v[160:161], 1.0
	v_fma_f64 v[160:161], v[160:161], v[162:163], v[160:161]
	v_mul_f64 v[162:163], v[164:165], v[160:161]
	v_fma_f64 v[158:159], -v[158:159], v[162:163], v[164:165]
	v_div_fmas_f64 v[158:159], v[158:159], v[160:161], v[162:163]
	v_div_fixup_f64 v[158:159], v[158:159], v[156:157], v[154:155]
	v_fma_f64 v[154:155], v[154:155], v[158:159], v[156:157]
	v_div_scale_f64 v[156:157], null, v[154:155], v[154:155], 1.0
	v_rcp_f64_e32 v[160:161], v[156:157]
	v_fma_f64 v[162:163], -v[156:157], v[160:161], 1.0
	v_fma_f64 v[160:161], v[160:161], v[162:163], v[160:161]
	v_fma_f64 v[162:163], -v[156:157], v[160:161], 1.0
	v_fma_f64 v[160:161], v[160:161], v[162:163], v[160:161]
	v_div_scale_f64 v[162:163], vcc_lo, 1.0, v[154:155], 1.0
	v_mul_f64 v[164:165], v[162:163], v[160:161]
	v_fma_f64 v[156:157], -v[156:157], v[164:165], v[162:163]
	v_div_fmas_f64 v[156:157], v[156:157], v[160:161], v[164:165]
	v_div_fixup_f64 v[160:161], v[156:157], v[154:155], 1.0
                                        ; implicit-def: $vgpr154_vgpr155
	v_mul_f64 v[158:159], v[158:159], v[160:161]
	v_xor_b32_e32 v161, 0x80000000, v161
.LBB75_194:
	s_andn2_saveexec_b32 s1, s1
	s_cbranch_execz .LBB75_196
; %bb.195:
	v_div_scale_f64 v[158:159], null, v[154:155], v[154:155], v[156:157]
	v_div_scale_f64 v[164:165], vcc_lo, v[156:157], v[154:155], v[156:157]
	v_rcp_f64_e32 v[160:161], v[158:159]
	v_fma_f64 v[162:163], -v[158:159], v[160:161], 1.0
	v_fma_f64 v[160:161], v[160:161], v[162:163], v[160:161]
	v_fma_f64 v[162:163], -v[158:159], v[160:161], 1.0
	v_fma_f64 v[160:161], v[160:161], v[162:163], v[160:161]
	v_mul_f64 v[162:163], v[164:165], v[160:161]
	v_fma_f64 v[158:159], -v[158:159], v[162:163], v[164:165]
	v_div_fmas_f64 v[158:159], v[158:159], v[160:161], v[162:163]
	v_div_fixup_f64 v[160:161], v[158:159], v[154:155], v[156:157]
	v_fma_f64 v[154:155], v[156:157], v[160:161], v[154:155]
	v_div_scale_f64 v[156:157], null, v[154:155], v[154:155], 1.0
	v_rcp_f64_e32 v[158:159], v[156:157]
	v_fma_f64 v[162:163], -v[156:157], v[158:159], 1.0
	v_fma_f64 v[158:159], v[158:159], v[162:163], v[158:159]
	v_fma_f64 v[162:163], -v[156:157], v[158:159], 1.0
	v_fma_f64 v[158:159], v[158:159], v[162:163], v[158:159]
	v_div_scale_f64 v[162:163], vcc_lo, 1.0, v[154:155], 1.0
	v_mul_f64 v[164:165], v[162:163], v[158:159]
	v_fma_f64 v[156:157], -v[156:157], v[164:165], v[162:163]
	v_div_fmas_f64 v[156:157], v[156:157], v[158:159], v[164:165]
	v_div_fixup_f64 v[158:159], v[156:157], v[154:155], 1.0
	v_mul_f64 v[160:161], v[160:161], -v[158:159]
.LBB75_196:
	s_or_b32 exec_lo, exec_lo, s1
	ds_write2_b64 v1, v[158:159], v[160:161] offset1:1
.LBB75_197:
	s_or_b32 exec_lo, exec_lo, s2
	s_waitcnt lgkmcnt(0)
	s_barrier
	buffer_gl0_inv
	ds_read2_b64 v[154:157], v1 offset1:1
	s_mov_b32 s1, exec_lo
	s_waitcnt lgkmcnt(0)
	buffer_store_dword v154, off, s[16:19], 0 offset:456 ; 4-byte Folded Spill
	buffer_store_dword v155, off, s[16:19], 0 offset:460 ; 4-byte Folded Spill
	;; [unrolled: 1-line block ×4, first 2 shown]
	v_cmpx_lt_u32_e32 21, v0
	s_cbranch_execz .LBB75_199
; %bb.198:
	s_clause 0x3
	buffer_load_dword v156, off, s[16:19], 0 offset:456
	buffer_load_dword v157, off, s[16:19], 0 offset:460
	;; [unrolled: 1-line block ×4, first 2 shown]
	s_waitcnt vmcnt(2)
	v_mul_f64 v[154:155], v[156:157], v[68:69]
	s_waitcnt vmcnt(0)
	v_mul_f64 v[68:69], v[158:159], v[68:69]
	v_fma_f64 v[154:155], v[158:159], v[66:67], v[154:155]
	v_fma_f64 v[66:67], v[156:157], v[66:67], -v[68:69]
	ds_read2_b64 v[156:159], v206 offset0:44 offset1:45
	s_waitcnt lgkmcnt(0)
	v_mul_f64 v[68:69], v[158:159], v[154:155]
	v_fma_f64 v[68:69], v[156:157], v[66:67], -v[68:69]
	v_mul_f64 v[156:157], v[156:157], v[154:155]
	v_add_f64 v[62:63], v[62:63], -v[68:69]
	v_fma_f64 v[156:157], v[158:159], v[66:67], v[156:157]
	v_add_f64 v[64:65], v[64:65], -v[156:157]
	ds_read2_b64 v[156:159], v206 offset0:46 offset1:47
	s_waitcnt lgkmcnt(0)
	v_mul_f64 v[68:69], v[158:159], v[154:155]
	v_fma_f64 v[68:69], v[156:157], v[66:67], -v[68:69]
	v_mul_f64 v[156:157], v[156:157], v[154:155]
	v_add_f64 v[58:59], v[58:59], -v[68:69]
	v_fma_f64 v[156:157], v[158:159], v[66:67], v[156:157]
	v_add_f64 v[60:61], v[60:61], -v[156:157]
	;; [unrolled: 8-line block ×15, first 2 shown]
	ds_read2_b64 v[156:159], v206 offset0:74 offset1:75
	s_waitcnt lgkmcnt(0)
	v_mul_f64 v[68:69], v[158:159], v[154:155]
	v_fma_f64 v[68:69], v[156:157], v[66:67], -v[68:69]
	v_mul_f64 v[156:157], v[156:157], v[154:155]
	v_add_f64 v[2:3], v[2:3], -v[68:69]
	v_fma_f64 v[156:157], v[158:159], v[66:67], v[156:157]
	v_mov_b32_e32 v68, v154
	v_mov_b32_e32 v69, v155
	v_add_f64 v[4:5], v[4:5], -v[156:157]
.LBB75_199:
	s_or_b32 exec_lo, exec_lo, s1
	s_mov_b32 s2, exec_lo
	s_waitcnt_vscnt null, 0x0
	s_barrier
	buffer_gl0_inv
	v_cmpx_eq_u32_e32 22, v0
	s_cbranch_execz .LBB75_206
; %bb.200:
	ds_write2_b64 v1, v[62:63], v[64:65] offset1:1
	ds_write2_b64 v206, v[58:59], v[60:61] offset0:46 offset1:47
	ds_write2_b64 v206, v[54:55], v[56:57] offset0:48 offset1:49
	;; [unrolled: 1-line block ×15, first 2 shown]
	ds_read2_b64 v[154:157], v1 offset1:1
	s_waitcnt lgkmcnt(0)
	v_cmp_neq_f64_e32 vcc_lo, 0, v[154:155]
	v_cmp_neq_f64_e64 s1, 0, v[156:157]
	s_or_b32 s1, vcc_lo, s1
	s_and_b32 exec_lo, exec_lo, s1
	s_cbranch_execz .LBB75_206
; %bb.201:
	v_cmp_ngt_f64_e64 s1, |v[154:155]|, |v[156:157]|
                                        ; implicit-def: $vgpr158_vgpr159
	s_and_saveexec_b32 s3, s1
	s_xor_b32 s1, exec_lo, s3
                                        ; implicit-def: $vgpr160_vgpr161
	s_cbranch_execz .LBB75_203
; %bb.202:
	v_div_scale_f64 v[158:159], null, v[156:157], v[156:157], v[154:155]
	v_div_scale_f64 v[164:165], vcc_lo, v[154:155], v[156:157], v[154:155]
	v_rcp_f64_e32 v[160:161], v[158:159]
	v_fma_f64 v[162:163], -v[158:159], v[160:161], 1.0
	v_fma_f64 v[160:161], v[160:161], v[162:163], v[160:161]
	v_fma_f64 v[162:163], -v[158:159], v[160:161], 1.0
	v_fma_f64 v[160:161], v[160:161], v[162:163], v[160:161]
	v_mul_f64 v[162:163], v[164:165], v[160:161]
	v_fma_f64 v[158:159], -v[158:159], v[162:163], v[164:165]
	v_div_fmas_f64 v[158:159], v[158:159], v[160:161], v[162:163]
	v_div_fixup_f64 v[158:159], v[158:159], v[156:157], v[154:155]
	v_fma_f64 v[154:155], v[154:155], v[158:159], v[156:157]
	v_div_scale_f64 v[156:157], null, v[154:155], v[154:155], 1.0
	v_rcp_f64_e32 v[160:161], v[156:157]
	v_fma_f64 v[162:163], -v[156:157], v[160:161], 1.0
	v_fma_f64 v[160:161], v[160:161], v[162:163], v[160:161]
	v_fma_f64 v[162:163], -v[156:157], v[160:161], 1.0
	v_fma_f64 v[160:161], v[160:161], v[162:163], v[160:161]
	v_div_scale_f64 v[162:163], vcc_lo, 1.0, v[154:155], 1.0
	v_mul_f64 v[164:165], v[162:163], v[160:161]
	v_fma_f64 v[156:157], -v[156:157], v[164:165], v[162:163]
	v_div_fmas_f64 v[156:157], v[156:157], v[160:161], v[164:165]
	v_div_fixup_f64 v[160:161], v[156:157], v[154:155], 1.0
                                        ; implicit-def: $vgpr154_vgpr155
	v_mul_f64 v[158:159], v[158:159], v[160:161]
	v_xor_b32_e32 v161, 0x80000000, v161
.LBB75_203:
	s_andn2_saveexec_b32 s1, s1
	s_cbranch_execz .LBB75_205
; %bb.204:
	v_div_scale_f64 v[158:159], null, v[154:155], v[154:155], v[156:157]
	v_div_scale_f64 v[164:165], vcc_lo, v[156:157], v[154:155], v[156:157]
	v_rcp_f64_e32 v[160:161], v[158:159]
	v_fma_f64 v[162:163], -v[158:159], v[160:161], 1.0
	v_fma_f64 v[160:161], v[160:161], v[162:163], v[160:161]
	v_fma_f64 v[162:163], -v[158:159], v[160:161], 1.0
	v_fma_f64 v[160:161], v[160:161], v[162:163], v[160:161]
	v_mul_f64 v[162:163], v[164:165], v[160:161]
	v_fma_f64 v[158:159], -v[158:159], v[162:163], v[164:165]
	v_div_fmas_f64 v[158:159], v[158:159], v[160:161], v[162:163]
	v_div_fixup_f64 v[160:161], v[158:159], v[154:155], v[156:157]
	v_fma_f64 v[154:155], v[156:157], v[160:161], v[154:155]
	v_div_scale_f64 v[156:157], null, v[154:155], v[154:155], 1.0
	v_rcp_f64_e32 v[158:159], v[156:157]
	v_fma_f64 v[162:163], -v[156:157], v[158:159], 1.0
	v_fma_f64 v[158:159], v[158:159], v[162:163], v[158:159]
	v_fma_f64 v[162:163], -v[156:157], v[158:159], 1.0
	v_fma_f64 v[158:159], v[158:159], v[162:163], v[158:159]
	v_div_scale_f64 v[162:163], vcc_lo, 1.0, v[154:155], 1.0
	v_mul_f64 v[164:165], v[162:163], v[158:159]
	v_fma_f64 v[156:157], -v[156:157], v[164:165], v[162:163]
	v_div_fmas_f64 v[156:157], v[156:157], v[158:159], v[164:165]
	v_div_fixup_f64 v[158:159], v[156:157], v[154:155], 1.0
	v_mul_f64 v[160:161], v[160:161], -v[158:159]
.LBB75_205:
	s_or_b32 exec_lo, exec_lo, s1
	ds_write2_b64 v1, v[158:159], v[160:161] offset1:1
.LBB75_206:
	s_or_b32 exec_lo, exec_lo, s2
	s_waitcnt lgkmcnt(0)
	s_barrier
	buffer_gl0_inv
	ds_read2_b64 v[154:157], v1 offset1:1
	s_mov_b32 s1, exec_lo
	s_waitcnt lgkmcnt(0)
	buffer_store_dword v154, off, s[16:19], 0 offset:472 ; 4-byte Folded Spill
	buffer_store_dword v155, off, s[16:19], 0 offset:476 ; 4-byte Folded Spill
	;; [unrolled: 1-line block ×4, first 2 shown]
	v_cmpx_lt_u32_e32 22, v0
	s_cbranch_execz .LBB75_208
; %bb.207:
	s_clause 0x3
	buffer_load_dword v156, off, s[16:19], 0 offset:472
	buffer_load_dword v157, off, s[16:19], 0 offset:476
	;; [unrolled: 1-line block ×4, first 2 shown]
	s_waitcnt vmcnt(2)
	v_mul_f64 v[154:155], v[156:157], v[64:65]
	s_waitcnt vmcnt(0)
	v_mul_f64 v[64:65], v[158:159], v[64:65]
	v_fma_f64 v[154:155], v[158:159], v[62:63], v[154:155]
	v_fma_f64 v[62:63], v[156:157], v[62:63], -v[64:65]
	ds_read2_b64 v[156:159], v206 offset0:46 offset1:47
	s_waitcnt lgkmcnt(0)
	v_mul_f64 v[64:65], v[158:159], v[154:155]
	v_fma_f64 v[64:65], v[156:157], v[62:63], -v[64:65]
	v_mul_f64 v[156:157], v[156:157], v[154:155]
	v_add_f64 v[58:59], v[58:59], -v[64:65]
	v_fma_f64 v[156:157], v[158:159], v[62:63], v[156:157]
	v_add_f64 v[60:61], v[60:61], -v[156:157]
	ds_read2_b64 v[156:159], v206 offset0:48 offset1:49
	s_waitcnt lgkmcnt(0)
	v_mul_f64 v[64:65], v[158:159], v[154:155]
	v_fma_f64 v[64:65], v[156:157], v[62:63], -v[64:65]
	v_mul_f64 v[156:157], v[156:157], v[154:155]
	v_add_f64 v[54:55], v[54:55], -v[64:65]
	v_fma_f64 v[156:157], v[158:159], v[62:63], v[156:157]
	v_add_f64 v[56:57], v[56:57], -v[156:157]
	;; [unrolled: 8-line block ×14, first 2 shown]
	ds_read2_b64 v[156:159], v206 offset0:74 offset1:75
	s_waitcnt lgkmcnt(0)
	v_mul_f64 v[64:65], v[158:159], v[154:155]
	v_fma_f64 v[64:65], v[156:157], v[62:63], -v[64:65]
	v_mul_f64 v[156:157], v[156:157], v[154:155]
	v_add_f64 v[2:3], v[2:3], -v[64:65]
	v_fma_f64 v[156:157], v[158:159], v[62:63], v[156:157]
	v_mov_b32_e32 v64, v154
	v_mov_b32_e32 v65, v155
	v_add_f64 v[4:5], v[4:5], -v[156:157]
.LBB75_208:
	s_or_b32 exec_lo, exec_lo, s1
	s_mov_b32 s2, exec_lo
	s_waitcnt_vscnt null, 0x0
	s_barrier
	buffer_gl0_inv
	v_cmpx_eq_u32_e32 23, v0
	s_cbranch_execz .LBB75_215
; %bb.209:
	ds_write2_b64 v1, v[58:59], v[60:61] offset1:1
	ds_write2_b64 v206, v[54:55], v[56:57] offset0:48 offset1:49
	ds_write2_b64 v206, v[50:51], v[52:53] offset0:50 offset1:51
	ds_write2_b64 v206, v[46:47], v[48:49] offset0:52 offset1:53
	ds_write2_b64 v206, v[42:43], v[44:45] offset0:54 offset1:55
	ds_write2_b64 v206, v[38:39], v[40:41] offset0:56 offset1:57
	ds_write2_b64 v206, v[34:35], v[36:37] offset0:58 offset1:59
	ds_write2_b64 v206, v[30:31], v[32:33] offset0:60 offset1:61
	ds_write2_b64 v206, v[26:27], v[28:29] offset0:62 offset1:63
	ds_write2_b64 v206, v[22:23], v[24:25] offset0:64 offset1:65
	ds_write2_b64 v206, v[18:19], v[20:21] offset0:66 offset1:67
	ds_write2_b64 v206, v[14:15], v[16:17] offset0:68 offset1:69
	ds_write2_b64 v206, v[10:11], v[12:13] offset0:70 offset1:71
	ds_write2_b64 v206, v[6:7], v[8:9] offset0:72 offset1:73
	ds_write2_b64 v206, v[2:3], v[4:5] offset0:74 offset1:75
	ds_read2_b64 v[154:157], v1 offset1:1
	s_waitcnt lgkmcnt(0)
	v_cmp_neq_f64_e32 vcc_lo, 0, v[154:155]
	v_cmp_neq_f64_e64 s1, 0, v[156:157]
	s_or_b32 s1, vcc_lo, s1
	s_and_b32 exec_lo, exec_lo, s1
	s_cbranch_execz .LBB75_215
; %bb.210:
	v_cmp_ngt_f64_e64 s1, |v[154:155]|, |v[156:157]|
                                        ; implicit-def: $vgpr158_vgpr159
	s_and_saveexec_b32 s3, s1
	s_xor_b32 s1, exec_lo, s3
                                        ; implicit-def: $vgpr160_vgpr161
	s_cbranch_execz .LBB75_212
; %bb.211:
	v_div_scale_f64 v[158:159], null, v[156:157], v[156:157], v[154:155]
	v_div_scale_f64 v[164:165], vcc_lo, v[154:155], v[156:157], v[154:155]
	v_rcp_f64_e32 v[160:161], v[158:159]
	v_fma_f64 v[162:163], -v[158:159], v[160:161], 1.0
	v_fma_f64 v[160:161], v[160:161], v[162:163], v[160:161]
	v_fma_f64 v[162:163], -v[158:159], v[160:161], 1.0
	v_fma_f64 v[160:161], v[160:161], v[162:163], v[160:161]
	v_mul_f64 v[162:163], v[164:165], v[160:161]
	v_fma_f64 v[158:159], -v[158:159], v[162:163], v[164:165]
	v_div_fmas_f64 v[158:159], v[158:159], v[160:161], v[162:163]
	v_div_fixup_f64 v[158:159], v[158:159], v[156:157], v[154:155]
	v_fma_f64 v[154:155], v[154:155], v[158:159], v[156:157]
	v_div_scale_f64 v[156:157], null, v[154:155], v[154:155], 1.0
	v_rcp_f64_e32 v[160:161], v[156:157]
	v_fma_f64 v[162:163], -v[156:157], v[160:161], 1.0
	v_fma_f64 v[160:161], v[160:161], v[162:163], v[160:161]
	v_fma_f64 v[162:163], -v[156:157], v[160:161], 1.0
	v_fma_f64 v[160:161], v[160:161], v[162:163], v[160:161]
	v_div_scale_f64 v[162:163], vcc_lo, 1.0, v[154:155], 1.0
	v_mul_f64 v[164:165], v[162:163], v[160:161]
	v_fma_f64 v[156:157], -v[156:157], v[164:165], v[162:163]
	v_div_fmas_f64 v[156:157], v[156:157], v[160:161], v[164:165]
	v_div_fixup_f64 v[160:161], v[156:157], v[154:155], 1.0
                                        ; implicit-def: $vgpr154_vgpr155
	v_mul_f64 v[158:159], v[158:159], v[160:161]
	v_xor_b32_e32 v161, 0x80000000, v161
.LBB75_212:
	s_andn2_saveexec_b32 s1, s1
	s_cbranch_execz .LBB75_214
; %bb.213:
	v_div_scale_f64 v[158:159], null, v[154:155], v[154:155], v[156:157]
	v_div_scale_f64 v[164:165], vcc_lo, v[156:157], v[154:155], v[156:157]
	v_rcp_f64_e32 v[160:161], v[158:159]
	v_fma_f64 v[162:163], -v[158:159], v[160:161], 1.0
	v_fma_f64 v[160:161], v[160:161], v[162:163], v[160:161]
	v_fma_f64 v[162:163], -v[158:159], v[160:161], 1.0
	v_fma_f64 v[160:161], v[160:161], v[162:163], v[160:161]
	v_mul_f64 v[162:163], v[164:165], v[160:161]
	v_fma_f64 v[158:159], -v[158:159], v[162:163], v[164:165]
	v_div_fmas_f64 v[158:159], v[158:159], v[160:161], v[162:163]
	v_div_fixup_f64 v[160:161], v[158:159], v[154:155], v[156:157]
	v_fma_f64 v[154:155], v[156:157], v[160:161], v[154:155]
	v_div_scale_f64 v[156:157], null, v[154:155], v[154:155], 1.0
	v_rcp_f64_e32 v[158:159], v[156:157]
	v_fma_f64 v[162:163], -v[156:157], v[158:159], 1.0
	v_fma_f64 v[158:159], v[158:159], v[162:163], v[158:159]
	v_fma_f64 v[162:163], -v[156:157], v[158:159], 1.0
	v_fma_f64 v[158:159], v[158:159], v[162:163], v[158:159]
	v_div_scale_f64 v[162:163], vcc_lo, 1.0, v[154:155], 1.0
	v_mul_f64 v[164:165], v[162:163], v[158:159]
	v_fma_f64 v[156:157], -v[156:157], v[164:165], v[162:163]
	v_div_fmas_f64 v[156:157], v[156:157], v[158:159], v[164:165]
	v_div_fixup_f64 v[158:159], v[156:157], v[154:155], 1.0
	v_mul_f64 v[160:161], v[160:161], -v[158:159]
.LBB75_214:
	s_or_b32 exec_lo, exec_lo, s1
	ds_write2_b64 v1, v[158:159], v[160:161] offset1:1
.LBB75_215:
	s_or_b32 exec_lo, exec_lo, s2
	s_waitcnt lgkmcnt(0)
	s_barrier
	buffer_gl0_inv
	ds_read2_b64 v[154:157], v1 offset1:1
	s_mov_b32 s1, exec_lo
	s_waitcnt lgkmcnt(0)
	buffer_store_dword v154, off, s[16:19], 0 offset:488 ; 4-byte Folded Spill
	buffer_store_dword v155, off, s[16:19], 0 offset:492 ; 4-byte Folded Spill
	;; [unrolled: 1-line block ×4, first 2 shown]
	v_cmpx_lt_u32_e32 23, v0
	s_cbranch_execz .LBB75_217
; %bb.216:
	s_clause 0x3
	buffer_load_dword v156, off, s[16:19], 0 offset:488
	buffer_load_dword v157, off, s[16:19], 0 offset:492
	;; [unrolled: 1-line block ×4, first 2 shown]
	s_waitcnt vmcnt(2)
	v_mul_f64 v[154:155], v[156:157], v[60:61]
	s_waitcnt vmcnt(0)
	v_mul_f64 v[60:61], v[158:159], v[60:61]
	v_fma_f64 v[154:155], v[158:159], v[58:59], v[154:155]
	v_fma_f64 v[58:59], v[156:157], v[58:59], -v[60:61]
	ds_read2_b64 v[156:159], v206 offset0:48 offset1:49
	s_waitcnt lgkmcnt(0)
	v_mul_f64 v[60:61], v[158:159], v[154:155]
	v_fma_f64 v[60:61], v[156:157], v[58:59], -v[60:61]
	v_mul_f64 v[156:157], v[156:157], v[154:155]
	v_add_f64 v[54:55], v[54:55], -v[60:61]
	v_fma_f64 v[156:157], v[158:159], v[58:59], v[156:157]
	v_add_f64 v[56:57], v[56:57], -v[156:157]
	ds_read2_b64 v[156:159], v206 offset0:50 offset1:51
	s_waitcnt lgkmcnt(0)
	v_mul_f64 v[60:61], v[158:159], v[154:155]
	v_fma_f64 v[60:61], v[156:157], v[58:59], -v[60:61]
	v_mul_f64 v[156:157], v[156:157], v[154:155]
	v_add_f64 v[50:51], v[50:51], -v[60:61]
	v_fma_f64 v[156:157], v[158:159], v[58:59], v[156:157]
	v_add_f64 v[52:53], v[52:53], -v[156:157]
	;; [unrolled: 8-line block ×13, first 2 shown]
	ds_read2_b64 v[156:159], v206 offset0:74 offset1:75
	s_waitcnt lgkmcnt(0)
	v_mul_f64 v[60:61], v[158:159], v[154:155]
	v_fma_f64 v[60:61], v[156:157], v[58:59], -v[60:61]
	v_mul_f64 v[156:157], v[156:157], v[154:155]
	v_add_f64 v[2:3], v[2:3], -v[60:61]
	v_fma_f64 v[156:157], v[158:159], v[58:59], v[156:157]
	v_mov_b32_e32 v60, v154
	v_mov_b32_e32 v61, v155
	v_add_f64 v[4:5], v[4:5], -v[156:157]
.LBB75_217:
	s_or_b32 exec_lo, exec_lo, s1
	s_mov_b32 s2, exec_lo
	s_waitcnt_vscnt null, 0x0
	s_barrier
	buffer_gl0_inv
	v_cmpx_eq_u32_e32 24, v0
	s_cbranch_execz .LBB75_224
; %bb.218:
	ds_write2_b64 v1, v[54:55], v[56:57] offset1:1
	ds_write2_b64 v206, v[50:51], v[52:53] offset0:50 offset1:51
	ds_write2_b64 v206, v[46:47], v[48:49] offset0:52 offset1:53
	ds_write2_b64 v206, v[42:43], v[44:45] offset0:54 offset1:55
	ds_write2_b64 v206, v[38:39], v[40:41] offset0:56 offset1:57
	ds_write2_b64 v206, v[34:35], v[36:37] offset0:58 offset1:59
	ds_write2_b64 v206, v[30:31], v[32:33] offset0:60 offset1:61
	ds_write2_b64 v206, v[26:27], v[28:29] offset0:62 offset1:63
	ds_write2_b64 v206, v[22:23], v[24:25] offset0:64 offset1:65
	ds_write2_b64 v206, v[18:19], v[20:21] offset0:66 offset1:67
	ds_write2_b64 v206, v[14:15], v[16:17] offset0:68 offset1:69
	ds_write2_b64 v206, v[10:11], v[12:13] offset0:70 offset1:71
	ds_write2_b64 v206, v[6:7], v[8:9] offset0:72 offset1:73
	ds_write2_b64 v206, v[2:3], v[4:5] offset0:74 offset1:75
	ds_read2_b64 v[154:157], v1 offset1:1
	s_waitcnt lgkmcnt(0)
	v_cmp_neq_f64_e32 vcc_lo, 0, v[154:155]
	v_cmp_neq_f64_e64 s1, 0, v[156:157]
	s_or_b32 s1, vcc_lo, s1
	s_and_b32 exec_lo, exec_lo, s1
	s_cbranch_execz .LBB75_224
; %bb.219:
	v_cmp_ngt_f64_e64 s1, |v[154:155]|, |v[156:157]|
                                        ; implicit-def: $vgpr158_vgpr159
	s_and_saveexec_b32 s3, s1
	s_xor_b32 s1, exec_lo, s3
                                        ; implicit-def: $vgpr160_vgpr161
	s_cbranch_execz .LBB75_221
; %bb.220:
	v_div_scale_f64 v[158:159], null, v[156:157], v[156:157], v[154:155]
	v_div_scale_f64 v[164:165], vcc_lo, v[154:155], v[156:157], v[154:155]
	v_rcp_f64_e32 v[160:161], v[158:159]
	v_fma_f64 v[162:163], -v[158:159], v[160:161], 1.0
	v_fma_f64 v[160:161], v[160:161], v[162:163], v[160:161]
	v_fma_f64 v[162:163], -v[158:159], v[160:161], 1.0
	v_fma_f64 v[160:161], v[160:161], v[162:163], v[160:161]
	v_mul_f64 v[162:163], v[164:165], v[160:161]
	v_fma_f64 v[158:159], -v[158:159], v[162:163], v[164:165]
	v_div_fmas_f64 v[158:159], v[158:159], v[160:161], v[162:163]
	v_div_fixup_f64 v[158:159], v[158:159], v[156:157], v[154:155]
	v_fma_f64 v[154:155], v[154:155], v[158:159], v[156:157]
	v_div_scale_f64 v[156:157], null, v[154:155], v[154:155], 1.0
	v_rcp_f64_e32 v[160:161], v[156:157]
	v_fma_f64 v[162:163], -v[156:157], v[160:161], 1.0
	v_fma_f64 v[160:161], v[160:161], v[162:163], v[160:161]
	v_fma_f64 v[162:163], -v[156:157], v[160:161], 1.0
	v_fma_f64 v[160:161], v[160:161], v[162:163], v[160:161]
	v_div_scale_f64 v[162:163], vcc_lo, 1.0, v[154:155], 1.0
	v_mul_f64 v[164:165], v[162:163], v[160:161]
	v_fma_f64 v[156:157], -v[156:157], v[164:165], v[162:163]
	v_div_fmas_f64 v[156:157], v[156:157], v[160:161], v[164:165]
	v_div_fixup_f64 v[160:161], v[156:157], v[154:155], 1.0
                                        ; implicit-def: $vgpr154_vgpr155
	v_mul_f64 v[158:159], v[158:159], v[160:161]
	v_xor_b32_e32 v161, 0x80000000, v161
.LBB75_221:
	s_andn2_saveexec_b32 s1, s1
	s_cbranch_execz .LBB75_223
; %bb.222:
	v_div_scale_f64 v[158:159], null, v[154:155], v[154:155], v[156:157]
	v_div_scale_f64 v[164:165], vcc_lo, v[156:157], v[154:155], v[156:157]
	v_rcp_f64_e32 v[160:161], v[158:159]
	v_fma_f64 v[162:163], -v[158:159], v[160:161], 1.0
	v_fma_f64 v[160:161], v[160:161], v[162:163], v[160:161]
	v_fma_f64 v[162:163], -v[158:159], v[160:161], 1.0
	v_fma_f64 v[160:161], v[160:161], v[162:163], v[160:161]
	v_mul_f64 v[162:163], v[164:165], v[160:161]
	v_fma_f64 v[158:159], -v[158:159], v[162:163], v[164:165]
	v_div_fmas_f64 v[158:159], v[158:159], v[160:161], v[162:163]
	v_div_fixup_f64 v[160:161], v[158:159], v[154:155], v[156:157]
	v_fma_f64 v[154:155], v[156:157], v[160:161], v[154:155]
	v_div_scale_f64 v[156:157], null, v[154:155], v[154:155], 1.0
	v_rcp_f64_e32 v[158:159], v[156:157]
	v_fma_f64 v[162:163], -v[156:157], v[158:159], 1.0
	v_fma_f64 v[158:159], v[158:159], v[162:163], v[158:159]
	v_fma_f64 v[162:163], -v[156:157], v[158:159], 1.0
	v_fma_f64 v[158:159], v[158:159], v[162:163], v[158:159]
	v_div_scale_f64 v[162:163], vcc_lo, 1.0, v[154:155], 1.0
	v_mul_f64 v[164:165], v[162:163], v[158:159]
	v_fma_f64 v[156:157], -v[156:157], v[164:165], v[162:163]
	v_div_fmas_f64 v[156:157], v[156:157], v[158:159], v[164:165]
	v_div_fixup_f64 v[158:159], v[156:157], v[154:155], 1.0
	v_mul_f64 v[160:161], v[160:161], -v[158:159]
.LBB75_223:
	s_or_b32 exec_lo, exec_lo, s1
	ds_write2_b64 v1, v[158:159], v[160:161] offset1:1
.LBB75_224:
	s_or_b32 exec_lo, exec_lo, s2
	s_waitcnt lgkmcnt(0)
	s_barrier
	buffer_gl0_inv
	ds_read2_b64 v[154:157], v1 offset1:1
	s_mov_b32 s1, exec_lo
	s_waitcnt lgkmcnt(0)
	buffer_store_dword v154, off, s[16:19], 0 offset:504 ; 4-byte Folded Spill
	buffer_store_dword v155, off, s[16:19], 0 offset:508 ; 4-byte Folded Spill
	;; [unrolled: 1-line block ×4, first 2 shown]
	v_cmpx_lt_u32_e32 24, v0
	s_cbranch_execz .LBB75_226
; %bb.225:
	s_clause 0x3
	buffer_load_dword v156, off, s[16:19], 0 offset:504
	buffer_load_dword v157, off, s[16:19], 0 offset:508
	;; [unrolled: 1-line block ×4, first 2 shown]
	s_waitcnt vmcnt(2)
	v_mul_f64 v[154:155], v[156:157], v[56:57]
	s_waitcnt vmcnt(0)
	v_mul_f64 v[56:57], v[158:159], v[56:57]
	v_fma_f64 v[154:155], v[158:159], v[54:55], v[154:155]
	v_fma_f64 v[54:55], v[156:157], v[54:55], -v[56:57]
	ds_read2_b64 v[156:159], v206 offset0:50 offset1:51
	s_waitcnt lgkmcnt(0)
	v_mul_f64 v[56:57], v[158:159], v[154:155]
	v_fma_f64 v[56:57], v[156:157], v[54:55], -v[56:57]
	v_mul_f64 v[156:157], v[156:157], v[154:155]
	v_add_f64 v[50:51], v[50:51], -v[56:57]
	v_fma_f64 v[156:157], v[158:159], v[54:55], v[156:157]
	v_add_f64 v[52:53], v[52:53], -v[156:157]
	ds_read2_b64 v[156:159], v206 offset0:52 offset1:53
	s_waitcnt lgkmcnt(0)
	v_mul_f64 v[56:57], v[158:159], v[154:155]
	v_fma_f64 v[56:57], v[156:157], v[54:55], -v[56:57]
	v_mul_f64 v[156:157], v[156:157], v[154:155]
	v_add_f64 v[46:47], v[46:47], -v[56:57]
	v_fma_f64 v[156:157], v[158:159], v[54:55], v[156:157]
	v_add_f64 v[48:49], v[48:49], -v[156:157]
	;; [unrolled: 8-line block ×12, first 2 shown]
	ds_read2_b64 v[156:159], v206 offset0:74 offset1:75
	s_waitcnt lgkmcnt(0)
	v_mul_f64 v[56:57], v[158:159], v[154:155]
	v_fma_f64 v[56:57], v[156:157], v[54:55], -v[56:57]
	v_mul_f64 v[156:157], v[156:157], v[154:155]
	v_add_f64 v[2:3], v[2:3], -v[56:57]
	v_fma_f64 v[156:157], v[158:159], v[54:55], v[156:157]
	v_mov_b32_e32 v56, v154
	v_mov_b32_e32 v57, v155
	v_add_f64 v[4:5], v[4:5], -v[156:157]
.LBB75_226:
	s_or_b32 exec_lo, exec_lo, s1
	s_mov_b32 s2, exec_lo
	s_waitcnt_vscnt null, 0x0
	s_barrier
	buffer_gl0_inv
	v_cmpx_eq_u32_e32 25, v0
	s_cbranch_execz .LBB75_233
; %bb.227:
	ds_write2_b64 v1, v[50:51], v[52:53] offset1:1
	ds_write2_b64 v206, v[46:47], v[48:49] offset0:52 offset1:53
	ds_write2_b64 v206, v[42:43], v[44:45] offset0:54 offset1:55
	;; [unrolled: 1-line block ×12, first 2 shown]
	ds_read2_b64 v[154:157], v1 offset1:1
	s_waitcnt lgkmcnt(0)
	v_cmp_neq_f64_e32 vcc_lo, 0, v[154:155]
	v_cmp_neq_f64_e64 s1, 0, v[156:157]
	s_or_b32 s1, vcc_lo, s1
	s_and_b32 exec_lo, exec_lo, s1
	s_cbranch_execz .LBB75_233
; %bb.228:
	v_cmp_ngt_f64_e64 s1, |v[154:155]|, |v[156:157]|
                                        ; implicit-def: $vgpr158_vgpr159
	s_and_saveexec_b32 s3, s1
	s_xor_b32 s1, exec_lo, s3
                                        ; implicit-def: $vgpr160_vgpr161
	s_cbranch_execz .LBB75_230
; %bb.229:
	v_div_scale_f64 v[158:159], null, v[156:157], v[156:157], v[154:155]
	v_div_scale_f64 v[164:165], vcc_lo, v[154:155], v[156:157], v[154:155]
	v_rcp_f64_e32 v[160:161], v[158:159]
	v_fma_f64 v[162:163], -v[158:159], v[160:161], 1.0
	v_fma_f64 v[160:161], v[160:161], v[162:163], v[160:161]
	v_fma_f64 v[162:163], -v[158:159], v[160:161], 1.0
	v_fma_f64 v[160:161], v[160:161], v[162:163], v[160:161]
	v_mul_f64 v[162:163], v[164:165], v[160:161]
	v_fma_f64 v[158:159], -v[158:159], v[162:163], v[164:165]
	v_div_fmas_f64 v[158:159], v[158:159], v[160:161], v[162:163]
	v_div_fixup_f64 v[158:159], v[158:159], v[156:157], v[154:155]
	v_fma_f64 v[154:155], v[154:155], v[158:159], v[156:157]
	v_div_scale_f64 v[156:157], null, v[154:155], v[154:155], 1.0
	v_rcp_f64_e32 v[160:161], v[156:157]
	v_fma_f64 v[162:163], -v[156:157], v[160:161], 1.0
	v_fma_f64 v[160:161], v[160:161], v[162:163], v[160:161]
	v_fma_f64 v[162:163], -v[156:157], v[160:161], 1.0
	v_fma_f64 v[160:161], v[160:161], v[162:163], v[160:161]
	v_div_scale_f64 v[162:163], vcc_lo, 1.0, v[154:155], 1.0
	v_mul_f64 v[164:165], v[162:163], v[160:161]
	v_fma_f64 v[156:157], -v[156:157], v[164:165], v[162:163]
	v_div_fmas_f64 v[156:157], v[156:157], v[160:161], v[164:165]
	v_div_fixup_f64 v[160:161], v[156:157], v[154:155], 1.0
                                        ; implicit-def: $vgpr154_vgpr155
	v_mul_f64 v[158:159], v[158:159], v[160:161]
	v_xor_b32_e32 v161, 0x80000000, v161
.LBB75_230:
	s_andn2_saveexec_b32 s1, s1
	s_cbranch_execz .LBB75_232
; %bb.231:
	v_div_scale_f64 v[158:159], null, v[154:155], v[154:155], v[156:157]
	v_div_scale_f64 v[164:165], vcc_lo, v[156:157], v[154:155], v[156:157]
	v_rcp_f64_e32 v[160:161], v[158:159]
	v_fma_f64 v[162:163], -v[158:159], v[160:161], 1.0
	v_fma_f64 v[160:161], v[160:161], v[162:163], v[160:161]
	v_fma_f64 v[162:163], -v[158:159], v[160:161], 1.0
	v_fma_f64 v[160:161], v[160:161], v[162:163], v[160:161]
	v_mul_f64 v[162:163], v[164:165], v[160:161]
	v_fma_f64 v[158:159], -v[158:159], v[162:163], v[164:165]
	v_div_fmas_f64 v[158:159], v[158:159], v[160:161], v[162:163]
	v_div_fixup_f64 v[160:161], v[158:159], v[154:155], v[156:157]
	v_fma_f64 v[154:155], v[156:157], v[160:161], v[154:155]
	v_div_scale_f64 v[156:157], null, v[154:155], v[154:155], 1.0
	v_rcp_f64_e32 v[158:159], v[156:157]
	v_fma_f64 v[162:163], -v[156:157], v[158:159], 1.0
	v_fma_f64 v[158:159], v[158:159], v[162:163], v[158:159]
	v_fma_f64 v[162:163], -v[156:157], v[158:159], 1.0
	v_fma_f64 v[158:159], v[158:159], v[162:163], v[158:159]
	v_div_scale_f64 v[162:163], vcc_lo, 1.0, v[154:155], 1.0
	v_mul_f64 v[164:165], v[162:163], v[158:159]
	v_fma_f64 v[156:157], -v[156:157], v[164:165], v[162:163]
	v_div_fmas_f64 v[156:157], v[156:157], v[158:159], v[164:165]
	v_div_fixup_f64 v[158:159], v[156:157], v[154:155], 1.0
	v_mul_f64 v[160:161], v[160:161], -v[158:159]
.LBB75_232:
	s_or_b32 exec_lo, exec_lo, s1
	ds_write2_b64 v1, v[158:159], v[160:161] offset1:1
.LBB75_233:
	s_or_b32 exec_lo, exec_lo, s2
	s_waitcnt lgkmcnt(0)
	s_barrier
	buffer_gl0_inv
	ds_read2_b64 v[154:157], v1 offset1:1
	s_mov_b32 s1, exec_lo
	s_waitcnt lgkmcnt(0)
	buffer_store_dword v154, off, s[16:19], 0 offset:520 ; 4-byte Folded Spill
	buffer_store_dword v155, off, s[16:19], 0 offset:524 ; 4-byte Folded Spill
	;; [unrolled: 1-line block ×4, first 2 shown]
	v_cmpx_lt_u32_e32 25, v0
	s_cbranch_execz .LBB75_235
; %bb.234:
	s_clause 0x3
	buffer_load_dword v154, off, s[16:19], 0 offset:520
	buffer_load_dword v155, off, s[16:19], 0 offset:524
	;; [unrolled: 1-line block ×4, first 2 shown]
	ds_read2_b64 v[160:163], v206 offset0:52 offset1:53
	s_waitcnt vmcnt(2)
	v_mul_f64 v[158:159], v[154:155], v[52:53]
	s_waitcnt vmcnt(0)
	v_mul_f64 v[52:53], v[156:157], v[52:53]
	v_fma_f64 v[158:159], v[156:157], v[50:51], v[158:159]
	v_fma_f64 v[50:51], v[154:155], v[50:51], -v[52:53]
	s_waitcnt lgkmcnt(0)
	v_mul_f64 v[52:53], v[162:163], v[158:159]
	v_fma_f64 v[52:53], v[160:161], v[50:51], -v[52:53]
	v_mul_f64 v[160:161], v[160:161], v[158:159]
	v_add_f64 v[46:47], v[46:47], -v[52:53]
	v_fma_f64 v[160:161], v[162:163], v[50:51], v[160:161]
	v_add_f64 v[48:49], v[48:49], -v[160:161]
	ds_read2_b64 v[160:163], v206 offset0:54 offset1:55
	s_waitcnt lgkmcnt(0)
	v_mul_f64 v[52:53], v[162:163], v[158:159]
	v_fma_f64 v[52:53], v[160:161], v[50:51], -v[52:53]
	v_mul_f64 v[160:161], v[160:161], v[158:159]
	v_add_f64 v[42:43], v[42:43], -v[52:53]
	v_fma_f64 v[160:161], v[162:163], v[50:51], v[160:161]
	v_add_f64 v[44:45], v[44:45], -v[160:161]
	ds_read2_b64 v[160:163], v206 offset0:56 offset1:57
	;; [unrolled: 8-line block ×11, first 2 shown]
	s_waitcnt lgkmcnt(0)
	v_mul_f64 v[52:53], v[162:163], v[158:159]
	v_fma_f64 v[52:53], v[160:161], v[50:51], -v[52:53]
	v_mul_f64 v[160:161], v[160:161], v[158:159]
	v_add_f64 v[2:3], v[2:3], -v[52:53]
	v_fma_f64 v[160:161], v[162:163], v[50:51], v[160:161]
	v_mov_b32_e32 v52, v158
	v_mov_b32_e32 v53, v159
	v_add_f64 v[4:5], v[4:5], -v[160:161]
.LBB75_235:
	s_or_b32 exec_lo, exec_lo, s1
	s_mov_b32 s2, exec_lo
	s_waitcnt_vscnt null, 0x0
	s_barrier
	buffer_gl0_inv
	v_cmpx_eq_u32_e32 26, v0
	s_cbranch_execz .LBB75_242
; %bb.236:
	ds_write2_b64 v1, v[46:47], v[48:49] offset1:1
	ds_write2_b64 v206, v[42:43], v[44:45] offset0:54 offset1:55
	ds_write2_b64 v206, v[38:39], v[40:41] offset0:56 offset1:57
	;; [unrolled: 1-line block ×11, first 2 shown]
	ds_read2_b64 v[158:161], v1 offset1:1
	s_waitcnt lgkmcnt(0)
	v_cmp_neq_f64_e32 vcc_lo, 0, v[158:159]
	v_cmp_neq_f64_e64 s1, 0, v[160:161]
	s_or_b32 s1, vcc_lo, s1
	s_and_b32 exec_lo, exec_lo, s1
	s_cbranch_execz .LBB75_242
; %bb.237:
	v_cmp_ngt_f64_e64 s1, |v[158:159]|, |v[160:161]|
                                        ; implicit-def: $vgpr162_vgpr163
	s_and_saveexec_b32 s3, s1
	s_xor_b32 s1, exec_lo, s3
                                        ; implicit-def: $vgpr164_vgpr165
	s_cbranch_execz .LBB75_239
; %bb.238:
	v_div_scale_f64 v[162:163], null, v[160:161], v[160:161], v[158:159]
	v_div_scale_f64 v[168:169], vcc_lo, v[158:159], v[160:161], v[158:159]
	v_rcp_f64_e32 v[164:165], v[162:163]
	v_fma_f64 v[166:167], -v[162:163], v[164:165], 1.0
	v_fma_f64 v[164:165], v[164:165], v[166:167], v[164:165]
	v_fma_f64 v[166:167], -v[162:163], v[164:165], 1.0
	v_fma_f64 v[164:165], v[164:165], v[166:167], v[164:165]
	v_mul_f64 v[166:167], v[168:169], v[164:165]
	v_fma_f64 v[162:163], -v[162:163], v[166:167], v[168:169]
	v_div_fmas_f64 v[162:163], v[162:163], v[164:165], v[166:167]
	v_div_fixup_f64 v[162:163], v[162:163], v[160:161], v[158:159]
	v_fma_f64 v[158:159], v[158:159], v[162:163], v[160:161]
	v_div_scale_f64 v[160:161], null, v[158:159], v[158:159], 1.0
	v_rcp_f64_e32 v[164:165], v[160:161]
	v_fma_f64 v[166:167], -v[160:161], v[164:165], 1.0
	v_fma_f64 v[164:165], v[164:165], v[166:167], v[164:165]
	v_fma_f64 v[166:167], -v[160:161], v[164:165], 1.0
	v_fma_f64 v[164:165], v[164:165], v[166:167], v[164:165]
	v_div_scale_f64 v[166:167], vcc_lo, 1.0, v[158:159], 1.0
	v_mul_f64 v[168:169], v[166:167], v[164:165]
	v_fma_f64 v[160:161], -v[160:161], v[168:169], v[166:167]
	v_div_fmas_f64 v[160:161], v[160:161], v[164:165], v[168:169]
	v_div_fixup_f64 v[164:165], v[160:161], v[158:159], 1.0
                                        ; implicit-def: $vgpr158_vgpr159
	v_mul_f64 v[162:163], v[162:163], v[164:165]
	v_xor_b32_e32 v165, 0x80000000, v165
.LBB75_239:
	s_andn2_saveexec_b32 s1, s1
	s_cbranch_execz .LBB75_241
; %bb.240:
	v_div_scale_f64 v[162:163], null, v[158:159], v[158:159], v[160:161]
	v_div_scale_f64 v[168:169], vcc_lo, v[160:161], v[158:159], v[160:161]
	v_rcp_f64_e32 v[164:165], v[162:163]
	v_fma_f64 v[166:167], -v[162:163], v[164:165], 1.0
	v_fma_f64 v[164:165], v[164:165], v[166:167], v[164:165]
	v_fma_f64 v[166:167], -v[162:163], v[164:165], 1.0
	v_fma_f64 v[164:165], v[164:165], v[166:167], v[164:165]
	v_mul_f64 v[166:167], v[168:169], v[164:165]
	v_fma_f64 v[162:163], -v[162:163], v[166:167], v[168:169]
	v_div_fmas_f64 v[162:163], v[162:163], v[164:165], v[166:167]
	v_div_fixup_f64 v[164:165], v[162:163], v[158:159], v[160:161]
	v_fma_f64 v[158:159], v[160:161], v[164:165], v[158:159]
	v_div_scale_f64 v[160:161], null, v[158:159], v[158:159], 1.0
	v_rcp_f64_e32 v[162:163], v[160:161]
	v_fma_f64 v[166:167], -v[160:161], v[162:163], 1.0
	v_fma_f64 v[162:163], v[162:163], v[166:167], v[162:163]
	v_fma_f64 v[166:167], -v[160:161], v[162:163], 1.0
	v_fma_f64 v[162:163], v[162:163], v[166:167], v[162:163]
	v_div_scale_f64 v[166:167], vcc_lo, 1.0, v[158:159], 1.0
	v_mul_f64 v[168:169], v[166:167], v[162:163]
	v_fma_f64 v[160:161], -v[160:161], v[168:169], v[166:167]
	v_div_fmas_f64 v[160:161], v[160:161], v[162:163], v[168:169]
	v_div_fixup_f64 v[162:163], v[160:161], v[158:159], 1.0
	v_mul_f64 v[164:165], v[164:165], -v[162:163]
.LBB75_241:
	s_or_b32 exec_lo, exec_lo, s1
	ds_write2_b64 v1, v[162:163], v[164:165] offset1:1
.LBB75_242:
	s_or_b32 exec_lo, exec_lo, s2
	s_waitcnt lgkmcnt(0)
	s_barrier
	buffer_gl0_inv
	ds_read2_b64 v[158:161], v1 offset1:1
	s_mov_b32 s1, exec_lo
	v_cmpx_lt_u32_e32 26, v0
	s_cbranch_execz .LBB75_244
; %bb.243:
	s_waitcnt lgkmcnt(0)
	v_mul_f64 v[162:163], v[158:159], v[48:49]
	v_mul_f64 v[48:49], v[160:161], v[48:49]
	ds_read2_b64 v[164:167], v206 offset0:54 offset1:55
	v_fma_f64 v[162:163], v[160:161], v[46:47], v[162:163]
	v_fma_f64 v[46:47], v[158:159], v[46:47], -v[48:49]
	s_waitcnt lgkmcnt(0)
	v_mul_f64 v[48:49], v[166:167], v[162:163]
	v_fma_f64 v[48:49], v[164:165], v[46:47], -v[48:49]
	v_mul_f64 v[164:165], v[164:165], v[162:163]
	v_add_f64 v[42:43], v[42:43], -v[48:49]
	v_fma_f64 v[164:165], v[166:167], v[46:47], v[164:165]
	v_add_f64 v[44:45], v[44:45], -v[164:165]
	ds_read2_b64 v[164:167], v206 offset0:56 offset1:57
	s_waitcnt lgkmcnt(0)
	v_mul_f64 v[48:49], v[166:167], v[162:163]
	v_fma_f64 v[48:49], v[164:165], v[46:47], -v[48:49]
	v_mul_f64 v[164:165], v[164:165], v[162:163]
	v_add_f64 v[38:39], v[38:39], -v[48:49]
	v_fma_f64 v[164:165], v[166:167], v[46:47], v[164:165]
	v_add_f64 v[40:41], v[40:41], -v[164:165]
	ds_read2_b64 v[164:167], v206 offset0:58 offset1:59
	;; [unrolled: 8-line block ×10, first 2 shown]
	s_waitcnt lgkmcnt(0)
	v_mul_f64 v[48:49], v[166:167], v[162:163]
	v_fma_f64 v[48:49], v[164:165], v[46:47], -v[48:49]
	v_mul_f64 v[164:165], v[164:165], v[162:163]
	v_add_f64 v[2:3], v[2:3], -v[48:49]
	v_fma_f64 v[164:165], v[166:167], v[46:47], v[164:165]
	v_mov_b32_e32 v48, v162
	v_mov_b32_e32 v49, v163
	v_add_f64 v[4:5], v[4:5], -v[164:165]
.LBB75_244:
	s_or_b32 exec_lo, exec_lo, s1
	s_mov_b32 s2, exec_lo
	s_waitcnt lgkmcnt(0)
	s_barrier
	buffer_gl0_inv
	v_cmpx_eq_u32_e32 27, v0
	s_cbranch_execz .LBB75_251
; %bb.245:
	ds_write2_b64 v1, v[42:43], v[44:45] offset1:1
	ds_write2_b64 v206, v[38:39], v[40:41] offset0:56 offset1:57
	ds_write2_b64 v206, v[34:35], v[36:37] offset0:58 offset1:59
	;; [unrolled: 1-line block ×10, first 2 shown]
	ds_read2_b64 v[162:165], v1 offset1:1
	s_waitcnt lgkmcnt(0)
	v_cmp_neq_f64_e32 vcc_lo, 0, v[162:163]
	v_cmp_neq_f64_e64 s1, 0, v[164:165]
	s_or_b32 s1, vcc_lo, s1
	s_and_b32 exec_lo, exec_lo, s1
	s_cbranch_execz .LBB75_251
; %bb.246:
	v_cmp_ngt_f64_e64 s1, |v[162:163]|, |v[164:165]|
                                        ; implicit-def: $vgpr166_vgpr167
	s_and_saveexec_b32 s3, s1
	s_xor_b32 s1, exec_lo, s3
                                        ; implicit-def: $vgpr168_vgpr169
	s_cbranch_execz .LBB75_248
; %bb.247:
	v_div_scale_f64 v[166:167], null, v[164:165], v[164:165], v[162:163]
	v_div_scale_f64 v[172:173], vcc_lo, v[162:163], v[164:165], v[162:163]
	v_rcp_f64_e32 v[168:169], v[166:167]
	v_fma_f64 v[170:171], -v[166:167], v[168:169], 1.0
	v_fma_f64 v[168:169], v[168:169], v[170:171], v[168:169]
	v_fma_f64 v[170:171], -v[166:167], v[168:169], 1.0
	v_fma_f64 v[168:169], v[168:169], v[170:171], v[168:169]
	v_mul_f64 v[170:171], v[172:173], v[168:169]
	v_fma_f64 v[166:167], -v[166:167], v[170:171], v[172:173]
	v_div_fmas_f64 v[166:167], v[166:167], v[168:169], v[170:171]
	v_div_fixup_f64 v[166:167], v[166:167], v[164:165], v[162:163]
	v_fma_f64 v[162:163], v[162:163], v[166:167], v[164:165]
	v_div_scale_f64 v[164:165], null, v[162:163], v[162:163], 1.0
	v_rcp_f64_e32 v[168:169], v[164:165]
	v_fma_f64 v[170:171], -v[164:165], v[168:169], 1.0
	v_fma_f64 v[168:169], v[168:169], v[170:171], v[168:169]
	v_fma_f64 v[170:171], -v[164:165], v[168:169], 1.0
	v_fma_f64 v[168:169], v[168:169], v[170:171], v[168:169]
	v_div_scale_f64 v[170:171], vcc_lo, 1.0, v[162:163], 1.0
	v_mul_f64 v[172:173], v[170:171], v[168:169]
	v_fma_f64 v[164:165], -v[164:165], v[172:173], v[170:171]
	v_div_fmas_f64 v[164:165], v[164:165], v[168:169], v[172:173]
	v_div_fixup_f64 v[168:169], v[164:165], v[162:163], 1.0
                                        ; implicit-def: $vgpr162_vgpr163
	v_mul_f64 v[166:167], v[166:167], v[168:169]
	v_xor_b32_e32 v169, 0x80000000, v169
.LBB75_248:
	s_andn2_saveexec_b32 s1, s1
	s_cbranch_execz .LBB75_250
; %bb.249:
	v_div_scale_f64 v[166:167], null, v[162:163], v[162:163], v[164:165]
	v_div_scale_f64 v[172:173], vcc_lo, v[164:165], v[162:163], v[164:165]
	v_rcp_f64_e32 v[168:169], v[166:167]
	v_fma_f64 v[170:171], -v[166:167], v[168:169], 1.0
	v_fma_f64 v[168:169], v[168:169], v[170:171], v[168:169]
	v_fma_f64 v[170:171], -v[166:167], v[168:169], 1.0
	v_fma_f64 v[168:169], v[168:169], v[170:171], v[168:169]
	v_mul_f64 v[170:171], v[172:173], v[168:169]
	v_fma_f64 v[166:167], -v[166:167], v[170:171], v[172:173]
	v_div_fmas_f64 v[166:167], v[166:167], v[168:169], v[170:171]
	v_div_fixup_f64 v[168:169], v[166:167], v[162:163], v[164:165]
	v_fma_f64 v[162:163], v[164:165], v[168:169], v[162:163]
	v_div_scale_f64 v[164:165], null, v[162:163], v[162:163], 1.0
	v_rcp_f64_e32 v[166:167], v[164:165]
	v_fma_f64 v[170:171], -v[164:165], v[166:167], 1.0
	v_fma_f64 v[166:167], v[166:167], v[170:171], v[166:167]
	v_fma_f64 v[170:171], -v[164:165], v[166:167], 1.0
	v_fma_f64 v[166:167], v[166:167], v[170:171], v[166:167]
	v_div_scale_f64 v[170:171], vcc_lo, 1.0, v[162:163], 1.0
	v_mul_f64 v[172:173], v[170:171], v[166:167]
	v_fma_f64 v[164:165], -v[164:165], v[172:173], v[170:171]
	v_div_fmas_f64 v[164:165], v[164:165], v[166:167], v[172:173]
	v_div_fixup_f64 v[166:167], v[164:165], v[162:163], 1.0
	v_mul_f64 v[168:169], v[168:169], -v[166:167]
.LBB75_250:
	s_or_b32 exec_lo, exec_lo, s1
	ds_write2_b64 v1, v[166:167], v[168:169] offset1:1
.LBB75_251:
	s_or_b32 exec_lo, exec_lo, s2
	s_waitcnt lgkmcnt(0)
	s_barrier
	buffer_gl0_inv
	ds_read2_b64 v[162:165], v1 offset1:1
	s_mov_b32 s1, exec_lo
	v_cmpx_lt_u32_e32 27, v0
	s_cbranch_execz .LBB75_253
; %bb.252:
	s_waitcnt lgkmcnt(0)
	v_mul_f64 v[166:167], v[162:163], v[44:45]
	v_mul_f64 v[44:45], v[164:165], v[44:45]
	v_fma_f64 v[170:171], v[164:165], v[42:43], v[166:167]
	ds_read2_b64 v[166:169], v206 offset0:56 offset1:57
	v_fma_f64 v[42:43], v[162:163], v[42:43], -v[44:45]
	s_waitcnt lgkmcnt(0)
	v_mul_f64 v[44:45], v[168:169], v[170:171]
	v_fma_f64 v[44:45], v[166:167], v[42:43], -v[44:45]
	v_mul_f64 v[166:167], v[166:167], v[170:171]
	v_add_f64 v[38:39], v[38:39], -v[44:45]
	v_fma_f64 v[166:167], v[168:169], v[42:43], v[166:167]
	v_add_f64 v[40:41], v[40:41], -v[166:167]
	ds_read2_b64 v[166:169], v206 offset0:58 offset1:59
	s_waitcnt lgkmcnt(0)
	v_mul_f64 v[44:45], v[168:169], v[170:171]
	v_fma_f64 v[44:45], v[166:167], v[42:43], -v[44:45]
	v_mul_f64 v[166:167], v[166:167], v[170:171]
	v_add_f64 v[34:35], v[34:35], -v[44:45]
	v_fma_f64 v[166:167], v[168:169], v[42:43], v[166:167]
	v_add_f64 v[36:37], v[36:37], -v[166:167]
	ds_read2_b64 v[166:169], v206 offset0:60 offset1:61
	;; [unrolled: 8-line block ×9, first 2 shown]
	s_waitcnt lgkmcnt(0)
	v_mul_f64 v[44:45], v[168:169], v[170:171]
	v_fma_f64 v[44:45], v[166:167], v[42:43], -v[44:45]
	v_mul_f64 v[166:167], v[166:167], v[170:171]
	v_add_f64 v[2:3], v[2:3], -v[44:45]
	v_fma_f64 v[166:167], v[168:169], v[42:43], v[166:167]
	v_mov_b32_e32 v44, v170
	v_mov_b32_e32 v45, v171
	v_add_f64 v[4:5], v[4:5], -v[166:167]
.LBB75_253:
	s_or_b32 exec_lo, exec_lo, s1
	s_mov_b32 s2, exec_lo
	s_waitcnt lgkmcnt(0)
	s_barrier
	buffer_gl0_inv
	v_cmpx_eq_u32_e32 28, v0
	s_cbranch_execz .LBB75_260
; %bb.254:
	ds_write2_b64 v1, v[38:39], v[40:41] offset1:1
	ds_write2_b64 v206, v[34:35], v[36:37] offset0:58 offset1:59
	ds_write2_b64 v206, v[30:31], v[32:33] offset0:60 offset1:61
	;; [unrolled: 1-line block ×9, first 2 shown]
	ds_read2_b64 v[166:169], v1 offset1:1
	s_waitcnt lgkmcnt(0)
	v_cmp_neq_f64_e32 vcc_lo, 0, v[166:167]
	v_cmp_neq_f64_e64 s1, 0, v[168:169]
	s_or_b32 s1, vcc_lo, s1
	s_and_b32 exec_lo, exec_lo, s1
	s_cbranch_execz .LBB75_260
; %bb.255:
	v_cmp_ngt_f64_e64 s1, |v[166:167]|, |v[168:169]|
                                        ; implicit-def: $vgpr170_vgpr171
	s_and_saveexec_b32 s3, s1
	s_xor_b32 s1, exec_lo, s3
                                        ; implicit-def: $vgpr172_vgpr173
	s_cbranch_execz .LBB75_257
; %bb.256:
	v_div_scale_f64 v[170:171], null, v[168:169], v[168:169], v[166:167]
	v_div_scale_f64 v[176:177], vcc_lo, v[166:167], v[168:169], v[166:167]
	v_rcp_f64_e32 v[172:173], v[170:171]
	v_fma_f64 v[174:175], -v[170:171], v[172:173], 1.0
	v_fma_f64 v[172:173], v[172:173], v[174:175], v[172:173]
	v_fma_f64 v[174:175], -v[170:171], v[172:173], 1.0
	v_fma_f64 v[172:173], v[172:173], v[174:175], v[172:173]
	v_mul_f64 v[174:175], v[176:177], v[172:173]
	v_fma_f64 v[170:171], -v[170:171], v[174:175], v[176:177]
	v_div_fmas_f64 v[170:171], v[170:171], v[172:173], v[174:175]
	v_div_fixup_f64 v[170:171], v[170:171], v[168:169], v[166:167]
	v_fma_f64 v[166:167], v[166:167], v[170:171], v[168:169]
	v_div_scale_f64 v[168:169], null, v[166:167], v[166:167], 1.0
	v_rcp_f64_e32 v[172:173], v[168:169]
	v_fma_f64 v[174:175], -v[168:169], v[172:173], 1.0
	v_fma_f64 v[172:173], v[172:173], v[174:175], v[172:173]
	v_fma_f64 v[174:175], -v[168:169], v[172:173], 1.0
	v_fma_f64 v[172:173], v[172:173], v[174:175], v[172:173]
	v_div_scale_f64 v[174:175], vcc_lo, 1.0, v[166:167], 1.0
	v_mul_f64 v[176:177], v[174:175], v[172:173]
	v_fma_f64 v[168:169], -v[168:169], v[176:177], v[174:175]
	v_div_fmas_f64 v[168:169], v[168:169], v[172:173], v[176:177]
	v_div_fixup_f64 v[172:173], v[168:169], v[166:167], 1.0
                                        ; implicit-def: $vgpr166_vgpr167
	v_mul_f64 v[170:171], v[170:171], v[172:173]
	v_xor_b32_e32 v173, 0x80000000, v173
.LBB75_257:
	s_andn2_saveexec_b32 s1, s1
	s_cbranch_execz .LBB75_259
; %bb.258:
	v_div_scale_f64 v[170:171], null, v[166:167], v[166:167], v[168:169]
	v_div_scale_f64 v[176:177], vcc_lo, v[168:169], v[166:167], v[168:169]
	v_rcp_f64_e32 v[172:173], v[170:171]
	v_fma_f64 v[174:175], -v[170:171], v[172:173], 1.0
	v_fma_f64 v[172:173], v[172:173], v[174:175], v[172:173]
	v_fma_f64 v[174:175], -v[170:171], v[172:173], 1.0
	v_fma_f64 v[172:173], v[172:173], v[174:175], v[172:173]
	v_mul_f64 v[174:175], v[176:177], v[172:173]
	v_fma_f64 v[170:171], -v[170:171], v[174:175], v[176:177]
	v_div_fmas_f64 v[170:171], v[170:171], v[172:173], v[174:175]
	v_div_fixup_f64 v[172:173], v[170:171], v[166:167], v[168:169]
	v_fma_f64 v[166:167], v[168:169], v[172:173], v[166:167]
	v_div_scale_f64 v[168:169], null, v[166:167], v[166:167], 1.0
	v_rcp_f64_e32 v[170:171], v[168:169]
	v_fma_f64 v[174:175], -v[168:169], v[170:171], 1.0
	v_fma_f64 v[170:171], v[170:171], v[174:175], v[170:171]
	v_fma_f64 v[174:175], -v[168:169], v[170:171], 1.0
	v_fma_f64 v[170:171], v[170:171], v[174:175], v[170:171]
	v_div_scale_f64 v[174:175], vcc_lo, 1.0, v[166:167], 1.0
	v_mul_f64 v[176:177], v[174:175], v[170:171]
	v_fma_f64 v[168:169], -v[168:169], v[176:177], v[174:175]
	v_div_fmas_f64 v[168:169], v[168:169], v[170:171], v[176:177]
	v_div_fixup_f64 v[170:171], v[168:169], v[166:167], 1.0
	v_mul_f64 v[172:173], v[172:173], -v[170:171]
.LBB75_259:
	s_or_b32 exec_lo, exec_lo, s1
	ds_write2_b64 v1, v[170:171], v[172:173] offset1:1
.LBB75_260:
	s_or_b32 exec_lo, exec_lo, s2
	s_waitcnt lgkmcnt(0)
	s_barrier
	buffer_gl0_inv
	ds_read2_b64 v[166:169], v1 offset1:1
	s_mov_b32 s1, exec_lo
	v_cmpx_lt_u32_e32 28, v0
	s_cbranch_execz .LBB75_262
; %bb.261:
	s_waitcnt lgkmcnt(0)
	v_mul_f64 v[170:171], v[166:167], v[40:41]
	v_mul_f64 v[40:41], v[168:169], v[40:41]
	v_fma_f64 v[174:175], v[168:169], v[38:39], v[170:171]
	ds_read2_b64 v[170:173], v206 offset0:58 offset1:59
	v_fma_f64 v[38:39], v[166:167], v[38:39], -v[40:41]
	s_waitcnt lgkmcnt(0)
	v_mul_f64 v[40:41], v[172:173], v[174:175]
	v_fma_f64 v[40:41], v[170:171], v[38:39], -v[40:41]
	v_mul_f64 v[170:171], v[170:171], v[174:175]
	v_add_f64 v[34:35], v[34:35], -v[40:41]
	v_fma_f64 v[170:171], v[172:173], v[38:39], v[170:171]
	v_add_f64 v[36:37], v[36:37], -v[170:171]
	ds_read2_b64 v[170:173], v206 offset0:60 offset1:61
	s_waitcnt lgkmcnt(0)
	v_mul_f64 v[40:41], v[172:173], v[174:175]
	v_fma_f64 v[40:41], v[170:171], v[38:39], -v[40:41]
	v_mul_f64 v[170:171], v[170:171], v[174:175]
	v_add_f64 v[30:31], v[30:31], -v[40:41]
	v_fma_f64 v[170:171], v[172:173], v[38:39], v[170:171]
	v_add_f64 v[32:33], v[32:33], -v[170:171]
	ds_read2_b64 v[170:173], v206 offset0:62 offset1:63
	;; [unrolled: 8-line block ×8, first 2 shown]
	s_waitcnt lgkmcnt(0)
	v_mul_f64 v[40:41], v[172:173], v[174:175]
	v_fma_f64 v[40:41], v[170:171], v[38:39], -v[40:41]
	v_mul_f64 v[170:171], v[170:171], v[174:175]
	v_add_f64 v[2:3], v[2:3], -v[40:41]
	v_fma_f64 v[170:171], v[172:173], v[38:39], v[170:171]
	v_mov_b32_e32 v40, v174
	v_mov_b32_e32 v41, v175
	v_add_f64 v[4:5], v[4:5], -v[170:171]
.LBB75_262:
	s_or_b32 exec_lo, exec_lo, s1
	s_mov_b32 s2, exec_lo
	s_waitcnt lgkmcnt(0)
	s_barrier
	buffer_gl0_inv
	v_cmpx_eq_u32_e32 29, v0
	s_cbranch_execz .LBB75_269
; %bb.263:
	ds_write2_b64 v1, v[34:35], v[36:37] offset1:1
	ds_write2_b64 v206, v[30:31], v[32:33] offset0:60 offset1:61
	ds_write2_b64 v206, v[26:27], v[28:29] offset0:62 offset1:63
	;; [unrolled: 1-line block ×8, first 2 shown]
	ds_read2_b64 v[170:173], v1 offset1:1
	s_waitcnt lgkmcnt(0)
	v_cmp_neq_f64_e32 vcc_lo, 0, v[170:171]
	v_cmp_neq_f64_e64 s1, 0, v[172:173]
	s_or_b32 s1, vcc_lo, s1
	s_and_b32 exec_lo, exec_lo, s1
	s_cbranch_execz .LBB75_269
; %bb.264:
	v_cmp_ngt_f64_e64 s1, |v[170:171]|, |v[172:173]|
                                        ; implicit-def: $vgpr174_vgpr175
	s_and_saveexec_b32 s3, s1
	s_xor_b32 s1, exec_lo, s3
                                        ; implicit-def: $vgpr176_vgpr177
	s_cbranch_execz .LBB75_266
; %bb.265:
	v_div_scale_f64 v[174:175], null, v[172:173], v[172:173], v[170:171]
	v_div_scale_f64 v[180:181], vcc_lo, v[170:171], v[172:173], v[170:171]
	v_rcp_f64_e32 v[176:177], v[174:175]
	v_fma_f64 v[178:179], -v[174:175], v[176:177], 1.0
	v_fma_f64 v[176:177], v[176:177], v[178:179], v[176:177]
	v_fma_f64 v[178:179], -v[174:175], v[176:177], 1.0
	v_fma_f64 v[176:177], v[176:177], v[178:179], v[176:177]
	v_mul_f64 v[178:179], v[180:181], v[176:177]
	v_fma_f64 v[174:175], -v[174:175], v[178:179], v[180:181]
	v_div_fmas_f64 v[174:175], v[174:175], v[176:177], v[178:179]
	v_div_fixup_f64 v[174:175], v[174:175], v[172:173], v[170:171]
	v_fma_f64 v[170:171], v[170:171], v[174:175], v[172:173]
	v_div_scale_f64 v[172:173], null, v[170:171], v[170:171], 1.0
	v_rcp_f64_e32 v[176:177], v[172:173]
	v_fma_f64 v[178:179], -v[172:173], v[176:177], 1.0
	v_fma_f64 v[176:177], v[176:177], v[178:179], v[176:177]
	v_fma_f64 v[178:179], -v[172:173], v[176:177], 1.0
	v_fma_f64 v[176:177], v[176:177], v[178:179], v[176:177]
	v_div_scale_f64 v[178:179], vcc_lo, 1.0, v[170:171], 1.0
	v_mul_f64 v[180:181], v[178:179], v[176:177]
	v_fma_f64 v[172:173], -v[172:173], v[180:181], v[178:179]
	v_div_fmas_f64 v[172:173], v[172:173], v[176:177], v[180:181]
	v_div_fixup_f64 v[176:177], v[172:173], v[170:171], 1.0
                                        ; implicit-def: $vgpr170_vgpr171
	v_mul_f64 v[174:175], v[174:175], v[176:177]
	v_xor_b32_e32 v177, 0x80000000, v177
.LBB75_266:
	s_andn2_saveexec_b32 s1, s1
	s_cbranch_execz .LBB75_268
; %bb.267:
	v_div_scale_f64 v[174:175], null, v[170:171], v[170:171], v[172:173]
	v_div_scale_f64 v[180:181], vcc_lo, v[172:173], v[170:171], v[172:173]
	v_rcp_f64_e32 v[176:177], v[174:175]
	v_fma_f64 v[178:179], -v[174:175], v[176:177], 1.0
	v_fma_f64 v[176:177], v[176:177], v[178:179], v[176:177]
	v_fma_f64 v[178:179], -v[174:175], v[176:177], 1.0
	v_fma_f64 v[176:177], v[176:177], v[178:179], v[176:177]
	v_mul_f64 v[178:179], v[180:181], v[176:177]
	v_fma_f64 v[174:175], -v[174:175], v[178:179], v[180:181]
	v_div_fmas_f64 v[174:175], v[174:175], v[176:177], v[178:179]
	v_div_fixup_f64 v[176:177], v[174:175], v[170:171], v[172:173]
	v_fma_f64 v[170:171], v[172:173], v[176:177], v[170:171]
	v_div_scale_f64 v[172:173], null, v[170:171], v[170:171], 1.0
	v_rcp_f64_e32 v[174:175], v[172:173]
	v_fma_f64 v[178:179], -v[172:173], v[174:175], 1.0
	v_fma_f64 v[174:175], v[174:175], v[178:179], v[174:175]
	v_fma_f64 v[178:179], -v[172:173], v[174:175], 1.0
	v_fma_f64 v[174:175], v[174:175], v[178:179], v[174:175]
	v_div_scale_f64 v[178:179], vcc_lo, 1.0, v[170:171], 1.0
	v_mul_f64 v[180:181], v[178:179], v[174:175]
	v_fma_f64 v[172:173], -v[172:173], v[180:181], v[178:179]
	v_div_fmas_f64 v[172:173], v[172:173], v[174:175], v[180:181]
	v_div_fixup_f64 v[174:175], v[172:173], v[170:171], 1.0
	v_mul_f64 v[176:177], v[176:177], -v[174:175]
.LBB75_268:
	s_or_b32 exec_lo, exec_lo, s1
	ds_write2_b64 v1, v[174:175], v[176:177] offset1:1
.LBB75_269:
	s_or_b32 exec_lo, exec_lo, s2
	s_waitcnt lgkmcnt(0)
	s_barrier
	buffer_gl0_inv
	ds_read2_b64 v[170:173], v1 offset1:1
	s_mov_b32 s1, exec_lo
	v_cmpx_lt_u32_e32 29, v0
	s_cbranch_execz .LBB75_271
; %bb.270:
	s_waitcnt lgkmcnt(0)
	v_mul_f64 v[174:175], v[170:171], v[36:37]
	v_mul_f64 v[36:37], v[172:173], v[36:37]
	v_fma_f64 v[178:179], v[172:173], v[34:35], v[174:175]
	ds_read2_b64 v[174:177], v206 offset0:60 offset1:61
	v_fma_f64 v[34:35], v[170:171], v[34:35], -v[36:37]
	s_waitcnt lgkmcnt(0)
	v_mul_f64 v[36:37], v[176:177], v[178:179]
	v_fma_f64 v[36:37], v[174:175], v[34:35], -v[36:37]
	v_mul_f64 v[174:175], v[174:175], v[178:179]
	v_add_f64 v[30:31], v[30:31], -v[36:37]
	v_fma_f64 v[174:175], v[176:177], v[34:35], v[174:175]
	v_add_f64 v[32:33], v[32:33], -v[174:175]
	ds_read2_b64 v[174:177], v206 offset0:62 offset1:63
	s_waitcnt lgkmcnt(0)
	v_mul_f64 v[36:37], v[176:177], v[178:179]
	v_fma_f64 v[36:37], v[174:175], v[34:35], -v[36:37]
	v_mul_f64 v[174:175], v[174:175], v[178:179]
	v_add_f64 v[26:27], v[26:27], -v[36:37]
	v_fma_f64 v[174:175], v[176:177], v[34:35], v[174:175]
	v_add_f64 v[28:29], v[28:29], -v[174:175]
	ds_read2_b64 v[174:177], v206 offset0:64 offset1:65
	;; [unrolled: 8-line block ×7, first 2 shown]
	s_waitcnt lgkmcnt(0)
	v_mul_f64 v[36:37], v[176:177], v[178:179]
	v_fma_f64 v[36:37], v[174:175], v[34:35], -v[36:37]
	v_mul_f64 v[174:175], v[174:175], v[178:179]
	v_add_f64 v[2:3], v[2:3], -v[36:37]
	v_fma_f64 v[174:175], v[176:177], v[34:35], v[174:175]
	v_mov_b32_e32 v36, v178
	v_mov_b32_e32 v37, v179
	v_add_f64 v[4:5], v[4:5], -v[174:175]
.LBB75_271:
	s_or_b32 exec_lo, exec_lo, s1
	s_mov_b32 s2, exec_lo
	s_waitcnt lgkmcnt(0)
	s_barrier
	buffer_gl0_inv
	v_cmpx_eq_u32_e32 30, v0
	s_cbranch_execz .LBB75_278
; %bb.272:
	ds_write2_b64 v1, v[30:31], v[32:33] offset1:1
	ds_write2_b64 v206, v[26:27], v[28:29] offset0:62 offset1:63
	ds_write2_b64 v206, v[22:23], v[24:25] offset0:64 offset1:65
	;; [unrolled: 1-line block ×7, first 2 shown]
	ds_read2_b64 v[174:177], v1 offset1:1
	s_waitcnt lgkmcnt(0)
	v_cmp_neq_f64_e32 vcc_lo, 0, v[174:175]
	v_cmp_neq_f64_e64 s1, 0, v[176:177]
	s_or_b32 s1, vcc_lo, s1
	s_and_b32 exec_lo, exec_lo, s1
	s_cbranch_execz .LBB75_278
; %bb.273:
	v_cmp_ngt_f64_e64 s1, |v[174:175]|, |v[176:177]|
                                        ; implicit-def: $vgpr178_vgpr179
	s_and_saveexec_b32 s3, s1
	s_xor_b32 s1, exec_lo, s3
                                        ; implicit-def: $vgpr180_vgpr181
	s_cbranch_execz .LBB75_275
; %bb.274:
	v_div_scale_f64 v[178:179], null, v[176:177], v[176:177], v[174:175]
	v_div_scale_f64 v[184:185], vcc_lo, v[174:175], v[176:177], v[174:175]
	v_rcp_f64_e32 v[180:181], v[178:179]
	v_fma_f64 v[182:183], -v[178:179], v[180:181], 1.0
	v_fma_f64 v[180:181], v[180:181], v[182:183], v[180:181]
	v_fma_f64 v[182:183], -v[178:179], v[180:181], 1.0
	v_fma_f64 v[180:181], v[180:181], v[182:183], v[180:181]
	v_mul_f64 v[182:183], v[184:185], v[180:181]
	v_fma_f64 v[178:179], -v[178:179], v[182:183], v[184:185]
	v_div_fmas_f64 v[178:179], v[178:179], v[180:181], v[182:183]
	v_div_fixup_f64 v[178:179], v[178:179], v[176:177], v[174:175]
	v_fma_f64 v[174:175], v[174:175], v[178:179], v[176:177]
	v_div_scale_f64 v[176:177], null, v[174:175], v[174:175], 1.0
	v_rcp_f64_e32 v[180:181], v[176:177]
	v_fma_f64 v[182:183], -v[176:177], v[180:181], 1.0
	v_fma_f64 v[180:181], v[180:181], v[182:183], v[180:181]
	v_fma_f64 v[182:183], -v[176:177], v[180:181], 1.0
	v_fma_f64 v[180:181], v[180:181], v[182:183], v[180:181]
	v_div_scale_f64 v[182:183], vcc_lo, 1.0, v[174:175], 1.0
	v_mul_f64 v[184:185], v[182:183], v[180:181]
	v_fma_f64 v[176:177], -v[176:177], v[184:185], v[182:183]
	v_div_fmas_f64 v[176:177], v[176:177], v[180:181], v[184:185]
	v_div_fixup_f64 v[180:181], v[176:177], v[174:175], 1.0
                                        ; implicit-def: $vgpr174_vgpr175
	v_mul_f64 v[178:179], v[178:179], v[180:181]
	v_xor_b32_e32 v181, 0x80000000, v181
.LBB75_275:
	s_andn2_saveexec_b32 s1, s1
	s_cbranch_execz .LBB75_277
; %bb.276:
	v_div_scale_f64 v[178:179], null, v[174:175], v[174:175], v[176:177]
	v_div_scale_f64 v[184:185], vcc_lo, v[176:177], v[174:175], v[176:177]
	v_rcp_f64_e32 v[180:181], v[178:179]
	v_fma_f64 v[182:183], -v[178:179], v[180:181], 1.0
	v_fma_f64 v[180:181], v[180:181], v[182:183], v[180:181]
	v_fma_f64 v[182:183], -v[178:179], v[180:181], 1.0
	v_fma_f64 v[180:181], v[180:181], v[182:183], v[180:181]
	v_mul_f64 v[182:183], v[184:185], v[180:181]
	v_fma_f64 v[178:179], -v[178:179], v[182:183], v[184:185]
	v_div_fmas_f64 v[178:179], v[178:179], v[180:181], v[182:183]
	v_div_fixup_f64 v[180:181], v[178:179], v[174:175], v[176:177]
	v_fma_f64 v[174:175], v[176:177], v[180:181], v[174:175]
	v_div_scale_f64 v[176:177], null, v[174:175], v[174:175], 1.0
	v_rcp_f64_e32 v[178:179], v[176:177]
	v_fma_f64 v[182:183], -v[176:177], v[178:179], 1.0
	v_fma_f64 v[178:179], v[178:179], v[182:183], v[178:179]
	v_fma_f64 v[182:183], -v[176:177], v[178:179], 1.0
	v_fma_f64 v[178:179], v[178:179], v[182:183], v[178:179]
	v_div_scale_f64 v[182:183], vcc_lo, 1.0, v[174:175], 1.0
	v_mul_f64 v[184:185], v[182:183], v[178:179]
	v_fma_f64 v[176:177], -v[176:177], v[184:185], v[182:183]
	v_div_fmas_f64 v[176:177], v[176:177], v[178:179], v[184:185]
	v_div_fixup_f64 v[178:179], v[176:177], v[174:175], 1.0
	v_mul_f64 v[180:181], v[180:181], -v[178:179]
.LBB75_277:
	s_or_b32 exec_lo, exec_lo, s1
	ds_write2_b64 v1, v[178:179], v[180:181] offset1:1
.LBB75_278:
	s_or_b32 exec_lo, exec_lo, s2
	s_waitcnt lgkmcnt(0)
	s_barrier
	buffer_gl0_inv
	ds_read2_b64 v[174:177], v1 offset1:1
	s_mov_b32 s1, exec_lo
	v_cmpx_lt_u32_e32 30, v0
	s_cbranch_execz .LBB75_280
; %bb.279:
	s_waitcnt lgkmcnt(0)
	v_mul_f64 v[178:179], v[174:175], v[32:33]
	v_mul_f64 v[32:33], v[176:177], v[32:33]
	v_fma_f64 v[182:183], v[176:177], v[30:31], v[178:179]
	ds_read2_b64 v[178:181], v206 offset0:62 offset1:63
	v_fma_f64 v[30:31], v[174:175], v[30:31], -v[32:33]
	s_waitcnt lgkmcnt(0)
	v_mul_f64 v[32:33], v[180:181], v[182:183]
	v_fma_f64 v[32:33], v[178:179], v[30:31], -v[32:33]
	v_mul_f64 v[178:179], v[178:179], v[182:183]
	v_add_f64 v[26:27], v[26:27], -v[32:33]
	v_fma_f64 v[178:179], v[180:181], v[30:31], v[178:179]
	v_add_f64 v[28:29], v[28:29], -v[178:179]
	ds_read2_b64 v[178:181], v206 offset0:64 offset1:65
	s_waitcnt lgkmcnt(0)
	v_mul_f64 v[32:33], v[180:181], v[182:183]
	v_fma_f64 v[32:33], v[178:179], v[30:31], -v[32:33]
	v_mul_f64 v[178:179], v[178:179], v[182:183]
	v_add_f64 v[22:23], v[22:23], -v[32:33]
	v_fma_f64 v[178:179], v[180:181], v[30:31], v[178:179]
	v_add_f64 v[24:25], v[24:25], -v[178:179]
	ds_read2_b64 v[178:181], v206 offset0:66 offset1:67
	;; [unrolled: 8-line block ×6, first 2 shown]
	s_waitcnt lgkmcnt(0)
	v_mul_f64 v[32:33], v[180:181], v[182:183]
	v_fma_f64 v[32:33], v[178:179], v[30:31], -v[32:33]
	v_mul_f64 v[178:179], v[178:179], v[182:183]
	v_add_f64 v[2:3], v[2:3], -v[32:33]
	v_fma_f64 v[178:179], v[180:181], v[30:31], v[178:179]
	v_mov_b32_e32 v32, v182
	v_mov_b32_e32 v33, v183
	v_add_f64 v[4:5], v[4:5], -v[178:179]
.LBB75_280:
	s_or_b32 exec_lo, exec_lo, s1
	s_mov_b32 s2, exec_lo
	s_waitcnt lgkmcnt(0)
	s_barrier
	buffer_gl0_inv
	v_cmpx_eq_u32_e32 31, v0
	s_cbranch_execz .LBB75_287
; %bb.281:
	ds_write2_b64 v1, v[26:27], v[28:29] offset1:1
	ds_write2_b64 v206, v[22:23], v[24:25] offset0:64 offset1:65
	ds_write2_b64 v206, v[18:19], v[20:21] offset0:66 offset1:67
	;; [unrolled: 1-line block ×6, first 2 shown]
	ds_read2_b64 v[178:181], v1 offset1:1
	s_waitcnt lgkmcnt(0)
	v_cmp_neq_f64_e32 vcc_lo, 0, v[178:179]
	v_cmp_neq_f64_e64 s1, 0, v[180:181]
	s_or_b32 s1, vcc_lo, s1
	s_and_b32 exec_lo, exec_lo, s1
	s_cbranch_execz .LBB75_287
; %bb.282:
	v_cmp_ngt_f64_e64 s1, |v[178:179]|, |v[180:181]|
                                        ; implicit-def: $vgpr182_vgpr183
	s_and_saveexec_b32 s3, s1
	s_xor_b32 s1, exec_lo, s3
                                        ; implicit-def: $vgpr184_vgpr185
	s_cbranch_execz .LBB75_284
; %bb.283:
	v_div_scale_f64 v[182:183], null, v[180:181], v[180:181], v[178:179]
	v_div_scale_f64 v[188:189], vcc_lo, v[178:179], v[180:181], v[178:179]
	v_rcp_f64_e32 v[184:185], v[182:183]
	v_fma_f64 v[186:187], -v[182:183], v[184:185], 1.0
	v_fma_f64 v[184:185], v[184:185], v[186:187], v[184:185]
	v_fma_f64 v[186:187], -v[182:183], v[184:185], 1.0
	v_fma_f64 v[184:185], v[184:185], v[186:187], v[184:185]
	v_mul_f64 v[186:187], v[188:189], v[184:185]
	v_fma_f64 v[182:183], -v[182:183], v[186:187], v[188:189]
	v_div_fmas_f64 v[182:183], v[182:183], v[184:185], v[186:187]
	v_div_fixup_f64 v[182:183], v[182:183], v[180:181], v[178:179]
	v_fma_f64 v[178:179], v[178:179], v[182:183], v[180:181]
	v_div_scale_f64 v[180:181], null, v[178:179], v[178:179], 1.0
	v_rcp_f64_e32 v[184:185], v[180:181]
	v_fma_f64 v[186:187], -v[180:181], v[184:185], 1.0
	v_fma_f64 v[184:185], v[184:185], v[186:187], v[184:185]
	v_fma_f64 v[186:187], -v[180:181], v[184:185], 1.0
	v_fma_f64 v[184:185], v[184:185], v[186:187], v[184:185]
	v_div_scale_f64 v[186:187], vcc_lo, 1.0, v[178:179], 1.0
	v_mul_f64 v[188:189], v[186:187], v[184:185]
	v_fma_f64 v[180:181], -v[180:181], v[188:189], v[186:187]
	v_div_fmas_f64 v[180:181], v[180:181], v[184:185], v[188:189]
	v_div_fixup_f64 v[184:185], v[180:181], v[178:179], 1.0
                                        ; implicit-def: $vgpr178_vgpr179
	v_mul_f64 v[182:183], v[182:183], v[184:185]
	v_xor_b32_e32 v185, 0x80000000, v185
.LBB75_284:
	s_andn2_saveexec_b32 s1, s1
	s_cbranch_execz .LBB75_286
; %bb.285:
	v_div_scale_f64 v[182:183], null, v[178:179], v[178:179], v[180:181]
	v_div_scale_f64 v[188:189], vcc_lo, v[180:181], v[178:179], v[180:181]
	v_rcp_f64_e32 v[184:185], v[182:183]
	v_fma_f64 v[186:187], -v[182:183], v[184:185], 1.0
	v_fma_f64 v[184:185], v[184:185], v[186:187], v[184:185]
	v_fma_f64 v[186:187], -v[182:183], v[184:185], 1.0
	v_fma_f64 v[184:185], v[184:185], v[186:187], v[184:185]
	v_mul_f64 v[186:187], v[188:189], v[184:185]
	v_fma_f64 v[182:183], -v[182:183], v[186:187], v[188:189]
	v_div_fmas_f64 v[182:183], v[182:183], v[184:185], v[186:187]
	v_div_fixup_f64 v[184:185], v[182:183], v[178:179], v[180:181]
	v_fma_f64 v[178:179], v[180:181], v[184:185], v[178:179]
	v_div_scale_f64 v[180:181], null, v[178:179], v[178:179], 1.0
	v_rcp_f64_e32 v[182:183], v[180:181]
	v_fma_f64 v[186:187], -v[180:181], v[182:183], 1.0
	v_fma_f64 v[182:183], v[182:183], v[186:187], v[182:183]
	v_fma_f64 v[186:187], -v[180:181], v[182:183], 1.0
	v_fma_f64 v[182:183], v[182:183], v[186:187], v[182:183]
	v_div_scale_f64 v[186:187], vcc_lo, 1.0, v[178:179], 1.0
	v_mul_f64 v[188:189], v[186:187], v[182:183]
	v_fma_f64 v[180:181], -v[180:181], v[188:189], v[186:187]
	v_div_fmas_f64 v[180:181], v[180:181], v[182:183], v[188:189]
	v_div_fixup_f64 v[182:183], v[180:181], v[178:179], 1.0
	v_mul_f64 v[184:185], v[184:185], -v[182:183]
.LBB75_286:
	s_or_b32 exec_lo, exec_lo, s1
	ds_write2_b64 v1, v[182:183], v[184:185] offset1:1
.LBB75_287:
	s_or_b32 exec_lo, exec_lo, s2
	s_waitcnt lgkmcnt(0)
	s_barrier
	buffer_gl0_inv
	ds_read2_b64 v[178:181], v1 offset1:1
	s_mov_b32 s1, exec_lo
	v_cmpx_lt_u32_e32 31, v0
	s_cbranch_execz .LBB75_289
; %bb.288:
	s_waitcnt lgkmcnt(0)
	v_mul_f64 v[182:183], v[178:179], v[28:29]
	v_mul_f64 v[28:29], v[180:181], v[28:29]
	v_fma_f64 v[186:187], v[180:181], v[26:27], v[182:183]
	ds_read2_b64 v[182:185], v206 offset0:64 offset1:65
	v_fma_f64 v[26:27], v[178:179], v[26:27], -v[28:29]
	s_waitcnt lgkmcnt(0)
	v_mul_f64 v[28:29], v[184:185], v[186:187]
	v_fma_f64 v[28:29], v[182:183], v[26:27], -v[28:29]
	v_mul_f64 v[182:183], v[182:183], v[186:187]
	v_add_f64 v[22:23], v[22:23], -v[28:29]
	v_fma_f64 v[182:183], v[184:185], v[26:27], v[182:183]
	v_add_f64 v[24:25], v[24:25], -v[182:183]
	ds_read2_b64 v[182:185], v206 offset0:66 offset1:67
	s_waitcnt lgkmcnt(0)
	v_mul_f64 v[28:29], v[184:185], v[186:187]
	v_fma_f64 v[28:29], v[182:183], v[26:27], -v[28:29]
	v_mul_f64 v[182:183], v[182:183], v[186:187]
	v_add_f64 v[18:19], v[18:19], -v[28:29]
	v_fma_f64 v[182:183], v[184:185], v[26:27], v[182:183]
	v_add_f64 v[20:21], v[20:21], -v[182:183]
	ds_read2_b64 v[182:185], v206 offset0:68 offset1:69
	s_waitcnt lgkmcnt(0)
	v_mul_f64 v[28:29], v[184:185], v[186:187]
	v_fma_f64 v[28:29], v[182:183], v[26:27], -v[28:29]
	v_mul_f64 v[182:183], v[182:183], v[186:187]
	v_add_f64 v[14:15], v[14:15], -v[28:29]
	v_fma_f64 v[182:183], v[184:185], v[26:27], v[182:183]
	v_add_f64 v[16:17], v[16:17], -v[182:183]
	ds_read2_b64 v[182:185], v206 offset0:70 offset1:71
	s_waitcnt lgkmcnt(0)
	v_mul_f64 v[28:29], v[184:185], v[186:187]
	v_fma_f64 v[28:29], v[182:183], v[26:27], -v[28:29]
	v_mul_f64 v[182:183], v[182:183], v[186:187]
	v_add_f64 v[10:11], v[10:11], -v[28:29]
	v_fma_f64 v[182:183], v[184:185], v[26:27], v[182:183]
	v_add_f64 v[12:13], v[12:13], -v[182:183]
	ds_read2_b64 v[182:185], v206 offset0:72 offset1:73
	s_waitcnt lgkmcnt(0)
	v_mul_f64 v[28:29], v[184:185], v[186:187]
	v_fma_f64 v[28:29], v[182:183], v[26:27], -v[28:29]
	v_mul_f64 v[182:183], v[182:183], v[186:187]
	v_add_f64 v[6:7], v[6:7], -v[28:29]
	v_fma_f64 v[182:183], v[184:185], v[26:27], v[182:183]
	v_add_f64 v[8:9], v[8:9], -v[182:183]
	ds_read2_b64 v[182:185], v206 offset0:74 offset1:75
	s_waitcnt lgkmcnt(0)
	v_mul_f64 v[28:29], v[184:185], v[186:187]
	v_fma_f64 v[28:29], v[182:183], v[26:27], -v[28:29]
	v_mul_f64 v[182:183], v[182:183], v[186:187]
	v_add_f64 v[2:3], v[2:3], -v[28:29]
	v_fma_f64 v[182:183], v[184:185], v[26:27], v[182:183]
	v_mov_b32_e32 v28, v186
	v_mov_b32_e32 v29, v187
	v_add_f64 v[4:5], v[4:5], -v[182:183]
.LBB75_289:
	s_or_b32 exec_lo, exec_lo, s1
	s_mov_b32 s2, exec_lo
	s_waitcnt lgkmcnt(0)
	s_barrier
	buffer_gl0_inv
	v_cmpx_eq_u32_e32 32, v0
	s_cbranch_execz .LBB75_296
; %bb.290:
	ds_write2_b64 v1, v[22:23], v[24:25] offset1:1
	ds_write2_b64 v206, v[18:19], v[20:21] offset0:66 offset1:67
	ds_write2_b64 v206, v[14:15], v[16:17] offset0:68 offset1:69
	;; [unrolled: 1-line block ×5, first 2 shown]
	ds_read2_b64 v[182:185], v1 offset1:1
	s_waitcnt lgkmcnt(0)
	v_cmp_neq_f64_e32 vcc_lo, 0, v[182:183]
	v_cmp_neq_f64_e64 s1, 0, v[184:185]
	s_or_b32 s1, vcc_lo, s1
	s_and_b32 exec_lo, exec_lo, s1
	s_cbranch_execz .LBB75_296
; %bb.291:
	v_cmp_ngt_f64_e64 s1, |v[182:183]|, |v[184:185]|
                                        ; implicit-def: $vgpr186_vgpr187
	s_and_saveexec_b32 s3, s1
	s_xor_b32 s1, exec_lo, s3
                                        ; implicit-def: $vgpr188_vgpr189
	s_cbranch_execz .LBB75_293
; %bb.292:
	v_div_scale_f64 v[186:187], null, v[184:185], v[184:185], v[182:183]
	v_div_scale_f64 v[192:193], vcc_lo, v[182:183], v[184:185], v[182:183]
	v_rcp_f64_e32 v[188:189], v[186:187]
	v_fma_f64 v[190:191], -v[186:187], v[188:189], 1.0
	v_fma_f64 v[188:189], v[188:189], v[190:191], v[188:189]
	v_fma_f64 v[190:191], -v[186:187], v[188:189], 1.0
	v_fma_f64 v[188:189], v[188:189], v[190:191], v[188:189]
	v_mul_f64 v[190:191], v[192:193], v[188:189]
	v_fma_f64 v[186:187], -v[186:187], v[190:191], v[192:193]
	v_div_fmas_f64 v[186:187], v[186:187], v[188:189], v[190:191]
	v_div_fixup_f64 v[186:187], v[186:187], v[184:185], v[182:183]
	v_fma_f64 v[182:183], v[182:183], v[186:187], v[184:185]
	v_div_scale_f64 v[184:185], null, v[182:183], v[182:183], 1.0
	v_rcp_f64_e32 v[188:189], v[184:185]
	v_fma_f64 v[190:191], -v[184:185], v[188:189], 1.0
	v_fma_f64 v[188:189], v[188:189], v[190:191], v[188:189]
	v_fma_f64 v[190:191], -v[184:185], v[188:189], 1.0
	v_fma_f64 v[188:189], v[188:189], v[190:191], v[188:189]
	v_div_scale_f64 v[190:191], vcc_lo, 1.0, v[182:183], 1.0
	v_mul_f64 v[192:193], v[190:191], v[188:189]
	v_fma_f64 v[184:185], -v[184:185], v[192:193], v[190:191]
	v_div_fmas_f64 v[184:185], v[184:185], v[188:189], v[192:193]
	v_div_fixup_f64 v[188:189], v[184:185], v[182:183], 1.0
                                        ; implicit-def: $vgpr182_vgpr183
	v_mul_f64 v[186:187], v[186:187], v[188:189]
	v_xor_b32_e32 v189, 0x80000000, v189
.LBB75_293:
	s_andn2_saveexec_b32 s1, s1
	s_cbranch_execz .LBB75_295
; %bb.294:
	v_div_scale_f64 v[186:187], null, v[182:183], v[182:183], v[184:185]
	v_div_scale_f64 v[192:193], vcc_lo, v[184:185], v[182:183], v[184:185]
	v_rcp_f64_e32 v[188:189], v[186:187]
	v_fma_f64 v[190:191], -v[186:187], v[188:189], 1.0
	v_fma_f64 v[188:189], v[188:189], v[190:191], v[188:189]
	v_fma_f64 v[190:191], -v[186:187], v[188:189], 1.0
	v_fma_f64 v[188:189], v[188:189], v[190:191], v[188:189]
	v_mul_f64 v[190:191], v[192:193], v[188:189]
	v_fma_f64 v[186:187], -v[186:187], v[190:191], v[192:193]
	v_div_fmas_f64 v[186:187], v[186:187], v[188:189], v[190:191]
	v_div_fixup_f64 v[188:189], v[186:187], v[182:183], v[184:185]
	v_fma_f64 v[182:183], v[184:185], v[188:189], v[182:183]
	v_div_scale_f64 v[184:185], null, v[182:183], v[182:183], 1.0
	v_rcp_f64_e32 v[186:187], v[184:185]
	v_fma_f64 v[190:191], -v[184:185], v[186:187], 1.0
	v_fma_f64 v[186:187], v[186:187], v[190:191], v[186:187]
	v_fma_f64 v[190:191], -v[184:185], v[186:187], 1.0
	v_fma_f64 v[186:187], v[186:187], v[190:191], v[186:187]
	v_div_scale_f64 v[190:191], vcc_lo, 1.0, v[182:183], 1.0
	v_mul_f64 v[192:193], v[190:191], v[186:187]
	v_fma_f64 v[184:185], -v[184:185], v[192:193], v[190:191]
	v_div_fmas_f64 v[184:185], v[184:185], v[186:187], v[192:193]
	v_div_fixup_f64 v[186:187], v[184:185], v[182:183], 1.0
	v_mul_f64 v[188:189], v[188:189], -v[186:187]
.LBB75_295:
	s_or_b32 exec_lo, exec_lo, s1
	ds_write2_b64 v1, v[186:187], v[188:189] offset1:1
.LBB75_296:
	s_or_b32 exec_lo, exec_lo, s2
	s_waitcnt lgkmcnt(0)
	s_barrier
	buffer_gl0_inv
	ds_read2_b64 v[182:185], v1 offset1:1
	s_mov_b32 s1, exec_lo
	v_cmpx_lt_u32_e32 32, v0
	s_cbranch_execz .LBB75_298
; %bb.297:
	s_waitcnt lgkmcnt(0)
	v_mul_f64 v[186:187], v[182:183], v[24:25]
	v_mul_f64 v[24:25], v[184:185], v[24:25]
	v_fma_f64 v[190:191], v[184:185], v[22:23], v[186:187]
	ds_read2_b64 v[186:189], v206 offset0:66 offset1:67
	v_fma_f64 v[22:23], v[182:183], v[22:23], -v[24:25]
	s_waitcnt lgkmcnt(0)
	v_mul_f64 v[24:25], v[188:189], v[190:191]
	v_fma_f64 v[24:25], v[186:187], v[22:23], -v[24:25]
	v_mul_f64 v[186:187], v[186:187], v[190:191]
	v_add_f64 v[18:19], v[18:19], -v[24:25]
	v_fma_f64 v[186:187], v[188:189], v[22:23], v[186:187]
	v_add_f64 v[20:21], v[20:21], -v[186:187]
	ds_read2_b64 v[186:189], v206 offset0:68 offset1:69
	s_waitcnt lgkmcnt(0)
	v_mul_f64 v[24:25], v[188:189], v[190:191]
	v_fma_f64 v[24:25], v[186:187], v[22:23], -v[24:25]
	v_mul_f64 v[186:187], v[186:187], v[190:191]
	v_add_f64 v[14:15], v[14:15], -v[24:25]
	v_fma_f64 v[186:187], v[188:189], v[22:23], v[186:187]
	v_add_f64 v[16:17], v[16:17], -v[186:187]
	ds_read2_b64 v[186:189], v206 offset0:70 offset1:71
	;; [unrolled: 8-line block ×4, first 2 shown]
	s_waitcnt lgkmcnt(0)
	v_mul_f64 v[24:25], v[188:189], v[190:191]
	v_fma_f64 v[24:25], v[186:187], v[22:23], -v[24:25]
	v_mul_f64 v[186:187], v[186:187], v[190:191]
	v_add_f64 v[2:3], v[2:3], -v[24:25]
	v_fma_f64 v[186:187], v[188:189], v[22:23], v[186:187]
	v_mov_b32_e32 v24, v190
	v_mov_b32_e32 v25, v191
	v_add_f64 v[4:5], v[4:5], -v[186:187]
.LBB75_298:
	s_or_b32 exec_lo, exec_lo, s1
	s_mov_b32 s2, exec_lo
	s_waitcnt lgkmcnt(0)
	s_barrier
	buffer_gl0_inv
	v_cmpx_eq_u32_e32 33, v0
	s_cbranch_execz .LBB75_305
; %bb.299:
	ds_write2_b64 v1, v[18:19], v[20:21] offset1:1
	ds_write2_b64 v206, v[14:15], v[16:17] offset0:68 offset1:69
	ds_write2_b64 v206, v[10:11], v[12:13] offset0:70 offset1:71
	;; [unrolled: 1-line block ×4, first 2 shown]
	ds_read2_b64 v[186:189], v1 offset1:1
	s_waitcnt lgkmcnt(0)
	v_cmp_neq_f64_e32 vcc_lo, 0, v[186:187]
	v_cmp_neq_f64_e64 s1, 0, v[188:189]
	s_or_b32 s1, vcc_lo, s1
	s_and_b32 exec_lo, exec_lo, s1
	s_cbranch_execz .LBB75_305
; %bb.300:
	v_cmp_ngt_f64_e64 s1, |v[186:187]|, |v[188:189]|
                                        ; implicit-def: $vgpr190_vgpr191
	s_and_saveexec_b32 s3, s1
	s_xor_b32 s1, exec_lo, s3
                                        ; implicit-def: $vgpr192_vgpr193
	s_cbranch_execz .LBB75_302
; %bb.301:
	v_div_scale_f64 v[190:191], null, v[188:189], v[188:189], v[186:187]
	v_div_scale_f64 v[196:197], vcc_lo, v[186:187], v[188:189], v[186:187]
	v_rcp_f64_e32 v[192:193], v[190:191]
	v_fma_f64 v[194:195], -v[190:191], v[192:193], 1.0
	v_fma_f64 v[192:193], v[192:193], v[194:195], v[192:193]
	v_fma_f64 v[194:195], -v[190:191], v[192:193], 1.0
	v_fma_f64 v[192:193], v[192:193], v[194:195], v[192:193]
	v_mul_f64 v[194:195], v[196:197], v[192:193]
	v_fma_f64 v[190:191], -v[190:191], v[194:195], v[196:197]
	v_div_fmas_f64 v[190:191], v[190:191], v[192:193], v[194:195]
	v_div_fixup_f64 v[190:191], v[190:191], v[188:189], v[186:187]
	v_fma_f64 v[186:187], v[186:187], v[190:191], v[188:189]
	v_div_scale_f64 v[188:189], null, v[186:187], v[186:187], 1.0
	v_rcp_f64_e32 v[192:193], v[188:189]
	v_fma_f64 v[194:195], -v[188:189], v[192:193], 1.0
	v_fma_f64 v[192:193], v[192:193], v[194:195], v[192:193]
	v_fma_f64 v[194:195], -v[188:189], v[192:193], 1.0
	v_fma_f64 v[192:193], v[192:193], v[194:195], v[192:193]
	v_div_scale_f64 v[194:195], vcc_lo, 1.0, v[186:187], 1.0
	v_mul_f64 v[196:197], v[194:195], v[192:193]
	v_fma_f64 v[188:189], -v[188:189], v[196:197], v[194:195]
	v_div_fmas_f64 v[188:189], v[188:189], v[192:193], v[196:197]
	v_div_fixup_f64 v[192:193], v[188:189], v[186:187], 1.0
                                        ; implicit-def: $vgpr186_vgpr187
	v_mul_f64 v[190:191], v[190:191], v[192:193]
	v_xor_b32_e32 v193, 0x80000000, v193
.LBB75_302:
	s_andn2_saveexec_b32 s1, s1
	s_cbranch_execz .LBB75_304
; %bb.303:
	v_div_scale_f64 v[190:191], null, v[186:187], v[186:187], v[188:189]
	v_div_scale_f64 v[196:197], vcc_lo, v[188:189], v[186:187], v[188:189]
	v_rcp_f64_e32 v[192:193], v[190:191]
	v_fma_f64 v[194:195], -v[190:191], v[192:193], 1.0
	v_fma_f64 v[192:193], v[192:193], v[194:195], v[192:193]
	v_fma_f64 v[194:195], -v[190:191], v[192:193], 1.0
	v_fma_f64 v[192:193], v[192:193], v[194:195], v[192:193]
	v_mul_f64 v[194:195], v[196:197], v[192:193]
	v_fma_f64 v[190:191], -v[190:191], v[194:195], v[196:197]
	v_div_fmas_f64 v[190:191], v[190:191], v[192:193], v[194:195]
	v_div_fixup_f64 v[192:193], v[190:191], v[186:187], v[188:189]
	v_fma_f64 v[186:187], v[188:189], v[192:193], v[186:187]
	v_div_scale_f64 v[188:189], null, v[186:187], v[186:187], 1.0
	v_rcp_f64_e32 v[190:191], v[188:189]
	v_fma_f64 v[194:195], -v[188:189], v[190:191], 1.0
	v_fma_f64 v[190:191], v[190:191], v[194:195], v[190:191]
	v_fma_f64 v[194:195], -v[188:189], v[190:191], 1.0
	v_fma_f64 v[190:191], v[190:191], v[194:195], v[190:191]
	v_div_scale_f64 v[194:195], vcc_lo, 1.0, v[186:187], 1.0
	v_mul_f64 v[196:197], v[194:195], v[190:191]
	v_fma_f64 v[188:189], -v[188:189], v[196:197], v[194:195]
	v_div_fmas_f64 v[188:189], v[188:189], v[190:191], v[196:197]
	v_div_fixup_f64 v[190:191], v[188:189], v[186:187], 1.0
	v_mul_f64 v[192:193], v[192:193], -v[190:191]
.LBB75_304:
	s_or_b32 exec_lo, exec_lo, s1
	ds_write2_b64 v1, v[190:191], v[192:193] offset1:1
.LBB75_305:
	s_or_b32 exec_lo, exec_lo, s2
	s_waitcnt lgkmcnt(0)
	s_barrier
	buffer_gl0_inv
	ds_read2_b64 v[186:189], v1 offset1:1
	s_mov_b32 s1, exec_lo
	v_cmpx_lt_u32_e32 33, v0
	s_cbranch_execz .LBB75_307
; %bb.306:
	s_waitcnt lgkmcnt(0)
	v_mul_f64 v[190:191], v[186:187], v[20:21]
	v_mul_f64 v[20:21], v[188:189], v[20:21]
	v_fma_f64 v[194:195], v[188:189], v[18:19], v[190:191]
	ds_read2_b64 v[190:193], v206 offset0:68 offset1:69
	v_fma_f64 v[18:19], v[186:187], v[18:19], -v[20:21]
	s_waitcnt lgkmcnt(0)
	v_mul_f64 v[20:21], v[192:193], v[194:195]
	v_fma_f64 v[20:21], v[190:191], v[18:19], -v[20:21]
	v_mul_f64 v[190:191], v[190:191], v[194:195]
	v_add_f64 v[14:15], v[14:15], -v[20:21]
	v_fma_f64 v[190:191], v[192:193], v[18:19], v[190:191]
	v_add_f64 v[16:17], v[16:17], -v[190:191]
	ds_read2_b64 v[190:193], v206 offset0:70 offset1:71
	s_waitcnt lgkmcnt(0)
	v_mul_f64 v[20:21], v[192:193], v[194:195]
	v_fma_f64 v[20:21], v[190:191], v[18:19], -v[20:21]
	v_mul_f64 v[190:191], v[190:191], v[194:195]
	v_add_f64 v[10:11], v[10:11], -v[20:21]
	v_fma_f64 v[190:191], v[192:193], v[18:19], v[190:191]
	v_add_f64 v[12:13], v[12:13], -v[190:191]
	ds_read2_b64 v[190:193], v206 offset0:72 offset1:73
	;; [unrolled: 8-line block ×3, first 2 shown]
	s_waitcnt lgkmcnt(0)
	v_mul_f64 v[20:21], v[192:193], v[194:195]
	v_fma_f64 v[20:21], v[190:191], v[18:19], -v[20:21]
	v_mul_f64 v[190:191], v[190:191], v[194:195]
	v_add_f64 v[2:3], v[2:3], -v[20:21]
	v_fma_f64 v[190:191], v[192:193], v[18:19], v[190:191]
	v_mov_b32_e32 v20, v194
	v_mov_b32_e32 v21, v195
	v_add_f64 v[4:5], v[4:5], -v[190:191]
.LBB75_307:
	s_or_b32 exec_lo, exec_lo, s1
	s_mov_b32 s2, exec_lo
	s_waitcnt lgkmcnt(0)
	s_barrier
	buffer_gl0_inv
	v_cmpx_eq_u32_e32 34, v0
	s_cbranch_execz .LBB75_314
; %bb.308:
	ds_write2_b64 v1, v[14:15], v[16:17] offset1:1
	ds_write2_b64 v206, v[10:11], v[12:13] offset0:70 offset1:71
	ds_write2_b64 v206, v[6:7], v[8:9] offset0:72 offset1:73
	;; [unrolled: 1-line block ×3, first 2 shown]
	ds_read2_b64 v[190:193], v1 offset1:1
	s_waitcnt lgkmcnt(0)
	v_cmp_neq_f64_e32 vcc_lo, 0, v[190:191]
	v_cmp_neq_f64_e64 s1, 0, v[192:193]
	s_or_b32 s1, vcc_lo, s1
	s_and_b32 exec_lo, exec_lo, s1
	s_cbranch_execz .LBB75_314
; %bb.309:
	v_cmp_ngt_f64_e64 s1, |v[190:191]|, |v[192:193]|
                                        ; implicit-def: $vgpr194_vgpr195
	s_and_saveexec_b32 s3, s1
	s_xor_b32 s1, exec_lo, s3
                                        ; implicit-def: $vgpr196_vgpr197
	s_cbranch_execz .LBB75_311
; %bb.310:
	v_div_scale_f64 v[194:195], null, v[192:193], v[192:193], v[190:191]
	v_div_scale_f64 v[200:201], vcc_lo, v[190:191], v[192:193], v[190:191]
	v_rcp_f64_e32 v[196:197], v[194:195]
	v_fma_f64 v[198:199], -v[194:195], v[196:197], 1.0
	v_fma_f64 v[196:197], v[196:197], v[198:199], v[196:197]
	v_fma_f64 v[198:199], -v[194:195], v[196:197], 1.0
	v_fma_f64 v[196:197], v[196:197], v[198:199], v[196:197]
	v_mul_f64 v[198:199], v[200:201], v[196:197]
	v_fma_f64 v[194:195], -v[194:195], v[198:199], v[200:201]
	v_div_fmas_f64 v[194:195], v[194:195], v[196:197], v[198:199]
	v_div_fixup_f64 v[194:195], v[194:195], v[192:193], v[190:191]
	v_fma_f64 v[190:191], v[190:191], v[194:195], v[192:193]
	v_div_scale_f64 v[192:193], null, v[190:191], v[190:191], 1.0
	v_rcp_f64_e32 v[196:197], v[192:193]
	v_fma_f64 v[198:199], -v[192:193], v[196:197], 1.0
	v_fma_f64 v[196:197], v[196:197], v[198:199], v[196:197]
	v_fma_f64 v[198:199], -v[192:193], v[196:197], 1.0
	v_fma_f64 v[196:197], v[196:197], v[198:199], v[196:197]
	v_div_scale_f64 v[198:199], vcc_lo, 1.0, v[190:191], 1.0
	v_mul_f64 v[200:201], v[198:199], v[196:197]
	v_fma_f64 v[192:193], -v[192:193], v[200:201], v[198:199]
	v_div_fmas_f64 v[192:193], v[192:193], v[196:197], v[200:201]
	v_div_fixup_f64 v[196:197], v[192:193], v[190:191], 1.0
                                        ; implicit-def: $vgpr190_vgpr191
	v_mul_f64 v[194:195], v[194:195], v[196:197]
	v_xor_b32_e32 v197, 0x80000000, v197
.LBB75_311:
	s_andn2_saveexec_b32 s1, s1
	s_cbranch_execz .LBB75_313
; %bb.312:
	v_div_scale_f64 v[194:195], null, v[190:191], v[190:191], v[192:193]
	v_div_scale_f64 v[200:201], vcc_lo, v[192:193], v[190:191], v[192:193]
	v_rcp_f64_e32 v[196:197], v[194:195]
	v_fma_f64 v[198:199], -v[194:195], v[196:197], 1.0
	v_fma_f64 v[196:197], v[196:197], v[198:199], v[196:197]
	v_fma_f64 v[198:199], -v[194:195], v[196:197], 1.0
	v_fma_f64 v[196:197], v[196:197], v[198:199], v[196:197]
	v_mul_f64 v[198:199], v[200:201], v[196:197]
	v_fma_f64 v[194:195], -v[194:195], v[198:199], v[200:201]
	v_div_fmas_f64 v[194:195], v[194:195], v[196:197], v[198:199]
	v_div_fixup_f64 v[196:197], v[194:195], v[190:191], v[192:193]
	v_fma_f64 v[190:191], v[192:193], v[196:197], v[190:191]
	v_div_scale_f64 v[192:193], null, v[190:191], v[190:191], 1.0
	v_rcp_f64_e32 v[194:195], v[192:193]
	v_fma_f64 v[198:199], -v[192:193], v[194:195], 1.0
	v_fma_f64 v[194:195], v[194:195], v[198:199], v[194:195]
	v_fma_f64 v[198:199], -v[192:193], v[194:195], 1.0
	v_fma_f64 v[194:195], v[194:195], v[198:199], v[194:195]
	v_div_scale_f64 v[198:199], vcc_lo, 1.0, v[190:191], 1.0
	v_mul_f64 v[200:201], v[198:199], v[194:195]
	v_fma_f64 v[192:193], -v[192:193], v[200:201], v[198:199]
	v_div_fmas_f64 v[192:193], v[192:193], v[194:195], v[200:201]
	v_div_fixup_f64 v[194:195], v[192:193], v[190:191], 1.0
	v_mul_f64 v[196:197], v[196:197], -v[194:195]
.LBB75_313:
	s_or_b32 exec_lo, exec_lo, s1
	ds_write2_b64 v1, v[194:195], v[196:197] offset1:1
.LBB75_314:
	s_or_b32 exec_lo, exec_lo, s2
	s_waitcnt lgkmcnt(0)
	s_barrier
	buffer_gl0_inv
	ds_read2_b64 v[190:193], v1 offset1:1
	s_mov_b32 s1, exec_lo
	v_cmpx_lt_u32_e32 34, v0
	s_cbranch_execz .LBB75_316
; %bb.315:
	s_waitcnt lgkmcnt(0)
	v_mul_f64 v[194:195], v[190:191], v[16:17]
	v_mul_f64 v[16:17], v[192:193], v[16:17]
	v_fma_f64 v[198:199], v[192:193], v[14:15], v[194:195]
	ds_read2_b64 v[194:197], v206 offset0:70 offset1:71
	v_fma_f64 v[14:15], v[190:191], v[14:15], -v[16:17]
	s_waitcnt lgkmcnt(0)
	v_mul_f64 v[16:17], v[196:197], v[198:199]
	v_fma_f64 v[16:17], v[194:195], v[14:15], -v[16:17]
	v_mul_f64 v[194:195], v[194:195], v[198:199]
	v_add_f64 v[10:11], v[10:11], -v[16:17]
	v_fma_f64 v[194:195], v[196:197], v[14:15], v[194:195]
	v_add_f64 v[12:13], v[12:13], -v[194:195]
	ds_read2_b64 v[194:197], v206 offset0:72 offset1:73
	s_waitcnt lgkmcnt(0)
	v_mul_f64 v[16:17], v[196:197], v[198:199]
	v_fma_f64 v[16:17], v[194:195], v[14:15], -v[16:17]
	v_mul_f64 v[194:195], v[194:195], v[198:199]
	v_add_f64 v[6:7], v[6:7], -v[16:17]
	v_fma_f64 v[194:195], v[196:197], v[14:15], v[194:195]
	v_add_f64 v[8:9], v[8:9], -v[194:195]
	ds_read2_b64 v[194:197], v206 offset0:74 offset1:75
	s_waitcnt lgkmcnt(0)
	v_mul_f64 v[16:17], v[196:197], v[198:199]
	v_fma_f64 v[16:17], v[194:195], v[14:15], -v[16:17]
	v_mul_f64 v[194:195], v[194:195], v[198:199]
	v_add_f64 v[2:3], v[2:3], -v[16:17]
	v_fma_f64 v[194:195], v[196:197], v[14:15], v[194:195]
	v_mov_b32_e32 v16, v198
	v_mov_b32_e32 v17, v199
	v_add_f64 v[4:5], v[4:5], -v[194:195]
.LBB75_316:
	s_or_b32 exec_lo, exec_lo, s1
	s_mov_b32 s2, exec_lo
	s_waitcnt lgkmcnt(0)
	s_barrier
	buffer_gl0_inv
	v_cmpx_eq_u32_e32 35, v0
	s_cbranch_execz .LBB75_323
; %bb.317:
	ds_write2_b64 v1, v[10:11], v[12:13] offset1:1
	ds_write2_b64 v206, v[6:7], v[8:9] offset0:72 offset1:73
	ds_write2_b64 v206, v[2:3], v[4:5] offset0:74 offset1:75
	ds_read2_b64 v[194:197], v1 offset1:1
	s_waitcnt lgkmcnt(0)
	v_cmp_neq_f64_e32 vcc_lo, 0, v[194:195]
	v_cmp_neq_f64_e64 s1, 0, v[196:197]
	s_or_b32 s1, vcc_lo, s1
	s_and_b32 exec_lo, exec_lo, s1
	s_cbranch_execz .LBB75_323
; %bb.318:
	v_cmp_ngt_f64_e64 s1, |v[194:195]|, |v[196:197]|
                                        ; implicit-def: $vgpr198_vgpr199
	s_and_saveexec_b32 s3, s1
	s_xor_b32 s1, exec_lo, s3
                                        ; implicit-def: $vgpr200_vgpr201
	s_cbranch_execz .LBB75_320
; %bb.319:
	v_div_scale_f64 v[198:199], null, v[196:197], v[196:197], v[194:195]
	v_div_scale_f64 v[204:205], vcc_lo, v[194:195], v[196:197], v[194:195]
	v_rcp_f64_e32 v[200:201], v[198:199]
	v_fma_f64 v[202:203], -v[198:199], v[200:201], 1.0
	v_fma_f64 v[200:201], v[200:201], v[202:203], v[200:201]
	v_fma_f64 v[202:203], -v[198:199], v[200:201], 1.0
	v_fma_f64 v[200:201], v[200:201], v[202:203], v[200:201]
	v_mul_f64 v[202:203], v[204:205], v[200:201]
	v_fma_f64 v[198:199], -v[198:199], v[202:203], v[204:205]
	v_div_fmas_f64 v[198:199], v[198:199], v[200:201], v[202:203]
	v_div_fixup_f64 v[198:199], v[198:199], v[196:197], v[194:195]
	v_fma_f64 v[194:195], v[194:195], v[198:199], v[196:197]
	v_div_scale_f64 v[196:197], null, v[194:195], v[194:195], 1.0
	v_rcp_f64_e32 v[200:201], v[196:197]
	v_fma_f64 v[202:203], -v[196:197], v[200:201], 1.0
	v_fma_f64 v[200:201], v[200:201], v[202:203], v[200:201]
	v_fma_f64 v[202:203], -v[196:197], v[200:201], 1.0
	v_fma_f64 v[200:201], v[200:201], v[202:203], v[200:201]
	v_div_scale_f64 v[202:203], vcc_lo, 1.0, v[194:195], 1.0
	v_mul_f64 v[204:205], v[202:203], v[200:201]
	v_fma_f64 v[196:197], -v[196:197], v[204:205], v[202:203]
	v_div_fmas_f64 v[196:197], v[196:197], v[200:201], v[204:205]
	v_div_fixup_f64 v[200:201], v[196:197], v[194:195], 1.0
                                        ; implicit-def: $vgpr194_vgpr195
	v_mul_f64 v[198:199], v[198:199], v[200:201]
	v_xor_b32_e32 v201, 0x80000000, v201
.LBB75_320:
	s_andn2_saveexec_b32 s1, s1
	s_cbranch_execz .LBB75_322
; %bb.321:
	v_div_scale_f64 v[198:199], null, v[194:195], v[194:195], v[196:197]
	v_div_scale_f64 v[204:205], vcc_lo, v[196:197], v[194:195], v[196:197]
	v_rcp_f64_e32 v[200:201], v[198:199]
	v_fma_f64 v[202:203], -v[198:199], v[200:201], 1.0
	v_fma_f64 v[200:201], v[200:201], v[202:203], v[200:201]
	v_fma_f64 v[202:203], -v[198:199], v[200:201], 1.0
	v_fma_f64 v[200:201], v[200:201], v[202:203], v[200:201]
	v_mul_f64 v[202:203], v[204:205], v[200:201]
	v_fma_f64 v[198:199], -v[198:199], v[202:203], v[204:205]
	v_div_fmas_f64 v[198:199], v[198:199], v[200:201], v[202:203]
	v_div_fixup_f64 v[200:201], v[198:199], v[194:195], v[196:197]
	v_fma_f64 v[194:195], v[196:197], v[200:201], v[194:195]
	v_div_scale_f64 v[196:197], null, v[194:195], v[194:195], 1.0
	v_rcp_f64_e32 v[198:199], v[196:197]
	v_fma_f64 v[202:203], -v[196:197], v[198:199], 1.0
	v_fma_f64 v[198:199], v[198:199], v[202:203], v[198:199]
	v_fma_f64 v[202:203], -v[196:197], v[198:199], 1.0
	v_fma_f64 v[198:199], v[198:199], v[202:203], v[198:199]
	v_div_scale_f64 v[202:203], vcc_lo, 1.0, v[194:195], 1.0
	v_mul_f64 v[204:205], v[202:203], v[198:199]
	v_fma_f64 v[196:197], -v[196:197], v[204:205], v[202:203]
	v_div_fmas_f64 v[196:197], v[196:197], v[198:199], v[204:205]
	v_div_fixup_f64 v[198:199], v[196:197], v[194:195], 1.0
	v_mul_f64 v[200:201], v[200:201], -v[198:199]
.LBB75_322:
	s_or_b32 exec_lo, exec_lo, s1
	ds_write2_b64 v1, v[198:199], v[200:201] offset1:1
.LBB75_323:
	s_or_b32 exec_lo, exec_lo, s2
	s_waitcnt lgkmcnt(0)
	s_barrier
	buffer_gl0_inv
	ds_read2_b64 v[194:197], v1 offset1:1
	s_mov_b32 s1, exec_lo
	v_cmpx_lt_u32_e32 35, v0
	s_cbranch_execz .LBB75_325
; %bb.324:
	s_waitcnt lgkmcnt(0)
	v_mul_f64 v[198:199], v[194:195], v[12:13]
	v_mul_f64 v[12:13], v[196:197], v[12:13]
	v_fma_f64 v[202:203], v[196:197], v[10:11], v[198:199]
	ds_read2_b64 v[198:201], v206 offset0:72 offset1:73
	v_fma_f64 v[10:11], v[194:195], v[10:11], -v[12:13]
	s_waitcnt lgkmcnt(0)
	v_mul_f64 v[12:13], v[200:201], v[202:203]
	v_fma_f64 v[12:13], v[198:199], v[10:11], -v[12:13]
	v_mul_f64 v[198:199], v[198:199], v[202:203]
	v_add_f64 v[6:7], v[6:7], -v[12:13]
	v_fma_f64 v[198:199], v[200:201], v[10:11], v[198:199]
	v_add_f64 v[8:9], v[8:9], -v[198:199]
	ds_read2_b64 v[198:201], v206 offset0:74 offset1:75
	s_waitcnt lgkmcnt(0)
	v_mul_f64 v[12:13], v[200:201], v[202:203]
	v_fma_f64 v[12:13], v[198:199], v[10:11], -v[12:13]
	v_mul_f64 v[198:199], v[198:199], v[202:203]
	v_add_f64 v[2:3], v[2:3], -v[12:13]
	v_fma_f64 v[198:199], v[200:201], v[10:11], v[198:199]
	v_mov_b32_e32 v12, v202
	v_mov_b32_e32 v13, v203
	v_add_f64 v[4:5], v[4:5], -v[198:199]
.LBB75_325:
	s_or_b32 exec_lo, exec_lo, s1
	s_mov_b32 s2, exec_lo
	s_waitcnt lgkmcnt(0)
	s_barrier
	buffer_gl0_inv
	v_cmpx_eq_u32_e32 36, v0
	s_cbranch_execz .LBB75_332
; %bb.326:
	ds_write2_b64 v1, v[6:7], v[8:9] offset1:1
	ds_write2_b64 v206, v[2:3], v[4:5] offset0:74 offset1:75
	ds_read2_b64 v[198:201], v1 offset1:1
	s_waitcnt lgkmcnt(0)
	v_cmp_neq_f64_e32 vcc_lo, 0, v[198:199]
	v_cmp_neq_f64_e64 s1, 0, v[200:201]
	s_or_b32 s1, vcc_lo, s1
	s_and_b32 exec_lo, exec_lo, s1
	s_cbranch_execz .LBB75_332
; %bb.327:
	v_cmp_ngt_f64_e64 s1, |v[198:199]|, |v[200:201]|
                                        ; implicit-def: $vgpr202_vgpr203
	s_and_saveexec_b32 s3, s1
	s_xor_b32 s1, exec_lo, s3
                                        ; implicit-def: $vgpr204_vgpr205
	s_cbranch_execz .LBB75_329
; %bb.328:
	v_div_scale_f64 v[202:203], null, v[200:201], v[200:201], v[198:199]
	v_mov_b32_e32 v154, v209
	v_mov_b32_e32 v155, v210
	v_div_scale_f64 v[209:210], vcc_lo, v[198:199], v[200:201], v[198:199]
	v_rcp_f64_e32 v[204:205], v[202:203]
	v_fma_f64 v[207:208], -v[202:203], v[204:205], 1.0
	v_fma_f64 v[204:205], v[204:205], v[207:208], v[204:205]
	v_fma_f64 v[207:208], -v[202:203], v[204:205], 1.0
	v_fma_f64 v[204:205], v[204:205], v[207:208], v[204:205]
	v_mul_f64 v[207:208], v[209:210], v[204:205]
	v_fma_f64 v[202:203], -v[202:203], v[207:208], v[209:210]
	v_div_fmas_f64 v[202:203], v[202:203], v[204:205], v[207:208]
	v_div_fixup_f64 v[202:203], v[202:203], v[200:201], v[198:199]
	v_fma_f64 v[198:199], v[198:199], v[202:203], v[200:201]
	v_div_scale_f64 v[200:201], null, v[198:199], v[198:199], 1.0
	v_rcp_f64_e32 v[204:205], v[200:201]
	v_fma_f64 v[207:208], -v[200:201], v[204:205], 1.0
	v_fma_f64 v[204:205], v[204:205], v[207:208], v[204:205]
	v_fma_f64 v[207:208], -v[200:201], v[204:205], 1.0
	v_fma_f64 v[204:205], v[204:205], v[207:208], v[204:205]
	v_div_scale_f64 v[207:208], vcc_lo, 1.0, v[198:199], 1.0
	v_mul_f64 v[209:210], v[207:208], v[204:205]
	v_fma_f64 v[200:201], -v[200:201], v[209:210], v[207:208]
	v_div_fmas_f64 v[200:201], v[200:201], v[204:205], v[209:210]
	v_mov_b32_e32 v210, v155
	v_mov_b32_e32 v209, v154
	v_div_fixup_f64 v[204:205], v[200:201], v[198:199], 1.0
                                        ; implicit-def: $vgpr198_vgpr199
	v_mul_f64 v[202:203], v[202:203], v[204:205]
	v_xor_b32_e32 v205, 0x80000000, v205
.LBB75_329:
	s_andn2_saveexec_b32 s1, s1
	s_cbranch_execz .LBB75_331
; %bb.330:
	v_div_scale_f64 v[202:203], null, v[198:199], v[198:199], v[200:201]
	v_mov_b32_e32 v154, v209
	v_mov_b32_e32 v155, v210
	v_div_scale_f64 v[209:210], vcc_lo, v[200:201], v[198:199], v[200:201]
	v_rcp_f64_e32 v[204:205], v[202:203]
	v_fma_f64 v[207:208], -v[202:203], v[204:205], 1.0
	v_fma_f64 v[204:205], v[204:205], v[207:208], v[204:205]
	v_fma_f64 v[207:208], -v[202:203], v[204:205], 1.0
	v_fma_f64 v[204:205], v[204:205], v[207:208], v[204:205]
	v_mul_f64 v[207:208], v[209:210], v[204:205]
	v_fma_f64 v[202:203], -v[202:203], v[207:208], v[209:210]
	v_div_fmas_f64 v[202:203], v[202:203], v[204:205], v[207:208]
	v_div_fixup_f64 v[204:205], v[202:203], v[198:199], v[200:201]
	v_fma_f64 v[198:199], v[200:201], v[204:205], v[198:199]
	v_div_scale_f64 v[200:201], null, v[198:199], v[198:199], 1.0
	v_rcp_f64_e32 v[202:203], v[200:201]
	v_fma_f64 v[207:208], -v[200:201], v[202:203], 1.0
	v_fma_f64 v[202:203], v[202:203], v[207:208], v[202:203]
	v_fma_f64 v[207:208], -v[200:201], v[202:203], 1.0
	v_fma_f64 v[202:203], v[202:203], v[207:208], v[202:203]
	v_div_scale_f64 v[207:208], vcc_lo, 1.0, v[198:199], 1.0
	v_mul_f64 v[209:210], v[207:208], v[202:203]
	v_fma_f64 v[200:201], -v[200:201], v[209:210], v[207:208]
	v_div_fmas_f64 v[200:201], v[200:201], v[202:203], v[209:210]
	v_mov_b32_e32 v210, v155
	v_mov_b32_e32 v209, v154
	v_div_fixup_f64 v[202:203], v[200:201], v[198:199], 1.0
	v_mul_f64 v[204:205], v[204:205], -v[202:203]
.LBB75_331:
	s_or_b32 exec_lo, exec_lo, s1
	ds_write2_b64 v1, v[202:203], v[204:205] offset1:1
.LBB75_332:
	s_or_b32 exec_lo, exec_lo, s2
	s_waitcnt lgkmcnt(0)
	s_barrier
	buffer_gl0_inv
	ds_read2_b64 v[198:201], v1 offset1:1
	s_mov_b32 s1, exec_lo
	v_cmpx_lt_u32_e32 36, v0
	s_cbranch_execz .LBB75_334
; %bb.333:
	s_waitcnt lgkmcnt(0)
	v_mul_f64 v[202:203], v[198:199], v[8:9]
	v_mul_f64 v[8:9], v[200:201], v[8:9]
	v_fma_f64 v[207:208], v[200:201], v[6:7], v[202:203]
	ds_read2_b64 v[202:205], v206 offset0:74 offset1:75
	v_fma_f64 v[6:7], v[198:199], v[6:7], -v[8:9]
	s_waitcnt lgkmcnt(0)
	v_mul_f64 v[8:9], v[204:205], v[207:208]
	v_fma_f64 v[8:9], v[202:203], v[6:7], -v[8:9]
	v_mul_f64 v[202:203], v[202:203], v[207:208]
	v_add_f64 v[2:3], v[2:3], -v[8:9]
	v_fma_f64 v[202:203], v[204:205], v[6:7], v[202:203]
	v_mov_b32_e32 v8, v207
	v_mov_b32_e32 v9, v208
	v_add_f64 v[4:5], v[4:5], -v[202:203]
.LBB75_334:
	s_or_b32 exec_lo, exec_lo, s1
	s_mov_b32 s2, exec_lo
	s_waitcnt lgkmcnt(0)
	s_barrier
	buffer_gl0_inv
	v_cmpx_eq_u32_e32 37, v0
	s_cbranch_execz .LBB75_341
; %bb.335:
	v_cmp_neq_f64_e32 vcc_lo, 0, v[2:3]
	v_cmp_neq_f64_e64 s1, 0, v[4:5]
	ds_write2_b64 v1, v[2:3], v[4:5] offset1:1
	s_or_b32 s1, vcc_lo, s1
	s_and_b32 exec_lo, exec_lo, s1
	s_cbranch_execz .LBB75_341
; %bb.336:
	v_cmp_ngt_f64_e64 s1, |v[2:3]|, |v[4:5]|
                                        ; implicit-def: $vgpr202_vgpr203
	s_and_saveexec_b32 s3, s1
	s_xor_b32 s1, exec_lo, s3
                                        ; implicit-def: $vgpr204_vgpr205
	s_cbranch_execz .LBB75_338
; %bb.337:
	v_div_scale_f64 v[202:203], null, v[4:5], v[4:5], v[2:3]
	v_mov_b32_e32 v156, v209
	v_mov_b32_e32 v157, v210
	v_div_scale_f64 v[208:209], vcc_lo, v[2:3], v[4:5], v[2:3]
	v_mov_b32_e32 v154, v251
	v_mov_b32_e32 v155, v252
	;; [unrolled: 1-line block ×16, first 2 shown]
	v_rcp_f64_e32 v[204:205], v[202:203]
	v_mov_b32_e32 v239, v236
	v_mov_b32_e32 v238, v235
	;; [unrolled: 1-line block ×23, first 2 shown]
	v_fma_f64 v[206:207], -v[202:203], v[204:205], 1.0
	v_mov_b32_e32 v216, v213
	v_mov_b32_e32 v214, v254
	;; [unrolled: 1-line block ×5, first 2 shown]
	v_fma_f64 v[204:205], v[204:205], v[206:207], v[204:205]
	v_fma_f64 v[206:207], -v[202:203], v[204:205], 1.0
	v_fma_f64 v[204:205], v[204:205], v[206:207], v[204:205]
	v_mul_f64 v[206:207], v[208:209], v[204:205]
	v_fma_f64 v[202:203], -v[202:203], v[206:207], v[208:209]
	v_div_fmas_f64 v[202:203], v[202:203], v[204:205], v[206:207]
	v_div_fixup_f64 v[202:203], v[202:203], v[4:5], v[2:3]
	v_fma_f64 v[204:205], v[2:3], v[202:203], v[4:5]
	v_div_scale_f64 v[206:207], null, v[204:205], v[204:205], 1.0
	v_rcp_f64_e32 v[208:209], v[206:207]
	v_fma_f64 v[210:211], -v[206:207], v[208:209], 1.0
	v_fma_f64 v[208:209], v[208:209], v[210:211], v[208:209]
	v_fma_f64 v[210:211], -v[206:207], v[208:209], 1.0
	v_fma_f64 v[208:209], v[208:209], v[210:211], v[208:209]
	v_div_scale_f64 v[210:211], vcc_lo, 1.0, v[204:205], 1.0
	v_mul_f64 v[212:213], v[210:211], v[208:209]
	v_fma_f64 v[206:207], -v[206:207], v[212:213], v[210:211]
	v_div_fmas_f64 v[206:207], v[206:207], v[208:209], v[212:213]
	v_mov_b32_e32 v211, v254
	v_mov_b32_e32 v212, v255
	;; [unrolled: 1-line block ×21, first 2 shown]
	v_div_fixup_f64 v[204:205], v[206:207], v[204:205], 1.0
	v_mov_b32_e32 v230, v233
	v_mov_b32_e32 v231, v234
	;; [unrolled: 1-line block ×21, first 2 shown]
	v_mul_f64 v[202:203], v[202:203], v[204:205]
	v_mov_b32_e32 v250, v253
	v_mov_b32_e32 v252, v155
	;; [unrolled: 1-line block ×4, first 2 shown]
	v_xor_b32_e32 v205, 0x80000000, v205
.LBB75_338:
	s_andn2_saveexec_b32 s1, s1
	s_cbranch_execz .LBB75_340
; %bb.339:
	v_div_scale_f64 v[202:203], null, v[2:3], v[2:3], v[4:5]
	v_mov_b32_e32 v156, v209
	v_mov_b32_e32 v157, v210
	v_div_scale_f64 v[208:209], vcc_lo, v[4:5], v[2:3], v[4:5]
	v_mov_b32_e32 v154, v251
	v_mov_b32_e32 v155, v252
	;; [unrolled: 1-line block ×16, first 2 shown]
	v_rcp_f64_e32 v[204:205], v[202:203]
	v_mov_b32_e32 v239, v236
	v_mov_b32_e32 v238, v235
	;; [unrolled: 1-line block ×23, first 2 shown]
	v_fma_f64 v[206:207], -v[202:203], v[204:205], 1.0
	v_mov_b32_e32 v216, v213
	v_mov_b32_e32 v214, v254
	;; [unrolled: 1-line block ×5, first 2 shown]
	v_fma_f64 v[204:205], v[204:205], v[206:207], v[204:205]
	v_fma_f64 v[206:207], -v[202:203], v[204:205], 1.0
	v_fma_f64 v[204:205], v[204:205], v[206:207], v[204:205]
	v_mul_f64 v[206:207], v[208:209], v[204:205]
	v_fma_f64 v[202:203], -v[202:203], v[206:207], v[208:209]
	v_div_fmas_f64 v[202:203], v[202:203], v[204:205], v[206:207]
	v_div_fixup_f64 v[204:205], v[202:203], v[2:3], v[4:5]
	v_fma_f64 v[202:203], v[4:5], v[204:205], v[2:3]
	v_div_scale_f64 v[206:207], null, v[202:203], v[202:203], 1.0
	v_rcp_f64_e32 v[208:209], v[206:207]
	v_fma_f64 v[210:211], -v[206:207], v[208:209], 1.0
	v_fma_f64 v[208:209], v[208:209], v[210:211], v[208:209]
	v_fma_f64 v[210:211], -v[206:207], v[208:209], 1.0
	v_fma_f64 v[208:209], v[208:209], v[210:211], v[208:209]
	v_div_scale_f64 v[210:211], vcc_lo, 1.0, v[202:203], 1.0
	v_mul_f64 v[212:213], v[210:211], v[208:209]
	v_fma_f64 v[206:207], -v[206:207], v[212:213], v[210:211]
	v_div_fmas_f64 v[206:207], v[206:207], v[208:209], v[212:213]
	v_mov_b32_e32 v211, v254
	v_mov_b32_e32 v212, v255
	;; [unrolled: 1-line block ×21, first 2 shown]
	v_div_fixup_f64 v[202:203], v[206:207], v[202:203], 1.0
	v_mov_b32_e32 v230, v233
	v_mov_b32_e32 v231, v234
	;; [unrolled: 1-line block ×21, first 2 shown]
	v_mul_f64 v[204:205], v[204:205], -v[202:203]
	v_mov_b32_e32 v250, v253
	v_mov_b32_e32 v252, v155
	;; [unrolled: 1-line block ×4, first 2 shown]
.LBB75_340:
	s_or_b32 exec_lo, exec_lo, s1
	ds_write2_b64 v1, v[202:203], v[204:205] offset1:1
.LBB75_341:
	s_or_b32 exec_lo, exec_lo, s2
	s_waitcnt lgkmcnt(0)
	s_barrier
	buffer_gl0_inv
	ds_read2_b64 v[202:205], v1 offset1:1
	s_mov_b32 s1, exec_lo
	v_cmpx_lt_u32_e32 37, v0
	s_cbranch_execz .LBB75_343
; %bb.342:
	s_waitcnt lgkmcnt(0)
	v_mul_f64 v[0:1], v[204:205], v[4:5]
	v_mul_f64 v[4:5], v[202:203], v[4:5]
	v_fma_f64 v[0:1], v[202:203], v[2:3], -v[0:1]
	v_fma_f64 v[4:5], v[204:205], v[2:3], v[4:5]
	v_mov_b32_e32 v3, v1
	v_mov_b32_e32 v2, v0
.LBB75_343:
	s_or_b32 exec_lo, exec_lo, s1
	s_waitcnt lgkmcnt(0)
	s_barrier
	buffer_gl0_inv
	s_and_saveexec_b32 s6, s0
	s_cbranch_execz .LBB75_346
; %bb.344:
	s_clause 0x3
	buffer_load_dword v154, off, s[16:19], 0 offset:120
	buffer_load_dword v155, off, s[16:19], 0 offset:124
	;; [unrolled: 1-line block ×4, first 2 shown]
	s_waitcnt vmcnt(2)
	v_cmp_eq_f64_e32 vcc_lo, 0, v[154:155]
	s_waitcnt vmcnt(0)
	v_cmp_eq_f64_e64 s0, 0, v[156:157]
	s_clause 0x3
	buffer_load_dword v154, off, s[16:19], 0 offset:136
	buffer_load_dword v155, off, s[16:19], 0 offset:140
	;; [unrolled: 1-line block ×4, first 2 shown]
	s_and_b32 s0, vcc_lo, s0
	v_cndmask_b32_e64 v0, 0, 1, s0
	s_waitcnt vmcnt(2)
	v_cmp_neq_f64_e64 s1, 0, v[154:155]
	s_waitcnt vmcnt(0)
	v_cmp_neq_f64_e64 s2, 0, v[156:157]
	s_clause 0x3
	buffer_load_dword v154, off, s[16:19], 0 offset:152
	buffer_load_dword v155, off, s[16:19], 0 offset:156
	;; [unrolled: 1-line block ×4, first 2 shown]
	s_or_b32 s1, s1, s2
	s_or_b32 s0, s1, s0
	v_cndmask_b32_e64 v0, 2, v0, s0
	v_cmp_eq_u32_e64 s0, 0, v0
	s_waitcnt vmcnt(2)
	v_cmp_eq_f64_e64 s3, 0, v[154:155]
	s_waitcnt vmcnt(0)
	v_cmp_eq_f64_e64 s4, 0, v[156:157]
	s_clause 0x3
	buffer_load_dword v154, off, s[16:19], 0 offset:168
	buffer_load_dword v155, off, s[16:19], 0 offset:172
	buffer_load_dword v156, off, s[16:19], 0 offset:176
	buffer_load_dword v157, off, s[16:19], 0 offset:180
	s_and_b32 s3, s3, s4
	s_and_b32 s0, s3, s0
	v_cndmask_b32_e64 v0, v0, 3, s0
	v_cmp_eq_u32_e64 s0, 0, v0
	s_waitcnt vmcnt(2)
	v_cmp_eq_f64_e64 s5, 0, v[154:155]
	s_waitcnt vmcnt(0)
	v_cmp_eq_f64_e32 vcc_lo, 0, v[156:157]
	s_clause 0x3
	buffer_load_dword v154, off, s[16:19], 0 offset:184
	buffer_load_dword v155, off, s[16:19], 0 offset:188
	;; [unrolled: 1-line block ×4, first 2 shown]
	s_and_b32 s5, s5, vcc_lo
	s_and_b32 s0, s5, s0
	v_cndmask_b32_e64 v0, v0, 4, s0
	v_cmp_eq_u32_e32 vcc_lo, 0, v0
	s_waitcnt vmcnt(2)
	v_cmp_eq_f64_e64 s1, 0, v[154:155]
	s_waitcnt vmcnt(0)
	v_cmp_eq_f64_e64 s2, 0, v[156:157]
	s_clause 0x3
	buffer_load_dword v154, off, s[16:19], 0 offset:200
	buffer_load_dword v155, off, s[16:19], 0 offset:204
	buffer_load_dword v156, off, s[16:19], 0 offset:208
	buffer_load_dword v157, off, s[16:19], 0 offset:212
	s_and_b32 s1, s1, s2
	s_and_b32 s1, s1, vcc_lo
	v_cndmask_b32_e64 v0, v0, 5, s1
	v_cmp_eq_u32_e32 vcc_lo, 0, v0
	s_waitcnt vmcnt(2)
	v_cmp_eq_f64_e64 s3, 0, v[154:155]
	s_waitcnt vmcnt(0)
	v_cmp_eq_f64_e64 s4, 0, v[156:157]
	s_clause 0x3
	buffer_load_dword v154, off, s[16:19], 0 offset:216
	buffer_load_dword v155, off, s[16:19], 0 offset:220
	buffer_load_dword v156, off, s[16:19], 0 offset:224
	buffer_load_dword v157, off, s[16:19], 0 offset:228
	s_and_b32 s3, s3, s4
	s_and_b32 s3, s3, vcc_lo
	;; [unrolled: 13-line block ×3, first 2 shown]
	v_cndmask_b32_e64 v0, v0, 7, s0
	v_cmp_eq_u32_e64 s5, 0, v0
	s_waitcnt vmcnt(2)
	v_cmp_eq_f64_e64 s1, 0, v[154:155]
	s_waitcnt vmcnt(0)
	v_cmp_eq_f64_e64 s2, 0, v[156:157]
	s_clause 0x3
	buffer_load_dword v154, off, s[16:19], 0 offset:248
	buffer_load_dword v155, off, s[16:19], 0 offset:252
	;; [unrolled: 1-line block ×4, first 2 shown]
	s_and_b32 s1, s1, s2
	s_and_b32 s1, s1, s5
	v_cndmask_b32_e64 v206, v0, 8, s1
	s_waitcnt vmcnt(2)
	v_cmp_eq_f64_e64 s3, 0, v[154:155]
	s_waitcnt vmcnt(0)
	v_cmp_eq_f64_e64 s4, 0, v[156:157]
	s_clause 0x5
	buffer_load_dword v154, off, s[16:19], 0 offset:264
	buffer_load_dword v155, off, s[16:19], 0 offset:268
	;; [unrolled: 1-line block ×6, first 2 shown]
	s_and_b32 s5, s3, s4
	v_cmp_eq_u32_e64 s3, 0, v206
	s_and_b32 s3, s5, s3
	v_cndmask_b32_e64 v206, v206, 9, s3
	v_cmp_eq_u32_e64 s3, 0, v206
	s_waitcnt vmcnt(4)
	v_cmp_eq_f64_e32 vcc_lo, 0, v[154:155]
	s_waitcnt vmcnt(2)
	v_cmp_eq_f64_e64 s0, 0, v[156:157]
	s_clause 0x3
	buffer_load_dword v154, off, s[16:19], 0 offset:280
	buffer_load_dword v155, off, s[16:19], 0 offset:284
	;; [unrolled: 1-line block ×4, first 2 shown]
	s_waitcnt vmcnt(4)
	v_lshlrev_b64 v[0:1], 2, v[0:1]
	v_add_co_u32 v0, s4, s10, v0
	v_add_co_ci_u32_e64 v1, null, s11, v1, s4
	global_load_dword v207, v[0:1], off
	s_and_b32 s0, vcc_lo, s0
	s_and_b32 s0, s0, s3
	v_cndmask_b32_e64 v206, v206, 10, s0
	v_cmp_eq_u32_e32 vcc_lo, 0, v206
	s_waitcnt vmcnt(3)
	v_cmp_eq_f64_e64 s1, 0, v[154:155]
	s_waitcnt vmcnt(1)
	v_cmp_eq_f64_e64 s2, 0, v[156:157]
	s_clause 0x3
	buffer_load_dword v154, off, s[16:19], 0 offset:296
	buffer_load_dword v155, off, s[16:19], 0 offset:300
	buffer_load_dword v156, off, s[16:19], 0 offset:304
	buffer_load_dword v157, off, s[16:19], 0 offset:308
	s_and_b32 s1, s1, s2
	s_and_b32 s1, s1, vcc_lo
	v_cndmask_b32_e64 v206, v206, 11, s1
	v_cmp_eq_u32_e32 vcc_lo, 0, v206
	s_waitcnt vmcnt(2)
	v_cmp_eq_f64_e64 s4, 0, v[154:155]
	s_waitcnt vmcnt(0)
	v_cmp_eq_f64_e64 s5, 0, v[156:157]
	s_clause 0x3
	buffer_load_dword v154, off, s[16:19], 0 offset:312
	buffer_load_dword v155, off, s[16:19], 0 offset:316
	buffer_load_dword v156, off, s[16:19], 0 offset:320
	buffer_load_dword v157, off, s[16:19], 0 offset:324
	s_and_b32 s4, s4, s5
	s_and_b32 s4, s4, vcc_lo
	;; [unrolled: 13-line block ×13, first 2 shown]
	v_cndmask_b32_e64 v206, v206, 23, s1
	v_cmp_eq_u32_e32 vcc_lo, 0, v206
	s_waitcnt vmcnt(2)
	v_cmp_eq_f64_e64 s4, 0, v[154:155]
	s_waitcnt vmcnt(0)
	v_cmp_eq_f64_e64 s5, 0, v[156:157]
	s_clause 0x3
	buffer_load_dword v154, off, s[16:19], 0 offset:504
	buffer_load_dword v155, off, s[16:19], 0 offset:508
	buffer_load_dword v156, off, s[16:19], 0 offset:512
	buffer_load_dword v157, off, s[16:19], 0 offset:516
	s_and_b32 s4, s4, s5
	v_cmp_eq_f64_e64 s5, 0, v[160:161]
	s_and_b32 s4, s4, vcc_lo
	s_waitcnt vmcnt(2)
	v_cmp_eq_f64_e64 s0, 0, v[154:155]
	s_waitcnt vmcnt(0)
	v_cmp_eq_f64_e64 s3, 0, v[156:157]
	s_clause 0x3
	buffer_load_dword v154, off, s[16:19], 0 offset:520
	buffer_load_dword v155, off, s[16:19], 0 offset:524
	;; [unrolled: 1-line block ×4, first 2 shown]
	s_and_b32 s0, s0, s3
	v_cmp_eq_f64_e64 s3, 0, v[164:165]
	s_waitcnt vmcnt(2)
	v_cmp_eq_f64_e64 s1, 0, v[154:155]
	v_cndmask_b32_e64 v154, v206, 24, s4
	s_waitcnt vmcnt(0)
	v_cmp_eq_f64_e64 s2, 0, v[156:157]
	v_cmp_eq_f64_e64 s4, 0, v[158:159]
	v_cmp_eq_u32_e32 vcc_lo, 0, v154
	s_and_b32 s0, s0, vcc_lo
	v_cndmask_b32_e64 v154, v154, 25, s0
	v_cmp_eq_f64_e64 s0, 0, v[162:163]
	v_cmp_eq_u32_e32 vcc_lo, 0, v154
	s_and_b32 s1, s1, s2
	s_and_b32 s4, s4, s5
	s_and_b32 s1, s1, vcc_lo
	v_cmp_eq_f64_e64 s2, 0, v[168:169]
	v_cndmask_b32_e64 v154, v154, 26, s1
	v_cmp_eq_f64_e64 s1, 0, v[166:167]
	v_cmp_eq_f64_e64 s5, 0, v[172:173]
	v_cmp_eq_u32_e32 vcc_lo, 0, v154
	s_and_b32 s0, s0, s3
	v_cmp_eq_f64_e64 s3, 0, v[176:177]
	s_and_b32 s4, s4, vcc_lo
	v_cndmask_b32_e64 v154, v154, 27, s4
	v_cmp_eq_f64_e64 s4, 0, v[170:171]
	v_cmp_eq_u32_e32 vcc_lo, 0, v154
	s_and_b32 s0, s0, vcc_lo
	s_and_b32 s1, s1, s2
	v_cndmask_b32_e64 v154, v154, 28, s0
	v_cmp_eq_f64_e64 s0, 0, v[174:175]
	v_cmp_eq_f64_e64 s2, 0, v[180:181]
	v_cmp_eq_u32_e32 vcc_lo, 0, v154
	s_and_b32 s1, s1, vcc_lo
	s_and_b32 s4, s4, s5
	v_cndmask_b32_e64 v154, v154, 29, s1
	v_cmp_eq_f64_e64 s1, 0, v[178:179]
	;; [unrolled: 6-line block ×8, first 2 shown]
	v_cmp_eq_u32_e32 vcc_lo, 0, v154
	s_and_b32 s4, s4, vcc_lo
	s_and_b32 s0, s0, s3
	v_cndmask_b32_e64 v154, v154, 36, s4
	v_cmp_eq_u32_e32 vcc_lo, 0, v154
	s_and_b32 s0, s0, vcc_lo
	v_cndmask_b32_e64 v154, v154, 37, s0
	s_and_b32 s0, s1, s2
	v_cmp_eq_u32_e32 vcc_lo, 0, v154
	s_and_b32 s0, s0, vcc_lo
	v_cmp_eq_u32_e32 vcc_lo, 0, v207
	v_cndmask_b32_e64 v154, v154, 38, s0
	v_cmp_ne_u32_e64 s0, 0, v154
	s_and_b32 s0, vcc_lo, s0
	s_and_b32 exec_lo, exec_lo, s0
	s_cbranch_execz .LBB75_346
; %bb.345:
	v_add_nc_u32_e32 v154, s13, v154
	global_store_dword v[0:1], v154, off
.LBB75_346:
	s_or_b32 exec_lo, exec_lo, s6
	s_clause 0x1
	buffer_load_dword v0, off, s[16:19], 0 offset:112
	buffer_load_dword v1, off, s[16:19], 0 offset:116
	s_waitcnt vmcnt(0)
	global_store_dwordx4 v[0:1], v[150:153], off
	s_clause 0x1
	buffer_load_dword v0, off, s[16:19], 0 offset:104
	buffer_load_dword v1, off, s[16:19], 0 offset:108
	s_waitcnt vmcnt(0)
	global_store_dwordx4 v[0:1], v[146:149], off
	global_store_dwordx4 v[215:216], v[142:145], off
	;; [unrolled: 1-line block ×24, first 2 shown]
	s_clause 0x1
	buffer_load_dword v0, off, s[16:19], 0
	buffer_load_dword v1, off, s[16:19], 0 offset:4
	s_waitcnt vmcnt(0)
	global_store_dwordx4 v[0:1], v[50:53], off
	s_clause 0x1
	buffer_load_dword v0, off, s[16:19], 0 offset:8
	buffer_load_dword v1, off, s[16:19], 0 offset:12
	s_waitcnt vmcnt(0)
	global_store_dwordx4 v[0:1], v[46:49], off
	s_clause 0x1
	buffer_load_dword v0, off, s[16:19], 0 offset:16
	;; [unrolled: 5-line block ×12, first 2 shown]
	buffer_load_dword v1, off, s[16:19], 0 offset:100
	s_waitcnt vmcnt(0)
	global_store_dwordx4 v[0:1], v[2:5], off
.LBB75_347:
	s_endpgm
	.section	.rodata,"a",@progbits
	.p2align	6, 0x0
	.amdhsa_kernel _ZN9rocsolver6v33100L23getf2_npvt_small_kernelILi38E19rocblas_complex_numIdEiiPS3_EEvT1_T3_lS5_lPT2_S5_S5_
		.amdhsa_group_segment_fixed_size 0
		.amdhsa_private_segment_fixed_size 548
		.amdhsa_kernarg_size 312
		.amdhsa_user_sgpr_count 6
		.amdhsa_user_sgpr_private_segment_buffer 1
		.amdhsa_user_sgpr_dispatch_ptr 0
		.amdhsa_user_sgpr_queue_ptr 0
		.amdhsa_user_sgpr_kernarg_segment_ptr 1
		.amdhsa_user_sgpr_dispatch_id 0
		.amdhsa_user_sgpr_flat_scratch_init 0
		.amdhsa_user_sgpr_private_segment_size 0
		.amdhsa_wavefront_size32 1
		.amdhsa_uses_dynamic_stack 0
		.amdhsa_system_sgpr_private_segment_wavefront_offset 1
		.amdhsa_system_sgpr_workgroup_id_x 1
		.amdhsa_system_sgpr_workgroup_id_y 1
		.amdhsa_system_sgpr_workgroup_id_z 0
		.amdhsa_system_sgpr_workgroup_info 0
		.amdhsa_system_vgpr_workitem_id 1
		.amdhsa_next_free_vgpr 256
		.amdhsa_next_free_sgpr 20
		.amdhsa_reserve_vcc 1
		.amdhsa_reserve_flat_scratch 0
		.amdhsa_float_round_mode_32 0
		.amdhsa_float_round_mode_16_64 0
		.amdhsa_float_denorm_mode_32 3
		.amdhsa_float_denorm_mode_16_64 3
		.amdhsa_dx10_clamp 1
		.amdhsa_ieee_mode 1
		.amdhsa_fp16_overflow 0
		.amdhsa_workgroup_processor_mode 1
		.amdhsa_memory_ordered 1
		.amdhsa_forward_progress 1
		.amdhsa_shared_vgpr_count 0
		.amdhsa_exception_fp_ieee_invalid_op 0
		.amdhsa_exception_fp_denorm_src 0
		.amdhsa_exception_fp_ieee_div_zero 0
		.amdhsa_exception_fp_ieee_overflow 0
		.amdhsa_exception_fp_ieee_underflow 0
		.amdhsa_exception_fp_ieee_inexact 0
		.amdhsa_exception_int_div_zero 0
	.end_amdhsa_kernel
	.section	.text._ZN9rocsolver6v33100L23getf2_npvt_small_kernelILi38E19rocblas_complex_numIdEiiPS3_EEvT1_T3_lS5_lPT2_S5_S5_,"axG",@progbits,_ZN9rocsolver6v33100L23getf2_npvt_small_kernelILi38E19rocblas_complex_numIdEiiPS3_EEvT1_T3_lS5_lPT2_S5_S5_,comdat
.Lfunc_end75:
	.size	_ZN9rocsolver6v33100L23getf2_npvt_small_kernelILi38E19rocblas_complex_numIdEiiPS3_EEvT1_T3_lS5_lPT2_S5_S5_, .Lfunc_end75-_ZN9rocsolver6v33100L23getf2_npvt_small_kernelILi38E19rocblas_complex_numIdEiiPS3_EEvT1_T3_lS5_lPT2_S5_S5_
                                        ; -- End function
	.set _ZN9rocsolver6v33100L23getf2_npvt_small_kernelILi38E19rocblas_complex_numIdEiiPS3_EEvT1_T3_lS5_lPT2_S5_S5_.num_vgpr, 256
	.set _ZN9rocsolver6v33100L23getf2_npvt_small_kernelILi38E19rocblas_complex_numIdEiiPS3_EEvT1_T3_lS5_lPT2_S5_S5_.num_agpr, 0
	.set _ZN9rocsolver6v33100L23getf2_npvt_small_kernelILi38E19rocblas_complex_numIdEiiPS3_EEvT1_T3_lS5_lPT2_S5_S5_.numbered_sgpr, 20
	.set _ZN9rocsolver6v33100L23getf2_npvt_small_kernelILi38E19rocblas_complex_numIdEiiPS3_EEvT1_T3_lS5_lPT2_S5_S5_.num_named_barrier, 0
	.set _ZN9rocsolver6v33100L23getf2_npvt_small_kernelILi38E19rocblas_complex_numIdEiiPS3_EEvT1_T3_lS5_lPT2_S5_S5_.private_seg_size, 548
	.set _ZN9rocsolver6v33100L23getf2_npvt_small_kernelILi38E19rocblas_complex_numIdEiiPS3_EEvT1_T3_lS5_lPT2_S5_S5_.uses_vcc, 1
	.set _ZN9rocsolver6v33100L23getf2_npvt_small_kernelILi38E19rocblas_complex_numIdEiiPS3_EEvT1_T3_lS5_lPT2_S5_S5_.uses_flat_scratch, 0
	.set _ZN9rocsolver6v33100L23getf2_npvt_small_kernelILi38E19rocblas_complex_numIdEiiPS3_EEvT1_T3_lS5_lPT2_S5_S5_.has_dyn_sized_stack, 0
	.set _ZN9rocsolver6v33100L23getf2_npvt_small_kernelILi38E19rocblas_complex_numIdEiiPS3_EEvT1_T3_lS5_lPT2_S5_S5_.has_recursion, 0
	.set _ZN9rocsolver6v33100L23getf2_npvt_small_kernelILi38E19rocblas_complex_numIdEiiPS3_EEvT1_T3_lS5_lPT2_S5_S5_.has_indirect_call, 0
	.section	.AMDGPU.csdata,"",@progbits
; Kernel info:
; codeLenInByte = 77752
; TotalNumSgprs: 22
; NumVgprs: 256
; ScratchSize: 548
; MemoryBound: 1
; FloatMode: 240
; IeeeMode: 1
; LDSByteSize: 0 bytes/workgroup (compile time only)
; SGPRBlocks: 0
; VGPRBlocks: 31
; NumSGPRsForWavesPerEU: 22
; NumVGPRsForWavesPerEU: 256
; Occupancy: 4
; WaveLimiterHint : 0
; COMPUTE_PGM_RSRC2:SCRATCH_EN: 1
; COMPUTE_PGM_RSRC2:USER_SGPR: 6
; COMPUTE_PGM_RSRC2:TRAP_HANDLER: 0
; COMPUTE_PGM_RSRC2:TGID_X_EN: 1
; COMPUTE_PGM_RSRC2:TGID_Y_EN: 1
; COMPUTE_PGM_RSRC2:TGID_Z_EN: 0
; COMPUTE_PGM_RSRC2:TIDIG_COMP_CNT: 1
	.section	.text._ZN9rocsolver6v33100L18getf2_small_kernelILi39E19rocblas_complex_numIdEiiPS3_EEvT1_T3_lS5_lPS5_llPT2_S5_S5_S7_l,"axG",@progbits,_ZN9rocsolver6v33100L18getf2_small_kernelILi39E19rocblas_complex_numIdEiiPS3_EEvT1_T3_lS5_lPS5_llPT2_S5_S5_S7_l,comdat
	.globl	_ZN9rocsolver6v33100L18getf2_small_kernelILi39E19rocblas_complex_numIdEiiPS3_EEvT1_T3_lS5_lPS5_llPT2_S5_S5_S7_l ; -- Begin function _ZN9rocsolver6v33100L18getf2_small_kernelILi39E19rocblas_complex_numIdEiiPS3_EEvT1_T3_lS5_lPS5_llPT2_S5_S5_S7_l
	.p2align	8
	.type	_ZN9rocsolver6v33100L18getf2_small_kernelILi39E19rocblas_complex_numIdEiiPS3_EEvT1_T3_lS5_lPS5_llPT2_S5_S5_S7_l,@function
_ZN9rocsolver6v33100L18getf2_small_kernelILi39E19rocblas_complex_numIdEiiPS3_EEvT1_T3_lS5_lPS5_llPT2_S5_S5_S7_l: ; @_ZN9rocsolver6v33100L18getf2_small_kernelILi39E19rocblas_complex_numIdEiiPS3_EEvT1_T3_lS5_lPS5_llPT2_S5_S5_S7_l
; %bb.0:
	s_clause 0x1
	s_load_dword s0, s[4:5], 0x6c
	s_load_dwordx2 s[16:17], s[4:5], 0x48
	s_waitcnt lgkmcnt(0)
	s_lshr_b32 s0, s0, 16
	v_mad_u64_u32 v[162:163], null, s7, s0, v[1:2]
	s_mov_b32 s0, exec_lo
	v_cmpx_gt_i32_e64 s16, v162
	s_cbranch_execz .LBB76_822
; %bb.1:
	s_load_dwordx4 s[0:3], s[4:5], 0x50
	v_mov_b32_e32 v164, 0
	v_ashrrev_i32_e32 v163, 31, v162
	v_mov_b32_e32 v165, 0
	s_waitcnt lgkmcnt(0)
	s_cmp_eq_u64 s[0:1], 0
	s_cselect_b32 s16, -1, 0
	s_and_b32 vcc_lo, exec_lo, s16
	s_cbranch_vccnz .LBB76_3
; %bb.2:
	v_mul_lo_u32 v4, s3, v162
	v_mul_lo_u32 v5, s2, v163
	v_mad_u64_u32 v[2:3], null, s2, v162, 0
	v_add3_u32 v3, v3, v5, v4
	v_lshlrev_b64 v[2:3], 2, v[2:3]
	v_add_co_u32 v164, vcc_lo, s0, v2
	v_add_co_ci_u32_e64 v165, null, s1, v3, vcc_lo
.LBB76_3:
	s_clause 0x2
	s_load_dwordx8 s[8:15], s[4:5], 0x20
	s_load_dword s2, s[4:5], 0x18
	s_load_dwordx4 s[20:23], s[4:5], 0x8
	v_lshlrev_b32_e32 v168, 4, v0
	s_clause 0x1
	s_load_dword s1, s[4:5], 0x0
	s_load_dwordx2 s[4:5], s[4:5], 0x40
	s_waitcnt lgkmcnt(0)
	v_mul_lo_u32 v5, s9, v162
	v_add3_u32 v4, s2, s2, v0
	v_mul_lo_u32 v7, s8, v163
	v_mad_u64_u32 v[2:3], null, s8, v162, 0
	s_lshl_b64 s[8:9], s[22:23], 4
	v_add_nc_u32_e32 v6, s2, v4
	s_ashr_i32 s3, s2, 31
	s_max_i32 s0, s1, 39
	s_lshl_b64 s[6:7], s[2:3], 4
	s_cmp_lt_i32 s1, 2
	v_add3_u32 v3, v3, v7, v5
	v_add_nc_u32_e32 v8, s2, v6
	v_ashrrev_i32_e32 v5, 31, v4
	v_ashrrev_i32_e32 v7, 31, v6
	v_lshlrev_b64 v[2:3], 4, v[2:3]
	v_add_nc_u32_e32 v10, s2, v8
	v_ashrrev_i32_e32 v9, 31, v8
	v_lshlrev_b64 v[4:5], 4, v[4:5]
	v_lshlrev_b64 v[6:7], 4, v[6:7]
	v_add_co_u32 v12, vcc_lo, s20, v2
	v_add_nc_u32_e32 v2, s2, v10
	v_add_co_ci_u32_e64 v3, null, s21, v3, vcc_lo
	v_add_co_u32 v169, vcc_lo, v12, s8
	v_add_nc_u32_e32 v12, s2, v2
	v_ashrrev_i32_e32 v11, 31, v10
	v_add_co_ci_u32_e64 v170, null, s9, v3, vcc_lo
	v_lshlrev_b64 v[8:9], 4, v[8:9]
	v_add_co_u32 v14, vcc_lo, v169, v168
	v_add_nc_u32_e32 v16, s2, v12
	v_ashrrev_i32_e32 v3, 31, v2
	v_lshlrev_b64 v[10:11], 4, v[10:11]
	v_add_co_ci_u32_e64 v15, null, 0, v170, vcc_lo
	v_add_co_u32 v4, vcc_lo, v169, v4
	v_ashrrev_i32_e32 v13, 31, v12
	v_add_co_ci_u32_e64 v5, null, v170, v5, vcc_lo
	v_add_co_u32 v6, vcc_lo, v169, v6
	v_add_nc_u32_e32 v18, s2, v16
	v_lshlrev_b64 v[2:3], 4, v[2:3]
	v_add_co_ci_u32_e64 v7, null, v170, v7, vcc_lo
	v_add_co_u32 v8, vcc_lo, v169, v8
	v_add_co_ci_u32_e64 v9, null, v170, v9, vcc_lo
	v_add_co_u32 v10, vcc_lo, v169, v10
	v_lshlrev_b64 v[12:13], 4, v[12:13]
	v_add_co_ci_u32_e64 v11, null, v170, v11, vcc_lo
	v_ashrrev_i32_e32 v17, 31, v16
	v_add_co_u32 v20, vcc_lo, v14, s6
	s_clause 0x1
	global_load_dwordx4 v[146:149], v[4:5], off
	global_load_dwordx4 v[142:145], v[6:7], off
	v_add_nc_u32_e32 v6, s2, v18
	v_add_co_ci_u32_e64 v21, null, s7, v15, vcc_lo
	v_add_co_u32 v2, vcc_lo, v169, v2
	v_ashrrev_i32_e32 v19, 31, v18
	v_add_co_ci_u32_e64 v3, null, v170, v3, vcc_lo
	s_clause 0x1
	global_load_dwordx4 v[134:137], v[8:9], off
	global_load_dwordx4 v[130:133], v[10:11], off
	v_add_co_u32 v8, vcc_lo, v169, v12
	v_lshlrev_b64 v[4:5], 4, v[16:17]
	v_ashrrev_i32_e32 v7, 31, v6
	v_add_nc_u32_e32 v12, s2, v6
	v_add_co_ci_u32_e64 v9, null, v170, v13, vcc_lo
	v_lshlrev_b64 v[10:11], 4, v[18:19]
	s_clause 0x3
	global_load_dwordx4 v[154:157], v[14:15], off
	global_load_dwordx4 v[150:153], v[20:21], off
	;; [unrolled: 1-line block ×4, first 2 shown]
	v_lshlrev_b64 v[2:3], 4, v[6:7]
	v_ashrrev_i32_e32 v13, 31, v12
	v_add_nc_u32_e32 v6, s2, v12
	v_add_co_u32 v4, vcc_lo, v169, v4
	v_add_co_ci_u32_e64 v5, null, v170, v5, vcc_lo
	v_add_co_u32 v8, vcc_lo, v169, v10
	v_add_co_ci_u32_e64 v9, null, v170, v11, vcc_lo
	v_lshlrev_b64 v[10:11], 4, v[12:13]
	v_ashrrev_i32_e32 v7, 31, v6
	v_add_nc_u32_e32 v12, s2, v6
	s_clause 0x1
	global_load_dwordx4 v[126:129], v[4:5], off
	global_load_dwordx4 v[110:113], v[8:9], off
	v_add_co_u32 v2, vcc_lo, v169, v2
	v_lshlrev_b64 v[4:5], 4, v[6:7]
	v_ashrrev_i32_e32 v13, 31, v12
	v_add_nc_u32_e32 v6, s2, v12
	v_add_co_ci_u32_e64 v3, null, v170, v3, vcc_lo
	v_add_co_u32 v8, vcc_lo, v169, v10
	v_add_co_ci_u32_e64 v9, null, v170, v11, vcc_lo
	v_lshlrev_b64 v[10:11], 4, v[12:13]
	v_ashrrev_i32_e32 v7, 31, v6
	v_add_nc_u32_e32 v12, s2, v6
	s_clause 0x1
	global_load_dwordx4 v[118:121], v[2:3], off
	global_load_dwordx4 v[114:117], v[8:9], off
	v_add_co_u32 v4, vcc_lo, v169, v4
	v_lshlrev_b64 v[2:3], 4, v[6:7]
	v_ashrrev_i32_e32 v13, 31, v12
	v_add_nc_u32_e32 v6, s2, v12
	v_add_co_ci_u32_e64 v5, null, v170, v5, vcc_lo
	v_add_co_u32 v8, vcc_lo, v169, v10
	v_add_co_ci_u32_e64 v9, null, v170, v11, vcc_lo
	v_lshlrev_b64 v[10:11], 4, v[12:13]
	v_ashrrev_i32_e32 v7, 31, v6
	v_add_nc_u32_e32 v12, s2, v6
	s_clause 0x1
	global_load_dwordx4 v[106:109], v[4:5], off
	global_load_dwordx4 v[102:105], v[8:9], off
	v_add_co_u32 v2, vcc_lo, v169, v2
	v_lshlrev_b64 v[4:5], 4, v[6:7]
	v_ashrrev_i32_e32 v13, 31, v12
	v_add_nc_u32_e32 v6, s2, v12
	v_add_co_ci_u32_e64 v3, null, v170, v3, vcc_lo
	v_add_co_u32 v8, vcc_lo, v169, v10
	v_add_co_ci_u32_e64 v9, null, v170, v11, vcc_lo
	v_lshlrev_b64 v[10:11], 4, v[12:13]
	v_ashrrev_i32_e32 v7, 31, v6
	v_add_nc_u32_e32 v12, s2, v6
	s_clause 0x1
	global_load_dwordx4 v[94:97], v[2:3], off
	global_load_dwordx4 v[90:93], v[8:9], off
	v_add_co_u32 v4, vcc_lo, v169, v4
	v_lshlrev_b64 v[2:3], 4, v[6:7]
	v_ashrrev_i32_e32 v13, 31, v12
	v_add_nc_u32_e32 v6, s2, v12
	v_add_co_ci_u32_e64 v5, null, v170, v5, vcc_lo
	v_add_co_u32 v8, vcc_lo, v169, v10
	v_add_co_ci_u32_e64 v9, null, v170, v11, vcc_lo
	v_lshlrev_b64 v[10:11], 4, v[12:13]
	v_ashrrev_i32_e32 v7, 31, v6
	v_add_nc_u32_e32 v12, s2, v6
	s_clause 0x1
	global_load_dwordx4 v[98:101], v[4:5], off
	global_load_dwordx4 v[82:85], v[8:9], off
	v_add_co_u32 v2, vcc_lo, v169, v2
	v_lshlrev_b64 v[4:5], 4, v[6:7]
	v_ashrrev_i32_e32 v13, 31, v12
	v_add_nc_u32_e32 v6, s2, v12
	v_add_co_ci_u32_e64 v3, null, v170, v3, vcc_lo
	v_add_co_u32 v8, vcc_lo, v169, v10
	v_add_co_ci_u32_e64 v9, null, v170, v11, vcc_lo
	v_lshlrev_b64 v[10:11], 4, v[12:13]
	v_ashrrev_i32_e32 v7, 31, v6
	v_add_nc_u32_e32 v12, s2, v6
	s_clause 0x1
	global_load_dwordx4 v[86:89], v[2:3], off
	global_load_dwordx4 v[70:73], v[8:9], off
	v_add_co_u32 v4, vcc_lo, v169, v4
	v_lshlrev_b64 v[2:3], 4, v[6:7]
	v_ashrrev_i32_e32 v13, 31, v12
	v_add_nc_u32_e32 v6, s2, v12
	v_add_co_ci_u32_e64 v5, null, v170, v5, vcc_lo
	v_add_co_u32 v8, vcc_lo, v169, v10
	v_add_co_ci_u32_e64 v9, null, v170, v11, vcc_lo
	v_lshlrev_b64 v[10:11], 4, v[12:13]
	v_ashrrev_i32_e32 v7, 31, v6
	v_add_nc_u32_e32 v12, s2, v6
	s_clause 0x1
	global_load_dwordx4 v[78:81], v[4:5], off
	global_load_dwordx4 v[74:77], v[8:9], off
	v_add_co_u32 v2, vcc_lo, v169, v2
	v_lshlrev_b64 v[4:5], 4, v[6:7]
	v_ashrrev_i32_e32 v13, 31, v12
	v_add_nc_u32_e32 v6, s2, v12
	v_add_co_ci_u32_e64 v3, null, v170, v3, vcc_lo
	v_add_co_u32 v8, vcc_lo, v169, v10
	v_add_co_ci_u32_e64 v9, null, v170, v11, vcc_lo
	v_lshlrev_b64 v[10:11], 4, v[12:13]
	v_ashrrev_i32_e32 v7, 31, v6
	v_add_nc_u32_e32 v12, s2, v6
	s_clause 0x1
	global_load_dwordx4 v[66:69], v[2:3], off
	global_load_dwordx4 v[62:65], v[8:9], off
	v_add_co_u32 v4, vcc_lo, v169, v4
	v_lshlrev_b64 v[2:3], 4, v[6:7]
	v_ashrrev_i32_e32 v13, 31, v12
	v_add_nc_u32_e32 v6, s2, v12
	v_add_co_ci_u32_e64 v5, null, v170, v5, vcc_lo
	v_add_co_u32 v8, vcc_lo, v169, v10
	v_add_co_ci_u32_e64 v9, null, v170, v11, vcc_lo
	v_lshlrev_b64 v[10:11], 4, v[12:13]
	v_ashrrev_i32_e32 v7, 31, v6
	v_add_nc_u32_e32 v12, s2, v6
	s_clause 0x1
	global_load_dwordx4 v[54:57], v[4:5], off
	global_load_dwordx4 v[50:53], v[8:9], off
	v_add_co_u32 v2, vcc_lo, v169, v2
	v_lshlrev_b64 v[4:5], 4, v[6:7]
	v_ashrrev_i32_e32 v13, 31, v12
	v_add_nc_u32_e32 v6, s2, v12
	v_add_co_ci_u32_e64 v3, null, v170, v3, vcc_lo
	v_add_co_u32 v8, vcc_lo, v169, v10
	v_add_co_ci_u32_e64 v9, null, v170, v11, vcc_lo
	v_lshlrev_b64 v[10:11], 4, v[12:13]
	v_ashrrev_i32_e32 v7, 31, v6
	v_add_nc_u32_e32 v12, s2, v6
	s_clause 0x1
	global_load_dwordx4 v[58:61], v[2:3], off
	global_load_dwordx4 v[34:37], v[8:9], off
	v_add_co_u32 v4, vcc_lo, v169, v4
	v_lshlrev_b64 v[2:3], 4, v[6:7]
	v_ashrrev_i32_e32 v13, 31, v12
	v_add_nc_u32_e32 v6, s2, v12
	v_add_co_ci_u32_e64 v5, null, v170, v5, vcc_lo
	v_add_co_u32 v8, vcc_lo, v169, v10
	v_add_co_ci_u32_e64 v9, null, v170, v11, vcc_lo
	v_lshlrev_b64 v[10:11], 4, v[12:13]
	v_ashrrev_i32_e32 v7, 31, v6
	v_add_nc_u32_e32 v12, s2, v6
	s_clause 0x1
	global_load_dwordx4 v[46:49], v[4:5], off
	global_load_dwordx4 v[30:33], v[8:9], off
	v_add_co_u32 v2, vcc_lo, v169, v2
	v_lshlrev_b64 v[4:5], 4, v[6:7]
	v_ashrrev_i32_e32 v13, 31, v12
	v_add_nc_u32_e32 v6, s2, v12
	v_add_co_ci_u32_e64 v3, null, v170, v3, vcc_lo
	v_add_co_u32 v8, vcc_lo, v169, v10
	v_add_co_ci_u32_e64 v9, null, v170, v11, vcc_lo
	v_lshlrev_b64 v[10:11], 4, v[12:13]
	v_add_nc_u32_e32 v12, s2, v6
	v_ashrrev_i32_e32 v7, 31, v6
	v_add_co_u32 v4, vcc_lo, v169, v4
	v_add_co_ci_u32_e64 v5, null, v170, v5, vcc_lo
	v_add_nc_u32_e32 v14, s2, v12
	v_ashrrev_i32_e32 v13, 31, v12
	v_lshlrev_b64 v[6:7], 4, v[6:7]
	v_add_co_u32 v10, vcc_lo, v169, v10
	v_add_nc_u32_e32 v16, s2, v14
	v_ashrrev_i32_e32 v15, 31, v14
	v_lshlrev_b64 v[12:13], 4, v[12:13]
	v_add_co_ci_u32_e64 v11, null, v170, v11, vcc_lo
	v_add_nc_u32_e32 v18, s2, v16
	v_lshlrev_b64 v[14:15], 4, v[14:15]
	v_ashrrev_i32_e32 v17, 31, v16
	v_add_co_u32 v6, vcc_lo, v169, v6
	v_ashrrev_i32_e32 v19, 31, v18
	v_add_co_ci_u32_e64 v7, null, v170, v7, vcc_lo
	v_add_co_u32 v12, vcc_lo, v169, v12
	v_add_co_ci_u32_e64 v13, null, v170, v13, vcc_lo
	v_lshlrev_b64 v[16:17], 4, v[16:17]
	v_add_co_u32 v158, vcc_lo, v169, v14
	v_add_co_ci_u32_e64 v159, null, v170, v15, vcc_lo
	v_lshlrev_b64 v[14:15], 4, v[18:19]
	v_add_co_u32 v160, vcc_lo, v169, v16
	v_add_co_ci_u32_e64 v161, null, v170, v17, vcc_lo
	v_add_co_u32 v166, vcc_lo, v169, v14
	v_add_co_ci_u32_e64 v167, null, v170, v15, vcc_lo
	s_clause 0x8
	global_load_dwordx4 v[38:41], v[2:3], off
	global_load_dwordx4 v[42:45], v[8:9], off
	;; [unrolled: 1-line block ×9, first 2 shown]
	v_mul_lo_u32 v166, s0, v1
	v_lshl_add_u32 v1, v166, 4, 0
	v_add_nc_u32_e32 v158, v1, v168
	v_lshlrev_b32_e32 v168, 4, v166
	v_mov_b32_e32 v166, 0
	s_waitcnt vmcnt(34)
	ds_write2_b64 v158, v[154:155], v[156:157] offset1:1
	s_waitcnt vmcnt(0) lgkmcnt(0)
	s_barrier
	buffer_gl0_inv
	ds_read2_b64 v[158:161], v1 offset1:1
	s_cbranch_scc1 .LBB76_6
; %bb.4:
	v_add3_u32 v167, v168, 0, 16
	v_mov_b32_e32 v166, 0
	s_mov_b32 s3, 1
	s_inst_prefetch 0x1
	.p2align	6
.LBB76_5:                               ; =>This Inner Loop Header: Depth=1
	s_waitcnt lgkmcnt(0)
	v_cmp_gt_f64_e32 vcc_lo, 0, v[160:161]
	v_cmp_gt_f64_e64 s0, 0, v[158:159]
	ds_read2_b64 v[171:174], v167 offset1:1
	v_xor_b32_e32 v176, 0x80000000, v159
	v_xor_b32_e32 v178, 0x80000000, v161
	v_mov_b32_e32 v175, v158
	v_mov_b32_e32 v177, v160
	v_add_nc_u32_e32 v167, 16, v167
	s_waitcnt lgkmcnt(0)
	v_xor_b32_e32 v180, 0x80000000, v174
	v_cndmask_b32_e64 v176, v159, v176, s0
	v_cndmask_b32_e32 v178, v161, v178, vcc_lo
	v_cmp_gt_f64_e32 vcc_lo, 0, v[173:174]
	v_cmp_gt_f64_e64 s0, 0, v[171:172]
	v_mov_b32_e32 v179, v173
	v_add_f64 v[175:176], v[175:176], v[177:178]
	v_xor_b32_e32 v178, 0x80000000, v172
	v_mov_b32_e32 v177, v171
	v_cndmask_b32_e32 v180, v174, v180, vcc_lo
	v_cndmask_b32_e64 v178, v172, v178, s0
	v_add_f64 v[177:178], v[177:178], v[179:180]
	v_cmp_lt_f64_e32 vcc_lo, v[175:176], v[177:178]
	v_cndmask_b32_e32 v159, v159, v172, vcc_lo
	v_cndmask_b32_e32 v158, v158, v171, vcc_lo
	;; [unrolled: 1-line block ×4, first 2 shown]
	v_cndmask_b32_e64 v166, v166, s3, vcc_lo
	s_add_i32 s3, s3, 1
	s_cmp_eq_u32 s1, s3
	s_cbranch_scc0 .LBB76_5
.LBB76_6:
	s_inst_prefetch 0x2
	s_waitcnt lgkmcnt(0)
	v_cmp_neq_f64_e32 vcc_lo, 0, v[158:159]
	v_cmp_neq_f64_e64 s0, 0, v[160:161]
	v_mov_b32_e32 v171, 1
	v_mov_b32_e32 v173, 1
	s_or_b32 s3, vcc_lo, s0
	s_and_saveexec_b32 s0, s3
	s_cbranch_execz .LBB76_12
; %bb.7:
	v_cmp_ngt_f64_e64 s3, |v[158:159]|, |v[160:161]|
	s_and_saveexec_b32 s8, s3
	s_xor_b32 s3, exec_lo, s8
	s_cbranch_execz .LBB76_9
; %bb.8:
	v_div_scale_f64 v[171:172], null, v[160:161], v[160:161], v[158:159]
	v_div_scale_f64 v[177:178], vcc_lo, v[158:159], v[160:161], v[158:159]
	v_rcp_f64_e32 v[173:174], v[171:172]
	v_fma_f64 v[175:176], -v[171:172], v[173:174], 1.0
	v_fma_f64 v[173:174], v[173:174], v[175:176], v[173:174]
	v_fma_f64 v[175:176], -v[171:172], v[173:174], 1.0
	v_fma_f64 v[173:174], v[173:174], v[175:176], v[173:174]
	v_mul_f64 v[175:176], v[177:178], v[173:174]
	v_fma_f64 v[171:172], -v[171:172], v[175:176], v[177:178]
	v_div_fmas_f64 v[171:172], v[171:172], v[173:174], v[175:176]
	v_div_fixup_f64 v[171:172], v[171:172], v[160:161], v[158:159]
	v_fma_f64 v[158:159], v[158:159], v[171:172], v[160:161]
	v_div_scale_f64 v[160:161], null, v[158:159], v[158:159], 1.0
	v_rcp_f64_e32 v[173:174], v[160:161]
	v_fma_f64 v[175:176], -v[160:161], v[173:174], 1.0
	v_fma_f64 v[173:174], v[173:174], v[175:176], v[173:174]
	v_fma_f64 v[175:176], -v[160:161], v[173:174], 1.0
	v_fma_f64 v[173:174], v[173:174], v[175:176], v[173:174]
	v_div_scale_f64 v[175:176], vcc_lo, 1.0, v[158:159], 1.0
	v_mul_f64 v[177:178], v[175:176], v[173:174]
	v_fma_f64 v[160:161], -v[160:161], v[177:178], v[175:176]
	v_div_fmas_f64 v[160:161], v[160:161], v[173:174], v[177:178]
	v_div_fixup_f64 v[160:161], v[160:161], v[158:159], 1.0
	v_mul_f64 v[158:159], v[171:172], v[160:161]
	v_xor_b32_e32 v161, 0x80000000, v161
.LBB76_9:
	s_andn2_saveexec_b32 s3, s3
	s_cbranch_execz .LBB76_11
; %bb.10:
	v_div_scale_f64 v[171:172], null, v[158:159], v[158:159], v[160:161]
	v_div_scale_f64 v[177:178], vcc_lo, v[160:161], v[158:159], v[160:161]
	v_rcp_f64_e32 v[173:174], v[171:172]
	v_fma_f64 v[175:176], -v[171:172], v[173:174], 1.0
	v_fma_f64 v[173:174], v[173:174], v[175:176], v[173:174]
	v_fma_f64 v[175:176], -v[171:172], v[173:174], 1.0
	v_fma_f64 v[173:174], v[173:174], v[175:176], v[173:174]
	v_mul_f64 v[175:176], v[177:178], v[173:174]
	v_fma_f64 v[171:172], -v[171:172], v[175:176], v[177:178]
	v_div_fmas_f64 v[171:172], v[171:172], v[173:174], v[175:176]
	v_div_fixup_f64 v[171:172], v[171:172], v[158:159], v[160:161]
	v_fma_f64 v[158:159], v[160:161], v[171:172], v[158:159]
	v_div_scale_f64 v[160:161], null, v[158:159], v[158:159], 1.0
	v_rcp_f64_e32 v[173:174], v[160:161]
	v_fma_f64 v[175:176], -v[160:161], v[173:174], 1.0
	v_fma_f64 v[173:174], v[173:174], v[175:176], v[173:174]
	v_fma_f64 v[175:176], -v[160:161], v[173:174], 1.0
	v_fma_f64 v[173:174], v[173:174], v[175:176], v[173:174]
	v_div_scale_f64 v[175:176], vcc_lo, 1.0, v[158:159], 1.0
	v_mul_f64 v[177:178], v[175:176], v[173:174]
	v_fma_f64 v[160:161], -v[160:161], v[177:178], v[175:176]
	v_div_fmas_f64 v[160:161], v[160:161], v[173:174], v[177:178]
	v_div_fixup_f64 v[158:159], v[160:161], v[158:159], 1.0
	v_mul_f64 v[160:161], v[171:172], -v[158:159]
.LBB76_11:
	s_or_b32 exec_lo, exec_lo, s3
	v_mov_b32_e32 v173, 0
	v_mov_b32_e32 v171, 2
.LBB76_12:
	s_or_b32 exec_lo, exec_lo, s0
	s_mov_b32 s0, exec_lo
	v_cmpx_ne_u32_e64 v0, v166
	s_xor_b32 s0, exec_lo, s0
	s_cbranch_execz .LBB76_18
; %bb.13:
	s_mov_b32 s3, exec_lo
	v_cmpx_eq_u32_e32 0, v0
	s_cbranch_execz .LBB76_17
; %bb.14:
	v_cmp_ne_u32_e32 vcc_lo, 0, v166
	s_xor_b32 s8, s16, -1
	s_and_b32 s9, s8, vcc_lo
	s_and_saveexec_b32 s8, s9
	s_cbranch_execz .LBB76_16
; %bb.15:
	v_ashrrev_i32_e32 v167, 31, v166
	v_lshlrev_b64 v[174:175], 2, v[166:167]
	v_add_co_u32 v174, vcc_lo, v164, v174
	v_add_co_ci_u32_e64 v175, null, v165, v175, vcc_lo
	s_clause 0x1
	global_load_dword v0, v[174:175], off
	global_load_dword v167, v[164:165], off
	s_waitcnt vmcnt(1)
	global_store_dword v[164:165], v0, off
	s_waitcnt vmcnt(0)
	global_store_dword v[174:175], v167, off
.LBB76_16:
	s_or_b32 exec_lo, exec_lo, s8
	v_mov_b32_e32 v0, v166
.LBB76_17:
	s_or_b32 exec_lo, exec_lo, s3
.LBB76_18:
	s_or_saveexec_b32 s0, s0
	v_mov_b32_e32 v172, v0
	s_xor_b32 exec_lo, exec_lo, s0
	s_cbranch_execz .LBB76_20
; %bb.19:
	v_mov_b32_e32 v172, 0
	ds_write2_b64 v1, v[150:151], v[152:153] offset0:2 offset1:3
	ds_write2_b64 v1, v[146:147], v[148:149] offset0:4 offset1:5
	;; [unrolled: 1-line block ×38, first 2 shown]
.LBB76_20:
	s_or_b32 exec_lo, exec_lo, s0
	s_mov_b32 s0, exec_lo
	s_waitcnt lgkmcnt(0)
	s_waitcnt_vscnt null, 0x0
	s_barrier
	buffer_gl0_inv
	v_cmpx_lt_i32_e32 0, v172
	s_cbranch_execz .LBB76_22
; %bb.21:
	v_mul_f64 v[166:167], v[160:161], v[156:157]
	v_mul_f64 v[156:157], v[158:159], v[156:157]
	v_fma_f64 v[166:167], v[158:159], v[154:155], -v[166:167]
	v_fma_f64 v[156:157], v[160:161], v[154:155], v[156:157]
	ds_read2_b64 v[158:161], v1 offset0:2 offset1:3
	s_waitcnt lgkmcnt(0)
	v_mul_f64 v[154:155], v[160:161], v[156:157]
	v_fma_f64 v[154:155], v[158:159], v[166:167], -v[154:155]
	v_mul_f64 v[158:159], v[158:159], v[156:157]
	v_add_f64 v[150:151], v[150:151], -v[154:155]
	v_fma_f64 v[158:159], v[160:161], v[166:167], v[158:159]
	v_add_f64 v[152:153], v[152:153], -v[158:159]
	ds_read2_b64 v[158:161], v1 offset0:4 offset1:5
	s_waitcnt lgkmcnt(0)
	v_mul_f64 v[154:155], v[160:161], v[156:157]
	v_fma_f64 v[154:155], v[158:159], v[166:167], -v[154:155]
	v_mul_f64 v[158:159], v[158:159], v[156:157]
	v_add_f64 v[146:147], v[146:147], -v[154:155]
	v_fma_f64 v[158:159], v[160:161], v[166:167], v[158:159]
	v_add_f64 v[148:149], v[148:149], -v[158:159]
	;; [unrolled: 8-line block ×37, first 2 shown]
	ds_read2_b64 v[158:161], v1 offset0:76 offset1:77
	s_waitcnt lgkmcnt(0)
	v_mul_f64 v[154:155], v[160:161], v[156:157]
	v_fma_f64 v[154:155], v[158:159], v[166:167], -v[154:155]
	v_mul_f64 v[158:159], v[158:159], v[156:157]
	v_add_f64 v[2:3], v[2:3], -v[154:155]
	v_fma_f64 v[158:159], v[160:161], v[166:167], v[158:159]
	v_mov_b32_e32 v154, v166
	v_mov_b32_e32 v155, v167
	v_add_f64 v[4:5], v[4:5], -v[158:159]
.LBB76_22:
	s_or_b32 exec_lo, exec_lo, s0
	v_lshl_add_u32 v158, v172, 4, v1
	s_barrier
	buffer_gl0_inv
	v_mov_b32_e32 v166, 1
	ds_write2_b64 v158, v[150:151], v[152:153] offset1:1
	s_waitcnt lgkmcnt(0)
	s_barrier
	buffer_gl0_inv
	ds_read2_b64 v[158:161], v1 offset0:2 offset1:3
	s_cmp_lt_i32 s1, 3
	s_cbranch_scc1 .LBB76_25
; %bb.23:
	v_add3_u32 v167, v168, 0, 32
	v_mov_b32_e32 v166, 1
	s_mov_b32 s3, 2
	s_inst_prefetch 0x1
	.p2align	6
.LBB76_24:                              ; =>This Inner Loop Header: Depth=1
	s_waitcnt lgkmcnt(0)
	v_cmp_gt_f64_e32 vcc_lo, 0, v[160:161]
	v_cmp_gt_f64_e64 s0, 0, v[158:159]
	ds_read2_b64 v[174:177], v167 offset1:1
	v_xor_b32_e32 v179, 0x80000000, v159
	v_xor_b32_e32 v181, 0x80000000, v161
	v_mov_b32_e32 v178, v158
	v_mov_b32_e32 v180, v160
	v_add_nc_u32_e32 v167, 16, v167
	s_waitcnt lgkmcnt(0)
	v_xor_b32_e32 v183, 0x80000000, v177
	v_cndmask_b32_e64 v179, v159, v179, s0
	v_cndmask_b32_e32 v181, v161, v181, vcc_lo
	v_cmp_gt_f64_e32 vcc_lo, 0, v[176:177]
	v_cmp_gt_f64_e64 s0, 0, v[174:175]
	v_mov_b32_e32 v182, v176
	v_add_f64 v[178:179], v[178:179], v[180:181]
	v_xor_b32_e32 v181, 0x80000000, v175
	v_mov_b32_e32 v180, v174
	v_cndmask_b32_e32 v183, v177, v183, vcc_lo
	v_cndmask_b32_e64 v181, v175, v181, s0
	v_add_f64 v[180:181], v[180:181], v[182:183]
	v_cmp_lt_f64_e32 vcc_lo, v[178:179], v[180:181]
	v_cndmask_b32_e32 v159, v159, v175, vcc_lo
	v_cndmask_b32_e32 v158, v158, v174, vcc_lo
	;; [unrolled: 1-line block ×4, first 2 shown]
	v_cndmask_b32_e64 v166, v166, s3, vcc_lo
	s_add_i32 s3, s3, 1
	s_cmp_lg_u32 s1, s3
	s_cbranch_scc1 .LBB76_24
.LBB76_25:
	s_inst_prefetch 0x2
	s_waitcnt lgkmcnt(0)
	v_cmp_neq_f64_e32 vcc_lo, 0, v[158:159]
	v_cmp_neq_f64_e64 s0, 0, v[160:161]
	s_or_b32 s3, vcc_lo, s0
	s_and_saveexec_b32 s0, s3
	s_cbranch_execz .LBB76_31
; %bb.26:
	v_cmp_ngt_f64_e64 s3, |v[158:159]|, |v[160:161]|
	s_and_saveexec_b32 s8, s3
	s_xor_b32 s3, exec_lo, s8
	s_cbranch_execz .LBB76_28
; %bb.27:
	v_div_scale_f64 v[174:175], null, v[160:161], v[160:161], v[158:159]
	v_div_scale_f64 v[180:181], vcc_lo, v[158:159], v[160:161], v[158:159]
	v_rcp_f64_e32 v[176:177], v[174:175]
	v_fma_f64 v[178:179], -v[174:175], v[176:177], 1.0
	v_fma_f64 v[176:177], v[176:177], v[178:179], v[176:177]
	v_fma_f64 v[178:179], -v[174:175], v[176:177], 1.0
	v_fma_f64 v[176:177], v[176:177], v[178:179], v[176:177]
	v_mul_f64 v[178:179], v[180:181], v[176:177]
	v_fma_f64 v[174:175], -v[174:175], v[178:179], v[180:181]
	v_div_fmas_f64 v[174:175], v[174:175], v[176:177], v[178:179]
	v_div_fixup_f64 v[174:175], v[174:175], v[160:161], v[158:159]
	v_fma_f64 v[158:159], v[158:159], v[174:175], v[160:161]
	v_div_scale_f64 v[160:161], null, v[158:159], v[158:159], 1.0
	v_rcp_f64_e32 v[176:177], v[160:161]
	v_fma_f64 v[178:179], -v[160:161], v[176:177], 1.0
	v_fma_f64 v[176:177], v[176:177], v[178:179], v[176:177]
	v_fma_f64 v[178:179], -v[160:161], v[176:177], 1.0
	v_fma_f64 v[176:177], v[176:177], v[178:179], v[176:177]
	v_div_scale_f64 v[178:179], vcc_lo, 1.0, v[158:159], 1.0
	v_mul_f64 v[180:181], v[178:179], v[176:177]
	v_fma_f64 v[160:161], -v[160:161], v[180:181], v[178:179]
	v_div_fmas_f64 v[160:161], v[160:161], v[176:177], v[180:181]
	v_div_fixup_f64 v[160:161], v[160:161], v[158:159], 1.0
	v_mul_f64 v[158:159], v[174:175], v[160:161]
	v_xor_b32_e32 v161, 0x80000000, v161
.LBB76_28:
	s_andn2_saveexec_b32 s3, s3
	s_cbranch_execz .LBB76_30
; %bb.29:
	v_div_scale_f64 v[174:175], null, v[158:159], v[158:159], v[160:161]
	v_div_scale_f64 v[180:181], vcc_lo, v[160:161], v[158:159], v[160:161]
	v_rcp_f64_e32 v[176:177], v[174:175]
	v_fma_f64 v[178:179], -v[174:175], v[176:177], 1.0
	v_fma_f64 v[176:177], v[176:177], v[178:179], v[176:177]
	v_fma_f64 v[178:179], -v[174:175], v[176:177], 1.0
	v_fma_f64 v[176:177], v[176:177], v[178:179], v[176:177]
	v_mul_f64 v[178:179], v[180:181], v[176:177]
	v_fma_f64 v[174:175], -v[174:175], v[178:179], v[180:181]
	v_div_fmas_f64 v[174:175], v[174:175], v[176:177], v[178:179]
	v_div_fixup_f64 v[174:175], v[174:175], v[158:159], v[160:161]
	v_fma_f64 v[158:159], v[160:161], v[174:175], v[158:159]
	v_div_scale_f64 v[160:161], null, v[158:159], v[158:159], 1.0
	v_rcp_f64_e32 v[176:177], v[160:161]
	v_fma_f64 v[178:179], -v[160:161], v[176:177], 1.0
	v_fma_f64 v[176:177], v[176:177], v[178:179], v[176:177]
	v_fma_f64 v[178:179], -v[160:161], v[176:177], 1.0
	v_fma_f64 v[176:177], v[176:177], v[178:179], v[176:177]
	v_div_scale_f64 v[178:179], vcc_lo, 1.0, v[158:159], 1.0
	v_mul_f64 v[180:181], v[178:179], v[176:177]
	v_fma_f64 v[160:161], -v[160:161], v[180:181], v[178:179]
	v_div_fmas_f64 v[160:161], v[160:161], v[176:177], v[180:181]
	v_div_fixup_f64 v[158:159], v[160:161], v[158:159], 1.0
	v_mul_f64 v[160:161], v[174:175], -v[158:159]
.LBB76_30:
	s_or_b32 exec_lo, exec_lo, s3
	v_mov_b32_e32 v171, v173
.LBB76_31:
	s_or_b32 exec_lo, exec_lo, s0
	s_mov_b32 s0, exec_lo
	v_cmpx_ne_u32_e64 v172, v166
	s_xor_b32 s0, exec_lo, s0
	s_cbranch_execz .LBB76_37
; %bb.32:
	s_mov_b32 s3, exec_lo
	v_cmpx_eq_u32_e32 1, v172
	s_cbranch_execz .LBB76_36
; %bb.33:
	v_cmp_ne_u32_e32 vcc_lo, 1, v166
	s_xor_b32 s8, s16, -1
	s_and_b32 s9, s8, vcc_lo
	s_and_saveexec_b32 s8, s9
	s_cbranch_execz .LBB76_35
; %bb.34:
	v_ashrrev_i32_e32 v167, 31, v166
	v_lshlrev_b64 v[172:173], 2, v[166:167]
	v_add_co_u32 v172, vcc_lo, v164, v172
	v_add_co_ci_u32_e64 v173, null, v165, v173, vcc_lo
	s_clause 0x1
	global_load_dword v0, v[172:173], off
	global_load_dword v167, v[164:165], off offset:4
	s_waitcnt vmcnt(1)
	global_store_dword v[164:165], v0, off offset:4
	s_waitcnt vmcnt(0)
	global_store_dword v[172:173], v167, off
.LBB76_35:
	s_or_b32 exec_lo, exec_lo, s8
	v_mov_b32_e32 v172, v166
	v_mov_b32_e32 v0, v166
.LBB76_36:
	s_or_b32 exec_lo, exec_lo, s3
.LBB76_37:
	s_andn2_saveexec_b32 s0, s0
	s_cbranch_execz .LBB76_39
; %bb.38:
	v_mov_b32_e32 v172, 1
	ds_write2_b64 v1, v[146:147], v[148:149] offset0:4 offset1:5
	ds_write2_b64 v1, v[142:143], v[144:145] offset0:6 offset1:7
	;; [unrolled: 1-line block ×37, first 2 shown]
.LBB76_39:
	s_or_b32 exec_lo, exec_lo, s0
	s_mov_b32 s0, exec_lo
	s_waitcnt lgkmcnt(0)
	s_waitcnt_vscnt null, 0x0
	s_barrier
	buffer_gl0_inv
	v_cmpx_lt_i32_e32 1, v172
	s_cbranch_execz .LBB76_41
; %bb.40:
	v_mul_f64 v[166:167], v[160:161], v[152:153]
	v_mul_f64 v[152:153], v[158:159], v[152:153]
	v_fma_f64 v[166:167], v[158:159], v[150:151], -v[166:167]
	v_fma_f64 v[152:153], v[160:161], v[150:151], v[152:153]
	ds_read2_b64 v[158:161], v1 offset0:4 offset1:5
	s_waitcnt lgkmcnt(0)
	v_mul_f64 v[150:151], v[160:161], v[152:153]
	v_fma_f64 v[150:151], v[158:159], v[166:167], -v[150:151]
	v_mul_f64 v[158:159], v[158:159], v[152:153]
	v_add_f64 v[146:147], v[146:147], -v[150:151]
	v_fma_f64 v[158:159], v[160:161], v[166:167], v[158:159]
	v_add_f64 v[148:149], v[148:149], -v[158:159]
	ds_read2_b64 v[158:161], v1 offset0:6 offset1:7
	s_waitcnt lgkmcnt(0)
	v_mul_f64 v[150:151], v[160:161], v[152:153]
	v_fma_f64 v[150:151], v[158:159], v[166:167], -v[150:151]
	v_mul_f64 v[158:159], v[158:159], v[152:153]
	v_add_f64 v[142:143], v[142:143], -v[150:151]
	v_fma_f64 v[158:159], v[160:161], v[166:167], v[158:159]
	v_add_f64 v[144:145], v[144:145], -v[158:159]
	;; [unrolled: 8-line block ×36, first 2 shown]
	ds_read2_b64 v[158:161], v1 offset0:76 offset1:77
	s_waitcnt lgkmcnt(0)
	v_mul_f64 v[150:151], v[160:161], v[152:153]
	v_fma_f64 v[150:151], v[158:159], v[166:167], -v[150:151]
	v_mul_f64 v[158:159], v[158:159], v[152:153]
	v_add_f64 v[2:3], v[2:3], -v[150:151]
	v_fma_f64 v[158:159], v[160:161], v[166:167], v[158:159]
	v_mov_b32_e32 v150, v166
	v_mov_b32_e32 v151, v167
	v_add_f64 v[4:5], v[4:5], -v[158:159]
.LBB76_41:
	s_or_b32 exec_lo, exec_lo, s0
	v_lshl_add_u32 v158, v172, 4, v1
	s_barrier
	buffer_gl0_inv
	v_mov_b32_e32 v166, 2
	ds_write2_b64 v158, v[146:147], v[148:149] offset1:1
	s_waitcnt lgkmcnt(0)
	s_barrier
	buffer_gl0_inv
	ds_read2_b64 v[158:161], v1 offset0:4 offset1:5
	s_cmp_lt_i32 s1, 4
	s_cbranch_scc1 .LBB76_44
; %bb.42:
	v_add3_u32 v167, v168, 0, 48
	v_mov_b32_e32 v166, 2
	s_mov_b32 s3, 3
	s_inst_prefetch 0x1
	.p2align	6
.LBB76_43:                              ; =>This Inner Loop Header: Depth=1
	s_waitcnt lgkmcnt(0)
	v_cmp_gt_f64_e32 vcc_lo, 0, v[160:161]
	v_cmp_gt_f64_e64 s0, 0, v[158:159]
	ds_read2_b64 v[173:176], v167 offset1:1
	v_xor_b32_e32 v178, 0x80000000, v159
	v_xor_b32_e32 v180, 0x80000000, v161
	v_mov_b32_e32 v177, v158
	v_mov_b32_e32 v179, v160
	v_add_nc_u32_e32 v167, 16, v167
	s_waitcnt lgkmcnt(0)
	v_xor_b32_e32 v182, 0x80000000, v176
	v_cndmask_b32_e64 v178, v159, v178, s0
	v_cndmask_b32_e32 v180, v161, v180, vcc_lo
	v_cmp_gt_f64_e32 vcc_lo, 0, v[175:176]
	v_cmp_gt_f64_e64 s0, 0, v[173:174]
	v_mov_b32_e32 v181, v175
	v_add_f64 v[177:178], v[177:178], v[179:180]
	v_xor_b32_e32 v180, 0x80000000, v174
	v_mov_b32_e32 v179, v173
	v_cndmask_b32_e32 v182, v176, v182, vcc_lo
	v_cndmask_b32_e64 v180, v174, v180, s0
	v_add_f64 v[179:180], v[179:180], v[181:182]
	v_cmp_lt_f64_e32 vcc_lo, v[177:178], v[179:180]
	v_cndmask_b32_e32 v159, v159, v174, vcc_lo
	v_cndmask_b32_e32 v158, v158, v173, vcc_lo
	;; [unrolled: 1-line block ×4, first 2 shown]
	v_cndmask_b32_e64 v166, v166, s3, vcc_lo
	s_add_i32 s3, s3, 1
	s_cmp_lg_u32 s1, s3
	s_cbranch_scc1 .LBB76_43
.LBB76_44:
	s_inst_prefetch 0x2
	s_waitcnt lgkmcnt(0)
	v_cmp_eq_f64_e32 vcc_lo, 0, v[158:159]
	v_cmp_eq_f64_e64 s0, 0, v[160:161]
	s_and_b32 s0, vcc_lo, s0
	s_and_saveexec_b32 s3, s0
	s_xor_b32 s0, exec_lo, s3
; %bb.45:
	v_cmp_ne_u32_e32 vcc_lo, 0, v171
	v_cndmask_b32_e32 v171, 3, v171, vcc_lo
; %bb.46:
	s_andn2_saveexec_b32 s0, s0
	s_cbranch_execz .LBB76_52
; %bb.47:
	v_cmp_ngt_f64_e64 s3, |v[158:159]|, |v[160:161]|
	s_and_saveexec_b32 s8, s3
	s_xor_b32 s3, exec_lo, s8
	s_cbranch_execz .LBB76_49
; %bb.48:
	v_div_scale_f64 v[173:174], null, v[160:161], v[160:161], v[158:159]
	v_div_scale_f64 v[179:180], vcc_lo, v[158:159], v[160:161], v[158:159]
	v_rcp_f64_e32 v[175:176], v[173:174]
	v_fma_f64 v[177:178], -v[173:174], v[175:176], 1.0
	v_fma_f64 v[175:176], v[175:176], v[177:178], v[175:176]
	v_fma_f64 v[177:178], -v[173:174], v[175:176], 1.0
	v_fma_f64 v[175:176], v[175:176], v[177:178], v[175:176]
	v_mul_f64 v[177:178], v[179:180], v[175:176]
	v_fma_f64 v[173:174], -v[173:174], v[177:178], v[179:180]
	v_div_fmas_f64 v[173:174], v[173:174], v[175:176], v[177:178]
	v_div_fixup_f64 v[173:174], v[173:174], v[160:161], v[158:159]
	v_fma_f64 v[158:159], v[158:159], v[173:174], v[160:161]
	v_div_scale_f64 v[160:161], null, v[158:159], v[158:159], 1.0
	v_rcp_f64_e32 v[175:176], v[160:161]
	v_fma_f64 v[177:178], -v[160:161], v[175:176], 1.0
	v_fma_f64 v[175:176], v[175:176], v[177:178], v[175:176]
	v_fma_f64 v[177:178], -v[160:161], v[175:176], 1.0
	v_fma_f64 v[175:176], v[175:176], v[177:178], v[175:176]
	v_div_scale_f64 v[177:178], vcc_lo, 1.0, v[158:159], 1.0
	v_mul_f64 v[179:180], v[177:178], v[175:176]
	v_fma_f64 v[160:161], -v[160:161], v[179:180], v[177:178]
	v_div_fmas_f64 v[160:161], v[160:161], v[175:176], v[179:180]
	v_div_fixup_f64 v[160:161], v[160:161], v[158:159], 1.0
	v_mul_f64 v[158:159], v[173:174], v[160:161]
	v_xor_b32_e32 v161, 0x80000000, v161
.LBB76_49:
	s_andn2_saveexec_b32 s3, s3
	s_cbranch_execz .LBB76_51
; %bb.50:
	v_div_scale_f64 v[173:174], null, v[158:159], v[158:159], v[160:161]
	v_div_scale_f64 v[179:180], vcc_lo, v[160:161], v[158:159], v[160:161]
	v_rcp_f64_e32 v[175:176], v[173:174]
	v_fma_f64 v[177:178], -v[173:174], v[175:176], 1.0
	v_fma_f64 v[175:176], v[175:176], v[177:178], v[175:176]
	v_fma_f64 v[177:178], -v[173:174], v[175:176], 1.0
	v_fma_f64 v[175:176], v[175:176], v[177:178], v[175:176]
	v_mul_f64 v[177:178], v[179:180], v[175:176]
	v_fma_f64 v[173:174], -v[173:174], v[177:178], v[179:180]
	v_div_fmas_f64 v[173:174], v[173:174], v[175:176], v[177:178]
	v_div_fixup_f64 v[173:174], v[173:174], v[158:159], v[160:161]
	v_fma_f64 v[158:159], v[160:161], v[173:174], v[158:159]
	v_div_scale_f64 v[160:161], null, v[158:159], v[158:159], 1.0
	v_rcp_f64_e32 v[175:176], v[160:161]
	v_fma_f64 v[177:178], -v[160:161], v[175:176], 1.0
	v_fma_f64 v[175:176], v[175:176], v[177:178], v[175:176]
	v_fma_f64 v[177:178], -v[160:161], v[175:176], 1.0
	v_fma_f64 v[175:176], v[175:176], v[177:178], v[175:176]
	v_div_scale_f64 v[177:178], vcc_lo, 1.0, v[158:159], 1.0
	v_mul_f64 v[179:180], v[177:178], v[175:176]
	v_fma_f64 v[160:161], -v[160:161], v[179:180], v[177:178]
	v_div_fmas_f64 v[160:161], v[160:161], v[175:176], v[179:180]
	v_div_fixup_f64 v[158:159], v[160:161], v[158:159], 1.0
	v_mul_f64 v[160:161], v[173:174], -v[158:159]
.LBB76_51:
	s_or_b32 exec_lo, exec_lo, s3
.LBB76_52:
	s_or_b32 exec_lo, exec_lo, s0
	s_mov_b32 s0, exec_lo
	v_cmpx_ne_u32_e64 v172, v166
	s_xor_b32 s0, exec_lo, s0
	s_cbranch_execz .LBB76_58
; %bb.53:
	s_mov_b32 s3, exec_lo
	v_cmpx_eq_u32_e32 2, v172
	s_cbranch_execz .LBB76_57
; %bb.54:
	v_cmp_ne_u32_e32 vcc_lo, 2, v166
	s_xor_b32 s8, s16, -1
	s_and_b32 s9, s8, vcc_lo
	s_and_saveexec_b32 s8, s9
	s_cbranch_execz .LBB76_56
; %bb.55:
	v_ashrrev_i32_e32 v167, 31, v166
	v_lshlrev_b64 v[172:173], 2, v[166:167]
	v_add_co_u32 v172, vcc_lo, v164, v172
	v_add_co_ci_u32_e64 v173, null, v165, v173, vcc_lo
	s_clause 0x1
	global_load_dword v0, v[172:173], off
	global_load_dword v167, v[164:165], off offset:8
	s_waitcnt vmcnt(1)
	global_store_dword v[164:165], v0, off offset:8
	s_waitcnt vmcnt(0)
	global_store_dword v[172:173], v167, off
.LBB76_56:
	s_or_b32 exec_lo, exec_lo, s8
	v_mov_b32_e32 v172, v166
	v_mov_b32_e32 v0, v166
.LBB76_57:
	s_or_b32 exec_lo, exec_lo, s3
.LBB76_58:
	s_andn2_saveexec_b32 s0, s0
	s_cbranch_execz .LBB76_60
; %bb.59:
	v_mov_b32_e32 v172, 2
	ds_write2_b64 v1, v[142:143], v[144:145] offset0:6 offset1:7
	ds_write2_b64 v1, v[134:135], v[136:137] offset0:8 offset1:9
	;; [unrolled: 1-line block ×36, first 2 shown]
.LBB76_60:
	s_or_b32 exec_lo, exec_lo, s0
	s_mov_b32 s0, exec_lo
	s_waitcnt lgkmcnt(0)
	s_waitcnt_vscnt null, 0x0
	s_barrier
	buffer_gl0_inv
	v_cmpx_lt_i32_e32 2, v172
	s_cbranch_execz .LBB76_62
; %bb.61:
	v_mul_f64 v[166:167], v[160:161], v[148:149]
	v_mul_f64 v[148:149], v[158:159], v[148:149]
	v_fma_f64 v[166:167], v[158:159], v[146:147], -v[166:167]
	v_fma_f64 v[148:149], v[160:161], v[146:147], v[148:149]
	ds_read2_b64 v[158:161], v1 offset0:6 offset1:7
	s_waitcnt lgkmcnt(0)
	v_mul_f64 v[146:147], v[160:161], v[148:149]
	v_fma_f64 v[146:147], v[158:159], v[166:167], -v[146:147]
	v_mul_f64 v[158:159], v[158:159], v[148:149]
	v_add_f64 v[142:143], v[142:143], -v[146:147]
	v_fma_f64 v[158:159], v[160:161], v[166:167], v[158:159]
	v_add_f64 v[144:145], v[144:145], -v[158:159]
	ds_read2_b64 v[158:161], v1 offset0:8 offset1:9
	s_waitcnt lgkmcnt(0)
	v_mul_f64 v[146:147], v[160:161], v[148:149]
	v_fma_f64 v[146:147], v[158:159], v[166:167], -v[146:147]
	v_mul_f64 v[158:159], v[158:159], v[148:149]
	v_add_f64 v[134:135], v[134:135], -v[146:147]
	v_fma_f64 v[158:159], v[160:161], v[166:167], v[158:159]
	v_add_f64 v[136:137], v[136:137], -v[158:159]
	;; [unrolled: 8-line block ×35, first 2 shown]
	ds_read2_b64 v[158:161], v1 offset0:76 offset1:77
	s_waitcnt lgkmcnt(0)
	v_mul_f64 v[146:147], v[160:161], v[148:149]
	v_fma_f64 v[146:147], v[158:159], v[166:167], -v[146:147]
	v_mul_f64 v[158:159], v[158:159], v[148:149]
	v_add_f64 v[2:3], v[2:3], -v[146:147]
	v_fma_f64 v[158:159], v[160:161], v[166:167], v[158:159]
	v_mov_b32_e32 v146, v166
	v_mov_b32_e32 v147, v167
	v_add_f64 v[4:5], v[4:5], -v[158:159]
.LBB76_62:
	s_or_b32 exec_lo, exec_lo, s0
	v_lshl_add_u32 v158, v172, 4, v1
	s_barrier
	buffer_gl0_inv
	v_mov_b32_e32 v166, 3
	ds_write2_b64 v158, v[142:143], v[144:145] offset1:1
	s_waitcnt lgkmcnt(0)
	s_barrier
	buffer_gl0_inv
	ds_read2_b64 v[158:161], v1 offset0:6 offset1:7
	s_cmp_lt_i32 s1, 5
	s_mov_b32 s3, 4
	s_cbranch_scc1 .LBB76_65
; %bb.63:
	v_add3_u32 v167, v168, 0, 64
	v_mov_b32_e32 v166, 3
	s_inst_prefetch 0x1
	.p2align	6
.LBB76_64:                              ; =>This Inner Loop Header: Depth=1
	s_waitcnt lgkmcnt(0)
	v_cmp_gt_f64_e32 vcc_lo, 0, v[160:161]
	v_cmp_gt_f64_e64 s0, 0, v[158:159]
	ds_read2_b64 v[173:176], v167 offset1:1
	v_xor_b32_e32 v178, 0x80000000, v159
	v_xor_b32_e32 v180, 0x80000000, v161
	v_mov_b32_e32 v177, v158
	v_mov_b32_e32 v179, v160
	v_add_nc_u32_e32 v167, 16, v167
	s_waitcnt lgkmcnt(0)
	v_xor_b32_e32 v182, 0x80000000, v176
	v_cndmask_b32_e64 v178, v159, v178, s0
	v_cndmask_b32_e32 v180, v161, v180, vcc_lo
	v_cmp_gt_f64_e32 vcc_lo, 0, v[175:176]
	v_cmp_gt_f64_e64 s0, 0, v[173:174]
	v_mov_b32_e32 v181, v175
	v_add_f64 v[177:178], v[177:178], v[179:180]
	v_xor_b32_e32 v180, 0x80000000, v174
	v_mov_b32_e32 v179, v173
	v_cndmask_b32_e32 v182, v176, v182, vcc_lo
	v_cndmask_b32_e64 v180, v174, v180, s0
	v_add_f64 v[179:180], v[179:180], v[181:182]
	v_cmp_lt_f64_e32 vcc_lo, v[177:178], v[179:180]
	v_cndmask_b32_e32 v159, v159, v174, vcc_lo
	v_cndmask_b32_e32 v158, v158, v173, vcc_lo
	;; [unrolled: 1-line block ×4, first 2 shown]
	v_cndmask_b32_e64 v166, v166, s3, vcc_lo
	s_add_i32 s3, s3, 1
	s_cmp_lg_u32 s1, s3
	s_cbranch_scc1 .LBB76_64
.LBB76_65:
	s_inst_prefetch 0x2
	s_waitcnt lgkmcnt(0)
	v_cmp_eq_f64_e32 vcc_lo, 0, v[158:159]
	v_cmp_eq_f64_e64 s0, 0, v[160:161]
	s_and_b32 s0, vcc_lo, s0
	s_and_saveexec_b32 s3, s0
	s_xor_b32 s0, exec_lo, s3
; %bb.66:
	v_cmp_ne_u32_e32 vcc_lo, 0, v171
	v_cndmask_b32_e32 v171, 4, v171, vcc_lo
; %bb.67:
	s_andn2_saveexec_b32 s0, s0
	s_cbranch_execz .LBB76_73
; %bb.68:
	v_cmp_ngt_f64_e64 s3, |v[158:159]|, |v[160:161]|
	s_and_saveexec_b32 s8, s3
	s_xor_b32 s3, exec_lo, s8
	s_cbranch_execz .LBB76_70
; %bb.69:
	v_div_scale_f64 v[173:174], null, v[160:161], v[160:161], v[158:159]
	v_div_scale_f64 v[179:180], vcc_lo, v[158:159], v[160:161], v[158:159]
	v_rcp_f64_e32 v[175:176], v[173:174]
	v_fma_f64 v[177:178], -v[173:174], v[175:176], 1.0
	v_fma_f64 v[175:176], v[175:176], v[177:178], v[175:176]
	v_fma_f64 v[177:178], -v[173:174], v[175:176], 1.0
	v_fma_f64 v[175:176], v[175:176], v[177:178], v[175:176]
	v_mul_f64 v[177:178], v[179:180], v[175:176]
	v_fma_f64 v[173:174], -v[173:174], v[177:178], v[179:180]
	v_div_fmas_f64 v[173:174], v[173:174], v[175:176], v[177:178]
	v_div_fixup_f64 v[173:174], v[173:174], v[160:161], v[158:159]
	v_fma_f64 v[158:159], v[158:159], v[173:174], v[160:161]
	v_div_scale_f64 v[160:161], null, v[158:159], v[158:159], 1.0
	v_rcp_f64_e32 v[175:176], v[160:161]
	v_fma_f64 v[177:178], -v[160:161], v[175:176], 1.0
	v_fma_f64 v[175:176], v[175:176], v[177:178], v[175:176]
	v_fma_f64 v[177:178], -v[160:161], v[175:176], 1.0
	v_fma_f64 v[175:176], v[175:176], v[177:178], v[175:176]
	v_div_scale_f64 v[177:178], vcc_lo, 1.0, v[158:159], 1.0
	v_mul_f64 v[179:180], v[177:178], v[175:176]
	v_fma_f64 v[160:161], -v[160:161], v[179:180], v[177:178]
	v_div_fmas_f64 v[160:161], v[160:161], v[175:176], v[179:180]
	v_div_fixup_f64 v[160:161], v[160:161], v[158:159], 1.0
	v_mul_f64 v[158:159], v[173:174], v[160:161]
	v_xor_b32_e32 v161, 0x80000000, v161
.LBB76_70:
	s_andn2_saveexec_b32 s3, s3
	s_cbranch_execz .LBB76_72
; %bb.71:
	v_div_scale_f64 v[173:174], null, v[158:159], v[158:159], v[160:161]
	v_div_scale_f64 v[179:180], vcc_lo, v[160:161], v[158:159], v[160:161]
	v_rcp_f64_e32 v[175:176], v[173:174]
	v_fma_f64 v[177:178], -v[173:174], v[175:176], 1.0
	v_fma_f64 v[175:176], v[175:176], v[177:178], v[175:176]
	v_fma_f64 v[177:178], -v[173:174], v[175:176], 1.0
	v_fma_f64 v[175:176], v[175:176], v[177:178], v[175:176]
	v_mul_f64 v[177:178], v[179:180], v[175:176]
	v_fma_f64 v[173:174], -v[173:174], v[177:178], v[179:180]
	v_div_fmas_f64 v[173:174], v[173:174], v[175:176], v[177:178]
	v_div_fixup_f64 v[173:174], v[173:174], v[158:159], v[160:161]
	v_fma_f64 v[158:159], v[160:161], v[173:174], v[158:159]
	v_div_scale_f64 v[160:161], null, v[158:159], v[158:159], 1.0
	v_rcp_f64_e32 v[175:176], v[160:161]
	v_fma_f64 v[177:178], -v[160:161], v[175:176], 1.0
	v_fma_f64 v[175:176], v[175:176], v[177:178], v[175:176]
	v_fma_f64 v[177:178], -v[160:161], v[175:176], 1.0
	v_fma_f64 v[175:176], v[175:176], v[177:178], v[175:176]
	v_div_scale_f64 v[177:178], vcc_lo, 1.0, v[158:159], 1.0
	v_mul_f64 v[179:180], v[177:178], v[175:176]
	v_fma_f64 v[160:161], -v[160:161], v[179:180], v[177:178]
	v_div_fmas_f64 v[160:161], v[160:161], v[175:176], v[179:180]
	v_div_fixup_f64 v[158:159], v[160:161], v[158:159], 1.0
	v_mul_f64 v[160:161], v[173:174], -v[158:159]
.LBB76_72:
	s_or_b32 exec_lo, exec_lo, s3
.LBB76_73:
	s_or_b32 exec_lo, exec_lo, s0
	s_mov_b32 s0, exec_lo
	v_cmpx_ne_u32_e64 v172, v166
	s_xor_b32 s0, exec_lo, s0
	s_cbranch_execz .LBB76_79
; %bb.74:
	s_mov_b32 s3, exec_lo
	v_cmpx_eq_u32_e32 3, v172
	s_cbranch_execz .LBB76_78
; %bb.75:
	v_cmp_ne_u32_e32 vcc_lo, 3, v166
	s_xor_b32 s8, s16, -1
	s_and_b32 s9, s8, vcc_lo
	s_and_saveexec_b32 s8, s9
	s_cbranch_execz .LBB76_77
; %bb.76:
	v_ashrrev_i32_e32 v167, 31, v166
	v_lshlrev_b64 v[172:173], 2, v[166:167]
	v_add_co_u32 v172, vcc_lo, v164, v172
	v_add_co_ci_u32_e64 v173, null, v165, v173, vcc_lo
	s_clause 0x1
	global_load_dword v0, v[172:173], off
	global_load_dword v167, v[164:165], off offset:12
	s_waitcnt vmcnt(1)
	global_store_dword v[164:165], v0, off offset:12
	s_waitcnt vmcnt(0)
	global_store_dword v[172:173], v167, off
.LBB76_77:
	s_or_b32 exec_lo, exec_lo, s8
	v_mov_b32_e32 v172, v166
	v_mov_b32_e32 v0, v166
.LBB76_78:
	s_or_b32 exec_lo, exec_lo, s3
.LBB76_79:
	s_andn2_saveexec_b32 s0, s0
	s_cbranch_execz .LBB76_81
; %bb.80:
	v_mov_b32_e32 v172, 3
	ds_write2_b64 v1, v[134:135], v[136:137] offset0:8 offset1:9
	ds_write2_b64 v1, v[130:131], v[132:133] offset0:10 offset1:11
	;; [unrolled: 1-line block ×35, first 2 shown]
.LBB76_81:
	s_or_b32 exec_lo, exec_lo, s0
	s_mov_b32 s0, exec_lo
	s_waitcnt lgkmcnt(0)
	s_waitcnt_vscnt null, 0x0
	s_barrier
	buffer_gl0_inv
	v_cmpx_lt_i32_e32 3, v172
	s_cbranch_execz .LBB76_83
; %bb.82:
	v_mul_f64 v[166:167], v[160:161], v[144:145]
	v_mul_f64 v[144:145], v[158:159], v[144:145]
	v_fma_f64 v[166:167], v[158:159], v[142:143], -v[166:167]
	v_fma_f64 v[144:145], v[160:161], v[142:143], v[144:145]
	ds_read2_b64 v[158:161], v1 offset0:8 offset1:9
	s_waitcnt lgkmcnt(0)
	v_mul_f64 v[142:143], v[160:161], v[144:145]
	v_fma_f64 v[142:143], v[158:159], v[166:167], -v[142:143]
	v_mul_f64 v[158:159], v[158:159], v[144:145]
	v_add_f64 v[134:135], v[134:135], -v[142:143]
	v_fma_f64 v[158:159], v[160:161], v[166:167], v[158:159]
	v_add_f64 v[136:137], v[136:137], -v[158:159]
	ds_read2_b64 v[158:161], v1 offset0:10 offset1:11
	s_waitcnt lgkmcnt(0)
	v_mul_f64 v[142:143], v[160:161], v[144:145]
	v_fma_f64 v[142:143], v[158:159], v[166:167], -v[142:143]
	v_mul_f64 v[158:159], v[158:159], v[144:145]
	v_add_f64 v[130:131], v[130:131], -v[142:143]
	v_fma_f64 v[158:159], v[160:161], v[166:167], v[158:159]
	v_add_f64 v[132:133], v[132:133], -v[158:159]
	ds_read2_b64 v[158:161], v1 offset0:12 offset1:13
	s_waitcnt lgkmcnt(0)
	v_mul_f64 v[142:143], v[160:161], v[144:145]
	v_fma_f64 v[142:143], v[158:159], v[166:167], -v[142:143]
	v_mul_f64 v[158:159], v[158:159], v[144:145]
	v_add_f64 v[138:139], v[138:139], -v[142:143]
	v_fma_f64 v[158:159], v[160:161], v[166:167], v[158:159]
	v_add_f64 v[140:141], v[140:141], -v[158:159]
	ds_read2_b64 v[158:161], v1 offset0:14 offset1:15
	s_waitcnt lgkmcnt(0)
	v_mul_f64 v[142:143], v[160:161], v[144:145]
	v_fma_f64 v[142:143], v[158:159], v[166:167], -v[142:143]
	v_mul_f64 v[158:159], v[158:159], v[144:145]
	v_add_f64 v[122:123], v[122:123], -v[142:143]
	v_fma_f64 v[158:159], v[160:161], v[166:167], v[158:159]
	v_add_f64 v[124:125], v[124:125], -v[158:159]
	ds_read2_b64 v[158:161], v1 offset0:16 offset1:17
	s_waitcnt lgkmcnt(0)
	v_mul_f64 v[142:143], v[160:161], v[144:145]
	v_fma_f64 v[142:143], v[158:159], v[166:167], -v[142:143]
	v_mul_f64 v[158:159], v[158:159], v[144:145]
	v_add_f64 v[126:127], v[126:127], -v[142:143]
	v_fma_f64 v[158:159], v[160:161], v[166:167], v[158:159]
	v_add_f64 v[128:129], v[128:129], -v[158:159]
	ds_read2_b64 v[158:161], v1 offset0:18 offset1:19
	s_waitcnt lgkmcnt(0)
	v_mul_f64 v[142:143], v[160:161], v[144:145]
	v_fma_f64 v[142:143], v[158:159], v[166:167], -v[142:143]
	v_mul_f64 v[158:159], v[158:159], v[144:145]
	v_add_f64 v[110:111], v[110:111], -v[142:143]
	v_fma_f64 v[158:159], v[160:161], v[166:167], v[158:159]
	v_add_f64 v[112:113], v[112:113], -v[158:159]
	ds_read2_b64 v[158:161], v1 offset0:20 offset1:21
	s_waitcnt lgkmcnt(0)
	v_mul_f64 v[142:143], v[160:161], v[144:145]
	v_fma_f64 v[142:143], v[158:159], v[166:167], -v[142:143]
	v_mul_f64 v[158:159], v[158:159], v[144:145]
	v_add_f64 v[118:119], v[118:119], -v[142:143]
	v_fma_f64 v[158:159], v[160:161], v[166:167], v[158:159]
	v_add_f64 v[120:121], v[120:121], -v[158:159]
	ds_read2_b64 v[158:161], v1 offset0:22 offset1:23
	s_waitcnt lgkmcnt(0)
	v_mul_f64 v[142:143], v[160:161], v[144:145]
	v_fma_f64 v[142:143], v[158:159], v[166:167], -v[142:143]
	v_mul_f64 v[158:159], v[158:159], v[144:145]
	v_add_f64 v[114:115], v[114:115], -v[142:143]
	v_fma_f64 v[158:159], v[160:161], v[166:167], v[158:159]
	v_add_f64 v[116:117], v[116:117], -v[158:159]
	ds_read2_b64 v[158:161], v1 offset0:24 offset1:25
	s_waitcnt lgkmcnt(0)
	v_mul_f64 v[142:143], v[160:161], v[144:145]
	v_fma_f64 v[142:143], v[158:159], v[166:167], -v[142:143]
	v_mul_f64 v[158:159], v[158:159], v[144:145]
	v_add_f64 v[106:107], v[106:107], -v[142:143]
	v_fma_f64 v[158:159], v[160:161], v[166:167], v[158:159]
	v_add_f64 v[108:109], v[108:109], -v[158:159]
	ds_read2_b64 v[158:161], v1 offset0:26 offset1:27
	s_waitcnt lgkmcnt(0)
	v_mul_f64 v[142:143], v[160:161], v[144:145]
	v_fma_f64 v[142:143], v[158:159], v[166:167], -v[142:143]
	v_mul_f64 v[158:159], v[158:159], v[144:145]
	v_add_f64 v[102:103], v[102:103], -v[142:143]
	v_fma_f64 v[158:159], v[160:161], v[166:167], v[158:159]
	v_add_f64 v[104:105], v[104:105], -v[158:159]
	ds_read2_b64 v[158:161], v1 offset0:28 offset1:29
	s_waitcnt lgkmcnt(0)
	v_mul_f64 v[142:143], v[160:161], v[144:145]
	v_fma_f64 v[142:143], v[158:159], v[166:167], -v[142:143]
	v_mul_f64 v[158:159], v[158:159], v[144:145]
	v_add_f64 v[94:95], v[94:95], -v[142:143]
	v_fma_f64 v[158:159], v[160:161], v[166:167], v[158:159]
	v_add_f64 v[96:97], v[96:97], -v[158:159]
	ds_read2_b64 v[158:161], v1 offset0:30 offset1:31
	s_waitcnt lgkmcnt(0)
	v_mul_f64 v[142:143], v[160:161], v[144:145]
	v_fma_f64 v[142:143], v[158:159], v[166:167], -v[142:143]
	v_mul_f64 v[158:159], v[158:159], v[144:145]
	v_add_f64 v[90:91], v[90:91], -v[142:143]
	v_fma_f64 v[158:159], v[160:161], v[166:167], v[158:159]
	v_add_f64 v[92:93], v[92:93], -v[158:159]
	ds_read2_b64 v[158:161], v1 offset0:32 offset1:33
	s_waitcnt lgkmcnt(0)
	v_mul_f64 v[142:143], v[160:161], v[144:145]
	v_fma_f64 v[142:143], v[158:159], v[166:167], -v[142:143]
	v_mul_f64 v[158:159], v[158:159], v[144:145]
	v_add_f64 v[98:99], v[98:99], -v[142:143]
	v_fma_f64 v[158:159], v[160:161], v[166:167], v[158:159]
	v_add_f64 v[100:101], v[100:101], -v[158:159]
	ds_read2_b64 v[158:161], v1 offset0:34 offset1:35
	s_waitcnt lgkmcnt(0)
	v_mul_f64 v[142:143], v[160:161], v[144:145]
	v_fma_f64 v[142:143], v[158:159], v[166:167], -v[142:143]
	v_mul_f64 v[158:159], v[158:159], v[144:145]
	v_add_f64 v[82:83], v[82:83], -v[142:143]
	v_fma_f64 v[158:159], v[160:161], v[166:167], v[158:159]
	v_add_f64 v[84:85], v[84:85], -v[158:159]
	ds_read2_b64 v[158:161], v1 offset0:36 offset1:37
	s_waitcnt lgkmcnt(0)
	v_mul_f64 v[142:143], v[160:161], v[144:145]
	v_fma_f64 v[142:143], v[158:159], v[166:167], -v[142:143]
	v_mul_f64 v[158:159], v[158:159], v[144:145]
	v_add_f64 v[86:87], v[86:87], -v[142:143]
	v_fma_f64 v[158:159], v[160:161], v[166:167], v[158:159]
	v_add_f64 v[88:89], v[88:89], -v[158:159]
	ds_read2_b64 v[158:161], v1 offset0:38 offset1:39
	s_waitcnt lgkmcnt(0)
	v_mul_f64 v[142:143], v[160:161], v[144:145]
	v_fma_f64 v[142:143], v[158:159], v[166:167], -v[142:143]
	v_mul_f64 v[158:159], v[158:159], v[144:145]
	v_add_f64 v[70:71], v[70:71], -v[142:143]
	v_fma_f64 v[158:159], v[160:161], v[166:167], v[158:159]
	v_add_f64 v[72:73], v[72:73], -v[158:159]
	ds_read2_b64 v[158:161], v1 offset0:40 offset1:41
	s_waitcnt lgkmcnt(0)
	v_mul_f64 v[142:143], v[160:161], v[144:145]
	v_fma_f64 v[142:143], v[158:159], v[166:167], -v[142:143]
	v_mul_f64 v[158:159], v[158:159], v[144:145]
	v_add_f64 v[78:79], v[78:79], -v[142:143]
	v_fma_f64 v[158:159], v[160:161], v[166:167], v[158:159]
	v_add_f64 v[80:81], v[80:81], -v[158:159]
	ds_read2_b64 v[158:161], v1 offset0:42 offset1:43
	s_waitcnt lgkmcnt(0)
	v_mul_f64 v[142:143], v[160:161], v[144:145]
	v_fma_f64 v[142:143], v[158:159], v[166:167], -v[142:143]
	v_mul_f64 v[158:159], v[158:159], v[144:145]
	v_add_f64 v[74:75], v[74:75], -v[142:143]
	v_fma_f64 v[158:159], v[160:161], v[166:167], v[158:159]
	v_add_f64 v[76:77], v[76:77], -v[158:159]
	ds_read2_b64 v[158:161], v1 offset0:44 offset1:45
	s_waitcnt lgkmcnt(0)
	v_mul_f64 v[142:143], v[160:161], v[144:145]
	v_fma_f64 v[142:143], v[158:159], v[166:167], -v[142:143]
	v_mul_f64 v[158:159], v[158:159], v[144:145]
	v_add_f64 v[66:67], v[66:67], -v[142:143]
	v_fma_f64 v[158:159], v[160:161], v[166:167], v[158:159]
	v_add_f64 v[68:69], v[68:69], -v[158:159]
	ds_read2_b64 v[158:161], v1 offset0:46 offset1:47
	s_waitcnt lgkmcnt(0)
	v_mul_f64 v[142:143], v[160:161], v[144:145]
	v_fma_f64 v[142:143], v[158:159], v[166:167], -v[142:143]
	v_mul_f64 v[158:159], v[158:159], v[144:145]
	v_add_f64 v[62:63], v[62:63], -v[142:143]
	v_fma_f64 v[158:159], v[160:161], v[166:167], v[158:159]
	v_add_f64 v[64:65], v[64:65], -v[158:159]
	ds_read2_b64 v[158:161], v1 offset0:48 offset1:49
	s_waitcnt lgkmcnt(0)
	v_mul_f64 v[142:143], v[160:161], v[144:145]
	v_fma_f64 v[142:143], v[158:159], v[166:167], -v[142:143]
	v_mul_f64 v[158:159], v[158:159], v[144:145]
	v_add_f64 v[54:55], v[54:55], -v[142:143]
	v_fma_f64 v[158:159], v[160:161], v[166:167], v[158:159]
	v_add_f64 v[56:57], v[56:57], -v[158:159]
	ds_read2_b64 v[158:161], v1 offset0:50 offset1:51
	s_waitcnt lgkmcnt(0)
	v_mul_f64 v[142:143], v[160:161], v[144:145]
	v_fma_f64 v[142:143], v[158:159], v[166:167], -v[142:143]
	v_mul_f64 v[158:159], v[158:159], v[144:145]
	v_add_f64 v[50:51], v[50:51], -v[142:143]
	v_fma_f64 v[158:159], v[160:161], v[166:167], v[158:159]
	v_add_f64 v[52:53], v[52:53], -v[158:159]
	ds_read2_b64 v[158:161], v1 offset0:52 offset1:53
	s_waitcnt lgkmcnt(0)
	v_mul_f64 v[142:143], v[160:161], v[144:145]
	v_fma_f64 v[142:143], v[158:159], v[166:167], -v[142:143]
	v_mul_f64 v[158:159], v[158:159], v[144:145]
	v_add_f64 v[58:59], v[58:59], -v[142:143]
	v_fma_f64 v[158:159], v[160:161], v[166:167], v[158:159]
	v_add_f64 v[60:61], v[60:61], -v[158:159]
	ds_read2_b64 v[158:161], v1 offset0:54 offset1:55
	s_waitcnt lgkmcnt(0)
	v_mul_f64 v[142:143], v[160:161], v[144:145]
	v_fma_f64 v[142:143], v[158:159], v[166:167], -v[142:143]
	v_mul_f64 v[158:159], v[158:159], v[144:145]
	v_add_f64 v[34:35], v[34:35], -v[142:143]
	v_fma_f64 v[158:159], v[160:161], v[166:167], v[158:159]
	v_add_f64 v[36:37], v[36:37], -v[158:159]
	ds_read2_b64 v[158:161], v1 offset0:56 offset1:57
	s_waitcnt lgkmcnt(0)
	v_mul_f64 v[142:143], v[160:161], v[144:145]
	v_fma_f64 v[142:143], v[158:159], v[166:167], -v[142:143]
	v_mul_f64 v[158:159], v[158:159], v[144:145]
	v_add_f64 v[46:47], v[46:47], -v[142:143]
	v_fma_f64 v[158:159], v[160:161], v[166:167], v[158:159]
	v_add_f64 v[48:49], v[48:49], -v[158:159]
	ds_read2_b64 v[158:161], v1 offset0:58 offset1:59
	s_waitcnt lgkmcnt(0)
	v_mul_f64 v[142:143], v[160:161], v[144:145]
	v_fma_f64 v[142:143], v[158:159], v[166:167], -v[142:143]
	v_mul_f64 v[158:159], v[158:159], v[144:145]
	v_add_f64 v[30:31], v[30:31], -v[142:143]
	v_fma_f64 v[158:159], v[160:161], v[166:167], v[158:159]
	v_add_f64 v[32:33], v[32:33], -v[158:159]
	ds_read2_b64 v[158:161], v1 offset0:60 offset1:61
	s_waitcnt lgkmcnt(0)
	v_mul_f64 v[142:143], v[160:161], v[144:145]
	v_fma_f64 v[142:143], v[158:159], v[166:167], -v[142:143]
	v_mul_f64 v[158:159], v[158:159], v[144:145]
	v_add_f64 v[38:39], v[38:39], -v[142:143]
	v_fma_f64 v[158:159], v[160:161], v[166:167], v[158:159]
	v_add_f64 v[40:41], v[40:41], -v[158:159]
	ds_read2_b64 v[158:161], v1 offset0:62 offset1:63
	s_waitcnt lgkmcnt(0)
	v_mul_f64 v[142:143], v[160:161], v[144:145]
	v_fma_f64 v[142:143], v[158:159], v[166:167], -v[142:143]
	v_mul_f64 v[158:159], v[158:159], v[144:145]
	v_add_f64 v[42:43], v[42:43], -v[142:143]
	v_fma_f64 v[158:159], v[160:161], v[166:167], v[158:159]
	v_add_f64 v[44:45], v[44:45], -v[158:159]
	ds_read2_b64 v[158:161], v1 offset0:64 offset1:65
	s_waitcnt lgkmcnt(0)
	v_mul_f64 v[142:143], v[160:161], v[144:145]
	v_fma_f64 v[142:143], v[158:159], v[166:167], -v[142:143]
	v_mul_f64 v[158:159], v[158:159], v[144:145]
	v_add_f64 v[26:27], v[26:27], -v[142:143]
	v_fma_f64 v[158:159], v[160:161], v[166:167], v[158:159]
	v_add_f64 v[28:29], v[28:29], -v[158:159]
	ds_read2_b64 v[158:161], v1 offset0:66 offset1:67
	s_waitcnt lgkmcnt(0)
	v_mul_f64 v[142:143], v[160:161], v[144:145]
	v_fma_f64 v[142:143], v[158:159], v[166:167], -v[142:143]
	v_mul_f64 v[158:159], v[158:159], v[144:145]
	v_add_f64 v[22:23], v[22:23], -v[142:143]
	v_fma_f64 v[158:159], v[160:161], v[166:167], v[158:159]
	v_add_f64 v[24:25], v[24:25], -v[158:159]
	ds_read2_b64 v[158:161], v1 offset0:68 offset1:69
	s_waitcnt lgkmcnt(0)
	v_mul_f64 v[142:143], v[160:161], v[144:145]
	v_fma_f64 v[142:143], v[158:159], v[166:167], -v[142:143]
	v_mul_f64 v[158:159], v[158:159], v[144:145]
	v_add_f64 v[18:19], v[18:19], -v[142:143]
	v_fma_f64 v[158:159], v[160:161], v[166:167], v[158:159]
	v_add_f64 v[20:21], v[20:21], -v[158:159]
	ds_read2_b64 v[158:161], v1 offset0:70 offset1:71
	s_waitcnt lgkmcnt(0)
	v_mul_f64 v[142:143], v[160:161], v[144:145]
	v_fma_f64 v[142:143], v[158:159], v[166:167], -v[142:143]
	v_mul_f64 v[158:159], v[158:159], v[144:145]
	v_add_f64 v[14:15], v[14:15], -v[142:143]
	v_fma_f64 v[158:159], v[160:161], v[166:167], v[158:159]
	v_add_f64 v[16:17], v[16:17], -v[158:159]
	ds_read2_b64 v[158:161], v1 offset0:72 offset1:73
	s_waitcnt lgkmcnt(0)
	v_mul_f64 v[142:143], v[160:161], v[144:145]
	v_fma_f64 v[142:143], v[158:159], v[166:167], -v[142:143]
	v_mul_f64 v[158:159], v[158:159], v[144:145]
	v_add_f64 v[10:11], v[10:11], -v[142:143]
	v_fma_f64 v[158:159], v[160:161], v[166:167], v[158:159]
	v_add_f64 v[12:13], v[12:13], -v[158:159]
	ds_read2_b64 v[158:161], v1 offset0:74 offset1:75
	s_waitcnt lgkmcnt(0)
	v_mul_f64 v[142:143], v[160:161], v[144:145]
	v_fma_f64 v[142:143], v[158:159], v[166:167], -v[142:143]
	v_mul_f64 v[158:159], v[158:159], v[144:145]
	v_add_f64 v[6:7], v[6:7], -v[142:143]
	v_fma_f64 v[158:159], v[160:161], v[166:167], v[158:159]
	v_add_f64 v[8:9], v[8:9], -v[158:159]
	ds_read2_b64 v[158:161], v1 offset0:76 offset1:77
	s_waitcnt lgkmcnt(0)
	v_mul_f64 v[142:143], v[160:161], v[144:145]
	v_fma_f64 v[142:143], v[158:159], v[166:167], -v[142:143]
	v_mul_f64 v[158:159], v[158:159], v[144:145]
	v_add_f64 v[2:3], v[2:3], -v[142:143]
	v_fma_f64 v[158:159], v[160:161], v[166:167], v[158:159]
	v_mov_b32_e32 v142, v166
	v_mov_b32_e32 v143, v167
	v_add_f64 v[4:5], v[4:5], -v[158:159]
.LBB76_83:
	s_or_b32 exec_lo, exec_lo, s0
	v_lshl_add_u32 v158, v172, 4, v1
	s_barrier
	buffer_gl0_inv
	v_mov_b32_e32 v166, 4
	ds_write2_b64 v158, v[134:135], v[136:137] offset1:1
	s_waitcnt lgkmcnt(0)
	s_barrier
	buffer_gl0_inv
	ds_read2_b64 v[158:161], v1 offset0:8 offset1:9
	s_cmp_lt_i32 s1, 6
	s_cbranch_scc1 .LBB76_86
; %bb.84:
	v_mov_b32_e32 v166, 4
	v_add3_u32 v167, v168, 0, 0x50
	s_mov_b32 s3, 5
	s_inst_prefetch 0x1
	.p2align	6
.LBB76_85:                              ; =>This Inner Loop Header: Depth=1
	s_waitcnt lgkmcnt(0)
	v_cmp_gt_f64_e32 vcc_lo, 0, v[160:161]
	v_cmp_gt_f64_e64 s0, 0, v[158:159]
	ds_read2_b64 v[173:176], v167 offset1:1
	v_xor_b32_e32 v178, 0x80000000, v159
	v_xor_b32_e32 v180, 0x80000000, v161
	v_mov_b32_e32 v177, v158
	v_mov_b32_e32 v179, v160
	v_add_nc_u32_e32 v167, 16, v167
	s_waitcnt lgkmcnt(0)
	v_xor_b32_e32 v182, 0x80000000, v176
	v_cndmask_b32_e64 v178, v159, v178, s0
	v_cndmask_b32_e32 v180, v161, v180, vcc_lo
	v_cmp_gt_f64_e32 vcc_lo, 0, v[175:176]
	v_cmp_gt_f64_e64 s0, 0, v[173:174]
	v_mov_b32_e32 v181, v175
	v_add_f64 v[177:178], v[177:178], v[179:180]
	v_xor_b32_e32 v180, 0x80000000, v174
	v_mov_b32_e32 v179, v173
	v_cndmask_b32_e32 v182, v176, v182, vcc_lo
	v_cndmask_b32_e64 v180, v174, v180, s0
	v_add_f64 v[179:180], v[179:180], v[181:182]
	v_cmp_lt_f64_e32 vcc_lo, v[177:178], v[179:180]
	v_cndmask_b32_e32 v159, v159, v174, vcc_lo
	v_cndmask_b32_e32 v158, v158, v173, vcc_lo
	;; [unrolled: 1-line block ×4, first 2 shown]
	v_cndmask_b32_e64 v166, v166, s3, vcc_lo
	s_add_i32 s3, s3, 1
	s_cmp_lg_u32 s1, s3
	s_cbranch_scc1 .LBB76_85
.LBB76_86:
	s_inst_prefetch 0x2
	s_waitcnt lgkmcnt(0)
	v_cmp_eq_f64_e32 vcc_lo, 0, v[158:159]
	v_cmp_eq_f64_e64 s0, 0, v[160:161]
	s_and_b32 s0, vcc_lo, s0
	s_and_saveexec_b32 s3, s0
	s_xor_b32 s0, exec_lo, s3
; %bb.87:
	v_cmp_ne_u32_e32 vcc_lo, 0, v171
	v_cndmask_b32_e32 v171, 5, v171, vcc_lo
; %bb.88:
	s_andn2_saveexec_b32 s0, s0
	s_cbranch_execz .LBB76_94
; %bb.89:
	v_cmp_ngt_f64_e64 s3, |v[158:159]|, |v[160:161]|
	s_and_saveexec_b32 s8, s3
	s_xor_b32 s3, exec_lo, s8
	s_cbranch_execz .LBB76_91
; %bb.90:
	v_div_scale_f64 v[173:174], null, v[160:161], v[160:161], v[158:159]
	v_div_scale_f64 v[179:180], vcc_lo, v[158:159], v[160:161], v[158:159]
	v_rcp_f64_e32 v[175:176], v[173:174]
	v_fma_f64 v[177:178], -v[173:174], v[175:176], 1.0
	v_fma_f64 v[175:176], v[175:176], v[177:178], v[175:176]
	v_fma_f64 v[177:178], -v[173:174], v[175:176], 1.0
	v_fma_f64 v[175:176], v[175:176], v[177:178], v[175:176]
	v_mul_f64 v[177:178], v[179:180], v[175:176]
	v_fma_f64 v[173:174], -v[173:174], v[177:178], v[179:180]
	v_div_fmas_f64 v[173:174], v[173:174], v[175:176], v[177:178]
	v_div_fixup_f64 v[173:174], v[173:174], v[160:161], v[158:159]
	v_fma_f64 v[158:159], v[158:159], v[173:174], v[160:161]
	v_div_scale_f64 v[160:161], null, v[158:159], v[158:159], 1.0
	v_rcp_f64_e32 v[175:176], v[160:161]
	v_fma_f64 v[177:178], -v[160:161], v[175:176], 1.0
	v_fma_f64 v[175:176], v[175:176], v[177:178], v[175:176]
	v_fma_f64 v[177:178], -v[160:161], v[175:176], 1.0
	v_fma_f64 v[175:176], v[175:176], v[177:178], v[175:176]
	v_div_scale_f64 v[177:178], vcc_lo, 1.0, v[158:159], 1.0
	v_mul_f64 v[179:180], v[177:178], v[175:176]
	v_fma_f64 v[160:161], -v[160:161], v[179:180], v[177:178]
	v_div_fmas_f64 v[160:161], v[160:161], v[175:176], v[179:180]
	v_div_fixup_f64 v[160:161], v[160:161], v[158:159], 1.0
	v_mul_f64 v[158:159], v[173:174], v[160:161]
	v_xor_b32_e32 v161, 0x80000000, v161
.LBB76_91:
	s_andn2_saveexec_b32 s3, s3
	s_cbranch_execz .LBB76_93
; %bb.92:
	v_div_scale_f64 v[173:174], null, v[158:159], v[158:159], v[160:161]
	v_div_scale_f64 v[179:180], vcc_lo, v[160:161], v[158:159], v[160:161]
	v_rcp_f64_e32 v[175:176], v[173:174]
	v_fma_f64 v[177:178], -v[173:174], v[175:176], 1.0
	v_fma_f64 v[175:176], v[175:176], v[177:178], v[175:176]
	v_fma_f64 v[177:178], -v[173:174], v[175:176], 1.0
	v_fma_f64 v[175:176], v[175:176], v[177:178], v[175:176]
	v_mul_f64 v[177:178], v[179:180], v[175:176]
	v_fma_f64 v[173:174], -v[173:174], v[177:178], v[179:180]
	v_div_fmas_f64 v[173:174], v[173:174], v[175:176], v[177:178]
	v_div_fixup_f64 v[173:174], v[173:174], v[158:159], v[160:161]
	v_fma_f64 v[158:159], v[160:161], v[173:174], v[158:159]
	v_div_scale_f64 v[160:161], null, v[158:159], v[158:159], 1.0
	v_rcp_f64_e32 v[175:176], v[160:161]
	v_fma_f64 v[177:178], -v[160:161], v[175:176], 1.0
	v_fma_f64 v[175:176], v[175:176], v[177:178], v[175:176]
	v_fma_f64 v[177:178], -v[160:161], v[175:176], 1.0
	v_fma_f64 v[175:176], v[175:176], v[177:178], v[175:176]
	v_div_scale_f64 v[177:178], vcc_lo, 1.0, v[158:159], 1.0
	v_mul_f64 v[179:180], v[177:178], v[175:176]
	v_fma_f64 v[160:161], -v[160:161], v[179:180], v[177:178]
	v_div_fmas_f64 v[160:161], v[160:161], v[175:176], v[179:180]
	v_div_fixup_f64 v[158:159], v[160:161], v[158:159], 1.0
	v_mul_f64 v[160:161], v[173:174], -v[158:159]
.LBB76_93:
	s_or_b32 exec_lo, exec_lo, s3
.LBB76_94:
	s_or_b32 exec_lo, exec_lo, s0
	s_mov_b32 s0, exec_lo
	v_cmpx_ne_u32_e64 v172, v166
	s_xor_b32 s0, exec_lo, s0
	s_cbranch_execz .LBB76_100
; %bb.95:
	s_mov_b32 s3, exec_lo
	v_cmpx_eq_u32_e32 4, v172
	s_cbranch_execz .LBB76_99
; %bb.96:
	v_cmp_ne_u32_e32 vcc_lo, 4, v166
	s_xor_b32 s8, s16, -1
	s_and_b32 s9, s8, vcc_lo
	s_and_saveexec_b32 s8, s9
	s_cbranch_execz .LBB76_98
; %bb.97:
	v_ashrrev_i32_e32 v167, 31, v166
	v_lshlrev_b64 v[172:173], 2, v[166:167]
	v_add_co_u32 v172, vcc_lo, v164, v172
	v_add_co_ci_u32_e64 v173, null, v165, v173, vcc_lo
	s_clause 0x1
	global_load_dword v0, v[172:173], off
	global_load_dword v167, v[164:165], off offset:16
	s_waitcnt vmcnt(1)
	global_store_dword v[164:165], v0, off offset:16
	s_waitcnt vmcnt(0)
	global_store_dword v[172:173], v167, off
.LBB76_98:
	s_or_b32 exec_lo, exec_lo, s8
	v_mov_b32_e32 v172, v166
	v_mov_b32_e32 v0, v166
.LBB76_99:
	s_or_b32 exec_lo, exec_lo, s3
.LBB76_100:
	s_andn2_saveexec_b32 s0, s0
	s_cbranch_execz .LBB76_102
; %bb.101:
	v_mov_b32_e32 v172, 4
	ds_write2_b64 v1, v[130:131], v[132:133] offset0:10 offset1:11
	ds_write2_b64 v1, v[138:139], v[140:141] offset0:12 offset1:13
	;; [unrolled: 1-line block ×34, first 2 shown]
.LBB76_102:
	s_or_b32 exec_lo, exec_lo, s0
	s_mov_b32 s0, exec_lo
	s_waitcnt lgkmcnt(0)
	s_waitcnt_vscnt null, 0x0
	s_barrier
	buffer_gl0_inv
	v_cmpx_lt_i32_e32 4, v172
	s_cbranch_execz .LBB76_104
; %bb.103:
	v_mul_f64 v[166:167], v[160:161], v[136:137]
	v_mul_f64 v[136:137], v[158:159], v[136:137]
	v_fma_f64 v[166:167], v[158:159], v[134:135], -v[166:167]
	v_fma_f64 v[136:137], v[160:161], v[134:135], v[136:137]
	ds_read2_b64 v[158:161], v1 offset0:10 offset1:11
	s_waitcnt lgkmcnt(0)
	v_mul_f64 v[134:135], v[160:161], v[136:137]
	v_fma_f64 v[134:135], v[158:159], v[166:167], -v[134:135]
	v_mul_f64 v[158:159], v[158:159], v[136:137]
	v_add_f64 v[130:131], v[130:131], -v[134:135]
	v_fma_f64 v[158:159], v[160:161], v[166:167], v[158:159]
	v_add_f64 v[132:133], v[132:133], -v[158:159]
	ds_read2_b64 v[158:161], v1 offset0:12 offset1:13
	s_waitcnt lgkmcnt(0)
	v_mul_f64 v[134:135], v[160:161], v[136:137]
	v_fma_f64 v[134:135], v[158:159], v[166:167], -v[134:135]
	v_mul_f64 v[158:159], v[158:159], v[136:137]
	v_add_f64 v[138:139], v[138:139], -v[134:135]
	v_fma_f64 v[158:159], v[160:161], v[166:167], v[158:159]
	v_add_f64 v[140:141], v[140:141], -v[158:159]
	;; [unrolled: 8-line block ×33, first 2 shown]
	ds_read2_b64 v[158:161], v1 offset0:76 offset1:77
	s_waitcnt lgkmcnt(0)
	v_mul_f64 v[134:135], v[160:161], v[136:137]
	v_fma_f64 v[134:135], v[158:159], v[166:167], -v[134:135]
	v_mul_f64 v[158:159], v[158:159], v[136:137]
	v_add_f64 v[2:3], v[2:3], -v[134:135]
	v_fma_f64 v[158:159], v[160:161], v[166:167], v[158:159]
	v_mov_b32_e32 v134, v166
	v_mov_b32_e32 v135, v167
	v_add_f64 v[4:5], v[4:5], -v[158:159]
.LBB76_104:
	s_or_b32 exec_lo, exec_lo, s0
	v_lshl_add_u32 v158, v172, 4, v1
	s_barrier
	buffer_gl0_inv
	v_mov_b32_e32 v166, 5
	ds_write2_b64 v158, v[130:131], v[132:133] offset1:1
	s_waitcnt lgkmcnt(0)
	s_barrier
	buffer_gl0_inv
	ds_read2_b64 v[158:161], v1 offset0:10 offset1:11
	s_cmp_lt_i32 s1, 7
	s_cbranch_scc1 .LBB76_107
; %bb.105:
	v_add3_u32 v167, v168, 0, 0x60
	v_mov_b32_e32 v166, 5
	s_mov_b32 s3, 6
	s_inst_prefetch 0x1
	.p2align	6
.LBB76_106:                             ; =>This Inner Loop Header: Depth=1
	s_waitcnt lgkmcnt(0)
	v_cmp_gt_f64_e32 vcc_lo, 0, v[160:161]
	v_cmp_gt_f64_e64 s0, 0, v[158:159]
	ds_read2_b64 v[173:176], v167 offset1:1
	v_xor_b32_e32 v178, 0x80000000, v159
	v_xor_b32_e32 v180, 0x80000000, v161
	v_mov_b32_e32 v177, v158
	v_mov_b32_e32 v179, v160
	v_add_nc_u32_e32 v167, 16, v167
	s_waitcnt lgkmcnt(0)
	v_xor_b32_e32 v182, 0x80000000, v176
	v_cndmask_b32_e64 v178, v159, v178, s0
	v_cndmask_b32_e32 v180, v161, v180, vcc_lo
	v_cmp_gt_f64_e32 vcc_lo, 0, v[175:176]
	v_cmp_gt_f64_e64 s0, 0, v[173:174]
	v_mov_b32_e32 v181, v175
	v_add_f64 v[177:178], v[177:178], v[179:180]
	v_xor_b32_e32 v180, 0x80000000, v174
	v_mov_b32_e32 v179, v173
	v_cndmask_b32_e32 v182, v176, v182, vcc_lo
	v_cndmask_b32_e64 v180, v174, v180, s0
	v_add_f64 v[179:180], v[179:180], v[181:182]
	v_cmp_lt_f64_e32 vcc_lo, v[177:178], v[179:180]
	v_cndmask_b32_e32 v159, v159, v174, vcc_lo
	v_cndmask_b32_e32 v158, v158, v173, vcc_lo
	;; [unrolled: 1-line block ×4, first 2 shown]
	v_cndmask_b32_e64 v166, v166, s3, vcc_lo
	s_add_i32 s3, s3, 1
	s_cmp_lg_u32 s1, s3
	s_cbranch_scc1 .LBB76_106
.LBB76_107:
	s_inst_prefetch 0x2
	s_waitcnt lgkmcnt(0)
	v_cmp_eq_f64_e32 vcc_lo, 0, v[158:159]
	v_cmp_eq_f64_e64 s0, 0, v[160:161]
	s_and_b32 s0, vcc_lo, s0
	s_and_saveexec_b32 s3, s0
	s_xor_b32 s0, exec_lo, s3
; %bb.108:
	v_cmp_ne_u32_e32 vcc_lo, 0, v171
	v_cndmask_b32_e32 v171, 6, v171, vcc_lo
; %bb.109:
	s_andn2_saveexec_b32 s0, s0
	s_cbranch_execz .LBB76_115
; %bb.110:
	v_cmp_ngt_f64_e64 s3, |v[158:159]|, |v[160:161]|
	s_and_saveexec_b32 s8, s3
	s_xor_b32 s3, exec_lo, s8
	s_cbranch_execz .LBB76_112
; %bb.111:
	v_div_scale_f64 v[173:174], null, v[160:161], v[160:161], v[158:159]
	v_div_scale_f64 v[179:180], vcc_lo, v[158:159], v[160:161], v[158:159]
	v_rcp_f64_e32 v[175:176], v[173:174]
	v_fma_f64 v[177:178], -v[173:174], v[175:176], 1.0
	v_fma_f64 v[175:176], v[175:176], v[177:178], v[175:176]
	v_fma_f64 v[177:178], -v[173:174], v[175:176], 1.0
	v_fma_f64 v[175:176], v[175:176], v[177:178], v[175:176]
	v_mul_f64 v[177:178], v[179:180], v[175:176]
	v_fma_f64 v[173:174], -v[173:174], v[177:178], v[179:180]
	v_div_fmas_f64 v[173:174], v[173:174], v[175:176], v[177:178]
	v_div_fixup_f64 v[173:174], v[173:174], v[160:161], v[158:159]
	v_fma_f64 v[158:159], v[158:159], v[173:174], v[160:161]
	v_div_scale_f64 v[160:161], null, v[158:159], v[158:159], 1.0
	v_rcp_f64_e32 v[175:176], v[160:161]
	v_fma_f64 v[177:178], -v[160:161], v[175:176], 1.0
	v_fma_f64 v[175:176], v[175:176], v[177:178], v[175:176]
	v_fma_f64 v[177:178], -v[160:161], v[175:176], 1.0
	v_fma_f64 v[175:176], v[175:176], v[177:178], v[175:176]
	v_div_scale_f64 v[177:178], vcc_lo, 1.0, v[158:159], 1.0
	v_mul_f64 v[179:180], v[177:178], v[175:176]
	v_fma_f64 v[160:161], -v[160:161], v[179:180], v[177:178]
	v_div_fmas_f64 v[160:161], v[160:161], v[175:176], v[179:180]
	v_div_fixup_f64 v[160:161], v[160:161], v[158:159], 1.0
	v_mul_f64 v[158:159], v[173:174], v[160:161]
	v_xor_b32_e32 v161, 0x80000000, v161
.LBB76_112:
	s_andn2_saveexec_b32 s3, s3
	s_cbranch_execz .LBB76_114
; %bb.113:
	v_div_scale_f64 v[173:174], null, v[158:159], v[158:159], v[160:161]
	v_div_scale_f64 v[179:180], vcc_lo, v[160:161], v[158:159], v[160:161]
	v_rcp_f64_e32 v[175:176], v[173:174]
	v_fma_f64 v[177:178], -v[173:174], v[175:176], 1.0
	v_fma_f64 v[175:176], v[175:176], v[177:178], v[175:176]
	v_fma_f64 v[177:178], -v[173:174], v[175:176], 1.0
	v_fma_f64 v[175:176], v[175:176], v[177:178], v[175:176]
	v_mul_f64 v[177:178], v[179:180], v[175:176]
	v_fma_f64 v[173:174], -v[173:174], v[177:178], v[179:180]
	v_div_fmas_f64 v[173:174], v[173:174], v[175:176], v[177:178]
	v_div_fixup_f64 v[173:174], v[173:174], v[158:159], v[160:161]
	v_fma_f64 v[158:159], v[160:161], v[173:174], v[158:159]
	v_div_scale_f64 v[160:161], null, v[158:159], v[158:159], 1.0
	v_rcp_f64_e32 v[175:176], v[160:161]
	v_fma_f64 v[177:178], -v[160:161], v[175:176], 1.0
	v_fma_f64 v[175:176], v[175:176], v[177:178], v[175:176]
	v_fma_f64 v[177:178], -v[160:161], v[175:176], 1.0
	v_fma_f64 v[175:176], v[175:176], v[177:178], v[175:176]
	v_div_scale_f64 v[177:178], vcc_lo, 1.0, v[158:159], 1.0
	v_mul_f64 v[179:180], v[177:178], v[175:176]
	v_fma_f64 v[160:161], -v[160:161], v[179:180], v[177:178]
	v_div_fmas_f64 v[160:161], v[160:161], v[175:176], v[179:180]
	v_div_fixup_f64 v[158:159], v[160:161], v[158:159], 1.0
	v_mul_f64 v[160:161], v[173:174], -v[158:159]
.LBB76_114:
	s_or_b32 exec_lo, exec_lo, s3
.LBB76_115:
	s_or_b32 exec_lo, exec_lo, s0
	s_mov_b32 s0, exec_lo
	v_cmpx_ne_u32_e64 v172, v166
	s_xor_b32 s0, exec_lo, s0
	s_cbranch_execz .LBB76_121
; %bb.116:
	s_mov_b32 s3, exec_lo
	v_cmpx_eq_u32_e32 5, v172
	s_cbranch_execz .LBB76_120
; %bb.117:
	v_cmp_ne_u32_e32 vcc_lo, 5, v166
	s_xor_b32 s8, s16, -1
	s_and_b32 s9, s8, vcc_lo
	s_and_saveexec_b32 s8, s9
	s_cbranch_execz .LBB76_119
; %bb.118:
	v_ashrrev_i32_e32 v167, 31, v166
	v_lshlrev_b64 v[172:173], 2, v[166:167]
	v_add_co_u32 v172, vcc_lo, v164, v172
	v_add_co_ci_u32_e64 v173, null, v165, v173, vcc_lo
	s_clause 0x1
	global_load_dword v0, v[172:173], off
	global_load_dword v167, v[164:165], off offset:20
	s_waitcnt vmcnt(1)
	global_store_dword v[164:165], v0, off offset:20
	s_waitcnt vmcnt(0)
	global_store_dword v[172:173], v167, off
.LBB76_119:
	s_or_b32 exec_lo, exec_lo, s8
	v_mov_b32_e32 v172, v166
	v_mov_b32_e32 v0, v166
.LBB76_120:
	s_or_b32 exec_lo, exec_lo, s3
.LBB76_121:
	s_andn2_saveexec_b32 s0, s0
	s_cbranch_execz .LBB76_123
; %bb.122:
	v_mov_b32_e32 v172, 5
	ds_write2_b64 v1, v[138:139], v[140:141] offset0:12 offset1:13
	ds_write2_b64 v1, v[122:123], v[124:125] offset0:14 offset1:15
	;; [unrolled: 1-line block ×33, first 2 shown]
.LBB76_123:
	s_or_b32 exec_lo, exec_lo, s0
	s_mov_b32 s0, exec_lo
	s_waitcnt lgkmcnt(0)
	s_waitcnt_vscnt null, 0x0
	s_barrier
	buffer_gl0_inv
	v_cmpx_lt_i32_e32 5, v172
	s_cbranch_execz .LBB76_125
; %bb.124:
	v_mul_f64 v[166:167], v[160:161], v[132:133]
	v_mul_f64 v[132:133], v[158:159], v[132:133]
	v_fma_f64 v[166:167], v[158:159], v[130:131], -v[166:167]
	v_fma_f64 v[132:133], v[160:161], v[130:131], v[132:133]
	ds_read2_b64 v[158:161], v1 offset0:12 offset1:13
	s_waitcnt lgkmcnt(0)
	v_mul_f64 v[130:131], v[160:161], v[132:133]
	v_fma_f64 v[130:131], v[158:159], v[166:167], -v[130:131]
	v_mul_f64 v[158:159], v[158:159], v[132:133]
	v_add_f64 v[138:139], v[138:139], -v[130:131]
	v_fma_f64 v[158:159], v[160:161], v[166:167], v[158:159]
	v_add_f64 v[140:141], v[140:141], -v[158:159]
	ds_read2_b64 v[158:161], v1 offset0:14 offset1:15
	s_waitcnt lgkmcnt(0)
	v_mul_f64 v[130:131], v[160:161], v[132:133]
	v_fma_f64 v[130:131], v[158:159], v[166:167], -v[130:131]
	v_mul_f64 v[158:159], v[158:159], v[132:133]
	v_add_f64 v[122:123], v[122:123], -v[130:131]
	v_fma_f64 v[158:159], v[160:161], v[166:167], v[158:159]
	v_add_f64 v[124:125], v[124:125], -v[158:159]
	;; [unrolled: 8-line block ×32, first 2 shown]
	ds_read2_b64 v[158:161], v1 offset0:76 offset1:77
	s_waitcnt lgkmcnt(0)
	v_mul_f64 v[130:131], v[160:161], v[132:133]
	v_fma_f64 v[130:131], v[158:159], v[166:167], -v[130:131]
	v_mul_f64 v[158:159], v[158:159], v[132:133]
	v_add_f64 v[2:3], v[2:3], -v[130:131]
	v_fma_f64 v[158:159], v[160:161], v[166:167], v[158:159]
	v_mov_b32_e32 v130, v166
	v_mov_b32_e32 v131, v167
	v_add_f64 v[4:5], v[4:5], -v[158:159]
.LBB76_125:
	s_or_b32 exec_lo, exec_lo, s0
	v_lshl_add_u32 v158, v172, 4, v1
	s_barrier
	buffer_gl0_inv
	v_mov_b32_e32 v166, 6
	ds_write2_b64 v158, v[138:139], v[140:141] offset1:1
	s_waitcnt lgkmcnt(0)
	s_barrier
	buffer_gl0_inv
	ds_read2_b64 v[158:161], v1 offset0:12 offset1:13
	s_cmp_lt_i32 s1, 8
	s_cbranch_scc1 .LBB76_128
; %bb.126:
	v_add3_u32 v167, v168, 0, 0x70
	v_mov_b32_e32 v166, 6
	s_mov_b32 s3, 7
	s_inst_prefetch 0x1
	.p2align	6
.LBB76_127:                             ; =>This Inner Loop Header: Depth=1
	s_waitcnt lgkmcnt(0)
	v_cmp_gt_f64_e32 vcc_lo, 0, v[160:161]
	v_cmp_gt_f64_e64 s0, 0, v[158:159]
	ds_read2_b64 v[173:176], v167 offset1:1
	v_xor_b32_e32 v178, 0x80000000, v159
	v_xor_b32_e32 v180, 0x80000000, v161
	v_mov_b32_e32 v177, v158
	v_mov_b32_e32 v179, v160
	v_add_nc_u32_e32 v167, 16, v167
	s_waitcnt lgkmcnt(0)
	v_xor_b32_e32 v182, 0x80000000, v176
	v_cndmask_b32_e64 v178, v159, v178, s0
	v_cndmask_b32_e32 v180, v161, v180, vcc_lo
	v_cmp_gt_f64_e32 vcc_lo, 0, v[175:176]
	v_cmp_gt_f64_e64 s0, 0, v[173:174]
	v_mov_b32_e32 v181, v175
	v_add_f64 v[177:178], v[177:178], v[179:180]
	v_xor_b32_e32 v180, 0x80000000, v174
	v_mov_b32_e32 v179, v173
	v_cndmask_b32_e32 v182, v176, v182, vcc_lo
	v_cndmask_b32_e64 v180, v174, v180, s0
	v_add_f64 v[179:180], v[179:180], v[181:182]
	v_cmp_lt_f64_e32 vcc_lo, v[177:178], v[179:180]
	v_cndmask_b32_e32 v159, v159, v174, vcc_lo
	v_cndmask_b32_e32 v158, v158, v173, vcc_lo
	;; [unrolled: 1-line block ×4, first 2 shown]
	v_cndmask_b32_e64 v166, v166, s3, vcc_lo
	s_add_i32 s3, s3, 1
	s_cmp_lg_u32 s1, s3
	s_cbranch_scc1 .LBB76_127
.LBB76_128:
	s_inst_prefetch 0x2
	s_waitcnt lgkmcnt(0)
	v_cmp_eq_f64_e32 vcc_lo, 0, v[158:159]
	v_cmp_eq_f64_e64 s0, 0, v[160:161]
	s_and_b32 s0, vcc_lo, s0
	s_and_saveexec_b32 s3, s0
	s_xor_b32 s0, exec_lo, s3
; %bb.129:
	v_cmp_ne_u32_e32 vcc_lo, 0, v171
	v_cndmask_b32_e32 v171, 7, v171, vcc_lo
; %bb.130:
	s_andn2_saveexec_b32 s0, s0
	s_cbranch_execz .LBB76_136
; %bb.131:
	v_cmp_ngt_f64_e64 s3, |v[158:159]|, |v[160:161]|
	s_and_saveexec_b32 s8, s3
	s_xor_b32 s3, exec_lo, s8
	s_cbranch_execz .LBB76_133
; %bb.132:
	v_div_scale_f64 v[173:174], null, v[160:161], v[160:161], v[158:159]
	v_div_scale_f64 v[179:180], vcc_lo, v[158:159], v[160:161], v[158:159]
	v_rcp_f64_e32 v[175:176], v[173:174]
	v_fma_f64 v[177:178], -v[173:174], v[175:176], 1.0
	v_fma_f64 v[175:176], v[175:176], v[177:178], v[175:176]
	v_fma_f64 v[177:178], -v[173:174], v[175:176], 1.0
	v_fma_f64 v[175:176], v[175:176], v[177:178], v[175:176]
	v_mul_f64 v[177:178], v[179:180], v[175:176]
	v_fma_f64 v[173:174], -v[173:174], v[177:178], v[179:180]
	v_div_fmas_f64 v[173:174], v[173:174], v[175:176], v[177:178]
	v_div_fixup_f64 v[173:174], v[173:174], v[160:161], v[158:159]
	v_fma_f64 v[158:159], v[158:159], v[173:174], v[160:161]
	v_div_scale_f64 v[160:161], null, v[158:159], v[158:159], 1.0
	v_rcp_f64_e32 v[175:176], v[160:161]
	v_fma_f64 v[177:178], -v[160:161], v[175:176], 1.0
	v_fma_f64 v[175:176], v[175:176], v[177:178], v[175:176]
	v_fma_f64 v[177:178], -v[160:161], v[175:176], 1.0
	v_fma_f64 v[175:176], v[175:176], v[177:178], v[175:176]
	v_div_scale_f64 v[177:178], vcc_lo, 1.0, v[158:159], 1.0
	v_mul_f64 v[179:180], v[177:178], v[175:176]
	v_fma_f64 v[160:161], -v[160:161], v[179:180], v[177:178]
	v_div_fmas_f64 v[160:161], v[160:161], v[175:176], v[179:180]
	v_div_fixup_f64 v[160:161], v[160:161], v[158:159], 1.0
	v_mul_f64 v[158:159], v[173:174], v[160:161]
	v_xor_b32_e32 v161, 0x80000000, v161
.LBB76_133:
	s_andn2_saveexec_b32 s3, s3
	s_cbranch_execz .LBB76_135
; %bb.134:
	v_div_scale_f64 v[173:174], null, v[158:159], v[158:159], v[160:161]
	v_div_scale_f64 v[179:180], vcc_lo, v[160:161], v[158:159], v[160:161]
	v_rcp_f64_e32 v[175:176], v[173:174]
	v_fma_f64 v[177:178], -v[173:174], v[175:176], 1.0
	v_fma_f64 v[175:176], v[175:176], v[177:178], v[175:176]
	v_fma_f64 v[177:178], -v[173:174], v[175:176], 1.0
	v_fma_f64 v[175:176], v[175:176], v[177:178], v[175:176]
	v_mul_f64 v[177:178], v[179:180], v[175:176]
	v_fma_f64 v[173:174], -v[173:174], v[177:178], v[179:180]
	v_div_fmas_f64 v[173:174], v[173:174], v[175:176], v[177:178]
	v_div_fixup_f64 v[173:174], v[173:174], v[158:159], v[160:161]
	v_fma_f64 v[158:159], v[160:161], v[173:174], v[158:159]
	v_div_scale_f64 v[160:161], null, v[158:159], v[158:159], 1.0
	v_rcp_f64_e32 v[175:176], v[160:161]
	v_fma_f64 v[177:178], -v[160:161], v[175:176], 1.0
	v_fma_f64 v[175:176], v[175:176], v[177:178], v[175:176]
	v_fma_f64 v[177:178], -v[160:161], v[175:176], 1.0
	v_fma_f64 v[175:176], v[175:176], v[177:178], v[175:176]
	v_div_scale_f64 v[177:178], vcc_lo, 1.0, v[158:159], 1.0
	v_mul_f64 v[179:180], v[177:178], v[175:176]
	v_fma_f64 v[160:161], -v[160:161], v[179:180], v[177:178]
	v_div_fmas_f64 v[160:161], v[160:161], v[175:176], v[179:180]
	v_div_fixup_f64 v[158:159], v[160:161], v[158:159], 1.0
	v_mul_f64 v[160:161], v[173:174], -v[158:159]
.LBB76_135:
	s_or_b32 exec_lo, exec_lo, s3
.LBB76_136:
	s_or_b32 exec_lo, exec_lo, s0
	s_mov_b32 s0, exec_lo
	v_cmpx_ne_u32_e64 v172, v166
	s_xor_b32 s0, exec_lo, s0
	s_cbranch_execz .LBB76_142
; %bb.137:
	s_mov_b32 s3, exec_lo
	v_cmpx_eq_u32_e32 6, v172
	s_cbranch_execz .LBB76_141
; %bb.138:
	v_cmp_ne_u32_e32 vcc_lo, 6, v166
	s_xor_b32 s8, s16, -1
	s_and_b32 s9, s8, vcc_lo
	s_and_saveexec_b32 s8, s9
	s_cbranch_execz .LBB76_140
; %bb.139:
	v_ashrrev_i32_e32 v167, 31, v166
	v_lshlrev_b64 v[172:173], 2, v[166:167]
	v_add_co_u32 v172, vcc_lo, v164, v172
	v_add_co_ci_u32_e64 v173, null, v165, v173, vcc_lo
	s_clause 0x1
	global_load_dword v0, v[172:173], off
	global_load_dword v167, v[164:165], off offset:24
	s_waitcnt vmcnt(1)
	global_store_dword v[164:165], v0, off offset:24
	s_waitcnt vmcnt(0)
	global_store_dword v[172:173], v167, off
.LBB76_140:
	s_or_b32 exec_lo, exec_lo, s8
	v_mov_b32_e32 v172, v166
	v_mov_b32_e32 v0, v166
.LBB76_141:
	s_or_b32 exec_lo, exec_lo, s3
.LBB76_142:
	s_andn2_saveexec_b32 s0, s0
	s_cbranch_execz .LBB76_144
; %bb.143:
	v_mov_b32_e32 v172, 6
	ds_write2_b64 v1, v[122:123], v[124:125] offset0:14 offset1:15
	ds_write2_b64 v1, v[126:127], v[128:129] offset0:16 offset1:17
	;; [unrolled: 1-line block ×32, first 2 shown]
.LBB76_144:
	s_or_b32 exec_lo, exec_lo, s0
	s_mov_b32 s0, exec_lo
	s_waitcnt lgkmcnt(0)
	s_waitcnt_vscnt null, 0x0
	s_barrier
	buffer_gl0_inv
	v_cmpx_lt_i32_e32 6, v172
	s_cbranch_execz .LBB76_146
; %bb.145:
	v_mul_f64 v[166:167], v[160:161], v[140:141]
	v_mul_f64 v[140:141], v[158:159], v[140:141]
	v_fma_f64 v[166:167], v[158:159], v[138:139], -v[166:167]
	v_fma_f64 v[140:141], v[160:161], v[138:139], v[140:141]
	ds_read2_b64 v[158:161], v1 offset0:14 offset1:15
	s_waitcnt lgkmcnt(0)
	v_mul_f64 v[138:139], v[160:161], v[140:141]
	v_fma_f64 v[138:139], v[158:159], v[166:167], -v[138:139]
	v_mul_f64 v[158:159], v[158:159], v[140:141]
	v_add_f64 v[122:123], v[122:123], -v[138:139]
	v_fma_f64 v[158:159], v[160:161], v[166:167], v[158:159]
	v_add_f64 v[124:125], v[124:125], -v[158:159]
	ds_read2_b64 v[158:161], v1 offset0:16 offset1:17
	s_waitcnt lgkmcnt(0)
	v_mul_f64 v[138:139], v[160:161], v[140:141]
	v_fma_f64 v[138:139], v[158:159], v[166:167], -v[138:139]
	v_mul_f64 v[158:159], v[158:159], v[140:141]
	v_add_f64 v[126:127], v[126:127], -v[138:139]
	v_fma_f64 v[158:159], v[160:161], v[166:167], v[158:159]
	v_add_f64 v[128:129], v[128:129], -v[158:159]
	ds_read2_b64 v[158:161], v1 offset0:18 offset1:19
	s_waitcnt lgkmcnt(0)
	v_mul_f64 v[138:139], v[160:161], v[140:141]
	v_fma_f64 v[138:139], v[158:159], v[166:167], -v[138:139]
	v_mul_f64 v[158:159], v[158:159], v[140:141]
	v_add_f64 v[110:111], v[110:111], -v[138:139]
	v_fma_f64 v[158:159], v[160:161], v[166:167], v[158:159]
	v_add_f64 v[112:113], v[112:113], -v[158:159]
	ds_read2_b64 v[158:161], v1 offset0:20 offset1:21
	s_waitcnt lgkmcnt(0)
	v_mul_f64 v[138:139], v[160:161], v[140:141]
	v_fma_f64 v[138:139], v[158:159], v[166:167], -v[138:139]
	v_mul_f64 v[158:159], v[158:159], v[140:141]
	v_add_f64 v[118:119], v[118:119], -v[138:139]
	v_fma_f64 v[158:159], v[160:161], v[166:167], v[158:159]
	v_add_f64 v[120:121], v[120:121], -v[158:159]
	ds_read2_b64 v[158:161], v1 offset0:22 offset1:23
	s_waitcnt lgkmcnt(0)
	v_mul_f64 v[138:139], v[160:161], v[140:141]
	v_fma_f64 v[138:139], v[158:159], v[166:167], -v[138:139]
	v_mul_f64 v[158:159], v[158:159], v[140:141]
	v_add_f64 v[114:115], v[114:115], -v[138:139]
	v_fma_f64 v[158:159], v[160:161], v[166:167], v[158:159]
	v_add_f64 v[116:117], v[116:117], -v[158:159]
	ds_read2_b64 v[158:161], v1 offset0:24 offset1:25
	s_waitcnt lgkmcnt(0)
	v_mul_f64 v[138:139], v[160:161], v[140:141]
	v_fma_f64 v[138:139], v[158:159], v[166:167], -v[138:139]
	v_mul_f64 v[158:159], v[158:159], v[140:141]
	v_add_f64 v[106:107], v[106:107], -v[138:139]
	v_fma_f64 v[158:159], v[160:161], v[166:167], v[158:159]
	v_add_f64 v[108:109], v[108:109], -v[158:159]
	ds_read2_b64 v[158:161], v1 offset0:26 offset1:27
	s_waitcnt lgkmcnt(0)
	v_mul_f64 v[138:139], v[160:161], v[140:141]
	v_fma_f64 v[138:139], v[158:159], v[166:167], -v[138:139]
	v_mul_f64 v[158:159], v[158:159], v[140:141]
	v_add_f64 v[102:103], v[102:103], -v[138:139]
	v_fma_f64 v[158:159], v[160:161], v[166:167], v[158:159]
	v_add_f64 v[104:105], v[104:105], -v[158:159]
	ds_read2_b64 v[158:161], v1 offset0:28 offset1:29
	s_waitcnt lgkmcnt(0)
	v_mul_f64 v[138:139], v[160:161], v[140:141]
	v_fma_f64 v[138:139], v[158:159], v[166:167], -v[138:139]
	v_mul_f64 v[158:159], v[158:159], v[140:141]
	v_add_f64 v[94:95], v[94:95], -v[138:139]
	v_fma_f64 v[158:159], v[160:161], v[166:167], v[158:159]
	v_add_f64 v[96:97], v[96:97], -v[158:159]
	ds_read2_b64 v[158:161], v1 offset0:30 offset1:31
	s_waitcnt lgkmcnt(0)
	v_mul_f64 v[138:139], v[160:161], v[140:141]
	v_fma_f64 v[138:139], v[158:159], v[166:167], -v[138:139]
	v_mul_f64 v[158:159], v[158:159], v[140:141]
	v_add_f64 v[90:91], v[90:91], -v[138:139]
	v_fma_f64 v[158:159], v[160:161], v[166:167], v[158:159]
	v_add_f64 v[92:93], v[92:93], -v[158:159]
	ds_read2_b64 v[158:161], v1 offset0:32 offset1:33
	s_waitcnt lgkmcnt(0)
	v_mul_f64 v[138:139], v[160:161], v[140:141]
	v_fma_f64 v[138:139], v[158:159], v[166:167], -v[138:139]
	v_mul_f64 v[158:159], v[158:159], v[140:141]
	v_add_f64 v[98:99], v[98:99], -v[138:139]
	v_fma_f64 v[158:159], v[160:161], v[166:167], v[158:159]
	v_add_f64 v[100:101], v[100:101], -v[158:159]
	ds_read2_b64 v[158:161], v1 offset0:34 offset1:35
	s_waitcnt lgkmcnt(0)
	v_mul_f64 v[138:139], v[160:161], v[140:141]
	v_fma_f64 v[138:139], v[158:159], v[166:167], -v[138:139]
	v_mul_f64 v[158:159], v[158:159], v[140:141]
	v_add_f64 v[82:83], v[82:83], -v[138:139]
	v_fma_f64 v[158:159], v[160:161], v[166:167], v[158:159]
	v_add_f64 v[84:85], v[84:85], -v[158:159]
	ds_read2_b64 v[158:161], v1 offset0:36 offset1:37
	s_waitcnt lgkmcnt(0)
	v_mul_f64 v[138:139], v[160:161], v[140:141]
	v_fma_f64 v[138:139], v[158:159], v[166:167], -v[138:139]
	v_mul_f64 v[158:159], v[158:159], v[140:141]
	v_add_f64 v[86:87], v[86:87], -v[138:139]
	v_fma_f64 v[158:159], v[160:161], v[166:167], v[158:159]
	v_add_f64 v[88:89], v[88:89], -v[158:159]
	ds_read2_b64 v[158:161], v1 offset0:38 offset1:39
	s_waitcnt lgkmcnt(0)
	v_mul_f64 v[138:139], v[160:161], v[140:141]
	v_fma_f64 v[138:139], v[158:159], v[166:167], -v[138:139]
	v_mul_f64 v[158:159], v[158:159], v[140:141]
	v_add_f64 v[70:71], v[70:71], -v[138:139]
	v_fma_f64 v[158:159], v[160:161], v[166:167], v[158:159]
	v_add_f64 v[72:73], v[72:73], -v[158:159]
	ds_read2_b64 v[158:161], v1 offset0:40 offset1:41
	s_waitcnt lgkmcnt(0)
	v_mul_f64 v[138:139], v[160:161], v[140:141]
	v_fma_f64 v[138:139], v[158:159], v[166:167], -v[138:139]
	v_mul_f64 v[158:159], v[158:159], v[140:141]
	v_add_f64 v[78:79], v[78:79], -v[138:139]
	v_fma_f64 v[158:159], v[160:161], v[166:167], v[158:159]
	v_add_f64 v[80:81], v[80:81], -v[158:159]
	ds_read2_b64 v[158:161], v1 offset0:42 offset1:43
	s_waitcnt lgkmcnt(0)
	v_mul_f64 v[138:139], v[160:161], v[140:141]
	v_fma_f64 v[138:139], v[158:159], v[166:167], -v[138:139]
	v_mul_f64 v[158:159], v[158:159], v[140:141]
	v_add_f64 v[74:75], v[74:75], -v[138:139]
	v_fma_f64 v[158:159], v[160:161], v[166:167], v[158:159]
	v_add_f64 v[76:77], v[76:77], -v[158:159]
	ds_read2_b64 v[158:161], v1 offset0:44 offset1:45
	s_waitcnt lgkmcnt(0)
	v_mul_f64 v[138:139], v[160:161], v[140:141]
	v_fma_f64 v[138:139], v[158:159], v[166:167], -v[138:139]
	v_mul_f64 v[158:159], v[158:159], v[140:141]
	v_add_f64 v[66:67], v[66:67], -v[138:139]
	v_fma_f64 v[158:159], v[160:161], v[166:167], v[158:159]
	v_add_f64 v[68:69], v[68:69], -v[158:159]
	ds_read2_b64 v[158:161], v1 offset0:46 offset1:47
	s_waitcnt lgkmcnt(0)
	v_mul_f64 v[138:139], v[160:161], v[140:141]
	v_fma_f64 v[138:139], v[158:159], v[166:167], -v[138:139]
	v_mul_f64 v[158:159], v[158:159], v[140:141]
	v_add_f64 v[62:63], v[62:63], -v[138:139]
	v_fma_f64 v[158:159], v[160:161], v[166:167], v[158:159]
	v_add_f64 v[64:65], v[64:65], -v[158:159]
	ds_read2_b64 v[158:161], v1 offset0:48 offset1:49
	s_waitcnt lgkmcnt(0)
	v_mul_f64 v[138:139], v[160:161], v[140:141]
	v_fma_f64 v[138:139], v[158:159], v[166:167], -v[138:139]
	v_mul_f64 v[158:159], v[158:159], v[140:141]
	v_add_f64 v[54:55], v[54:55], -v[138:139]
	v_fma_f64 v[158:159], v[160:161], v[166:167], v[158:159]
	v_add_f64 v[56:57], v[56:57], -v[158:159]
	ds_read2_b64 v[158:161], v1 offset0:50 offset1:51
	s_waitcnt lgkmcnt(0)
	v_mul_f64 v[138:139], v[160:161], v[140:141]
	v_fma_f64 v[138:139], v[158:159], v[166:167], -v[138:139]
	v_mul_f64 v[158:159], v[158:159], v[140:141]
	v_add_f64 v[50:51], v[50:51], -v[138:139]
	v_fma_f64 v[158:159], v[160:161], v[166:167], v[158:159]
	v_add_f64 v[52:53], v[52:53], -v[158:159]
	ds_read2_b64 v[158:161], v1 offset0:52 offset1:53
	s_waitcnt lgkmcnt(0)
	v_mul_f64 v[138:139], v[160:161], v[140:141]
	v_fma_f64 v[138:139], v[158:159], v[166:167], -v[138:139]
	v_mul_f64 v[158:159], v[158:159], v[140:141]
	v_add_f64 v[58:59], v[58:59], -v[138:139]
	v_fma_f64 v[158:159], v[160:161], v[166:167], v[158:159]
	v_add_f64 v[60:61], v[60:61], -v[158:159]
	ds_read2_b64 v[158:161], v1 offset0:54 offset1:55
	s_waitcnt lgkmcnt(0)
	v_mul_f64 v[138:139], v[160:161], v[140:141]
	v_fma_f64 v[138:139], v[158:159], v[166:167], -v[138:139]
	v_mul_f64 v[158:159], v[158:159], v[140:141]
	v_add_f64 v[34:35], v[34:35], -v[138:139]
	v_fma_f64 v[158:159], v[160:161], v[166:167], v[158:159]
	v_add_f64 v[36:37], v[36:37], -v[158:159]
	ds_read2_b64 v[158:161], v1 offset0:56 offset1:57
	s_waitcnt lgkmcnt(0)
	v_mul_f64 v[138:139], v[160:161], v[140:141]
	v_fma_f64 v[138:139], v[158:159], v[166:167], -v[138:139]
	v_mul_f64 v[158:159], v[158:159], v[140:141]
	v_add_f64 v[46:47], v[46:47], -v[138:139]
	v_fma_f64 v[158:159], v[160:161], v[166:167], v[158:159]
	v_add_f64 v[48:49], v[48:49], -v[158:159]
	ds_read2_b64 v[158:161], v1 offset0:58 offset1:59
	s_waitcnt lgkmcnt(0)
	v_mul_f64 v[138:139], v[160:161], v[140:141]
	v_fma_f64 v[138:139], v[158:159], v[166:167], -v[138:139]
	v_mul_f64 v[158:159], v[158:159], v[140:141]
	v_add_f64 v[30:31], v[30:31], -v[138:139]
	v_fma_f64 v[158:159], v[160:161], v[166:167], v[158:159]
	v_add_f64 v[32:33], v[32:33], -v[158:159]
	ds_read2_b64 v[158:161], v1 offset0:60 offset1:61
	s_waitcnt lgkmcnt(0)
	v_mul_f64 v[138:139], v[160:161], v[140:141]
	v_fma_f64 v[138:139], v[158:159], v[166:167], -v[138:139]
	v_mul_f64 v[158:159], v[158:159], v[140:141]
	v_add_f64 v[38:39], v[38:39], -v[138:139]
	v_fma_f64 v[158:159], v[160:161], v[166:167], v[158:159]
	v_add_f64 v[40:41], v[40:41], -v[158:159]
	ds_read2_b64 v[158:161], v1 offset0:62 offset1:63
	s_waitcnt lgkmcnt(0)
	v_mul_f64 v[138:139], v[160:161], v[140:141]
	v_fma_f64 v[138:139], v[158:159], v[166:167], -v[138:139]
	v_mul_f64 v[158:159], v[158:159], v[140:141]
	v_add_f64 v[42:43], v[42:43], -v[138:139]
	v_fma_f64 v[158:159], v[160:161], v[166:167], v[158:159]
	v_add_f64 v[44:45], v[44:45], -v[158:159]
	ds_read2_b64 v[158:161], v1 offset0:64 offset1:65
	s_waitcnt lgkmcnt(0)
	v_mul_f64 v[138:139], v[160:161], v[140:141]
	v_fma_f64 v[138:139], v[158:159], v[166:167], -v[138:139]
	v_mul_f64 v[158:159], v[158:159], v[140:141]
	v_add_f64 v[26:27], v[26:27], -v[138:139]
	v_fma_f64 v[158:159], v[160:161], v[166:167], v[158:159]
	v_add_f64 v[28:29], v[28:29], -v[158:159]
	ds_read2_b64 v[158:161], v1 offset0:66 offset1:67
	s_waitcnt lgkmcnt(0)
	v_mul_f64 v[138:139], v[160:161], v[140:141]
	v_fma_f64 v[138:139], v[158:159], v[166:167], -v[138:139]
	v_mul_f64 v[158:159], v[158:159], v[140:141]
	v_add_f64 v[22:23], v[22:23], -v[138:139]
	v_fma_f64 v[158:159], v[160:161], v[166:167], v[158:159]
	v_add_f64 v[24:25], v[24:25], -v[158:159]
	ds_read2_b64 v[158:161], v1 offset0:68 offset1:69
	s_waitcnt lgkmcnt(0)
	v_mul_f64 v[138:139], v[160:161], v[140:141]
	v_fma_f64 v[138:139], v[158:159], v[166:167], -v[138:139]
	v_mul_f64 v[158:159], v[158:159], v[140:141]
	v_add_f64 v[18:19], v[18:19], -v[138:139]
	v_fma_f64 v[158:159], v[160:161], v[166:167], v[158:159]
	v_add_f64 v[20:21], v[20:21], -v[158:159]
	ds_read2_b64 v[158:161], v1 offset0:70 offset1:71
	s_waitcnt lgkmcnt(0)
	v_mul_f64 v[138:139], v[160:161], v[140:141]
	v_fma_f64 v[138:139], v[158:159], v[166:167], -v[138:139]
	v_mul_f64 v[158:159], v[158:159], v[140:141]
	v_add_f64 v[14:15], v[14:15], -v[138:139]
	v_fma_f64 v[158:159], v[160:161], v[166:167], v[158:159]
	v_add_f64 v[16:17], v[16:17], -v[158:159]
	ds_read2_b64 v[158:161], v1 offset0:72 offset1:73
	s_waitcnt lgkmcnt(0)
	v_mul_f64 v[138:139], v[160:161], v[140:141]
	v_fma_f64 v[138:139], v[158:159], v[166:167], -v[138:139]
	v_mul_f64 v[158:159], v[158:159], v[140:141]
	v_add_f64 v[10:11], v[10:11], -v[138:139]
	v_fma_f64 v[158:159], v[160:161], v[166:167], v[158:159]
	v_add_f64 v[12:13], v[12:13], -v[158:159]
	ds_read2_b64 v[158:161], v1 offset0:74 offset1:75
	s_waitcnt lgkmcnt(0)
	v_mul_f64 v[138:139], v[160:161], v[140:141]
	v_fma_f64 v[138:139], v[158:159], v[166:167], -v[138:139]
	v_mul_f64 v[158:159], v[158:159], v[140:141]
	v_add_f64 v[6:7], v[6:7], -v[138:139]
	v_fma_f64 v[158:159], v[160:161], v[166:167], v[158:159]
	v_add_f64 v[8:9], v[8:9], -v[158:159]
	ds_read2_b64 v[158:161], v1 offset0:76 offset1:77
	s_waitcnt lgkmcnt(0)
	v_mul_f64 v[138:139], v[160:161], v[140:141]
	v_fma_f64 v[138:139], v[158:159], v[166:167], -v[138:139]
	v_mul_f64 v[158:159], v[158:159], v[140:141]
	v_add_f64 v[2:3], v[2:3], -v[138:139]
	v_fma_f64 v[158:159], v[160:161], v[166:167], v[158:159]
	v_mov_b32_e32 v138, v166
	v_mov_b32_e32 v139, v167
	v_add_f64 v[4:5], v[4:5], -v[158:159]
.LBB76_146:
	s_or_b32 exec_lo, exec_lo, s0
	v_lshl_add_u32 v158, v172, 4, v1
	s_barrier
	buffer_gl0_inv
	v_mov_b32_e32 v166, 7
	ds_write2_b64 v158, v[122:123], v[124:125] offset1:1
	s_waitcnt lgkmcnt(0)
	s_barrier
	buffer_gl0_inv
	ds_read2_b64 v[158:161], v1 offset0:14 offset1:15
	s_cmp_lt_i32 s1, 9
	s_cbranch_scc1 .LBB76_149
; %bb.147:
	v_add3_u32 v167, v168, 0, 0x80
	v_mov_b32_e32 v166, 7
	s_mov_b32 s3, 8
	s_inst_prefetch 0x1
	.p2align	6
.LBB76_148:                             ; =>This Inner Loop Header: Depth=1
	s_waitcnt lgkmcnt(0)
	v_cmp_gt_f64_e32 vcc_lo, 0, v[160:161]
	v_cmp_gt_f64_e64 s0, 0, v[158:159]
	ds_read2_b64 v[173:176], v167 offset1:1
	v_xor_b32_e32 v178, 0x80000000, v159
	v_xor_b32_e32 v180, 0x80000000, v161
	v_mov_b32_e32 v177, v158
	v_mov_b32_e32 v179, v160
	v_add_nc_u32_e32 v167, 16, v167
	s_waitcnt lgkmcnt(0)
	v_xor_b32_e32 v182, 0x80000000, v176
	v_cndmask_b32_e64 v178, v159, v178, s0
	v_cndmask_b32_e32 v180, v161, v180, vcc_lo
	v_cmp_gt_f64_e32 vcc_lo, 0, v[175:176]
	v_cmp_gt_f64_e64 s0, 0, v[173:174]
	v_mov_b32_e32 v181, v175
	v_add_f64 v[177:178], v[177:178], v[179:180]
	v_xor_b32_e32 v180, 0x80000000, v174
	v_mov_b32_e32 v179, v173
	v_cndmask_b32_e32 v182, v176, v182, vcc_lo
	v_cndmask_b32_e64 v180, v174, v180, s0
	v_add_f64 v[179:180], v[179:180], v[181:182]
	v_cmp_lt_f64_e32 vcc_lo, v[177:178], v[179:180]
	v_cndmask_b32_e32 v159, v159, v174, vcc_lo
	v_cndmask_b32_e32 v158, v158, v173, vcc_lo
	;; [unrolled: 1-line block ×4, first 2 shown]
	v_cndmask_b32_e64 v166, v166, s3, vcc_lo
	s_add_i32 s3, s3, 1
	s_cmp_lg_u32 s1, s3
	s_cbranch_scc1 .LBB76_148
.LBB76_149:
	s_inst_prefetch 0x2
	s_waitcnt lgkmcnt(0)
	v_cmp_eq_f64_e32 vcc_lo, 0, v[158:159]
	v_cmp_eq_f64_e64 s0, 0, v[160:161]
	s_and_b32 s0, vcc_lo, s0
	s_and_saveexec_b32 s3, s0
	s_xor_b32 s0, exec_lo, s3
; %bb.150:
	v_cmp_ne_u32_e32 vcc_lo, 0, v171
	v_cndmask_b32_e32 v171, 8, v171, vcc_lo
; %bb.151:
	s_andn2_saveexec_b32 s0, s0
	s_cbranch_execz .LBB76_157
; %bb.152:
	v_cmp_ngt_f64_e64 s3, |v[158:159]|, |v[160:161]|
	s_and_saveexec_b32 s8, s3
	s_xor_b32 s3, exec_lo, s8
	s_cbranch_execz .LBB76_154
; %bb.153:
	v_div_scale_f64 v[173:174], null, v[160:161], v[160:161], v[158:159]
	v_div_scale_f64 v[179:180], vcc_lo, v[158:159], v[160:161], v[158:159]
	v_rcp_f64_e32 v[175:176], v[173:174]
	v_fma_f64 v[177:178], -v[173:174], v[175:176], 1.0
	v_fma_f64 v[175:176], v[175:176], v[177:178], v[175:176]
	v_fma_f64 v[177:178], -v[173:174], v[175:176], 1.0
	v_fma_f64 v[175:176], v[175:176], v[177:178], v[175:176]
	v_mul_f64 v[177:178], v[179:180], v[175:176]
	v_fma_f64 v[173:174], -v[173:174], v[177:178], v[179:180]
	v_div_fmas_f64 v[173:174], v[173:174], v[175:176], v[177:178]
	v_div_fixup_f64 v[173:174], v[173:174], v[160:161], v[158:159]
	v_fma_f64 v[158:159], v[158:159], v[173:174], v[160:161]
	v_div_scale_f64 v[160:161], null, v[158:159], v[158:159], 1.0
	v_rcp_f64_e32 v[175:176], v[160:161]
	v_fma_f64 v[177:178], -v[160:161], v[175:176], 1.0
	v_fma_f64 v[175:176], v[175:176], v[177:178], v[175:176]
	v_fma_f64 v[177:178], -v[160:161], v[175:176], 1.0
	v_fma_f64 v[175:176], v[175:176], v[177:178], v[175:176]
	v_div_scale_f64 v[177:178], vcc_lo, 1.0, v[158:159], 1.0
	v_mul_f64 v[179:180], v[177:178], v[175:176]
	v_fma_f64 v[160:161], -v[160:161], v[179:180], v[177:178]
	v_div_fmas_f64 v[160:161], v[160:161], v[175:176], v[179:180]
	v_div_fixup_f64 v[160:161], v[160:161], v[158:159], 1.0
	v_mul_f64 v[158:159], v[173:174], v[160:161]
	v_xor_b32_e32 v161, 0x80000000, v161
.LBB76_154:
	s_andn2_saveexec_b32 s3, s3
	s_cbranch_execz .LBB76_156
; %bb.155:
	v_div_scale_f64 v[173:174], null, v[158:159], v[158:159], v[160:161]
	v_div_scale_f64 v[179:180], vcc_lo, v[160:161], v[158:159], v[160:161]
	v_rcp_f64_e32 v[175:176], v[173:174]
	v_fma_f64 v[177:178], -v[173:174], v[175:176], 1.0
	v_fma_f64 v[175:176], v[175:176], v[177:178], v[175:176]
	v_fma_f64 v[177:178], -v[173:174], v[175:176], 1.0
	v_fma_f64 v[175:176], v[175:176], v[177:178], v[175:176]
	v_mul_f64 v[177:178], v[179:180], v[175:176]
	v_fma_f64 v[173:174], -v[173:174], v[177:178], v[179:180]
	v_div_fmas_f64 v[173:174], v[173:174], v[175:176], v[177:178]
	v_div_fixup_f64 v[173:174], v[173:174], v[158:159], v[160:161]
	v_fma_f64 v[158:159], v[160:161], v[173:174], v[158:159]
	v_div_scale_f64 v[160:161], null, v[158:159], v[158:159], 1.0
	v_rcp_f64_e32 v[175:176], v[160:161]
	v_fma_f64 v[177:178], -v[160:161], v[175:176], 1.0
	v_fma_f64 v[175:176], v[175:176], v[177:178], v[175:176]
	v_fma_f64 v[177:178], -v[160:161], v[175:176], 1.0
	v_fma_f64 v[175:176], v[175:176], v[177:178], v[175:176]
	v_div_scale_f64 v[177:178], vcc_lo, 1.0, v[158:159], 1.0
	v_mul_f64 v[179:180], v[177:178], v[175:176]
	v_fma_f64 v[160:161], -v[160:161], v[179:180], v[177:178]
	v_div_fmas_f64 v[160:161], v[160:161], v[175:176], v[179:180]
	v_div_fixup_f64 v[158:159], v[160:161], v[158:159], 1.0
	v_mul_f64 v[160:161], v[173:174], -v[158:159]
.LBB76_156:
	s_or_b32 exec_lo, exec_lo, s3
.LBB76_157:
	s_or_b32 exec_lo, exec_lo, s0
	s_mov_b32 s0, exec_lo
	v_cmpx_ne_u32_e64 v172, v166
	s_xor_b32 s0, exec_lo, s0
	s_cbranch_execz .LBB76_163
; %bb.158:
	s_mov_b32 s3, exec_lo
	v_cmpx_eq_u32_e32 7, v172
	s_cbranch_execz .LBB76_162
; %bb.159:
	v_cmp_ne_u32_e32 vcc_lo, 7, v166
	s_xor_b32 s8, s16, -1
	s_and_b32 s9, s8, vcc_lo
	s_and_saveexec_b32 s8, s9
	s_cbranch_execz .LBB76_161
; %bb.160:
	v_ashrrev_i32_e32 v167, 31, v166
	v_lshlrev_b64 v[172:173], 2, v[166:167]
	v_add_co_u32 v172, vcc_lo, v164, v172
	v_add_co_ci_u32_e64 v173, null, v165, v173, vcc_lo
	s_clause 0x1
	global_load_dword v0, v[172:173], off
	global_load_dword v167, v[164:165], off offset:28
	s_waitcnt vmcnt(1)
	global_store_dword v[164:165], v0, off offset:28
	s_waitcnt vmcnt(0)
	global_store_dword v[172:173], v167, off
.LBB76_161:
	s_or_b32 exec_lo, exec_lo, s8
	v_mov_b32_e32 v172, v166
	v_mov_b32_e32 v0, v166
.LBB76_162:
	s_or_b32 exec_lo, exec_lo, s3
.LBB76_163:
	s_andn2_saveexec_b32 s0, s0
	s_cbranch_execz .LBB76_165
; %bb.164:
	v_mov_b32_e32 v172, 7
	ds_write2_b64 v1, v[126:127], v[128:129] offset0:16 offset1:17
	ds_write2_b64 v1, v[110:111], v[112:113] offset0:18 offset1:19
	ds_write2_b64 v1, v[118:119], v[120:121] offset0:20 offset1:21
	ds_write2_b64 v1, v[114:115], v[116:117] offset0:22 offset1:23
	ds_write2_b64 v1, v[106:107], v[108:109] offset0:24 offset1:25
	ds_write2_b64 v1, v[102:103], v[104:105] offset0:26 offset1:27
	ds_write2_b64 v1, v[94:95], v[96:97] offset0:28 offset1:29
	ds_write2_b64 v1, v[90:91], v[92:93] offset0:30 offset1:31
	ds_write2_b64 v1, v[98:99], v[100:101] offset0:32 offset1:33
	ds_write2_b64 v1, v[82:83], v[84:85] offset0:34 offset1:35
	ds_write2_b64 v1, v[86:87], v[88:89] offset0:36 offset1:37
	ds_write2_b64 v1, v[70:71], v[72:73] offset0:38 offset1:39
	ds_write2_b64 v1, v[78:79], v[80:81] offset0:40 offset1:41
	ds_write2_b64 v1, v[74:75], v[76:77] offset0:42 offset1:43
	ds_write2_b64 v1, v[66:67], v[68:69] offset0:44 offset1:45
	ds_write2_b64 v1, v[62:63], v[64:65] offset0:46 offset1:47
	ds_write2_b64 v1, v[54:55], v[56:57] offset0:48 offset1:49
	ds_write2_b64 v1, v[50:51], v[52:53] offset0:50 offset1:51
	ds_write2_b64 v1, v[58:59], v[60:61] offset0:52 offset1:53
	ds_write2_b64 v1, v[34:35], v[36:37] offset0:54 offset1:55
	ds_write2_b64 v1, v[46:47], v[48:49] offset0:56 offset1:57
	ds_write2_b64 v1, v[30:31], v[32:33] offset0:58 offset1:59
	ds_write2_b64 v1, v[38:39], v[40:41] offset0:60 offset1:61
	ds_write2_b64 v1, v[42:43], v[44:45] offset0:62 offset1:63
	ds_write2_b64 v1, v[26:27], v[28:29] offset0:64 offset1:65
	ds_write2_b64 v1, v[22:23], v[24:25] offset0:66 offset1:67
	ds_write2_b64 v1, v[18:19], v[20:21] offset0:68 offset1:69
	ds_write2_b64 v1, v[14:15], v[16:17] offset0:70 offset1:71
	ds_write2_b64 v1, v[10:11], v[12:13] offset0:72 offset1:73
	ds_write2_b64 v1, v[6:7], v[8:9] offset0:74 offset1:75
	ds_write2_b64 v1, v[2:3], v[4:5] offset0:76 offset1:77
.LBB76_165:
	s_or_b32 exec_lo, exec_lo, s0
	s_mov_b32 s0, exec_lo
	s_waitcnt lgkmcnt(0)
	s_waitcnt_vscnt null, 0x0
	s_barrier
	buffer_gl0_inv
	v_cmpx_lt_i32_e32 7, v172
	s_cbranch_execz .LBB76_167
; %bb.166:
	v_mul_f64 v[166:167], v[160:161], v[124:125]
	v_mul_f64 v[124:125], v[158:159], v[124:125]
	v_fma_f64 v[166:167], v[158:159], v[122:123], -v[166:167]
	v_fma_f64 v[124:125], v[160:161], v[122:123], v[124:125]
	ds_read2_b64 v[158:161], v1 offset0:16 offset1:17
	s_waitcnt lgkmcnt(0)
	v_mul_f64 v[122:123], v[160:161], v[124:125]
	v_fma_f64 v[122:123], v[158:159], v[166:167], -v[122:123]
	v_mul_f64 v[158:159], v[158:159], v[124:125]
	v_add_f64 v[126:127], v[126:127], -v[122:123]
	v_fma_f64 v[158:159], v[160:161], v[166:167], v[158:159]
	v_add_f64 v[128:129], v[128:129], -v[158:159]
	ds_read2_b64 v[158:161], v1 offset0:18 offset1:19
	s_waitcnt lgkmcnt(0)
	v_mul_f64 v[122:123], v[160:161], v[124:125]
	v_fma_f64 v[122:123], v[158:159], v[166:167], -v[122:123]
	v_mul_f64 v[158:159], v[158:159], v[124:125]
	v_add_f64 v[110:111], v[110:111], -v[122:123]
	v_fma_f64 v[158:159], v[160:161], v[166:167], v[158:159]
	v_add_f64 v[112:113], v[112:113], -v[158:159]
	;; [unrolled: 8-line block ×30, first 2 shown]
	ds_read2_b64 v[158:161], v1 offset0:76 offset1:77
	s_waitcnt lgkmcnt(0)
	v_mul_f64 v[122:123], v[160:161], v[124:125]
	v_fma_f64 v[122:123], v[158:159], v[166:167], -v[122:123]
	v_mul_f64 v[158:159], v[158:159], v[124:125]
	v_add_f64 v[2:3], v[2:3], -v[122:123]
	v_fma_f64 v[158:159], v[160:161], v[166:167], v[158:159]
	v_mov_b32_e32 v122, v166
	v_mov_b32_e32 v123, v167
	v_add_f64 v[4:5], v[4:5], -v[158:159]
.LBB76_167:
	s_or_b32 exec_lo, exec_lo, s0
	v_lshl_add_u32 v158, v172, 4, v1
	s_barrier
	buffer_gl0_inv
	v_mov_b32_e32 v166, 8
	ds_write2_b64 v158, v[126:127], v[128:129] offset1:1
	s_waitcnt lgkmcnt(0)
	s_barrier
	buffer_gl0_inv
	ds_read2_b64 v[158:161], v1 offset0:16 offset1:17
	s_cmp_lt_i32 s1, 10
	s_cbranch_scc1 .LBB76_170
; %bb.168:
	v_add3_u32 v167, v168, 0, 0x90
	v_mov_b32_e32 v166, 8
	s_mov_b32 s3, 9
	s_inst_prefetch 0x1
	.p2align	6
.LBB76_169:                             ; =>This Inner Loop Header: Depth=1
	s_waitcnt lgkmcnt(0)
	v_cmp_gt_f64_e32 vcc_lo, 0, v[160:161]
	v_cmp_gt_f64_e64 s0, 0, v[158:159]
	ds_read2_b64 v[173:176], v167 offset1:1
	v_xor_b32_e32 v178, 0x80000000, v159
	v_xor_b32_e32 v180, 0x80000000, v161
	v_mov_b32_e32 v177, v158
	v_mov_b32_e32 v179, v160
	v_add_nc_u32_e32 v167, 16, v167
	s_waitcnt lgkmcnt(0)
	v_xor_b32_e32 v182, 0x80000000, v176
	v_cndmask_b32_e64 v178, v159, v178, s0
	v_cndmask_b32_e32 v180, v161, v180, vcc_lo
	v_cmp_gt_f64_e32 vcc_lo, 0, v[175:176]
	v_cmp_gt_f64_e64 s0, 0, v[173:174]
	v_mov_b32_e32 v181, v175
	v_add_f64 v[177:178], v[177:178], v[179:180]
	v_xor_b32_e32 v180, 0x80000000, v174
	v_mov_b32_e32 v179, v173
	v_cndmask_b32_e32 v182, v176, v182, vcc_lo
	v_cndmask_b32_e64 v180, v174, v180, s0
	v_add_f64 v[179:180], v[179:180], v[181:182]
	v_cmp_lt_f64_e32 vcc_lo, v[177:178], v[179:180]
	v_cndmask_b32_e32 v159, v159, v174, vcc_lo
	v_cndmask_b32_e32 v158, v158, v173, vcc_lo
	;; [unrolled: 1-line block ×4, first 2 shown]
	v_cndmask_b32_e64 v166, v166, s3, vcc_lo
	s_add_i32 s3, s3, 1
	s_cmp_lg_u32 s1, s3
	s_cbranch_scc1 .LBB76_169
.LBB76_170:
	s_inst_prefetch 0x2
	s_waitcnt lgkmcnt(0)
	v_cmp_eq_f64_e32 vcc_lo, 0, v[158:159]
	v_cmp_eq_f64_e64 s0, 0, v[160:161]
	s_and_b32 s0, vcc_lo, s0
	s_and_saveexec_b32 s3, s0
	s_xor_b32 s0, exec_lo, s3
; %bb.171:
	v_cmp_ne_u32_e32 vcc_lo, 0, v171
	v_cndmask_b32_e32 v171, 9, v171, vcc_lo
; %bb.172:
	s_andn2_saveexec_b32 s0, s0
	s_cbranch_execz .LBB76_178
; %bb.173:
	v_cmp_ngt_f64_e64 s3, |v[158:159]|, |v[160:161]|
	s_and_saveexec_b32 s8, s3
	s_xor_b32 s3, exec_lo, s8
	s_cbranch_execz .LBB76_175
; %bb.174:
	v_div_scale_f64 v[173:174], null, v[160:161], v[160:161], v[158:159]
	v_div_scale_f64 v[179:180], vcc_lo, v[158:159], v[160:161], v[158:159]
	v_rcp_f64_e32 v[175:176], v[173:174]
	v_fma_f64 v[177:178], -v[173:174], v[175:176], 1.0
	v_fma_f64 v[175:176], v[175:176], v[177:178], v[175:176]
	v_fma_f64 v[177:178], -v[173:174], v[175:176], 1.0
	v_fma_f64 v[175:176], v[175:176], v[177:178], v[175:176]
	v_mul_f64 v[177:178], v[179:180], v[175:176]
	v_fma_f64 v[173:174], -v[173:174], v[177:178], v[179:180]
	v_div_fmas_f64 v[173:174], v[173:174], v[175:176], v[177:178]
	v_div_fixup_f64 v[173:174], v[173:174], v[160:161], v[158:159]
	v_fma_f64 v[158:159], v[158:159], v[173:174], v[160:161]
	v_div_scale_f64 v[160:161], null, v[158:159], v[158:159], 1.0
	v_rcp_f64_e32 v[175:176], v[160:161]
	v_fma_f64 v[177:178], -v[160:161], v[175:176], 1.0
	v_fma_f64 v[175:176], v[175:176], v[177:178], v[175:176]
	v_fma_f64 v[177:178], -v[160:161], v[175:176], 1.0
	v_fma_f64 v[175:176], v[175:176], v[177:178], v[175:176]
	v_div_scale_f64 v[177:178], vcc_lo, 1.0, v[158:159], 1.0
	v_mul_f64 v[179:180], v[177:178], v[175:176]
	v_fma_f64 v[160:161], -v[160:161], v[179:180], v[177:178]
	v_div_fmas_f64 v[160:161], v[160:161], v[175:176], v[179:180]
	v_div_fixup_f64 v[160:161], v[160:161], v[158:159], 1.0
	v_mul_f64 v[158:159], v[173:174], v[160:161]
	v_xor_b32_e32 v161, 0x80000000, v161
.LBB76_175:
	s_andn2_saveexec_b32 s3, s3
	s_cbranch_execz .LBB76_177
; %bb.176:
	v_div_scale_f64 v[173:174], null, v[158:159], v[158:159], v[160:161]
	v_div_scale_f64 v[179:180], vcc_lo, v[160:161], v[158:159], v[160:161]
	v_rcp_f64_e32 v[175:176], v[173:174]
	v_fma_f64 v[177:178], -v[173:174], v[175:176], 1.0
	v_fma_f64 v[175:176], v[175:176], v[177:178], v[175:176]
	v_fma_f64 v[177:178], -v[173:174], v[175:176], 1.0
	v_fma_f64 v[175:176], v[175:176], v[177:178], v[175:176]
	v_mul_f64 v[177:178], v[179:180], v[175:176]
	v_fma_f64 v[173:174], -v[173:174], v[177:178], v[179:180]
	v_div_fmas_f64 v[173:174], v[173:174], v[175:176], v[177:178]
	v_div_fixup_f64 v[173:174], v[173:174], v[158:159], v[160:161]
	v_fma_f64 v[158:159], v[160:161], v[173:174], v[158:159]
	v_div_scale_f64 v[160:161], null, v[158:159], v[158:159], 1.0
	v_rcp_f64_e32 v[175:176], v[160:161]
	v_fma_f64 v[177:178], -v[160:161], v[175:176], 1.0
	v_fma_f64 v[175:176], v[175:176], v[177:178], v[175:176]
	v_fma_f64 v[177:178], -v[160:161], v[175:176], 1.0
	v_fma_f64 v[175:176], v[175:176], v[177:178], v[175:176]
	v_div_scale_f64 v[177:178], vcc_lo, 1.0, v[158:159], 1.0
	v_mul_f64 v[179:180], v[177:178], v[175:176]
	v_fma_f64 v[160:161], -v[160:161], v[179:180], v[177:178]
	v_div_fmas_f64 v[160:161], v[160:161], v[175:176], v[179:180]
	v_div_fixup_f64 v[158:159], v[160:161], v[158:159], 1.0
	v_mul_f64 v[160:161], v[173:174], -v[158:159]
.LBB76_177:
	s_or_b32 exec_lo, exec_lo, s3
.LBB76_178:
	s_or_b32 exec_lo, exec_lo, s0
	s_mov_b32 s0, exec_lo
	v_cmpx_ne_u32_e64 v172, v166
	s_xor_b32 s0, exec_lo, s0
	s_cbranch_execz .LBB76_184
; %bb.179:
	s_mov_b32 s3, exec_lo
	v_cmpx_eq_u32_e32 8, v172
	s_cbranch_execz .LBB76_183
; %bb.180:
	v_cmp_ne_u32_e32 vcc_lo, 8, v166
	s_xor_b32 s8, s16, -1
	s_and_b32 s9, s8, vcc_lo
	s_and_saveexec_b32 s8, s9
	s_cbranch_execz .LBB76_182
; %bb.181:
	v_ashrrev_i32_e32 v167, 31, v166
	v_lshlrev_b64 v[172:173], 2, v[166:167]
	v_add_co_u32 v172, vcc_lo, v164, v172
	v_add_co_ci_u32_e64 v173, null, v165, v173, vcc_lo
	s_clause 0x1
	global_load_dword v0, v[172:173], off
	global_load_dword v167, v[164:165], off offset:32
	s_waitcnt vmcnt(1)
	global_store_dword v[164:165], v0, off offset:32
	s_waitcnt vmcnt(0)
	global_store_dword v[172:173], v167, off
.LBB76_182:
	s_or_b32 exec_lo, exec_lo, s8
	v_mov_b32_e32 v172, v166
	v_mov_b32_e32 v0, v166
.LBB76_183:
	s_or_b32 exec_lo, exec_lo, s3
.LBB76_184:
	s_andn2_saveexec_b32 s0, s0
	s_cbranch_execz .LBB76_186
; %bb.185:
	v_mov_b32_e32 v172, 8
	ds_write2_b64 v1, v[110:111], v[112:113] offset0:18 offset1:19
	ds_write2_b64 v1, v[118:119], v[120:121] offset0:20 offset1:21
	;; [unrolled: 1-line block ×30, first 2 shown]
.LBB76_186:
	s_or_b32 exec_lo, exec_lo, s0
	s_mov_b32 s0, exec_lo
	s_waitcnt lgkmcnt(0)
	s_waitcnt_vscnt null, 0x0
	s_barrier
	buffer_gl0_inv
	v_cmpx_lt_i32_e32 8, v172
	s_cbranch_execz .LBB76_188
; %bb.187:
	v_mul_f64 v[166:167], v[160:161], v[128:129]
	v_mul_f64 v[128:129], v[158:159], v[128:129]
	v_fma_f64 v[166:167], v[158:159], v[126:127], -v[166:167]
	v_fma_f64 v[128:129], v[160:161], v[126:127], v[128:129]
	ds_read2_b64 v[158:161], v1 offset0:18 offset1:19
	s_waitcnt lgkmcnt(0)
	v_mul_f64 v[126:127], v[160:161], v[128:129]
	v_fma_f64 v[126:127], v[158:159], v[166:167], -v[126:127]
	v_mul_f64 v[158:159], v[158:159], v[128:129]
	v_add_f64 v[110:111], v[110:111], -v[126:127]
	v_fma_f64 v[158:159], v[160:161], v[166:167], v[158:159]
	v_add_f64 v[112:113], v[112:113], -v[158:159]
	ds_read2_b64 v[158:161], v1 offset0:20 offset1:21
	s_waitcnt lgkmcnt(0)
	v_mul_f64 v[126:127], v[160:161], v[128:129]
	v_fma_f64 v[126:127], v[158:159], v[166:167], -v[126:127]
	v_mul_f64 v[158:159], v[158:159], v[128:129]
	v_add_f64 v[118:119], v[118:119], -v[126:127]
	v_fma_f64 v[158:159], v[160:161], v[166:167], v[158:159]
	v_add_f64 v[120:121], v[120:121], -v[158:159]
	;; [unrolled: 8-line block ×29, first 2 shown]
	ds_read2_b64 v[158:161], v1 offset0:76 offset1:77
	s_waitcnt lgkmcnt(0)
	v_mul_f64 v[126:127], v[160:161], v[128:129]
	v_fma_f64 v[126:127], v[158:159], v[166:167], -v[126:127]
	v_mul_f64 v[158:159], v[158:159], v[128:129]
	v_add_f64 v[2:3], v[2:3], -v[126:127]
	v_fma_f64 v[158:159], v[160:161], v[166:167], v[158:159]
	v_mov_b32_e32 v126, v166
	v_mov_b32_e32 v127, v167
	v_add_f64 v[4:5], v[4:5], -v[158:159]
.LBB76_188:
	s_or_b32 exec_lo, exec_lo, s0
	v_lshl_add_u32 v158, v172, 4, v1
	s_barrier
	buffer_gl0_inv
	v_mov_b32_e32 v166, 9
	ds_write2_b64 v158, v[110:111], v[112:113] offset1:1
	s_waitcnt lgkmcnt(0)
	s_barrier
	buffer_gl0_inv
	ds_read2_b64 v[158:161], v1 offset0:18 offset1:19
	s_cmp_lt_i32 s1, 11
	s_cbranch_scc1 .LBB76_191
; %bb.189:
	v_add3_u32 v167, v168, 0, 0xa0
	v_mov_b32_e32 v166, 9
	s_mov_b32 s3, 10
	s_inst_prefetch 0x1
	.p2align	6
.LBB76_190:                             ; =>This Inner Loop Header: Depth=1
	s_waitcnt lgkmcnt(0)
	v_cmp_gt_f64_e32 vcc_lo, 0, v[160:161]
	v_cmp_gt_f64_e64 s0, 0, v[158:159]
	ds_read2_b64 v[173:176], v167 offset1:1
	v_xor_b32_e32 v178, 0x80000000, v159
	v_xor_b32_e32 v180, 0x80000000, v161
	v_mov_b32_e32 v177, v158
	v_mov_b32_e32 v179, v160
	v_add_nc_u32_e32 v167, 16, v167
	s_waitcnt lgkmcnt(0)
	v_xor_b32_e32 v182, 0x80000000, v176
	v_cndmask_b32_e64 v178, v159, v178, s0
	v_cndmask_b32_e32 v180, v161, v180, vcc_lo
	v_cmp_gt_f64_e32 vcc_lo, 0, v[175:176]
	v_cmp_gt_f64_e64 s0, 0, v[173:174]
	v_mov_b32_e32 v181, v175
	v_add_f64 v[177:178], v[177:178], v[179:180]
	v_xor_b32_e32 v180, 0x80000000, v174
	v_mov_b32_e32 v179, v173
	v_cndmask_b32_e32 v182, v176, v182, vcc_lo
	v_cndmask_b32_e64 v180, v174, v180, s0
	v_add_f64 v[179:180], v[179:180], v[181:182]
	v_cmp_lt_f64_e32 vcc_lo, v[177:178], v[179:180]
	v_cndmask_b32_e32 v159, v159, v174, vcc_lo
	v_cndmask_b32_e32 v158, v158, v173, vcc_lo
	;; [unrolled: 1-line block ×4, first 2 shown]
	v_cndmask_b32_e64 v166, v166, s3, vcc_lo
	s_add_i32 s3, s3, 1
	s_cmp_lg_u32 s1, s3
	s_cbranch_scc1 .LBB76_190
.LBB76_191:
	s_inst_prefetch 0x2
	s_waitcnt lgkmcnt(0)
	v_cmp_eq_f64_e32 vcc_lo, 0, v[158:159]
	v_cmp_eq_f64_e64 s0, 0, v[160:161]
	s_and_b32 s0, vcc_lo, s0
	s_and_saveexec_b32 s3, s0
	s_xor_b32 s0, exec_lo, s3
; %bb.192:
	v_cmp_ne_u32_e32 vcc_lo, 0, v171
	v_cndmask_b32_e32 v171, 10, v171, vcc_lo
; %bb.193:
	s_andn2_saveexec_b32 s0, s0
	s_cbranch_execz .LBB76_199
; %bb.194:
	v_cmp_ngt_f64_e64 s3, |v[158:159]|, |v[160:161]|
	s_and_saveexec_b32 s8, s3
	s_xor_b32 s3, exec_lo, s8
	s_cbranch_execz .LBB76_196
; %bb.195:
	v_div_scale_f64 v[173:174], null, v[160:161], v[160:161], v[158:159]
	v_div_scale_f64 v[179:180], vcc_lo, v[158:159], v[160:161], v[158:159]
	v_rcp_f64_e32 v[175:176], v[173:174]
	v_fma_f64 v[177:178], -v[173:174], v[175:176], 1.0
	v_fma_f64 v[175:176], v[175:176], v[177:178], v[175:176]
	v_fma_f64 v[177:178], -v[173:174], v[175:176], 1.0
	v_fma_f64 v[175:176], v[175:176], v[177:178], v[175:176]
	v_mul_f64 v[177:178], v[179:180], v[175:176]
	v_fma_f64 v[173:174], -v[173:174], v[177:178], v[179:180]
	v_div_fmas_f64 v[173:174], v[173:174], v[175:176], v[177:178]
	v_div_fixup_f64 v[173:174], v[173:174], v[160:161], v[158:159]
	v_fma_f64 v[158:159], v[158:159], v[173:174], v[160:161]
	v_div_scale_f64 v[160:161], null, v[158:159], v[158:159], 1.0
	v_rcp_f64_e32 v[175:176], v[160:161]
	v_fma_f64 v[177:178], -v[160:161], v[175:176], 1.0
	v_fma_f64 v[175:176], v[175:176], v[177:178], v[175:176]
	v_fma_f64 v[177:178], -v[160:161], v[175:176], 1.0
	v_fma_f64 v[175:176], v[175:176], v[177:178], v[175:176]
	v_div_scale_f64 v[177:178], vcc_lo, 1.0, v[158:159], 1.0
	v_mul_f64 v[179:180], v[177:178], v[175:176]
	v_fma_f64 v[160:161], -v[160:161], v[179:180], v[177:178]
	v_div_fmas_f64 v[160:161], v[160:161], v[175:176], v[179:180]
	v_div_fixup_f64 v[160:161], v[160:161], v[158:159], 1.0
	v_mul_f64 v[158:159], v[173:174], v[160:161]
	v_xor_b32_e32 v161, 0x80000000, v161
.LBB76_196:
	s_andn2_saveexec_b32 s3, s3
	s_cbranch_execz .LBB76_198
; %bb.197:
	v_div_scale_f64 v[173:174], null, v[158:159], v[158:159], v[160:161]
	v_div_scale_f64 v[179:180], vcc_lo, v[160:161], v[158:159], v[160:161]
	v_rcp_f64_e32 v[175:176], v[173:174]
	v_fma_f64 v[177:178], -v[173:174], v[175:176], 1.0
	v_fma_f64 v[175:176], v[175:176], v[177:178], v[175:176]
	v_fma_f64 v[177:178], -v[173:174], v[175:176], 1.0
	v_fma_f64 v[175:176], v[175:176], v[177:178], v[175:176]
	v_mul_f64 v[177:178], v[179:180], v[175:176]
	v_fma_f64 v[173:174], -v[173:174], v[177:178], v[179:180]
	v_div_fmas_f64 v[173:174], v[173:174], v[175:176], v[177:178]
	v_div_fixup_f64 v[173:174], v[173:174], v[158:159], v[160:161]
	v_fma_f64 v[158:159], v[160:161], v[173:174], v[158:159]
	v_div_scale_f64 v[160:161], null, v[158:159], v[158:159], 1.0
	v_rcp_f64_e32 v[175:176], v[160:161]
	v_fma_f64 v[177:178], -v[160:161], v[175:176], 1.0
	v_fma_f64 v[175:176], v[175:176], v[177:178], v[175:176]
	v_fma_f64 v[177:178], -v[160:161], v[175:176], 1.0
	v_fma_f64 v[175:176], v[175:176], v[177:178], v[175:176]
	v_div_scale_f64 v[177:178], vcc_lo, 1.0, v[158:159], 1.0
	v_mul_f64 v[179:180], v[177:178], v[175:176]
	v_fma_f64 v[160:161], -v[160:161], v[179:180], v[177:178]
	v_div_fmas_f64 v[160:161], v[160:161], v[175:176], v[179:180]
	v_div_fixup_f64 v[158:159], v[160:161], v[158:159], 1.0
	v_mul_f64 v[160:161], v[173:174], -v[158:159]
.LBB76_198:
	s_or_b32 exec_lo, exec_lo, s3
.LBB76_199:
	s_or_b32 exec_lo, exec_lo, s0
	s_mov_b32 s0, exec_lo
	v_cmpx_ne_u32_e64 v172, v166
	s_xor_b32 s0, exec_lo, s0
	s_cbranch_execz .LBB76_205
; %bb.200:
	s_mov_b32 s3, exec_lo
	v_cmpx_eq_u32_e32 9, v172
	s_cbranch_execz .LBB76_204
; %bb.201:
	v_cmp_ne_u32_e32 vcc_lo, 9, v166
	s_xor_b32 s8, s16, -1
	s_and_b32 s9, s8, vcc_lo
	s_and_saveexec_b32 s8, s9
	s_cbranch_execz .LBB76_203
; %bb.202:
	v_ashrrev_i32_e32 v167, 31, v166
	v_lshlrev_b64 v[172:173], 2, v[166:167]
	v_add_co_u32 v172, vcc_lo, v164, v172
	v_add_co_ci_u32_e64 v173, null, v165, v173, vcc_lo
	s_clause 0x1
	global_load_dword v0, v[172:173], off
	global_load_dword v167, v[164:165], off offset:36
	s_waitcnt vmcnt(1)
	global_store_dword v[164:165], v0, off offset:36
	s_waitcnt vmcnt(0)
	global_store_dword v[172:173], v167, off
.LBB76_203:
	s_or_b32 exec_lo, exec_lo, s8
	v_mov_b32_e32 v172, v166
	v_mov_b32_e32 v0, v166
.LBB76_204:
	s_or_b32 exec_lo, exec_lo, s3
.LBB76_205:
	s_andn2_saveexec_b32 s0, s0
	s_cbranch_execz .LBB76_207
; %bb.206:
	v_mov_b32_e32 v172, 9
	ds_write2_b64 v1, v[118:119], v[120:121] offset0:20 offset1:21
	ds_write2_b64 v1, v[114:115], v[116:117] offset0:22 offset1:23
	;; [unrolled: 1-line block ×29, first 2 shown]
.LBB76_207:
	s_or_b32 exec_lo, exec_lo, s0
	s_mov_b32 s0, exec_lo
	s_waitcnt lgkmcnt(0)
	s_waitcnt_vscnt null, 0x0
	s_barrier
	buffer_gl0_inv
	v_cmpx_lt_i32_e32 9, v172
	s_cbranch_execz .LBB76_209
; %bb.208:
	v_mul_f64 v[166:167], v[160:161], v[112:113]
	v_mul_f64 v[112:113], v[158:159], v[112:113]
	v_fma_f64 v[166:167], v[158:159], v[110:111], -v[166:167]
	v_fma_f64 v[112:113], v[160:161], v[110:111], v[112:113]
	ds_read2_b64 v[158:161], v1 offset0:20 offset1:21
	s_waitcnt lgkmcnt(0)
	v_mul_f64 v[110:111], v[160:161], v[112:113]
	v_fma_f64 v[110:111], v[158:159], v[166:167], -v[110:111]
	v_mul_f64 v[158:159], v[158:159], v[112:113]
	v_add_f64 v[118:119], v[118:119], -v[110:111]
	v_fma_f64 v[158:159], v[160:161], v[166:167], v[158:159]
	v_add_f64 v[120:121], v[120:121], -v[158:159]
	ds_read2_b64 v[158:161], v1 offset0:22 offset1:23
	s_waitcnt lgkmcnt(0)
	v_mul_f64 v[110:111], v[160:161], v[112:113]
	v_fma_f64 v[110:111], v[158:159], v[166:167], -v[110:111]
	v_mul_f64 v[158:159], v[158:159], v[112:113]
	v_add_f64 v[114:115], v[114:115], -v[110:111]
	v_fma_f64 v[158:159], v[160:161], v[166:167], v[158:159]
	v_add_f64 v[116:117], v[116:117], -v[158:159]
	;; [unrolled: 8-line block ×28, first 2 shown]
	ds_read2_b64 v[158:161], v1 offset0:76 offset1:77
	s_waitcnt lgkmcnt(0)
	v_mul_f64 v[110:111], v[160:161], v[112:113]
	v_fma_f64 v[110:111], v[158:159], v[166:167], -v[110:111]
	v_mul_f64 v[158:159], v[158:159], v[112:113]
	v_add_f64 v[2:3], v[2:3], -v[110:111]
	v_fma_f64 v[158:159], v[160:161], v[166:167], v[158:159]
	v_mov_b32_e32 v110, v166
	v_mov_b32_e32 v111, v167
	v_add_f64 v[4:5], v[4:5], -v[158:159]
.LBB76_209:
	s_or_b32 exec_lo, exec_lo, s0
	v_lshl_add_u32 v158, v172, 4, v1
	s_barrier
	buffer_gl0_inv
	v_mov_b32_e32 v166, 10
	ds_write2_b64 v158, v[118:119], v[120:121] offset1:1
	s_waitcnt lgkmcnt(0)
	s_barrier
	buffer_gl0_inv
	ds_read2_b64 v[158:161], v1 offset0:20 offset1:21
	s_cmp_lt_i32 s1, 12
	s_cbranch_scc1 .LBB76_212
; %bb.210:
	v_add3_u32 v167, v168, 0, 0xb0
	v_mov_b32_e32 v166, 10
	s_mov_b32 s3, 11
	s_inst_prefetch 0x1
	.p2align	6
.LBB76_211:                             ; =>This Inner Loop Header: Depth=1
	s_waitcnt lgkmcnt(0)
	v_cmp_gt_f64_e32 vcc_lo, 0, v[160:161]
	v_cmp_gt_f64_e64 s0, 0, v[158:159]
	ds_read2_b64 v[173:176], v167 offset1:1
	v_xor_b32_e32 v178, 0x80000000, v159
	v_xor_b32_e32 v180, 0x80000000, v161
	v_mov_b32_e32 v177, v158
	v_mov_b32_e32 v179, v160
	v_add_nc_u32_e32 v167, 16, v167
	s_waitcnt lgkmcnt(0)
	v_xor_b32_e32 v182, 0x80000000, v176
	v_cndmask_b32_e64 v178, v159, v178, s0
	v_cndmask_b32_e32 v180, v161, v180, vcc_lo
	v_cmp_gt_f64_e32 vcc_lo, 0, v[175:176]
	v_cmp_gt_f64_e64 s0, 0, v[173:174]
	v_mov_b32_e32 v181, v175
	v_add_f64 v[177:178], v[177:178], v[179:180]
	v_xor_b32_e32 v180, 0x80000000, v174
	v_mov_b32_e32 v179, v173
	v_cndmask_b32_e32 v182, v176, v182, vcc_lo
	v_cndmask_b32_e64 v180, v174, v180, s0
	v_add_f64 v[179:180], v[179:180], v[181:182]
	v_cmp_lt_f64_e32 vcc_lo, v[177:178], v[179:180]
	v_cndmask_b32_e32 v159, v159, v174, vcc_lo
	v_cndmask_b32_e32 v158, v158, v173, vcc_lo
	;; [unrolled: 1-line block ×4, first 2 shown]
	v_cndmask_b32_e64 v166, v166, s3, vcc_lo
	s_add_i32 s3, s3, 1
	s_cmp_lg_u32 s1, s3
	s_cbranch_scc1 .LBB76_211
.LBB76_212:
	s_inst_prefetch 0x2
	s_waitcnt lgkmcnt(0)
	v_cmp_eq_f64_e32 vcc_lo, 0, v[158:159]
	v_cmp_eq_f64_e64 s0, 0, v[160:161]
	s_and_b32 s0, vcc_lo, s0
	s_and_saveexec_b32 s3, s0
	s_xor_b32 s0, exec_lo, s3
; %bb.213:
	v_cmp_ne_u32_e32 vcc_lo, 0, v171
	v_cndmask_b32_e32 v171, 11, v171, vcc_lo
; %bb.214:
	s_andn2_saveexec_b32 s0, s0
	s_cbranch_execz .LBB76_220
; %bb.215:
	v_cmp_ngt_f64_e64 s3, |v[158:159]|, |v[160:161]|
	s_and_saveexec_b32 s8, s3
	s_xor_b32 s3, exec_lo, s8
	s_cbranch_execz .LBB76_217
; %bb.216:
	v_div_scale_f64 v[173:174], null, v[160:161], v[160:161], v[158:159]
	v_div_scale_f64 v[179:180], vcc_lo, v[158:159], v[160:161], v[158:159]
	v_rcp_f64_e32 v[175:176], v[173:174]
	v_fma_f64 v[177:178], -v[173:174], v[175:176], 1.0
	v_fma_f64 v[175:176], v[175:176], v[177:178], v[175:176]
	v_fma_f64 v[177:178], -v[173:174], v[175:176], 1.0
	v_fma_f64 v[175:176], v[175:176], v[177:178], v[175:176]
	v_mul_f64 v[177:178], v[179:180], v[175:176]
	v_fma_f64 v[173:174], -v[173:174], v[177:178], v[179:180]
	v_div_fmas_f64 v[173:174], v[173:174], v[175:176], v[177:178]
	v_div_fixup_f64 v[173:174], v[173:174], v[160:161], v[158:159]
	v_fma_f64 v[158:159], v[158:159], v[173:174], v[160:161]
	v_div_scale_f64 v[160:161], null, v[158:159], v[158:159], 1.0
	v_rcp_f64_e32 v[175:176], v[160:161]
	v_fma_f64 v[177:178], -v[160:161], v[175:176], 1.0
	v_fma_f64 v[175:176], v[175:176], v[177:178], v[175:176]
	v_fma_f64 v[177:178], -v[160:161], v[175:176], 1.0
	v_fma_f64 v[175:176], v[175:176], v[177:178], v[175:176]
	v_div_scale_f64 v[177:178], vcc_lo, 1.0, v[158:159], 1.0
	v_mul_f64 v[179:180], v[177:178], v[175:176]
	v_fma_f64 v[160:161], -v[160:161], v[179:180], v[177:178]
	v_div_fmas_f64 v[160:161], v[160:161], v[175:176], v[179:180]
	v_div_fixup_f64 v[160:161], v[160:161], v[158:159], 1.0
	v_mul_f64 v[158:159], v[173:174], v[160:161]
	v_xor_b32_e32 v161, 0x80000000, v161
.LBB76_217:
	s_andn2_saveexec_b32 s3, s3
	s_cbranch_execz .LBB76_219
; %bb.218:
	v_div_scale_f64 v[173:174], null, v[158:159], v[158:159], v[160:161]
	v_div_scale_f64 v[179:180], vcc_lo, v[160:161], v[158:159], v[160:161]
	v_rcp_f64_e32 v[175:176], v[173:174]
	v_fma_f64 v[177:178], -v[173:174], v[175:176], 1.0
	v_fma_f64 v[175:176], v[175:176], v[177:178], v[175:176]
	v_fma_f64 v[177:178], -v[173:174], v[175:176], 1.0
	v_fma_f64 v[175:176], v[175:176], v[177:178], v[175:176]
	v_mul_f64 v[177:178], v[179:180], v[175:176]
	v_fma_f64 v[173:174], -v[173:174], v[177:178], v[179:180]
	v_div_fmas_f64 v[173:174], v[173:174], v[175:176], v[177:178]
	v_div_fixup_f64 v[173:174], v[173:174], v[158:159], v[160:161]
	v_fma_f64 v[158:159], v[160:161], v[173:174], v[158:159]
	v_div_scale_f64 v[160:161], null, v[158:159], v[158:159], 1.0
	v_rcp_f64_e32 v[175:176], v[160:161]
	v_fma_f64 v[177:178], -v[160:161], v[175:176], 1.0
	v_fma_f64 v[175:176], v[175:176], v[177:178], v[175:176]
	v_fma_f64 v[177:178], -v[160:161], v[175:176], 1.0
	v_fma_f64 v[175:176], v[175:176], v[177:178], v[175:176]
	v_div_scale_f64 v[177:178], vcc_lo, 1.0, v[158:159], 1.0
	v_mul_f64 v[179:180], v[177:178], v[175:176]
	v_fma_f64 v[160:161], -v[160:161], v[179:180], v[177:178]
	v_div_fmas_f64 v[160:161], v[160:161], v[175:176], v[179:180]
	v_div_fixup_f64 v[158:159], v[160:161], v[158:159], 1.0
	v_mul_f64 v[160:161], v[173:174], -v[158:159]
.LBB76_219:
	s_or_b32 exec_lo, exec_lo, s3
.LBB76_220:
	s_or_b32 exec_lo, exec_lo, s0
	s_mov_b32 s0, exec_lo
	v_cmpx_ne_u32_e64 v172, v166
	s_xor_b32 s0, exec_lo, s0
	s_cbranch_execz .LBB76_226
; %bb.221:
	s_mov_b32 s3, exec_lo
	v_cmpx_eq_u32_e32 10, v172
	s_cbranch_execz .LBB76_225
; %bb.222:
	v_cmp_ne_u32_e32 vcc_lo, 10, v166
	s_xor_b32 s8, s16, -1
	s_and_b32 s9, s8, vcc_lo
	s_and_saveexec_b32 s8, s9
	s_cbranch_execz .LBB76_224
; %bb.223:
	v_ashrrev_i32_e32 v167, 31, v166
	v_lshlrev_b64 v[172:173], 2, v[166:167]
	v_add_co_u32 v172, vcc_lo, v164, v172
	v_add_co_ci_u32_e64 v173, null, v165, v173, vcc_lo
	s_clause 0x1
	global_load_dword v0, v[172:173], off
	global_load_dword v167, v[164:165], off offset:40
	s_waitcnt vmcnt(1)
	global_store_dword v[164:165], v0, off offset:40
	s_waitcnt vmcnt(0)
	global_store_dword v[172:173], v167, off
.LBB76_224:
	s_or_b32 exec_lo, exec_lo, s8
	v_mov_b32_e32 v172, v166
	v_mov_b32_e32 v0, v166
.LBB76_225:
	s_or_b32 exec_lo, exec_lo, s3
.LBB76_226:
	s_andn2_saveexec_b32 s0, s0
	s_cbranch_execz .LBB76_228
; %bb.227:
	v_mov_b32_e32 v172, 10
	ds_write2_b64 v1, v[114:115], v[116:117] offset0:22 offset1:23
	ds_write2_b64 v1, v[106:107], v[108:109] offset0:24 offset1:25
	;; [unrolled: 1-line block ×28, first 2 shown]
.LBB76_228:
	s_or_b32 exec_lo, exec_lo, s0
	s_mov_b32 s0, exec_lo
	s_waitcnt lgkmcnt(0)
	s_waitcnt_vscnt null, 0x0
	s_barrier
	buffer_gl0_inv
	v_cmpx_lt_i32_e32 10, v172
	s_cbranch_execz .LBB76_230
; %bb.229:
	v_mul_f64 v[166:167], v[160:161], v[120:121]
	v_mul_f64 v[120:121], v[158:159], v[120:121]
	v_fma_f64 v[166:167], v[158:159], v[118:119], -v[166:167]
	v_fma_f64 v[120:121], v[160:161], v[118:119], v[120:121]
	ds_read2_b64 v[158:161], v1 offset0:22 offset1:23
	s_waitcnt lgkmcnt(0)
	v_mul_f64 v[118:119], v[160:161], v[120:121]
	v_fma_f64 v[118:119], v[158:159], v[166:167], -v[118:119]
	v_mul_f64 v[158:159], v[158:159], v[120:121]
	v_add_f64 v[114:115], v[114:115], -v[118:119]
	v_fma_f64 v[158:159], v[160:161], v[166:167], v[158:159]
	v_add_f64 v[116:117], v[116:117], -v[158:159]
	ds_read2_b64 v[158:161], v1 offset0:24 offset1:25
	s_waitcnt lgkmcnt(0)
	v_mul_f64 v[118:119], v[160:161], v[120:121]
	v_fma_f64 v[118:119], v[158:159], v[166:167], -v[118:119]
	v_mul_f64 v[158:159], v[158:159], v[120:121]
	v_add_f64 v[106:107], v[106:107], -v[118:119]
	v_fma_f64 v[158:159], v[160:161], v[166:167], v[158:159]
	v_add_f64 v[108:109], v[108:109], -v[158:159]
	;; [unrolled: 8-line block ×27, first 2 shown]
	ds_read2_b64 v[158:161], v1 offset0:76 offset1:77
	s_waitcnt lgkmcnt(0)
	v_mul_f64 v[118:119], v[160:161], v[120:121]
	v_fma_f64 v[118:119], v[158:159], v[166:167], -v[118:119]
	v_mul_f64 v[158:159], v[158:159], v[120:121]
	v_add_f64 v[2:3], v[2:3], -v[118:119]
	v_fma_f64 v[158:159], v[160:161], v[166:167], v[158:159]
	v_mov_b32_e32 v118, v166
	v_mov_b32_e32 v119, v167
	v_add_f64 v[4:5], v[4:5], -v[158:159]
.LBB76_230:
	s_or_b32 exec_lo, exec_lo, s0
	v_lshl_add_u32 v158, v172, 4, v1
	s_barrier
	buffer_gl0_inv
	v_mov_b32_e32 v166, 11
	ds_write2_b64 v158, v[114:115], v[116:117] offset1:1
	s_waitcnt lgkmcnt(0)
	s_barrier
	buffer_gl0_inv
	ds_read2_b64 v[158:161], v1 offset0:22 offset1:23
	s_cmp_lt_i32 s1, 13
	s_cbranch_scc1 .LBB76_233
; %bb.231:
	v_add3_u32 v167, v168, 0, 0xc0
	v_mov_b32_e32 v166, 11
	s_mov_b32 s3, 12
	s_inst_prefetch 0x1
	.p2align	6
.LBB76_232:                             ; =>This Inner Loop Header: Depth=1
	s_waitcnt lgkmcnt(0)
	v_cmp_gt_f64_e32 vcc_lo, 0, v[160:161]
	v_cmp_gt_f64_e64 s0, 0, v[158:159]
	ds_read2_b64 v[173:176], v167 offset1:1
	v_xor_b32_e32 v178, 0x80000000, v159
	v_xor_b32_e32 v180, 0x80000000, v161
	v_mov_b32_e32 v177, v158
	v_mov_b32_e32 v179, v160
	v_add_nc_u32_e32 v167, 16, v167
	s_waitcnt lgkmcnt(0)
	v_xor_b32_e32 v182, 0x80000000, v176
	v_cndmask_b32_e64 v178, v159, v178, s0
	v_cndmask_b32_e32 v180, v161, v180, vcc_lo
	v_cmp_gt_f64_e32 vcc_lo, 0, v[175:176]
	v_cmp_gt_f64_e64 s0, 0, v[173:174]
	v_mov_b32_e32 v181, v175
	v_add_f64 v[177:178], v[177:178], v[179:180]
	v_xor_b32_e32 v180, 0x80000000, v174
	v_mov_b32_e32 v179, v173
	v_cndmask_b32_e32 v182, v176, v182, vcc_lo
	v_cndmask_b32_e64 v180, v174, v180, s0
	v_add_f64 v[179:180], v[179:180], v[181:182]
	v_cmp_lt_f64_e32 vcc_lo, v[177:178], v[179:180]
	v_cndmask_b32_e32 v159, v159, v174, vcc_lo
	v_cndmask_b32_e32 v158, v158, v173, vcc_lo
	;; [unrolled: 1-line block ×4, first 2 shown]
	v_cndmask_b32_e64 v166, v166, s3, vcc_lo
	s_add_i32 s3, s3, 1
	s_cmp_lg_u32 s1, s3
	s_cbranch_scc1 .LBB76_232
.LBB76_233:
	s_inst_prefetch 0x2
	s_waitcnt lgkmcnt(0)
	v_cmp_eq_f64_e32 vcc_lo, 0, v[158:159]
	v_cmp_eq_f64_e64 s0, 0, v[160:161]
	s_and_b32 s0, vcc_lo, s0
	s_and_saveexec_b32 s3, s0
	s_xor_b32 s0, exec_lo, s3
; %bb.234:
	v_cmp_ne_u32_e32 vcc_lo, 0, v171
	v_cndmask_b32_e32 v171, 12, v171, vcc_lo
; %bb.235:
	s_andn2_saveexec_b32 s0, s0
	s_cbranch_execz .LBB76_241
; %bb.236:
	v_cmp_ngt_f64_e64 s3, |v[158:159]|, |v[160:161]|
	s_and_saveexec_b32 s8, s3
	s_xor_b32 s3, exec_lo, s8
	s_cbranch_execz .LBB76_238
; %bb.237:
	v_div_scale_f64 v[173:174], null, v[160:161], v[160:161], v[158:159]
	v_div_scale_f64 v[179:180], vcc_lo, v[158:159], v[160:161], v[158:159]
	v_rcp_f64_e32 v[175:176], v[173:174]
	v_fma_f64 v[177:178], -v[173:174], v[175:176], 1.0
	v_fma_f64 v[175:176], v[175:176], v[177:178], v[175:176]
	v_fma_f64 v[177:178], -v[173:174], v[175:176], 1.0
	v_fma_f64 v[175:176], v[175:176], v[177:178], v[175:176]
	v_mul_f64 v[177:178], v[179:180], v[175:176]
	v_fma_f64 v[173:174], -v[173:174], v[177:178], v[179:180]
	v_div_fmas_f64 v[173:174], v[173:174], v[175:176], v[177:178]
	v_div_fixup_f64 v[173:174], v[173:174], v[160:161], v[158:159]
	v_fma_f64 v[158:159], v[158:159], v[173:174], v[160:161]
	v_div_scale_f64 v[160:161], null, v[158:159], v[158:159], 1.0
	v_rcp_f64_e32 v[175:176], v[160:161]
	v_fma_f64 v[177:178], -v[160:161], v[175:176], 1.0
	v_fma_f64 v[175:176], v[175:176], v[177:178], v[175:176]
	v_fma_f64 v[177:178], -v[160:161], v[175:176], 1.0
	v_fma_f64 v[175:176], v[175:176], v[177:178], v[175:176]
	v_div_scale_f64 v[177:178], vcc_lo, 1.0, v[158:159], 1.0
	v_mul_f64 v[179:180], v[177:178], v[175:176]
	v_fma_f64 v[160:161], -v[160:161], v[179:180], v[177:178]
	v_div_fmas_f64 v[160:161], v[160:161], v[175:176], v[179:180]
	v_div_fixup_f64 v[160:161], v[160:161], v[158:159], 1.0
	v_mul_f64 v[158:159], v[173:174], v[160:161]
	v_xor_b32_e32 v161, 0x80000000, v161
.LBB76_238:
	s_andn2_saveexec_b32 s3, s3
	s_cbranch_execz .LBB76_240
; %bb.239:
	v_div_scale_f64 v[173:174], null, v[158:159], v[158:159], v[160:161]
	v_div_scale_f64 v[179:180], vcc_lo, v[160:161], v[158:159], v[160:161]
	v_rcp_f64_e32 v[175:176], v[173:174]
	v_fma_f64 v[177:178], -v[173:174], v[175:176], 1.0
	v_fma_f64 v[175:176], v[175:176], v[177:178], v[175:176]
	v_fma_f64 v[177:178], -v[173:174], v[175:176], 1.0
	v_fma_f64 v[175:176], v[175:176], v[177:178], v[175:176]
	v_mul_f64 v[177:178], v[179:180], v[175:176]
	v_fma_f64 v[173:174], -v[173:174], v[177:178], v[179:180]
	v_div_fmas_f64 v[173:174], v[173:174], v[175:176], v[177:178]
	v_div_fixup_f64 v[173:174], v[173:174], v[158:159], v[160:161]
	v_fma_f64 v[158:159], v[160:161], v[173:174], v[158:159]
	v_div_scale_f64 v[160:161], null, v[158:159], v[158:159], 1.0
	v_rcp_f64_e32 v[175:176], v[160:161]
	v_fma_f64 v[177:178], -v[160:161], v[175:176], 1.0
	v_fma_f64 v[175:176], v[175:176], v[177:178], v[175:176]
	v_fma_f64 v[177:178], -v[160:161], v[175:176], 1.0
	v_fma_f64 v[175:176], v[175:176], v[177:178], v[175:176]
	v_div_scale_f64 v[177:178], vcc_lo, 1.0, v[158:159], 1.0
	v_mul_f64 v[179:180], v[177:178], v[175:176]
	v_fma_f64 v[160:161], -v[160:161], v[179:180], v[177:178]
	v_div_fmas_f64 v[160:161], v[160:161], v[175:176], v[179:180]
	v_div_fixup_f64 v[158:159], v[160:161], v[158:159], 1.0
	v_mul_f64 v[160:161], v[173:174], -v[158:159]
.LBB76_240:
	s_or_b32 exec_lo, exec_lo, s3
.LBB76_241:
	s_or_b32 exec_lo, exec_lo, s0
	s_mov_b32 s0, exec_lo
	v_cmpx_ne_u32_e64 v172, v166
	s_xor_b32 s0, exec_lo, s0
	s_cbranch_execz .LBB76_247
; %bb.242:
	s_mov_b32 s3, exec_lo
	v_cmpx_eq_u32_e32 11, v172
	s_cbranch_execz .LBB76_246
; %bb.243:
	v_cmp_ne_u32_e32 vcc_lo, 11, v166
	s_xor_b32 s8, s16, -1
	s_and_b32 s9, s8, vcc_lo
	s_and_saveexec_b32 s8, s9
	s_cbranch_execz .LBB76_245
; %bb.244:
	v_ashrrev_i32_e32 v167, 31, v166
	v_lshlrev_b64 v[172:173], 2, v[166:167]
	v_add_co_u32 v172, vcc_lo, v164, v172
	v_add_co_ci_u32_e64 v173, null, v165, v173, vcc_lo
	s_clause 0x1
	global_load_dword v0, v[172:173], off
	global_load_dword v167, v[164:165], off offset:44
	s_waitcnt vmcnt(1)
	global_store_dword v[164:165], v0, off offset:44
	s_waitcnt vmcnt(0)
	global_store_dword v[172:173], v167, off
.LBB76_245:
	s_or_b32 exec_lo, exec_lo, s8
	v_mov_b32_e32 v172, v166
	v_mov_b32_e32 v0, v166
.LBB76_246:
	s_or_b32 exec_lo, exec_lo, s3
.LBB76_247:
	s_andn2_saveexec_b32 s0, s0
	s_cbranch_execz .LBB76_249
; %bb.248:
	v_mov_b32_e32 v172, 11
	ds_write2_b64 v1, v[106:107], v[108:109] offset0:24 offset1:25
	ds_write2_b64 v1, v[102:103], v[104:105] offset0:26 offset1:27
	;; [unrolled: 1-line block ×27, first 2 shown]
.LBB76_249:
	s_or_b32 exec_lo, exec_lo, s0
	s_mov_b32 s0, exec_lo
	s_waitcnt lgkmcnt(0)
	s_waitcnt_vscnt null, 0x0
	s_barrier
	buffer_gl0_inv
	v_cmpx_lt_i32_e32 11, v172
	s_cbranch_execz .LBB76_251
; %bb.250:
	v_mul_f64 v[166:167], v[160:161], v[116:117]
	v_mul_f64 v[116:117], v[158:159], v[116:117]
	v_fma_f64 v[166:167], v[158:159], v[114:115], -v[166:167]
	v_fma_f64 v[116:117], v[160:161], v[114:115], v[116:117]
	ds_read2_b64 v[158:161], v1 offset0:24 offset1:25
	s_waitcnt lgkmcnt(0)
	v_mul_f64 v[114:115], v[160:161], v[116:117]
	v_fma_f64 v[114:115], v[158:159], v[166:167], -v[114:115]
	v_mul_f64 v[158:159], v[158:159], v[116:117]
	v_add_f64 v[106:107], v[106:107], -v[114:115]
	v_fma_f64 v[158:159], v[160:161], v[166:167], v[158:159]
	v_add_f64 v[108:109], v[108:109], -v[158:159]
	ds_read2_b64 v[158:161], v1 offset0:26 offset1:27
	s_waitcnt lgkmcnt(0)
	v_mul_f64 v[114:115], v[160:161], v[116:117]
	v_fma_f64 v[114:115], v[158:159], v[166:167], -v[114:115]
	v_mul_f64 v[158:159], v[158:159], v[116:117]
	v_add_f64 v[102:103], v[102:103], -v[114:115]
	v_fma_f64 v[158:159], v[160:161], v[166:167], v[158:159]
	v_add_f64 v[104:105], v[104:105], -v[158:159]
	;; [unrolled: 8-line block ×26, first 2 shown]
	ds_read2_b64 v[158:161], v1 offset0:76 offset1:77
	s_waitcnt lgkmcnt(0)
	v_mul_f64 v[114:115], v[160:161], v[116:117]
	v_fma_f64 v[114:115], v[158:159], v[166:167], -v[114:115]
	v_mul_f64 v[158:159], v[158:159], v[116:117]
	v_add_f64 v[2:3], v[2:3], -v[114:115]
	v_fma_f64 v[158:159], v[160:161], v[166:167], v[158:159]
	v_mov_b32_e32 v114, v166
	v_mov_b32_e32 v115, v167
	v_add_f64 v[4:5], v[4:5], -v[158:159]
.LBB76_251:
	s_or_b32 exec_lo, exec_lo, s0
	v_lshl_add_u32 v158, v172, 4, v1
	s_barrier
	buffer_gl0_inv
	v_mov_b32_e32 v166, 12
	ds_write2_b64 v158, v[106:107], v[108:109] offset1:1
	s_waitcnt lgkmcnt(0)
	s_barrier
	buffer_gl0_inv
	ds_read2_b64 v[158:161], v1 offset0:24 offset1:25
	s_cmp_lt_i32 s1, 14
	s_cbranch_scc1 .LBB76_254
; %bb.252:
	v_add3_u32 v167, v168, 0, 0xd0
	v_mov_b32_e32 v166, 12
	s_mov_b32 s3, 13
	s_inst_prefetch 0x1
	.p2align	6
.LBB76_253:                             ; =>This Inner Loop Header: Depth=1
	s_waitcnt lgkmcnt(0)
	v_cmp_gt_f64_e32 vcc_lo, 0, v[160:161]
	v_cmp_gt_f64_e64 s0, 0, v[158:159]
	ds_read2_b64 v[173:176], v167 offset1:1
	v_xor_b32_e32 v178, 0x80000000, v159
	v_xor_b32_e32 v180, 0x80000000, v161
	v_mov_b32_e32 v177, v158
	v_mov_b32_e32 v179, v160
	v_add_nc_u32_e32 v167, 16, v167
	s_waitcnt lgkmcnt(0)
	v_xor_b32_e32 v182, 0x80000000, v176
	v_cndmask_b32_e64 v178, v159, v178, s0
	v_cndmask_b32_e32 v180, v161, v180, vcc_lo
	v_cmp_gt_f64_e32 vcc_lo, 0, v[175:176]
	v_cmp_gt_f64_e64 s0, 0, v[173:174]
	v_mov_b32_e32 v181, v175
	v_add_f64 v[177:178], v[177:178], v[179:180]
	v_xor_b32_e32 v180, 0x80000000, v174
	v_mov_b32_e32 v179, v173
	v_cndmask_b32_e32 v182, v176, v182, vcc_lo
	v_cndmask_b32_e64 v180, v174, v180, s0
	v_add_f64 v[179:180], v[179:180], v[181:182]
	v_cmp_lt_f64_e32 vcc_lo, v[177:178], v[179:180]
	v_cndmask_b32_e32 v159, v159, v174, vcc_lo
	v_cndmask_b32_e32 v158, v158, v173, vcc_lo
	;; [unrolled: 1-line block ×4, first 2 shown]
	v_cndmask_b32_e64 v166, v166, s3, vcc_lo
	s_add_i32 s3, s3, 1
	s_cmp_lg_u32 s1, s3
	s_cbranch_scc1 .LBB76_253
.LBB76_254:
	s_inst_prefetch 0x2
	s_waitcnt lgkmcnt(0)
	v_cmp_eq_f64_e32 vcc_lo, 0, v[158:159]
	v_cmp_eq_f64_e64 s0, 0, v[160:161]
	s_and_b32 s0, vcc_lo, s0
	s_and_saveexec_b32 s3, s0
	s_xor_b32 s0, exec_lo, s3
; %bb.255:
	v_cmp_ne_u32_e32 vcc_lo, 0, v171
	v_cndmask_b32_e32 v171, 13, v171, vcc_lo
; %bb.256:
	s_andn2_saveexec_b32 s0, s0
	s_cbranch_execz .LBB76_262
; %bb.257:
	v_cmp_ngt_f64_e64 s3, |v[158:159]|, |v[160:161]|
	s_and_saveexec_b32 s8, s3
	s_xor_b32 s3, exec_lo, s8
	s_cbranch_execz .LBB76_259
; %bb.258:
	v_div_scale_f64 v[173:174], null, v[160:161], v[160:161], v[158:159]
	v_div_scale_f64 v[179:180], vcc_lo, v[158:159], v[160:161], v[158:159]
	v_rcp_f64_e32 v[175:176], v[173:174]
	v_fma_f64 v[177:178], -v[173:174], v[175:176], 1.0
	v_fma_f64 v[175:176], v[175:176], v[177:178], v[175:176]
	v_fma_f64 v[177:178], -v[173:174], v[175:176], 1.0
	v_fma_f64 v[175:176], v[175:176], v[177:178], v[175:176]
	v_mul_f64 v[177:178], v[179:180], v[175:176]
	v_fma_f64 v[173:174], -v[173:174], v[177:178], v[179:180]
	v_div_fmas_f64 v[173:174], v[173:174], v[175:176], v[177:178]
	v_div_fixup_f64 v[173:174], v[173:174], v[160:161], v[158:159]
	v_fma_f64 v[158:159], v[158:159], v[173:174], v[160:161]
	v_div_scale_f64 v[160:161], null, v[158:159], v[158:159], 1.0
	v_rcp_f64_e32 v[175:176], v[160:161]
	v_fma_f64 v[177:178], -v[160:161], v[175:176], 1.0
	v_fma_f64 v[175:176], v[175:176], v[177:178], v[175:176]
	v_fma_f64 v[177:178], -v[160:161], v[175:176], 1.0
	v_fma_f64 v[175:176], v[175:176], v[177:178], v[175:176]
	v_div_scale_f64 v[177:178], vcc_lo, 1.0, v[158:159], 1.0
	v_mul_f64 v[179:180], v[177:178], v[175:176]
	v_fma_f64 v[160:161], -v[160:161], v[179:180], v[177:178]
	v_div_fmas_f64 v[160:161], v[160:161], v[175:176], v[179:180]
	v_div_fixup_f64 v[160:161], v[160:161], v[158:159], 1.0
	v_mul_f64 v[158:159], v[173:174], v[160:161]
	v_xor_b32_e32 v161, 0x80000000, v161
.LBB76_259:
	s_andn2_saveexec_b32 s3, s3
	s_cbranch_execz .LBB76_261
; %bb.260:
	v_div_scale_f64 v[173:174], null, v[158:159], v[158:159], v[160:161]
	v_div_scale_f64 v[179:180], vcc_lo, v[160:161], v[158:159], v[160:161]
	v_rcp_f64_e32 v[175:176], v[173:174]
	v_fma_f64 v[177:178], -v[173:174], v[175:176], 1.0
	v_fma_f64 v[175:176], v[175:176], v[177:178], v[175:176]
	v_fma_f64 v[177:178], -v[173:174], v[175:176], 1.0
	v_fma_f64 v[175:176], v[175:176], v[177:178], v[175:176]
	v_mul_f64 v[177:178], v[179:180], v[175:176]
	v_fma_f64 v[173:174], -v[173:174], v[177:178], v[179:180]
	v_div_fmas_f64 v[173:174], v[173:174], v[175:176], v[177:178]
	v_div_fixup_f64 v[173:174], v[173:174], v[158:159], v[160:161]
	v_fma_f64 v[158:159], v[160:161], v[173:174], v[158:159]
	v_div_scale_f64 v[160:161], null, v[158:159], v[158:159], 1.0
	v_rcp_f64_e32 v[175:176], v[160:161]
	v_fma_f64 v[177:178], -v[160:161], v[175:176], 1.0
	v_fma_f64 v[175:176], v[175:176], v[177:178], v[175:176]
	v_fma_f64 v[177:178], -v[160:161], v[175:176], 1.0
	v_fma_f64 v[175:176], v[175:176], v[177:178], v[175:176]
	v_div_scale_f64 v[177:178], vcc_lo, 1.0, v[158:159], 1.0
	v_mul_f64 v[179:180], v[177:178], v[175:176]
	v_fma_f64 v[160:161], -v[160:161], v[179:180], v[177:178]
	v_div_fmas_f64 v[160:161], v[160:161], v[175:176], v[179:180]
	v_div_fixup_f64 v[158:159], v[160:161], v[158:159], 1.0
	v_mul_f64 v[160:161], v[173:174], -v[158:159]
.LBB76_261:
	s_or_b32 exec_lo, exec_lo, s3
.LBB76_262:
	s_or_b32 exec_lo, exec_lo, s0
	s_mov_b32 s0, exec_lo
	v_cmpx_ne_u32_e64 v172, v166
	s_xor_b32 s0, exec_lo, s0
	s_cbranch_execz .LBB76_268
; %bb.263:
	s_mov_b32 s3, exec_lo
	v_cmpx_eq_u32_e32 12, v172
	s_cbranch_execz .LBB76_267
; %bb.264:
	v_cmp_ne_u32_e32 vcc_lo, 12, v166
	s_xor_b32 s8, s16, -1
	s_and_b32 s9, s8, vcc_lo
	s_and_saveexec_b32 s8, s9
	s_cbranch_execz .LBB76_266
; %bb.265:
	v_ashrrev_i32_e32 v167, 31, v166
	v_lshlrev_b64 v[172:173], 2, v[166:167]
	v_add_co_u32 v172, vcc_lo, v164, v172
	v_add_co_ci_u32_e64 v173, null, v165, v173, vcc_lo
	s_clause 0x1
	global_load_dword v0, v[172:173], off
	global_load_dword v167, v[164:165], off offset:48
	s_waitcnt vmcnt(1)
	global_store_dword v[164:165], v0, off offset:48
	s_waitcnt vmcnt(0)
	global_store_dword v[172:173], v167, off
.LBB76_266:
	s_or_b32 exec_lo, exec_lo, s8
	v_mov_b32_e32 v172, v166
	v_mov_b32_e32 v0, v166
.LBB76_267:
	s_or_b32 exec_lo, exec_lo, s3
.LBB76_268:
	s_andn2_saveexec_b32 s0, s0
	s_cbranch_execz .LBB76_270
; %bb.269:
	v_mov_b32_e32 v172, 12
	ds_write2_b64 v1, v[102:103], v[104:105] offset0:26 offset1:27
	ds_write2_b64 v1, v[94:95], v[96:97] offset0:28 offset1:29
	;; [unrolled: 1-line block ×26, first 2 shown]
.LBB76_270:
	s_or_b32 exec_lo, exec_lo, s0
	s_mov_b32 s0, exec_lo
	s_waitcnt lgkmcnt(0)
	s_waitcnt_vscnt null, 0x0
	s_barrier
	buffer_gl0_inv
	v_cmpx_lt_i32_e32 12, v172
	s_cbranch_execz .LBB76_272
; %bb.271:
	v_mul_f64 v[166:167], v[160:161], v[108:109]
	v_mul_f64 v[108:109], v[158:159], v[108:109]
	v_fma_f64 v[166:167], v[158:159], v[106:107], -v[166:167]
	v_fma_f64 v[108:109], v[160:161], v[106:107], v[108:109]
	ds_read2_b64 v[158:161], v1 offset0:26 offset1:27
	s_waitcnt lgkmcnt(0)
	v_mul_f64 v[106:107], v[160:161], v[108:109]
	v_fma_f64 v[106:107], v[158:159], v[166:167], -v[106:107]
	v_mul_f64 v[158:159], v[158:159], v[108:109]
	v_add_f64 v[102:103], v[102:103], -v[106:107]
	v_fma_f64 v[158:159], v[160:161], v[166:167], v[158:159]
	v_add_f64 v[104:105], v[104:105], -v[158:159]
	ds_read2_b64 v[158:161], v1 offset0:28 offset1:29
	s_waitcnt lgkmcnt(0)
	v_mul_f64 v[106:107], v[160:161], v[108:109]
	v_fma_f64 v[106:107], v[158:159], v[166:167], -v[106:107]
	v_mul_f64 v[158:159], v[158:159], v[108:109]
	v_add_f64 v[94:95], v[94:95], -v[106:107]
	v_fma_f64 v[158:159], v[160:161], v[166:167], v[158:159]
	v_add_f64 v[96:97], v[96:97], -v[158:159]
	;; [unrolled: 8-line block ×25, first 2 shown]
	ds_read2_b64 v[158:161], v1 offset0:76 offset1:77
	s_waitcnt lgkmcnt(0)
	v_mul_f64 v[106:107], v[160:161], v[108:109]
	v_fma_f64 v[106:107], v[158:159], v[166:167], -v[106:107]
	v_mul_f64 v[158:159], v[158:159], v[108:109]
	v_add_f64 v[2:3], v[2:3], -v[106:107]
	v_fma_f64 v[158:159], v[160:161], v[166:167], v[158:159]
	v_mov_b32_e32 v106, v166
	v_mov_b32_e32 v107, v167
	v_add_f64 v[4:5], v[4:5], -v[158:159]
.LBB76_272:
	s_or_b32 exec_lo, exec_lo, s0
	v_lshl_add_u32 v158, v172, 4, v1
	s_barrier
	buffer_gl0_inv
	v_mov_b32_e32 v166, 13
	ds_write2_b64 v158, v[102:103], v[104:105] offset1:1
	s_waitcnt lgkmcnt(0)
	s_barrier
	buffer_gl0_inv
	ds_read2_b64 v[158:161], v1 offset0:26 offset1:27
	s_cmp_lt_i32 s1, 15
	s_cbranch_scc1 .LBB76_275
; %bb.273:
	v_add3_u32 v167, v168, 0, 0xe0
	v_mov_b32_e32 v166, 13
	s_mov_b32 s3, 14
	s_inst_prefetch 0x1
	.p2align	6
.LBB76_274:                             ; =>This Inner Loop Header: Depth=1
	s_waitcnt lgkmcnt(0)
	v_cmp_gt_f64_e32 vcc_lo, 0, v[160:161]
	v_cmp_gt_f64_e64 s0, 0, v[158:159]
	ds_read2_b64 v[173:176], v167 offset1:1
	v_xor_b32_e32 v178, 0x80000000, v159
	v_xor_b32_e32 v180, 0x80000000, v161
	v_mov_b32_e32 v177, v158
	v_mov_b32_e32 v179, v160
	v_add_nc_u32_e32 v167, 16, v167
	s_waitcnt lgkmcnt(0)
	v_xor_b32_e32 v182, 0x80000000, v176
	v_cndmask_b32_e64 v178, v159, v178, s0
	v_cndmask_b32_e32 v180, v161, v180, vcc_lo
	v_cmp_gt_f64_e32 vcc_lo, 0, v[175:176]
	v_cmp_gt_f64_e64 s0, 0, v[173:174]
	v_mov_b32_e32 v181, v175
	v_add_f64 v[177:178], v[177:178], v[179:180]
	v_xor_b32_e32 v180, 0x80000000, v174
	v_mov_b32_e32 v179, v173
	v_cndmask_b32_e32 v182, v176, v182, vcc_lo
	v_cndmask_b32_e64 v180, v174, v180, s0
	v_add_f64 v[179:180], v[179:180], v[181:182]
	v_cmp_lt_f64_e32 vcc_lo, v[177:178], v[179:180]
	v_cndmask_b32_e32 v159, v159, v174, vcc_lo
	v_cndmask_b32_e32 v158, v158, v173, vcc_lo
	;; [unrolled: 1-line block ×4, first 2 shown]
	v_cndmask_b32_e64 v166, v166, s3, vcc_lo
	s_add_i32 s3, s3, 1
	s_cmp_lg_u32 s1, s3
	s_cbranch_scc1 .LBB76_274
.LBB76_275:
	s_inst_prefetch 0x2
	s_waitcnt lgkmcnt(0)
	v_cmp_eq_f64_e32 vcc_lo, 0, v[158:159]
	v_cmp_eq_f64_e64 s0, 0, v[160:161]
	s_and_b32 s0, vcc_lo, s0
	s_and_saveexec_b32 s3, s0
	s_xor_b32 s0, exec_lo, s3
; %bb.276:
	v_cmp_ne_u32_e32 vcc_lo, 0, v171
	v_cndmask_b32_e32 v171, 14, v171, vcc_lo
; %bb.277:
	s_andn2_saveexec_b32 s0, s0
	s_cbranch_execz .LBB76_283
; %bb.278:
	v_cmp_ngt_f64_e64 s3, |v[158:159]|, |v[160:161]|
	s_and_saveexec_b32 s8, s3
	s_xor_b32 s3, exec_lo, s8
	s_cbranch_execz .LBB76_280
; %bb.279:
	v_div_scale_f64 v[173:174], null, v[160:161], v[160:161], v[158:159]
	v_div_scale_f64 v[179:180], vcc_lo, v[158:159], v[160:161], v[158:159]
	v_rcp_f64_e32 v[175:176], v[173:174]
	v_fma_f64 v[177:178], -v[173:174], v[175:176], 1.0
	v_fma_f64 v[175:176], v[175:176], v[177:178], v[175:176]
	v_fma_f64 v[177:178], -v[173:174], v[175:176], 1.0
	v_fma_f64 v[175:176], v[175:176], v[177:178], v[175:176]
	v_mul_f64 v[177:178], v[179:180], v[175:176]
	v_fma_f64 v[173:174], -v[173:174], v[177:178], v[179:180]
	v_div_fmas_f64 v[173:174], v[173:174], v[175:176], v[177:178]
	v_div_fixup_f64 v[173:174], v[173:174], v[160:161], v[158:159]
	v_fma_f64 v[158:159], v[158:159], v[173:174], v[160:161]
	v_div_scale_f64 v[160:161], null, v[158:159], v[158:159], 1.0
	v_rcp_f64_e32 v[175:176], v[160:161]
	v_fma_f64 v[177:178], -v[160:161], v[175:176], 1.0
	v_fma_f64 v[175:176], v[175:176], v[177:178], v[175:176]
	v_fma_f64 v[177:178], -v[160:161], v[175:176], 1.0
	v_fma_f64 v[175:176], v[175:176], v[177:178], v[175:176]
	v_div_scale_f64 v[177:178], vcc_lo, 1.0, v[158:159], 1.0
	v_mul_f64 v[179:180], v[177:178], v[175:176]
	v_fma_f64 v[160:161], -v[160:161], v[179:180], v[177:178]
	v_div_fmas_f64 v[160:161], v[160:161], v[175:176], v[179:180]
	v_div_fixup_f64 v[160:161], v[160:161], v[158:159], 1.0
	v_mul_f64 v[158:159], v[173:174], v[160:161]
	v_xor_b32_e32 v161, 0x80000000, v161
.LBB76_280:
	s_andn2_saveexec_b32 s3, s3
	s_cbranch_execz .LBB76_282
; %bb.281:
	v_div_scale_f64 v[173:174], null, v[158:159], v[158:159], v[160:161]
	v_div_scale_f64 v[179:180], vcc_lo, v[160:161], v[158:159], v[160:161]
	v_rcp_f64_e32 v[175:176], v[173:174]
	v_fma_f64 v[177:178], -v[173:174], v[175:176], 1.0
	v_fma_f64 v[175:176], v[175:176], v[177:178], v[175:176]
	v_fma_f64 v[177:178], -v[173:174], v[175:176], 1.0
	v_fma_f64 v[175:176], v[175:176], v[177:178], v[175:176]
	v_mul_f64 v[177:178], v[179:180], v[175:176]
	v_fma_f64 v[173:174], -v[173:174], v[177:178], v[179:180]
	v_div_fmas_f64 v[173:174], v[173:174], v[175:176], v[177:178]
	v_div_fixup_f64 v[173:174], v[173:174], v[158:159], v[160:161]
	v_fma_f64 v[158:159], v[160:161], v[173:174], v[158:159]
	v_div_scale_f64 v[160:161], null, v[158:159], v[158:159], 1.0
	v_rcp_f64_e32 v[175:176], v[160:161]
	v_fma_f64 v[177:178], -v[160:161], v[175:176], 1.0
	v_fma_f64 v[175:176], v[175:176], v[177:178], v[175:176]
	v_fma_f64 v[177:178], -v[160:161], v[175:176], 1.0
	v_fma_f64 v[175:176], v[175:176], v[177:178], v[175:176]
	v_div_scale_f64 v[177:178], vcc_lo, 1.0, v[158:159], 1.0
	v_mul_f64 v[179:180], v[177:178], v[175:176]
	v_fma_f64 v[160:161], -v[160:161], v[179:180], v[177:178]
	v_div_fmas_f64 v[160:161], v[160:161], v[175:176], v[179:180]
	v_div_fixup_f64 v[158:159], v[160:161], v[158:159], 1.0
	v_mul_f64 v[160:161], v[173:174], -v[158:159]
.LBB76_282:
	s_or_b32 exec_lo, exec_lo, s3
.LBB76_283:
	s_or_b32 exec_lo, exec_lo, s0
	s_mov_b32 s0, exec_lo
	v_cmpx_ne_u32_e64 v172, v166
	s_xor_b32 s0, exec_lo, s0
	s_cbranch_execz .LBB76_289
; %bb.284:
	s_mov_b32 s3, exec_lo
	v_cmpx_eq_u32_e32 13, v172
	s_cbranch_execz .LBB76_288
; %bb.285:
	v_cmp_ne_u32_e32 vcc_lo, 13, v166
	s_xor_b32 s8, s16, -1
	s_and_b32 s9, s8, vcc_lo
	s_and_saveexec_b32 s8, s9
	s_cbranch_execz .LBB76_287
; %bb.286:
	v_ashrrev_i32_e32 v167, 31, v166
	v_lshlrev_b64 v[172:173], 2, v[166:167]
	v_add_co_u32 v172, vcc_lo, v164, v172
	v_add_co_ci_u32_e64 v173, null, v165, v173, vcc_lo
	s_clause 0x1
	global_load_dword v0, v[172:173], off
	global_load_dword v167, v[164:165], off offset:52
	s_waitcnt vmcnt(1)
	global_store_dword v[164:165], v0, off offset:52
	s_waitcnt vmcnt(0)
	global_store_dword v[172:173], v167, off
.LBB76_287:
	s_or_b32 exec_lo, exec_lo, s8
	v_mov_b32_e32 v172, v166
	v_mov_b32_e32 v0, v166
.LBB76_288:
	s_or_b32 exec_lo, exec_lo, s3
.LBB76_289:
	s_andn2_saveexec_b32 s0, s0
	s_cbranch_execz .LBB76_291
; %bb.290:
	v_mov_b32_e32 v172, 13
	ds_write2_b64 v1, v[94:95], v[96:97] offset0:28 offset1:29
	ds_write2_b64 v1, v[90:91], v[92:93] offset0:30 offset1:31
	;; [unrolled: 1-line block ×25, first 2 shown]
.LBB76_291:
	s_or_b32 exec_lo, exec_lo, s0
	s_mov_b32 s0, exec_lo
	s_waitcnt lgkmcnt(0)
	s_waitcnt_vscnt null, 0x0
	s_barrier
	buffer_gl0_inv
	v_cmpx_lt_i32_e32 13, v172
	s_cbranch_execz .LBB76_293
; %bb.292:
	v_mul_f64 v[166:167], v[160:161], v[104:105]
	v_mul_f64 v[104:105], v[158:159], v[104:105]
	v_fma_f64 v[166:167], v[158:159], v[102:103], -v[166:167]
	v_fma_f64 v[104:105], v[160:161], v[102:103], v[104:105]
	ds_read2_b64 v[158:161], v1 offset0:28 offset1:29
	s_waitcnt lgkmcnt(0)
	v_mul_f64 v[102:103], v[160:161], v[104:105]
	v_fma_f64 v[102:103], v[158:159], v[166:167], -v[102:103]
	v_mul_f64 v[158:159], v[158:159], v[104:105]
	v_add_f64 v[94:95], v[94:95], -v[102:103]
	v_fma_f64 v[158:159], v[160:161], v[166:167], v[158:159]
	v_add_f64 v[96:97], v[96:97], -v[158:159]
	ds_read2_b64 v[158:161], v1 offset0:30 offset1:31
	s_waitcnt lgkmcnt(0)
	v_mul_f64 v[102:103], v[160:161], v[104:105]
	v_fma_f64 v[102:103], v[158:159], v[166:167], -v[102:103]
	v_mul_f64 v[158:159], v[158:159], v[104:105]
	v_add_f64 v[90:91], v[90:91], -v[102:103]
	v_fma_f64 v[158:159], v[160:161], v[166:167], v[158:159]
	v_add_f64 v[92:93], v[92:93], -v[158:159]
	;; [unrolled: 8-line block ×24, first 2 shown]
	ds_read2_b64 v[158:161], v1 offset0:76 offset1:77
	s_waitcnt lgkmcnt(0)
	v_mul_f64 v[102:103], v[160:161], v[104:105]
	v_fma_f64 v[102:103], v[158:159], v[166:167], -v[102:103]
	v_mul_f64 v[158:159], v[158:159], v[104:105]
	v_add_f64 v[2:3], v[2:3], -v[102:103]
	v_fma_f64 v[158:159], v[160:161], v[166:167], v[158:159]
	v_mov_b32_e32 v102, v166
	v_mov_b32_e32 v103, v167
	v_add_f64 v[4:5], v[4:5], -v[158:159]
.LBB76_293:
	s_or_b32 exec_lo, exec_lo, s0
	v_lshl_add_u32 v158, v172, 4, v1
	s_barrier
	buffer_gl0_inv
	v_mov_b32_e32 v166, 14
	ds_write2_b64 v158, v[94:95], v[96:97] offset1:1
	s_waitcnt lgkmcnt(0)
	s_barrier
	buffer_gl0_inv
	ds_read2_b64 v[158:161], v1 offset0:28 offset1:29
	s_cmp_lt_i32 s1, 16
	s_cbranch_scc1 .LBB76_296
; %bb.294:
	v_add3_u32 v167, v168, 0, 0xf0
	v_mov_b32_e32 v166, 14
	s_mov_b32 s3, 15
	s_inst_prefetch 0x1
	.p2align	6
.LBB76_295:                             ; =>This Inner Loop Header: Depth=1
	s_waitcnt lgkmcnt(0)
	v_cmp_gt_f64_e32 vcc_lo, 0, v[160:161]
	v_cmp_gt_f64_e64 s0, 0, v[158:159]
	ds_read2_b64 v[173:176], v167 offset1:1
	v_xor_b32_e32 v178, 0x80000000, v159
	v_xor_b32_e32 v180, 0x80000000, v161
	v_mov_b32_e32 v177, v158
	v_mov_b32_e32 v179, v160
	v_add_nc_u32_e32 v167, 16, v167
	s_waitcnt lgkmcnt(0)
	v_xor_b32_e32 v182, 0x80000000, v176
	v_cndmask_b32_e64 v178, v159, v178, s0
	v_cndmask_b32_e32 v180, v161, v180, vcc_lo
	v_cmp_gt_f64_e32 vcc_lo, 0, v[175:176]
	v_cmp_gt_f64_e64 s0, 0, v[173:174]
	v_mov_b32_e32 v181, v175
	v_add_f64 v[177:178], v[177:178], v[179:180]
	v_xor_b32_e32 v180, 0x80000000, v174
	v_mov_b32_e32 v179, v173
	v_cndmask_b32_e32 v182, v176, v182, vcc_lo
	v_cndmask_b32_e64 v180, v174, v180, s0
	v_add_f64 v[179:180], v[179:180], v[181:182]
	v_cmp_lt_f64_e32 vcc_lo, v[177:178], v[179:180]
	v_cndmask_b32_e32 v159, v159, v174, vcc_lo
	v_cndmask_b32_e32 v158, v158, v173, vcc_lo
	;; [unrolled: 1-line block ×4, first 2 shown]
	v_cndmask_b32_e64 v166, v166, s3, vcc_lo
	s_add_i32 s3, s3, 1
	s_cmp_lg_u32 s1, s3
	s_cbranch_scc1 .LBB76_295
.LBB76_296:
	s_inst_prefetch 0x2
	s_waitcnt lgkmcnt(0)
	v_cmp_eq_f64_e32 vcc_lo, 0, v[158:159]
	v_cmp_eq_f64_e64 s0, 0, v[160:161]
	s_and_b32 s0, vcc_lo, s0
	s_and_saveexec_b32 s3, s0
	s_xor_b32 s0, exec_lo, s3
; %bb.297:
	v_cmp_ne_u32_e32 vcc_lo, 0, v171
	v_cndmask_b32_e32 v171, 15, v171, vcc_lo
; %bb.298:
	s_andn2_saveexec_b32 s0, s0
	s_cbranch_execz .LBB76_304
; %bb.299:
	v_cmp_ngt_f64_e64 s3, |v[158:159]|, |v[160:161]|
	s_and_saveexec_b32 s8, s3
	s_xor_b32 s3, exec_lo, s8
	s_cbranch_execz .LBB76_301
; %bb.300:
	v_div_scale_f64 v[173:174], null, v[160:161], v[160:161], v[158:159]
	v_div_scale_f64 v[179:180], vcc_lo, v[158:159], v[160:161], v[158:159]
	v_rcp_f64_e32 v[175:176], v[173:174]
	v_fma_f64 v[177:178], -v[173:174], v[175:176], 1.0
	v_fma_f64 v[175:176], v[175:176], v[177:178], v[175:176]
	v_fma_f64 v[177:178], -v[173:174], v[175:176], 1.0
	v_fma_f64 v[175:176], v[175:176], v[177:178], v[175:176]
	v_mul_f64 v[177:178], v[179:180], v[175:176]
	v_fma_f64 v[173:174], -v[173:174], v[177:178], v[179:180]
	v_div_fmas_f64 v[173:174], v[173:174], v[175:176], v[177:178]
	v_div_fixup_f64 v[173:174], v[173:174], v[160:161], v[158:159]
	v_fma_f64 v[158:159], v[158:159], v[173:174], v[160:161]
	v_div_scale_f64 v[160:161], null, v[158:159], v[158:159], 1.0
	v_rcp_f64_e32 v[175:176], v[160:161]
	v_fma_f64 v[177:178], -v[160:161], v[175:176], 1.0
	v_fma_f64 v[175:176], v[175:176], v[177:178], v[175:176]
	v_fma_f64 v[177:178], -v[160:161], v[175:176], 1.0
	v_fma_f64 v[175:176], v[175:176], v[177:178], v[175:176]
	v_div_scale_f64 v[177:178], vcc_lo, 1.0, v[158:159], 1.0
	v_mul_f64 v[179:180], v[177:178], v[175:176]
	v_fma_f64 v[160:161], -v[160:161], v[179:180], v[177:178]
	v_div_fmas_f64 v[160:161], v[160:161], v[175:176], v[179:180]
	v_div_fixup_f64 v[160:161], v[160:161], v[158:159], 1.0
	v_mul_f64 v[158:159], v[173:174], v[160:161]
	v_xor_b32_e32 v161, 0x80000000, v161
.LBB76_301:
	s_andn2_saveexec_b32 s3, s3
	s_cbranch_execz .LBB76_303
; %bb.302:
	v_div_scale_f64 v[173:174], null, v[158:159], v[158:159], v[160:161]
	v_div_scale_f64 v[179:180], vcc_lo, v[160:161], v[158:159], v[160:161]
	v_rcp_f64_e32 v[175:176], v[173:174]
	v_fma_f64 v[177:178], -v[173:174], v[175:176], 1.0
	v_fma_f64 v[175:176], v[175:176], v[177:178], v[175:176]
	v_fma_f64 v[177:178], -v[173:174], v[175:176], 1.0
	v_fma_f64 v[175:176], v[175:176], v[177:178], v[175:176]
	v_mul_f64 v[177:178], v[179:180], v[175:176]
	v_fma_f64 v[173:174], -v[173:174], v[177:178], v[179:180]
	v_div_fmas_f64 v[173:174], v[173:174], v[175:176], v[177:178]
	v_div_fixup_f64 v[173:174], v[173:174], v[158:159], v[160:161]
	v_fma_f64 v[158:159], v[160:161], v[173:174], v[158:159]
	v_div_scale_f64 v[160:161], null, v[158:159], v[158:159], 1.0
	v_rcp_f64_e32 v[175:176], v[160:161]
	v_fma_f64 v[177:178], -v[160:161], v[175:176], 1.0
	v_fma_f64 v[175:176], v[175:176], v[177:178], v[175:176]
	v_fma_f64 v[177:178], -v[160:161], v[175:176], 1.0
	v_fma_f64 v[175:176], v[175:176], v[177:178], v[175:176]
	v_div_scale_f64 v[177:178], vcc_lo, 1.0, v[158:159], 1.0
	v_mul_f64 v[179:180], v[177:178], v[175:176]
	v_fma_f64 v[160:161], -v[160:161], v[179:180], v[177:178]
	v_div_fmas_f64 v[160:161], v[160:161], v[175:176], v[179:180]
	v_div_fixup_f64 v[158:159], v[160:161], v[158:159], 1.0
	v_mul_f64 v[160:161], v[173:174], -v[158:159]
.LBB76_303:
	s_or_b32 exec_lo, exec_lo, s3
.LBB76_304:
	s_or_b32 exec_lo, exec_lo, s0
	s_mov_b32 s0, exec_lo
	v_cmpx_ne_u32_e64 v172, v166
	s_xor_b32 s0, exec_lo, s0
	s_cbranch_execz .LBB76_310
; %bb.305:
	s_mov_b32 s3, exec_lo
	v_cmpx_eq_u32_e32 14, v172
	s_cbranch_execz .LBB76_309
; %bb.306:
	v_cmp_ne_u32_e32 vcc_lo, 14, v166
	s_xor_b32 s8, s16, -1
	s_and_b32 s9, s8, vcc_lo
	s_and_saveexec_b32 s8, s9
	s_cbranch_execz .LBB76_308
; %bb.307:
	v_ashrrev_i32_e32 v167, 31, v166
	v_lshlrev_b64 v[172:173], 2, v[166:167]
	v_add_co_u32 v172, vcc_lo, v164, v172
	v_add_co_ci_u32_e64 v173, null, v165, v173, vcc_lo
	s_clause 0x1
	global_load_dword v0, v[172:173], off
	global_load_dword v167, v[164:165], off offset:56
	s_waitcnt vmcnt(1)
	global_store_dword v[164:165], v0, off offset:56
	s_waitcnt vmcnt(0)
	global_store_dword v[172:173], v167, off
.LBB76_308:
	s_or_b32 exec_lo, exec_lo, s8
	v_mov_b32_e32 v172, v166
	v_mov_b32_e32 v0, v166
.LBB76_309:
	s_or_b32 exec_lo, exec_lo, s3
.LBB76_310:
	s_andn2_saveexec_b32 s0, s0
	s_cbranch_execz .LBB76_312
; %bb.311:
	v_mov_b32_e32 v172, 14
	ds_write2_b64 v1, v[90:91], v[92:93] offset0:30 offset1:31
	ds_write2_b64 v1, v[98:99], v[100:101] offset0:32 offset1:33
	;; [unrolled: 1-line block ×24, first 2 shown]
.LBB76_312:
	s_or_b32 exec_lo, exec_lo, s0
	s_mov_b32 s0, exec_lo
	s_waitcnt lgkmcnt(0)
	s_waitcnt_vscnt null, 0x0
	s_barrier
	buffer_gl0_inv
	v_cmpx_lt_i32_e32 14, v172
	s_cbranch_execz .LBB76_314
; %bb.313:
	v_mul_f64 v[166:167], v[160:161], v[96:97]
	v_mul_f64 v[96:97], v[158:159], v[96:97]
	v_fma_f64 v[166:167], v[158:159], v[94:95], -v[166:167]
	v_fma_f64 v[96:97], v[160:161], v[94:95], v[96:97]
	ds_read2_b64 v[158:161], v1 offset0:30 offset1:31
	s_waitcnt lgkmcnt(0)
	v_mul_f64 v[94:95], v[160:161], v[96:97]
	v_fma_f64 v[94:95], v[158:159], v[166:167], -v[94:95]
	v_mul_f64 v[158:159], v[158:159], v[96:97]
	v_add_f64 v[90:91], v[90:91], -v[94:95]
	v_fma_f64 v[158:159], v[160:161], v[166:167], v[158:159]
	v_add_f64 v[92:93], v[92:93], -v[158:159]
	ds_read2_b64 v[158:161], v1 offset0:32 offset1:33
	s_waitcnt lgkmcnt(0)
	v_mul_f64 v[94:95], v[160:161], v[96:97]
	v_fma_f64 v[94:95], v[158:159], v[166:167], -v[94:95]
	v_mul_f64 v[158:159], v[158:159], v[96:97]
	v_add_f64 v[98:99], v[98:99], -v[94:95]
	v_fma_f64 v[158:159], v[160:161], v[166:167], v[158:159]
	v_add_f64 v[100:101], v[100:101], -v[158:159]
	;; [unrolled: 8-line block ×23, first 2 shown]
	ds_read2_b64 v[158:161], v1 offset0:76 offset1:77
	s_waitcnt lgkmcnt(0)
	v_mul_f64 v[94:95], v[160:161], v[96:97]
	v_fma_f64 v[94:95], v[158:159], v[166:167], -v[94:95]
	v_mul_f64 v[158:159], v[158:159], v[96:97]
	v_add_f64 v[2:3], v[2:3], -v[94:95]
	v_fma_f64 v[158:159], v[160:161], v[166:167], v[158:159]
	v_mov_b32_e32 v94, v166
	v_mov_b32_e32 v95, v167
	v_add_f64 v[4:5], v[4:5], -v[158:159]
.LBB76_314:
	s_or_b32 exec_lo, exec_lo, s0
	v_lshl_add_u32 v158, v172, 4, v1
	s_barrier
	buffer_gl0_inv
	v_mov_b32_e32 v166, 15
	ds_write2_b64 v158, v[90:91], v[92:93] offset1:1
	s_waitcnt lgkmcnt(0)
	s_barrier
	buffer_gl0_inv
	ds_read2_b64 v[158:161], v1 offset0:30 offset1:31
	s_cmp_lt_i32 s1, 17
	s_cbranch_scc1 .LBB76_317
; %bb.315:
	v_add3_u32 v167, v168, 0, 0x100
	v_mov_b32_e32 v166, 15
	s_mov_b32 s3, 16
	s_inst_prefetch 0x1
	.p2align	6
.LBB76_316:                             ; =>This Inner Loop Header: Depth=1
	s_waitcnt lgkmcnt(0)
	v_cmp_gt_f64_e32 vcc_lo, 0, v[160:161]
	v_cmp_gt_f64_e64 s0, 0, v[158:159]
	ds_read2_b64 v[173:176], v167 offset1:1
	v_xor_b32_e32 v178, 0x80000000, v159
	v_xor_b32_e32 v180, 0x80000000, v161
	v_mov_b32_e32 v177, v158
	v_mov_b32_e32 v179, v160
	v_add_nc_u32_e32 v167, 16, v167
	s_waitcnt lgkmcnt(0)
	v_xor_b32_e32 v182, 0x80000000, v176
	v_cndmask_b32_e64 v178, v159, v178, s0
	v_cndmask_b32_e32 v180, v161, v180, vcc_lo
	v_cmp_gt_f64_e32 vcc_lo, 0, v[175:176]
	v_cmp_gt_f64_e64 s0, 0, v[173:174]
	v_mov_b32_e32 v181, v175
	v_add_f64 v[177:178], v[177:178], v[179:180]
	v_xor_b32_e32 v180, 0x80000000, v174
	v_mov_b32_e32 v179, v173
	v_cndmask_b32_e32 v182, v176, v182, vcc_lo
	v_cndmask_b32_e64 v180, v174, v180, s0
	v_add_f64 v[179:180], v[179:180], v[181:182]
	v_cmp_lt_f64_e32 vcc_lo, v[177:178], v[179:180]
	v_cndmask_b32_e32 v159, v159, v174, vcc_lo
	v_cndmask_b32_e32 v158, v158, v173, vcc_lo
	;; [unrolled: 1-line block ×4, first 2 shown]
	v_cndmask_b32_e64 v166, v166, s3, vcc_lo
	s_add_i32 s3, s3, 1
	s_cmp_lg_u32 s1, s3
	s_cbranch_scc1 .LBB76_316
.LBB76_317:
	s_inst_prefetch 0x2
	s_waitcnt lgkmcnt(0)
	v_cmp_eq_f64_e32 vcc_lo, 0, v[158:159]
	v_cmp_eq_f64_e64 s0, 0, v[160:161]
	s_and_b32 s0, vcc_lo, s0
	s_and_saveexec_b32 s3, s0
	s_xor_b32 s0, exec_lo, s3
; %bb.318:
	v_cmp_ne_u32_e32 vcc_lo, 0, v171
	v_cndmask_b32_e32 v171, 16, v171, vcc_lo
; %bb.319:
	s_andn2_saveexec_b32 s0, s0
	s_cbranch_execz .LBB76_325
; %bb.320:
	v_cmp_ngt_f64_e64 s3, |v[158:159]|, |v[160:161]|
	s_and_saveexec_b32 s8, s3
	s_xor_b32 s3, exec_lo, s8
	s_cbranch_execz .LBB76_322
; %bb.321:
	v_div_scale_f64 v[173:174], null, v[160:161], v[160:161], v[158:159]
	v_div_scale_f64 v[179:180], vcc_lo, v[158:159], v[160:161], v[158:159]
	v_rcp_f64_e32 v[175:176], v[173:174]
	v_fma_f64 v[177:178], -v[173:174], v[175:176], 1.0
	v_fma_f64 v[175:176], v[175:176], v[177:178], v[175:176]
	v_fma_f64 v[177:178], -v[173:174], v[175:176], 1.0
	v_fma_f64 v[175:176], v[175:176], v[177:178], v[175:176]
	v_mul_f64 v[177:178], v[179:180], v[175:176]
	v_fma_f64 v[173:174], -v[173:174], v[177:178], v[179:180]
	v_div_fmas_f64 v[173:174], v[173:174], v[175:176], v[177:178]
	v_div_fixup_f64 v[173:174], v[173:174], v[160:161], v[158:159]
	v_fma_f64 v[158:159], v[158:159], v[173:174], v[160:161]
	v_div_scale_f64 v[160:161], null, v[158:159], v[158:159], 1.0
	v_rcp_f64_e32 v[175:176], v[160:161]
	v_fma_f64 v[177:178], -v[160:161], v[175:176], 1.0
	v_fma_f64 v[175:176], v[175:176], v[177:178], v[175:176]
	v_fma_f64 v[177:178], -v[160:161], v[175:176], 1.0
	v_fma_f64 v[175:176], v[175:176], v[177:178], v[175:176]
	v_div_scale_f64 v[177:178], vcc_lo, 1.0, v[158:159], 1.0
	v_mul_f64 v[179:180], v[177:178], v[175:176]
	v_fma_f64 v[160:161], -v[160:161], v[179:180], v[177:178]
	v_div_fmas_f64 v[160:161], v[160:161], v[175:176], v[179:180]
	v_div_fixup_f64 v[160:161], v[160:161], v[158:159], 1.0
	v_mul_f64 v[158:159], v[173:174], v[160:161]
	v_xor_b32_e32 v161, 0x80000000, v161
.LBB76_322:
	s_andn2_saveexec_b32 s3, s3
	s_cbranch_execz .LBB76_324
; %bb.323:
	v_div_scale_f64 v[173:174], null, v[158:159], v[158:159], v[160:161]
	v_div_scale_f64 v[179:180], vcc_lo, v[160:161], v[158:159], v[160:161]
	v_rcp_f64_e32 v[175:176], v[173:174]
	v_fma_f64 v[177:178], -v[173:174], v[175:176], 1.0
	v_fma_f64 v[175:176], v[175:176], v[177:178], v[175:176]
	v_fma_f64 v[177:178], -v[173:174], v[175:176], 1.0
	v_fma_f64 v[175:176], v[175:176], v[177:178], v[175:176]
	v_mul_f64 v[177:178], v[179:180], v[175:176]
	v_fma_f64 v[173:174], -v[173:174], v[177:178], v[179:180]
	v_div_fmas_f64 v[173:174], v[173:174], v[175:176], v[177:178]
	v_div_fixup_f64 v[173:174], v[173:174], v[158:159], v[160:161]
	v_fma_f64 v[158:159], v[160:161], v[173:174], v[158:159]
	v_div_scale_f64 v[160:161], null, v[158:159], v[158:159], 1.0
	v_rcp_f64_e32 v[175:176], v[160:161]
	v_fma_f64 v[177:178], -v[160:161], v[175:176], 1.0
	v_fma_f64 v[175:176], v[175:176], v[177:178], v[175:176]
	v_fma_f64 v[177:178], -v[160:161], v[175:176], 1.0
	v_fma_f64 v[175:176], v[175:176], v[177:178], v[175:176]
	v_div_scale_f64 v[177:178], vcc_lo, 1.0, v[158:159], 1.0
	v_mul_f64 v[179:180], v[177:178], v[175:176]
	v_fma_f64 v[160:161], -v[160:161], v[179:180], v[177:178]
	v_div_fmas_f64 v[160:161], v[160:161], v[175:176], v[179:180]
	v_div_fixup_f64 v[158:159], v[160:161], v[158:159], 1.0
	v_mul_f64 v[160:161], v[173:174], -v[158:159]
.LBB76_324:
	s_or_b32 exec_lo, exec_lo, s3
.LBB76_325:
	s_or_b32 exec_lo, exec_lo, s0
	s_mov_b32 s0, exec_lo
	v_cmpx_ne_u32_e64 v172, v166
	s_xor_b32 s0, exec_lo, s0
	s_cbranch_execz .LBB76_331
; %bb.326:
	s_mov_b32 s3, exec_lo
	v_cmpx_eq_u32_e32 15, v172
	s_cbranch_execz .LBB76_330
; %bb.327:
	v_cmp_ne_u32_e32 vcc_lo, 15, v166
	s_xor_b32 s8, s16, -1
	s_and_b32 s9, s8, vcc_lo
	s_and_saveexec_b32 s8, s9
	s_cbranch_execz .LBB76_329
; %bb.328:
	v_ashrrev_i32_e32 v167, 31, v166
	v_lshlrev_b64 v[172:173], 2, v[166:167]
	v_add_co_u32 v172, vcc_lo, v164, v172
	v_add_co_ci_u32_e64 v173, null, v165, v173, vcc_lo
	s_clause 0x1
	global_load_dword v0, v[172:173], off
	global_load_dword v167, v[164:165], off offset:60
	s_waitcnt vmcnt(1)
	global_store_dword v[164:165], v0, off offset:60
	s_waitcnt vmcnt(0)
	global_store_dword v[172:173], v167, off
.LBB76_329:
	s_or_b32 exec_lo, exec_lo, s8
	v_mov_b32_e32 v172, v166
	v_mov_b32_e32 v0, v166
.LBB76_330:
	s_or_b32 exec_lo, exec_lo, s3
.LBB76_331:
	s_andn2_saveexec_b32 s0, s0
	s_cbranch_execz .LBB76_333
; %bb.332:
	v_mov_b32_e32 v172, 15
	ds_write2_b64 v1, v[98:99], v[100:101] offset0:32 offset1:33
	ds_write2_b64 v1, v[82:83], v[84:85] offset0:34 offset1:35
	;; [unrolled: 1-line block ×23, first 2 shown]
.LBB76_333:
	s_or_b32 exec_lo, exec_lo, s0
	s_mov_b32 s0, exec_lo
	s_waitcnt lgkmcnt(0)
	s_waitcnt_vscnt null, 0x0
	s_barrier
	buffer_gl0_inv
	v_cmpx_lt_i32_e32 15, v172
	s_cbranch_execz .LBB76_335
; %bb.334:
	v_mul_f64 v[166:167], v[160:161], v[92:93]
	v_mul_f64 v[92:93], v[158:159], v[92:93]
	v_fma_f64 v[166:167], v[158:159], v[90:91], -v[166:167]
	v_fma_f64 v[92:93], v[160:161], v[90:91], v[92:93]
	ds_read2_b64 v[158:161], v1 offset0:32 offset1:33
	s_waitcnt lgkmcnt(0)
	v_mul_f64 v[90:91], v[160:161], v[92:93]
	v_fma_f64 v[90:91], v[158:159], v[166:167], -v[90:91]
	v_mul_f64 v[158:159], v[158:159], v[92:93]
	v_add_f64 v[98:99], v[98:99], -v[90:91]
	v_fma_f64 v[158:159], v[160:161], v[166:167], v[158:159]
	v_add_f64 v[100:101], v[100:101], -v[158:159]
	ds_read2_b64 v[158:161], v1 offset0:34 offset1:35
	s_waitcnt lgkmcnt(0)
	v_mul_f64 v[90:91], v[160:161], v[92:93]
	v_fma_f64 v[90:91], v[158:159], v[166:167], -v[90:91]
	v_mul_f64 v[158:159], v[158:159], v[92:93]
	v_add_f64 v[82:83], v[82:83], -v[90:91]
	v_fma_f64 v[158:159], v[160:161], v[166:167], v[158:159]
	v_add_f64 v[84:85], v[84:85], -v[158:159]
	;; [unrolled: 8-line block ×22, first 2 shown]
	ds_read2_b64 v[158:161], v1 offset0:76 offset1:77
	s_waitcnt lgkmcnt(0)
	v_mul_f64 v[90:91], v[160:161], v[92:93]
	v_fma_f64 v[90:91], v[158:159], v[166:167], -v[90:91]
	v_mul_f64 v[158:159], v[158:159], v[92:93]
	v_add_f64 v[2:3], v[2:3], -v[90:91]
	v_fma_f64 v[158:159], v[160:161], v[166:167], v[158:159]
	v_mov_b32_e32 v90, v166
	v_mov_b32_e32 v91, v167
	v_add_f64 v[4:5], v[4:5], -v[158:159]
.LBB76_335:
	s_or_b32 exec_lo, exec_lo, s0
	v_lshl_add_u32 v158, v172, 4, v1
	s_barrier
	buffer_gl0_inv
	v_mov_b32_e32 v166, 16
	ds_write2_b64 v158, v[98:99], v[100:101] offset1:1
	s_waitcnt lgkmcnt(0)
	s_barrier
	buffer_gl0_inv
	ds_read2_b64 v[158:161], v1 offset0:32 offset1:33
	s_cmp_lt_i32 s1, 18
	s_cbranch_scc1 .LBB76_338
; %bb.336:
	v_add3_u32 v167, v168, 0, 0x110
	v_mov_b32_e32 v166, 16
	s_mov_b32 s3, 17
	s_inst_prefetch 0x1
	.p2align	6
.LBB76_337:                             ; =>This Inner Loop Header: Depth=1
	s_waitcnt lgkmcnt(0)
	v_cmp_gt_f64_e32 vcc_lo, 0, v[160:161]
	v_cmp_gt_f64_e64 s0, 0, v[158:159]
	ds_read2_b64 v[173:176], v167 offset1:1
	v_xor_b32_e32 v178, 0x80000000, v159
	v_xor_b32_e32 v180, 0x80000000, v161
	v_mov_b32_e32 v177, v158
	v_mov_b32_e32 v179, v160
	v_add_nc_u32_e32 v167, 16, v167
	s_waitcnt lgkmcnt(0)
	v_xor_b32_e32 v182, 0x80000000, v176
	v_cndmask_b32_e64 v178, v159, v178, s0
	v_cndmask_b32_e32 v180, v161, v180, vcc_lo
	v_cmp_gt_f64_e32 vcc_lo, 0, v[175:176]
	v_cmp_gt_f64_e64 s0, 0, v[173:174]
	v_mov_b32_e32 v181, v175
	v_add_f64 v[177:178], v[177:178], v[179:180]
	v_xor_b32_e32 v180, 0x80000000, v174
	v_mov_b32_e32 v179, v173
	v_cndmask_b32_e32 v182, v176, v182, vcc_lo
	v_cndmask_b32_e64 v180, v174, v180, s0
	v_add_f64 v[179:180], v[179:180], v[181:182]
	v_cmp_lt_f64_e32 vcc_lo, v[177:178], v[179:180]
	v_cndmask_b32_e32 v159, v159, v174, vcc_lo
	v_cndmask_b32_e32 v158, v158, v173, vcc_lo
	v_cndmask_b32_e32 v161, v161, v176, vcc_lo
	v_cndmask_b32_e32 v160, v160, v175, vcc_lo
	v_cndmask_b32_e64 v166, v166, s3, vcc_lo
	s_add_i32 s3, s3, 1
	s_cmp_lg_u32 s1, s3
	s_cbranch_scc1 .LBB76_337
.LBB76_338:
	s_inst_prefetch 0x2
	s_waitcnt lgkmcnt(0)
	v_cmp_eq_f64_e32 vcc_lo, 0, v[158:159]
	v_cmp_eq_f64_e64 s0, 0, v[160:161]
	s_and_b32 s0, vcc_lo, s0
	s_and_saveexec_b32 s3, s0
	s_xor_b32 s0, exec_lo, s3
; %bb.339:
	v_cmp_ne_u32_e32 vcc_lo, 0, v171
	v_cndmask_b32_e32 v171, 17, v171, vcc_lo
; %bb.340:
	s_andn2_saveexec_b32 s0, s0
	s_cbranch_execz .LBB76_346
; %bb.341:
	v_cmp_ngt_f64_e64 s3, |v[158:159]|, |v[160:161]|
	s_and_saveexec_b32 s8, s3
	s_xor_b32 s3, exec_lo, s8
	s_cbranch_execz .LBB76_343
; %bb.342:
	v_div_scale_f64 v[173:174], null, v[160:161], v[160:161], v[158:159]
	v_div_scale_f64 v[179:180], vcc_lo, v[158:159], v[160:161], v[158:159]
	v_rcp_f64_e32 v[175:176], v[173:174]
	v_fma_f64 v[177:178], -v[173:174], v[175:176], 1.0
	v_fma_f64 v[175:176], v[175:176], v[177:178], v[175:176]
	v_fma_f64 v[177:178], -v[173:174], v[175:176], 1.0
	v_fma_f64 v[175:176], v[175:176], v[177:178], v[175:176]
	v_mul_f64 v[177:178], v[179:180], v[175:176]
	v_fma_f64 v[173:174], -v[173:174], v[177:178], v[179:180]
	v_div_fmas_f64 v[173:174], v[173:174], v[175:176], v[177:178]
	v_div_fixup_f64 v[173:174], v[173:174], v[160:161], v[158:159]
	v_fma_f64 v[158:159], v[158:159], v[173:174], v[160:161]
	v_div_scale_f64 v[160:161], null, v[158:159], v[158:159], 1.0
	v_rcp_f64_e32 v[175:176], v[160:161]
	v_fma_f64 v[177:178], -v[160:161], v[175:176], 1.0
	v_fma_f64 v[175:176], v[175:176], v[177:178], v[175:176]
	v_fma_f64 v[177:178], -v[160:161], v[175:176], 1.0
	v_fma_f64 v[175:176], v[175:176], v[177:178], v[175:176]
	v_div_scale_f64 v[177:178], vcc_lo, 1.0, v[158:159], 1.0
	v_mul_f64 v[179:180], v[177:178], v[175:176]
	v_fma_f64 v[160:161], -v[160:161], v[179:180], v[177:178]
	v_div_fmas_f64 v[160:161], v[160:161], v[175:176], v[179:180]
	v_div_fixup_f64 v[160:161], v[160:161], v[158:159], 1.0
	v_mul_f64 v[158:159], v[173:174], v[160:161]
	v_xor_b32_e32 v161, 0x80000000, v161
.LBB76_343:
	s_andn2_saveexec_b32 s3, s3
	s_cbranch_execz .LBB76_345
; %bb.344:
	v_div_scale_f64 v[173:174], null, v[158:159], v[158:159], v[160:161]
	v_div_scale_f64 v[179:180], vcc_lo, v[160:161], v[158:159], v[160:161]
	v_rcp_f64_e32 v[175:176], v[173:174]
	v_fma_f64 v[177:178], -v[173:174], v[175:176], 1.0
	v_fma_f64 v[175:176], v[175:176], v[177:178], v[175:176]
	v_fma_f64 v[177:178], -v[173:174], v[175:176], 1.0
	v_fma_f64 v[175:176], v[175:176], v[177:178], v[175:176]
	v_mul_f64 v[177:178], v[179:180], v[175:176]
	v_fma_f64 v[173:174], -v[173:174], v[177:178], v[179:180]
	v_div_fmas_f64 v[173:174], v[173:174], v[175:176], v[177:178]
	v_div_fixup_f64 v[173:174], v[173:174], v[158:159], v[160:161]
	v_fma_f64 v[158:159], v[160:161], v[173:174], v[158:159]
	v_div_scale_f64 v[160:161], null, v[158:159], v[158:159], 1.0
	v_rcp_f64_e32 v[175:176], v[160:161]
	v_fma_f64 v[177:178], -v[160:161], v[175:176], 1.0
	v_fma_f64 v[175:176], v[175:176], v[177:178], v[175:176]
	v_fma_f64 v[177:178], -v[160:161], v[175:176], 1.0
	v_fma_f64 v[175:176], v[175:176], v[177:178], v[175:176]
	v_div_scale_f64 v[177:178], vcc_lo, 1.0, v[158:159], 1.0
	v_mul_f64 v[179:180], v[177:178], v[175:176]
	v_fma_f64 v[160:161], -v[160:161], v[179:180], v[177:178]
	v_div_fmas_f64 v[160:161], v[160:161], v[175:176], v[179:180]
	v_div_fixup_f64 v[158:159], v[160:161], v[158:159], 1.0
	v_mul_f64 v[160:161], v[173:174], -v[158:159]
.LBB76_345:
	s_or_b32 exec_lo, exec_lo, s3
.LBB76_346:
	s_or_b32 exec_lo, exec_lo, s0
	s_mov_b32 s0, exec_lo
	v_cmpx_ne_u32_e64 v172, v166
	s_xor_b32 s0, exec_lo, s0
	s_cbranch_execz .LBB76_352
; %bb.347:
	s_mov_b32 s3, exec_lo
	v_cmpx_eq_u32_e32 16, v172
	s_cbranch_execz .LBB76_351
; %bb.348:
	v_cmp_ne_u32_e32 vcc_lo, 16, v166
	s_xor_b32 s8, s16, -1
	s_and_b32 s9, s8, vcc_lo
	s_and_saveexec_b32 s8, s9
	s_cbranch_execz .LBB76_350
; %bb.349:
	v_ashrrev_i32_e32 v167, 31, v166
	v_lshlrev_b64 v[172:173], 2, v[166:167]
	v_add_co_u32 v172, vcc_lo, v164, v172
	v_add_co_ci_u32_e64 v173, null, v165, v173, vcc_lo
	s_clause 0x1
	global_load_dword v0, v[172:173], off
	global_load_dword v167, v[164:165], off offset:64
	s_waitcnt vmcnt(1)
	global_store_dword v[164:165], v0, off offset:64
	s_waitcnt vmcnt(0)
	global_store_dword v[172:173], v167, off
.LBB76_350:
	s_or_b32 exec_lo, exec_lo, s8
	v_mov_b32_e32 v172, v166
	v_mov_b32_e32 v0, v166
.LBB76_351:
	s_or_b32 exec_lo, exec_lo, s3
.LBB76_352:
	s_andn2_saveexec_b32 s0, s0
	s_cbranch_execz .LBB76_354
; %bb.353:
	v_mov_b32_e32 v172, 16
	ds_write2_b64 v1, v[82:83], v[84:85] offset0:34 offset1:35
	ds_write2_b64 v1, v[86:87], v[88:89] offset0:36 offset1:37
	ds_write2_b64 v1, v[70:71], v[72:73] offset0:38 offset1:39
	ds_write2_b64 v1, v[78:79], v[80:81] offset0:40 offset1:41
	ds_write2_b64 v1, v[74:75], v[76:77] offset0:42 offset1:43
	ds_write2_b64 v1, v[66:67], v[68:69] offset0:44 offset1:45
	ds_write2_b64 v1, v[62:63], v[64:65] offset0:46 offset1:47
	ds_write2_b64 v1, v[54:55], v[56:57] offset0:48 offset1:49
	ds_write2_b64 v1, v[50:51], v[52:53] offset0:50 offset1:51
	ds_write2_b64 v1, v[58:59], v[60:61] offset0:52 offset1:53
	ds_write2_b64 v1, v[34:35], v[36:37] offset0:54 offset1:55
	ds_write2_b64 v1, v[46:47], v[48:49] offset0:56 offset1:57
	ds_write2_b64 v1, v[30:31], v[32:33] offset0:58 offset1:59
	ds_write2_b64 v1, v[38:39], v[40:41] offset0:60 offset1:61
	ds_write2_b64 v1, v[42:43], v[44:45] offset0:62 offset1:63
	ds_write2_b64 v1, v[26:27], v[28:29] offset0:64 offset1:65
	ds_write2_b64 v1, v[22:23], v[24:25] offset0:66 offset1:67
	ds_write2_b64 v1, v[18:19], v[20:21] offset0:68 offset1:69
	ds_write2_b64 v1, v[14:15], v[16:17] offset0:70 offset1:71
	ds_write2_b64 v1, v[10:11], v[12:13] offset0:72 offset1:73
	ds_write2_b64 v1, v[6:7], v[8:9] offset0:74 offset1:75
	ds_write2_b64 v1, v[2:3], v[4:5] offset0:76 offset1:77
.LBB76_354:
	s_or_b32 exec_lo, exec_lo, s0
	s_mov_b32 s0, exec_lo
	s_waitcnt lgkmcnt(0)
	s_waitcnt_vscnt null, 0x0
	s_barrier
	buffer_gl0_inv
	v_cmpx_lt_i32_e32 16, v172
	s_cbranch_execz .LBB76_356
; %bb.355:
	v_mul_f64 v[166:167], v[160:161], v[100:101]
	v_mul_f64 v[100:101], v[158:159], v[100:101]
	v_fma_f64 v[166:167], v[158:159], v[98:99], -v[166:167]
	v_fma_f64 v[100:101], v[160:161], v[98:99], v[100:101]
	ds_read2_b64 v[158:161], v1 offset0:34 offset1:35
	s_waitcnt lgkmcnt(0)
	v_mul_f64 v[98:99], v[160:161], v[100:101]
	v_fma_f64 v[98:99], v[158:159], v[166:167], -v[98:99]
	v_mul_f64 v[158:159], v[158:159], v[100:101]
	v_add_f64 v[82:83], v[82:83], -v[98:99]
	v_fma_f64 v[158:159], v[160:161], v[166:167], v[158:159]
	v_add_f64 v[84:85], v[84:85], -v[158:159]
	ds_read2_b64 v[158:161], v1 offset0:36 offset1:37
	s_waitcnt lgkmcnt(0)
	v_mul_f64 v[98:99], v[160:161], v[100:101]
	v_fma_f64 v[98:99], v[158:159], v[166:167], -v[98:99]
	v_mul_f64 v[158:159], v[158:159], v[100:101]
	v_add_f64 v[86:87], v[86:87], -v[98:99]
	v_fma_f64 v[158:159], v[160:161], v[166:167], v[158:159]
	v_add_f64 v[88:89], v[88:89], -v[158:159]
	;; [unrolled: 8-line block ×21, first 2 shown]
	ds_read2_b64 v[158:161], v1 offset0:76 offset1:77
	s_waitcnt lgkmcnt(0)
	v_mul_f64 v[98:99], v[160:161], v[100:101]
	v_fma_f64 v[98:99], v[158:159], v[166:167], -v[98:99]
	v_mul_f64 v[158:159], v[158:159], v[100:101]
	v_add_f64 v[2:3], v[2:3], -v[98:99]
	v_fma_f64 v[158:159], v[160:161], v[166:167], v[158:159]
	v_mov_b32_e32 v98, v166
	v_mov_b32_e32 v99, v167
	v_add_f64 v[4:5], v[4:5], -v[158:159]
.LBB76_356:
	s_or_b32 exec_lo, exec_lo, s0
	v_lshl_add_u32 v158, v172, 4, v1
	s_barrier
	buffer_gl0_inv
	v_mov_b32_e32 v166, 17
	ds_write2_b64 v158, v[82:83], v[84:85] offset1:1
	s_waitcnt lgkmcnt(0)
	s_barrier
	buffer_gl0_inv
	ds_read2_b64 v[158:161], v1 offset0:34 offset1:35
	s_cmp_lt_i32 s1, 19
	s_cbranch_scc1 .LBB76_359
; %bb.357:
	v_add3_u32 v167, v168, 0, 0x120
	v_mov_b32_e32 v166, 17
	s_mov_b32 s3, 18
	s_inst_prefetch 0x1
	.p2align	6
.LBB76_358:                             ; =>This Inner Loop Header: Depth=1
	s_waitcnt lgkmcnt(0)
	v_cmp_gt_f64_e32 vcc_lo, 0, v[160:161]
	v_cmp_gt_f64_e64 s0, 0, v[158:159]
	ds_read2_b64 v[173:176], v167 offset1:1
	v_xor_b32_e32 v178, 0x80000000, v159
	v_xor_b32_e32 v180, 0x80000000, v161
	v_mov_b32_e32 v177, v158
	v_mov_b32_e32 v179, v160
	v_add_nc_u32_e32 v167, 16, v167
	s_waitcnt lgkmcnt(0)
	v_xor_b32_e32 v182, 0x80000000, v176
	v_cndmask_b32_e64 v178, v159, v178, s0
	v_cndmask_b32_e32 v180, v161, v180, vcc_lo
	v_cmp_gt_f64_e32 vcc_lo, 0, v[175:176]
	v_cmp_gt_f64_e64 s0, 0, v[173:174]
	v_mov_b32_e32 v181, v175
	v_add_f64 v[177:178], v[177:178], v[179:180]
	v_xor_b32_e32 v180, 0x80000000, v174
	v_mov_b32_e32 v179, v173
	v_cndmask_b32_e32 v182, v176, v182, vcc_lo
	v_cndmask_b32_e64 v180, v174, v180, s0
	v_add_f64 v[179:180], v[179:180], v[181:182]
	v_cmp_lt_f64_e32 vcc_lo, v[177:178], v[179:180]
	v_cndmask_b32_e32 v159, v159, v174, vcc_lo
	v_cndmask_b32_e32 v158, v158, v173, vcc_lo
	;; [unrolled: 1-line block ×4, first 2 shown]
	v_cndmask_b32_e64 v166, v166, s3, vcc_lo
	s_add_i32 s3, s3, 1
	s_cmp_lg_u32 s1, s3
	s_cbranch_scc1 .LBB76_358
.LBB76_359:
	s_inst_prefetch 0x2
	s_waitcnt lgkmcnt(0)
	v_cmp_eq_f64_e32 vcc_lo, 0, v[158:159]
	v_cmp_eq_f64_e64 s0, 0, v[160:161]
	s_and_b32 s0, vcc_lo, s0
	s_and_saveexec_b32 s3, s0
	s_xor_b32 s0, exec_lo, s3
; %bb.360:
	v_cmp_ne_u32_e32 vcc_lo, 0, v171
	v_cndmask_b32_e32 v171, 18, v171, vcc_lo
; %bb.361:
	s_andn2_saveexec_b32 s0, s0
	s_cbranch_execz .LBB76_367
; %bb.362:
	v_cmp_ngt_f64_e64 s3, |v[158:159]|, |v[160:161]|
	s_and_saveexec_b32 s8, s3
	s_xor_b32 s3, exec_lo, s8
	s_cbranch_execz .LBB76_364
; %bb.363:
	v_div_scale_f64 v[173:174], null, v[160:161], v[160:161], v[158:159]
	v_div_scale_f64 v[179:180], vcc_lo, v[158:159], v[160:161], v[158:159]
	v_rcp_f64_e32 v[175:176], v[173:174]
	v_fma_f64 v[177:178], -v[173:174], v[175:176], 1.0
	v_fma_f64 v[175:176], v[175:176], v[177:178], v[175:176]
	v_fma_f64 v[177:178], -v[173:174], v[175:176], 1.0
	v_fma_f64 v[175:176], v[175:176], v[177:178], v[175:176]
	v_mul_f64 v[177:178], v[179:180], v[175:176]
	v_fma_f64 v[173:174], -v[173:174], v[177:178], v[179:180]
	v_div_fmas_f64 v[173:174], v[173:174], v[175:176], v[177:178]
	v_div_fixup_f64 v[173:174], v[173:174], v[160:161], v[158:159]
	v_fma_f64 v[158:159], v[158:159], v[173:174], v[160:161]
	v_div_scale_f64 v[160:161], null, v[158:159], v[158:159], 1.0
	v_rcp_f64_e32 v[175:176], v[160:161]
	v_fma_f64 v[177:178], -v[160:161], v[175:176], 1.0
	v_fma_f64 v[175:176], v[175:176], v[177:178], v[175:176]
	v_fma_f64 v[177:178], -v[160:161], v[175:176], 1.0
	v_fma_f64 v[175:176], v[175:176], v[177:178], v[175:176]
	v_div_scale_f64 v[177:178], vcc_lo, 1.0, v[158:159], 1.0
	v_mul_f64 v[179:180], v[177:178], v[175:176]
	v_fma_f64 v[160:161], -v[160:161], v[179:180], v[177:178]
	v_div_fmas_f64 v[160:161], v[160:161], v[175:176], v[179:180]
	v_div_fixup_f64 v[160:161], v[160:161], v[158:159], 1.0
	v_mul_f64 v[158:159], v[173:174], v[160:161]
	v_xor_b32_e32 v161, 0x80000000, v161
.LBB76_364:
	s_andn2_saveexec_b32 s3, s3
	s_cbranch_execz .LBB76_366
; %bb.365:
	v_div_scale_f64 v[173:174], null, v[158:159], v[158:159], v[160:161]
	v_div_scale_f64 v[179:180], vcc_lo, v[160:161], v[158:159], v[160:161]
	v_rcp_f64_e32 v[175:176], v[173:174]
	v_fma_f64 v[177:178], -v[173:174], v[175:176], 1.0
	v_fma_f64 v[175:176], v[175:176], v[177:178], v[175:176]
	v_fma_f64 v[177:178], -v[173:174], v[175:176], 1.0
	v_fma_f64 v[175:176], v[175:176], v[177:178], v[175:176]
	v_mul_f64 v[177:178], v[179:180], v[175:176]
	v_fma_f64 v[173:174], -v[173:174], v[177:178], v[179:180]
	v_div_fmas_f64 v[173:174], v[173:174], v[175:176], v[177:178]
	v_div_fixup_f64 v[173:174], v[173:174], v[158:159], v[160:161]
	v_fma_f64 v[158:159], v[160:161], v[173:174], v[158:159]
	v_div_scale_f64 v[160:161], null, v[158:159], v[158:159], 1.0
	v_rcp_f64_e32 v[175:176], v[160:161]
	v_fma_f64 v[177:178], -v[160:161], v[175:176], 1.0
	v_fma_f64 v[175:176], v[175:176], v[177:178], v[175:176]
	v_fma_f64 v[177:178], -v[160:161], v[175:176], 1.0
	v_fma_f64 v[175:176], v[175:176], v[177:178], v[175:176]
	v_div_scale_f64 v[177:178], vcc_lo, 1.0, v[158:159], 1.0
	v_mul_f64 v[179:180], v[177:178], v[175:176]
	v_fma_f64 v[160:161], -v[160:161], v[179:180], v[177:178]
	v_div_fmas_f64 v[160:161], v[160:161], v[175:176], v[179:180]
	v_div_fixup_f64 v[158:159], v[160:161], v[158:159], 1.0
	v_mul_f64 v[160:161], v[173:174], -v[158:159]
.LBB76_366:
	s_or_b32 exec_lo, exec_lo, s3
.LBB76_367:
	s_or_b32 exec_lo, exec_lo, s0
	s_mov_b32 s0, exec_lo
	v_cmpx_ne_u32_e64 v172, v166
	s_xor_b32 s0, exec_lo, s0
	s_cbranch_execz .LBB76_373
; %bb.368:
	s_mov_b32 s3, exec_lo
	v_cmpx_eq_u32_e32 17, v172
	s_cbranch_execz .LBB76_372
; %bb.369:
	v_cmp_ne_u32_e32 vcc_lo, 17, v166
	s_xor_b32 s8, s16, -1
	s_and_b32 s9, s8, vcc_lo
	s_and_saveexec_b32 s8, s9
	s_cbranch_execz .LBB76_371
; %bb.370:
	v_ashrrev_i32_e32 v167, 31, v166
	v_lshlrev_b64 v[172:173], 2, v[166:167]
	v_add_co_u32 v172, vcc_lo, v164, v172
	v_add_co_ci_u32_e64 v173, null, v165, v173, vcc_lo
	s_clause 0x1
	global_load_dword v0, v[172:173], off
	global_load_dword v167, v[164:165], off offset:68
	s_waitcnt vmcnt(1)
	global_store_dword v[164:165], v0, off offset:68
	s_waitcnt vmcnt(0)
	global_store_dword v[172:173], v167, off
.LBB76_371:
	s_or_b32 exec_lo, exec_lo, s8
	v_mov_b32_e32 v172, v166
	v_mov_b32_e32 v0, v166
.LBB76_372:
	s_or_b32 exec_lo, exec_lo, s3
.LBB76_373:
	s_andn2_saveexec_b32 s0, s0
	s_cbranch_execz .LBB76_375
; %bb.374:
	v_mov_b32_e32 v172, 17
	ds_write2_b64 v1, v[86:87], v[88:89] offset0:36 offset1:37
	ds_write2_b64 v1, v[70:71], v[72:73] offset0:38 offset1:39
	;; [unrolled: 1-line block ×21, first 2 shown]
.LBB76_375:
	s_or_b32 exec_lo, exec_lo, s0
	s_mov_b32 s0, exec_lo
	s_waitcnt lgkmcnt(0)
	s_waitcnt_vscnt null, 0x0
	s_barrier
	buffer_gl0_inv
	v_cmpx_lt_i32_e32 17, v172
	s_cbranch_execz .LBB76_377
; %bb.376:
	v_mul_f64 v[166:167], v[160:161], v[84:85]
	v_mul_f64 v[84:85], v[158:159], v[84:85]
	v_fma_f64 v[166:167], v[158:159], v[82:83], -v[166:167]
	v_fma_f64 v[84:85], v[160:161], v[82:83], v[84:85]
	ds_read2_b64 v[158:161], v1 offset0:36 offset1:37
	s_waitcnt lgkmcnt(0)
	v_mul_f64 v[82:83], v[160:161], v[84:85]
	v_fma_f64 v[82:83], v[158:159], v[166:167], -v[82:83]
	v_mul_f64 v[158:159], v[158:159], v[84:85]
	v_add_f64 v[86:87], v[86:87], -v[82:83]
	v_fma_f64 v[158:159], v[160:161], v[166:167], v[158:159]
	v_add_f64 v[88:89], v[88:89], -v[158:159]
	ds_read2_b64 v[158:161], v1 offset0:38 offset1:39
	s_waitcnt lgkmcnt(0)
	v_mul_f64 v[82:83], v[160:161], v[84:85]
	v_fma_f64 v[82:83], v[158:159], v[166:167], -v[82:83]
	v_mul_f64 v[158:159], v[158:159], v[84:85]
	v_add_f64 v[70:71], v[70:71], -v[82:83]
	v_fma_f64 v[158:159], v[160:161], v[166:167], v[158:159]
	v_add_f64 v[72:73], v[72:73], -v[158:159]
	;; [unrolled: 8-line block ×20, first 2 shown]
	ds_read2_b64 v[158:161], v1 offset0:76 offset1:77
	s_waitcnt lgkmcnt(0)
	v_mul_f64 v[82:83], v[160:161], v[84:85]
	v_fma_f64 v[82:83], v[158:159], v[166:167], -v[82:83]
	v_mul_f64 v[158:159], v[158:159], v[84:85]
	v_add_f64 v[2:3], v[2:3], -v[82:83]
	v_fma_f64 v[158:159], v[160:161], v[166:167], v[158:159]
	v_mov_b32_e32 v82, v166
	v_mov_b32_e32 v83, v167
	v_add_f64 v[4:5], v[4:5], -v[158:159]
.LBB76_377:
	s_or_b32 exec_lo, exec_lo, s0
	v_lshl_add_u32 v158, v172, 4, v1
	s_barrier
	buffer_gl0_inv
	v_mov_b32_e32 v166, 18
	ds_write2_b64 v158, v[86:87], v[88:89] offset1:1
	s_waitcnt lgkmcnt(0)
	s_barrier
	buffer_gl0_inv
	ds_read2_b64 v[158:161], v1 offset0:36 offset1:37
	s_cmp_lt_i32 s1, 20
	s_cbranch_scc1 .LBB76_380
; %bb.378:
	v_add3_u32 v167, v168, 0, 0x130
	v_mov_b32_e32 v166, 18
	s_mov_b32 s3, 19
	s_inst_prefetch 0x1
	.p2align	6
.LBB76_379:                             ; =>This Inner Loop Header: Depth=1
	s_waitcnt lgkmcnt(0)
	v_cmp_gt_f64_e32 vcc_lo, 0, v[160:161]
	v_cmp_gt_f64_e64 s0, 0, v[158:159]
	ds_read2_b64 v[173:176], v167 offset1:1
	v_xor_b32_e32 v178, 0x80000000, v159
	v_xor_b32_e32 v180, 0x80000000, v161
	v_mov_b32_e32 v177, v158
	v_mov_b32_e32 v179, v160
	v_add_nc_u32_e32 v167, 16, v167
	s_waitcnt lgkmcnt(0)
	v_xor_b32_e32 v182, 0x80000000, v176
	v_cndmask_b32_e64 v178, v159, v178, s0
	v_cndmask_b32_e32 v180, v161, v180, vcc_lo
	v_cmp_gt_f64_e32 vcc_lo, 0, v[175:176]
	v_cmp_gt_f64_e64 s0, 0, v[173:174]
	v_mov_b32_e32 v181, v175
	v_add_f64 v[177:178], v[177:178], v[179:180]
	v_xor_b32_e32 v180, 0x80000000, v174
	v_mov_b32_e32 v179, v173
	v_cndmask_b32_e32 v182, v176, v182, vcc_lo
	v_cndmask_b32_e64 v180, v174, v180, s0
	v_add_f64 v[179:180], v[179:180], v[181:182]
	v_cmp_lt_f64_e32 vcc_lo, v[177:178], v[179:180]
	v_cndmask_b32_e32 v159, v159, v174, vcc_lo
	v_cndmask_b32_e32 v158, v158, v173, vcc_lo
	;; [unrolled: 1-line block ×4, first 2 shown]
	v_cndmask_b32_e64 v166, v166, s3, vcc_lo
	s_add_i32 s3, s3, 1
	s_cmp_lg_u32 s1, s3
	s_cbranch_scc1 .LBB76_379
.LBB76_380:
	s_inst_prefetch 0x2
	s_waitcnt lgkmcnt(0)
	v_cmp_eq_f64_e32 vcc_lo, 0, v[158:159]
	v_cmp_eq_f64_e64 s0, 0, v[160:161]
	s_and_b32 s0, vcc_lo, s0
	s_and_saveexec_b32 s3, s0
	s_xor_b32 s0, exec_lo, s3
; %bb.381:
	v_cmp_ne_u32_e32 vcc_lo, 0, v171
	v_cndmask_b32_e32 v171, 19, v171, vcc_lo
; %bb.382:
	s_andn2_saveexec_b32 s0, s0
	s_cbranch_execz .LBB76_388
; %bb.383:
	v_cmp_ngt_f64_e64 s3, |v[158:159]|, |v[160:161]|
	s_and_saveexec_b32 s8, s3
	s_xor_b32 s3, exec_lo, s8
	s_cbranch_execz .LBB76_385
; %bb.384:
	v_div_scale_f64 v[173:174], null, v[160:161], v[160:161], v[158:159]
	v_div_scale_f64 v[179:180], vcc_lo, v[158:159], v[160:161], v[158:159]
	v_rcp_f64_e32 v[175:176], v[173:174]
	v_fma_f64 v[177:178], -v[173:174], v[175:176], 1.0
	v_fma_f64 v[175:176], v[175:176], v[177:178], v[175:176]
	v_fma_f64 v[177:178], -v[173:174], v[175:176], 1.0
	v_fma_f64 v[175:176], v[175:176], v[177:178], v[175:176]
	v_mul_f64 v[177:178], v[179:180], v[175:176]
	v_fma_f64 v[173:174], -v[173:174], v[177:178], v[179:180]
	v_div_fmas_f64 v[173:174], v[173:174], v[175:176], v[177:178]
	v_div_fixup_f64 v[173:174], v[173:174], v[160:161], v[158:159]
	v_fma_f64 v[158:159], v[158:159], v[173:174], v[160:161]
	v_div_scale_f64 v[160:161], null, v[158:159], v[158:159], 1.0
	v_rcp_f64_e32 v[175:176], v[160:161]
	v_fma_f64 v[177:178], -v[160:161], v[175:176], 1.0
	v_fma_f64 v[175:176], v[175:176], v[177:178], v[175:176]
	v_fma_f64 v[177:178], -v[160:161], v[175:176], 1.0
	v_fma_f64 v[175:176], v[175:176], v[177:178], v[175:176]
	v_div_scale_f64 v[177:178], vcc_lo, 1.0, v[158:159], 1.0
	v_mul_f64 v[179:180], v[177:178], v[175:176]
	v_fma_f64 v[160:161], -v[160:161], v[179:180], v[177:178]
	v_div_fmas_f64 v[160:161], v[160:161], v[175:176], v[179:180]
	v_div_fixup_f64 v[160:161], v[160:161], v[158:159], 1.0
	v_mul_f64 v[158:159], v[173:174], v[160:161]
	v_xor_b32_e32 v161, 0x80000000, v161
.LBB76_385:
	s_andn2_saveexec_b32 s3, s3
	s_cbranch_execz .LBB76_387
; %bb.386:
	v_div_scale_f64 v[173:174], null, v[158:159], v[158:159], v[160:161]
	v_div_scale_f64 v[179:180], vcc_lo, v[160:161], v[158:159], v[160:161]
	v_rcp_f64_e32 v[175:176], v[173:174]
	v_fma_f64 v[177:178], -v[173:174], v[175:176], 1.0
	v_fma_f64 v[175:176], v[175:176], v[177:178], v[175:176]
	v_fma_f64 v[177:178], -v[173:174], v[175:176], 1.0
	v_fma_f64 v[175:176], v[175:176], v[177:178], v[175:176]
	v_mul_f64 v[177:178], v[179:180], v[175:176]
	v_fma_f64 v[173:174], -v[173:174], v[177:178], v[179:180]
	v_div_fmas_f64 v[173:174], v[173:174], v[175:176], v[177:178]
	v_div_fixup_f64 v[173:174], v[173:174], v[158:159], v[160:161]
	v_fma_f64 v[158:159], v[160:161], v[173:174], v[158:159]
	v_div_scale_f64 v[160:161], null, v[158:159], v[158:159], 1.0
	v_rcp_f64_e32 v[175:176], v[160:161]
	v_fma_f64 v[177:178], -v[160:161], v[175:176], 1.0
	v_fma_f64 v[175:176], v[175:176], v[177:178], v[175:176]
	v_fma_f64 v[177:178], -v[160:161], v[175:176], 1.0
	v_fma_f64 v[175:176], v[175:176], v[177:178], v[175:176]
	v_div_scale_f64 v[177:178], vcc_lo, 1.0, v[158:159], 1.0
	v_mul_f64 v[179:180], v[177:178], v[175:176]
	v_fma_f64 v[160:161], -v[160:161], v[179:180], v[177:178]
	v_div_fmas_f64 v[160:161], v[160:161], v[175:176], v[179:180]
	v_div_fixup_f64 v[158:159], v[160:161], v[158:159], 1.0
	v_mul_f64 v[160:161], v[173:174], -v[158:159]
.LBB76_387:
	s_or_b32 exec_lo, exec_lo, s3
.LBB76_388:
	s_or_b32 exec_lo, exec_lo, s0
	s_mov_b32 s0, exec_lo
	v_cmpx_ne_u32_e64 v172, v166
	s_xor_b32 s0, exec_lo, s0
	s_cbranch_execz .LBB76_394
; %bb.389:
	s_mov_b32 s3, exec_lo
	v_cmpx_eq_u32_e32 18, v172
	s_cbranch_execz .LBB76_393
; %bb.390:
	v_cmp_ne_u32_e32 vcc_lo, 18, v166
	s_xor_b32 s8, s16, -1
	s_and_b32 s9, s8, vcc_lo
	s_and_saveexec_b32 s8, s9
	s_cbranch_execz .LBB76_392
; %bb.391:
	v_ashrrev_i32_e32 v167, 31, v166
	v_lshlrev_b64 v[172:173], 2, v[166:167]
	v_add_co_u32 v172, vcc_lo, v164, v172
	v_add_co_ci_u32_e64 v173, null, v165, v173, vcc_lo
	s_clause 0x1
	global_load_dword v0, v[172:173], off
	global_load_dword v167, v[164:165], off offset:72
	s_waitcnt vmcnt(1)
	global_store_dword v[164:165], v0, off offset:72
	s_waitcnt vmcnt(0)
	global_store_dword v[172:173], v167, off
.LBB76_392:
	s_or_b32 exec_lo, exec_lo, s8
	v_mov_b32_e32 v172, v166
	v_mov_b32_e32 v0, v166
.LBB76_393:
	s_or_b32 exec_lo, exec_lo, s3
.LBB76_394:
	s_andn2_saveexec_b32 s0, s0
	s_cbranch_execz .LBB76_396
; %bb.395:
	v_mov_b32_e32 v172, 18
	ds_write2_b64 v1, v[70:71], v[72:73] offset0:38 offset1:39
	ds_write2_b64 v1, v[78:79], v[80:81] offset0:40 offset1:41
	;; [unrolled: 1-line block ×20, first 2 shown]
.LBB76_396:
	s_or_b32 exec_lo, exec_lo, s0
	s_mov_b32 s0, exec_lo
	s_waitcnt lgkmcnt(0)
	s_waitcnt_vscnt null, 0x0
	s_barrier
	buffer_gl0_inv
	v_cmpx_lt_i32_e32 18, v172
	s_cbranch_execz .LBB76_398
; %bb.397:
	v_mul_f64 v[166:167], v[160:161], v[88:89]
	v_mul_f64 v[88:89], v[158:159], v[88:89]
	v_fma_f64 v[166:167], v[158:159], v[86:87], -v[166:167]
	v_fma_f64 v[88:89], v[160:161], v[86:87], v[88:89]
	ds_read2_b64 v[158:161], v1 offset0:38 offset1:39
	s_waitcnt lgkmcnt(0)
	v_mul_f64 v[86:87], v[160:161], v[88:89]
	v_fma_f64 v[86:87], v[158:159], v[166:167], -v[86:87]
	v_mul_f64 v[158:159], v[158:159], v[88:89]
	v_add_f64 v[70:71], v[70:71], -v[86:87]
	v_fma_f64 v[158:159], v[160:161], v[166:167], v[158:159]
	v_add_f64 v[72:73], v[72:73], -v[158:159]
	ds_read2_b64 v[158:161], v1 offset0:40 offset1:41
	s_waitcnt lgkmcnt(0)
	v_mul_f64 v[86:87], v[160:161], v[88:89]
	v_fma_f64 v[86:87], v[158:159], v[166:167], -v[86:87]
	v_mul_f64 v[158:159], v[158:159], v[88:89]
	v_add_f64 v[78:79], v[78:79], -v[86:87]
	v_fma_f64 v[158:159], v[160:161], v[166:167], v[158:159]
	v_add_f64 v[80:81], v[80:81], -v[158:159]
	;; [unrolled: 8-line block ×19, first 2 shown]
	ds_read2_b64 v[158:161], v1 offset0:76 offset1:77
	s_waitcnt lgkmcnt(0)
	v_mul_f64 v[86:87], v[160:161], v[88:89]
	v_fma_f64 v[86:87], v[158:159], v[166:167], -v[86:87]
	v_mul_f64 v[158:159], v[158:159], v[88:89]
	v_add_f64 v[2:3], v[2:3], -v[86:87]
	v_fma_f64 v[158:159], v[160:161], v[166:167], v[158:159]
	v_mov_b32_e32 v86, v166
	v_mov_b32_e32 v87, v167
	v_add_f64 v[4:5], v[4:5], -v[158:159]
.LBB76_398:
	s_or_b32 exec_lo, exec_lo, s0
	v_lshl_add_u32 v158, v172, 4, v1
	s_barrier
	buffer_gl0_inv
	v_mov_b32_e32 v166, 19
	ds_write2_b64 v158, v[70:71], v[72:73] offset1:1
	s_waitcnt lgkmcnt(0)
	s_barrier
	buffer_gl0_inv
	ds_read2_b64 v[158:161], v1 offset0:38 offset1:39
	s_cmp_lt_i32 s1, 21
	s_cbranch_scc1 .LBB76_401
; %bb.399:
	v_add3_u32 v167, v168, 0, 0x140
	v_mov_b32_e32 v166, 19
	s_mov_b32 s3, 20
	s_inst_prefetch 0x1
	.p2align	6
.LBB76_400:                             ; =>This Inner Loop Header: Depth=1
	s_waitcnt lgkmcnt(0)
	v_cmp_gt_f64_e32 vcc_lo, 0, v[160:161]
	v_cmp_gt_f64_e64 s0, 0, v[158:159]
	ds_read2_b64 v[173:176], v167 offset1:1
	v_xor_b32_e32 v178, 0x80000000, v159
	v_xor_b32_e32 v180, 0x80000000, v161
	v_mov_b32_e32 v177, v158
	v_mov_b32_e32 v179, v160
	v_add_nc_u32_e32 v167, 16, v167
	s_waitcnt lgkmcnt(0)
	v_xor_b32_e32 v182, 0x80000000, v176
	v_cndmask_b32_e64 v178, v159, v178, s0
	v_cndmask_b32_e32 v180, v161, v180, vcc_lo
	v_cmp_gt_f64_e32 vcc_lo, 0, v[175:176]
	v_cmp_gt_f64_e64 s0, 0, v[173:174]
	v_mov_b32_e32 v181, v175
	v_add_f64 v[177:178], v[177:178], v[179:180]
	v_xor_b32_e32 v180, 0x80000000, v174
	v_mov_b32_e32 v179, v173
	v_cndmask_b32_e32 v182, v176, v182, vcc_lo
	v_cndmask_b32_e64 v180, v174, v180, s0
	v_add_f64 v[179:180], v[179:180], v[181:182]
	v_cmp_lt_f64_e32 vcc_lo, v[177:178], v[179:180]
	v_cndmask_b32_e32 v159, v159, v174, vcc_lo
	v_cndmask_b32_e32 v158, v158, v173, vcc_lo
	;; [unrolled: 1-line block ×4, first 2 shown]
	v_cndmask_b32_e64 v166, v166, s3, vcc_lo
	s_add_i32 s3, s3, 1
	s_cmp_lg_u32 s1, s3
	s_cbranch_scc1 .LBB76_400
.LBB76_401:
	s_inst_prefetch 0x2
	s_waitcnt lgkmcnt(0)
	v_cmp_eq_f64_e32 vcc_lo, 0, v[158:159]
	v_cmp_eq_f64_e64 s0, 0, v[160:161]
	s_and_b32 s0, vcc_lo, s0
	s_and_saveexec_b32 s3, s0
	s_xor_b32 s0, exec_lo, s3
; %bb.402:
	v_cmp_ne_u32_e32 vcc_lo, 0, v171
	v_cndmask_b32_e32 v171, 20, v171, vcc_lo
; %bb.403:
	s_andn2_saveexec_b32 s0, s0
	s_cbranch_execz .LBB76_409
; %bb.404:
	v_cmp_ngt_f64_e64 s3, |v[158:159]|, |v[160:161]|
	s_and_saveexec_b32 s8, s3
	s_xor_b32 s3, exec_lo, s8
	s_cbranch_execz .LBB76_406
; %bb.405:
	v_div_scale_f64 v[173:174], null, v[160:161], v[160:161], v[158:159]
	v_div_scale_f64 v[179:180], vcc_lo, v[158:159], v[160:161], v[158:159]
	v_rcp_f64_e32 v[175:176], v[173:174]
	v_fma_f64 v[177:178], -v[173:174], v[175:176], 1.0
	v_fma_f64 v[175:176], v[175:176], v[177:178], v[175:176]
	v_fma_f64 v[177:178], -v[173:174], v[175:176], 1.0
	v_fma_f64 v[175:176], v[175:176], v[177:178], v[175:176]
	v_mul_f64 v[177:178], v[179:180], v[175:176]
	v_fma_f64 v[173:174], -v[173:174], v[177:178], v[179:180]
	v_div_fmas_f64 v[173:174], v[173:174], v[175:176], v[177:178]
	v_div_fixup_f64 v[173:174], v[173:174], v[160:161], v[158:159]
	v_fma_f64 v[158:159], v[158:159], v[173:174], v[160:161]
	v_div_scale_f64 v[160:161], null, v[158:159], v[158:159], 1.0
	v_rcp_f64_e32 v[175:176], v[160:161]
	v_fma_f64 v[177:178], -v[160:161], v[175:176], 1.0
	v_fma_f64 v[175:176], v[175:176], v[177:178], v[175:176]
	v_fma_f64 v[177:178], -v[160:161], v[175:176], 1.0
	v_fma_f64 v[175:176], v[175:176], v[177:178], v[175:176]
	v_div_scale_f64 v[177:178], vcc_lo, 1.0, v[158:159], 1.0
	v_mul_f64 v[179:180], v[177:178], v[175:176]
	v_fma_f64 v[160:161], -v[160:161], v[179:180], v[177:178]
	v_div_fmas_f64 v[160:161], v[160:161], v[175:176], v[179:180]
	v_div_fixup_f64 v[160:161], v[160:161], v[158:159], 1.0
	v_mul_f64 v[158:159], v[173:174], v[160:161]
	v_xor_b32_e32 v161, 0x80000000, v161
.LBB76_406:
	s_andn2_saveexec_b32 s3, s3
	s_cbranch_execz .LBB76_408
; %bb.407:
	v_div_scale_f64 v[173:174], null, v[158:159], v[158:159], v[160:161]
	v_div_scale_f64 v[179:180], vcc_lo, v[160:161], v[158:159], v[160:161]
	v_rcp_f64_e32 v[175:176], v[173:174]
	v_fma_f64 v[177:178], -v[173:174], v[175:176], 1.0
	v_fma_f64 v[175:176], v[175:176], v[177:178], v[175:176]
	v_fma_f64 v[177:178], -v[173:174], v[175:176], 1.0
	v_fma_f64 v[175:176], v[175:176], v[177:178], v[175:176]
	v_mul_f64 v[177:178], v[179:180], v[175:176]
	v_fma_f64 v[173:174], -v[173:174], v[177:178], v[179:180]
	v_div_fmas_f64 v[173:174], v[173:174], v[175:176], v[177:178]
	v_div_fixup_f64 v[173:174], v[173:174], v[158:159], v[160:161]
	v_fma_f64 v[158:159], v[160:161], v[173:174], v[158:159]
	v_div_scale_f64 v[160:161], null, v[158:159], v[158:159], 1.0
	v_rcp_f64_e32 v[175:176], v[160:161]
	v_fma_f64 v[177:178], -v[160:161], v[175:176], 1.0
	v_fma_f64 v[175:176], v[175:176], v[177:178], v[175:176]
	v_fma_f64 v[177:178], -v[160:161], v[175:176], 1.0
	v_fma_f64 v[175:176], v[175:176], v[177:178], v[175:176]
	v_div_scale_f64 v[177:178], vcc_lo, 1.0, v[158:159], 1.0
	v_mul_f64 v[179:180], v[177:178], v[175:176]
	v_fma_f64 v[160:161], -v[160:161], v[179:180], v[177:178]
	v_div_fmas_f64 v[160:161], v[160:161], v[175:176], v[179:180]
	v_div_fixup_f64 v[158:159], v[160:161], v[158:159], 1.0
	v_mul_f64 v[160:161], v[173:174], -v[158:159]
.LBB76_408:
	s_or_b32 exec_lo, exec_lo, s3
.LBB76_409:
	s_or_b32 exec_lo, exec_lo, s0
	s_mov_b32 s0, exec_lo
	v_cmpx_ne_u32_e64 v172, v166
	s_xor_b32 s0, exec_lo, s0
	s_cbranch_execz .LBB76_415
; %bb.410:
	s_mov_b32 s3, exec_lo
	v_cmpx_eq_u32_e32 19, v172
	s_cbranch_execz .LBB76_414
; %bb.411:
	v_cmp_ne_u32_e32 vcc_lo, 19, v166
	s_xor_b32 s8, s16, -1
	s_and_b32 s9, s8, vcc_lo
	s_and_saveexec_b32 s8, s9
	s_cbranch_execz .LBB76_413
; %bb.412:
	v_ashrrev_i32_e32 v167, 31, v166
	v_lshlrev_b64 v[172:173], 2, v[166:167]
	v_add_co_u32 v172, vcc_lo, v164, v172
	v_add_co_ci_u32_e64 v173, null, v165, v173, vcc_lo
	s_clause 0x1
	global_load_dword v0, v[172:173], off
	global_load_dword v167, v[164:165], off offset:76
	s_waitcnt vmcnt(1)
	global_store_dword v[164:165], v0, off offset:76
	s_waitcnt vmcnt(0)
	global_store_dword v[172:173], v167, off
.LBB76_413:
	s_or_b32 exec_lo, exec_lo, s8
	v_mov_b32_e32 v172, v166
	v_mov_b32_e32 v0, v166
.LBB76_414:
	s_or_b32 exec_lo, exec_lo, s3
.LBB76_415:
	s_andn2_saveexec_b32 s0, s0
	s_cbranch_execz .LBB76_417
; %bb.416:
	v_mov_b32_e32 v172, 19
	ds_write2_b64 v1, v[78:79], v[80:81] offset0:40 offset1:41
	ds_write2_b64 v1, v[74:75], v[76:77] offset0:42 offset1:43
	;; [unrolled: 1-line block ×19, first 2 shown]
.LBB76_417:
	s_or_b32 exec_lo, exec_lo, s0
	s_mov_b32 s0, exec_lo
	s_waitcnt lgkmcnt(0)
	s_waitcnt_vscnt null, 0x0
	s_barrier
	buffer_gl0_inv
	v_cmpx_lt_i32_e32 19, v172
	s_cbranch_execz .LBB76_419
; %bb.418:
	v_mul_f64 v[166:167], v[160:161], v[72:73]
	v_mul_f64 v[72:73], v[158:159], v[72:73]
	v_fma_f64 v[166:167], v[158:159], v[70:71], -v[166:167]
	v_fma_f64 v[72:73], v[160:161], v[70:71], v[72:73]
	ds_read2_b64 v[158:161], v1 offset0:40 offset1:41
	s_waitcnt lgkmcnt(0)
	v_mul_f64 v[70:71], v[160:161], v[72:73]
	v_fma_f64 v[70:71], v[158:159], v[166:167], -v[70:71]
	v_mul_f64 v[158:159], v[158:159], v[72:73]
	v_add_f64 v[78:79], v[78:79], -v[70:71]
	v_fma_f64 v[158:159], v[160:161], v[166:167], v[158:159]
	v_add_f64 v[80:81], v[80:81], -v[158:159]
	ds_read2_b64 v[158:161], v1 offset0:42 offset1:43
	s_waitcnt lgkmcnt(0)
	v_mul_f64 v[70:71], v[160:161], v[72:73]
	v_fma_f64 v[70:71], v[158:159], v[166:167], -v[70:71]
	v_mul_f64 v[158:159], v[158:159], v[72:73]
	v_add_f64 v[74:75], v[74:75], -v[70:71]
	v_fma_f64 v[158:159], v[160:161], v[166:167], v[158:159]
	v_add_f64 v[76:77], v[76:77], -v[158:159]
	;; [unrolled: 8-line block ×18, first 2 shown]
	ds_read2_b64 v[158:161], v1 offset0:76 offset1:77
	s_waitcnt lgkmcnt(0)
	v_mul_f64 v[70:71], v[160:161], v[72:73]
	v_fma_f64 v[70:71], v[158:159], v[166:167], -v[70:71]
	v_mul_f64 v[158:159], v[158:159], v[72:73]
	v_add_f64 v[2:3], v[2:3], -v[70:71]
	v_fma_f64 v[158:159], v[160:161], v[166:167], v[158:159]
	v_mov_b32_e32 v70, v166
	v_mov_b32_e32 v71, v167
	v_add_f64 v[4:5], v[4:5], -v[158:159]
.LBB76_419:
	s_or_b32 exec_lo, exec_lo, s0
	v_lshl_add_u32 v158, v172, 4, v1
	s_barrier
	buffer_gl0_inv
	v_mov_b32_e32 v166, 20
	ds_write2_b64 v158, v[78:79], v[80:81] offset1:1
	s_waitcnt lgkmcnt(0)
	s_barrier
	buffer_gl0_inv
	ds_read2_b64 v[158:161], v1 offset0:40 offset1:41
	s_cmp_lt_i32 s1, 22
	s_cbranch_scc1 .LBB76_422
; %bb.420:
	v_add3_u32 v167, v168, 0, 0x150
	v_mov_b32_e32 v166, 20
	s_mov_b32 s3, 21
	s_inst_prefetch 0x1
	.p2align	6
.LBB76_421:                             ; =>This Inner Loop Header: Depth=1
	s_waitcnt lgkmcnt(0)
	v_cmp_gt_f64_e32 vcc_lo, 0, v[160:161]
	v_cmp_gt_f64_e64 s0, 0, v[158:159]
	ds_read2_b64 v[173:176], v167 offset1:1
	v_xor_b32_e32 v178, 0x80000000, v159
	v_xor_b32_e32 v180, 0x80000000, v161
	v_mov_b32_e32 v177, v158
	v_mov_b32_e32 v179, v160
	v_add_nc_u32_e32 v167, 16, v167
	s_waitcnt lgkmcnt(0)
	v_xor_b32_e32 v182, 0x80000000, v176
	v_cndmask_b32_e64 v178, v159, v178, s0
	v_cndmask_b32_e32 v180, v161, v180, vcc_lo
	v_cmp_gt_f64_e32 vcc_lo, 0, v[175:176]
	v_cmp_gt_f64_e64 s0, 0, v[173:174]
	v_mov_b32_e32 v181, v175
	v_add_f64 v[177:178], v[177:178], v[179:180]
	v_xor_b32_e32 v180, 0x80000000, v174
	v_mov_b32_e32 v179, v173
	v_cndmask_b32_e32 v182, v176, v182, vcc_lo
	v_cndmask_b32_e64 v180, v174, v180, s0
	v_add_f64 v[179:180], v[179:180], v[181:182]
	v_cmp_lt_f64_e32 vcc_lo, v[177:178], v[179:180]
	v_cndmask_b32_e32 v159, v159, v174, vcc_lo
	v_cndmask_b32_e32 v158, v158, v173, vcc_lo
	;; [unrolled: 1-line block ×4, first 2 shown]
	v_cndmask_b32_e64 v166, v166, s3, vcc_lo
	s_add_i32 s3, s3, 1
	s_cmp_lg_u32 s1, s3
	s_cbranch_scc1 .LBB76_421
.LBB76_422:
	s_inst_prefetch 0x2
	s_waitcnt lgkmcnt(0)
	v_cmp_eq_f64_e32 vcc_lo, 0, v[158:159]
	v_cmp_eq_f64_e64 s0, 0, v[160:161]
	s_and_b32 s0, vcc_lo, s0
	s_and_saveexec_b32 s3, s0
	s_xor_b32 s0, exec_lo, s3
; %bb.423:
	v_cmp_ne_u32_e32 vcc_lo, 0, v171
	v_cndmask_b32_e32 v171, 21, v171, vcc_lo
; %bb.424:
	s_andn2_saveexec_b32 s0, s0
	s_cbranch_execz .LBB76_430
; %bb.425:
	v_cmp_ngt_f64_e64 s3, |v[158:159]|, |v[160:161]|
	s_and_saveexec_b32 s8, s3
	s_xor_b32 s3, exec_lo, s8
	s_cbranch_execz .LBB76_427
; %bb.426:
	v_div_scale_f64 v[173:174], null, v[160:161], v[160:161], v[158:159]
	v_div_scale_f64 v[179:180], vcc_lo, v[158:159], v[160:161], v[158:159]
	v_rcp_f64_e32 v[175:176], v[173:174]
	v_fma_f64 v[177:178], -v[173:174], v[175:176], 1.0
	v_fma_f64 v[175:176], v[175:176], v[177:178], v[175:176]
	v_fma_f64 v[177:178], -v[173:174], v[175:176], 1.0
	v_fma_f64 v[175:176], v[175:176], v[177:178], v[175:176]
	v_mul_f64 v[177:178], v[179:180], v[175:176]
	v_fma_f64 v[173:174], -v[173:174], v[177:178], v[179:180]
	v_div_fmas_f64 v[173:174], v[173:174], v[175:176], v[177:178]
	v_div_fixup_f64 v[173:174], v[173:174], v[160:161], v[158:159]
	v_fma_f64 v[158:159], v[158:159], v[173:174], v[160:161]
	v_div_scale_f64 v[160:161], null, v[158:159], v[158:159], 1.0
	v_rcp_f64_e32 v[175:176], v[160:161]
	v_fma_f64 v[177:178], -v[160:161], v[175:176], 1.0
	v_fma_f64 v[175:176], v[175:176], v[177:178], v[175:176]
	v_fma_f64 v[177:178], -v[160:161], v[175:176], 1.0
	v_fma_f64 v[175:176], v[175:176], v[177:178], v[175:176]
	v_div_scale_f64 v[177:178], vcc_lo, 1.0, v[158:159], 1.0
	v_mul_f64 v[179:180], v[177:178], v[175:176]
	v_fma_f64 v[160:161], -v[160:161], v[179:180], v[177:178]
	v_div_fmas_f64 v[160:161], v[160:161], v[175:176], v[179:180]
	v_div_fixup_f64 v[160:161], v[160:161], v[158:159], 1.0
	v_mul_f64 v[158:159], v[173:174], v[160:161]
	v_xor_b32_e32 v161, 0x80000000, v161
.LBB76_427:
	s_andn2_saveexec_b32 s3, s3
	s_cbranch_execz .LBB76_429
; %bb.428:
	v_div_scale_f64 v[173:174], null, v[158:159], v[158:159], v[160:161]
	v_div_scale_f64 v[179:180], vcc_lo, v[160:161], v[158:159], v[160:161]
	v_rcp_f64_e32 v[175:176], v[173:174]
	v_fma_f64 v[177:178], -v[173:174], v[175:176], 1.0
	v_fma_f64 v[175:176], v[175:176], v[177:178], v[175:176]
	v_fma_f64 v[177:178], -v[173:174], v[175:176], 1.0
	v_fma_f64 v[175:176], v[175:176], v[177:178], v[175:176]
	v_mul_f64 v[177:178], v[179:180], v[175:176]
	v_fma_f64 v[173:174], -v[173:174], v[177:178], v[179:180]
	v_div_fmas_f64 v[173:174], v[173:174], v[175:176], v[177:178]
	v_div_fixup_f64 v[173:174], v[173:174], v[158:159], v[160:161]
	v_fma_f64 v[158:159], v[160:161], v[173:174], v[158:159]
	v_div_scale_f64 v[160:161], null, v[158:159], v[158:159], 1.0
	v_rcp_f64_e32 v[175:176], v[160:161]
	v_fma_f64 v[177:178], -v[160:161], v[175:176], 1.0
	v_fma_f64 v[175:176], v[175:176], v[177:178], v[175:176]
	v_fma_f64 v[177:178], -v[160:161], v[175:176], 1.0
	v_fma_f64 v[175:176], v[175:176], v[177:178], v[175:176]
	v_div_scale_f64 v[177:178], vcc_lo, 1.0, v[158:159], 1.0
	v_mul_f64 v[179:180], v[177:178], v[175:176]
	v_fma_f64 v[160:161], -v[160:161], v[179:180], v[177:178]
	v_div_fmas_f64 v[160:161], v[160:161], v[175:176], v[179:180]
	v_div_fixup_f64 v[158:159], v[160:161], v[158:159], 1.0
	v_mul_f64 v[160:161], v[173:174], -v[158:159]
.LBB76_429:
	s_or_b32 exec_lo, exec_lo, s3
.LBB76_430:
	s_or_b32 exec_lo, exec_lo, s0
	s_mov_b32 s0, exec_lo
	v_cmpx_ne_u32_e64 v172, v166
	s_xor_b32 s0, exec_lo, s0
	s_cbranch_execz .LBB76_436
; %bb.431:
	s_mov_b32 s3, exec_lo
	v_cmpx_eq_u32_e32 20, v172
	s_cbranch_execz .LBB76_435
; %bb.432:
	v_cmp_ne_u32_e32 vcc_lo, 20, v166
	s_xor_b32 s8, s16, -1
	s_and_b32 s9, s8, vcc_lo
	s_and_saveexec_b32 s8, s9
	s_cbranch_execz .LBB76_434
; %bb.433:
	v_ashrrev_i32_e32 v167, 31, v166
	v_lshlrev_b64 v[172:173], 2, v[166:167]
	v_add_co_u32 v172, vcc_lo, v164, v172
	v_add_co_ci_u32_e64 v173, null, v165, v173, vcc_lo
	s_clause 0x1
	global_load_dword v0, v[172:173], off
	global_load_dword v167, v[164:165], off offset:80
	s_waitcnt vmcnt(1)
	global_store_dword v[164:165], v0, off offset:80
	s_waitcnt vmcnt(0)
	global_store_dword v[172:173], v167, off
.LBB76_434:
	s_or_b32 exec_lo, exec_lo, s8
	v_mov_b32_e32 v172, v166
	v_mov_b32_e32 v0, v166
.LBB76_435:
	s_or_b32 exec_lo, exec_lo, s3
.LBB76_436:
	s_andn2_saveexec_b32 s0, s0
	s_cbranch_execz .LBB76_438
; %bb.437:
	v_mov_b32_e32 v172, 20
	ds_write2_b64 v1, v[74:75], v[76:77] offset0:42 offset1:43
	ds_write2_b64 v1, v[66:67], v[68:69] offset0:44 offset1:45
	;; [unrolled: 1-line block ×18, first 2 shown]
.LBB76_438:
	s_or_b32 exec_lo, exec_lo, s0
	s_mov_b32 s0, exec_lo
	s_waitcnt lgkmcnt(0)
	s_waitcnt_vscnt null, 0x0
	s_barrier
	buffer_gl0_inv
	v_cmpx_lt_i32_e32 20, v172
	s_cbranch_execz .LBB76_440
; %bb.439:
	v_mul_f64 v[166:167], v[160:161], v[80:81]
	v_mul_f64 v[80:81], v[158:159], v[80:81]
	v_fma_f64 v[166:167], v[158:159], v[78:79], -v[166:167]
	v_fma_f64 v[80:81], v[160:161], v[78:79], v[80:81]
	ds_read2_b64 v[158:161], v1 offset0:42 offset1:43
	s_waitcnt lgkmcnt(0)
	v_mul_f64 v[78:79], v[160:161], v[80:81]
	v_fma_f64 v[78:79], v[158:159], v[166:167], -v[78:79]
	v_mul_f64 v[158:159], v[158:159], v[80:81]
	v_add_f64 v[74:75], v[74:75], -v[78:79]
	v_fma_f64 v[158:159], v[160:161], v[166:167], v[158:159]
	v_add_f64 v[76:77], v[76:77], -v[158:159]
	ds_read2_b64 v[158:161], v1 offset0:44 offset1:45
	s_waitcnt lgkmcnt(0)
	v_mul_f64 v[78:79], v[160:161], v[80:81]
	v_fma_f64 v[78:79], v[158:159], v[166:167], -v[78:79]
	v_mul_f64 v[158:159], v[158:159], v[80:81]
	v_add_f64 v[66:67], v[66:67], -v[78:79]
	v_fma_f64 v[158:159], v[160:161], v[166:167], v[158:159]
	v_add_f64 v[68:69], v[68:69], -v[158:159]
	;; [unrolled: 8-line block ×17, first 2 shown]
	ds_read2_b64 v[158:161], v1 offset0:76 offset1:77
	s_waitcnt lgkmcnt(0)
	v_mul_f64 v[78:79], v[160:161], v[80:81]
	v_fma_f64 v[78:79], v[158:159], v[166:167], -v[78:79]
	v_mul_f64 v[158:159], v[158:159], v[80:81]
	v_add_f64 v[2:3], v[2:3], -v[78:79]
	v_fma_f64 v[158:159], v[160:161], v[166:167], v[158:159]
	v_mov_b32_e32 v78, v166
	v_mov_b32_e32 v79, v167
	v_add_f64 v[4:5], v[4:5], -v[158:159]
.LBB76_440:
	s_or_b32 exec_lo, exec_lo, s0
	v_lshl_add_u32 v158, v172, 4, v1
	s_barrier
	buffer_gl0_inv
	v_mov_b32_e32 v166, 21
	ds_write2_b64 v158, v[74:75], v[76:77] offset1:1
	s_waitcnt lgkmcnt(0)
	s_barrier
	buffer_gl0_inv
	ds_read2_b64 v[158:161], v1 offset0:42 offset1:43
	s_cmp_lt_i32 s1, 23
	s_cbranch_scc1 .LBB76_443
; %bb.441:
	v_add3_u32 v167, v168, 0, 0x160
	v_mov_b32_e32 v166, 21
	s_mov_b32 s3, 22
	s_inst_prefetch 0x1
	.p2align	6
.LBB76_442:                             ; =>This Inner Loop Header: Depth=1
	s_waitcnt lgkmcnt(0)
	v_cmp_gt_f64_e32 vcc_lo, 0, v[160:161]
	v_cmp_gt_f64_e64 s0, 0, v[158:159]
	ds_read2_b64 v[173:176], v167 offset1:1
	v_xor_b32_e32 v178, 0x80000000, v159
	v_xor_b32_e32 v180, 0x80000000, v161
	v_mov_b32_e32 v177, v158
	v_mov_b32_e32 v179, v160
	v_add_nc_u32_e32 v167, 16, v167
	s_waitcnt lgkmcnt(0)
	v_xor_b32_e32 v182, 0x80000000, v176
	v_cndmask_b32_e64 v178, v159, v178, s0
	v_cndmask_b32_e32 v180, v161, v180, vcc_lo
	v_cmp_gt_f64_e32 vcc_lo, 0, v[175:176]
	v_cmp_gt_f64_e64 s0, 0, v[173:174]
	v_mov_b32_e32 v181, v175
	v_add_f64 v[177:178], v[177:178], v[179:180]
	v_xor_b32_e32 v180, 0x80000000, v174
	v_mov_b32_e32 v179, v173
	v_cndmask_b32_e32 v182, v176, v182, vcc_lo
	v_cndmask_b32_e64 v180, v174, v180, s0
	v_add_f64 v[179:180], v[179:180], v[181:182]
	v_cmp_lt_f64_e32 vcc_lo, v[177:178], v[179:180]
	v_cndmask_b32_e32 v159, v159, v174, vcc_lo
	v_cndmask_b32_e32 v158, v158, v173, vcc_lo
	;; [unrolled: 1-line block ×4, first 2 shown]
	v_cndmask_b32_e64 v166, v166, s3, vcc_lo
	s_add_i32 s3, s3, 1
	s_cmp_lg_u32 s1, s3
	s_cbranch_scc1 .LBB76_442
.LBB76_443:
	s_inst_prefetch 0x2
	s_waitcnt lgkmcnt(0)
	v_cmp_eq_f64_e32 vcc_lo, 0, v[158:159]
	v_cmp_eq_f64_e64 s0, 0, v[160:161]
	s_and_b32 s0, vcc_lo, s0
	s_and_saveexec_b32 s3, s0
	s_xor_b32 s0, exec_lo, s3
; %bb.444:
	v_cmp_ne_u32_e32 vcc_lo, 0, v171
	v_cndmask_b32_e32 v171, 22, v171, vcc_lo
; %bb.445:
	s_andn2_saveexec_b32 s0, s0
	s_cbranch_execz .LBB76_451
; %bb.446:
	v_cmp_ngt_f64_e64 s3, |v[158:159]|, |v[160:161]|
	s_and_saveexec_b32 s8, s3
	s_xor_b32 s3, exec_lo, s8
	s_cbranch_execz .LBB76_448
; %bb.447:
	v_div_scale_f64 v[173:174], null, v[160:161], v[160:161], v[158:159]
	v_div_scale_f64 v[179:180], vcc_lo, v[158:159], v[160:161], v[158:159]
	v_rcp_f64_e32 v[175:176], v[173:174]
	v_fma_f64 v[177:178], -v[173:174], v[175:176], 1.0
	v_fma_f64 v[175:176], v[175:176], v[177:178], v[175:176]
	v_fma_f64 v[177:178], -v[173:174], v[175:176], 1.0
	v_fma_f64 v[175:176], v[175:176], v[177:178], v[175:176]
	v_mul_f64 v[177:178], v[179:180], v[175:176]
	v_fma_f64 v[173:174], -v[173:174], v[177:178], v[179:180]
	v_div_fmas_f64 v[173:174], v[173:174], v[175:176], v[177:178]
	v_div_fixup_f64 v[173:174], v[173:174], v[160:161], v[158:159]
	v_fma_f64 v[158:159], v[158:159], v[173:174], v[160:161]
	v_div_scale_f64 v[160:161], null, v[158:159], v[158:159], 1.0
	v_rcp_f64_e32 v[175:176], v[160:161]
	v_fma_f64 v[177:178], -v[160:161], v[175:176], 1.0
	v_fma_f64 v[175:176], v[175:176], v[177:178], v[175:176]
	v_fma_f64 v[177:178], -v[160:161], v[175:176], 1.0
	v_fma_f64 v[175:176], v[175:176], v[177:178], v[175:176]
	v_div_scale_f64 v[177:178], vcc_lo, 1.0, v[158:159], 1.0
	v_mul_f64 v[179:180], v[177:178], v[175:176]
	v_fma_f64 v[160:161], -v[160:161], v[179:180], v[177:178]
	v_div_fmas_f64 v[160:161], v[160:161], v[175:176], v[179:180]
	v_div_fixup_f64 v[160:161], v[160:161], v[158:159], 1.0
	v_mul_f64 v[158:159], v[173:174], v[160:161]
	v_xor_b32_e32 v161, 0x80000000, v161
.LBB76_448:
	s_andn2_saveexec_b32 s3, s3
	s_cbranch_execz .LBB76_450
; %bb.449:
	v_div_scale_f64 v[173:174], null, v[158:159], v[158:159], v[160:161]
	v_div_scale_f64 v[179:180], vcc_lo, v[160:161], v[158:159], v[160:161]
	v_rcp_f64_e32 v[175:176], v[173:174]
	v_fma_f64 v[177:178], -v[173:174], v[175:176], 1.0
	v_fma_f64 v[175:176], v[175:176], v[177:178], v[175:176]
	v_fma_f64 v[177:178], -v[173:174], v[175:176], 1.0
	v_fma_f64 v[175:176], v[175:176], v[177:178], v[175:176]
	v_mul_f64 v[177:178], v[179:180], v[175:176]
	v_fma_f64 v[173:174], -v[173:174], v[177:178], v[179:180]
	v_div_fmas_f64 v[173:174], v[173:174], v[175:176], v[177:178]
	v_div_fixup_f64 v[173:174], v[173:174], v[158:159], v[160:161]
	v_fma_f64 v[158:159], v[160:161], v[173:174], v[158:159]
	v_div_scale_f64 v[160:161], null, v[158:159], v[158:159], 1.0
	v_rcp_f64_e32 v[175:176], v[160:161]
	v_fma_f64 v[177:178], -v[160:161], v[175:176], 1.0
	v_fma_f64 v[175:176], v[175:176], v[177:178], v[175:176]
	v_fma_f64 v[177:178], -v[160:161], v[175:176], 1.0
	v_fma_f64 v[175:176], v[175:176], v[177:178], v[175:176]
	v_div_scale_f64 v[177:178], vcc_lo, 1.0, v[158:159], 1.0
	v_mul_f64 v[179:180], v[177:178], v[175:176]
	v_fma_f64 v[160:161], -v[160:161], v[179:180], v[177:178]
	v_div_fmas_f64 v[160:161], v[160:161], v[175:176], v[179:180]
	v_div_fixup_f64 v[158:159], v[160:161], v[158:159], 1.0
	v_mul_f64 v[160:161], v[173:174], -v[158:159]
.LBB76_450:
	s_or_b32 exec_lo, exec_lo, s3
.LBB76_451:
	s_or_b32 exec_lo, exec_lo, s0
	s_mov_b32 s0, exec_lo
	v_cmpx_ne_u32_e64 v172, v166
	s_xor_b32 s0, exec_lo, s0
	s_cbranch_execz .LBB76_457
; %bb.452:
	s_mov_b32 s3, exec_lo
	v_cmpx_eq_u32_e32 21, v172
	s_cbranch_execz .LBB76_456
; %bb.453:
	v_cmp_ne_u32_e32 vcc_lo, 21, v166
	s_xor_b32 s8, s16, -1
	s_and_b32 s9, s8, vcc_lo
	s_and_saveexec_b32 s8, s9
	s_cbranch_execz .LBB76_455
; %bb.454:
	v_ashrrev_i32_e32 v167, 31, v166
	v_lshlrev_b64 v[172:173], 2, v[166:167]
	v_add_co_u32 v172, vcc_lo, v164, v172
	v_add_co_ci_u32_e64 v173, null, v165, v173, vcc_lo
	s_clause 0x1
	global_load_dword v0, v[172:173], off
	global_load_dword v167, v[164:165], off offset:84
	s_waitcnt vmcnt(1)
	global_store_dword v[164:165], v0, off offset:84
	s_waitcnt vmcnt(0)
	global_store_dword v[172:173], v167, off
.LBB76_455:
	s_or_b32 exec_lo, exec_lo, s8
	v_mov_b32_e32 v172, v166
	v_mov_b32_e32 v0, v166
.LBB76_456:
	s_or_b32 exec_lo, exec_lo, s3
.LBB76_457:
	s_andn2_saveexec_b32 s0, s0
	s_cbranch_execz .LBB76_459
; %bb.458:
	v_mov_b32_e32 v172, 21
	ds_write2_b64 v1, v[66:67], v[68:69] offset0:44 offset1:45
	ds_write2_b64 v1, v[62:63], v[64:65] offset0:46 offset1:47
	;; [unrolled: 1-line block ×17, first 2 shown]
.LBB76_459:
	s_or_b32 exec_lo, exec_lo, s0
	s_mov_b32 s0, exec_lo
	s_waitcnt lgkmcnt(0)
	s_waitcnt_vscnt null, 0x0
	s_barrier
	buffer_gl0_inv
	v_cmpx_lt_i32_e32 21, v172
	s_cbranch_execz .LBB76_461
; %bb.460:
	v_mul_f64 v[166:167], v[160:161], v[76:77]
	v_mul_f64 v[76:77], v[158:159], v[76:77]
	v_fma_f64 v[166:167], v[158:159], v[74:75], -v[166:167]
	v_fma_f64 v[76:77], v[160:161], v[74:75], v[76:77]
	ds_read2_b64 v[158:161], v1 offset0:44 offset1:45
	s_waitcnt lgkmcnt(0)
	v_mul_f64 v[74:75], v[160:161], v[76:77]
	v_fma_f64 v[74:75], v[158:159], v[166:167], -v[74:75]
	v_mul_f64 v[158:159], v[158:159], v[76:77]
	v_add_f64 v[66:67], v[66:67], -v[74:75]
	v_fma_f64 v[158:159], v[160:161], v[166:167], v[158:159]
	v_add_f64 v[68:69], v[68:69], -v[158:159]
	ds_read2_b64 v[158:161], v1 offset0:46 offset1:47
	s_waitcnt lgkmcnt(0)
	v_mul_f64 v[74:75], v[160:161], v[76:77]
	v_fma_f64 v[74:75], v[158:159], v[166:167], -v[74:75]
	v_mul_f64 v[158:159], v[158:159], v[76:77]
	v_add_f64 v[62:63], v[62:63], -v[74:75]
	v_fma_f64 v[158:159], v[160:161], v[166:167], v[158:159]
	v_add_f64 v[64:65], v[64:65], -v[158:159]
	;; [unrolled: 8-line block ×16, first 2 shown]
	ds_read2_b64 v[158:161], v1 offset0:76 offset1:77
	s_waitcnt lgkmcnt(0)
	v_mul_f64 v[74:75], v[160:161], v[76:77]
	v_fma_f64 v[74:75], v[158:159], v[166:167], -v[74:75]
	v_mul_f64 v[158:159], v[158:159], v[76:77]
	v_add_f64 v[2:3], v[2:3], -v[74:75]
	v_fma_f64 v[158:159], v[160:161], v[166:167], v[158:159]
	v_mov_b32_e32 v74, v166
	v_mov_b32_e32 v75, v167
	v_add_f64 v[4:5], v[4:5], -v[158:159]
.LBB76_461:
	s_or_b32 exec_lo, exec_lo, s0
	v_lshl_add_u32 v158, v172, 4, v1
	s_barrier
	buffer_gl0_inv
	v_mov_b32_e32 v166, 22
	ds_write2_b64 v158, v[66:67], v[68:69] offset1:1
	s_waitcnt lgkmcnt(0)
	s_barrier
	buffer_gl0_inv
	ds_read2_b64 v[158:161], v1 offset0:44 offset1:45
	s_cmp_lt_i32 s1, 24
	s_cbranch_scc1 .LBB76_464
; %bb.462:
	v_add3_u32 v167, v168, 0, 0x170
	v_mov_b32_e32 v166, 22
	s_mov_b32 s3, 23
	s_inst_prefetch 0x1
	.p2align	6
.LBB76_463:                             ; =>This Inner Loop Header: Depth=1
	s_waitcnt lgkmcnt(0)
	v_cmp_gt_f64_e32 vcc_lo, 0, v[160:161]
	v_cmp_gt_f64_e64 s0, 0, v[158:159]
	ds_read2_b64 v[173:176], v167 offset1:1
	v_xor_b32_e32 v178, 0x80000000, v159
	v_xor_b32_e32 v180, 0x80000000, v161
	v_mov_b32_e32 v177, v158
	v_mov_b32_e32 v179, v160
	v_add_nc_u32_e32 v167, 16, v167
	s_waitcnt lgkmcnt(0)
	v_xor_b32_e32 v182, 0x80000000, v176
	v_cndmask_b32_e64 v178, v159, v178, s0
	v_cndmask_b32_e32 v180, v161, v180, vcc_lo
	v_cmp_gt_f64_e32 vcc_lo, 0, v[175:176]
	v_cmp_gt_f64_e64 s0, 0, v[173:174]
	v_mov_b32_e32 v181, v175
	v_add_f64 v[177:178], v[177:178], v[179:180]
	v_xor_b32_e32 v180, 0x80000000, v174
	v_mov_b32_e32 v179, v173
	v_cndmask_b32_e32 v182, v176, v182, vcc_lo
	v_cndmask_b32_e64 v180, v174, v180, s0
	v_add_f64 v[179:180], v[179:180], v[181:182]
	v_cmp_lt_f64_e32 vcc_lo, v[177:178], v[179:180]
	v_cndmask_b32_e32 v159, v159, v174, vcc_lo
	v_cndmask_b32_e32 v158, v158, v173, vcc_lo
	;; [unrolled: 1-line block ×4, first 2 shown]
	v_cndmask_b32_e64 v166, v166, s3, vcc_lo
	s_add_i32 s3, s3, 1
	s_cmp_lg_u32 s1, s3
	s_cbranch_scc1 .LBB76_463
.LBB76_464:
	s_inst_prefetch 0x2
	s_waitcnt lgkmcnt(0)
	v_cmp_eq_f64_e32 vcc_lo, 0, v[158:159]
	v_cmp_eq_f64_e64 s0, 0, v[160:161]
	s_and_b32 s0, vcc_lo, s0
	s_and_saveexec_b32 s3, s0
	s_xor_b32 s0, exec_lo, s3
; %bb.465:
	v_cmp_ne_u32_e32 vcc_lo, 0, v171
	v_cndmask_b32_e32 v171, 23, v171, vcc_lo
; %bb.466:
	s_andn2_saveexec_b32 s0, s0
	s_cbranch_execz .LBB76_472
; %bb.467:
	v_cmp_ngt_f64_e64 s3, |v[158:159]|, |v[160:161]|
	s_and_saveexec_b32 s8, s3
	s_xor_b32 s3, exec_lo, s8
	s_cbranch_execz .LBB76_469
; %bb.468:
	v_div_scale_f64 v[173:174], null, v[160:161], v[160:161], v[158:159]
	v_div_scale_f64 v[179:180], vcc_lo, v[158:159], v[160:161], v[158:159]
	v_rcp_f64_e32 v[175:176], v[173:174]
	v_fma_f64 v[177:178], -v[173:174], v[175:176], 1.0
	v_fma_f64 v[175:176], v[175:176], v[177:178], v[175:176]
	v_fma_f64 v[177:178], -v[173:174], v[175:176], 1.0
	v_fma_f64 v[175:176], v[175:176], v[177:178], v[175:176]
	v_mul_f64 v[177:178], v[179:180], v[175:176]
	v_fma_f64 v[173:174], -v[173:174], v[177:178], v[179:180]
	v_div_fmas_f64 v[173:174], v[173:174], v[175:176], v[177:178]
	v_div_fixup_f64 v[173:174], v[173:174], v[160:161], v[158:159]
	v_fma_f64 v[158:159], v[158:159], v[173:174], v[160:161]
	v_div_scale_f64 v[160:161], null, v[158:159], v[158:159], 1.0
	v_rcp_f64_e32 v[175:176], v[160:161]
	v_fma_f64 v[177:178], -v[160:161], v[175:176], 1.0
	v_fma_f64 v[175:176], v[175:176], v[177:178], v[175:176]
	v_fma_f64 v[177:178], -v[160:161], v[175:176], 1.0
	v_fma_f64 v[175:176], v[175:176], v[177:178], v[175:176]
	v_div_scale_f64 v[177:178], vcc_lo, 1.0, v[158:159], 1.0
	v_mul_f64 v[179:180], v[177:178], v[175:176]
	v_fma_f64 v[160:161], -v[160:161], v[179:180], v[177:178]
	v_div_fmas_f64 v[160:161], v[160:161], v[175:176], v[179:180]
	v_div_fixup_f64 v[160:161], v[160:161], v[158:159], 1.0
	v_mul_f64 v[158:159], v[173:174], v[160:161]
	v_xor_b32_e32 v161, 0x80000000, v161
.LBB76_469:
	s_andn2_saveexec_b32 s3, s3
	s_cbranch_execz .LBB76_471
; %bb.470:
	v_div_scale_f64 v[173:174], null, v[158:159], v[158:159], v[160:161]
	v_div_scale_f64 v[179:180], vcc_lo, v[160:161], v[158:159], v[160:161]
	v_rcp_f64_e32 v[175:176], v[173:174]
	v_fma_f64 v[177:178], -v[173:174], v[175:176], 1.0
	v_fma_f64 v[175:176], v[175:176], v[177:178], v[175:176]
	v_fma_f64 v[177:178], -v[173:174], v[175:176], 1.0
	v_fma_f64 v[175:176], v[175:176], v[177:178], v[175:176]
	v_mul_f64 v[177:178], v[179:180], v[175:176]
	v_fma_f64 v[173:174], -v[173:174], v[177:178], v[179:180]
	v_div_fmas_f64 v[173:174], v[173:174], v[175:176], v[177:178]
	v_div_fixup_f64 v[173:174], v[173:174], v[158:159], v[160:161]
	v_fma_f64 v[158:159], v[160:161], v[173:174], v[158:159]
	v_div_scale_f64 v[160:161], null, v[158:159], v[158:159], 1.0
	v_rcp_f64_e32 v[175:176], v[160:161]
	v_fma_f64 v[177:178], -v[160:161], v[175:176], 1.0
	v_fma_f64 v[175:176], v[175:176], v[177:178], v[175:176]
	v_fma_f64 v[177:178], -v[160:161], v[175:176], 1.0
	v_fma_f64 v[175:176], v[175:176], v[177:178], v[175:176]
	v_div_scale_f64 v[177:178], vcc_lo, 1.0, v[158:159], 1.0
	v_mul_f64 v[179:180], v[177:178], v[175:176]
	v_fma_f64 v[160:161], -v[160:161], v[179:180], v[177:178]
	v_div_fmas_f64 v[160:161], v[160:161], v[175:176], v[179:180]
	v_div_fixup_f64 v[158:159], v[160:161], v[158:159], 1.0
	v_mul_f64 v[160:161], v[173:174], -v[158:159]
.LBB76_471:
	s_or_b32 exec_lo, exec_lo, s3
.LBB76_472:
	s_or_b32 exec_lo, exec_lo, s0
	s_mov_b32 s0, exec_lo
	v_cmpx_ne_u32_e64 v172, v166
	s_xor_b32 s0, exec_lo, s0
	s_cbranch_execz .LBB76_478
; %bb.473:
	s_mov_b32 s3, exec_lo
	v_cmpx_eq_u32_e32 22, v172
	s_cbranch_execz .LBB76_477
; %bb.474:
	v_cmp_ne_u32_e32 vcc_lo, 22, v166
	s_xor_b32 s8, s16, -1
	s_and_b32 s9, s8, vcc_lo
	s_and_saveexec_b32 s8, s9
	s_cbranch_execz .LBB76_476
; %bb.475:
	v_ashrrev_i32_e32 v167, 31, v166
	v_lshlrev_b64 v[172:173], 2, v[166:167]
	v_add_co_u32 v172, vcc_lo, v164, v172
	v_add_co_ci_u32_e64 v173, null, v165, v173, vcc_lo
	s_clause 0x1
	global_load_dword v0, v[172:173], off
	global_load_dword v167, v[164:165], off offset:88
	s_waitcnt vmcnt(1)
	global_store_dword v[164:165], v0, off offset:88
	s_waitcnt vmcnt(0)
	global_store_dword v[172:173], v167, off
.LBB76_476:
	s_or_b32 exec_lo, exec_lo, s8
	v_mov_b32_e32 v172, v166
	v_mov_b32_e32 v0, v166
.LBB76_477:
	s_or_b32 exec_lo, exec_lo, s3
.LBB76_478:
	s_andn2_saveexec_b32 s0, s0
	s_cbranch_execz .LBB76_480
; %bb.479:
	v_mov_b32_e32 v172, 22
	ds_write2_b64 v1, v[62:63], v[64:65] offset0:46 offset1:47
	ds_write2_b64 v1, v[54:55], v[56:57] offset0:48 offset1:49
	;; [unrolled: 1-line block ×16, first 2 shown]
.LBB76_480:
	s_or_b32 exec_lo, exec_lo, s0
	s_mov_b32 s0, exec_lo
	s_waitcnt lgkmcnt(0)
	s_waitcnt_vscnt null, 0x0
	s_barrier
	buffer_gl0_inv
	v_cmpx_lt_i32_e32 22, v172
	s_cbranch_execz .LBB76_482
; %bb.481:
	v_mul_f64 v[166:167], v[158:159], v[68:69]
	v_mul_f64 v[68:69], v[160:161], v[68:69]
	v_fma_f64 v[166:167], v[160:161], v[66:67], v[166:167]
	v_fma_f64 v[66:67], v[158:159], v[66:67], -v[68:69]
	ds_read2_b64 v[158:161], v1 offset0:46 offset1:47
	s_waitcnt lgkmcnt(0)
	v_mul_f64 v[68:69], v[160:161], v[166:167]
	v_fma_f64 v[68:69], v[158:159], v[66:67], -v[68:69]
	v_mul_f64 v[158:159], v[158:159], v[166:167]
	v_add_f64 v[62:63], v[62:63], -v[68:69]
	v_fma_f64 v[158:159], v[160:161], v[66:67], v[158:159]
	v_add_f64 v[64:65], v[64:65], -v[158:159]
	ds_read2_b64 v[158:161], v1 offset0:48 offset1:49
	s_waitcnt lgkmcnt(0)
	v_mul_f64 v[68:69], v[160:161], v[166:167]
	v_fma_f64 v[68:69], v[158:159], v[66:67], -v[68:69]
	v_mul_f64 v[158:159], v[158:159], v[166:167]
	v_add_f64 v[54:55], v[54:55], -v[68:69]
	v_fma_f64 v[158:159], v[160:161], v[66:67], v[158:159]
	v_add_f64 v[56:57], v[56:57], -v[158:159]
	;; [unrolled: 8-line block ×15, first 2 shown]
	ds_read2_b64 v[158:161], v1 offset0:76 offset1:77
	s_waitcnt lgkmcnt(0)
	v_mul_f64 v[68:69], v[160:161], v[166:167]
	v_fma_f64 v[68:69], v[158:159], v[66:67], -v[68:69]
	v_mul_f64 v[158:159], v[158:159], v[166:167]
	v_add_f64 v[2:3], v[2:3], -v[68:69]
	v_fma_f64 v[158:159], v[160:161], v[66:67], v[158:159]
	v_mov_b32_e32 v68, v166
	v_mov_b32_e32 v69, v167
	v_add_f64 v[4:5], v[4:5], -v[158:159]
.LBB76_482:
	s_or_b32 exec_lo, exec_lo, s0
	v_lshl_add_u32 v158, v172, 4, v1
	s_barrier
	buffer_gl0_inv
	v_mov_b32_e32 v166, 23
	ds_write2_b64 v158, v[62:63], v[64:65] offset1:1
	s_waitcnt lgkmcnt(0)
	s_barrier
	buffer_gl0_inv
	ds_read2_b64 v[158:161], v1 offset0:46 offset1:47
	s_cmp_lt_i32 s1, 25
	s_cbranch_scc1 .LBB76_485
; %bb.483:
	v_add3_u32 v167, v168, 0, 0x180
	v_mov_b32_e32 v166, 23
	s_mov_b32 s3, 24
	s_inst_prefetch 0x1
	.p2align	6
.LBB76_484:                             ; =>This Inner Loop Header: Depth=1
	s_waitcnt lgkmcnt(0)
	v_cmp_gt_f64_e32 vcc_lo, 0, v[160:161]
	v_cmp_gt_f64_e64 s0, 0, v[158:159]
	ds_read2_b64 v[173:176], v167 offset1:1
	v_xor_b32_e32 v178, 0x80000000, v159
	v_xor_b32_e32 v180, 0x80000000, v161
	v_mov_b32_e32 v177, v158
	v_mov_b32_e32 v179, v160
	v_add_nc_u32_e32 v167, 16, v167
	s_waitcnt lgkmcnt(0)
	v_xor_b32_e32 v182, 0x80000000, v176
	v_cndmask_b32_e64 v178, v159, v178, s0
	v_cndmask_b32_e32 v180, v161, v180, vcc_lo
	v_cmp_gt_f64_e32 vcc_lo, 0, v[175:176]
	v_cmp_gt_f64_e64 s0, 0, v[173:174]
	v_mov_b32_e32 v181, v175
	v_add_f64 v[177:178], v[177:178], v[179:180]
	v_xor_b32_e32 v180, 0x80000000, v174
	v_mov_b32_e32 v179, v173
	v_cndmask_b32_e32 v182, v176, v182, vcc_lo
	v_cndmask_b32_e64 v180, v174, v180, s0
	v_add_f64 v[179:180], v[179:180], v[181:182]
	v_cmp_lt_f64_e32 vcc_lo, v[177:178], v[179:180]
	v_cndmask_b32_e32 v159, v159, v174, vcc_lo
	v_cndmask_b32_e32 v158, v158, v173, vcc_lo
	;; [unrolled: 1-line block ×4, first 2 shown]
	v_cndmask_b32_e64 v166, v166, s3, vcc_lo
	s_add_i32 s3, s3, 1
	s_cmp_lg_u32 s1, s3
	s_cbranch_scc1 .LBB76_484
.LBB76_485:
	s_inst_prefetch 0x2
	s_waitcnt lgkmcnt(0)
	v_cmp_eq_f64_e32 vcc_lo, 0, v[158:159]
	v_cmp_eq_f64_e64 s0, 0, v[160:161]
	s_and_b32 s0, vcc_lo, s0
	s_and_saveexec_b32 s3, s0
	s_xor_b32 s0, exec_lo, s3
; %bb.486:
	v_cmp_ne_u32_e32 vcc_lo, 0, v171
	v_cndmask_b32_e32 v171, 24, v171, vcc_lo
; %bb.487:
	s_andn2_saveexec_b32 s0, s0
	s_cbranch_execz .LBB76_493
; %bb.488:
	v_cmp_ngt_f64_e64 s3, |v[158:159]|, |v[160:161]|
	s_and_saveexec_b32 s8, s3
	s_xor_b32 s3, exec_lo, s8
	s_cbranch_execz .LBB76_490
; %bb.489:
	v_div_scale_f64 v[173:174], null, v[160:161], v[160:161], v[158:159]
	v_div_scale_f64 v[179:180], vcc_lo, v[158:159], v[160:161], v[158:159]
	v_rcp_f64_e32 v[175:176], v[173:174]
	v_fma_f64 v[177:178], -v[173:174], v[175:176], 1.0
	v_fma_f64 v[175:176], v[175:176], v[177:178], v[175:176]
	v_fma_f64 v[177:178], -v[173:174], v[175:176], 1.0
	v_fma_f64 v[175:176], v[175:176], v[177:178], v[175:176]
	v_mul_f64 v[177:178], v[179:180], v[175:176]
	v_fma_f64 v[173:174], -v[173:174], v[177:178], v[179:180]
	v_div_fmas_f64 v[173:174], v[173:174], v[175:176], v[177:178]
	v_div_fixup_f64 v[173:174], v[173:174], v[160:161], v[158:159]
	v_fma_f64 v[158:159], v[158:159], v[173:174], v[160:161]
	v_div_scale_f64 v[160:161], null, v[158:159], v[158:159], 1.0
	v_rcp_f64_e32 v[175:176], v[160:161]
	v_fma_f64 v[177:178], -v[160:161], v[175:176], 1.0
	v_fma_f64 v[175:176], v[175:176], v[177:178], v[175:176]
	v_fma_f64 v[177:178], -v[160:161], v[175:176], 1.0
	v_fma_f64 v[175:176], v[175:176], v[177:178], v[175:176]
	v_div_scale_f64 v[177:178], vcc_lo, 1.0, v[158:159], 1.0
	v_mul_f64 v[179:180], v[177:178], v[175:176]
	v_fma_f64 v[160:161], -v[160:161], v[179:180], v[177:178]
	v_div_fmas_f64 v[160:161], v[160:161], v[175:176], v[179:180]
	v_div_fixup_f64 v[160:161], v[160:161], v[158:159], 1.0
	v_mul_f64 v[158:159], v[173:174], v[160:161]
	v_xor_b32_e32 v161, 0x80000000, v161
.LBB76_490:
	s_andn2_saveexec_b32 s3, s3
	s_cbranch_execz .LBB76_492
; %bb.491:
	v_div_scale_f64 v[173:174], null, v[158:159], v[158:159], v[160:161]
	v_div_scale_f64 v[179:180], vcc_lo, v[160:161], v[158:159], v[160:161]
	v_rcp_f64_e32 v[175:176], v[173:174]
	v_fma_f64 v[177:178], -v[173:174], v[175:176], 1.0
	v_fma_f64 v[175:176], v[175:176], v[177:178], v[175:176]
	v_fma_f64 v[177:178], -v[173:174], v[175:176], 1.0
	v_fma_f64 v[175:176], v[175:176], v[177:178], v[175:176]
	v_mul_f64 v[177:178], v[179:180], v[175:176]
	v_fma_f64 v[173:174], -v[173:174], v[177:178], v[179:180]
	v_div_fmas_f64 v[173:174], v[173:174], v[175:176], v[177:178]
	v_div_fixup_f64 v[173:174], v[173:174], v[158:159], v[160:161]
	v_fma_f64 v[158:159], v[160:161], v[173:174], v[158:159]
	v_div_scale_f64 v[160:161], null, v[158:159], v[158:159], 1.0
	v_rcp_f64_e32 v[175:176], v[160:161]
	v_fma_f64 v[177:178], -v[160:161], v[175:176], 1.0
	v_fma_f64 v[175:176], v[175:176], v[177:178], v[175:176]
	v_fma_f64 v[177:178], -v[160:161], v[175:176], 1.0
	v_fma_f64 v[175:176], v[175:176], v[177:178], v[175:176]
	v_div_scale_f64 v[177:178], vcc_lo, 1.0, v[158:159], 1.0
	v_mul_f64 v[179:180], v[177:178], v[175:176]
	v_fma_f64 v[160:161], -v[160:161], v[179:180], v[177:178]
	v_div_fmas_f64 v[160:161], v[160:161], v[175:176], v[179:180]
	v_div_fixup_f64 v[158:159], v[160:161], v[158:159], 1.0
	v_mul_f64 v[160:161], v[173:174], -v[158:159]
.LBB76_492:
	s_or_b32 exec_lo, exec_lo, s3
.LBB76_493:
	s_or_b32 exec_lo, exec_lo, s0
	s_mov_b32 s0, exec_lo
	v_cmpx_ne_u32_e64 v172, v166
	s_xor_b32 s0, exec_lo, s0
	s_cbranch_execz .LBB76_499
; %bb.494:
	s_mov_b32 s3, exec_lo
	v_cmpx_eq_u32_e32 23, v172
	s_cbranch_execz .LBB76_498
; %bb.495:
	v_cmp_ne_u32_e32 vcc_lo, 23, v166
	s_xor_b32 s8, s16, -1
	s_and_b32 s9, s8, vcc_lo
	s_and_saveexec_b32 s8, s9
	s_cbranch_execz .LBB76_497
; %bb.496:
	v_ashrrev_i32_e32 v167, 31, v166
	v_lshlrev_b64 v[172:173], 2, v[166:167]
	v_add_co_u32 v172, vcc_lo, v164, v172
	v_add_co_ci_u32_e64 v173, null, v165, v173, vcc_lo
	s_clause 0x1
	global_load_dword v0, v[172:173], off
	global_load_dword v167, v[164:165], off offset:92
	s_waitcnt vmcnt(1)
	global_store_dword v[164:165], v0, off offset:92
	s_waitcnt vmcnt(0)
	global_store_dword v[172:173], v167, off
.LBB76_497:
	s_or_b32 exec_lo, exec_lo, s8
	v_mov_b32_e32 v172, v166
	v_mov_b32_e32 v0, v166
.LBB76_498:
	s_or_b32 exec_lo, exec_lo, s3
.LBB76_499:
	s_andn2_saveexec_b32 s0, s0
	s_cbranch_execz .LBB76_501
; %bb.500:
	v_mov_b32_e32 v172, 23
	ds_write2_b64 v1, v[54:55], v[56:57] offset0:48 offset1:49
	ds_write2_b64 v1, v[50:51], v[52:53] offset0:50 offset1:51
	;; [unrolled: 1-line block ×15, first 2 shown]
.LBB76_501:
	s_or_b32 exec_lo, exec_lo, s0
	s_mov_b32 s0, exec_lo
	s_waitcnt lgkmcnt(0)
	s_waitcnt_vscnt null, 0x0
	s_barrier
	buffer_gl0_inv
	v_cmpx_lt_i32_e32 23, v172
	s_cbranch_execz .LBB76_503
; %bb.502:
	v_mul_f64 v[166:167], v[158:159], v[64:65]
	v_mul_f64 v[64:65], v[160:161], v[64:65]
	v_fma_f64 v[166:167], v[160:161], v[62:63], v[166:167]
	v_fma_f64 v[62:63], v[158:159], v[62:63], -v[64:65]
	ds_read2_b64 v[158:161], v1 offset0:48 offset1:49
	s_waitcnt lgkmcnt(0)
	v_mul_f64 v[64:65], v[160:161], v[166:167]
	v_fma_f64 v[64:65], v[158:159], v[62:63], -v[64:65]
	v_mul_f64 v[158:159], v[158:159], v[166:167]
	v_add_f64 v[54:55], v[54:55], -v[64:65]
	v_fma_f64 v[158:159], v[160:161], v[62:63], v[158:159]
	v_add_f64 v[56:57], v[56:57], -v[158:159]
	ds_read2_b64 v[158:161], v1 offset0:50 offset1:51
	s_waitcnt lgkmcnt(0)
	v_mul_f64 v[64:65], v[160:161], v[166:167]
	v_fma_f64 v[64:65], v[158:159], v[62:63], -v[64:65]
	v_mul_f64 v[158:159], v[158:159], v[166:167]
	v_add_f64 v[50:51], v[50:51], -v[64:65]
	v_fma_f64 v[158:159], v[160:161], v[62:63], v[158:159]
	v_add_f64 v[52:53], v[52:53], -v[158:159]
	;; [unrolled: 8-line block ×14, first 2 shown]
	ds_read2_b64 v[158:161], v1 offset0:76 offset1:77
	s_waitcnt lgkmcnt(0)
	v_mul_f64 v[64:65], v[160:161], v[166:167]
	v_fma_f64 v[64:65], v[158:159], v[62:63], -v[64:65]
	v_mul_f64 v[158:159], v[158:159], v[166:167]
	v_add_f64 v[2:3], v[2:3], -v[64:65]
	v_fma_f64 v[158:159], v[160:161], v[62:63], v[158:159]
	v_mov_b32_e32 v64, v166
	v_mov_b32_e32 v65, v167
	v_add_f64 v[4:5], v[4:5], -v[158:159]
.LBB76_503:
	s_or_b32 exec_lo, exec_lo, s0
	v_lshl_add_u32 v158, v172, 4, v1
	s_barrier
	buffer_gl0_inv
	v_mov_b32_e32 v166, 24
	ds_write2_b64 v158, v[54:55], v[56:57] offset1:1
	s_waitcnt lgkmcnt(0)
	s_barrier
	buffer_gl0_inv
	ds_read2_b64 v[158:161], v1 offset0:48 offset1:49
	s_cmp_lt_i32 s1, 26
	s_cbranch_scc1 .LBB76_506
; %bb.504:
	v_add3_u32 v167, v168, 0, 0x190
	v_mov_b32_e32 v166, 24
	s_mov_b32 s3, 25
	s_inst_prefetch 0x1
	.p2align	6
.LBB76_505:                             ; =>This Inner Loop Header: Depth=1
	s_waitcnt lgkmcnt(0)
	v_cmp_gt_f64_e32 vcc_lo, 0, v[160:161]
	v_cmp_gt_f64_e64 s0, 0, v[158:159]
	ds_read2_b64 v[173:176], v167 offset1:1
	v_xor_b32_e32 v178, 0x80000000, v159
	v_xor_b32_e32 v180, 0x80000000, v161
	v_mov_b32_e32 v177, v158
	v_mov_b32_e32 v179, v160
	v_add_nc_u32_e32 v167, 16, v167
	s_waitcnt lgkmcnt(0)
	v_xor_b32_e32 v182, 0x80000000, v176
	v_cndmask_b32_e64 v178, v159, v178, s0
	v_cndmask_b32_e32 v180, v161, v180, vcc_lo
	v_cmp_gt_f64_e32 vcc_lo, 0, v[175:176]
	v_cmp_gt_f64_e64 s0, 0, v[173:174]
	v_mov_b32_e32 v181, v175
	v_add_f64 v[177:178], v[177:178], v[179:180]
	v_xor_b32_e32 v180, 0x80000000, v174
	v_mov_b32_e32 v179, v173
	v_cndmask_b32_e32 v182, v176, v182, vcc_lo
	v_cndmask_b32_e64 v180, v174, v180, s0
	v_add_f64 v[179:180], v[179:180], v[181:182]
	v_cmp_lt_f64_e32 vcc_lo, v[177:178], v[179:180]
	v_cndmask_b32_e32 v159, v159, v174, vcc_lo
	v_cndmask_b32_e32 v158, v158, v173, vcc_lo
	;; [unrolled: 1-line block ×4, first 2 shown]
	v_cndmask_b32_e64 v166, v166, s3, vcc_lo
	s_add_i32 s3, s3, 1
	s_cmp_lg_u32 s1, s3
	s_cbranch_scc1 .LBB76_505
.LBB76_506:
	s_inst_prefetch 0x2
	s_waitcnt lgkmcnt(0)
	v_cmp_eq_f64_e32 vcc_lo, 0, v[158:159]
	v_cmp_eq_f64_e64 s0, 0, v[160:161]
	s_and_b32 s0, vcc_lo, s0
	s_and_saveexec_b32 s3, s0
	s_xor_b32 s0, exec_lo, s3
; %bb.507:
	v_cmp_ne_u32_e32 vcc_lo, 0, v171
	v_cndmask_b32_e32 v171, 25, v171, vcc_lo
; %bb.508:
	s_andn2_saveexec_b32 s0, s0
	s_cbranch_execz .LBB76_514
; %bb.509:
	v_cmp_ngt_f64_e64 s3, |v[158:159]|, |v[160:161]|
	s_and_saveexec_b32 s8, s3
	s_xor_b32 s3, exec_lo, s8
	s_cbranch_execz .LBB76_511
; %bb.510:
	v_div_scale_f64 v[173:174], null, v[160:161], v[160:161], v[158:159]
	v_div_scale_f64 v[179:180], vcc_lo, v[158:159], v[160:161], v[158:159]
	v_rcp_f64_e32 v[175:176], v[173:174]
	v_fma_f64 v[177:178], -v[173:174], v[175:176], 1.0
	v_fma_f64 v[175:176], v[175:176], v[177:178], v[175:176]
	v_fma_f64 v[177:178], -v[173:174], v[175:176], 1.0
	v_fma_f64 v[175:176], v[175:176], v[177:178], v[175:176]
	v_mul_f64 v[177:178], v[179:180], v[175:176]
	v_fma_f64 v[173:174], -v[173:174], v[177:178], v[179:180]
	v_div_fmas_f64 v[173:174], v[173:174], v[175:176], v[177:178]
	v_div_fixup_f64 v[173:174], v[173:174], v[160:161], v[158:159]
	v_fma_f64 v[158:159], v[158:159], v[173:174], v[160:161]
	v_div_scale_f64 v[160:161], null, v[158:159], v[158:159], 1.0
	v_rcp_f64_e32 v[175:176], v[160:161]
	v_fma_f64 v[177:178], -v[160:161], v[175:176], 1.0
	v_fma_f64 v[175:176], v[175:176], v[177:178], v[175:176]
	v_fma_f64 v[177:178], -v[160:161], v[175:176], 1.0
	v_fma_f64 v[175:176], v[175:176], v[177:178], v[175:176]
	v_div_scale_f64 v[177:178], vcc_lo, 1.0, v[158:159], 1.0
	v_mul_f64 v[179:180], v[177:178], v[175:176]
	v_fma_f64 v[160:161], -v[160:161], v[179:180], v[177:178]
	v_div_fmas_f64 v[160:161], v[160:161], v[175:176], v[179:180]
	v_div_fixup_f64 v[160:161], v[160:161], v[158:159], 1.0
	v_mul_f64 v[158:159], v[173:174], v[160:161]
	v_xor_b32_e32 v161, 0x80000000, v161
.LBB76_511:
	s_andn2_saveexec_b32 s3, s3
	s_cbranch_execz .LBB76_513
; %bb.512:
	v_div_scale_f64 v[173:174], null, v[158:159], v[158:159], v[160:161]
	v_div_scale_f64 v[179:180], vcc_lo, v[160:161], v[158:159], v[160:161]
	v_rcp_f64_e32 v[175:176], v[173:174]
	v_fma_f64 v[177:178], -v[173:174], v[175:176], 1.0
	v_fma_f64 v[175:176], v[175:176], v[177:178], v[175:176]
	v_fma_f64 v[177:178], -v[173:174], v[175:176], 1.0
	v_fma_f64 v[175:176], v[175:176], v[177:178], v[175:176]
	v_mul_f64 v[177:178], v[179:180], v[175:176]
	v_fma_f64 v[173:174], -v[173:174], v[177:178], v[179:180]
	v_div_fmas_f64 v[173:174], v[173:174], v[175:176], v[177:178]
	v_div_fixup_f64 v[173:174], v[173:174], v[158:159], v[160:161]
	v_fma_f64 v[158:159], v[160:161], v[173:174], v[158:159]
	v_div_scale_f64 v[160:161], null, v[158:159], v[158:159], 1.0
	v_rcp_f64_e32 v[175:176], v[160:161]
	v_fma_f64 v[177:178], -v[160:161], v[175:176], 1.0
	v_fma_f64 v[175:176], v[175:176], v[177:178], v[175:176]
	v_fma_f64 v[177:178], -v[160:161], v[175:176], 1.0
	v_fma_f64 v[175:176], v[175:176], v[177:178], v[175:176]
	v_div_scale_f64 v[177:178], vcc_lo, 1.0, v[158:159], 1.0
	v_mul_f64 v[179:180], v[177:178], v[175:176]
	v_fma_f64 v[160:161], -v[160:161], v[179:180], v[177:178]
	v_div_fmas_f64 v[160:161], v[160:161], v[175:176], v[179:180]
	v_div_fixup_f64 v[158:159], v[160:161], v[158:159], 1.0
	v_mul_f64 v[160:161], v[173:174], -v[158:159]
.LBB76_513:
	s_or_b32 exec_lo, exec_lo, s3
.LBB76_514:
	s_or_b32 exec_lo, exec_lo, s0
	s_mov_b32 s0, exec_lo
	v_cmpx_ne_u32_e64 v172, v166
	s_xor_b32 s0, exec_lo, s0
	s_cbranch_execz .LBB76_520
; %bb.515:
	s_mov_b32 s3, exec_lo
	v_cmpx_eq_u32_e32 24, v172
	s_cbranch_execz .LBB76_519
; %bb.516:
	v_cmp_ne_u32_e32 vcc_lo, 24, v166
	s_xor_b32 s8, s16, -1
	s_and_b32 s9, s8, vcc_lo
	s_and_saveexec_b32 s8, s9
	s_cbranch_execz .LBB76_518
; %bb.517:
	v_ashrrev_i32_e32 v167, 31, v166
	v_lshlrev_b64 v[172:173], 2, v[166:167]
	v_add_co_u32 v172, vcc_lo, v164, v172
	v_add_co_ci_u32_e64 v173, null, v165, v173, vcc_lo
	s_clause 0x1
	global_load_dword v0, v[172:173], off
	global_load_dword v167, v[164:165], off offset:96
	s_waitcnt vmcnt(1)
	global_store_dword v[164:165], v0, off offset:96
	s_waitcnt vmcnt(0)
	global_store_dword v[172:173], v167, off
.LBB76_518:
	s_or_b32 exec_lo, exec_lo, s8
	v_mov_b32_e32 v172, v166
	v_mov_b32_e32 v0, v166
.LBB76_519:
	s_or_b32 exec_lo, exec_lo, s3
.LBB76_520:
	s_andn2_saveexec_b32 s0, s0
	s_cbranch_execz .LBB76_522
; %bb.521:
	v_mov_b32_e32 v172, 24
	ds_write2_b64 v1, v[50:51], v[52:53] offset0:50 offset1:51
	ds_write2_b64 v1, v[58:59], v[60:61] offset0:52 offset1:53
	;; [unrolled: 1-line block ×14, first 2 shown]
.LBB76_522:
	s_or_b32 exec_lo, exec_lo, s0
	s_mov_b32 s0, exec_lo
	s_waitcnt lgkmcnt(0)
	s_waitcnt_vscnt null, 0x0
	s_barrier
	buffer_gl0_inv
	v_cmpx_lt_i32_e32 24, v172
	s_cbranch_execz .LBB76_524
; %bb.523:
	v_mul_f64 v[166:167], v[158:159], v[56:57]
	v_mul_f64 v[56:57], v[160:161], v[56:57]
	v_fma_f64 v[166:167], v[160:161], v[54:55], v[166:167]
	v_fma_f64 v[54:55], v[158:159], v[54:55], -v[56:57]
	ds_read2_b64 v[158:161], v1 offset0:50 offset1:51
	s_waitcnt lgkmcnt(0)
	v_mul_f64 v[56:57], v[160:161], v[166:167]
	v_fma_f64 v[56:57], v[158:159], v[54:55], -v[56:57]
	v_mul_f64 v[158:159], v[158:159], v[166:167]
	v_add_f64 v[50:51], v[50:51], -v[56:57]
	v_fma_f64 v[158:159], v[160:161], v[54:55], v[158:159]
	v_add_f64 v[52:53], v[52:53], -v[158:159]
	ds_read2_b64 v[158:161], v1 offset0:52 offset1:53
	s_waitcnt lgkmcnt(0)
	v_mul_f64 v[56:57], v[160:161], v[166:167]
	v_fma_f64 v[56:57], v[158:159], v[54:55], -v[56:57]
	v_mul_f64 v[158:159], v[158:159], v[166:167]
	v_add_f64 v[58:59], v[58:59], -v[56:57]
	v_fma_f64 v[158:159], v[160:161], v[54:55], v[158:159]
	v_add_f64 v[60:61], v[60:61], -v[158:159]
	;; [unrolled: 8-line block ×13, first 2 shown]
	ds_read2_b64 v[158:161], v1 offset0:76 offset1:77
	s_waitcnt lgkmcnt(0)
	v_mul_f64 v[56:57], v[160:161], v[166:167]
	v_fma_f64 v[56:57], v[158:159], v[54:55], -v[56:57]
	v_mul_f64 v[158:159], v[158:159], v[166:167]
	v_add_f64 v[2:3], v[2:3], -v[56:57]
	v_fma_f64 v[158:159], v[160:161], v[54:55], v[158:159]
	v_mov_b32_e32 v56, v166
	v_mov_b32_e32 v57, v167
	v_add_f64 v[4:5], v[4:5], -v[158:159]
.LBB76_524:
	s_or_b32 exec_lo, exec_lo, s0
	v_lshl_add_u32 v158, v172, 4, v1
	s_barrier
	buffer_gl0_inv
	v_mov_b32_e32 v166, 25
	ds_write2_b64 v158, v[50:51], v[52:53] offset1:1
	s_waitcnt lgkmcnt(0)
	s_barrier
	buffer_gl0_inv
	ds_read2_b64 v[158:161], v1 offset0:50 offset1:51
	s_cmp_lt_i32 s1, 27
	s_cbranch_scc1 .LBB76_527
; %bb.525:
	v_add3_u32 v167, v168, 0, 0x1a0
	v_mov_b32_e32 v166, 25
	s_mov_b32 s3, 26
	s_inst_prefetch 0x1
	.p2align	6
.LBB76_526:                             ; =>This Inner Loop Header: Depth=1
	s_waitcnt lgkmcnt(0)
	v_cmp_gt_f64_e32 vcc_lo, 0, v[160:161]
	v_cmp_gt_f64_e64 s0, 0, v[158:159]
	ds_read2_b64 v[173:176], v167 offset1:1
	v_xor_b32_e32 v178, 0x80000000, v159
	v_xor_b32_e32 v180, 0x80000000, v161
	v_mov_b32_e32 v177, v158
	v_mov_b32_e32 v179, v160
	v_add_nc_u32_e32 v167, 16, v167
	s_waitcnt lgkmcnt(0)
	v_xor_b32_e32 v182, 0x80000000, v176
	v_cndmask_b32_e64 v178, v159, v178, s0
	v_cndmask_b32_e32 v180, v161, v180, vcc_lo
	v_cmp_gt_f64_e32 vcc_lo, 0, v[175:176]
	v_cmp_gt_f64_e64 s0, 0, v[173:174]
	v_mov_b32_e32 v181, v175
	v_add_f64 v[177:178], v[177:178], v[179:180]
	v_xor_b32_e32 v180, 0x80000000, v174
	v_mov_b32_e32 v179, v173
	v_cndmask_b32_e32 v182, v176, v182, vcc_lo
	v_cndmask_b32_e64 v180, v174, v180, s0
	v_add_f64 v[179:180], v[179:180], v[181:182]
	v_cmp_lt_f64_e32 vcc_lo, v[177:178], v[179:180]
	v_cndmask_b32_e32 v159, v159, v174, vcc_lo
	v_cndmask_b32_e32 v158, v158, v173, vcc_lo
	;; [unrolled: 1-line block ×4, first 2 shown]
	v_cndmask_b32_e64 v166, v166, s3, vcc_lo
	s_add_i32 s3, s3, 1
	s_cmp_lg_u32 s1, s3
	s_cbranch_scc1 .LBB76_526
.LBB76_527:
	s_inst_prefetch 0x2
	s_waitcnt lgkmcnt(0)
	v_cmp_eq_f64_e32 vcc_lo, 0, v[158:159]
	v_cmp_eq_f64_e64 s0, 0, v[160:161]
	s_and_b32 s0, vcc_lo, s0
	s_and_saveexec_b32 s3, s0
	s_xor_b32 s0, exec_lo, s3
; %bb.528:
	v_cmp_ne_u32_e32 vcc_lo, 0, v171
	v_cndmask_b32_e32 v171, 26, v171, vcc_lo
; %bb.529:
	s_andn2_saveexec_b32 s0, s0
	s_cbranch_execz .LBB76_535
; %bb.530:
	v_cmp_ngt_f64_e64 s3, |v[158:159]|, |v[160:161]|
	s_and_saveexec_b32 s8, s3
	s_xor_b32 s3, exec_lo, s8
	s_cbranch_execz .LBB76_532
; %bb.531:
	v_div_scale_f64 v[173:174], null, v[160:161], v[160:161], v[158:159]
	v_div_scale_f64 v[179:180], vcc_lo, v[158:159], v[160:161], v[158:159]
	v_rcp_f64_e32 v[175:176], v[173:174]
	v_fma_f64 v[177:178], -v[173:174], v[175:176], 1.0
	v_fma_f64 v[175:176], v[175:176], v[177:178], v[175:176]
	v_fma_f64 v[177:178], -v[173:174], v[175:176], 1.0
	v_fma_f64 v[175:176], v[175:176], v[177:178], v[175:176]
	v_mul_f64 v[177:178], v[179:180], v[175:176]
	v_fma_f64 v[173:174], -v[173:174], v[177:178], v[179:180]
	v_div_fmas_f64 v[173:174], v[173:174], v[175:176], v[177:178]
	v_div_fixup_f64 v[173:174], v[173:174], v[160:161], v[158:159]
	v_fma_f64 v[158:159], v[158:159], v[173:174], v[160:161]
	v_div_scale_f64 v[160:161], null, v[158:159], v[158:159], 1.0
	v_rcp_f64_e32 v[175:176], v[160:161]
	v_fma_f64 v[177:178], -v[160:161], v[175:176], 1.0
	v_fma_f64 v[175:176], v[175:176], v[177:178], v[175:176]
	v_fma_f64 v[177:178], -v[160:161], v[175:176], 1.0
	v_fma_f64 v[175:176], v[175:176], v[177:178], v[175:176]
	v_div_scale_f64 v[177:178], vcc_lo, 1.0, v[158:159], 1.0
	v_mul_f64 v[179:180], v[177:178], v[175:176]
	v_fma_f64 v[160:161], -v[160:161], v[179:180], v[177:178]
	v_div_fmas_f64 v[160:161], v[160:161], v[175:176], v[179:180]
	v_div_fixup_f64 v[160:161], v[160:161], v[158:159], 1.0
	v_mul_f64 v[158:159], v[173:174], v[160:161]
	v_xor_b32_e32 v161, 0x80000000, v161
.LBB76_532:
	s_andn2_saveexec_b32 s3, s3
	s_cbranch_execz .LBB76_534
; %bb.533:
	v_div_scale_f64 v[173:174], null, v[158:159], v[158:159], v[160:161]
	v_div_scale_f64 v[179:180], vcc_lo, v[160:161], v[158:159], v[160:161]
	v_rcp_f64_e32 v[175:176], v[173:174]
	v_fma_f64 v[177:178], -v[173:174], v[175:176], 1.0
	v_fma_f64 v[175:176], v[175:176], v[177:178], v[175:176]
	v_fma_f64 v[177:178], -v[173:174], v[175:176], 1.0
	v_fma_f64 v[175:176], v[175:176], v[177:178], v[175:176]
	v_mul_f64 v[177:178], v[179:180], v[175:176]
	v_fma_f64 v[173:174], -v[173:174], v[177:178], v[179:180]
	v_div_fmas_f64 v[173:174], v[173:174], v[175:176], v[177:178]
	v_div_fixup_f64 v[173:174], v[173:174], v[158:159], v[160:161]
	v_fma_f64 v[158:159], v[160:161], v[173:174], v[158:159]
	v_div_scale_f64 v[160:161], null, v[158:159], v[158:159], 1.0
	v_rcp_f64_e32 v[175:176], v[160:161]
	v_fma_f64 v[177:178], -v[160:161], v[175:176], 1.0
	v_fma_f64 v[175:176], v[175:176], v[177:178], v[175:176]
	v_fma_f64 v[177:178], -v[160:161], v[175:176], 1.0
	v_fma_f64 v[175:176], v[175:176], v[177:178], v[175:176]
	v_div_scale_f64 v[177:178], vcc_lo, 1.0, v[158:159], 1.0
	v_mul_f64 v[179:180], v[177:178], v[175:176]
	v_fma_f64 v[160:161], -v[160:161], v[179:180], v[177:178]
	v_div_fmas_f64 v[160:161], v[160:161], v[175:176], v[179:180]
	v_div_fixup_f64 v[158:159], v[160:161], v[158:159], 1.0
	v_mul_f64 v[160:161], v[173:174], -v[158:159]
.LBB76_534:
	s_or_b32 exec_lo, exec_lo, s3
.LBB76_535:
	s_or_b32 exec_lo, exec_lo, s0
	s_mov_b32 s0, exec_lo
	v_cmpx_ne_u32_e64 v172, v166
	s_xor_b32 s0, exec_lo, s0
	s_cbranch_execz .LBB76_541
; %bb.536:
	s_mov_b32 s3, exec_lo
	v_cmpx_eq_u32_e32 25, v172
	s_cbranch_execz .LBB76_540
; %bb.537:
	v_cmp_ne_u32_e32 vcc_lo, 25, v166
	s_xor_b32 s8, s16, -1
	s_and_b32 s9, s8, vcc_lo
	s_and_saveexec_b32 s8, s9
	s_cbranch_execz .LBB76_539
; %bb.538:
	v_ashrrev_i32_e32 v167, 31, v166
	v_lshlrev_b64 v[172:173], 2, v[166:167]
	v_add_co_u32 v172, vcc_lo, v164, v172
	v_add_co_ci_u32_e64 v173, null, v165, v173, vcc_lo
	s_clause 0x1
	global_load_dword v0, v[172:173], off
	global_load_dword v167, v[164:165], off offset:100
	s_waitcnt vmcnt(1)
	global_store_dword v[164:165], v0, off offset:100
	s_waitcnt vmcnt(0)
	global_store_dword v[172:173], v167, off
.LBB76_539:
	s_or_b32 exec_lo, exec_lo, s8
	v_mov_b32_e32 v172, v166
	v_mov_b32_e32 v0, v166
.LBB76_540:
	s_or_b32 exec_lo, exec_lo, s3
.LBB76_541:
	s_andn2_saveexec_b32 s0, s0
	s_cbranch_execz .LBB76_543
; %bb.542:
	v_mov_b32_e32 v172, 25
	ds_write2_b64 v1, v[58:59], v[60:61] offset0:52 offset1:53
	ds_write2_b64 v1, v[34:35], v[36:37] offset0:54 offset1:55
	ds_write2_b64 v1, v[46:47], v[48:49] offset0:56 offset1:57
	ds_write2_b64 v1, v[30:31], v[32:33] offset0:58 offset1:59
	ds_write2_b64 v1, v[38:39], v[40:41] offset0:60 offset1:61
	ds_write2_b64 v1, v[42:43], v[44:45] offset0:62 offset1:63
	ds_write2_b64 v1, v[26:27], v[28:29] offset0:64 offset1:65
	ds_write2_b64 v1, v[22:23], v[24:25] offset0:66 offset1:67
	ds_write2_b64 v1, v[18:19], v[20:21] offset0:68 offset1:69
	ds_write2_b64 v1, v[14:15], v[16:17] offset0:70 offset1:71
	ds_write2_b64 v1, v[10:11], v[12:13] offset0:72 offset1:73
	ds_write2_b64 v1, v[6:7], v[8:9] offset0:74 offset1:75
	ds_write2_b64 v1, v[2:3], v[4:5] offset0:76 offset1:77
.LBB76_543:
	s_or_b32 exec_lo, exec_lo, s0
	s_mov_b32 s0, exec_lo
	s_waitcnt lgkmcnt(0)
	s_waitcnt_vscnt null, 0x0
	s_barrier
	buffer_gl0_inv
	v_cmpx_lt_i32_e32 25, v172
	s_cbranch_execz .LBB76_545
; %bb.544:
	v_mul_f64 v[166:167], v[158:159], v[52:53]
	v_mul_f64 v[52:53], v[160:161], v[52:53]
	v_fma_f64 v[166:167], v[160:161], v[50:51], v[166:167]
	v_fma_f64 v[50:51], v[158:159], v[50:51], -v[52:53]
	ds_read2_b64 v[158:161], v1 offset0:52 offset1:53
	s_waitcnt lgkmcnt(0)
	v_mul_f64 v[52:53], v[160:161], v[166:167]
	v_fma_f64 v[52:53], v[158:159], v[50:51], -v[52:53]
	v_mul_f64 v[158:159], v[158:159], v[166:167]
	v_add_f64 v[58:59], v[58:59], -v[52:53]
	v_fma_f64 v[158:159], v[160:161], v[50:51], v[158:159]
	v_add_f64 v[60:61], v[60:61], -v[158:159]
	ds_read2_b64 v[158:161], v1 offset0:54 offset1:55
	s_waitcnt lgkmcnt(0)
	v_mul_f64 v[52:53], v[160:161], v[166:167]
	v_fma_f64 v[52:53], v[158:159], v[50:51], -v[52:53]
	v_mul_f64 v[158:159], v[158:159], v[166:167]
	v_add_f64 v[34:35], v[34:35], -v[52:53]
	v_fma_f64 v[158:159], v[160:161], v[50:51], v[158:159]
	v_add_f64 v[36:37], v[36:37], -v[158:159]
	;; [unrolled: 8-line block ×12, first 2 shown]
	ds_read2_b64 v[158:161], v1 offset0:76 offset1:77
	s_waitcnt lgkmcnt(0)
	v_mul_f64 v[52:53], v[160:161], v[166:167]
	v_fma_f64 v[52:53], v[158:159], v[50:51], -v[52:53]
	v_mul_f64 v[158:159], v[158:159], v[166:167]
	v_add_f64 v[2:3], v[2:3], -v[52:53]
	v_fma_f64 v[158:159], v[160:161], v[50:51], v[158:159]
	v_mov_b32_e32 v52, v166
	v_mov_b32_e32 v53, v167
	v_add_f64 v[4:5], v[4:5], -v[158:159]
.LBB76_545:
	s_or_b32 exec_lo, exec_lo, s0
	v_lshl_add_u32 v158, v172, 4, v1
	s_barrier
	buffer_gl0_inv
	v_mov_b32_e32 v166, 26
	ds_write2_b64 v158, v[58:59], v[60:61] offset1:1
	s_waitcnt lgkmcnt(0)
	s_barrier
	buffer_gl0_inv
	ds_read2_b64 v[158:161], v1 offset0:52 offset1:53
	s_cmp_lt_i32 s1, 28
	s_cbranch_scc1 .LBB76_548
; %bb.546:
	v_add3_u32 v167, v168, 0, 0x1b0
	v_mov_b32_e32 v166, 26
	s_mov_b32 s3, 27
	s_inst_prefetch 0x1
	.p2align	6
.LBB76_547:                             ; =>This Inner Loop Header: Depth=1
	s_waitcnt lgkmcnt(0)
	v_cmp_gt_f64_e32 vcc_lo, 0, v[160:161]
	v_cmp_gt_f64_e64 s0, 0, v[158:159]
	ds_read2_b64 v[173:176], v167 offset1:1
	v_xor_b32_e32 v178, 0x80000000, v159
	v_xor_b32_e32 v180, 0x80000000, v161
	v_mov_b32_e32 v177, v158
	v_mov_b32_e32 v179, v160
	v_add_nc_u32_e32 v167, 16, v167
	s_waitcnt lgkmcnt(0)
	v_xor_b32_e32 v182, 0x80000000, v176
	v_cndmask_b32_e64 v178, v159, v178, s0
	v_cndmask_b32_e32 v180, v161, v180, vcc_lo
	v_cmp_gt_f64_e32 vcc_lo, 0, v[175:176]
	v_cmp_gt_f64_e64 s0, 0, v[173:174]
	v_mov_b32_e32 v181, v175
	v_add_f64 v[177:178], v[177:178], v[179:180]
	v_xor_b32_e32 v180, 0x80000000, v174
	v_mov_b32_e32 v179, v173
	v_cndmask_b32_e32 v182, v176, v182, vcc_lo
	v_cndmask_b32_e64 v180, v174, v180, s0
	v_add_f64 v[179:180], v[179:180], v[181:182]
	v_cmp_lt_f64_e32 vcc_lo, v[177:178], v[179:180]
	v_cndmask_b32_e32 v159, v159, v174, vcc_lo
	v_cndmask_b32_e32 v158, v158, v173, vcc_lo
	;; [unrolled: 1-line block ×4, first 2 shown]
	v_cndmask_b32_e64 v166, v166, s3, vcc_lo
	s_add_i32 s3, s3, 1
	s_cmp_lg_u32 s1, s3
	s_cbranch_scc1 .LBB76_547
.LBB76_548:
	s_inst_prefetch 0x2
	s_waitcnt lgkmcnt(0)
	v_cmp_eq_f64_e32 vcc_lo, 0, v[158:159]
	v_cmp_eq_f64_e64 s0, 0, v[160:161]
	s_and_b32 s0, vcc_lo, s0
	s_and_saveexec_b32 s3, s0
	s_xor_b32 s0, exec_lo, s3
; %bb.549:
	v_cmp_ne_u32_e32 vcc_lo, 0, v171
	v_cndmask_b32_e32 v171, 27, v171, vcc_lo
; %bb.550:
	s_andn2_saveexec_b32 s0, s0
	s_cbranch_execz .LBB76_556
; %bb.551:
	v_cmp_ngt_f64_e64 s3, |v[158:159]|, |v[160:161]|
	s_and_saveexec_b32 s8, s3
	s_xor_b32 s3, exec_lo, s8
	s_cbranch_execz .LBB76_553
; %bb.552:
	v_div_scale_f64 v[173:174], null, v[160:161], v[160:161], v[158:159]
	v_div_scale_f64 v[179:180], vcc_lo, v[158:159], v[160:161], v[158:159]
	v_rcp_f64_e32 v[175:176], v[173:174]
	v_fma_f64 v[177:178], -v[173:174], v[175:176], 1.0
	v_fma_f64 v[175:176], v[175:176], v[177:178], v[175:176]
	v_fma_f64 v[177:178], -v[173:174], v[175:176], 1.0
	v_fma_f64 v[175:176], v[175:176], v[177:178], v[175:176]
	v_mul_f64 v[177:178], v[179:180], v[175:176]
	v_fma_f64 v[173:174], -v[173:174], v[177:178], v[179:180]
	v_div_fmas_f64 v[173:174], v[173:174], v[175:176], v[177:178]
	v_div_fixup_f64 v[173:174], v[173:174], v[160:161], v[158:159]
	v_fma_f64 v[158:159], v[158:159], v[173:174], v[160:161]
	v_div_scale_f64 v[160:161], null, v[158:159], v[158:159], 1.0
	v_rcp_f64_e32 v[175:176], v[160:161]
	v_fma_f64 v[177:178], -v[160:161], v[175:176], 1.0
	v_fma_f64 v[175:176], v[175:176], v[177:178], v[175:176]
	v_fma_f64 v[177:178], -v[160:161], v[175:176], 1.0
	v_fma_f64 v[175:176], v[175:176], v[177:178], v[175:176]
	v_div_scale_f64 v[177:178], vcc_lo, 1.0, v[158:159], 1.0
	v_mul_f64 v[179:180], v[177:178], v[175:176]
	v_fma_f64 v[160:161], -v[160:161], v[179:180], v[177:178]
	v_div_fmas_f64 v[160:161], v[160:161], v[175:176], v[179:180]
	v_div_fixup_f64 v[160:161], v[160:161], v[158:159], 1.0
	v_mul_f64 v[158:159], v[173:174], v[160:161]
	v_xor_b32_e32 v161, 0x80000000, v161
.LBB76_553:
	s_andn2_saveexec_b32 s3, s3
	s_cbranch_execz .LBB76_555
; %bb.554:
	v_div_scale_f64 v[173:174], null, v[158:159], v[158:159], v[160:161]
	v_div_scale_f64 v[179:180], vcc_lo, v[160:161], v[158:159], v[160:161]
	v_rcp_f64_e32 v[175:176], v[173:174]
	v_fma_f64 v[177:178], -v[173:174], v[175:176], 1.0
	v_fma_f64 v[175:176], v[175:176], v[177:178], v[175:176]
	v_fma_f64 v[177:178], -v[173:174], v[175:176], 1.0
	v_fma_f64 v[175:176], v[175:176], v[177:178], v[175:176]
	v_mul_f64 v[177:178], v[179:180], v[175:176]
	v_fma_f64 v[173:174], -v[173:174], v[177:178], v[179:180]
	v_div_fmas_f64 v[173:174], v[173:174], v[175:176], v[177:178]
	v_div_fixup_f64 v[173:174], v[173:174], v[158:159], v[160:161]
	v_fma_f64 v[158:159], v[160:161], v[173:174], v[158:159]
	v_div_scale_f64 v[160:161], null, v[158:159], v[158:159], 1.0
	v_rcp_f64_e32 v[175:176], v[160:161]
	v_fma_f64 v[177:178], -v[160:161], v[175:176], 1.0
	v_fma_f64 v[175:176], v[175:176], v[177:178], v[175:176]
	v_fma_f64 v[177:178], -v[160:161], v[175:176], 1.0
	v_fma_f64 v[175:176], v[175:176], v[177:178], v[175:176]
	v_div_scale_f64 v[177:178], vcc_lo, 1.0, v[158:159], 1.0
	v_mul_f64 v[179:180], v[177:178], v[175:176]
	v_fma_f64 v[160:161], -v[160:161], v[179:180], v[177:178]
	v_div_fmas_f64 v[160:161], v[160:161], v[175:176], v[179:180]
	v_div_fixup_f64 v[158:159], v[160:161], v[158:159], 1.0
	v_mul_f64 v[160:161], v[173:174], -v[158:159]
.LBB76_555:
	s_or_b32 exec_lo, exec_lo, s3
.LBB76_556:
	s_or_b32 exec_lo, exec_lo, s0
	s_mov_b32 s0, exec_lo
	v_cmpx_ne_u32_e64 v172, v166
	s_xor_b32 s0, exec_lo, s0
	s_cbranch_execz .LBB76_562
; %bb.557:
	s_mov_b32 s3, exec_lo
	v_cmpx_eq_u32_e32 26, v172
	s_cbranch_execz .LBB76_561
; %bb.558:
	v_cmp_ne_u32_e32 vcc_lo, 26, v166
	s_xor_b32 s8, s16, -1
	s_and_b32 s9, s8, vcc_lo
	s_and_saveexec_b32 s8, s9
	s_cbranch_execz .LBB76_560
; %bb.559:
	v_ashrrev_i32_e32 v167, 31, v166
	v_lshlrev_b64 v[172:173], 2, v[166:167]
	v_add_co_u32 v172, vcc_lo, v164, v172
	v_add_co_ci_u32_e64 v173, null, v165, v173, vcc_lo
	s_clause 0x1
	global_load_dword v0, v[172:173], off
	global_load_dword v167, v[164:165], off offset:104
	s_waitcnt vmcnt(1)
	global_store_dword v[164:165], v0, off offset:104
	s_waitcnt vmcnt(0)
	global_store_dword v[172:173], v167, off
.LBB76_560:
	s_or_b32 exec_lo, exec_lo, s8
	v_mov_b32_e32 v172, v166
	v_mov_b32_e32 v0, v166
.LBB76_561:
	s_or_b32 exec_lo, exec_lo, s3
.LBB76_562:
	s_andn2_saveexec_b32 s0, s0
	s_cbranch_execz .LBB76_564
; %bb.563:
	v_mov_b32_e32 v172, 26
	ds_write2_b64 v1, v[34:35], v[36:37] offset0:54 offset1:55
	ds_write2_b64 v1, v[46:47], v[48:49] offset0:56 offset1:57
	;; [unrolled: 1-line block ×12, first 2 shown]
.LBB76_564:
	s_or_b32 exec_lo, exec_lo, s0
	s_mov_b32 s0, exec_lo
	s_waitcnt lgkmcnt(0)
	s_waitcnt_vscnt null, 0x0
	s_barrier
	buffer_gl0_inv
	v_cmpx_lt_i32_e32 26, v172
	s_cbranch_execz .LBB76_566
; %bb.565:
	v_mul_f64 v[166:167], v[158:159], v[60:61]
	v_mul_f64 v[60:61], v[160:161], v[60:61]
	v_fma_f64 v[166:167], v[160:161], v[58:59], v[166:167]
	v_fma_f64 v[58:59], v[158:159], v[58:59], -v[60:61]
	ds_read2_b64 v[158:161], v1 offset0:54 offset1:55
	s_waitcnt lgkmcnt(0)
	v_mul_f64 v[60:61], v[160:161], v[166:167]
	v_fma_f64 v[60:61], v[158:159], v[58:59], -v[60:61]
	v_mul_f64 v[158:159], v[158:159], v[166:167]
	v_add_f64 v[34:35], v[34:35], -v[60:61]
	v_fma_f64 v[158:159], v[160:161], v[58:59], v[158:159]
	v_add_f64 v[36:37], v[36:37], -v[158:159]
	ds_read2_b64 v[158:161], v1 offset0:56 offset1:57
	s_waitcnt lgkmcnt(0)
	v_mul_f64 v[60:61], v[160:161], v[166:167]
	v_fma_f64 v[60:61], v[158:159], v[58:59], -v[60:61]
	v_mul_f64 v[158:159], v[158:159], v[166:167]
	v_add_f64 v[46:47], v[46:47], -v[60:61]
	v_fma_f64 v[158:159], v[160:161], v[58:59], v[158:159]
	v_add_f64 v[48:49], v[48:49], -v[158:159]
	;; [unrolled: 8-line block ×11, first 2 shown]
	ds_read2_b64 v[158:161], v1 offset0:76 offset1:77
	s_waitcnt lgkmcnt(0)
	v_mul_f64 v[60:61], v[160:161], v[166:167]
	v_fma_f64 v[60:61], v[158:159], v[58:59], -v[60:61]
	v_mul_f64 v[158:159], v[158:159], v[166:167]
	v_add_f64 v[2:3], v[2:3], -v[60:61]
	v_fma_f64 v[158:159], v[160:161], v[58:59], v[158:159]
	v_mov_b32_e32 v60, v166
	v_mov_b32_e32 v61, v167
	v_add_f64 v[4:5], v[4:5], -v[158:159]
.LBB76_566:
	s_or_b32 exec_lo, exec_lo, s0
	v_lshl_add_u32 v158, v172, 4, v1
	s_barrier
	buffer_gl0_inv
	v_mov_b32_e32 v166, 27
	ds_write2_b64 v158, v[34:35], v[36:37] offset1:1
	s_waitcnt lgkmcnt(0)
	s_barrier
	buffer_gl0_inv
	ds_read2_b64 v[158:161], v1 offset0:54 offset1:55
	s_cmp_lt_i32 s1, 29
	s_cbranch_scc1 .LBB76_569
; %bb.567:
	v_add3_u32 v167, v168, 0, 0x1c0
	v_mov_b32_e32 v166, 27
	s_mov_b32 s3, 28
	s_inst_prefetch 0x1
	.p2align	6
.LBB76_568:                             ; =>This Inner Loop Header: Depth=1
	s_waitcnt lgkmcnt(0)
	v_cmp_gt_f64_e32 vcc_lo, 0, v[160:161]
	v_cmp_gt_f64_e64 s0, 0, v[158:159]
	ds_read2_b64 v[173:176], v167 offset1:1
	v_xor_b32_e32 v178, 0x80000000, v159
	v_xor_b32_e32 v180, 0x80000000, v161
	v_mov_b32_e32 v177, v158
	v_mov_b32_e32 v179, v160
	v_add_nc_u32_e32 v167, 16, v167
	s_waitcnt lgkmcnt(0)
	v_xor_b32_e32 v182, 0x80000000, v176
	v_cndmask_b32_e64 v178, v159, v178, s0
	v_cndmask_b32_e32 v180, v161, v180, vcc_lo
	v_cmp_gt_f64_e32 vcc_lo, 0, v[175:176]
	v_cmp_gt_f64_e64 s0, 0, v[173:174]
	v_mov_b32_e32 v181, v175
	v_add_f64 v[177:178], v[177:178], v[179:180]
	v_xor_b32_e32 v180, 0x80000000, v174
	v_mov_b32_e32 v179, v173
	v_cndmask_b32_e32 v182, v176, v182, vcc_lo
	v_cndmask_b32_e64 v180, v174, v180, s0
	v_add_f64 v[179:180], v[179:180], v[181:182]
	v_cmp_lt_f64_e32 vcc_lo, v[177:178], v[179:180]
	v_cndmask_b32_e32 v159, v159, v174, vcc_lo
	v_cndmask_b32_e32 v158, v158, v173, vcc_lo
	;; [unrolled: 1-line block ×4, first 2 shown]
	v_cndmask_b32_e64 v166, v166, s3, vcc_lo
	s_add_i32 s3, s3, 1
	s_cmp_lg_u32 s1, s3
	s_cbranch_scc1 .LBB76_568
.LBB76_569:
	s_inst_prefetch 0x2
	s_waitcnt lgkmcnt(0)
	v_cmp_eq_f64_e32 vcc_lo, 0, v[158:159]
	v_cmp_eq_f64_e64 s0, 0, v[160:161]
	s_and_b32 s0, vcc_lo, s0
	s_and_saveexec_b32 s3, s0
	s_xor_b32 s0, exec_lo, s3
; %bb.570:
	v_cmp_ne_u32_e32 vcc_lo, 0, v171
	v_cndmask_b32_e32 v171, 28, v171, vcc_lo
; %bb.571:
	s_andn2_saveexec_b32 s0, s0
	s_cbranch_execz .LBB76_577
; %bb.572:
	v_cmp_ngt_f64_e64 s3, |v[158:159]|, |v[160:161]|
	s_and_saveexec_b32 s8, s3
	s_xor_b32 s3, exec_lo, s8
	s_cbranch_execz .LBB76_574
; %bb.573:
	v_div_scale_f64 v[173:174], null, v[160:161], v[160:161], v[158:159]
	v_div_scale_f64 v[179:180], vcc_lo, v[158:159], v[160:161], v[158:159]
	v_rcp_f64_e32 v[175:176], v[173:174]
	v_fma_f64 v[177:178], -v[173:174], v[175:176], 1.0
	v_fma_f64 v[175:176], v[175:176], v[177:178], v[175:176]
	v_fma_f64 v[177:178], -v[173:174], v[175:176], 1.0
	v_fma_f64 v[175:176], v[175:176], v[177:178], v[175:176]
	v_mul_f64 v[177:178], v[179:180], v[175:176]
	v_fma_f64 v[173:174], -v[173:174], v[177:178], v[179:180]
	v_div_fmas_f64 v[173:174], v[173:174], v[175:176], v[177:178]
	v_div_fixup_f64 v[173:174], v[173:174], v[160:161], v[158:159]
	v_fma_f64 v[158:159], v[158:159], v[173:174], v[160:161]
	v_div_scale_f64 v[160:161], null, v[158:159], v[158:159], 1.0
	v_rcp_f64_e32 v[175:176], v[160:161]
	v_fma_f64 v[177:178], -v[160:161], v[175:176], 1.0
	v_fma_f64 v[175:176], v[175:176], v[177:178], v[175:176]
	v_fma_f64 v[177:178], -v[160:161], v[175:176], 1.0
	v_fma_f64 v[175:176], v[175:176], v[177:178], v[175:176]
	v_div_scale_f64 v[177:178], vcc_lo, 1.0, v[158:159], 1.0
	v_mul_f64 v[179:180], v[177:178], v[175:176]
	v_fma_f64 v[160:161], -v[160:161], v[179:180], v[177:178]
	v_div_fmas_f64 v[160:161], v[160:161], v[175:176], v[179:180]
	v_div_fixup_f64 v[160:161], v[160:161], v[158:159], 1.0
	v_mul_f64 v[158:159], v[173:174], v[160:161]
	v_xor_b32_e32 v161, 0x80000000, v161
.LBB76_574:
	s_andn2_saveexec_b32 s3, s3
	s_cbranch_execz .LBB76_576
; %bb.575:
	v_div_scale_f64 v[173:174], null, v[158:159], v[158:159], v[160:161]
	v_div_scale_f64 v[179:180], vcc_lo, v[160:161], v[158:159], v[160:161]
	v_rcp_f64_e32 v[175:176], v[173:174]
	v_fma_f64 v[177:178], -v[173:174], v[175:176], 1.0
	v_fma_f64 v[175:176], v[175:176], v[177:178], v[175:176]
	v_fma_f64 v[177:178], -v[173:174], v[175:176], 1.0
	v_fma_f64 v[175:176], v[175:176], v[177:178], v[175:176]
	v_mul_f64 v[177:178], v[179:180], v[175:176]
	v_fma_f64 v[173:174], -v[173:174], v[177:178], v[179:180]
	v_div_fmas_f64 v[173:174], v[173:174], v[175:176], v[177:178]
	v_div_fixup_f64 v[173:174], v[173:174], v[158:159], v[160:161]
	v_fma_f64 v[158:159], v[160:161], v[173:174], v[158:159]
	v_div_scale_f64 v[160:161], null, v[158:159], v[158:159], 1.0
	v_rcp_f64_e32 v[175:176], v[160:161]
	v_fma_f64 v[177:178], -v[160:161], v[175:176], 1.0
	v_fma_f64 v[175:176], v[175:176], v[177:178], v[175:176]
	v_fma_f64 v[177:178], -v[160:161], v[175:176], 1.0
	v_fma_f64 v[175:176], v[175:176], v[177:178], v[175:176]
	v_div_scale_f64 v[177:178], vcc_lo, 1.0, v[158:159], 1.0
	v_mul_f64 v[179:180], v[177:178], v[175:176]
	v_fma_f64 v[160:161], -v[160:161], v[179:180], v[177:178]
	v_div_fmas_f64 v[160:161], v[160:161], v[175:176], v[179:180]
	v_div_fixup_f64 v[158:159], v[160:161], v[158:159], 1.0
	v_mul_f64 v[160:161], v[173:174], -v[158:159]
.LBB76_576:
	s_or_b32 exec_lo, exec_lo, s3
.LBB76_577:
	s_or_b32 exec_lo, exec_lo, s0
	s_mov_b32 s0, exec_lo
	v_cmpx_ne_u32_e64 v172, v166
	s_xor_b32 s0, exec_lo, s0
	s_cbranch_execz .LBB76_583
; %bb.578:
	s_mov_b32 s3, exec_lo
	v_cmpx_eq_u32_e32 27, v172
	s_cbranch_execz .LBB76_582
; %bb.579:
	v_cmp_ne_u32_e32 vcc_lo, 27, v166
	s_xor_b32 s8, s16, -1
	s_and_b32 s9, s8, vcc_lo
	s_and_saveexec_b32 s8, s9
	s_cbranch_execz .LBB76_581
; %bb.580:
	v_ashrrev_i32_e32 v167, 31, v166
	v_lshlrev_b64 v[172:173], 2, v[166:167]
	v_add_co_u32 v172, vcc_lo, v164, v172
	v_add_co_ci_u32_e64 v173, null, v165, v173, vcc_lo
	s_clause 0x1
	global_load_dword v0, v[172:173], off
	global_load_dword v167, v[164:165], off offset:108
	s_waitcnt vmcnt(1)
	global_store_dword v[164:165], v0, off offset:108
	s_waitcnt vmcnt(0)
	global_store_dword v[172:173], v167, off
.LBB76_581:
	s_or_b32 exec_lo, exec_lo, s8
	v_mov_b32_e32 v172, v166
	v_mov_b32_e32 v0, v166
.LBB76_582:
	s_or_b32 exec_lo, exec_lo, s3
.LBB76_583:
	s_andn2_saveexec_b32 s0, s0
	s_cbranch_execz .LBB76_585
; %bb.584:
	v_mov_b32_e32 v172, 27
	ds_write2_b64 v1, v[46:47], v[48:49] offset0:56 offset1:57
	ds_write2_b64 v1, v[30:31], v[32:33] offset0:58 offset1:59
	;; [unrolled: 1-line block ×11, first 2 shown]
.LBB76_585:
	s_or_b32 exec_lo, exec_lo, s0
	s_mov_b32 s0, exec_lo
	s_waitcnt lgkmcnt(0)
	s_waitcnt_vscnt null, 0x0
	s_barrier
	buffer_gl0_inv
	v_cmpx_lt_i32_e32 27, v172
	s_cbranch_execz .LBB76_587
; %bb.586:
	v_mul_f64 v[166:167], v[158:159], v[36:37]
	v_mul_f64 v[36:37], v[160:161], v[36:37]
	v_fma_f64 v[166:167], v[160:161], v[34:35], v[166:167]
	v_fma_f64 v[34:35], v[158:159], v[34:35], -v[36:37]
	ds_read2_b64 v[158:161], v1 offset0:56 offset1:57
	s_waitcnt lgkmcnt(0)
	v_mul_f64 v[36:37], v[160:161], v[166:167]
	v_fma_f64 v[36:37], v[158:159], v[34:35], -v[36:37]
	v_mul_f64 v[158:159], v[158:159], v[166:167]
	v_add_f64 v[46:47], v[46:47], -v[36:37]
	v_fma_f64 v[158:159], v[160:161], v[34:35], v[158:159]
	v_add_f64 v[48:49], v[48:49], -v[158:159]
	ds_read2_b64 v[158:161], v1 offset0:58 offset1:59
	s_waitcnt lgkmcnt(0)
	v_mul_f64 v[36:37], v[160:161], v[166:167]
	v_fma_f64 v[36:37], v[158:159], v[34:35], -v[36:37]
	v_mul_f64 v[158:159], v[158:159], v[166:167]
	v_add_f64 v[30:31], v[30:31], -v[36:37]
	v_fma_f64 v[158:159], v[160:161], v[34:35], v[158:159]
	v_add_f64 v[32:33], v[32:33], -v[158:159]
	;; [unrolled: 8-line block ×10, first 2 shown]
	ds_read2_b64 v[158:161], v1 offset0:76 offset1:77
	s_waitcnt lgkmcnt(0)
	v_mul_f64 v[36:37], v[160:161], v[166:167]
	v_fma_f64 v[36:37], v[158:159], v[34:35], -v[36:37]
	v_mul_f64 v[158:159], v[158:159], v[166:167]
	v_add_f64 v[2:3], v[2:3], -v[36:37]
	v_fma_f64 v[158:159], v[160:161], v[34:35], v[158:159]
	v_mov_b32_e32 v36, v166
	v_mov_b32_e32 v37, v167
	v_add_f64 v[4:5], v[4:5], -v[158:159]
.LBB76_587:
	s_or_b32 exec_lo, exec_lo, s0
	v_lshl_add_u32 v158, v172, 4, v1
	s_barrier
	buffer_gl0_inv
	v_mov_b32_e32 v166, 28
	ds_write2_b64 v158, v[46:47], v[48:49] offset1:1
	s_waitcnt lgkmcnt(0)
	s_barrier
	buffer_gl0_inv
	ds_read2_b64 v[158:161], v1 offset0:56 offset1:57
	s_cmp_lt_i32 s1, 30
	s_cbranch_scc1 .LBB76_590
; %bb.588:
	v_add3_u32 v167, v168, 0, 0x1d0
	v_mov_b32_e32 v166, 28
	s_mov_b32 s3, 29
	s_inst_prefetch 0x1
	.p2align	6
.LBB76_589:                             ; =>This Inner Loop Header: Depth=1
	s_waitcnt lgkmcnt(0)
	v_cmp_gt_f64_e32 vcc_lo, 0, v[160:161]
	v_cmp_gt_f64_e64 s0, 0, v[158:159]
	ds_read2_b64 v[173:176], v167 offset1:1
	v_xor_b32_e32 v178, 0x80000000, v159
	v_xor_b32_e32 v180, 0x80000000, v161
	v_mov_b32_e32 v177, v158
	v_mov_b32_e32 v179, v160
	v_add_nc_u32_e32 v167, 16, v167
	s_waitcnt lgkmcnt(0)
	v_xor_b32_e32 v182, 0x80000000, v176
	v_cndmask_b32_e64 v178, v159, v178, s0
	v_cndmask_b32_e32 v180, v161, v180, vcc_lo
	v_cmp_gt_f64_e32 vcc_lo, 0, v[175:176]
	v_cmp_gt_f64_e64 s0, 0, v[173:174]
	v_mov_b32_e32 v181, v175
	v_add_f64 v[177:178], v[177:178], v[179:180]
	v_xor_b32_e32 v180, 0x80000000, v174
	v_mov_b32_e32 v179, v173
	v_cndmask_b32_e32 v182, v176, v182, vcc_lo
	v_cndmask_b32_e64 v180, v174, v180, s0
	v_add_f64 v[179:180], v[179:180], v[181:182]
	v_cmp_lt_f64_e32 vcc_lo, v[177:178], v[179:180]
	v_cndmask_b32_e32 v159, v159, v174, vcc_lo
	v_cndmask_b32_e32 v158, v158, v173, vcc_lo
	;; [unrolled: 1-line block ×4, first 2 shown]
	v_cndmask_b32_e64 v166, v166, s3, vcc_lo
	s_add_i32 s3, s3, 1
	s_cmp_lg_u32 s1, s3
	s_cbranch_scc1 .LBB76_589
.LBB76_590:
	s_inst_prefetch 0x2
	s_waitcnt lgkmcnt(0)
	v_cmp_eq_f64_e32 vcc_lo, 0, v[158:159]
	v_cmp_eq_f64_e64 s0, 0, v[160:161]
	s_and_b32 s0, vcc_lo, s0
	s_and_saveexec_b32 s3, s0
	s_xor_b32 s0, exec_lo, s3
; %bb.591:
	v_cmp_ne_u32_e32 vcc_lo, 0, v171
	v_cndmask_b32_e32 v171, 29, v171, vcc_lo
; %bb.592:
	s_andn2_saveexec_b32 s0, s0
	s_cbranch_execz .LBB76_598
; %bb.593:
	v_cmp_ngt_f64_e64 s3, |v[158:159]|, |v[160:161]|
	s_and_saveexec_b32 s8, s3
	s_xor_b32 s3, exec_lo, s8
	s_cbranch_execz .LBB76_595
; %bb.594:
	v_div_scale_f64 v[173:174], null, v[160:161], v[160:161], v[158:159]
	v_div_scale_f64 v[179:180], vcc_lo, v[158:159], v[160:161], v[158:159]
	v_rcp_f64_e32 v[175:176], v[173:174]
	v_fma_f64 v[177:178], -v[173:174], v[175:176], 1.0
	v_fma_f64 v[175:176], v[175:176], v[177:178], v[175:176]
	v_fma_f64 v[177:178], -v[173:174], v[175:176], 1.0
	v_fma_f64 v[175:176], v[175:176], v[177:178], v[175:176]
	v_mul_f64 v[177:178], v[179:180], v[175:176]
	v_fma_f64 v[173:174], -v[173:174], v[177:178], v[179:180]
	v_div_fmas_f64 v[173:174], v[173:174], v[175:176], v[177:178]
	v_div_fixup_f64 v[173:174], v[173:174], v[160:161], v[158:159]
	v_fma_f64 v[158:159], v[158:159], v[173:174], v[160:161]
	v_div_scale_f64 v[160:161], null, v[158:159], v[158:159], 1.0
	v_rcp_f64_e32 v[175:176], v[160:161]
	v_fma_f64 v[177:178], -v[160:161], v[175:176], 1.0
	v_fma_f64 v[175:176], v[175:176], v[177:178], v[175:176]
	v_fma_f64 v[177:178], -v[160:161], v[175:176], 1.0
	v_fma_f64 v[175:176], v[175:176], v[177:178], v[175:176]
	v_div_scale_f64 v[177:178], vcc_lo, 1.0, v[158:159], 1.0
	v_mul_f64 v[179:180], v[177:178], v[175:176]
	v_fma_f64 v[160:161], -v[160:161], v[179:180], v[177:178]
	v_div_fmas_f64 v[160:161], v[160:161], v[175:176], v[179:180]
	v_div_fixup_f64 v[160:161], v[160:161], v[158:159], 1.0
	v_mul_f64 v[158:159], v[173:174], v[160:161]
	v_xor_b32_e32 v161, 0x80000000, v161
.LBB76_595:
	s_andn2_saveexec_b32 s3, s3
	s_cbranch_execz .LBB76_597
; %bb.596:
	v_div_scale_f64 v[173:174], null, v[158:159], v[158:159], v[160:161]
	v_div_scale_f64 v[179:180], vcc_lo, v[160:161], v[158:159], v[160:161]
	v_rcp_f64_e32 v[175:176], v[173:174]
	v_fma_f64 v[177:178], -v[173:174], v[175:176], 1.0
	v_fma_f64 v[175:176], v[175:176], v[177:178], v[175:176]
	v_fma_f64 v[177:178], -v[173:174], v[175:176], 1.0
	v_fma_f64 v[175:176], v[175:176], v[177:178], v[175:176]
	v_mul_f64 v[177:178], v[179:180], v[175:176]
	v_fma_f64 v[173:174], -v[173:174], v[177:178], v[179:180]
	v_div_fmas_f64 v[173:174], v[173:174], v[175:176], v[177:178]
	v_div_fixup_f64 v[173:174], v[173:174], v[158:159], v[160:161]
	v_fma_f64 v[158:159], v[160:161], v[173:174], v[158:159]
	v_div_scale_f64 v[160:161], null, v[158:159], v[158:159], 1.0
	v_rcp_f64_e32 v[175:176], v[160:161]
	v_fma_f64 v[177:178], -v[160:161], v[175:176], 1.0
	v_fma_f64 v[175:176], v[175:176], v[177:178], v[175:176]
	v_fma_f64 v[177:178], -v[160:161], v[175:176], 1.0
	v_fma_f64 v[175:176], v[175:176], v[177:178], v[175:176]
	v_div_scale_f64 v[177:178], vcc_lo, 1.0, v[158:159], 1.0
	v_mul_f64 v[179:180], v[177:178], v[175:176]
	v_fma_f64 v[160:161], -v[160:161], v[179:180], v[177:178]
	v_div_fmas_f64 v[160:161], v[160:161], v[175:176], v[179:180]
	v_div_fixup_f64 v[158:159], v[160:161], v[158:159], 1.0
	v_mul_f64 v[160:161], v[173:174], -v[158:159]
.LBB76_597:
	s_or_b32 exec_lo, exec_lo, s3
.LBB76_598:
	s_or_b32 exec_lo, exec_lo, s0
	s_mov_b32 s0, exec_lo
	v_cmpx_ne_u32_e64 v172, v166
	s_xor_b32 s0, exec_lo, s0
	s_cbranch_execz .LBB76_604
; %bb.599:
	s_mov_b32 s3, exec_lo
	v_cmpx_eq_u32_e32 28, v172
	s_cbranch_execz .LBB76_603
; %bb.600:
	v_cmp_ne_u32_e32 vcc_lo, 28, v166
	s_xor_b32 s8, s16, -1
	s_and_b32 s9, s8, vcc_lo
	s_and_saveexec_b32 s8, s9
	s_cbranch_execz .LBB76_602
; %bb.601:
	v_ashrrev_i32_e32 v167, 31, v166
	v_lshlrev_b64 v[172:173], 2, v[166:167]
	v_add_co_u32 v172, vcc_lo, v164, v172
	v_add_co_ci_u32_e64 v173, null, v165, v173, vcc_lo
	s_clause 0x1
	global_load_dword v0, v[172:173], off
	global_load_dword v167, v[164:165], off offset:112
	s_waitcnt vmcnt(1)
	global_store_dword v[164:165], v0, off offset:112
	s_waitcnt vmcnt(0)
	global_store_dword v[172:173], v167, off
.LBB76_602:
	s_or_b32 exec_lo, exec_lo, s8
	v_mov_b32_e32 v172, v166
	v_mov_b32_e32 v0, v166
.LBB76_603:
	s_or_b32 exec_lo, exec_lo, s3
.LBB76_604:
	s_andn2_saveexec_b32 s0, s0
	s_cbranch_execz .LBB76_606
; %bb.605:
	v_mov_b32_e32 v172, 28
	ds_write2_b64 v1, v[30:31], v[32:33] offset0:58 offset1:59
	ds_write2_b64 v1, v[38:39], v[40:41] offset0:60 offset1:61
	;; [unrolled: 1-line block ×10, first 2 shown]
.LBB76_606:
	s_or_b32 exec_lo, exec_lo, s0
	s_mov_b32 s0, exec_lo
	s_waitcnt lgkmcnt(0)
	s_waitcnt_vscnt null, 0x0
	s_barrier
	buffer_gl0_inv
	v_cmpx_lt_i32_e32 28, v172
	s_cbranch_execz .LBB76_608
; %bb.607:
	v_mul_f64 v[166:167], v[158:159], v[48:49]
	v_mul_f64 v[48:49], v[160:161], v[48:49]
	v_fma_f64 v[166:167], v[160:161], v[46:47], v[166:167]
	v_fma_f64 v[46:47], v[158:159], v[46:47], -v[48:49]
	ds_read2_b64 v[158:161], v1 offset0:58 offset1:59
	s_waitcnt lgkmcnt(0)
	v_mul_f64 v[48:49], v[160:161], v[166:167]
	v_fma_f64 v[48:49], v[158:159], v[46:47], -v[48:49]
	v_mul_f64 v[158:159], v[158:159], v[166:167]
	v_add_f64 v[30:31], v[30:31], -v[48:49]
	v_fma_f64 v[158:159], v[160:161], v[46:47], v[158:159]
	v_add_f64 v[32:33], v[32:33], -v[158:159]
	ds_read2_b64 v[158:161], v1 offset0:60 offset1:61
	s_waitcnt lgkmcnt(0)
	v_mul_f64 v[48:49], v[160:161], v[166:167]
	v_fma_f64 v[48:49], v[158:159], v[46:47], -v[48:49]
	v_mul_f64 v[158:159], v[158:159], v[166:167]
	v_add_f64 v[38:39], v[38:39], -v[48:49]
	v_fma_f64 v[158:159], v[160:161], v[46:47], v[158:159]
	v_add_f64 v[40:41], v[40:41], -v[158:159]
	;; [unrolled: 8-line block ×9, first 2 shown]
	ds_read2_b64 v[158:161], v1 offset0:76 offset1:77
	s_waitcnt lgkmcnt(0)
	v_mul_f64 v[48:49], v[160:161], v[166:167]
	v_fma_f64 v[48:49], v[158:159], v[46:47], -v[48:49]
	v_mul_f64 v[158:159], v[158:159], v[166:167]
	v_add_f64 v[2:3], v[2:3], -v[48:49]
	v_fma_f64 v[158:159], v[160:161], v[46:47], v[158:159]
	v_mov_b32_e32 v48, v166
	v_mov_b32_e32 v49, v167
	v_add_f64 v[4:5], v[4:5], -v[158:159]
.LBB76_608:
	s_or_b32 exec_lo, exec_lo, s0
	v_lshl_add_u32 v158, v172, 4, v1
	s_barrier
	buffer_gl0_inv
	v_mov_b32_e32 v166, 29
	ds_write2_b64 v158, v[30:31], v[32:33] offset1:1
	s_waitcnt lgkmcnt(0)
	s_barrier
	buffer_gl0_inv
	ds_read2_b64 v[158:161], v1 offset0:58 offset1:59
	s_cmp_lt_i32 s1, 31
	s_cbranch_scc1 .LBB76_611
; %bb.609:
	v_add3_u32 v167, v168, 0, 0x1e0
	v_mov_b32_e32 v166, 29
	s_mov_b32 s3, 30
	s_inst_prefetch 0x1
	.p2align	6
.LBB76_610:                             ; =>This Inner Loop Header: Depth=1
	s_waitcnt lgkmcnt(0)
	v_cmp_gt_f64_e32 vcc_lo, 0, v[160:161]
	v_cmp_gt_f64_e64 s0, 0, v[158:159]
	ds_read2_b64 v[173:176], v167 offset1:1
	v_xor_b32_e32 v178, 0x80000000, v159
	v_xor_b32_e32 v180, 0x80000000, v161
	v_mov_b32_e32 v177, v158
	v_mov_b32_e32 v179, v160
	v_add_nc_u32_e32 v167, 16, v167
	s_waitcnt lgkmcnt(0)
	v_xor_b32_e32 v182, 0x80000000, v176
	v_cndmask_b32_e64 v178, v159, v178, s0
	v_cndmask_b32_e32 v180, v161, v180, vcc_lo
	v_cmp_gt_f64_e32 vcc_lo, 0, v[175:176]
	v_cmp_gt_f64_e64 s0, 0, v[173:174]
	v_mov_b32_e32 v181, v175
	v_add_f64 v[177:178], v[177:178], v[179:180]
	v_xor_b32_e32 v180, 0x80000000, v174
	v_mov_b32_e32 v179, v173
	v_cndmask_b32_e32 v182, v176, v182, vcc_lo
	v_cndmask_b32_e64 v180, v174, v180, s0
	v_add_f64 v[179:180], v[179:180], v[181:182]
	v_cmp_lt_f64_e32 vcc_lo, v[177:178], v[179:180]
	v_cndmask_b32_e32 v159, v159, v174, vcc_lo
	v_cndmask_b32_e32 v158, v158, v173, vcc_lo
	;; [unrolled: 1-line block ×4, first 2 shown]
	v_cndmask_b32_e64 v166, v166, s3, vcc_lo
	s_add_i32 s3, s3, 1
	s_cmp_lg_u32 s1, s3
	s_cbranch_scc1 .LBB76_610
.LBB76_611:
	s_inst_prefetch 0x2
	s_waitcnt lgkmcnt(0)
	v_cmp_eq_f64_e32 vcc_lo, 0, v[158:159]
	v_cmp_eq_f64_e64 s0, 0, v[160:161]
	s_and_b32 s0, vcc_lo, s0
	s_and_saveexec_b32 s3, s0
	s_xor_b32 s0, exec_lo, s3
; %bb.612:
	v_cmp_ne_u32_e32 vcc_lo, 0, v171
	v_cndmask_b32_e32 v171, 30, v171, vcc_lo
; %bb.613:
	s_andn2_saveexec_b32 s0, s0
	s_cbranch_execz .LBB76_619
; %bb.614:
	v_cmp_ngt_f64_e64 s3, |v[158:159]|, |v[160:161]|
	s_and_saveexec_b32 s8, s3
	s_xor_b32 s3, exec_lo, s8
	s_cbranch_execz .LBB76_616
; %bb.615:
	v_div_scale_f64 v[173:174], null, v[160:161], v[160:161], v[158:159]
	v_div_scale_f64 v[179:180], vcc_lo, v[158:159], v[160:161], v[158:159]
	v_rcp_f64_e32 v[175:176], v[173:174]
	v_fma_f64 v[177:178], -v[173:174], v[175:176], 1.0
	v_fma_f64 v[175:176], v[175:176], v[177:178], v[175:176]
	v_fma_f64 v[177:178], -v[173:174], v[175:176], 1.0
	v_fma_f64 v[175:176], v[175:176], v[177:178], v[175:176]
	v_mul_f64 v[177:178], v[179:180], v[175:176]
	v_fma_f64 v[173:174], -v[173:174], v[177:178], v[179:180]
	v_div_fmas_f64 v[173:174], v[173:174], v[175:176], v[177:178]
	v_div_fixup_f64 v[173:174], v[173:174], v[160:161], v[158:159]
	v_fma_f64 v[158:159], v[158:159], v[173:174], v[160:161]
	v_div_scale_f64 v[160:161], null, v[158:159], v[158:159], 1.0
	v_rcp_f64_e32 v[175:176], v[160:161]
	v_fma_f64 v[177:178], -v[160:161], v[175:176], 1.0
	v_fma_f64 v[175:176], v[175:176], v[177:178], v[175:176]
	v_fma_f64 v[177:178], -v[160:161], v[175:176], 1.0
	v_fma_f64 v[175:176], v[175:176], v[177:178], v[175:176]
	v_div_scale_f64 v[177:178], vcc_lo, 1.0, v[158:159], 1.0
	v_mul_f64 v[179:180], v[177:178], v[175:176]
	v_fma_f64 v[160:161], -v[160:161], v[179:180], v[177:178]
	v_div_fmas_f64 v[160:161], v[160:161], v[175:176], v[179:180]
	v_div_fixup_f64 v[160:161], v[160:161], v[158:159], 1.0
	v_mul_f64 v[158:159], v[173:174], v[160:161]
	v_xor_b32_e32 v161, 0x80000000, v161
.LBB76_616:
	s_andn2_saveexec_b32 s3, s3
	s_cbranch_execz .LBB76_618
; %bb.617:
	v_div_scale_f64 v[173:174], null, v[158:159], v[158:159], v[160:161]
	v_div_scale_f64 v[179:180], vcc_lo, v[160:161], v[158:159], v[160:161]
	v_rcp_f64_e32 v[175:176], v[173:174]
	v_fma_f64 v[177:178], -v[173:174], v[175:176], 1.0
	v_fma_f64 v[175:176], v[175:176], v[177:178], v[175:176]
	v_fma_f64 v[177:178], -v[173:174], v[175:176], 1.0
	v_fma_f64 v[175:176], v[175:176], v[177:178], v[175:176]
	v_mul_f64 v[177:178], v[179:180], v[175:176]
	v_fma_f64 v[173:174], -v[173:174], v[177:178], v[179:180]
	v_div_fmas_f64 v[173:174], v[173:174], v[175:176], v[177:178]
	v_div_fixup_f64 v[173:174], v[173:174], v[158:159], v[160:161]
	v_fma_f64 v[158:159], v[160:161], v[173:174], v[158:159]
	v_div_scale_f64 v[160:161], null, v[158:159], v[158:159], 1.0
	v_rcp_f64_e32 v[175:176], v[160:161]
	v_fma_f64 v[177:178], -v[160:161], v[175:176], 1.0
	v_fma_f64 v[175:176], v[175:176], v[177:178], v[175:176]
	v_fma_f64 v[177:178], -v[160:161], v[175:176], 1.0
	v_fma_f64 v[175:176], v[175:176], v[177:178], v[175:176]
	v_div_scale_f64 v[177:178], vcc_lo, 1.0, v[158:159], 1.0
	v_mul_f64 v[179:180], v[177:178], v[175:176]
	v_fma_f64 v[160:161], -v[160:161], v[179:180], v[177:178]
	v_div_fmas_f64 v[160:161], v[160:161], v[175:176], v[179:180]
	v_div_fixup_f64 v[158:159], v[160:161], v[158:159], 1.0
	v_mul_f64 v[160:161], v[173:174], -v[158:159]
.LBB76_618:
	s_or_b32 exec_lo, exec_lo, s3
.LBB76_619:
	s_or_b32 exec_lo, exec_lo, s0
	s_mov_b32 s0, exec_lo
	v_cmpx_ne_u32_e64 v172, v166
	s_xor_b32 s0, exec_lo, s0
	s_cbranch_execz .LBB76_625
; %bb.620:
	s_mov_b32 s3, exec_lo
	v_cmpx_eq_u32_e32 29, v172
	s_cbranch_execz .LBB76_624
; %bb.621:
	v_cmp_ne_u32_e32 vcc_lo, 29, v166
	s_xor_b32 s8, s16, -1
	s_and_b32 s9, s8, vcc_lo
	s_and_saveexec_b32 s8, s9
	s_cbranch_execz .LBB76_623
; %bb.622:
	v_ashrrev_i32_e32 v167, 31, v166
	v_lshlrev_b64 v[172:173], 2, v[166:167]
	v_add_co_u32 v172, vcc_lo, v164, v172
	v_add_co_ci_u32_e64 v173, null, v165, v173, vcc_lo
	s_clause 0x1
	global_load_dword v0, v[172:173], off
	global_load_dword v167, v[164:165], off offset:116
	s_waitcnt vmcnt(1)
	global_store_dword v[164:165], v0, off offset:116
	s_waitcnt vmcnt(0)
	global_store_dword v[172:173], v167, off
.LBB76_623:
	s_or_b32 exec_lo, exec_lo, s8
	v_mov_b32_e32 v172, v166
	v_mov_b32_e32 v0, v166
.LBB76_624:
	s_or_b32 exec_lo, exec_lo, s3
.LBB76_625:
	s_andn2_saveexec_b32 s0, s0
	s_cbranch_execz .LBB76_627
; %bb.626:
	v_mov_b32_e32 v172, 29
	ds_write2_b64 v1, v[38:39], v[40:41] offset0:60 offset1:61
	ds_write2_b64 v1, v[42:43], v[44:45] offset0:62 offset1:63
	;; [unrolled: 1-line block ×9, first 2 shown]
.LBB76_627:
	s_or_b32 exec_lo, exec_lo, s0
	s_mov_b32 s0, exec_lo
	s_waitcnt lgkmcnt(0)
	s_waitcnt_vscnt null, 0x0
	s_barrier
	buffer_gl0_inv
	v_cmpx_lt_i32_e32 29, v172
	s_cbranch_execz .LBB76_629
; %bb.628:
	v_mul_f64 v[166:167], v[158:159], v[32:33]
	v_mul_f64 v[32:33], v[160:161], v[32:33]
	v_fma_f64 v[166:167], v[160:161], v[30:31], v[166:167]
	v_fma_f64 v[30:31], v[158:159], v[30:31], -v[32:33]
	ds_read2_b64 v[158:161], v1 offset0:60 offset1:61
	s_waitcnt lgkmcnt(0)
	v_mul_f64 v[32:33], v[160:161], v[166:167]
	v_fma_f64 v[32:33], v[158:159], v[30:31], -v[32:33]
	v_mul_f64 v[158:159], v[158:159], v[166:167]
	v_add_f64 v[38:39], v[38:39], -v[32:33]
	v_fma_f64 v[158:159], v[160:161], v[30:31], v[158:159]
	v_add_f64 v[40:41], v[40:41], -v[158:159]
	ds_read2_b64 v[158:161], v1 offset0:62 offset1:63
	s_waitcnt lgkmcnt(0)
	v_mul_f64 v[32:33], v[160:161], v[166:167]
	v_fma_f64 v[32:33], v[158:159], v[30:31], -v[32:33]
	v_mul_f64 v[158:159], v[158:159], v[166:167]
	v_add_f64 v[42:43], v[42:43], -v[32:33]
	v_fma_f64 v[158:159], v[160:161], v[30:31], v[158:159]
	v_add_f64 v[44:45], v[44:45], -v[158:159]
	ds_read2_b64 v[158:161], v1 offset0:64 offset1:65
	s_waitcnt lgkmcnt(0)
	v_mul_f64 v[32:33], v[160:161], v[166:167]
	v_fma_f64 v[32:33], v[158:159], v[30:31], -v[32:33]
	v_mul_f64 v[158:159], v[158:159], v[166:167]
	v_add_f64 v[26:27], v[26:27], -v[32:33]
	v_fma_f64 v[158:159], v[160:161], v[30:31], v[158:159]
	v_add_f64 v[28:29], v[28:29], -v[158:159]
	ds_read2_b64 v[158:161], v1 offset0:66 offset1:67
	s_waitcnt lgkmcnt(0)
	v_mul_f64 v[32:33], v[160:161], v[166:167]
	v_fma_f64 v[32:33], v[158:159], v[30:31], -v[32:33]
	v_mul_f64 v[158:159], v[158:159], v[166:167]
	v_add_f64 v[22:23], v[22:23], -v[32:33]
	v_fma_f64 v[158:159], v[160:161], v[30:31], v[158:159]
	v_add_f64 v[24:25], v[24:25], -v[158:159]
	ds_read2_b64 v[158:161], v1 offset0:68 offset1:69
	s_waitcnt lgkmcnt(0)
	v_mul_f64 v[32:33], v[160:161], v[166:167]
	v_fma_f64 v[32:33], v[158:159], v[30:31], -v[32:33]
	v_mul_f64 v[158:159], v[158:159], v[166:167]
	v_add_f64 v[18:19], v[18:19], -v[32:33]
	v_fma_f64 v[158:159], v[160:161], v[30:31], v[158:159]
	v_add_f64 v[20:21], v[20:21], -v[158:159]
	ds_read2_b64 v[158:161], v1 offset0:70 offset1:71
	s_waitcnt lgkmcnt(0)
	v_mul_f64 v[32:33], v[160:161], v[166:167]
	v_fma_f64 v[32:33], v[158:159], v[30:31], -v[32:33]
	v_mul_f64 v[158:159], v[158:159], v[166:167]
	v_add_f64 v[14:15], v[14:15], -v[32:33]
	v_fma_f64 v[158:159], v[160:161], v[30:31], v[158:159]
	v_add_f64 v[16:17], v[16:17], -v[158:159]
	ds_read2_b64 v[158:161], v1 offset0:72 offset1:73
	s_waitcnt lgkmcnt(0)
	v_mul_f64 v[32:33], v[160:161], v[166:167]
	v_fma_f64 v[32:33], v[158:159], v[30:31], -v[32:33]
	v_mul_f64 v[158:159], v[158:159], v[166:167]
	v_add_f64 v[10:11], v[10:11], -v[32:33]
	v_fma_f64 v[158:159], v[160:161], v[30:31], v[158:159]
	v_add_f64 v[12:13], v[12:13], -v[158:159]
	ds_read2_b64 v[158:161], v1 offset0:74 offset1:75
	s_waitcnt lgkmcnt(0)
	v_mul_f64 v[32:33], v[160:161], v[166:167]
	v_fma_f64 v[32:33], v[158:159], v[30:31], -v[32:33]
	v_mul_f64 v[158:159], v[158:159], v[166:167]
	v_add_f64 v[6:7], v[6:7], -v[32:33]
	v_fma_f64 v[158:159], v[160:161], v[30:31], v[158:159]
	v_add_f64 v[8:9], v[8:9], -v[158:159]
	ds_read2_b64 v[158:161], v1 offset0:76 offset1:77
	s_waitcnt lgkmcnt(0)
	v_mul_f64 v[32:33], v[160:161], v[166:167]
	v_fma_f64 v[32:33], v[158:159], v[30:31], -v[32:33]
	v_mul_f64 v[158:159], v[158:159], v[166:167]
	v_add_f64 v[2:3], v[2:3], -v[32:33]
	v_fma_f64 v[158:159], v[160:161], v[30:31], v[158:159]
	v_mov_b32_e32 v32, v166
	v_mov_b32_e32 v33, v167
	v_add_f64 v[4:5], v[4:5], -v[158:159]
.LBB76_629:
	s_or_b32 exec_lo, exec_lo, s0
	v_lshl_add_u32 v158, v172, 4, v1
	s_barrier
	buffer_gl0_inv
	v_mov_b32_e32 v166, 30
	ds_write2_b64 v158, v[38:39], v[40:41] offset1:1
	s_waitcnt lgkmcnt(0)
	s_barrier
	buffer_gl0_inv
	ds_read2_b64 v[158:161], v1 offset0:60 offset1:61
	s_cmp_lt_i32 s1, 32
	s_cbranch_scc1 .LBB76_632
; %bb.630:
	v_add3_u32 v167, v168, 0, 0x1f0
	v_mov_b32_e32 v166, 30
	s_mov_b32 s3, 31
	s_inst_prefetch 0x1
	.p2align	6
.LBB76_631:                             ; =>This Inner Loop Header: Depth=1
	s_waitcnt lgkmcnt(0)
	v_cmp_gt_f64_e32 vcc_lo, 0, v[160:161]
	v_cmp_gt_f64_e64 s0, 0, v[158:159]
	ds_read2_b64 v[173:176], v167 offset1:1
	v_xor_b32_e32 v178, 0x80000000, v159
	v_xor_b32_e32 v180, 0x80000000, v161
	v_mov_b32_e32 v177, v158
	v_mov_b32_e32 v179, v160
	v_add_nc_u32_e32 v167, 16, v167
	s_waitcnt lgkmcnt(0)
	v_xor_b32_e32 v182, 0x80000000, v176
	v_cndmask_b32_e64 v178, v159, v178, s0
	v_cndmask_b32_e32 v180, v161, v180, vcc_lo
	v_cmp_gt_f64_e32 vcc_lo, 0, v[175:176]
	v_cmp_gt_f64_e64 s0, 0, v[173:174]
	v_mov_b32_e32 v181, v175
	v_add_f64 v[177:178], v[177:178], v[179:180]
	v_xor_b32_e32 v180, 0x80000000, v174
	v_mov_b32_e32 v179, v173
	v_cndmask_b32_e32 v182, v176, v182, vcc_lo
	v_cndmask_b32_e64 v180, v174, v180, s0
	v_add_f64 v[179:180], v[179:180], v[181:182]
	v_cmp_lt_f64_e32 vcc_lo, v[177:178], v[179:180]
	v_cndmask_b32_e32 v159, v159, v174, vcc_lo
	v_cndmask_b32_e32 v158, v158, v173, vcc_lo
	;; [unrolled: 1-line block ×4, first 2 shown]
	v_cndmask_b32_e64 v166, v166, s3, vcc_lo
	s_add_i32 s3, s3, 1
	s_cmp_lg_u32 s1, s3
	s_cbranch_scc1 .LBB76_631
.LBB76_632:
	s_inst_prefetch 0x2
	s_waitcnt lgkmcnt(0)
	v_cmp_eq_f64_e32 vcc_lo, 0, v[158:159]
	v_cmp_eq_f64_e64 s0, 0, v[160:161]
	s_and_b32 s0, vcc_lo, s0
	s_and_saveexec_b32 s3, s0
	s_xor_b32 s0, exec_lo, s3
; %bb.633:
	v_cmp_ne_u32_e32 vcc_lo, 0, v171
	v_cndmask_b32_e32 v171, 31, v171, vcc_lo
; %bb.634:
	s_andn2_saveexec_b32 s0, s0
	s_cbranch_execz .LBB76_640
; %bb.635:
	v_cmp_ngt_f64_e64 s3, |v[158:159]|, |v[160:161]|
	s_and_saveexec_b32 s8, s3
	s_xor_b32 s3, exec_lo, s8
	s_cbranch_execz .LBB76_637
; %bb.636:
	v_div_scale_f64 v[173:174], null, v[160:161], v[160:161], v[158:159]
	v_div_scale_f64 v[179:180], vcc_lo, v[158:159], v[160:161], v[158:159]
	v_rcp_f64_e32 v[175:176], v[173:174]
	v_fma_f64 v[177:178], -v[173:174], v[175:176], 1.0
	v_fma_f64 v[175:176], v[175:176], v[177:178], v[175:176]
	v_fma_f64 v[177:178], -v[173:174], v[175:176], 1.0
	v_fma_f64 v[175:176], v[175:176], v[177:178], v[175:176]
	v_mul_f64 v[177:178], v[179:180], v[175:176]
	v_fma_f64 v[173:174], -v[173:174], v[177:178], v[179:180]
	v_div_fmas_f64 v[173:174], v[173:174], v[175:176], v[177:178]
	v_div_fixup_f64 v[173:174], v[173:174], v[160:161], v[158:159]
	v_fma_f64 v[158:159], v[158:159], v[173:174], v[160:161]
	v_div_scale_f64 v[160:161], null, v[158:159], v[158:159], 1.0
	v_rcp_f64_e32 v[175:176], v[160:161]
	v_fma_f64 v[177:178], -v[160:161], v[175:176], 1.0
	v_fma_f64 v[175:176], v[175:176], v[177:178], v[175:176]
	v_fma_f64 v[177:178], -v[160:161], v[175:176], 1.0
	v_fma_f64 v[175:176], v[175:176], v[177:178], v[175:176]
	v_div_scale_f64 v[177:178], vcc_lo, 1.0, v[158:159], 1.0
	v_mul_f64 v[179:180], v[177:178], v[175:176]
	v_fma_f64 v[160:161], -v[160:161], v[179:180], v[177:178]
	v_div_fmas_f64 v[160:161], v[160:161], v[175:176], v[179:180]
	v_div_fixup_f64 v[160:161], v[160:161], v[158:159], 1.0
	v_mul_f64 v[158:159], v[173:174], v[160:161]
	v_xor_b32_e32 v161, 0x80000000, v161
.LBB76_637:
	s_andn2_saveexec_b32 s3, s3
	s_cbranch_execz .LBB76_639
; %bb.638:
	v_div_scale_f64 v[173:174], null, v[158:159], v[158:159], v[160:161]
	v_div_scale_f64 v[179:180], vcc_lo, v[160:161], v[158:159], v[160:161]
	v_rcp_f64_e32 v[175:176], v[173:174]
	v_fma_f64 v[177:178], -v[173:174], v[175:176], 1.0
	v_fma_f64 v[175:176], v[175:176], v[177:178], v[175:176]
	v_fma_f64 v[177:178], -v[173:174], v[175:176], 1.0
	v_fma_f64 v[175:176], v[175:176], v[177:178], v[175:176]
	v_mul_f64 v[177:178], v[179:180], v[175:176]
	v_fma_f64 v[173:174], -v[173:174], v[177:178], v[179:180]
	v_div_fmas_f64 v[173:174], v[173:174], v[175:176], v[177:178]
	v_div_fixup_f64 v[173:174], v[173:174], v[158:159], v[160:161]
	v_fma_f64 v[158:159], v[160:161], v[173:174], v[158:159]
	v_div_scale_f64 v[160:161], null, v[158:159], v[158:159], 1.0
	v_rcp_f64_e32 v[175:176], v[160:161]
	v_fma_f64 v[177:178], -v[160:161], v[175:176], 1.0
	v_fma_f64 v[175:176], v[175:176], v[177:178], v[175:176]
	v_fma_f64 v[177:178], -v[160:161], v[175:176], 1.0
	v_fma_f64 v[175:176], v[175:176], v[177:178], v[175:176]
	v_div_scale_f64 v[177:178], vcc_lo, 1.0, v[158:159], 1.0
	v_mul_f64 v[179:180], v[177:178], v[175:176]
	v_fma_f64 v[160:161], -v[160:161], v[179:180], v[177:178]
	v_div_fmas_f64 v[160:161], v[160:161], v[175:176], v[179:180]
	v_div_fixup_f64 v[158:159], v[160:161], v[158:159], 1.0
	v_mul_f64 v[160:161], v[173:174], -v[158:159]
.LBB76_639:
	s_or_b32 exec_lo, exec_lo, s3
.LBB76_640:
	s_or_b32 exec_lo, exec_lo, s0
	s_mov_b32 s0, exec_lo
	v_cmpx_ne_u32_e64 v172, v166
	s_xor_b32 s0, exec_lo, s0
	s_cbranch_execz .LBB76_646
; %bb.641:
	s_mov_b32 s3, exec_lo
	v_cmpx_eq_u32_e32 30, v172
	s_cbranch_execz .LBB76_645
; %bb.642:
	v_cmp_ne_u32_e32 vcc_lo, 30, v166
	s_xor_b32 s8, s16, -1
	s_and_b32 s9, s8, vcc_lo
	s_and_saveexec_b32 s8, s9
	s_cbranch_execz .LBB76_644
; %bb.643:
	v_ashrrev_i32_e32 v167, 31, v166
	v_lshlrev_b64 v[172:173], 2, v[166:167]
	v_add_co_u32 v172, vcc_lo, v164, v172
	v_add_co_ci_u32_e64 v173, null, v165, v173, vcc_lo
	s_clause 0x1
	global_load_dword v0, v[172:173], off
	global_load_dword v167, v[164:165], off offset:120
	s_waitcnt vmcnt(1)
	global_store_dword v[164:165], v0, off offset:120
	s_waitcnt vmcnt(0)
	global_store_dword v[172:173], v167, off
.LBB76_644:
	s_or_b32 exec_lo, exec_lo, s8
	v_mov_b32_e32 v172, v166
	v_mov_b32_e32 v0, v166
.LBB76_645:
	s_or_b32 exec_lo, exec_lo, s3
.LBB76_646:
	s_andn2_saveexec_b32 s0, s0
	s_cbranch_execz .LBB76_648
; %bb.647:
	v_mov_b32_e32 v172, 30
	ds_write2_b64 v1, v[42:43], v[44:45] offset0:62 offset1:63
	ds_write2_b64 v1, v[26:27], v[28:29] offset0:64 offset1:65
	ds_write2_b64 v1, v[22:23], v[24:25] offset0:66 offset1:67
	ds_write2_b64 v1, v[18:19], v[20:21] offset0:68 offset1:69
	ds_write2_b64 v1, v[14:15], v[16:17] offset0:70 offset1:71
	ds_write2_b64 v1, v[10:11], v[12:13] offset0:72 offset1:73
	ds_write2_b64 v1, v[6:7], v[8:9] offset0:74 offset1:75
	ds_write2_b64 v1, v[2:3], v[4:5] offset0:76 offset1:77
.LBB76_648:
	s_or_b32 exec_lo, exec_lo, s0
	s_mov_b32 s0, exec_lo
	s_waitcnt lgkmcnt(0)
	s_waitcnt_vscnt null, 0x0
	s_barrier
	buffer_gl0_inv
	v_cmpx_lt_i32_e32 30, v172
	s_cbranch_execz .LBB76_650
; %bb.649:
	v_mul_f64 v[166:167], v[158:159], v[40:41]
	v_mul_f64 v[40:41], v[160:161], v[40:41]
	v_fma_f64 v[166:167], v[160:161], v[38:39], v[166:167]
	v_fma_f64 v[38:39], v[158:159], v[38:39], -v[40:41]
	ds_read2_b64 v[158:161], v1 offset0:62 offset1:63
	s_waitcnt lgkmcnt(0)
	v_mul_f64 v[40:41], v[160:161], v[166:167]
	v_fma_f64 v[40:41], v[158:159], v[38:39], -v[40:41]
	v_mul_f64 v[158:159], v[158:159], v[166:167]
	v_add_f64 v[42:43], v[42:43], -v[40:41]
	v_fma_f64 v[158:159], v[160:161], v[38:39], v[158:159]
	v_add_f64 v[44:45], v[44:45], -v[158:159]
	ds_read2_b64 v[158:161], v1 offset0:64 offset1:65
	s_waitcnt lgkmcnt(0)
	v_mul_f64 v[40:41], v[160:161], v[166:167]
	v_fma_f64 v[40:41], v[158:159], v[38:39], -v[40:41]
	v_mul_f64 v[158:159], v[158:159], v[166:167]
	v_add_f64 v[26:27], v[26:27], -v[40:41]
	v_fma_f64 v[158:159], v[160:161], v[38:39], v[158:159]
	v_add_f64 v[28:29], v[28:29], -v[158:159]
	;; [unrolled: 8-line block ×7, first 2 shown]
	ds_read2_b64 v[158:161], v1 offset0:76 offset1:77
	s_waitcnt lgkmcnt(0)
	v_mul_f64 v[40:41], v[160:161], v[166:167]
	v_fma_f64 v[40:41], v[158:159], v[38:39], -v[40:41]
	v_mul_f64 v[158:159], v[158:159], v[166:167]
	v_add_f64 v[2:3], v[2:3], -v[40:41]
	v_fma_f64 v[158:159], v[160:161], v[38:39], v[158:159]
	v_mov_b32_e32 v40, v166
	v_mov_b32_e32 v41, v167
	v_add_f64 v[4:5], v[4:5], -v[158:159]
.LBB76_650:
	s_or_b32 exec_lo, exec_lo, s0
	v_lshl_add_u32 v158, v172, 4, v1
	s_barrier
	buffer_gl0_inv
	v_mov_b32_e32 v166, 31
	ds_write2_b64 v158, v[42:43], v[44:45] offset1:1
	s_waitcnt lgkmcnt(0)
	s_barrier
	buffer_gl0_inv
	ds_read2_b64 v[158:161], v1 offset0:62 offset1:63
	s_cmp_lt_i32 s1, 33
	s_cbranch_scc1 .LBB76_653
; %bb.651:
	v_add3_u32 v167, v168, 0, 0x200
	v_mov_b32_e32 v166, 31
	s_mov_b32 s3, 32
	s_inst_prefetch 0x1
	.p2align	6
.LBB76_652:                             ; =>This Inner Loop Header: Depth=1
	s_waitcnt lgkmcnt(0)
	v_cmp_gt_f64_e32 vcc_lo, 0, v[160:161]
	v_cmp_gt_f64_e64 s0, 0, v[158:159]
	ds_read2_b64 v[173:176], v167 offset1:1
	v_xor_b32_e32 v178, 0x80000000, v159
	v_xor_b32_e32 v180, 0x80000000, v161
	v_mov_b32_e32 v177, v158
	v_mov_b32_e32 v179, v160
	v_add_nc_u32_e32 v167, 16, v167
	s_waitcnt lgkmcnt(0)
	v_xor_b32_e32 v182, 0x80000000, v176
	v_cndmask_b32_e64 v178, v159, v178, s0
	v_cndmask_b32_e32 v180, v161, v180, vcc_lo
	v_cmp_gt_f64_e32 vcc_lo, 0, v[175:176]
	v_cmp_gt_f64_e64 s0, 0, v[173:174]
	v_mov_b32_e32 v181, v175
	v_add_f64 v[177:178], v[177:178], v[179:180]
	v_xor_b32_e32 v180, 0x80000000, v174
	v_mov_b32_e32 v179, v173
	v_cndmask_b32_e32 v182, v176, v182, vcc_lo
	v_cndmask_b32_e64 v180, v174, v180, s0
	v_add_f64 v[179:180], v[179:180], v[181:182]
	v_cmp_lt_f64_e32 vcc_lo, v[177:178], v[179:180]
	v_cndmask_b32_e32 v159, v159, v174, vcc_lo
	v_cndmask_b32_e32 v158, v158, v173, vcc_lo
	;; [unrolled: 1-line block ×4, first 2 shown]
	v_cndmask_b32_e64 v166, v166, s3, vcc_lo
	s_add_i32 s3, s3, 1
	s_cmp_lg_u32 s1, s3
	s_cbranch_scc1 .LBB76_652
.LBB76_653:
	s_inst_prefetch 0x2
	s_waitcnt lgkmcnt(0)
	v_cmp_eq_f64_e32 vcc_lo, 0, v[158:159]
	v_cmp_eq_f64_e64 s0, 0, v[160:161]
	s_and_b32 s0, vcc_lo, s0
	s_and_saveexec_b32 s3, s0
	s_xor_b32 s0, exec_lo, s3
; %bb.654:
	v_cmp_ne_u32_e32 vcc_lo, 0, v171
	v_cndmask_b32_e32 v171, 32, v171, vcc_lo
; %bb.655:
	s_andn2_saveexec_b32 s0, s0
	s_cbranch_execz .LBB76_661
; %bb.656:
	v_cmp_ngt_f64_e64 s3, |v[158:159]|, |v[160:161]|
	s_and_saveexec_b32 s8, s3
	s_xor_b32 s3, exec_lo, s8
	s_cbranch_execz .LBB76_658
; %bb.657:
	v_div_scale_f64 v[173:174], null, v[160:161], v[160:161], v[158:159]
	v_div_scale_f64 v[179:180], vcc_lo, v[158:159], v[160:161], v[158:159]
	v_rcp_f64_e32 v[175:176], v[173:174]
	v_fma_f64 v[177:178], -v[173:174], v[175:176], 1.0
	v_fma_f64 v[175:176], v[175:176], v[177:178], v[175:176]
	v_fma_f64 v[177:178], -v[173:174], v[175:176], 1.0
	v_fma_f64 v[175:176], v[175:176], v[177:178], v[175:176]
	v_mul_f64 v[177:178], v[179:180], v[175:176]
	v_fma_f64 v[173:174], -v[173:174], v[177:178], v[179:180]
	v_div_fmas_f64 v[173:174], v[173:174], v[175:176], v[177:178]
	v_div_fixup_f64 v[173:174], v[173:174], v[160:161], v[158:159]
	v_fma_f64 v[158:159], v[158:159], v[173:174], v[160:161]
	v_div_scale_f64 v[160:161], null, v[158:159], v[158:159], 1.0
	v_rcp_f64_e32 v[175:176], v[160:161]
	v_fma_f64 v[177:178], -v[160:161], v[175:176], 1.0
	v_fma_f64 v[175:176], v[175:176], v[177:178], v[175:176]
	v_fma_f64 v[177:178], -v[160:161], v[175:176], 1.0
	v_fma_f64 v[175:176], v[175:176], v[177:178], v[175:176]
	v_div_scale_f64 v[177:178], vcc_lo, 1.0, v[158:159], 1.0
	v_mul_f64 v[179:180], v[177:178], v[175:176]
	v_fma_f64 v[160:161], -v[160:161], v[179:180], v[177:178]
	v_div_fmas_f64 v[160:161], v[160:161], v[175:176], v[179:180]
	v_div_fixup_f64 v[160:161], v[160:161], v[158:159], 1.0
	v_mul_f64 v[158:159], v[173:174], v[160:161]
	v_xor_b32_e32 v161, 0x80000000, v161
.LBB76_658:
	s_andn2_saveexec_b32 s3, s3
	s_cbranch_execz .LBB76_660
; %bb.659:
	v_div_scale_f64 v[173:174], null, v[158:159], v[158:159], v[160:161]
	v_div_scale_f64 v[179:180], vcc_lo, v[160:161], v[158:159], v[160:161]
	v_rcp_f64_e32 v[175:176], v[173:174]
	v_fma_f64 v[177:178], -v[173:174], v[175:176], 1.0
	v_fma_f64 v[175:176], v[175:176], v[177:178], v[175:176]
	v_fma_f64 v[177:178], -v[173:174], v[175:176], 1.0
	v_fma_f64 v[175:176], v[175:176], v[177:178], v[175:176]
	v_mul_f64 v[177:178], v[179:180], v[175:176]
	v_fma_f64 v[173:174], -v[173:174], v[177:178], v[179:180]
	v_div_fmas_f64 v[173:174], v[173:174], v[175:176], v[177:178]
	v_div_fixup_f64 v[173:174], v[173:174], v[158:159], v[160:161]
	v_fma_f64 v[158:159], v[160:161], v[173:174], v[158:159]
	v_div_scale_f64 v[160:161], null, v[158:159], v[158:159], 1.0
	v_rcp_f64_e32 v[175:176], v[160:161]
	v_fma_f64 v[177:178], -v[160:161], v[175:176], 1.0
	v_fma_f64 v[175:176], v[175:176], v[177:178], v[175:176]
	v_fma_f64 v[177:178], -v[160:161], v[175:176], 1.0
	v_fma_f64 v[175:176], v[175:176], v[177:178], v[175:176]
	v_div_scale_f64 v[177:178], vcc_lo, 1.0, v[158:159], 1.0
	v_mul_f64 v[179:180], v[177:178], v[175:176]
	v_fma_f64 v[160:161], -v[160:161], v[179:180], v[177:178]
	v_div_fmas_f64 v[160:161], v[160:161], v[175:176], v[179:180]
	v_div_fixup_f64 v[158:159], v[160:161], v[158:159], 1.0
	v_mul_f64 v[160:161], v[173:174], -v[158:159]
.LBB76_660:
	s_or_b32 exec_lo, exec_lo, s3
.LBB76_661:
	s_or_b32 exec_lo, exec_lo, s0
	s_mov_b32 s0, exec_lo
	v_cmpx_ne_u32_e64 v172, v166
	s_xor_b32 s0, exec_lo, s0
	s_cbranch_execz .LBB76_667
; %bb.662:
	s_mov_b32 s3, exec_lo
	v_cmpx_eq_u32_e32 31, v172
	s_cbranch_execz .LBB76_666
; %bb.663:
	v_cmp_ne_u32_e32 vcc_lo, 31, v166
	s_xor_b32 s8, s16, -1
	s_and_b32 s9, s8, vcc_lo
	s_and_saveexec_b32 s8, s9
	s_cbranch_execz .LBB76_665
; %bb.664:
	v_ashrrev_i32_e32 v167, 31, v166
	v_lshlrev_b64 v[172:173], 2, v[166:167]
	v_add_co_u32 v172, vcc_lo, v164, v172
	v_add_co_ci_u32_e64 v173, null, v165, v173, vcc_lo
	s_clause 0x1
	global_load_dword v0, v[172:173], off
	global_load_dword v167, v[164:165], off offset:124
	s_waitcnt vmcnt(1)
	global_store_dword v[164:165], v0, off offset:124
	s_waitcnt vmcnt(0)
	global_store_dword v[172:173], v167, off
.LBB76_665:
	s_or_b32 exec_lo, exec_lo, s8
	v_mov_b32_e32 v172, v166
	v_mov_b32_e32 v0, v166
.LBB76_666:
	s_or_b32 exec_lo, exec_lo, s3
.LBB76_667:
	s_andn2_saveexec_b32 s0, s0
	s_cbranch_execz .LBB76_669
; %bb.668:
	v_mov_b32_e32 v172, 31
	ds_write2_b64 v1, v[26:27], v[28:29] offset0:64 offset1:65
	ds_write2_b64 v1, v[22:23], v[24:25] offset0:66 offset1:67
	;; [unrolled: 1-line block ×7, first 2 shown]
.LBB76_669:
	s_or_b32 exec_lo, exec_lo, s0
	s_mov_b32 s0, exec_lo
	s_waitcnt lgkmcnt(0)
	s_waitcnt_vscnt null, 0x0
	s_barrier
	buffer_gl0_inv
	v_cmpx_lt_i32_e32 31, v172
	s_cbranch_execz .LBB76_671
; %bb.670:
	v_mul_f64 v[166:167], v[158:159], v[44:45]
	v_mul_f64 v[44:45], v[160:161], v[44:45]
	v_fma_f64 v[166:167], v[160:161], v[42:43], v[166:167]
	v_fma_f64 v[42:43], v[158:159], v[42:43], -v[44:45]
	ds_read2_b64 v[158:161], v1 offset0:64 offset1:65
	s_waitcnt lgkmcnt(0)
	v_mul_f64 v[44:45], v[160:161], v[166:167]
	v_fma_f64 v[44:45], v[158:159], v[42:43], -v[44:45]
	v_mul_f64 v[158:159], v[158:159], v[166:167]
	v_add_f64 v[26:27], v[26:27], -v[44:45]
	v_fma_f64 v[158:159], v[160:161], v[42:43], v[158:159]
	v_add_f64 v[28:29], v[28:29], -v[158:159]
	ds_read2_b64 v[158:161], v1 offset0:66 offset1:67
	s_waitcnt lgkmcnt(0)
	v_mul_f64 v[44:45], v[160:161], v[166:167]
	v_fma_f64 v[44:45], v[158:159], v[42:43], -v[44:45]
	v_mul_f64 v[158:159], v[158:159], v[166:167]
	v_add_f64 v[22:23], v[22:23], -v[44:45]
	v_fma_f64 v[158:159], v[160:161], v[42:43], v[158:159]
	v_add_f64 v[24:25], v[24:25], -v[158:159]
	;; [unrolled: 8-line block ×6, first 2 shown]
	ds_read2_b64 v[158:161], v1 offset0:76 offset1:77
	s_waitcnt lgkmcnt(0)
	v_mul_f64 v[44:45], v[160:161], v[166:167]
	v_fma_f64 v[44:45], v[158:159], v[42:43], -v[44:45]
	v_mul_f64 v[158:159], v[158:159], v[166:167]
	v_add_f64 v[2:3], v[2:3], -v[44:45]
	v_fma_f64 v[158:159], v[160:161], v[42:43], v[158:159]
	v_mov_b32_e32 v44, v166
	v_mov_b32_e32 v45, v167
	v_add_f64 v[4:5], v[4:5], -v[158:159]
.LBB76_671:
	s_or_b32 exec_lo, exec_lo, s0
	v_lshl_add_u32 v158, v172, 4, v1
	s_barrier
	buffer_gl0_inv
	v_mov_b32_e32 v166, 32
	ds_write2_b64 v158, v[26:27], v[28:29] offset1:1
	s_waitcnt lgkmcnt(0)
	s_barrier
	buffer_gl0_inv
	ds_read2_b64 v[158:161], v1 offset0:64 offset1:65
	s_cmp_lt_i32 s1, 34
	s_cbranch_scc1 .LBB76_674
; %bb.672:
	v_add3_u32 v167, v168, 0, 0x210
	v_mov_b32_e32 v166, 32
	s_mov_b32 s3, 33
	s_inst_prefetch 0x1
	.p2align	6
.LBB76_673:                             ; =>This Inner Loop Header: Depth=1
	s_waitcnt lgkmcnt(0)
	v_cmp_gt_f64_e32 vcc_lo, 0, v[160:161]
	v_cmp_gt_f64_e64 s0, 0, v[158:159]
	ds_read2_b64 v[173:176], v167 offset1:1
	v_xor_b32_e32 v178, 0x80000000, v159
	v_xor_b32_e32 v180, 0x80000000, v161
	v_mov_b32_e32 v177, v158
	v_mov_b32_e32 v179, v160
	v_add_nc_u32_e32 v167, 16, v167
	s_waitcnt lgkmcnt(0)
	v_xor_b32_e32 v182, 0x80000000, v176
	v_cndmask_b32_e64 v178, v159, v178, s0
	v_cndmask_b32_e32 v180, v161, v180, vcc_lo
	v_cmp_gt_f64_e32 vcc_lo, 0, v[175:176]
	v_cmp_gt_f64_e64 s0, 0, v[173:174]
	v_mov_b32_e32 v181, v175
	v_add_f64 v[177:178], v[177:178], v[179:180]
	v_xor_b32_e32 v180, 0x80000000, v174
	v_mov_b32_e32 v179, v173
	v_cndmask_b32_e32 v182, v176, v182, vcc_lo
	v_cndmask_b32_e64 v180, v174, v180, s0
	v_add_f64 v[179:180], v[179:180], v[181:182]
	v_cmp_lt_f64_e32 vcc_lo, v[177:178], v[179:180]
	v_cndmask_b32_e32 v159, v159, v174, vcc_lo
	v_cndmask_b32_e32 v158, v158, v173, vcc_lo
	v_cndmask_b32_e32 v161, v161, v176, vcc_lo
	v_cndmask_b32_e32 v160, v160, v175, vcc_lo
	v_cndmask_b32_e64 v166, v166, s3, vcc_lo
	s_add_i32 s3, s3, 1
	s_cmp_lg_u32 s1, s3
	s_cbranch_scc1 .LBB76_673
.LBB76_674:
	s_inst_prefetch 0x2
	s_waitcnt lgkmcnt(0)
	v_cmp_eq_f64_e32 vcc_lo, 0, v[158:159]
	v_cmp_eq_f64_e64 s0, 0, v[160:161]
	s_and_b32 s0, vcc_lo, s0
	s_and_saveexec_b32 s3, s0
	s_xor_b32 s0, exec_lo, s3
; %bb.675:
	v_cmp_ne_u32_e32 vcc_lo, 0, v171
	v_cndmask_b32_e32 v171, 33, v171, vcc_lo
; %bb.676:
	s_andn2_saveexec_b32 s0, s0
	s_cbranch_execz .LBB76_682
; %bb.677:
	v_cmp_ngt_f64_e64 s3, |v[158:159]|, |v[160:161]|
	s_and_saveexec_b32 s8, s3
	s_xor_b32 s3, exec_lo, s8
	s_cbranch_execz .LBB76_679
; %bb.678:
	v_div_scale_f64 v[173:174], null, v[160:161], v[160:161], v[158:159]
	v_div_scale_f64 v[179:180], vcc_lo, v[158:159], v[160:161], v[158:159]
	v_rcp_f64_e32 v[175:176], v[173:174]
	v_fma_f64 v[177:178], -v[173:174], v[175:176], 1.0
	v_fma_f64 v[175:176], v[175:176], v[177:178], v[175:176]
	v_fma_f64 v[177:178], -v[173:174], v[175:176], 1.0
	v_fma_f64 v[175:176], v[175:176], v[177:178], v[175:176]
	v_mul_f64 v[177:178], v[179:180], v[175:176]
	v_fma_f64 v[173:174], -v[173:174], v[177:178], v[179:180]
	v_div_fmas_f64 v[173:174], v[173:174], v[175:176], v[177:178]
	v_div_fixup_f64 v[173:174], v[173:174], v[160:161], v[158:159]
	v_fma_f64 v[158:159], v[158:159], v[173:174], v[160:161]
	v_div_scale_f64 v[160:161], null, v[158:159], v[158:159], 1.0
	v_rcp_f64_e32 v[175:176], v[160:161]
	v_fma_f64 v[177:178], -v[160:161], v[175:176], 1.0
	v_fma_f64 v[175:176], v[175:176], v[177:178], v[175:176]
	v_fma_f64 v[177:178], -v[160:161], v[175:176], 1.0
	v_fma_f64 v[175:176], v[175:176], v[177:178], v[175:176]
	v_div_scale_f64 v[177:178], vcc_lo, 1.0, v[158:159], 1.0
	v_mul_f64 v[179:180], v[177:178], v[175:176]
	v_fma_f64 v[160:161], -v[160:161], v[179:180], v[177:178]
	v_div_fmas_f64 v[160:161], v[160:161], v[175:176], v[179:180]
	v_div_fixup_f64 v[160:161], v[160:161], v[158:159], 1.0
	v_mul_f64 v[158:159], v[173:174], v[160:161]
	v_xor_b32_e32 v161, 0x80000000, v161
.LBB76_679:
	s_andn2_saveexec_b32 s3, s3
	s_cbranch_execz .LBB76_681
; %bb.680:
	v_div_scale_f64 v[173:174], null, v[158:159], v[158:159], v[160:161]
	v_div_scale_f64 v[179:180], vcc_lo, v[160:161], v[158:159], v[160:161]
	v_rcp_f64_e32 v[175:176], v[173:174]
	v_fma_f64 v[177:178], -v[173:174], v[175:176], 1.0
	v_fma_f64 v[175:176], v[175:176], v[177:178], v[175:176]
	v_fma_f64 v[177:178], -v[173:174], v[175:176], 1.0
	v_fma_f64 v[175:176], v[175:176], v[177:178], v[175:176]
	v_mul_f64 v[177:178], v[179:180], v[175:176]
	v_fma_f64 v[173:174], -v[173:174], v[177:178], v[179:180]
	v_div_fmas_f64 v[173:174], v[173:174], v[175:176], v[177:178]
	v_div_fixup_f64 v[173:174], v[173:174], v[158:159], v[160:161]
	v_fma_f64 v[158:159], v[160:161], v[173:174], v[158:159]
	v_div_scale_f64 v[160:161], null, v[158:159], v[158:159], 1.0
	v_rcp_f64_e32 v[175:176], v[160:161]
	v_fma_f64 v[177:178], -v[160:161], v[175:176], 1.0
	v_fma_f64 v[175:176], v[175:176], v[177:178], v[175:176]
	v_fma_f64 v[177:178], -v[160:161], v[175:176], 1.0
	v_fma_f64 v[175:176], v[175:176], v[177:178], v[175:176]
	v_div_scale_f64 v[177:178], vcc_lo, 1.0, v[158:159], 1.0
	v_mul_f64 v[179:180], v[177:178], v[175:176]
	v_fma_f64 v[160:161], -v[160:161], v[179:180], v[177:178]
	v_div_fmas_f64 v[160:161], v[160:161], v[175:176], v[179:180]
	v_div_fixup_f64 v[158:159], v[160:161], v[158:159], 1.0
	v_mul_f64 v[160:161], v[173:174], -v[158:159]
.LBB76_681:
	s_or_b32 exec_lo, exec_lo, s3
.LBB76_682:
	s_or_b32 exec_lo, exec_lo, s0
	s_mov_b32 s0, exec_lo
	v_cmpx_ne_u32_e64 v172, v166
	s_xor_b32 s0, exec_lo, s0
	s_cbranch_execz .LBB76_688
; %bb.683:
	s_mov_b32 s3, exec_lo
	v_cmpx_eq_u32_e32 32, v172
	s_cbranch_execz .LBB76_687
; %bb.684:
	v_cmp_ne_u32_e32 vcc_lo, 32, v166
	s_xor_b32 s8, s16, -1
	s_and_b32 s9, s8, vcc_lo
	s_and_saveexec_b32 s8, s9
	s_cbranch_execz .LBB76_686
; %bb.685:
	v_ashrrev_i32_e32 v167, 31, v166
	v_lshlrev_b64 v[172:173], 2, v[166:167]
	v_add_co_u32 v172, vcc_lo, v164, v172
	v_add_co_ci_u32_e64 v173, null, v165, v173, vcc_lo
	s_clause 0x1
	global_load_dword v0, v[172:173], off
	global_load_dword v167, v[164:165], off offset:128
	s_waitcnt vmcnt(1)
	global_store_dword v[164:165], v0, off offset:128
	s_waitcnt vmcnt(0)
	global_store_dword v[172:173], v167, off
.LBB76_686:
	s_or_b32 exec_lo, exec_lo, s8
	v_mov_b32_e32 v172, v166
	v_mov_b32_e32 v0, v166
.LBB76_687:
	s_or_b32 exec_lo, exec_lo, s3
.LBB76_688:
	s_andn2_saveexec_b32 s0, s0
	s_cbranch_execz .LBB76_690
; %bb.689:
	v_mov_b32_e32 v172, 32
	ds_write2_b64 v1, v[22:23], v[24:25] offset0:66 offset1:67
	ds_write2_b64 v1, v[18:19], v[20:21] offset0:68 offset1:69
	;; [unrolled: 1-line block ×6, first 2 shown]
.LBB76_690:
	s_or_b32 exec_lo, exec_lo, s0
	s_mov_b32 s0, exec_lo
	s_waitcnt lgkmcnt(0)
	s_waitcnt_vscnt null, 0x0
	s_barrier
	buffer_gl0_inv
	v_cmpx_lt_i32_e32 32, v172
	s_cbranch_execz .LBB76_692
; %bb.691:
	v_mul_f64 v[166:167], v[158:159], v[28:29]
	v_mul_f64 v[28:29], v[160:161], v[28:29]
	v_fma_f64 v[166:167], v[160:161], v[26:27], v[166:167]
	v_fma_f64 v[26:27], v[158:159], v[26:27], -v[28:29]
	ds_read2_b64 v[158:161], v1 offset0:66 offset1:67
	s_waitcnt lgkmcnt(0)
	v_mul_f64 v[28:29], v[160:161], v[166:167]
	v_fma_f64 v[28:29], v[158:159], v[26:27], -v[28:29]
	v_mul_f64 v[158:159], v[158:159], v[166:167]
	v_add_f64 v[22:23], v[22:23], -v[28:29]
	v_fma_f64 v[158:159], v[160:161], v[26:27], v[158:159]
	v_add_f64 v[24:25], v[24:25], -v[158:159]
	ds_read2_b64 v[158:161], v1 offset0:68 offset1:69
	s_waitcnt lgkmcnt(0)
	v_mul_f64 v[28:29], v[160:161], v[166:167]
	v_fma_f64 v[28:29], v[158:159], v[26:27], -v[28:29]
	v_mul_f64 v[158:159], v[158:159], v[166:167]
	v_add_f64 v[18:19], v[18:19], -v[28:29]
	v_fma_f64 v[158:159], v[160:161], v[26:27], v[158:159]
	v_add_f64 v[20:21], v[20:21], -v[158:159]
	;; [unrolled: 8-line block ×5, first 2 shown]
	ds_read2_b64 v[158:161], v1 offset0:76 offset1:77
	s_waitcnt lgkmcnt(0)
	v_mul_f64 v[28:29], v[160:161], v[166:167]
	v_fma_f64 v[28:29], v[158:159], v[26:27], -v[28:29]
	v_mul_f64 v[158:159], v[158:159], v[166:167]
	v_add_f64 v[2:3], v[2:3], -v[28:29]
	v_fma_f64 v[158:159], v[160:161], v[26:27], v[158:159]
	v_mov_b32_e32 v28, v166
	v_mov_b32_e32 v29, v167
	v_add_f64 v[4:5], v[4:5], -v[158:159]
.LBB76_692:
	s_or_b32 exec_lo, exec_lo, s0
	v_lshl_add_u32 v158, v172, 4, v1
	s_barrier
	buffer_gl0_inv
	v_mov_b32_e32 v166, 33
	ds_write2_b64 v158, v[22:23], v[24:25] offset1:1
	s_waitcnt lgkmcnt(0)
	s_barrier
	buffer_gl0_inv
	ds_read2_b64 v[158:161], v1 offset0:66 offset1:67
	s_cmp_lt_i32 s1, 35
	s_cbranch_scc1 .LBB76_695
; %bb.693:
	v_add3_u32 v167, v168, 0, 0x220
	v_mov_b32_e32 v166, 33
	s_mov_b32 s3, 34
	s_inst_prefetch 0x1
	.p2align	6
.LBB76_694:                             ; =>This Inner Loop Header: Depth=1
	s_waitcnt lgkmcnt(0)
	v_cmp_gt_f64_e32 vcc_lo, 0, v[160:161]
	v_cmp_gt_f64_e64 s0, 0, v[158:159]
	ds_read2_b64 v[173:176], v167 offset1:1
	v_xor_b32_e32 v178, 0x80000000, v159
	v_xor_b32_e32 v180, 0x80000000, v161
	v_mov_b32_e32 v177, v158
	v_mov_b32_e32 v179, v160
	v_add_nc_u32_e32 v167, 16, v167
	s_waitcnt lgkmcnt(0)
	v_xor_b32_e32 v182, 0x80000000, v176
	v_cndmask_b32_e64 v178, v159, v178, s0
	v_cndmask_b32_e32 v180, v161, v180, vcc_lo
	v_cmp_gt_f64_e32 vcc_lo, 0, v[175:176]
	v_cmp_gt_f64_e64 s0, 0, v[173:174]
	v_mov_b32_e32 v181, v175
	v_add_f64 v[177:178], v[177:178], v[179:180]
	v_xor_b32_e32 v180, 0x80000000, v174
	v_mov_b32_e32 v179, v173
	v_cndmask_b32_e32 v182, v176, v182, vcc_lo
	v_cndmask_b32_e64 v180, v174, v180, s0
	v_add_f64 v[179:180], v[179:180], v[181:182]
	v_cmp_lt_f64_e32 vcc_lo, v[177:178], v[179:180]
	v_cndmask_b32_e32 v159, v159, v174, vcc_lo
	v_cndmask_b32_e32 v158, v158, v173, vcc_lo
	;; [unrolled: 1-line block ×4, first 2 shown]
	v_cndmask_b32_e64 v166, v166, s3, vcc_lo
	s_add_i32 s3, s3, 1
	s_cmp_lg_u32 s1, s3
	s_cbranch_scc1 .LBB76_694
.LBB76_695:
	s_inst_prefetch 0x2
	s_waitcnt lgkmcnt(0)
	v_cmp_eq_f64_e32 vcc_lo, 0, v[158:159]
	v_cmp_eq_f64_e64 s0, 0, v[160:161]
	s_and_b32 s0, vcc_lo, s0
	s_and_saveexec_b32 s3, s0
	s_xor_b32 s0, exec_lo, s3
; %bb.696:
	v_cmp_ne_u32_e32 vcc_lo, 0, v171
	v_cndmask_b32_e32 v171, 34, v171, vcc_lo
; %bb.697:
	s_andn2_saveexec_b32 s0, s0
	s_cbranch_execz .LBB76_703
; %bb.698:
	v_cmp_ngt_f64_e64 s3, |v[158:159]|, |v[160:161]|
	s_and_saveexec_b32 s8, s3
	s_xor_b32 s3, exec_lo, s8
	s_cbranch_execz .LBB76_700
; %bb.699:
	v_div_scale_f64 v[173:174], null, v[160:161], v[160:161], v[158:159]
	v_div_scale_f64 v[179:180], vcc_lo, v[158:159], v[160:161], v[158:159]
	v_rcp_f64_e32 v[175:176], v[173:174]
	v_fma_f64 v[177:178], -v[173:174], v[175:176], 1.0
	v_fma_f64 v[175:176], v[175:176], v[177:178], v[175:176]
	v_fma_f64 v[177:178], -v[173:174], v[175:176], 1.0
	v_fma_f64 v[175:176], v[175:176], v[177:178], v[175:176]
	v_mul_f64 v[177:178], v[179:180], v[175:176]
	v_fma_f64 v[173:174], -v[173:174], v[177:178], v[179:180]
	v_div_fmas_f64 v[173:174], v[173:174], v[175:176], v[177:178]
	v_div_fixup_f64 v[173:174], v[173:174], v[160:161], v[158:159]
	v_fma_f64 v[158:159], v[158:159], v[173:174], v[160:161]
	v_div_scale_f64 v[160:161], null, v[158:159], v[158:159], 1.0
	v_rcp_f64_e32 v[175:176], v[160:161]
	v_fma_f64 v[177:178], -v[160:161], v[175:176], 1.0
	v_fma_f64 v[175:176], v[175:176], v[177:178], v[175:176]
	v_fma_f64 v[177:178], -v[160:161], v[175:176], 1.0
	v_fma_f64 v[175:176], v[175:176], v[177:178], v[175:176]
	v_div_scale_f64 v[177:178], vcc_lo, 1.0, v[158:159], 1.0
	v_mul_f64 v[179:180], v[177:178], v[175:176]
	v_fma_f64 v[160:161], -v[160:161], v[179:180], v[177:178]
	v_div_fmas_f64 v[160:161], v[160:161], v[175:176], v[179:180]
	v_div_fixup_f64 v[160:161], v[160:161], v[158:159], 1.0
	v_mul_f64 v[158:159], v[173:174], v[160:161]
	v_xor_b32_e32 v161, 0x80000000, v161
.LBB76_700:
	s_andn2_saveexec_b32 s3, s3
	s_cbranch_execz .LBB76_702
; %bb.701:
	v_div_scale_f64 v[173:174], null, v[158:159], v[158:159], v[160:161]
	v_div_scale_f64 v[179:180], vcc_lo, v[160:161], v[158:159], v[160:161]
	v_rcp_f64_e32 v[175:176], v[173:174]
	v_fma_f64 v[177:178], -v[173:174], v[175:176], 1.0
	v_fma_f64 v[175:176], v[175:176], v[177:178], v[175:176]
	v_fma_f64 v[177:178], -v[173:174], v[175:176], 1.0
	v_fma_f64 v[175:176], v[175:176], v[177:178], v[175:176]
	v_mul_f64 v[177:178], v[179:180], v[175:176]
	v_fma_f64 v[173:174], -v[173:174], v[177:178], v[179:180]
	v_div_fmas_f64 v[173:174], v[173:174], v[175:176], v[177:178]
	v_div_fixup_f64 v[173:174], v[173:174], v[158:159], v[160:161]
	v_fma_f64 v[158:159], v[160:161], v[173:174], v[158:159]
	v_div_scale_f64 v[160:161], null, v[158:159], v[158:159], 1.0
	v_rcp_f64_e32 v[175:176], v[160:161]
	v_fma_f64 v[177:178], -v[160:161], v[175:176], 1.0
	v_fma_f64 v[175:176], v[175:176], v[177:178], v[175:176]
	v_fma_f64 v[177:178], -v[160:161], v[175:176], 1.0
	v_fma_f64 v[175:176], v[175:176], v[177:178], v[175:176]
	v_div_scale_f64 v[177:178], vcc_lo, 1.0, v[158:159], 1.0
	v_mul_f64 v[179:180], v[177:178], v[175:176]
	v_fma_f64 v[160:161], -v[160:161], v[179:180], v[177:178]
	v_div_fmas_f64 v[160:161], v[160:161], v[175:176], v[179:180]
	v_div_fixup_f64 v[158:159], v[160:161], v[158:159], 1.0
	v_mul_f64 v[160:161], v[173:174], -v[158:159]
.LBB76_702:
	s_or_b32 exec_lo, exec_lo, s3
.LBB76_703:
	s_or_b32 exec_lo, exec_lo, s0
	s_mov_b32 s0, exec_lo
	v_cmpx_ne_u32_e64 v172, v166
	s_xor_b32 s0, exec_lo, s0
	s_cbranch_execz .LBB76_709
; %bb.704:
	s_mov_b32 s3, exec_lo
	v_cmpx_eq_u32_e32 33, v172
	s_cbranch_execz .LBB76_708
; %bb.705:
	v_cmp_ne_u32_e32 vcc_lo, 33, v166
	s_xor_b32 s8, s16, -1
	s_and_b32 s9, s8, vcc_lo
	s_and_saveexec_b32 s8, s9
	s_cbranch_execz .LBB76_707
; %bb.706:
	v_ashrrev_i32_e32 v167, 31, v166
	v_lshlrev_b64 v[172:173], 2, v[166:167]
	v_add_co_u32 v172, vcc_lo, v164, v172
	v_add_co_ci_u32_e64 v173, null, v165, v173, vcc_lo
	s_clause 0x1
	global_load_dword v0, v[172:173], off
	global_load_dword v167, v[164:165], off offset:132
	s_waitcnt vmcnt(1)
	global_store_dword v[164:165], v0, off offset:132
	s_waitcnt vmcnt(0)
	global_store_dword v[172:173], v167, off
.LBB76_707:
	s_or_b32 exec_lo, exec_lo, s8
	v_mov_b32_e32 v172, v166
	v_mov_b32_e32 v0, v166
.LBB76_708:
	s_or_b32 exec_lo, exec_lo, s3
.LBB76_709:
	s_andn2_saveexec_b32 s0, s0
	s_cbranch_execz .LBB76_711
; %bb.710:
	v_mov_b32_e32 v172, 33
	ds_write2_b64 v1, v[18:19], v[20:21] offset0:68 offset1:69
	ds_write2_b64 v1, v[14:15], v[16:17] offset0:70 offset1:71
	;; [unrolled: 1-line block ×5, first 2 shown]
.LBB76_711:
	s_or_b32 exec_lo, exec_lo, s0
	s_mov_b32 s0, exec_lo
	s_waitcnt lgkmcnt(0)
	s_waitcnt_vscnt null, 0x0
	s_barrier
	buffer_gl0_inv
	v_cmpx_lt_i32_e32 33, v172
	s_cbranch_execz .LBB76_713
; %bb.712:
	v_mul_f64 v[166:167], v[158:159], v[24:25]
	v_mul_f64 v[24:25], v[160:161], v[24:25]
	v_fma_f64 v[166:167], v[160:161], v[22:23], v[166:167]
	v_fma_f64 v[22:23], v[158:159], v[22:23], -v[24:25]
	ds_read2_b64 v[158:161], v1 offset0:68 offset1:69
	s_waitcnt lgkmcnt(0)
	v_mul_f64 v[24:25], v[160:161], v[166:167]
	v_fma_f64 v[24:25], v[158:159], v[22:23], -v[24:25]
	v_mul_f64 v[158:159], v[158:159], v[166:167]
	v_add_f64 v[18:19], v[18:19], -v[24:25]
	v_fma_f64 v[158:159], v[160:161], v[22:23], v[158:159]
	v_add_f64 v[20:21], v[20:21], -v[158:159]
	ds_read2_b64 v[158:161], v1 offset0:70 offset1:71
	s_waitcnt lgkmcnt(0)
	v_mul_f64 v[24:25], v[160:161], v[166:167]
	v_fma_f64 v[24:25], v[158:159], v[22:23], -v[24:25]
	v_mul_f64 v[158:159], v[158:159], v[166:167]
	v_add_f64 v[14:15], v[14:15], -v[24:25]
	v_fma_f64 v[158:159], v[160:161], v[22:23], v[158:159]
	v_add_f64 v[16:17], v[16:17], -v[158:159]
	;; [unrolled: 8-line block ×4, first 2 shown]
	ds_read2_b64 v[158:161], v1 offset0:76 offset1:77
	s_waitcnt lgkmcnt(0)
	v_mul_f64 v[24:25], v[160:161], v[166:167]
	v_fma_f64 v[24:25], v[158:159], v[22:23], -v[24:25]
	v_mul_f64 v[158:159], v[158:159], v[166:167]
	v_add_f64 v[2:3], v[2:3], -v[24:25]
	v_fma_f64 v[158:159], v[160:161], v[22:23], v[158:159]
	v_mov_b32_e32 v24, v166
	v_mov_b32_e32 v25, v167
	v_add_f64 v[4:5], v[4:5], -v[158:159]
.LBB76_713:
	s_or_b32 exec_lo, exec_lo, s0
	v_lshl_add_u32 v158, v172, 4, v1
	s_barrier
	buffer_gl0_inv
	v_mov_b32_e32 v166, 34
	ds_write2_b64 v158, v[18:19], v[20:21] offset1:1
	s_waitcnt lgkmcnt(0)
	s_barrier
	buffer_gl0_inv
	ds_read2_b64 v[158:161], v1 offset0:68 offset1:69
	s_cmp_lt_i32 s1, 36
	s_cbranch_scc1 .LBB76_716
; %bb.714:
	v_add3_u32 v167, v168, 0, 0x230
	v_mov_b32_e32 v166, 34
	s_mov_b32 s3, 35
	s_inst_prefetch 0x1
	.p2align	6
.LBB76_715:                             ; =>This Inner Loop Header: Depth=1
	s_waitcnt lgkmcnt(0)
	v_cmp_gt_f64_e32 vcc_lo, 0, v[160:161]
	v_cmp_gt_f64_e64 s0, 0, v[158:159]
	ds_read2_b64 v[173:176], v167 offset1:1
	v_xor_b32_e32 v178, 0x80000000, v159
	v_xor_b32_e32 v180, 0x80000000, v161
	v_mov_b32_e32 v177, v158
	v_mov_b32_e32 v179, v160
	v_add_nc_u32_e32 v167, 16, v167
	s_waitcnt lgkmcnt(0)
	v_xor_b32_e32 v182, 0x80000000, v176
	v_cndmask_b32_e64 v178, v159, v178, s0
	v_cndmask_b32_e32 v180, v161, v180, vcc_lo
	v_cmp_gt_f64_e32 vcc_lo, 0, v[175:176]
	v_cmp_gt_f64_e64 s0, 0, v[173:174]
	v_mov_b32_e32 v181, v175
	v_add_f64 v[177:178], v[177:178], v[179:180]
	v_xor_b32_e32 v180, 0x80000000, v174
	v_mov_b32_e32 v179, v173
	v_cndmask_b32_e32 v182, v176, v182, vcc_lo
	v_cndmask_b32_e64 v180, v174, v180, s0
	v_add_f64 v[179:180], v[179:180], v[181:182]
	v_cmp_lt_f64_e32 vcc_lo, v[177:178], v[179:180]
	v_cndmask_b32_e32 v159, v159, v174, vcc_lo
	v_cndmask_b32_e32 v158, v158, v173, vcc_lo
	;; [unrolled: 1-line block ×4, first 2 shown]
	v_cndmask_b32_e64 v166, v166, s3, vcc_lo
	s_add_i32 s3, s3, 1
	s_cmp_lg_u32 s1, s3
	s_cbranch_scc1 .LBB76_715
.LBB76_716:
	s_inst_prefetch 0x2
	s_waitcnt lgkmcnt(0)
	v_cmp_eq_f64_e32 vcc_lo, 0, v[158:159]
	v_cmp_eq_f64_e64 s0, 0, v[160:161]
	s_and_b32 s0, vcc_lo, s0
	s_and_saveexec_b32 s3, s0
	s_xor_b32 s0, exec_lo, s3
; %bb.717:
	v_cmp_ne_u32_e32 vcc_lo, 0, v171
	v_cndmask_b32_e32 v171, 35, v171, vcc_lo
; %bb.718:
	s_andn2_saveexec_b32 s0, s0
	s_cbranch_execz .LBB76_724
; %bb.719:
	v_cmp_ngt_f64_e64 s3, |v[158:159]|, |v[160:161]|
	s_and_saveexec_b32 s8, s3
	s_xor_b32 s3, exec_lo, s8
	s_cbranch_execz .LBB76_721
; %bb.720:
	v_div_scale_f64 v[173:174], null, v[160:161], v[160:161], v[158:159]
	v_div_scale_f64 v[179:180], vcc_lo, v[158:159], v[160:161], v[158:159]
	v_rcp_f64_e32 v[175:176], v[173:174]
	v_fma_f64 v[177:178], -v[173:174], v[175:176], 1.0
	v_fma_f64 v[175:176], v[175:176], v[177:178], v[175:176]
	v_fma_f64 v[177:178], -v[173:174], v[175:176], 1.0
	v_fma_f64 v[175:176], v[175:176], v[177:178], v[175:176]
	v_mul_f64 v[177:178], v[179:180], v[175:176]
	v_fma_f64 v[173:174], -v[173:174], v[177:178], v[179:180]
	v_div_fmas_f64 v[173:174], v[173:174], v[175:176], v[177:178]
	v_div_fixup_f64 v[173:174], v[173:174], v[160:161], v[158:159]
	v_fma_f64 v[158:159], v[158:159], v[173:174], v[160:161]
	v_div_scale_f64 v[160:161], null, v[158:159], v[158:159], 1.0
	v_rcp_f64_e32 v[175:176], v[160:161]
	v_fma_f64 v[177:178], -v[160:161], v[175:176], 1.0
	v_fma_f64 v[175:176], v[175:176], v[177:178], v[175:176]
	v_fma_f64 v[177:178], -v[160:161], v[175:176], 1.0
	v_fma_f64 v[175:176], v[175:176], v[177:178], v[175:176]
	v_div_scale_f64 v[177:178], vcc_lo, 1.0, v[158:159], 1.0
	v_mul_f64 v[179:180], v[177:178], v[175:176]
	v_fma_f64 v[160:161], -v[160:161], v[179:180], v[177:178]
	v_div_fmas_f64 v[160:161], v[160:161], v[175:176], v[179:180]
	v_div_fixup_f64 v[160:161], v[160:161], v[158:159], 1.0
	v_mul_f64 v[158:159], v[173:174], v[160:161]
	v_xor_b32_e32 v161, 0x80000000, v161
.LBB76_721:
	s_andn2_saveexec_b32 s3, s3
	s_cbranch_execz .LBB76_723
; %bb.722:
	v_div_scale_f64 v[173:174], null, v[158:159], v[158:159], v[160:161]
	v_div_scale_f64 v[179:180], vcc_lo, v[160:161], v[158:159], v[160:161]
	v_rcp_f64_e32 v[175:176], v[173:174]
	v_fma_f64 v[177:178], -v[173:174], v[175:176], 1.0
	v_fma_f64 v[175:176], v[175:176], v[177:178], v[175:176]
	v_fma_f64 v[177:178], -v[173:174], v[175:176], 1.0
	v_fma_f64 v[175:176], v[175:176], v[177:178], v[175:176]
	v_mul_f64 v[177:178], v[179:180], v[175:176]
	v_fma_f64 v[173:174], -v[173:174], v[177:178], v[179:180]
	v_div_fmas_f64 v[173:174], v[173:174], v[175:176], v[177:178]
	v_div_fixup_f64 v[173:174], v[173:174], v[158:159], v[160:161]
	v_fma_f64 v[158:159], v[160:161], v[173:174], v[158:159]
	v_div_scale_f64 v[160:161], null, v[158:159], v[158:159], 1.0
	v_rcp_f64_e32 v[175:176], v[160:161]
	v_fma_f64 v[177:178], -v[160:161], v[175:176], 1.0
	v_fma_f64 v[175:176], v[175:176], v[177:178], v[175:176]
	v_fma_f64 v[177:178], -v[160:161], v[175:176], 1.0
	v_fma_f64 v[175:176], v[175:176], v[177:178], v[175:176]
	v_div_scale_f64 v[177:178], vcc_lo, 1.0, v[158:159], 1.0
	v_mul_f64 v[179:180], v[177:178], v[175:176]
	v_fma_f64 v[160:161], -v[160:161], v[179:180], v[177:178]
	v_div_fmas_f64 v[160:161], v[160:161], v[175:176], v[179:180]
	v_div_fixup_f64 v[158:159], v[160:161], v[158:159], 1.0
	v_mul_f64 v[160:161], v[173:174], -v[158:159]
.LBB76_723:
	s_or_b32 exec_lo, exec_lo, s3
.LBB76_724:
	s_or_b32 exec_lo, exec_lo, s0
	s_mov_b32 s0, exec_lo
	v_cmpx_ne_u32_e64 v172, v166
	s_xor_b32 s0, exec_lo, s0
	s_cbranch_execz .LBB76_730
; %bb.725:
	s_mov_b32 s3, exec_lo
	v_cmpx_eq_u32_e32 34, v172
	s_cbranch_execz .LBB76_729
; %bb.726:
	v_cmp_ne_u32_e32 vcc_lo, 34, v166
	s_xor_b32 s8, s16, -1
	s_and_b32 s9, s8, vcc_lo
	s_and_saveexec_b32 s8, s9
	s_cbranch_execz .LBB76_728
; %bb.727:
	v_ashrrev_i32_e32 v167, 31, v166
	v_lshlrev_b64 v[172:173], 2, v[166:167]
	v_add_co_u32 v172, vcc_lo, v164, v172
	v_add_co_ci_u32_e64 v173, null, v165, v173, vcc_lo
	s_clause 0x1
	global_load_dword v0, v[172:173], off
	global_load_dword v167, v[164:165], off offset:136
	s_waitcnt vmcnt(1)
	global_store_dword v[164:165], v0, off offset:136
	s_waitcnt vmcnt(0)
	global_store_dword v[172:173], v167, off
.LBB76_728:
	s_or_b32 exec_lo, exec_lo, s8
	v_mov_b32_e32 v172, v166
	v_mov_b32_e32 v0, v166
.LBB76_729:
	s_or_b32 exec_lo, exec_lo, s3
.LBB76_730:
	s_andn2_saveexec_b32 s0, s0
	s_cbranch_execz .LBB76_732
; %bb.731:
	v_mov_b32_e32 v172, 34
	ds_write2_b64 v1, v[14:15], v[16:17] offset0:70 offset1:71
	ds_write2_b64 v1, v[10:11], v[12:13] offset0:72 offset1:73
	;; [unrolled: 1-line block ×4, first 2 shown]
.LBB76_732:
	s_or_b32 exec_lo, exec_lo, s0
	s_mov_b32 s0, exec_lo
	s_waitcnt lgkmcnt(0)
	s_waitcnt_vscnt null, 0x0
	s_barrier
	buffer_gl0_inv
	v_cmpx_lt_i32_e32 34, v172
	s_cbranch_execz .LBB76_734
; %bb.733:
	v_mul_f64 v[166:167], v[158:159], v[20:21]
	v_mul_f64 v[20:21], v[160:161], v[20:21]
	v_fma_f64 v[166:167], v[160:161], v[18:19], v[166:167]
	v_fma_f64 v[18:19], v[158:159], v[18:19], -v[20:21]
	ds_read2_b64 v[158:161], v1 offset0:70 offset1:71
	s_waitcnt lgkmcnt(0)
	v_mul_f64 v[20:21], v[160:161], v[166:167]
	v_fma_f64 v[20:21], v[158:159], v[18:19], -v[20:21]
	v_mul_f64 v[158:159], v[158:159], v[166:167]
	v_add_f64 v[14:15], v[14:15], -v[20:21]
	v_fma_f64 v[158:159], v[160:161], v[18:19], v[158:159]
	v_add_f64 v[16:17], v[16:17], -v[158:159]
	ds_read2_b64 v[158:161], v1 offset0:72 offset1:73
	s_waitcnt lgkmcnt(0)
	v_mul_f64 v[20:21], v[160:161], v[166:167]
	v_fma_f64 v[20:21], v[158:159], v[18:19], -v[20:21]
	v_mul_f64 v[158:159], v[158:159], v[166:167]
	v_add_f64 v[10:11], v[10:11], -v[20:21]
	v_fma_f64 v[158:159], v[160:161], v[18:19], v[158:159]
	v_add_f64 v[12:13], v[12:13], -v[158:159]
	;; [unrolled: 8-line block ×3, first 2 shown]
	ds_read2_b64 v[158:161], v1 offset0:76 offset1:77
	s_waitcnt lgkmcnt(0)
	v_mul_f64 v[20:21], v[160:161], v[166:167]
	v_fma_f64 v[20:21], v[158:159], v[18:19], -v[20:21]
	v_mul_f64 v[158:159], v[158:159], v[166:167]
	v_add_f64 v[2:3], v[2:3], -v[20:21]
	v_fma_f64 v[158:159], v[160:161], v[18:19], v[158:159]
	v_mov_b32_e32 v20, v166
	v_mov_b32_e32 v21, v167
	v_add_f64 v[4:5], v[4:5], -v[158:159]
.LBB76_734:
	s_or_b32 exec_lo, exec_lo, s0
	v_lshl_add_u32 v158, v172, 4, v1
	s_barrier
	buffer_gl0_inv
	v_mov_b32_e32 v166, 35
	ds_write2_b64 v158, v[14:15], v[16:17] offset1:1
	s_waitcnt lgkmcnt(0)
	s_barrier
	buffer_gl0_inv
	ds_read2_b64 v[158:161], v1 offset0:70 offset1:71
	s_cmp_lt_i32 s1, 37
	s_cbranch_scc1 .LBB76_737
; %bb.735:
	v_add3_u32 v167, v168, 0, 0x240
	v_mov_b32_e32 v166, 35
	s_mov_b32 s3, 36
	s_inst_prefetch 0x1
	.p2align	6
.LBB76_736:                             ; =>This Inner Loop Header: Depth=1
	s_waitcnt lgkmcnt(0)
	v_cmp_gt_f64_e32 vcc_lo, 0, v[160:161]
	v_cmp_gt_f64_e64 s0, 0, v[158:159]
	ds_read2_b64 v[173:176], v167 offset1:1
	v_xor_b32_e32 v178, 0x80000000, v159
	v_xor_b32_e32 v180, 0x80000000, v161
	v_mov_b32_e32 v177, v158
	v_mov_b32_e32 v179, v160
	v_add_nc_u32_e32 v167, 16, v167
	s_waitcnt lgkmcnt(0)
	v_xor_b32_e32 v182, 0x80000000, v176
	v_cndmask_b32_e64 v178, v159, v178, s0
	v_cndmask_b32_e32 v180, v161, v180, vcc_lo
	v_cmp_gt_f64_e32 vcc_lo, 0, v[175:176]
	v_cmp_gt_f64_e64 s0, 0, v[173:174]
	v_mov_b32_e32 v181, v175
	v_add_f64 v[177:178], v[177:178], v[179:180]
	v_xor_b32_e32 v180, 0x80000000, v174
	v_mov_b32_e32 v179, v173
	v_cndmask_b32_e32 v182, v176, v182, vcc_lo
	v_cndmask_b32_e64 v180, v174, v180, s0
	v_add_f64 v[179:180], v[179:180], v[181:182]
	v_cmp_lt_f64_e32 vcc_lo, v[177:178], v[179:180]
	v_cndmask_b32_e32 v159, v159, v174, vcc_lo
	v_cndmask_b32_e32 v158, v158, v173, vcc_lo
	;; [unrolled: 1-line block ×4, first 2 shown]
	v_cndmask_b32_e64 v166, v166, s3, vcc_lo
	s_add_i32 s3, s3, 1
	s_cmp_lg_u32 s1, s3
	s_cbranch_scc1 .LBB76_736
.LBB76_737:
	s_inst_prefetch 0x2
	s_waitcnt lgkmcnt(0)
	v_cmp_eq_f64_e32 vcc_lo, 0, v[158:159]
	v_cmp_eq_f64_e64 s0, 0, v[160:161]
	s_and_b32 s0, vcc_lo, s0
	s_and_saveexec_b32 s3, s0
	s_xor_b32 s0, exec_lo, s3
; %bb.738:
	v_cmp_ne_u32_e32 vcc_lo, 0, v171
	v_cndmask_b32_e32 v171, 36, v171, vcc_lo
; %bb.739:
	s_andn2_saveexec_b32 s0, s0
	s_cbranch_execz .LBB76_745
; %bb.740:
	v_cmp_ngt_f64_e64 s3, |v[158:159]|, |v[160:161]|
	s_and_saveexec_b32 s8, s3
	s_xor_b32 s3, exec_lo, s8
	s_cbranch_execz .LBB76_742
; %bb.741:
	v_div_scale_f64 v[173:174], null, v[160:161], v[160:161], v[158:159]
	v_div_scale_f64 v[179:180], vcc_lo, v[158:159], v[160:161], v[158:159]
	v_rcp_f64_e32 v[175:176], v[173:174]
	v_fma_f64 v[177:178], -v[173:174], v[175:176], 1.0
	v_fma_f64 v[175:176], v[175:176], v[177:178], v[175:176]
	v_fma_f64 v[177:178], -v[173:174], v[175:176], 1.0
	v_fma_f64 v[175:176], v[175:176], v[177:178], v[175:176]
	v_mul_f64 v[177:178], v[179:180], v[175:176]
	v_fma_f64 v[173:174], -v[173:174], v[177:178], v[179:180]
	v_div_fmas_f64 v[173:174], v[173:174], v[175:176], v[177:178]
	v_div_fixup_f64 v[173:174], v[173:174], v[160:161], v[158:159]
	v_fma_f64 v[158:159], v[158:159], v[173:174], v[160:161]
	v_div_scale_f64 v[160:161], null, v[158:159], v[158:159], 1.0
	v_rcp_f64_e32 v[175:176], v[160:161]
	v_fma_f64 v[177:178], -v[160:161], v[175:176], 1.0
	v_fma_f64 v[175:176], v[175:176], v[177:178], v[175:176]
	v_fma_f64 v[177:178], -v[160:161], v[175:176], 1.0
	v_fma_f64 v[175:176], v[175:176], v[177:178], v[175:176]
	v_div_scale_f64 v[177:178], vcc_lo, 1.0, v[158:159], 1.0
	v_mul_f64 v[179:180], v[177:178], v[175:176]
	v_fma_f64 v[160:161], -v[160:161], v[179:180], v[177:178]
	v_div_fmas_f64 v[160:161], v[160:161], v[175:176], v[179:180]
	v_div_fixup_f64 v[160:161], v[160:161], v[158:159], 1.0
	v_mul_f64 v[158:159], v[173:174], v[160:161]
	v_xor_b32_e32 v161, 0x80000000, v161
.LBB76_742:
	s_andn2_saveexec_b32 s3, s3
	s_cbranch_execz .LBB76_744
; %bb.743:
	v_div_scale_f64 v[173:174], null, v[158:159], v[158:159], v[160:161]
	v_div_scale_f64 v[179:180], vcc_lo, v[160:161], v[158:159], v[160:161]
	v_rcp_f64_e32 v[175:176], v[173:174]
	v_fma_f64 v[177:178], -v[173:174], v[175:176], 1.0
	v_fma_f64 v[175:176], v[175:176], v[177:178], v[175:176]
	v_fma_f64 v[177:178], -v[173:174], v[175:176], 1.0
	v_fma_f64 v[175:176], v[175:176], v[177:178], v[175:176]
	v_mul_f64 v[177:178], v[179:180], v[175:176]
	v_fma_f64 v[173:174], -v[173:174], v[177:178], v[179:180]
	v_div_fmas_f64 v[173:174], v[173:174], v[175:176], v[177:178]
	v_div_fixup_f64 v[173:174], v[173:174], v[158:159], v[160:161]
	v_fma_f64 v[158:159], v[160:161], v[173:174], v[158:159]
	v_div_scale_f64 v[160:161], null, v[158:159], v[158:159], 1.0
	v_rcp_f64_e32 v[175:176], v[160:161]
	v_fma_f64 v[177:178], -v[160:161], v[175:176], 1.0
	v_fma_f64 v[175:176], v[175:176], v[177:178], v[175:176]
	v_fma_f64 v[177:178], -v[160:161], v[175:176], 1.0
	v_fma_f64 v[175:176], v[175:176], v[177:178], v[175:176]
	v_div_scale_f64 v[177:178], vcc_lo, 1.0, v[158:159], 1.0
	v_mul_f64 v[179:180], v[177:178], v[175:176]
	v_fma_f64 v[160:161], -v[160:161], v[179:180], v[177:178]
	v_div_fmas_f64 v[160:161], v[160:161], v[175:176], v[179:180]
	v_div_fixup_f64 v[158:159], v[160:161], v[158:159], 1.0
	v_mul_f64 v[160:161], v[173:174], -v[158:159]
.LBB76_744:
	s_or_b32 exec_lo, exec_lo, s3
.LBB76_745:
	s_or_b32 exec_lo, exec_lo, s0
	s_mov_b32 s0, exec_lo
	v_cmpx_ne_u32_e64 v172, v166
	s_xor_b32 s0, exec_lo, s0
	s_cbranch_execz .LBB76_751
; %bb.746:
	s_mov_b32 s3, exec_lo
	v_cmpx_eq_u32_e32 35, v172
	s_cbranch_execz .LBB76_750
; %bb.747:
	v_cmp_ne_u32_e32 vcc_lo, 35, v166
	s_xor_b32 s8, s16, -1
	s_and_b32 s9, s8, vcc_lo
	s_and_saveexec_b32 s8, s9
	s_cbranch_execz .LBB76_749
; %bb.748:
	v_ashrrev_i32_e32 v167, 31, v166
	v_lshlrev_b64 v[172:173], 2, v[166:167]
	v_add_co_u32 v172, vcc_lo, v164, v172
	v_add_co_ci_u32_e64 v173, null, v165, v173, vcc_lo
	s_clause 0x1
	global_load_dword v0, v[172:173], off
	global_load_dword v167, v[164:165], off offset:140
	s_waitcnt vmcnt(1)
	global_store_dword v[164:165], v0, off offset:140
	s_waitcnt vmcnt(0)
	global_store_dword v[172:173], v167, off
.LBB76_749:
	s_or_b32 exec_lo, exec_lo, s8
	v_mov_b32_e32 v172, v166
	v_mov_b32_e32 v0, v166
.LBB76_750:
	s_or_b32 exec_lo, exec_lo, s3
.LBB76_751:
	s_andn2_saveexec_b32 s0, s0
	s_cbranch_execz .LBB76_753
; %bb.752:
	v_mov_b32_e32 v172, 35
	ds_write2_b64 v1, v[10:11], v[12:13] offset0:72 offset1:73
	ds_write2_b64 v1, v[6:7], v[8:9] offset0:74 offset1:75
	;; [unrolled: 1-line block ×3, first 2 shown]
.LBB76_753:
	s_or_b32 exec_lo, exec_lo, s0
	s_mov_b32 s0, exec_lo
	s_waitcnt lgkmcnt(0)
	s_waitcnt_vscnt null, 0x0
	s_barrier
	buffer_gl0_inv
	v_cmpx_lt_i32_e32 35, v172
	s_cbranch_execz .LBB76_755
; %bb.754:
	v_mul_f64 v[166:167], v[158:159], v[16:17]
	v_mul_f64 v[16:17], v[160:161], v[16:17]
	v_fma_f64 v[166:167], v[160:161], v[14:15], v[166:167]
	v_fma_f64 v[14:15], v[158:159], v[14:15], -v[16:17]
	ds_read2_b64 v[158:161], v1 offset0:72 offset1:73
	s_waitcnt lgkmcnt(0)
	v_mul_f64 v[16:17], v[160:161], v[166:167]
	v_fma_f64 v[16:17], v[158:159], v[14:15], -v[16:17]
	v_mul_f64 v[158:159], v[158:159], v[166:167]
	v_add_f64 v[10:11], v[10:11], -v[16:17]
	v_fma_f64 v[158:159], v[160:161], v[14:15], v[158:159]
	v_add_f64 v[12:13], v[12:13], -v[158:159]
	ds_read2_b64 v[158:161], v1 offset0:74 offset1:75
	s_waitcnt lgkmcnt(0)
	v_mul_f64 v[16:17], v[160:161], v[166:167]
	v_fma_f64 v[16:17], v[158:159], v[14:15], -v[16:17]
	v_mul_f64 v[158:159], v[158:159], v[166:167]
	v_add_f64 v[6:7], v[6:7], -v[16:17]
	v_fma_f64 v[158:159], v[160:161], v[14:15], v[158:159]
	v_add_f64 v[8:9], v[8:9], -v[158:159]
	ds_read2_b64 v[158:161], v1 offset0:76 offset1:77
	s_waitcnt lgkmcnt(0)
	v_mul_f64 v[16:17], v[160:161], v[166:167]
	v_fma_f64 v[16:17], v[158:159], v[14:15], -v[16:17]
	v_mul_f64 v[158:159], v[158:159], v[166:167]
	v_add_f64 v[2:3], v[2:3], -v[16:17]
	v_fma_f64 v[158:159], v[160:161], v[14:15], v[158:159]
	v_mov_b32_e32 v16, v166
	v_mov_b32_e32 v17, v167
	v_add_f64 v[4:5], v[4:5], -v[158:159]
.LBB76_755:
	s_or_b32 exec_lo, exec_lo, s0
	v_lshl_add_u32 v158, v172, 4, v1
	s_barrier
	buffer_gl0_inv
	v_mov_b32_e32 v166, 36
	ds_write2_b64 v158, v[10:11], v[12:13] offset1:1
	s_waitcnt lgkmcnt(0)
	s_barrier
	buffer_gl0_inv
	ds_read2_b64 v[158:161], v1 offset0:72 offset1:73
	s_cmp_lt_i32 s1, 38
	s_cbranch_scc1 .LBB76_758
; %bb.756:
	v_add3_u32 v167, v168, 0, 0x250
	v_mov_b32_e32 v166, 36
	s_mov_b32 s3, 37
	s_inst_prefetch 0x1
	.p2align	6
.LBB76_757:                             ; =>This Inner Loop Header: Depth=1
	s_waitcnt lgkmcnt(0)
	v_cmp_gt_f64_e32 vcc_lo, 0, v[160:161]
	v_cmp_gt_f64_e64 s0, 0, v[158:159]
	ds_read2_b64 v[173:176], v167 offset1:1
	v_xor_b32_e32 v178, 0x80000000, v159
	v_xor_b32_e32 v180, 0x80000000, v161
	v_mov_b32_e32 v177, v158
	v_mov_b32_e32 v179, v160
	v_add_nc_u32_e32 v167, 16, v167
	s_waitcnt lgkmcnt(0)
	v_xor_b32_e32 v182, 0x80000000, v176
	v_cndmask_b32_e64 v178, v159, v178, s0
	v_cndmask_b32_e32 v180, v161, v180, vcc_lo
	v_cmp_gt_f64_e32 vcc_lo, 0, v[175:176]
	v_cmp_gt_f64_e64 s0, 0, v[173:174]
	v_mov_b32_e32 v181, v175
	v_add_f64 v[177:178], v[177:178], v[179:180]
	v_xor_b32_e32 v180, 0x80000000, v174
	v_mov_b32_e32 v179, v173
	v_cndmask_b32_e32 v182, v176, v182, vcc_lo
	v_cndmask_b32_e64 v180, v174, v180, s0
	v_add_f64 v[179:180], v[179:180], v[181:182]
	v_cmp_lt_f64_e32 vcc_lo, v[177:178], v[179:180]
	v_cndmask_b32_e32 v159, v159, v174, vcc_lo
	v_cndmask_b32_e32 v158, v158, v173, vcc_lo
	;; [unrolled: 1-line block ×4, first 2 shown]
	v_cndmask_b32_e64 v166, v166, s3, vcc_lo
	s_add_i32 s3, s3, 1
	s_cmp_lg_u32 s1, s3
	s_cbranch_scc1 .LBB76_757
.LBB76_758:
	s_inst_prefetch 0x2
	s_waitcnt lgkmcnt(0)
	v_cmp_eq_f64_e32 vcc_lo, 0, v[158:159]
	v_cmp_eq_f64_e64 s0, 0, v[160:161]
	s_and_b32 s0, vcc_lo, s0
	s_and_saveexec_b32 s3, s0
	s_xor_b32 s0, exec_lo, s3
; %bb.759:
	v_cmp_ne_u32_e32 vcc_lo, 0, v171
	v_cndmask_b32_e32 v171, 37, v171, vcc_lo
; %bb.760:
	s_andn2_saveexec_b32 s0, s0
	s_cbranch_execz .LBB76_766
; %bb.761:
	v_cmp_ngt_f64_e64 s3, |v[158:159]|, |v[160:161]|
	s_and_saveexec_b32 s8, s3
	s_xor_b32 s3, exec_lo, s8
	s_cbranch_execz .LBB76_763
; %bb.762:
	v_div_scale_f64 v[173:174], null, v[160:161], v[160:161], v[158:159]
	v_div_scale_f64 v[179:180], vcc_lo, v[158:159], v[160:161], v[158:159]
	v_rcp_f64_e32 v[175:176], v[173:174]
	v_fma_f64 v[177:178], -v[173:174], v[175:176], 1.0
	v_fma_f64 v[175:176], v[175:176], v[177:178], v[175:176]
	v_fma_f64 v[177:178], -v[173:174], v[175:176], 1.0
	v_fma_f64 v[175:176], v[175:176], v[177:178], v[175:176]
	v_mul_f64 v[177:178], v[179:180], v[175:176]
	v_fma_f64 v[173:174], -v[173:174], v[177:178], v[179:180]
	v_div_fmas_f64 v[173:174], v[173:174], v[175:176], v[177:178]
	v_div_fixup_f64 v[173:174], v[173:174], v[160:161], v[158:159]
	v_fma_f64 v[158:159], v[158:159], v[173:174], v[160:161]
	v_div_scale_f64 v[160:161], null, v[158:159], v[158:159], 1.0
	v_rcp_f64_e32 v[175:176], v[160:161]
	v_fma_f64 v[177:178], -v[160:161], v[175:176], 1.0
	v_fma_f64 v[175:176], v[175:176], v[177:178], v[175:176]
	v_fma_f64 v[177:178], -v[160:161], v[175:176], 1.0
	v_fma_f64 v[175:176], v[175:176], v[177:178], v[175:176]
	v_div_scale_f64 v[177:178], vcc_lo, 1.0, v[158:159], 1.0
	v_mul_f64 v[179:180], v[177:178], v[175:176]
	v_fma_f64 v[160:161], -v[160:161], v[179:180], v[177:178]
	v_div_fmas_f64 v[160:161], v[160:161], v[175:176], v[179:180]
	v_div_fixup_f64 v[160:161], v[160:161], v[158:159], 1.0
	v_mul_f64 v[158:159], v[173:174], v[160:161]
	v_xor_b32_e32 v161, 0x80000000, v161
.LBB76_763:
	s_andn2_saveexec_b32 s3, s3
	s_cbranch_execz .LBB76_765
; %bb.764:
	v_div_scale_f64 v[173:174], null, v[158:159], v[158:159], v[160:161]
	v_div_scale_f64 v[179:180], vcc_lo, v[160:161], v[158:159], v[160:161]
	v_rcp_f64_e32 v[175:176], v[173:174]
	v_fma_f64 v[177:178], -v[173:174], v[175:176], 1.0
	v_fma_f64 v[175:176], v[175:176], v[177:178], v[175:176]
	v_fma_f64 v[177:178], -v[173:174], v[175:176], 1.0
	v_fma_f64 v[175:176], v[175:176], v[177:178], v[175:176]
	v_mul_f64 v[177:178], v[179:180], v[175:176]
	v_fma_f64 v[173:174], -v[173:174], v[177:178], v[179:180]
	v_div_fmas_f64 v[173:174], v[173:174], v[175:176], v[177:178]
	v_div_fixup_f64 v[173:174], v[173:174], v[158:159], v[160:161]
	v_fma_f64 v[158:159], v[160:161], v[173:174], v[158:159]
	v_div_scale_f64 v[160:161], null, v[158:159], v[158:159], 1.0
	v_rcp_f64_e32 v[175:176], v[160:161]
	v_fma_f64 v[177:178], -v[160:161], v[175:176], 1.0
	v_fma_f64 v[175:176], v[175:176], v[177:178], v[175:176]
	v_fma_f64 v[177:178], -v[160:161], v[175:176], 1.0
	v_fma_f64 v[175:176], v[175:176], v[177:178], v[175:176]
	v_div_scale_f64 v[177:178], vcc_lo, 1.0, v[158:159], 1.0
	v_mul_f64 v[179:180], v[177:178], v[175:176]
	v_fma_f64 v[160:161], -v[160:161], v[179:180], v[177:178]
	v_div_fmas_f64 v[160:161], v[160:161], v[175:176], v[179:180]
	v_div_fixup_f64 v[158:159], v[160:161], v[158:159], 1.0
	v_mul_f64 v[160:161], v[173:174], -v[158:159]
.LBB76_765:
	s_or_b32 exec_lo, exec_lo, s3
.LBB76_766:
	s_or_b32 exec_lo, exec_lo, s0
	s_mov_b32 s0, exec_lo
	v_cmpx_ne_u32_e64 v172, v166
	s_xor_b32 s0, exec_lo, s0
	s_cbranch_execz .LBB76_772
; %bb.767:
	s_mov_b32 s3, exec_lo
	v_cmpx_eq_u32_e32 36, v172
	s_cbranch_execz .LBB76_771
; %bb.768:
	v_cmp_ne_u32_e32 vcc_lo, 36, v166
	s_xor_b32 s8, s16, -1
	s_and_b32 s9, s8, vcc_lo
	s_and_saveexec_b32 s8, s9
	s_cbranch_execz .LBB76_770
; %bb.769:
	v_ashrrev_i32_e32 v167, 31, v166
	v_lshlrev_b64 v[172:173], 2, v[166:167]
	v_add_co_u32 v172, vcc_lo, v164, v172
	v_add_co_ci_u32_e64 v173, null, v165, v173, vcc_lo
	s_clause 0x1
	global_load_dword v0, v[172:173], off
	global_load_dword v167, v[164:165], off offset:144
	s_waitcnt vmcnt(1)
	global_store_dword v[164:165], v0, off offset:144
	s_waitcnt vmcnt(0)
	global_store_dword v[172:173], v167, off
.LBB76_770:
	s_or_b32 exec_lo, exec_lo, s8
	v_mov_b32_e32 v172, v166
	v_mov_b32_e32 v0, v166
.LBB76_771:
	s_or_b32 exec_lo, exec_lo, s3
.LBB76_772:
	s_andn2_saveexec_b32 s0, s0
	s_cbranch_execz .LBB76_774
; %bb.773:
	v_mov_b32_e32 v172, 36
	ds_write2_b64 v1, v[6:7], v[8:9] offset0:74 offset1:75
	ds_write2_b64 v1, v[2:3], v[4:5] offset0:76 offset1:77
.LBB76_774:
	s_or_b32 exec_lo, exec_lo, s0
	s_mov_b32 s0, exec_lo
	s_waitcnt lgkmcnt(0)
	s_waitcnt_vscnt null, 0x0
	s_barrier
	buffer_gl0_inv
	v_cmpx_lt_i32_e32 36, v172
	s_cbranch_execz .LBB76_776
; %bb.775:
	v_mul_f64 v[166:167], v[158:159], v[12:13]
	v_mul_f64 v[12:13], v[160:161], v[12:13]
	ds_read2_b64 v[173:176], v1 offset0:74 offset1:75
	ds_read2_b64 v[177:180], v1 offset0:76 offset1:77
	v_fma_f64 v[160:161], v[160:161], v[10:11], v[166:167]
	v_fma_f64 v[10:11], v[158:159], v[10:11], -v[12:13]
	s_waitcnt lgkmcnt(1)
	v_mul_f64 v[12:13], v[175:176], v[160:161]
	v_mul_f64 v[158:159], v[173:174], v[160:161]
	s_waitcnt lgkmcnt(0)
	v_mul_f64 v[166:167], v[179:180], v[160:161]
	v_mul_f64 v[181:182], v[177:178], v[160:161]
	v_fma_f64 v[12:13], v[173:174], v[10:11], -v[12:13]
	v_fma_f64 v[158:159], v[175:176], v[10:11], v[158:159]
	v_fma_f64 v[166:167], v[177:178], v[10:11], -v[166:167]
	v_fma_f64 v[173:174], v[179:180], v[10:11], v[181:182]
	v_add_f64 v[6:7], v[6:7], -v[12:13]
	v_add_f64 v[8:9], v[8:9], -v[158:159]
	;; [unrolled: 1-line block ×4, first 2 shown]
	v_mov_b32_e32 v12, v160
	v_mov_b32_e32 v13, v161
.LBB76_776:
	s_or_b32 exec_lo, exec_lo, s0
	v_lshl_add_u32 v158, v172, 4, v1
	s_barrier
	buffer_gl0_inv
	v_mov_b32_e32 v166, 37
	ds_write2_b64 v158, v[6:7], v[8:9] offset1:1
	s_waitcnt lgkmcnt(0)
	s_barrier
	buffer_gl0_inv
	ds_read2_b64 v[158:161], v1 offset0:74 offset1:75
	s_cmp_lt_i32 s1, 39
	s_cbranch_scc1 .LBB76_779
; %bb.777:
	v_add3_u32 v167, v168, 0, 0x260
	v_mov_b32_e32 v166, 37
	s_mov_b32 s3, 38
	s_inst_prefetch 0x1
	.p2align	6
.LBB76_778:                             ; =>This Inner Loop Header: Depth=1
	s_waitcnt lgkmcnt(0)
	v_cmp_gt_f64_e32 vcc_lo, 0, v[160:161]
	v_cmp_gt_f64_e64 s0, 0, v[158:159]
	ds_read2_b64 v[173:176], v167 offset1:1
	v_xor_b32_e32 v178, 0x80000000, v159
	v_xor_b32_e32 v180, 0x80000000, v161
	v_mov_b32_e32 v177, v158
	v_mov_b32_e32 v179, v160
	v_add_nc_u32_e32 v167, 16, v167
	s_waitcnt lgkmcnt(0)
	v_xor_b32_e32 v182, 0x80000000, v176
	v_cndmask_b32_e64 v178, v159, v178, s0
	v_cndmask_b32_e32 v180, v161, v180, vcc_lo
	v_cmp_gt_f64_e32 vcc_lo, 0, v[175:176]
	v_cmp_gt_f64_e64 s0, 0, v[173:174]
	v_mov_b32_e32 v181, v175
	v_add_f64 v[177:178], v[177:178], v[179:180]
	v_xor_b32_e32 v180, 0x80000000, v174
	v_mov_b32_e32 v179, v173
	v_cndmask_b32_e32 v182, v176, v182, vcc_lo
	v_cndmask_b32_e64 v180, v174, v180, s0
	v_add_f64 v[179:180], v[179:180], v[181:182]
	v_cmp_lt_f64_e32 vcc_lo, v[177:178], v[179:180]
	v_cndmask_b32_e32 v159, v159, v174, vcc_lo
	v_cndmask_b32_e32 v158, v158, v173, vcc_lo
	;; [unrolled: 1-line block ×4, first 2 shown]
	v_cndmask_b32_e64 v166, v166, s3, vcc_lo
	s_add_i32 s3, s3, 1
	s_cmp_lg_u32 s1, s3
	s_cbranch_scc1 .LBB76_778
.LBB76_779:
	s_inst_prefetch 0x2
	s_waitcnt lgkmcnt(0)
	v_cmp_eq_f64_e32 vcc_lo, 0, v[158:159]
	v_cmp_eq_f64_e64 s0, 0, v[160:161]
	s_and_b32 s0, vcc_lo, s0
	s_and_saveexec_b32 s3, s0
	s_xor_b32 s0, exec_lo, s3
; %bb.780:
	v_cmp_ne_u32_e32 vcc_lo, 0, v171
	v_cndmask_b32_e32 v171, 38, v171, vcc_lo
; %bb.781:
	s_andn2_saveexec_b32 s0, s0
	s_cbranch_execz .LBB76_787
; %bb.782:
	v_cmp_ngt_f64_e64 s3, |v[158:159]|, |v[160:161]|
	s_and_saveexec_b32 s8, s3
	s_xor_b32 s3, exec_lo, s8
	s_cbranch_execz .LBB76_784
; %bb.783:
	v_div_scale_f64 v[173:174], null, v[160:161], v[160:161], v[158:159]
	v_div_scale_f64 v[179:180], vcc_lo, v[158:159], v[160:161], v[158:159]
	v_rcp_f64_e32 v[175:176], v[173:174]
	v_fma_f64 v[177:178], -v[173:174], v[175:176], 1.0
	v_fma_f64 v[175:176], v[175:176], v[177:178], v[175:176]
	v_fma_f64 v[177:178], -v[173:174], v[175:176], 1.0
	v_fma_f64 v[175:176], v[175:176], v[177:178], v[175:176]
	v_mul_f64 v[177:178], v[179:180], v[175:176]
	v_fma_f64 v[173:174], -v[173:174], v[177:178], v[179:180]
	v_div_fmas_f64 v[173:174], v[173:174], v[175:176], v[177:178]
	v_div_fixup_f64 v[173:174], v[173:174], v[160:161], v[158:159]
	v_fma_f64 v[158:159], v[158:159], v[173:174], v[160:161]
	v_div_scale_f64 v[160:161], null, v[158:159], v[158:159], 1.0
	v_rcp_f64_e32 v[175:176], v[160:161]
	v_fma_f64 v[177:178], -v[160:161], v[175:176], 1.0
	v_fma_f64 v[175:176], v[175:176], v[177:178], v[175:176]
	v_fma_f64 v[177:178], -v[160:161], v[175:176], 1.0
	v_fma_f64 v[175:176], v[175:176], v[177:178], v[175:176]
	v_div_scale_f64 v[177:178], vcc_lo, 1.0, v[158:159], 1.0
	v_mul_f64 v[179:180], v[177:178], v[175:176]
	v_fma_f64 v[160:161], -v[160:161], v[179:180], v[177:178]
	v_div_fmas_f64 v[160:161], v[160:161], v[175:176], v[179:180]
	v_div_fixup_f64 v[160:161], v[160:161], v[158:159], 1.0
	v_mul_f64 v[158:159], v[173:174], v[160:161]
	v_xor_b32_e32 v161, 0x80000000, v161
.LBB76_784:
	s_andn2_saveexec_b32 s3, s3
	s_cbranch_execz .LBB76_786
; %bb.785:
	v_div_scale_f64 v[173:174], null, v[158:159], v[158:159], v[160:161]
	v_div_scale_f64 v[179:180], vcc_lo, v[160:161], v[158:159], v[160:161]
	v_rcp_f64_e32 v[175:176], v[173:174]
	v_fma_f64 v[177:178], -v[173:174], v[175:176], 1.0
	v_fma_f64 v[175:176], v[175:176], v[177:178], v[175:176]
	v_fma_f64 v[177:178], -v[173:174], v[175:176], 1.0
	v_fma_f64 v[175:176], v[175:176], v[177:178], v[175:176]
	v_mul_f64 v[177:178], v[179:180], v[175:176]
	v_fma_f64 v[173:174], -v[173:174], v[177:178], v[179:180]
	v_div_fmas_f64 v[173:174], v[173:174], v[175:176], v[177:178]
	v_div_fixup_f64 v[173:174], v[173:174], v[158:159], v[160:161]
	v_fma_f64 v[158:159], v[160:161], v[173:174], v[158:159]
	v_div_scale_f64 v[160:161], null, v[158:159], v[158:159], 1.0
	v_rcp_f64_e32 v[175:176], v[160:161]
	v_fma_f64 v[177:178], -v[160:161], v[175:176], 1.0
	v_fma_f64 v[175:176], v[175:176], v[177:178], v[175:176]
	v_fma_f64 v[177:178], -v[160:161], v[175:176], 1.0
	v_fma_f64 v[175:176], v[175:176], v[177:178], v[175:176]
	v_div_scale_f64 v[177:178], vcc_lo, 1.0, v[158:159], 1.0
	v_mul_f64 v[179:180], v[177:178], v[175:176]
	v_fma_f64 v[160:161], -v[160:161], v[179:180], v[177:178]
	v_div_fmas_f64 v[160:161], v[160:161], v[175:176], v[179:180]
	v_div_fixup_f64 v[158:159], v[160:161], v[158:159], 1.0
	v_mul_f64 v[160:161], v[173:174], -v[158:159]
.LBB76_786:
	s_or_b32 exec_lo, exec_lo, s3
.LBB76_787:
	s_or_b32 exec_lo, exec_lo, s0
	s_mov_b32 s0, exec_lo
	v_cmpx_ne_u32_e64 v172, v166
	s_xor_b32 s0, exec_lo, s0
	s_cbranch_execz .LBB76_793
; %bb.788:
	s_mov_b32 s3, exec_lo
	v_cmpx_eq_u32_e32 37, v172
	s_cbranch_execz .LBB76_792
; %bb.789:
	v_cmp_ne_u32_e32 vcc_lo, 37, v166
	s_xor_b32 s8, s16, -1
	s_and_b32 s9, s8, vcc_lo
	s_and_saveexec_b32 s8, s9
	s_cbranch_execz .LBB76_791
; %bb.790:
	v_ashrrev_i32_e32 v167, 31, v166
	v_lshlrev_b64 v[172:173], 2, v[166:167]
	v_add_co_u32 v172, vcc_lo, v164, v172
	v_add_co_ci_u32_e64 v173, null, v165, v173, vcc_lo
	s_clause 0x1
	global_load_dword v0, v[172:173], off
	global_load_dword v167, v[164:165], off offset:148
	s_waitcnt vmcnt(1)
	global_store_dword v[164:165], v0, off offset:148
	s_waitcnt vmcnt(0)
	global_store_dword v[172:173], v167, off
.LBB76_791:
	s_or_b32 exec_lo, exec_lo, s8
	v_mov_b32_e32 v172, v166
	v_mov_b32_e32 v0, v166
.LBB76_792:
	s_or_b32 exec_lo, exec_lo, s3
.LBB76_793:
	s_andn2_saveexec_b32 s0, s0
; %bb.794:
	v_mov_b32_e32 v172, 37
	ds_write2_b64 v1, v[2:3], v[4:5] offset0:76 offset1:77
; %bb.795:
	s_or_b32 exec_lo, exec_lo, s0
	s_mov_b32 s0, exec_lo
	s_waitcnt lgkmcnt(0)
	s_waitcnt_vscnt null, 0x0
	s_barrier
	buffer_gl0_inv
	v_cmpx_lt_i32_e32 37, v172
	s_cbranch_execz .LBB76_797
; %bb.796:
	v_mul_f64 v[166:167], v[158:159], v[8:9]
	v_mul_f64 v[8:9], v[160:161], v[8:9]
	ds_read2_b64 v[173:176], v1 offset0:76 offset1:77
	v_fma_f64 v[160:161], v[160:161], v[6:7], v[166:167]
	v_fma_f64 v[6:7], v[158:159], v[6:7], -v[8:9]
	s_waitcnt lgkmcnt(0)
	v_mul_f64 v[8:9], v[175:176], v[160:161]
	v_mul_f64 v[158:159], v[173:174], v[160:161]
	v_fma_f64 v[8:9], v[173:174], v[6:7], -v[8:9]
	v_fma_f64 v[158:159], v[175:176], v[6:7], v[158:159]
	v_add_f64 v[2:3], v[2:3], -v[8:9]
	v_add_f64 v[4:5], v[4:5], -v[158:159]
	v_mov_b32_e32 v8, v160
	v_mov_b32_e32 v9, v161
.LBB76_797:
	s_or_b32 exec_lo, exec_lo, s0
	v_lshl_add_u32 v158, v172, 4, v1
	s_barrier
	buffer_gl0_inv
	v_mov_b32_e32 v166, 38
	ds_write2_b64 v158, v[2:3], v[4:5] offset1:1
	s_waitcnt lgkmcnt(0)
	s_barrier
	buffer_gl0_inv
	ds_read2_b64 v[158:161], v1 offset0:76 offset1:77
	s_cmp_lt_i32 s1, 40
	s_cbranch_scc1 .LBB76_800
; %bb.798:
	v_add3_u32 v1, v168, 0, 0x270
	v_mov_b32_e32 v166, 38
	s_mov_b32 s3, 39
	s_inst_prefetch 0x1
	.p2align	6
.LBB76_799:                             ; =>This Inner Loop Header: Depth=1
	s_waitcnt lgkmcnt(0)
	v_cmp_gt_f64_e32 vcc_lo, 0, v[160:161]
	v_cmp_gt_f64_e64 s0, 0, v[158:159]
	ds_read2_b64 v[173:176], v1 offset1:1
	v_xor_b32_e32 v168, 0x80000000, v159
	v_xor_b32_e32 v178, 0x80000000, v161
	v_mov_b32_e32 v167, v158
	v_mov_b32_e32 v177, v160
	v_add_nc_u32_e32 v1, 16, v1
	s_waitcnt lgkmcnt(0)
	v_xor_b32_e32 v180, 0x80000000, v176
	v_cndmask_b32_e64 v168, v159, v168, s0
	v_cndmask_b32_e32 v178, v161, v178, vcc_lo
	v_cmp_gt_f64_e32 vcc_lo, 0, v[175:176]
	v_cmp_gt_f64_e64 s0, 0, v[173:174]
	v_mov_b32_e32 v179, v175
	v_add_f64 v[167:168], v[167:168], v[177:178]
	v_xor_b32_e32 v178, 0x80000000, v174
	v_mov_b32_e32 v177, v173
	v_cndmask_b32_e32 v180, v176, v180, vcc_lo
	v_cndmask_b32_e64 v178, v174, v178, s0
	v_add_f64 v[177:178], v[177:178], v[179:180]
	v_cmp_lt_f64_e32 vcc_lo, v[167:168], v[177:178]
	v_cndmask_b32_e32 v159, v159, v174, vcc_lo
	v_cndmask_b32_e32 v158, v158, v173, vcc_lo
	;; [unrolled: 1-line block ×4, first 2 shown]
	v_cndmask_b32_e64 v166, v166, s3, vcc_lo
	s_add_i32 s3, s3, 1
	s_cmp_lg_u32 s1, s3
	s_cbranch_scc1 .LBB76_799
.LBB76_800:
	s_inst_prefetch 0x2
	s_waitcnt lgkmcnt(0)
	v_cmp_eq_f64_e32 vcc_lo, 0, v[158:159]
	v_cmp_eq_f64_e64 s0, 0, v[160:161]
	s_and_b32 s0, vcc_lo, s0
	s_and_saveexec_b32 s1, s0
	s_xor_b32 s0, exec_lo, s1
; %bb.801:
	v_cmp_ne_u32_e32 vcc_lo, 0, v171
	v_cndmask_b32_e32 v171, 39, v171, vcc_lo
; %bb.802:
	s_andn2_saveexec_b32 s0, s0
	s_cbranch_execz .LBB76_808
; %bb.803:
	v_cmp_ngt_f64_e64 s1, |v[158:159]|, |v[160:161]|
	s_and_saveexec_b32 s3, s1
	s_xor_b32 s1, exec_lo, s3
	s_cbranch_execz .LBB76_805
; %bb.804:
	v_div_scale_f64 v[167:168], null, v[160:161], v[160:161], v[158:159]
	v_div_scale_f64 v[177:178], vcc_lo, v[158:159], v[160:161], v[158:159]
	v_rcp_f64_e32 v[173:174], v[167:168]
	v_fma_f64 v[175:176], -v[167:168], v[173:174], 1.0
	v_fma_f64 v[173:174], v[173:174], v[175:176], v[173:174]
	v_fma_f64 v[175:176], -v[167:168], v[173:174], 1.0
	v_fma_f64 v[173:174], v[173:174], v[175:176], v[173:174]
	v_mul_f64 v[175:176], v[177:178], v[173:174]
	v_fma_f64 v[167:168], -v[167:168], v[175:176], v[177:178]
	v_div_fmas_f64 v[167:168], v[167:168], v[173:174], v[175:176]
	v_div_fixup_f64 v[167:168], v[167:168], v[160:161], v[158:159]
	v_fma_f64 v[158:159], v[158:159], v[167:168], v[160:161]
	v_div_scale_f64 v[160:161], null, v[158:159], v[158:159], 1.0
	v_rcp_f64_e32 v[173:174], v[160:161]
	v_fma_f64 v[175:176], -v[160:161], v[173:174], 1.0
	v_fma_f64 v[173:174], v[173:174], v[175:176], v[173:174]
	v_fma_f64 v[175:176], -v[160:161], v[173:174], 1.0
	v_fma_f64 v[173:174], v[173:174], v[175:176], v[173:174]
	v_div_scale_f64 v[175:176], vcc_lo, 1.0, v[158:159], 1.0
	v_mul_f64 v[177:178], v[175:176], v[173:174]
	v_fma_f64 v[160:161], -v[160:161], v[177:178], v[175:176]
	v_div_fmas_f64 v[160:161], v[160:161], v[173:174], v[177:178]
	v_div_fixup_f64 v[160:161], v[160:161], v[158:159], 1.0
	v_mul_f64 v[158:159], v[167:168], v[160:161]
	v_xor_b32_e32 v161, 0x80000000, v161
.LBB76_805:
	s_andn2_saveexec_b32 s1, s1
	s_cbranch_execz .LBB76_807
; %bb.806:
	v_div_scale_f64 v[167:168], null, v[158:159], v[158:159], v[160:161]
	v_div_scale_f64 v[177:178], vcc_lo, v[160:161], v[158:159], v[160:161]
	v_rcp_f64_e32 v[173:174], v[167:168]
	v_fma_f64 v[175:176], -v[167:168], v[173:174], 1.0
	v_fma_f64 v[173:174], v[173:174], v[175:176], v[173:174]
	v_fma_f64 v[175:176], -v[167:168], v[173:174], 1.0
	v_fma_f64 v[173:174], v[173:174], v[175:176], v[173:174]
	v_mul_f64 v[175:176], v[177:178], v[173:174]
	v_fma_f64 v[167:168], -v[167:168], v[175:176], v[177:178]
	v_div_fmas_f64 v[167:168], v[167:168], v[173:174], v[175:176]
	v_div_fixup_f64 v[167:168], v[167:168], v[158:159], v[160:161]
	v_fma_f64 v[158:159], v[160:161], v[167:168], v[158:159]
	v_div_scale_f64 v[160:161], null, v[158:159], v[158:159], 1.0
	v_rcp_f64_e32 v[173:174], v[160:161]
	v_fma_f64 v[175:176], -v[160:161], v[173:174], 1.0
	v_fma_f64 v[173:174], v[173:174], v[175:176], v[173:174]
	v_fma_f64 v[175:176], -v[160:161], v[173:174], 1.0
	v_fma_f64 v[173:174], v[173:174], v[175:176], v[173:174]
	v_div_scale_f64 v[175:176], vcc_lo, 1.0, v[158:159], 1.0
	v_mul_f64 v[177:178], v[175:176], v[173:174]
	v_fma_f64 v[160:161], -v[160:161], v[177:178], v[175:176]
	v_div_fmas_f64 v[160:161], v[160:161], v[173:174], v[177:178]
	v_div_fixup_f64 v[158:159], v[160:161], v[158:159], 1.0
	v_mul_f64 v[160:161], v[167:168], -v[158:159]
.LBB76_807:
	s_or_b32 exec_lo, exec_lo, s1
.LBB76_808:
	s_or_b32 exec_lo, exec_lo, s0
	v_mov_b32_e32 v167, 38
	s_mov_b32 s0, exec_lo
	v_cmpx_ne_u32_e64 v172, v166
	s_cbranch_execz .LBB76_814
; %bb.809:
	s_mov_b32 s1, exec_lo
	v_cmpx_eq_u32_e32 38, v172
	s_cbranch_execz .LBB76_813
; %bb.810:
	v_cmp_ne_u32_e32 vcc_lo, 38, v166
	s_xor_b32 s3, s16, -1
	s_and_b32 s8, s3, vcc_lo
	s_and_saveexec_b32 s3, s8
	s_cbranch_execz .LBB76_812
; %bb.811:
	v_ashrrev_i32_e32 v167, 31, v166
	v_lshlrev_b64 v[0:1], 2, v[166:167]
	v_add_co_u32 v0, vcc_lo, v164, v0
	v_add_co_ci_u32_e64 v1, null, v165, v1, vcc_lo
	s_clause 0x1
	global_load_dword v167, v[0:1], off
	global_load_dword v168, v[164:165], off offset:152
	s_waitcnt vmcnt(1)
	global_store_dword v[164:165], v167, off offset:152
	s_waitcnt vmcnt(0)
	global_store_dword v[0:1], v168, off
.LBB76_812:
	s_or_b32 exec_lo, exec_lo, s3
	v_mov_b32_e32 v172, v166
	v_mov_b32_e32 v0, v166
.LBB76_813:
	s_or_b32 exec_lo, exec_lo, s1
	v_mov_b32_e32 v167, v172
.LBB76_814:
	s_or_b32 exec_lo, exec_lo, s0
	s_mov_b32 s0, exec_lo
	s_waitcnt_vscnt null, 0x0
	s_barrier
	buffer_gl0_inv
	v_cmpx_lt_i32_e32 38, v167
	s_cbranch_execz .LBB76_816
; %bb.815:
	v_mul_f64 v[164:165], v[160:161], v[4:5]
	v_mul_f64 v[4:5], v[158:159], v[4:5]
	v_fma_f64 v[158:159], v[158:159], v[2:3], -v[164:165]
	v_fma_f64 v[4:5], v[160:161], v[2:3], v[4:5]
	v_mov_b32_e32 v2, v158
	v_mov_b32_e32 v3, v159
.LBB76_816:
	s_or_b32 exec_lo, exec_lo, s0
	v_ashrrev_i32_e32 v168, 31, v167
	s_mov_b32 s0, exec_lo
	s_barrier
	buffer_gl0_inv
	v_cmpx_gt_i32_e32 39, v167
	s_cbranch_execz .LBB76_818
; %bb.817:
	v_mul_lo_u32 v1, s15, v162
	v_mul_lo_u32 v160, s14, v163
	v_mad_u64_u32 v[158:159], null, s14, v162, 0
	s_lshl_b64 s[8:9], s[12:13], 2
	v_add3_u32 v0, v0, s17, 1
	v_add3_u32 v159, v159, v160, v1
	v_lshlrev_b64 v[158:159], 2, v[158:159]
	v_add_co_u32 v1, vcc_lo, s10, v158
	v_add_co_ci_u32_e64 v160, null, s11, v159, vcc_lo
	v_lshlrev_b64 v[158:159], 2, v[167:168]
	v_add_co_u32 v1, vcc_lo, v1, s8
	v_add_co_ci_u32_e64 v160, null, s9, v160, vcc_lo
	v_add_co_u32 v158, vcc_lo, v1, v158
	v_add_co_ci_u32_e64 v159, null, v160, v159, vcc_lo
	global_store_dword v[158:159], v0, off
.LBB76_818:
	s_or_b32 exec_lo, exec_lo, s0
	s_mov_b32 s1, exec_lo
	v_cmpx_eq_u32_e32 0, v167
	s_cbranch_execz .LBB76_821
; %bb.819:
	v_lshlrev_b64 v[0:1], 2, v[162:163]
	v_cmp_ne_u32_e64 s0, 0, v171
	v_add_co_u32 v0, vcc_lo, s4, v0
	v_add_co_ci_u32_e64 v1, null, s5, v1, vcc_lo
	global_load_dword v158, v[0:1], off
	s_waitcnt vmcnt(0)
	v_cmp_eq_u32_e32 vcc_lo, 0, v158
	s_and_b32 s0, vcc_lo, s0
	s_and_b32 exec_lo, exec_lo, s0
	s_cbranch_execz .LBB76_821
; %bb.820:
	v_add_nc_u32_e32 v158, s17, v171
	global_store_dword v[0:1], v158, off
.LBB76_821:
	s_or_b32 exec_lo, exec_lo, s1
	v_lshlrev_b64 v[158:159], 4, v[167:168]
	v_add3_u32 v0, s2, s2, v167
	v_add_nc_u32_e32 v160, s2, v0
	v_add_co_u32 v158, vcc_lo, v169, v158
	v_add_co_ci_u32_e64 v159, null, v170, v159, vcc_lo
	v_ashrrev_i32_e32 v1, 31, v0
	v_add_co_u32 v162, vcc_lo, v158, s6
	v_add_co_ci_u32_e64 v163, null, s7, v159, vcc_lo
	global_store_dwordx4 v[158:159], v[154:157], off
	v_ashrrev_i32_e32 v161, 31, v160
	v_lshlrev_b64 v[0:1], 4, v[0:1]
	global_store_dwordx4 v[162:163], v[150:153], off
	v_add_nc_u32_e32 v150, s2, v160
	v_lshlrev_b64 v[154:155], 4, v[160:161]
	v_add_co_u32 v0, vcc_lo, v169, v0
	v_add_nc_u32_e32 v152, s2, v150
	v_ashrrev_i32_e32 v151, 31, v150
	v_add_co_ci_u32_e64 v1, null, v170, v1, vcc_lo
	v_add_co_u32 v154, vcc_lo, v169, v154
	v_add_nc_u32_e32 v156, s2, v152
	v_ashrrev_i32_e32 v153, 31, v152
	v_add_co_ci_u32_e64 v155, null, v170, v155, vcc_lo
	v_lshlrev_b64 v[150:151], 4, v[150:151]
	v_ashrrev_i32_e32 v157, 31, v156
	global_store_dwordx4 v[0:1], v[146:149], off
	global_store_dwordx4 v[154:155], v[142:145], off
	v_lshlrev_b64 v[0:1], 4, v[152:153]
	v_add_nc_u32_e32 v146, s2, v156
	v_lshlrev_b64 v[144:145], 4, v[156:157]
	v_add_co_u32 v142, vcc_lo, v169, v150
	v_add_co_ci_u32_e64 v143, null, v170, v151, vcc_lo
	v_add_co_u32 v0, vcc_lo, v169, v0
	v_add_co_ci_u32_e64 v1, null, v170, v1, vcc_lo
	v_ashrrev_i32_e32 v147, 31, v146
	v_add_co_u32 v144, vcc_lo, v169, v144
	v_add_nc_u32_e32 v148, s2, v146
	v_add_co_ci_u32_e64 v145, null, v170, v145, vcc_lo
	global_store_dwordx4 v[142:143], v[134:137], off
	v_lshlrev_b64 v[134:135], 4, v[146:147]
	v_ashrrev_i32_e32 v149, 31, v148
	global_store_dwordx4 v[0:1], v[130:133], off
	global_store_dwordx4 v[144:145], v[138:141], off
	v_add_nc_u32_e32 v130, s2, v148
	v_lshlrev_b64 v[0:1], 4, v[148:149]
	v_add_co_u32 v132, vcc_lo, v169, v134
	v_add_nc_u32_e32 v134, s2, v130
	v_ashrrev_i32_e32 v131, 31, v130
	v_add_co_ci_u32_e64 v133, null, v170, v135, vcc_lo
	v_add_co_u32 v0, vcc_lo, v169, v0
	v_add_nc_u32_e32 v136, s2, v134
	v_add_co_ci_u32_e64 v1, null, v170, v1, vcc_lo
	v_ashrrev_i32_e32 v135, 31, v134
	v_lshlrev_b64 v[130:131], 4, v[130:131]
	v_ashrrev_i32_e32 v137, 31, v136
	global_store_dwordx4 v[132:133], v[122:125], off
	global_store_dwordx4 v[0:1], v[126:129], off
	v_add_nc_u32_e32 v126, s2, v136
	v_lshlrev_b64 v[0:1], 4, v[134:135]
	v_add_co_u32 v122, vcc_lo, v169, v130
	v_lshlrev_b64 v[124:125], 4, v[136:137]
	v_add_co_ci_u32_e64 v123, null, v170, v131, vcc_lo
	v_add_nc_u32_e32 v128, s2, v126
	v_add_co_u32 v0, vcc_lo, v169, v0
	v_add_co_ci_u32_e64 v1, null, v170, v1, vcc_lo
	v_ashrrev_i32_e32 v127, 31, v126
	v_add_co_u32 v124, vcc_lo, v169, v124
	global_store_dwordx4 v[122:123], v[110:113], off
	v_add_nc_u32_e32 v112, s2, v128
	v_add_co_ci_u32_e64 v125, null, v170, v125, vcc_lo
	v_ashrrev_i32_e32 v129, 31, v128
	v_lshlrev_b64 v[110:111], 4, v[126:127]
	global_store_dwordx4 v[0:1], v[118:121], off
	global_store_dwordx4 v[124:125], v[114:117], off
	v_add_nc_u32_e32 v114, s2, v112
	v_ashrrev_i32_e32 v113, 31, v112
	v_lshlrev_b64 v[0:1], 4, v[128:129]
	v_add_co_u32 v110, vcc_lo, v169, v110
	v_add_nc_u32_e32 v116, s2, v114
	v_add_co_ci_u32_e64 v111, null, v170, v111, vcc_lo
	v_add_co_u32 v0, vcc_lo, v169, v0
	v_ashrrev_i32_e32 v115, 31, v114
	v_add_co_ci_u32_e64 v1, null, v170, v1, vcc_lo
	v_ashrrev_i32_e32 v117, 31, v116
	v_lshlrev_b64 v[112:113], 4, v[112:113]
	global_store_dwordx4 v[110:111], v[106:109], off
	global_store_dwordx4 v[0:1], v[102:105], off
	v_lshlrev_b64 v[0:1], 4, v[114:115]
	v_add_nc_u32_e32 v106, s2, v116
	v_lshlrev_b64 v[104:105], 4, v[116:117]
	v_add_co_u32 v102, vcc_lo, v169, v112
	v_add_co_ci_u32_e64 v103, null, v170, v113, vcc_lo
	v_add_co_u32 v0, vcc_lo, v169, v0
	v_add_co_ci_u32_e64 v1, null, v170, v1, vcc_lo
	v_ashrrev_i32_e32 v107, 31, v106
	v_add_co_u32 v104, vcc_lo, v169, v104
	v_add_nc_u32_e32 v108, s2, v106
	v_add_co_ci_u32_e64 v105, null, v170, v105, vcc_lo
	global_store_dwordx4 v[102:103], v[94:97], off
	v_lshlrev_b64 v[94:95], 4, v[106:107]
	v_ashrrev_i32_e32 v109, 31, v108
	global_store_dwordx4 v[0:1], v[90:93], off
	global_store_dwordx4 v[104:105], v[98:101], off
	v_add_nc_u32_e32 v90, s2, v108
	v_lshlrev_b64 v[0:1], 4, v[108:109]
	v_add_co_u32 v92, vcc_lo, v169, v94
	v_add_nc_u32_e32 v94, s2, v90
	v_ashrrev_i32_e32 v91, 31, v90
	v_add_co_ci_u32_e64 v93, null, v170, v95, vcc_lo
	v_add_co_u32 v0, vcc_lo, v169, v0
	v_add_nc_u32_e32 v96, s2, v94
	v_add_co_ci_u32_e64 v1, null, v170, v1, vcc_lo
	v_ashrrev_i32_e32 v95, 31, v94
	v_lshlrev_b64 v[90:91], 4, v[90:91]
	v_ashrrev_i32_e32 v97, 31, v96
	global_store_dwordx4 v[92:93], v[82:85], off
	global_store_dwordx4 v[0:1], v[86:89], off
	v_add_nc_u32_e32 v86, s2, v96
	v_lshlrev_b64 v[0:1], 4, v[94:95]
	v_add_co_u32 v82, vcc_lo, v169, v90
	v_lshlrev_b64 v[84:85], 4, v[96:97]
	v_add_co_ci_u32_e64 v83, null, v170, v91, vcc_lo
	v_add_nc_u32_e32 v88, s2, v86
	v_add_co_u32 v0, vcc_lo, v169, v0
	v_add_co_ci_u32_e64 v1, null, v170, v1, vcc_lo
	v_ashrrev_i32_e32 v87, 31, v86
	v_add_co_u32 v84, vcc_lo, v169, v84
	global_store_dwordx4 v[82:83], v[70:73], off
	v_add_nc_u32_e32 v72, s2, v88
	v_add_co_ci_u32_e64 v85, null, v170, v85, vcc_lo
	v_ashrrev_i32_e32 v89, 31, v88
	v_lshlrev_b64 v[70:71], 4, v[86:87]
	global_store_dwordx4 v[0:1], v[78:81], off
	global_store_dwordx4 v[84:85], v[74:77], off
	v_add_nc_u32_e32 v74, s2, v72
	v_ashrrev_i32_e32 v73, 31, v72
	v_lshlrev_b64 v[0:1], 4, v[88:89]
	v_add_co_u32 v70, vcc_lo, v169, v70
	v_add_nc_u32_e32 v76, s2, v74
	v_add_co_ci_u32_e64 v71, null, v170, v71, vcc_lo
	v_add_co_u32 v0, vcc_lo, v169, v0
	v_ashrrev_i32_e32 v75, 31, v74
	v_add_co_ci_u32_e64 v1, null, v170, v1, vcc_lo
	v_ashrrev_i32_e32 v77, 31, v76
	v_lshlrev_b64 v[72:73], 4, v[72:73]
	global_store_dwordx4 v[70:71], v[66:69], off
	global_store_dwordx4 v[0:1], v[62:65], off
	v_lshlrev_b64 v[0:1], 4, v[74:75]
	v_add_nc_u32_e32 v66, s2, v76
	v_lshlrev_b64 v[64:65], 4, v[76:77]
	v_add_co_u32 v62, vcc_lo, v169, v72
	v_add_co_ci_u32_e64 v63, null, v170, v73, vcc_lo
	v_add_co_u32 v0, vcc_lo, v169, v0
	v_add_co_ci_u32_e64 v1, null, v170, v1, vcc_lo
	v_ashrrev_i32_e32 v67, 31, v66
	v_add_co_u32 v64, vcc_lo, v169, v64
	v_add_nc_u32_e32 v68, s2, v66
	v_add_co_ci_u32_e64 v65, null, v170, v65, vcc_lo
	global_store_dwordx4 v[62:63], v[54:57], off
	v_lshlrev_b64 v[54:55], 4, v[66:67]
	v_ashrrev_i32_e32 v69, 31, v68
	global_store_dwordx4 v[0:1], v[50:53], off
	global_store_dwordx4 v[64:65], v[58:61], off
	v_add_nc_u32_e32 v50, s2, v68
	v_lshlrev_b64 v[0:1], 4, v[68:69]
	v_add_co_u32 v52, vcc_lo, v169, v54
	v_add_nc_u32_e32 v54, s2, v50
	v_add_co_ci_u32_e64 v53, null, v170, v55, vcc_lo
	v_ashrrev_i32_e32 v51, 31, v50
	v_add_co_u32 v0, vcc_lo, v169, v0
	v_add_nc_u32_e32 v56, s2, v54
	v_add_co_ci_u32_e64 v1, null, v170, v1, vcc_lo
	v_ashrrev_i32_e32 v55, 31, v54
	v_lshlrev_b64 v[50:51], 4, v[50:51]
	v_ashrrev_i32_e32 v57, 31, v56
	global_store_dwordx4 v[52:53], v[34:37], off
	global_store_dwordx4 v[0:1], v[46:49], off
	v_add_nc_u32_e32 v46, s2, v56
	v_lshlrev_b64 v[0:1], 4, v[54:55]
	v_lshlrev_b64 v[36:37], 4, v[56:57]
	v_add_co_u32 v34, vcc_lo, v169, v50
	v_add_nc_u32_e32 v48, s2, v46
	v_add_co_ci_u32_e64 v35, null, v170, v51, vcc_lo
	v_add_co_u32 v0, vcc_lo, v169, v0
	v_ashrrev_i32_e32 v47, 31, v46
	v_add_co_ci_u32_e64 v1, null, v170, v1, vcc_lo
	v_add_co_u32 v36, vcc_lo, v169, v36
	v_ashrrev_i32_e32 v49, 31, v48
	v_add_co_ci_u32_e64 v37, null, v170, v37, vcc_lo
	global_store_dwordx4 v[34:35], v[30:33], off
	v_lshlrev_b64 v[30:31], 4, v[46:47]
	v_add_nc_u32_e32 v32, s2, v48
	global_store_dwordx4 v[0:1], v[38:41], off
	global_store_dwordx4 v[36:37], v[42:45], off
	v_lshlrev_b64 v[0:1], 4, v[48:49]
	v_add_nc_u32_e32 v34, s2, v32
	v_add_co_u32 v30, vcc_lo, v169, v30
	v_add_co_ci_u32_e64 v31, null, v170, v31, vcc_lo
	v_add_co_u32 v0, vcc_lo, v169, v0
	v_add_co_ci_u32_e64 v1, null, v170, v1, vcc_lo
	v_add_nc_u32_e32 v36, s2, v34
	v_ashrrev_i32_e32 v33, 31, v32
	global_store_dwordx4 v[30:31], v[26:29], off
	global_store_dwordx4 v[0:1], v[22:25], off
	v_ashrrev_i32_e32 v35, 31, v34
	v_add_nc_u32_e32 v22, s2, v36
	v_lshlrev_b64 v[26:27], 4, v[32:33]
	v_ashrrev_i32_e32 v37, 31, v36
	v_lshlrev_b64 v[0:1], 4, v[34:35]
	v_add_nc_u32_e32 v28, s2, v22
	v_ashrrev_i32_e32 v23, 31, v22
	v_add_co_u32 v24, vcc_lo, v169, v26
	v_add_co_ci_u32_e64 v25, null, v170, v27, vcc_lo
	v_ashrrev_i32_e32 v29, 31, v28
	v_lshlrev_b64 v[26:27], 4, v[36:37]
	v_lshlrev_b64 v[22:23], 4, v[22:23]
	v_add_co_u32 v0, vcc_lo, v169, v0
	v_lshlrev_b64 v[28:29], 4, v[28:29]
	v_add_co_ci_u32_e64 v1, null, v170, v1, vcc_lo
	v_add_co_u32 v26, vcc_lo, v169, v26
	v_add_co_ci_u32_e64 v27, null, v170, v27, vcc_lo
	v_add_co_u32 v22, vcc_lo, v169, v22
	;; [unrolled: 2-line block ×3, first 2 shown]
	v_add_co_ci_u32_e64 v29, null, v170, v29, vcc_lo
	global_store_dwordx4 v[24:25], v[18:21], off
	global_store_dwordx4 v[0:1], v[14:17], off
	;; [unrolled: 1-line block ×5, first 2 shown]
.LBB76_822:
	s_endpgm
	.section	.rodata,"a",@progbits
	.p2align	6, 0x0
	.amdhsa_kernel _ZN9rocsolver6v33100L18getf2_small_kernelILi39E19rocblas_complex_numIdEiiPS3_EEvT1_T3_lS5_lPS5_llPT2_S5_S5_S7_l
		.amdhsa_group_segment_fixed_size 0
		.amdhsa_private_segment_fixed_size 0
		.amdhsa_kernarg_size 352
		.amdhsa_user_sgpr_count 6
		.amdhsa_user_sgpr_private_segment_buffer 1
		.amdhsa_user_sgpr_dispatch_ptr 0
		.amdhsa_user_sgpr_queue_ptr 0
		.amdhsa_user_sgpr_kernarg_segment_ptr 1
		.amdhsa_user_sgpr_dispatch_id 0
		.amdhsa_user_sgpr_flat_scratch_init 0
		.amdhsa_user_sgpr_private_segment_size 0
		.amdhsa_wavefront_size32 1
		.amdhsa_uses_dynamic_stack 0
		.amdhsa_system_sgpr_private_segment_wavefront_offset 0
		.amdhsa_system_sgpr_workgroup_id_x 1
		.amdhsa_system_sgpr_workgroup_id_y 1
		.amdhsa_system_sgpr_workgroup_id_z 0
		.amdhsa_system_sgpr_workgroup_info 0
		.amdhsa_system_vgpr_workitem_id 1
		.amdhsa_next_free_vgpr 184
		.amdhsa_next_free_sgpr 24
		.amdhsa_reserve_vcc 1
		.amdhsa_reserve_flat_scratch 0
		.amdhsa_float_round_mode_32 0
		.amdhsa_float_round_mode_16_64 0
		.amdhsa_float_denorm_mode_32 3
		.amdhsa_float_denorm_mode_16_64 3
		.amdhsa_dx10_clamp 1
		.amdhsa_ieee_mode 1
		.amdhsa_fp16_overflow 0
		.amdhsa_workgroup_processor_mode 1
		.amdhsa_memory_ordered 1
		.amdhsa_forward_progress 1
		.amdhsa_shared_vgpr_count 0
		.amdhsa_exception_fp_ieee_invalid_op 0
		.amdhsa_exception_fp_denorm_src 0
		.amdhsa_exception_fp_ieee_div_zero 0
		.amdhsa_exception_fp_ieee_overflow 0
		.amdhsa_exception_fp_ieee_underflow 0
		.amdhsa_exception_fp_ieee_inexact 0
		.amdhsa_exception_int_div_zero 0
	.end_amdhsa_kernel
	.section	.text._ZN9rocsolver6v33100L18getf2_small_kernelILi39E19rocblas_complex_numIdEiiPS3_EEvT1_T3_lS5_lPS5_llPT2_S5_S5_S7_l,"axG",@progbits,_ZN9rocsolver6v33100L18getf2_small_kernelILi39E19rocblas_complex_numIdEiiPS3_EEvT1_T3_lS5_lPS5_llPT2_S5_S5_S7_l,comdat
.Lfunc_end76:
	.size	_ZN9rocsolver6v33100L18getf2_small_kernelILi39E19rocblas_complex_numIdEiiPS3_EEvT1_T3_lS5_lPS5_llPT2_S5_S5_S7_l, .Lfunc_end76-_ZN9rocsolver6v33100L18getf2_small_kernelILi39E19rocblas_complex_numIdEiiPS3_EEvT1_T3_lS5_lPS5_llPT2_S5_S5_S7_l
                                        ; -- End function
	.set _ZN9rocsolver6v33100L18getf2_small_kernelILi39E19rocblas_complex_numIdEiiPS3_EEvT1_T3_lS5_lPS5_llPT2_S5_S5_S7_l.num_vgpr, 184
	.set _ZN9rocsolver6v33100L18getf2_small_kernelILi39E19rocblas_complex_numIdEiiPS3_EEvT1_T3_lS5_lPS5_llPT2_S5_S5_S7_l.num_agpr, 0
	.set _ZN9rocsolver6v33100L18getf2_small_kernelILi39E19rocblas_complex_numIdEiiPS3_EEvT1_T3_lS5_lPS5_llPT2_S5_S5_S7_l.numbered_sgpr, 24
	.set _ZN9rocsolver6v33100L18getf2_small_kernelILi39E19rocblas_complex_numIdEiiPS3_EEvT1_T3_lS5_lPS5_llPT2_S5_S5_S7_l.num_named_barrier, 0
	.set _ZN9rocsolver6v33100L18getf2_small_kernelILi39E19rocblas_complex_numIdEiiPS3_EEvT1_T3_lS5_lPS5_llPT2_S5_S5_S7_l.private_seg_size, 0
	.set _ZN9rocsolver6v33100L18getf2_small_kernelILi39E19rocblas_complex_numIdEiiPS3_EEvT1_T3_lS5_lPS5_llPT2_S5_S5_S7_l.uses_vcc, 1
	.set _ZN9rocsolver6v33100L18getf2_small_kernelILi39E19rocblas_complex_numIdEiiPS3_EEvT1_T3_lS5_lPS5_llPT2_S5_S5_S7_l.uses_flat_scratch, 0
	.set _ZN9rocsolver6v33100L18getf2_small_kernelILi39E19rocblas_complex_numIdEiiPS3_EEvT1_T3_lS5_lPS5_llPT2_S5_S5_S7_l.has_dyn_sized_stack, 0
	.set _ZN9rocsolver6v33100L18getf2_small_kernelILi39E19rocblas_complex_numIdEiiPS3_EEvT1_T3_lS5_lPS5_llPT2_S5_S5_S7_l.has_recursion, 0
	.set _ZN9rocsolver6v33100L18getf2_small_kernelILi39E19rocblas_complex_numIdEiiPS3_EEvT1_T3_lS5_lPS5_llPT2_S5_S5_S7_l.has_indirect_call, 0
	.section	.AMDGPU.csdata,"",@progbits
; Kernel info:
; codeLenInByte = 92296
; TotalNumSgprs: 26
; NumVgprs: 184
; ScratchSize: 0
; MemoryBound: 0
; FloatMode: 240
; IeeeMode: 1
; LDSByteSize: 0 bytes/workgroup (compile time only)
; SGPRBlocks: 0
; VGPRBlocks: 22
; NumSGPRsForWavesPerEU: 26
; NumVGPRsForWavesPerEU: 184
; Occupancy: 5
; WaveLimiterHint : 0
; COMPUTE_PGM_RSRC2:SCRATCH_EN: 0
; COMPUTE_PGM_RSRC2:USER_SGPR: 6
; COMPUTE_PGM_RSRC2:TRAP_HANDLER: 0
; COMPUTE_PGM_RSRC2:TGID_X_EN: 1
; COMPUTE_PGM_RSRC2:TGID_Y_EN: 1
; COMPUTE_PGM_RSRC2:TGID_Z_EN: 0
; COMPUTE_PGM_RSRC2:TIDIG_COMP_CNT: 1
	.section	.text._ZN9rocsolver6v33100L23getf2_npvt_small_kernelILi39E19rocblas_complex_numIdEiiPS3_EEvT1_T3_lS5_lPT2_S5_S5_,"axG",@progbits,_ZN9rocsolver6v33100L23getf2_npvt_small_kernelILi39E19rocblas_complex_numIdEiiPS3_EEvT1_T3_lS5_lPT2_S5_S5_,comdat
	.globl	_ZN9rocsolver6v33100L23getf2_npvt_small_kernelILi39E19rocblas_complex_numIdEiiPS3_EEvT1_T3_lS5_lPT2_S5_S5_ ; -- Begin function _ZN9rocsolver6v33100L23getf2_npvt_small_kernelILi39E19rocblas_complex_numIdEiiPS3_EEvT1_T3_lS5_lPT2_S5_S5_
	.p2align	8
	.type	_ZN9rocsolver6v33100L23getf2_npvt_small_kernelILi39E19rocblas_complex_numIdEiiPS3_EEvT1_T3_lS5_lPT2_S5_S5_,@function
_ZN9rocsolver6v33100L23getf2_npvt_small_kernelILi39E19rocblas_complex_numIdEiiPS3_EEvT1_T3_lS5_lPT2_S5_S5_: ; @_ZN9rocsolver6v33100L23getf2_npvt_small_kernelILi39E19rocblas_complex_numIdEiiPS3_EEvT1_T3_lS5_lPT2_S5_S5_
; %bb.0:
	s_mov_b64 s[18:19], s[2:3]
	s_mov_b64 s[16:17], s[0:1]
	s_clause 0x1
	s_load_dword s0, s[4:5], 0x44
	s_load_dwordx2 s[12:13], s[4:5], 0x30
	s_add_u32 s16, s16, s8
	s_addc_u32 s17, s17, 0
	s_waitcnt lgkmcnt(0)
	s_lshr_b32 s14, s0, 16
	s_mov_b32 s0, exec_lo
	v_mad_u64_u32 v[2:3], null, s7, s14, v[1:2]
	v_cmpx_gt_i32_e64 s12, v2
	s_cbranch_execz .LBB77_356
; %bb.1:
	s_clause 0x2
	s_load_dwordx4 s[8:11], s[4:5], 0x20
	s_load_dword s6, s[4:5], 0x18
	s_load_dwordx4 s[0:3], s[4:5], 0x8
	v_ashrrev_i32_e32 v3, 31, v2
	s_mulk_i32 s14, 0x270
	v_mad_u32_u24 v218, 0x270, v1, 0
	s_waitcnt lgkmcnt(0)
	v_mul_lo_u32 v5, s9, v2
	v_mul_lo_u32 v7, s8, v3
	buffer_store_dword v2, off, s[16:19], 0 offset:576 ; 4-byte Folded Spill
	buffer_store_dword v3, off, s[16:19], 0 offset:580 ; 4-byte Folded Spill
	v_add3_u32 v4, s6, s6, v0
	s_lshl_b64 s[2:3], s[2:3], 4
	s_ashr_i32 s7, s6, 31
	v_add_nc_u32_e32 v6, s6, v4
	v_add_nc_u32_e32 v8, s6, v6
	;; [unrolled: 1-line block ×3, first 2 shown]
	v_ashrrev_i32_e32 v9, 31, v8
	v_add_nc_u32_e32 v12, s6, v10
	v_ashrrev_i32_e32 v11, 31, v10
	v_lshlrev_b64 v[8:9], 4, v[8:9]
	v_add_nc_u32_e32 v14, s6, v12
	v_ashrrev_i32_e32 v13, 31, v12
	v_lshlrev_b64 v[10:11], 4, v[10:11]
	v_ashrrev_i32_e32 v15, 31, v14
	v_mad_u64_u32 v[2:3], null, s8, v2, 0
	v_add3_u32 v3, v3, v7, v5
	v_ashrrev_i32_e32 v5, 31, v4
	v_ashrrev_i32_e32 v7, 31, v6
	v_lshlrev_b64 v[2:3], 4, v[2:3]
	v_lshlrev_b64 v[4:5], 4, v[4:5]
	;; [unrolled: 1-line block ×3, first 2 shown]
	v_add_co_u32 v2, vcc_lo, s0, v2
	v_add_co_ci_u32_e64 v3, null, s1, v3, vcc_lo
	s_lshl_b64 s[0:1], s[6:7], 4
	v_add_co_u32 v2, vcc_lo, v2, s2
	v_add_co_ci_u32_e64 v3, null, s3, v3, vcc_lo
	v_add_co_u32 v223, vcc_lo, v2, v4
	v_add_co_ci_u32_e64 v224, null, v3, v5, vcc_lo
	v_add_co_u32 v221, vcc_lo, v2, v6
	v_add_nc_u32_e32 v6, s6, v14
	v_lshlrev_b64 v[4:5], 4, v[12:13]
	v_add_co_ci_u32_e64 v222, null, v3, v7, vcc_lo
	v_add_co_u32 v16, vcc_lo, v2, v8
	v_add_co_ci_u32_e64 v17, null, v3, v9, vcc_lo
	v_add_co_u32 v227, vcc_lo, v2, v10
	v_ashrrev_i32_e32 v7, 31, v6
	v_add_nc_u32_e32 v10, s6, v6
	v_lshlrev_b64 v[8:9], 4, v[14:15]
	v_add_co_ci_u32_e64 v228, null, v3, v11, vcc_lo
	v_add_co_u32 v225, vcc_lo, v2, v4
	v_add_co_ci_u32_e64 v226, null, v3, v5, vcc_lo
	v_lshlrev_b64 v[4:5], 4, v[6:7]
	v_ashrrev_i32_e32 v11, 31, v10
	v_add_nc_u32_e32 v6, s6, v10
	v_add_co_u32 v231, vcc_lo, v2, v8
	v_add_co_ci_u32_e64 v232, null, v3, v9, vcc_lo
	v_lshlrev_b64 v[8:9], 4, v[10:11]
	v_ashrrev_i32_e32 v7, 31, v6
	v_add_nc_u32_e32 v10, s6, v6
	;; [unrolled: 5-line block ×27, first 2 shown]
	v_add_co_u32 v162, vcc_lo, v2, v8
	v_add_co_ci_u32_e64 v163, null, v3, v9, vcc_lo
	v_lshlrev_b64 v[8:9], 4, v[10:11]
	v_add_nc_u32_e32 v10, s6, v6
	v_ashrrev_i32_e32 v7, 31, v6
	v_add_co_u32 v166, vcc_lo, v2, v4
	v_add_co_ci_u32_e64 v167, null, v3, v5, vcc_lo
	v_ashrrev_i32_e32 v11, 31, v10
	v_lshlrev_b64 v[4:5], 4, v[6:7]
	v_add_co_u32 v164, vcc_lo, v2, v8
	v_add_nc_u32_e32 v8, s6, v10
	v_lshlrev_b64 v[6:7], 4, v[10:11]
	v_lshlrev_b32_e32 v10, 4, v0
	v_add_co_ci_u32_e64 v165, null, v3, v9, vcc_lo
	v_add_co_u32 v168, vcc_lo, v2, v4
	v_add_co_ci_u32_e64 v169, null, v3, v5, vcc_lo
	v_add_co_u32 v6, vcc_lo, v2, v6
	v_ashrrev_i32_e32 v9, 31, v8
	v_add_co_ci_u32_e64 v7, null, v3, v7, vcc_lo
	v_add_co_u32 v10, vcc_lo, v2, v10
	v_add_co_ci_u32_e64 v11, null, 0, v3, vcc_lo
	v_lshlrev_b64 v[4:5], 4, v[8:9]
	v_add_co_u32 v8, vcc_lo, v10, s0
	v_add_co_ci_u32_e64 v9, null, s1, v11, vcc_lo
	buffer_store_dword v10, off, s[16:19], 0 offset:168 ; 4-byte Folded Spill
	buffer_store_dword v11, off, s[16:19], 0 offset:172 ; 4-byte Folded Spill
	v_add_co_u32 v2, vcc_lo, v2, v4
	v_add_co_ci_u32_e64 v3, null, v3, v5, vcc_lo
	v_cmp_ne_u32_e64 s1, 0, v0
	v_cmp_eq_u32_e64 s0, 0, v0
	global_load_dwordx4 v[154:157], v[10:11], off
	buffer_store_dword v8, off, s[16:19], 0 offset:160 ; 4-byte Folded Spill
	buffer_store_dword v9, off, s[16:19], 0 offset:164 ; 4-byte Folded Spill
	s_clause 0x2
	global_load_dwordx4 v[150:153], v[8:9], off
	global_load_dwordx4 v[146:149], v[223:224], off
	;; [unrolled: 1-line block ×3, first 2 shown]
	buffer_store_dword v16, off, s[16:19], 0 ; 4-byte Folded Spill
	buffer_store_dword v17, off, s[16:19], 0 offset:4 ; 4-byte Folded Spill
	s_clause 0xf
	global_load_dwordx4 v[138:141], v[16:17], off
	global_load_dwordx4 v[134:137], v[227:228], off
	;; [unrolled: 1-line block ×16, first 2 shown]
	buffer_store_dword v12, off, s[16:19], 0 offset:8 ; 4-byte Folded Spill
	buffer_store_dword v13, off, s[16:19], 0 offset:12 ; 4-byte Folded Spill
	global_load_dwordx4 v[74:77], v[12:13], off
	buffer_store_dword v14, off, s[16:19], 0 offset:16 ; 4-byte Folded Spill
	buffer_store_dword v15, off, s[16:19], 0 offset:20 ; 4-byte Folded Spill
	global_load_dwordx4 v[70:73], v[14:15], off
	;; [unrolled: 3-line block ×12, first 2 shown]
	buffer_store_dword v160, off, s[16:19], 0 offset:104 ; 4-byte Folded Spill
	buffer_store_dword v161, off, s[16:19], 0 offset:108 ; 4-byte Folded Spill
	v_lshlrev_b32_e32 v158, 4, v1
	v_add3_u32 v1, 0, s14, v158
	global_load_dwordx4 v[26:29], v[160:161], off
	buffer_store_dword v162, off, s[16:19], 0 offset:112 ; 4-byte Folded Spill
	buffer_store_dword v163, off, s[16:19], 0 offset:116 ; 4-byte Folded Spill
	global_load_dwordx4 v[22:25], v[162:163], off
	buffer_store_dword v166, off, s[16:19], 0 offset:128 ; 4-byte Folded Spill
	buffer_store_dword v167, off, s[16:19], 0 offset:132 ; 4-byte Folded Spill
	;; [unrolled: 3-line block ×6, first 2 shown]
	global_load_dwordx4 v[2:5], v[2:3], off
	s_and_saveexec_b32 s3, s0
	s_cbranch_execz .LBB77_8
; %bb.2:
	s_waitcnt vmcnt(38)
	ds_write2_b64 v1, v[154:155], v[156:157] offset1:1
	s_waitcnt vmcnt(37)
	ds_write2_b64 v218, v[150:151], v[152:153] offset0:2 offset1:3
	s_waitcnt vmcnt(36)
	ds_write2_b64 v218, v[146:147], v[148:149] offset0:4 offset1:5
	;; [unrolled: 2-line block ×38, first 2 shown]
	ds_read2_b64 v[158:161], v1 offset1:1
	s_waitcnt lgkmcnt(0)
	v_cmp_neq_f64_e32 vcc_lo, 0, v[158:159]
	v_cmp_neq_f64_e64 s2, 0, v[160:161]
	s_or_b32 s2, vcc_lo, s2
	s_and_b32 exec_lo, exec_lo, s2
	s_cbranch_execz .LBB77_8
; %bb.3:
	v_cmp_ngt_f64_e64 s2, |v[158:159]|, |v[160:161]|
                                        ; implicit-def: $vgpr162_vgpr163
	s_and_saveexec_b32 s4, s2
	s_xor_b32 s2, exec_lo, s4
                                        ; implicit-def: $vgpr164_vgpr165
	s_cbranch_execz .LBB77_5
; %bb.4:
	v_div_scale_f64 v[162:163], null, v[160:161], v[160:161], v[158:159]
	v_div_scale_f64 v[168:169], vcc_lo, v[158:159], v[160:161], v[158:159]
	v_rcp_f64_e32 v[164:165], v[162:163]
	v_fma_f64 v[166:167], -v[162:163], v[164:165], 1.0
	v_fma_f64 v[164:165], v[164:165], v[166:167], v[164:165]
	v_fma_f64 v[166:167], -v[162:163], v[164:165], 1.0
	v_fma_f64 v[164:165], v[164:165], v[166:167], v[164:165]
	v_mul_f64 v[166:167], v[168:169], v[164:165]
	v_fma_f64 v[162:163], -v[162:163], v[166:167], v[168:169]
	v_div_fmas_f64 v[162:163], v[162:163], v[164:165], v[166:167]
	v_div_fixup_f64 v[162:163], v[162:163], v[160:161], v[158:159]
	v_fma_f64 v[158:159], v[158:159], v[162:163], v[160:161]
	v_div_scale_f64 v[160:161], null, v[158:159], v[158:159], 1.0
	v_rcp_f64_e32 v[164:165], v[160:161]
	v_fma_f64 v[166:167], -v[160:161], v[164:165], 1.0
	v_fma_f64 v[164:165], v[164:165], v[166:167], v[164:165]
	v_fma_f64 v[166:167], -v[160:161], v[164:165], 1.0
	v_fma_f64 v[164:165], v[164:165], v[166:167], v[164:165]
	v_div_scale_f64 v[166:167], vcc_lo, 1.0, v[158:159], 1.0
	v_mul_f64 v[168:169], v[166:167], v[164:165]
	v_fma_f64 v[160:161], -v[160:161], v[168:169], v[166:167]
	v_div_fmas_f64 v[160:161], v[160:161], v[164:165], v[168:169]
	v_div_fixup_f64 v[164:165], v[160:161], v[158:159], 1.0
                                        ; implicit-def: $vgpr158_vgpr159
	v_mul_f64 v[162:163], v[162:163], v[164:165]
	v_xor_b32_e32 v165, 0x80000000, v165
.LBB77_5:
	s_andn2_saveexec_b32 s2, s2
	s_cbranch_execz .LBB77_7
; %bb.6:
	v_div_scale_f64 v[162:163], null, v[158:159], v[158:159], v[160:161]
	v_div_scale_f64 v[168:169], vcc_lo, v[160:161], v[158:159], v[160:161]
	v_rcp_f64_e32 v[164:165], v[162:163]
	v_fma_f64 v[166:167], -v[162:163], v[164:165], 1.0
	v_fma_f64 v[164:165], v[164:165], v[166:167], v[164:165]
	v_fma_f64 v[166:167], -v[162:163], v[164:165], 1.0
	v_fma_f64 v[164:165], v[164:165], v[166:167], v[164:165]
	v_mul_f64 v[166:167], v[168:169], v[164:165]
	v_fma_f64 v[162:163], -v[162:163], v[166:167], v[168:169]
	v_div_fmas_f64 v[162:163], v[162:163], v[164:165], v[166:167]
	v_div_fixup_f64 v[164:165], v[162:163], v[158:159], v[160:161]
	v_fma_f64 v[158:159], v[160:161], v[164:165], v[158:159]
	v_div_scale_f64 v[160:161], null, v[158:159], v[158:159], 1.0
	v_rcp_f64_e32 v[162:163], v[160:161]
	v_fma_f64 v[166:167], -v[160:161], v[162:163], 1.0
	v_fma_f64 v[162:163], v[162:163], v[166:167], v[162:163]
	v_fma_f64 v[166:167], -v[160:161], v[162:163], 1.0
	v_fma_f64 v[162:163], v[162:163], v[166:167], v[162:163]
	v_div_scale_f64 v[166:167], vcc_lo, 1.0, v[158:159], 1.0
	v_mul_f64 v[168:169], v[166:167], v[162:163]
	v_fma_f64 v[160:161], -v[160:161], v[168:169], v[166:167]
	v_div_fmas_f64 v[160:161], v[160:161], v[162:163], v[168:169]
	v_div_fixup_f64 v[162:163], v[160:161], v[158:159], 1.0
	v_mul_f64 v[164:165], v[164:165], -v[162:163]
.LBB77_7:
	s_or_b32 exec_lo, exec_lo, s2
	ds_write2_b64 v1, v[162:163], v[164:165] offset1:1
.LBB77_8:
	s_or_b32 exec_lo, exec_lo, s3
	s_waitcnt vmcnt(0) lgkmcnt(0)
	s_waitcnt_vscnt null, 0x0
	s_barrier
	buffer_gl0_inv
	ds_read2_b64 v[158:161], v1 offset1:1
	s_waitcnt lgkmcnt(0)
	buffer_store_dword v158, off, s[16:19], 0 offset:176 ; 4-byte Folded Spill
	buffer_store_dword v159, off, s[16:19], 0 offset:180 ; 4-byte Folded Spill
	;; [unrolled: 1-line block ×4, first 2 shown]
	s_and_saveexec_b32 s2, s1
	s_cbranch_execz .LBB77_10
; %bb.9:
	s_clause 0x3
	buffer_load_dword v160, off, s[16:19], 0 offset:176
	buffer_load_dword v161, off, s[16:19], 0 offset:180
	;; [unrolled: 1-line block ×4, first 2 shown]
	s_waitcnt vmcnt(0)
	v_mul_f64 v[158:159], v[162:163], v[156:157]
	v_mul_f64 v[156:157], v[160:161], v[156:157]
	v_fma_f64 v[158:159], v[160:161], v[154:155], -v[158:159]
	v_fma_f64 v[156:157], v[162:163], v[154:155], v[156:157]
	ds_read2_b64 v[160:163], v218 offset0:2 offset1:3
	s_waitcnt lgkmcnt(0)
	v_mul_f64 v[154:155], v[162:163], v[156:157]
	v_fma_f64 v[154:155], v[160:161], v[158:159], -v[154:155]
	v_mul_f64 v[160:161], v[160:161], v[156:157]
	v_add_f64 v[150:151], v[150:151], -v[154:155]
	v_fma_f64 v[160:161], v[162:163], v[158:159], v[160:161]
	v_add_f64 v[152:153], v[152:153], -v[160:161]
	ds_read2_b64 v[160:163], v218 offset0:4 offset1:5
	s_waitcnt lgkmcnt(0)
	v_mul_f64 v[154:155], v[162:163], v[156:157]
	v_fma_f64 v[154:155], v[160:161], v[158:159], -v[154:155]
	v_mul_f64 v[160:161], v[160:161], v[156:157]
	v_add_f64 v[146:147], v[146:147], -v[154:155]
	v_fma_f64 v[160:161], v[162:163], v[158:159], v[160:161]
	v_add_f64 v[148:149], v[148:149], -v[160:161]
	ds_read2_b64 v[160:163], v218 offset0:6 offset1:7
	s_waitcnt lgkmcnt(0)
	v_mul_f64 v[154:155], v[162:163], v[156:157]
	v_fma_f64 v[154:155], v[160:161], v[158:159], -v[154:155]
	v_mul_f64 v[160:161], v[160:161], v[156:157]
	v_add_f64 v[142:143], v[142:143], -v[154:155]
	v_fma_f64 v[160:161], v[162:163], v[158:159], v[160:161]
	v_add_f64 v[144:145], v[144:145], -v[160:161]
	ds_read2_b64 v[160:163], v218 offset0:8 offset1:9
	s_waitcnt lgkmcnt(0)
	v_mul_f64 v[154:155], v[162:163], v[156:157]
	v_fma_f64 v[154:155], v[160:161], v[158:159], -v[154:155]
	v_mul_f64 v[160:161], v[160:161], v[156:157]
	v_add_f64 v[138:139], v[138:139], -v[154:155]
	v_fma_f64 v[160:161], v[162:163], v[158:159], v[160:161]
	v_add_f64 v[140:141], v[140:141], -v[160:161]
	ds_read2_b64 v[160:163], v218 offset0:10 offset1:11
	s_waitcnt lgkmcnt(0)
	v_mul_f64 v[154:155], v[162:163], v[156:157]
	v_fma_f64 v[154:155], v[160:161], v[158:159], -v[154:155]
	v_mul_f64 v[160:161], v[160:161], v[156:157]
	v_add_f64 v[134:135], v[134:135], -v[154:155]
	v_fma_f64 v[160:161], v[162:163], v[158:159], v[160:161]
	v_add_f64 v[136:137], v[136:137], -v[160:161]
	ds_read2_b64 v[160:163], v218 offset0:12 offset1:13
	s_waitcnt lgkmcnt(0)
	v_mul_f64 v[154:155], v[162:163], v[156:157]
	v_fma_f64 v[154:155], v[160:161], v[158:159], -v[154:155]
	v_mul_f64 v[160:161], v[160:161], v[156:157]
	v_add_f64 v[130:131], v[130:131], -v[154:155]
	v_fma_f64 v[160:161], v[162:163], v[158:159], v[160:161]
	v_add_f64 v[132:133], v[132:133], -v[160:161]
	ds_read2_b64 v[160:163], v218 offset0:14 offset1:15
	s_waitcnt lgkmcnt(0)
	v_mul_f64 v[154:155], v[162:163], v[156:157]
	v_fma_f64 v[154:155], v[160:161], v[158:159], -v[154:155]
	v_mul_f64 v[160:161], v[160:161], v[156:157]
	v_add_f64 v[126:127], v[126:127], -v[154:155]
	v_fma_f64 v[160:161], v[162:163], v[158:159], v[160:161]
	v_add_f64 v[128:129], v[128:129], -v[160:161]
	ds_read2_b64 v[160:163], v218 offset0:16 offset1:17
	s_waitcnt lgkmcnt(0)
	v_mul_f64 v[154:155], v[162:163], v[156:157]
	v_fma_f64 v[154:155], v[160:161], v[158:159], -v[154:155]
	v_mul_f64 v[160:161], v[160:161], v[156:157]
	v_add_f64 v[122:123], v[122:123], -v[154:155]
	v_fma_f64 v[160:161], v[162:163], v[158:159], v[160:161]
	v_add_f64 v[124:125], v[124:125], -v[160:161]
	ds_read2_b64 v[160:163], v218 offset0:18 offset1:19
	s_waitcnt lgkmcnt(0)
	v_mul_f64 v[154:155], v[162:163], v[156:157]
	v_fma_f64 v[154:155], v[160:161], v[158:159], -v[154:155]
	v_mul_f64 v[160:161], v[160:161], v[156:157]
	v_add_f64 v[118:119], v[118:119], -v[154:155]
	v_fma_f64 v[160:161], v[162:163], v[158:159], v[160:161]
	v_add_f64 v[120:121], v[120:121], -v[160:161]
	ds_read2_b64 v[160:163], v218 offset0:20 offset1:21
	s_waitcnt lgkmcnt(0)
	v_mul_f64 v[154:155], v[162:163], v[156:157]
	v_fma_f64 v[154:155], v[160:161], v[158:159], -v[154:155]
	v_mul_f64 v[160:161], v[160:161], v[156:157]
	v_add_f64 v[114:115], v[114:115], -v[154:155]
	v_fma_f64 v[160:161], v[162:163], v[158:159], v[160:161]
	v_add_f64 v[116:117], v[116:117], -v[160:161]
	ds_read2_b64 v[160:163], v218 offset0:22 offset1:23
	s_waitcnt lgkmcnt(0)
	v_mul_f64 v[154:155], v[162:163], v[156:157]
	v_fma_f64 v[154:155], v[160:161], v[158:159], -v[154:155]
	v_mul_f64 v[160:161], v[160:161], v[156:157]
	v_add_f64 v[110:111], v[110:111], -v[154:155]
	v_fma_f64 v[160:161], v[162:163], v[158:159], v[160:161]
	v_add_f64 v[112:113], v[112:113], -v[160:161]
	ds_read2_b64 v[160:163], v218 offset0:24 offset1:25
	s_waitcnt lgkmcnt(0)
	v_mul_f64 v[154:155], v[162:163], v[156:157]
	v_fma_f64 v[154:155], v[160:161], v[158:159], -v[154:155]
	v_mul_f64 v[160:161], v[160:161], v[156:157]
	v_add_f64 v[106:107], v[106:107], -v[154:155]
	v_fma_f64 v[160:161], v[162:163], v[158:159], v[160:161]
	v_add_f64 v[108:109], v[108:109], -v[160:161]
	ds_read2_b64 v[160:163], v218 offset0:26 offset1:27
	s_waitcnt lgkmcnt(0)
	v_mul_f64 v[154:155], v[162:163], v[156:157]
	v_fma_f64 v[154:155], v[160:161], v[158:159], -v[154:155]
	v_mul_f64 v[160:161], v[160:161], v[156:157]
	v_add_f64 v[102:103], v[102:103], -v[154:155]
	v_fma_f64 v[160:161], v[162:163], v[158:159], v[160:161]
	v_add_f64 v[104:105], v[104:105], -v[160:161]
	ds_read2_b64 v[160:163], v218 offset0:28 offset1:29
	s_waitcnt lgkmcnt(0)
	v_mul_f64 v[154:155], v[162:163], v[156:157]
	v_fma_f64 v[154:155], v[160:161], v[158:159], -v[154:155]
	v_mul_f64 v[160:161], v[160:161], v[156:157]
	v_add_f64 v[98:99], v[98:99], -v[154:155]
	v_fma_f64 v[160:161], v[162:163], v[158:159], v[160:161]
	v_add_f64 v[100:101], v[100:101], -v[160:161]
	ds_read2_b64 v[160:163], v218 offset0:30 offset1:31
	s_waitcnt lgkmcnt(0)
	v_mul_f64 v[154:155], v[162:163], v[156:157]
	v_fma_f64 v[154:155], v[160:161], v[158:159], -v[154:155]
	v_mul_f64 v[160:161], v[160:161], v[156:157]
	v_add_f64 v[94:95], v[94:95], -v[154:155]
	v_fma_f64 v[160:161], v[162:163], v[158:159], v[160:161]
	v_add_f64 v[96:97], v[96:97], -v[160:161]
	ds_read2_b64 v[160:163], v218 offset0:32 offset1:33
	s_waitcnt lgkmcnt(0)
	v_mul_f64 v[154:155], v[162:163], v[156:157]
	v_fma_f64 v[154:155], v[160:161], v[158:159], -v[154:155]
	v_mul_f64 v[160:161], v[160:161], v[156:157]
	v_add_f64 v[90:91], v[90:91], -v[154:155]
	v_fma_f64 v[160:161], v[162:163], v[158:159], v[160:161]
	v_add_f64 v[92:93], v[92:93], -v[160:161]
	ds_read2_b64 v[160:163], v218 offset0:34 offset1:35
	s_waitcnt lgkmcnt(0)
	v_mul_f64 v[154:155], v[162:163], v[156:157]
	v_fma_f64 v[154:155], v[160:161], v[158:159], -v[154:155]
	v_mul_f64 v[160:161], v[160:161], v[156:157]
	v_add_f64 v[86:87], v[86:87], -v[154:155]
	v_fma_f64 v[160:161], v[162:163], v[158:159], v[160:161]
	v_add_f64 v[88:89], v[88:89], -v[160:161]
	ds_read2_b64 v[160:163], v218 offset0:36 offset1:37
	s_waitcnt lgkmcnt(0)
	v_mul_f64 v[154:155], v[162:163], v[156:157]
	v_fma_f64 v[154:155], v[160:161], v[158:159], -v[154:155]
	v_mul_f64 v[160:161], v[160:161], v[156:157]
	v_add_f64 v[82:83], v[82:83], -v[154:155]
	v_fma_f64 v[160:161], v[162:163], v[158:159], v[160:161]
	v_add_f64 v[84:85], v[84:85], -v[160:161]
	ds_read2_b64 v[160:163], v218 offset0:38 offset1:39
	s_waitcnt lgkmcnt(0)
	v_mul_f64 v[154:155], v[162:163], v[156:157]
	v_fma_f64 v[154:155], v[160:161], v[158:159], -v[154:155]
	v_mul_f64 v[160:161], v[160:161], v[156:157]
	v_add_f64 v[78:79], v[78:79], -v[154:155]
	v_fma_f64 v[160:161], v[162:163], v[158:159], v[160:161]
	v_add_f64 v[80:81], v[80:81], -v[160:161]
	ds_read2_b64 v[160:163], v218 offset0:40 offset1:41
	s_waitcnt lgkmcnt(0)
	v_mul_f64 v[154:155], v[162:163], v[156:157]
	v_fma_f64 v[154:155], v[160:161], v[158:159], -v[154:155]
	v_mul_f64 v[160:161], v[160:161], v[156:157]
	v_add_f64 v[74:75], v[74:75], -v[154:155]
	v_fma_f64 v[160:161], v[162:163], v[158:159], v[160:161]
	v_add_f64 v[76:77], v[76:77], -v[160:161]
	ds_read2_b64 v[160:163], v218 offset0:42 offset1:43
	s_waitcnt lgkmcnt(0)
	v_mul_f64 v[154:155], v[162:163], v[156:157]
	v_fma_f64 v[154:155], v[160:161], v[158:159], -v[154:155]
	v_mul_f64 v[160:161], v[160:161], v[156:157]
	v_add_f64 v[70:71], v[70:71], -v[154:155]
	v_fma_f64 v[160:161], v[162:163], v[158:159], v[160:161]
	v_add_f64 v[72:73], v[72:73], -v[160:161]
	ds_read2_b64 v[160:163], v218 offset0:44 offset1:45
	s_waitcnt lgkmcnt(0)
	v_mul_f64 v[154:155], v[162:163], v[156:157]
	v_fma_f64 v[154:155], v[160:161], v[158:159], -v[154:155]
	v_mul_f64 v[160:161], v[160:161], v[156:157]
	v_add_f64 v[66:67], v[66:67], -v[154:155]
	v_fma_f64 v[160:161], v[162:163], v[158:159], v[160:161]
	v_add_f64 v[68:69], v[68:69], -v[160:161]
	ds_read2_b64 v[160:163], v218 offset0:46 offset1:47
	s_waitcnt lgkmcnt(0)
	v_mul_f64 v[154:155], v[162:163], v[156:157]
	v_fma_f64 v[154:155], v[160:161], v[158:159], -v[154:155]
	v_mul_f64 v[160:161], v[160:161], v[156:157]
	v_add_f64 v[62:63], v[62:63], -v[154:155]
	v_fma_f64 v[160:161], v[162:163], v[158:159], v[160:161]
	v_add_f64 v[64:65], v[64:65], -v[160:161]
	ds_read2_b64 v[160:163], v218 offset0:48 offset1:49
	s_waitcnt lgkmcnt(0)
	v_mul_f64 v[154:155], v[162:163], v[156:157]
	v_fma_f64 v[154:155], v[160:161], v[158:159], -v[154:155]
	v_mul_f64 v[160:161], v[160:161], v[156:157]
	v_add_f64 v[58:59], v[58:59], -v[154:155]
	v_fma_f64 v[160:161], v[162:163], v[158:159], v[160:161]
	v_add_f64 v[60:61], v[60:61], -v[160:161]
	ds_read2_b64 v[160:163], v218 offset0:50 offset1:51
	s_waitcnt lgkmcnt(0)
	v_mul_f64 v[154:155], v[162:163], v[156:157]
	v_fma_f64 v[154:155], v[160:161], v[158:159], -v[154:155]
	v_mul_f64 v[160:161], v[160:161], v[156:157]
	v_add_f64 v[54:55], v[54:55], -v[154:155]
	v_fma_f64 v[160:161], v[162:163], v[158:159], v[160:161]
	v_add_f64 v[56:57], v[56:57], -v[160:161]
	ds_read2_b64 v[160:163], v218 offset0:52 offset1:53
	s_waitcnt lgkmcnt(0)
	v_mul_f64 v[154:155], v[162:163], v[156:157]
	v_fma_f64 v[154:155], v[160:161], v[158:159], -v[154:155]
	v_mul_f64 v[160:161], v[160:161], v[156:157]
	v_add_f64 v[50:51], v[50:51], -v[154:155]
	v_fma_f64 v[160:161], v[162:163], v[158:159], v[160:161]
	v_add_f64 v[52:53], v[52:53], -v[160:161]
	ds_read2_b64 v[160:163], v218 offset0:54 offset1:55
	s_waitcnt lgkmcnt(0)
	v_mul_f64 v[154:155], v[162:163], v[156:157]
	v_fma_f64 v[154:155], v[160:161], v[158:159], -v[154:155]
	v_mul_f64 v[160:161], v[160:161], v[156:157]
	v_add_f64 v[46:47], v[46:47], -v[154:155]
	v_fma_f64 v[160:161], v[162:163], v[158:159], v[160:161]
	v_add_f64 v[48:49], v[48:49], -v[160:161]
	ds_read2_b64 v[160:163], v218 offset0:56 offset1:57
	s_waitcnt lgkmcnt(0)
	v_mul_f64 v[154:155], v[162:163], v[156:157]
	v_fma_f64 v[154:155], v[160:161], v[158:159], -v[154:155]
	v_mul_f64 v[160:161], v[160:161], v[156:157]
	v_add_f64 v[42:43], v[42:43], -v[154:155]
	v_fma_f64 v[160:161], v[162:163], v[158:159], v[160:161]
	v_add_f64 v[44:45], v[44:45], -v[160:161]
	ds_read2_b64 v[160:163], v218 offset0:58 offset1:59
	s_waitcnt lgkmcnt(0)
	v_mul_f64 v[154:155], v[162:163], v[156:157]
	v_fma_f64 v[154:155], v[160:161], v[158:159], -v[154:155]
	v_mul_f64 v[160:161], v[160:161], v[156:157]
	v_add_f64 v[38:39], v[38:39], -v[154:155]
	v_fma_f64 v[160:161], v[162:163], v[158:159], v[160:161]
	v_add_f64 v[40:41], v[40:41], -v[160:161]
	ds_read2_b64 v[160:163], v218 offset0:60 offset1:61
	s_waitcnt lgkmcnt(0)
	v_mul_f64 v[154:155], v[162:163], v[156:157]
	v_fma_f64 v[154:155], v[160:161], v[158:159], -v[154:155]
	v_mul_f64 v[160:161], v[160:161], v[156:157]
	v_add_f64 v[34:35], v[34:35], -v[154:155]
	v_fma_f64 v[160:161], v[162:163], v[158:159], v[160:161]
	v_add_f64 v[36:37], v[36:37], -v[160:161]
	ds_read2_b64 v[160:163], v218 offset0:62 offset1:63
	s_waitcnt lgkmcnt(0)
	v_mul_f64 v[154:155], v[162:163], v[156:157]
	v_fma_f64 v[154:155], v[160:161], v[158:159], -v[154:155]
	v_mul_f64 v[160:161], v[160:161], v[156:157]
	v_add_f64 v[30:31], v[30:31], -v[154:155]
	v_fma_f64 v[160:161], v[162:163], v[158:159], v[160:161]
	v_add_f64 v[32:33], v[32:33], -v[160:161]
	ds_read2_b64 v[160:163], v218 offset0:64 offset1:65
	s_waitcnt lgkmcnt(0)
	v_mul_f64 v[154:155], v[162:163], v[156:157]
	v_fma_f64 v[154:155], v[160:161], v[158:159], -v[154:155]
	v_mul_f64 v[160:161], v[160:161], v[156:157]
	v_add_f64 v[26:27], v[26:27], -v[154:155]
	v_fma_f64 v[160:161], v[162:163], v[158:159], v[160:161]
	v_add_f64 v[28:29], v[28:29], -v[160:161]
	ds_read2_b64 v[160:163], v218 offset0:66 offset1:67
	s_waitcnt lgkmcnt(0)
	v_mul_f64 v[154:155], v[162:163], v[156:157]
	v_fma_f64 v[154:155], v[160:161], v[158:159], -v[154:155]
	v_mul_f64 v[160:161], v[160:161], v[156:157]
	v_add_f64 v[22:23], v[22:23], -v[154:155]
	v_fma_f64 v[160:161], v[162:163], v[158:159], v[160:161]
	v_add_f64 v[24:25], v[24:25], -v[160:161]
	ds_read2_b64 v[160:163], v218 offset0:68 offset1:69
	s_waitcnt lgkmcnt(0)
	v_mul_f64 v[154:155], v[162:163], v[156:157]
	v_fma_f64 v[154:155], v[160:161], v[158:159], -v[154:155]
	v_mul_f64 v[160:161], v[160:161], v[156:157]
	v_add_f64 v[18:19], v[18:19], -v[154:155]
	v_fma_f64 v[160:161], v[162:163], v[158:159], v[160:161]
	v_add_f64 v[20:21], v[20:21], -v[160:161]
	ds_read2_b64 v[160:163], v218 offset0:70 offset1:71
	s_waitcnt lgkmcnt(0)
	v_mul_f64 v[154:155], v[162:163], v[156:157]
	v_fma_f64 v[154:155], v[160:161], v[158:159], -v[154:155]
	v_mul_f64 v[160:161], v[160:161], v[156:157]
	v_add_f64 v[14:15], v[14:15], -v[154:155]
	v_fma_f64 v[160:161], v[162:163], v[158:159], v[160:161]
	v_add_f64 v[16:17], v[16:17], -v[160:161]
	ds_read2_b64 v[160:163], v218 offset0:72 offset1:73
	s_waitcnt lgkmcnt(0)
	v_mul_f64 v[154:155], v[162:163], v[156:157]
	v_fma_f64 v[154:155], v[160:161], v[158:159], -v[154:155]
	v_mul_f64 v[160:161], v[160:161], v[156:157]
	v_add_f64 v[10:11], v[10:11], -v[154:155]
	v_fma_f64 v[160:161], v[162:163], v[158:159], v[160:161]
	v_add_f64 v[12:13], v[12:13], -v[160:161]
	ds_read2_b64 v[160:163], v218 offset0:74 offset1:75
	s_waitcnt lgkmcnt(0)
	v_mul_f64 v[154:155], v[162:163], v[156:157]
	v_fma_f64 v[154:155], v[160:161], v[158:159], -v[154:155]
	v_mul_f64 v[160:161], v[160:161], v[156:157]
	v_add_f64 v[6:7], v[6:7], -v[154:155]
	v_fma_f64 v[160:161], v[162:163], v[158:159], v[160:161]
	v_add_f64 v[8:9], v[8:9], -v[160:161]
	ds_read2_b64 v[160:163], v218 offset0:76 offset1:77
	s_waitcnt lgkmcnt(0)
	v_mul_f64 v[154:155], v[162:163], v[156:157]
	v_fma_f64 v[154:155], v[160:161], v[158:159], -v[154:155]
	v_mul_f64 v[160:161], v[160:161], v[156:157]
	v_add_f64 v[2:3], v[2:3], -v[154:155]
	v_fma_f64 v[160:161], v[162:163], v[158:159], v[160:161]
	v_mov_b32_e32 v154, v158
	v_mov_b32_e32 v155, v159
	v_add_f64 v[4:5], v[4:5], -v[160:161]
.LBB77_10:
	s_or_b32 exec_lo, exec_lo, s2
	s_mov_b32 s2, exec_lo
	s_waitcnt_vscnt null, 0x0
	s_barrier
	buffer_gl0_inv
	v_cmpx_eq_u32_e32 1, v0
	s_cbranch_execz .LBB77_17
; %bb.11:
	ds_write2_b64 v1, v[150:151], v[152:153] offset1:1
	ds_write2_b64 v218, v[146:147], v[148:149] offset0:4 offset1:5
	ds_write2_b64 v218, v[142:143], v[144:145] offset0:6 offset1:7
	;; [unrolled: 1-line block ×37, first 2 shown]
	ds_read2_b64 v[158:161], v1 offset1:1
	s_waitcnt lgkmcnt(0)
	v_cmp_neq_f64_e32 vcc_lo, 0, v[158:159]
	v_cmp_neq_f64_e64 s1, 0, v[160:161]
	s_or_b32 s1, vcc_lo, s1
	s_and_b32 exec_lo, exec_lo, s1
	s_cbranch_execz .LBB77_17
; %bb.12:
	v_cmp_ngt_f64_e64 s1, |v[158:159]|, |v[160:161]|
                                        ; implicit-def: $vgpr162_vgpr163
	s_and_saveexec_b32 s3, s1
	s_xor_b32 s1, exec_lo, s3
                                        ; implicit-def: $vgpr164_vgpr165
	s_cbranch_execz .LBB77_14
; %bb.13:
	v_div_scale_f64 v[162:163], null, v[160:161], v[160:161], v[158:159]
	v_div_scale_f64 v[168:169], vcc_lo, v[158:159], v[160:161], v[158:159]
	v_rcp_f64_e32 v[164:165], v[162:163]
	v_fma_f64 v[166:167], -v[162:163], v[164:165], 1.0
	v_fma_f64 v[164:165], v[164:165], v[166:167], v[164:165]
	v_fma_f64 v[166:167], -v[162:163], v[164:165], 1.0
	v_fma_f64 v[164:165], v[164:165], v[166:167], v[164:165]
	v_mul_f64 v[166:167], v[168:169], v[164:165]
	v_fma_f64 v[162:163], -v[162:163], v[166:167], v[168:169]
	v_div_fmas_f64 v[162:163], v[162:163], v[164:165], v[166:167]
	v_div_fixup_f64 v[162:163], v[162:163], v[160:161], v[158:159]
	v_fma_f64 v[158:159], v[158:159], v[162:163], v[160:161]
	v_div_scale_f64 v[160:161], null, v[158:159], v[158:159], 1.0
	v_rcp_f64_e32 v[164:165], v[160:161]
	v_fma_f64 v[166:167], -v[160:161], v[164:165], 1.0
	v_fma_f64 v[164:165], v[164:165], v[166:167], v[164:165]
	v_fma_f64 v[166:167], -v[160:161], v[164:165], 1.0
	v_fma_f64 v[164:165], v[164:165], v[166:167], v[164:165]
	v_div_scale_f64 v[166:167], vcc_lo, 1.0, v[158:159], 1.0
	v_mul_f64 v[168:169], v[166:167], v[164:165]
	v_fma_f64 v[160:161], -v[160:161], v[168:169], v[166:167]
	v_div_fmas_f64 v[160:161], v[160:161], v[164:165], v[168:169]
	v_div_fixup_f64 v[164:165], v[160:161], v[158:159], 1.0
                                        ; implicit-def: $vgpr158_vgpr159
	v_mul_f64 v[162:163], v[162:163], v[164:165]
	v_xor_b32_e32 v165, 0x80000000, v165
.LBB77_14:
	s_andn2_saveexec_b32 s1, s1
	s_cbranch_execz .LBB77_16
; %bb.15:
	v_div_scale_f64 v[162:163], null, v[158:159], v[158:159], v[160:161]
	v_div_scale_f64 v[168:169], vcc_lo, v[160:161], v[158:159], v[160:161]
	v_rcp_f64_e32 v[164:165], v[162:163]
	v_fma_f64 v[166:167], -v[162:163], v[164:165], 1.0
	v_fma_f64 v[164:165], v[164:165], v[166:167], v[164:165]
	v_fma_f64 v[166:167], -v[162:163], v[164:165], 1.0
	v_fma_f64 v[164:165], v[164:165], v[166:167], v[164:165]
	v_mul_f64 v[166:167], v[168:169], v[164:165]
	v_fma_f64 v[162:163], -v[162:163], v[166:167], v[168:169]
	v_div_fmas_f64 v[162:163], v[162:163], v[164:165], v[166:167]
	v_div_fixup_f64 v[164:165], v[162:163], v[158:159], v[160:161]
	v_fma_f64 v[158:159], v[160:161], v[164:165], v[158:159]
	v_div_scale_f64 v[160:161], null, v[158:159], v[158:159], 1.0
	v_rcp_f64_e32 v[162:163], v[160:161]
	v_fma_f64 v[166:167], -v[160:161], v[162:163], 1.0
	v_fma_f64 v[162:163], v[162:163], v[166:167], v[162:163]
	v_fma_f64 v[166:167], -v[160:161], v[162:163], 1.0
	v_fma_f64 v[162:163], v[162:163], v[166:167], v[162:163]
	v_div_scale_f64 v[166:167], vcc_lo, 1.0, v[158:159], 1.0
	v_mul_f64 v[168:169], v[166:167], v[162:163]
	v_fma_f64 v[160:161], -v[160:161], v[168:169], v[166:167]
	v_div_fmas_f64 v[160:161], v[160:161], v[162:163], v[168:169]
	v_div_fixup_f64 v[162:163], v[160:161], v[158:159], 1.0
	v_mul_f64 v[164:165], v[164:165], -v[162:163]
.LBB77_16:
	s_or_b32 exec_lo, exec_lo, s1
	ds_write2_b64 v1, v[162:163], v[164:165] offset1:1
.LBB77_17:
	s_or_b32 exec_lo, exec_lo, s2
	s_waitcnt lgkmcnt(0)
	s_barrier
	buffer_gl0_inv
	ds_read2_b64 v[158:161], v1 offset1:1
	s_mov_b32 s1, exec_lo
	s_waitcnt lgkmcnt(0)
	buffer_store_dword v158, off, s[16:19], 0 offset:192 ; 4-byte Folded Spill
	buffer_store_dword v159, off, s[16:19], 0 offset:196 ; 4-byte Folded Spill
	;; [unrolled: 1-line block ×4, first 2 shown]
	v_cmpx_lt_u32_e32 1, v0
	s_cbranch_execz .LBB77_19
; %bb.18:
	s_clause 0x3
	buffer_load_dword v160, off, s[16:19], 0 offset:192
	buffer_load_dword v161, off, s[16:19], 0 offset:196
	;; [unrolled: 1-line block ×4, first 2 shown]
	s_waitcnt vmcnt(0)
	v_mul_f64 v[158:159], v[162:163], v[152:153]
	v_mul_f64 v[152:153], v[160:161], v[152:153]
	v_fma_f64 v[158:159], v[160:161], v[150:151], -v[158:159]
	v_fma_f64 v[152:153], v[162:163], v[150:151], v[152:153]
	ds_read2_b64 v[160:163], v218 offset0:4 offset1:5
	s_waitcnt lgkmcnt(0)
	v_mul_f64 v[150:151], v[162:163], v[152:153]
	v_fma_f64 v[150:151], v[160:161], v[158:159], -v[150:151]
	v_mul_f64 v[160:161], v[160:161], v[152:153]
	v_add_f64 v[146:147], v[146:147], -v[150:151]
	v_fma_f64 v[160:161], v[162:163], v[158:159], v[160:161]
	v_add_f64 v[148:149], v[148:149], -v[160:161]
	ds_read2_b64 v[160:163], v218 offset0:6 offset1:7
	s_waitcnt lgkmcnt(0)
	v_mul_f64 v[150:151], v[162:163], v[152:153]
	v_fma_f64 v[150:151], v[160:161], v[158:159], -v[150:151]
	v_mul_f64 v[160:161], v[160:161], v[152:153]
	v_add_f64 v[142:143], v[142:143], -v[150:151]
	v_fma_f64 v[160:161], v[162:163], v[158:159], v[160:161]
	v_add_f64 v[144:145], v[144:145], -v[160:161]
	;; [unrolled: 8-line block ×36, first 2 shown]
	ds_read2_b64 v[160:163], v218 offset0:76 offset1:77
	s_waitcnt lgkmcnt(0)
	v_mul_f64 v[150:151], v[162:163], v[152:153]
	v_fma_f64 v[150:151], v[160:161], v[158:159], -v[150:151]
	v_mul_f64 v[160:161], v[160:161], v[152:153]
	v_add_f64 v[2:3], v[2:3], -v[150:151]
	v_fma_f64 v[160:161], v[162:163], v[158:159], v[160:161]
	v_mov_b32_e32 v150, v158
	v_mov_b32_e32 v151, v159
	v_add_f64 v[4:5], v[4:5], -v[160:161]
.LBB77_19:
	s_or_b32 exec_lo, exec_lo, s1
	s_mov_b32 s2, exec_lo
	s_waitcnt_vscnt null, 0x0
	s_barrier
	buffer_gl0_inv
	v_cmpx_eq_u32_e32 2, v0
	s_cbranch_execz .LBB77_26
; %bb.20:
	ds_write2_b64 v1, v[146:147], v[148:149] offset1:1
	ds_write2_b64 v218, v[142:143], v[144:145] offset0:6 offset1:7
	ds_write2_b64 v218, v[138:139], v[140:141] offset0:8 offset1:9
	;; [unrolled: 1-line block ×36, first 2 shown]
	ds_read2_b64 v[158:161], v1 offset1:1
	s_waitcnt lgkmcnt(0)
	v_cmp_neq_f64_e32 vcc_lo, 0, v[158:159]
	v_cmp_neq_f64_e64 s1, 0, v[160:161]
	s_or_b32 s1, vcc_lo, s1
	s_and_b32 exec_lo, exec_lo, s1
	s_cbranch_execz .LBB77_26
; %bb.21:
	v_cmp_ngt_f64_e64 s1, |v[158:159]|, |v[160:161]|
                                        ; implicit-def: $vgpr162_vgpr163
	s_and_saveexec_b32 s3, s1
	s_xor_b32 s1, exec_lo, s3
                                        ; implicit-def: $vgpr164_vgpr165
	s_cbranch_execz .LBB77_23
; %bb.22:
	v_div_scale_f64 v[162:163], null, v[160:161], v[160:161], v[158:159]
	v_div_scale_f64 v[168:169], vcc_lo, v[158:159], v[160:161], v[158:159]
	v_rcp_f64_e32 v[164:165], v[162:163]
	v_fma_f64 v[166:167], -v[162:163], v[164:165], 1.0
	v_fma_f64 v[164:165], v[164:165], v[166:167], v[164:165]
	v_fma_f64 v[166:167], -v[162:163], v[164:165], 1.0
	v_fma_f64 v[164:165], v[164:165], v[166:167], v[164:165]
	v_mul_f64 v[166:167], v[168:169], v[164:165]
	v_fma_f64 v[162:163], -v[162:163], v[166:167], v[168:169]
	v_div_fmas_f64 v[162:163], v[162:163], v[164:165], v[166:167]
	v_div_fixup_f64 v[162:163], v[162:163], v[160:161], v[158:159]
	v_fma_f64 v[158:159], v[158:159], v[162:163], v[160:161]
	v_div_scale_f64 v[160:161], null, v[158:159], v[158:159], 1.0
	v_rcp_f64_e32 v[164:165], v[160:161]
	v_fma_f64 v[166:167], -v[160:161], v[164:165], 1.0
	v_fma_f64 v[164:165], v[164:165], v[166:167], v[164:165]
	v_fma_f64 v[166:167], -v[160:161], v[164:165], 1.0
	v_fma_f64 v[164:165], v[164:165], v[166:167], v[164:165]
	v_div_scale_f64 v[166:167], vcc_lo, 1.0, v[158:159], 1.0
	v_mul_f64 v[168:169], v[166:167], v[164:165]
	v_fma_f64 v[160:161], -v[160:161], v[168:169], v[166:167]
	v_div_fmas_f64 v[160:161], v[160:161], v[164:165], v[168:169]
	v_div_fixup_f64 v[164:165], v[160:161], v[158:159], 1.0
                                        ; implicit-def: $vgpr158_vgpr159
	v_mul_f64 v[162:163], v[162:163], v[164:165]
	v_xor_b32_e32 v165, 0x80000000, v165
.LBB77_23:
	s_andn2_saveexec_b32 s1, s1
	s_cbranch_execz .LBB77_25
; %bb.24:
	v_div_scale_f64 v[162:163], null, v[158:159], v[158:159], v[160:161]
	v_div_scale_f64 v[168:169], vcc_lo, v[160:161], v[158:159], v[160:161]
	v_rcp_f64_e32 v[164:165], v[162:163]
	v_fma_f64 v[166:167], -v[162:163], v[164:165], 1.0
	v_fma_f64 v[164:165], v[164:165], v[166:167], v[164:165]
	v_fma_f64 v[166:167], -v[162:163], v[164:165], 1.0
	v_fma_f64 v[164:165], v[164:165], v[166:167], v[164:165]
	v_mul_f64 v[166:167], v[168:169], v[164:165]
	v_fma_f64 v[162:163], -v[162:163], v[166:167], v[168:169]
	v_div_fmas_f64 v[162:163], v[162:163], v[164:165], v[166:167]
	v_div_fixup_f64 v[164:165], v[162:163], v[158:159], v[160:161]
	v_fma_f64 v[158:159], v[160:161], v[164:165], v[158:159]
	v_div_scale_f64 v[160:161], null, v[158:159], v[158:159], 1.0
	v_rcp_f64_e32 v[162:163], v[160:161]
	v_fma_f64 v[166:167], -v[160:161], v[162:163], 1.0
	v_fma_f64 v[162:163], v[162:163], v[166:167], v[162:163]
	v_fma_f64 v[166:167], -v[160:161], v[162:163], 1.0
	v_fma_f64 v[162:163], v[162:163], v[166:167], v[162:163]
	v_div_scale_f64 v[166:167], vcc_lo, 1.0, v[158:159], 1.0
	v_mul_f64 v[168:169], v[166:167], v[162:163]
	v_fma_f64 v[160:161], -v[160:161], v[168:169], v[166:167]
	v_div_fmas_f64 v[160:161], v[160:161], v[162:163], v[168:169]
	v_div_fixup_f64 v[162:163], v[160:161], v[158:159], 1.0
	v_mul_f64 v[164:165], v[164:165], -v[162:163]
.LBB77_25:
	s_or_b32 exec_lo, exec_lo, s1
	ds_write2_b64 v1, v[162:163], v[164:165] offset1:1
.LBB77_26:
	s_or_b32 exec_lo, exec_lo, s2
	s_waitcnt lgkmcnt(0)
	s_barrier
	buffer_gl0_inv
	ds_read2_b64 v[158:161], v1 offset1:1
	s_mov_b32 s1, exec_lo
	s_waitcnt lgkmcnt(0)
	buffer_store_dword v158, off, s[16:19], 0 offset:208 ; 4-byte Folded Spill
	buffer_store_dword v159, off, s[16:19], 0 offset:212 ; 4-byte Folded Spill
	;; [unrolled: 1-line block ×4, first 2 shown]
	v_cmpx_lt_u32_e32 2, v0
	s_cbranch_execz .LBB77_28
; %bb.27:
	s_clause 0x3
	buffer_load_dword v160, off, s[16:19], 0 offset:208
	buffer_load_dword v161, off, s[16:19], 0 offset:212
	;; [unrolled: 1-line block ×4, first 2 shown]
	s_waitcnt vmcnt(0)
	v_mul_f64 v[158:159], v[162:163], v[148:149]
	v_mul_f64 v[148:149], v[160:161], v[148:149]
	v_fma_f64 v[158:159], v[160:161], v[146:147], -v[158:159]
	v_fma_f64 v[148:149], v[162:163], v[146:147], v[148:149]
	ds_read2_b64 v[160:163], v218 offset0:6 offset1:7
	s_waitcnt lgkmcnt(0)
	v_mul_f64 v[146:147], v[162:163], v[148:149]
	v_fma_f64 v[146:147], v[160:161], v[158:159], -v[146:147]
	v_mul_f64 v[160:161], v[160:161], v[148:149]
	v_add_f64 v[142:143], v[142:143], -v[146:147]
	v_fma_f64 v[160:161], v[162:163], v[158:159], v[160:161]
	v_add_f64 v[144:145], v[144:145], -v[160:161]
	ds_read2_b64 v[160:163], v218 offset0:8 offset1:9
	s_waitcnt lgkmcnt(0)
	v_mul_f64 v[146:147], v[162:163], v[148:149]
	v_fma_f64 v[146:147], v[160:161], v[158:159], -v[146:147]
	v_mul_f64 v[160:161], v[160:161], v[148:149]
	v_add_f64 v[138:139], v[138:139], -v[146:147]
	v_fma_f64 v[160:161], v[162:163], v[158:159], v[160:161]
	v_add_f64 v[140:141], v[140:141], -v[160:161]
	;; [unrolled: 8-line block ×35, first 2 shown]
	ds_read2_b64 v[160:163], v218 offset0:76 offset1:77
	s_waitcnt lgkmcnt(0)
	v_mul_f64 v[146:147], v[162:163], v[148:149]
	v_fma_f64 v[146:147], v[160:161], v[158:159], -v[146:147]
	v_mul_f64 v[160:161], v[160:161], v[148:149]
	v_add_f64 v[2:3], v[2:3], -v[146:147]
	v_fma_f64 v[160:161], v[162:163], v[158:159], v[160:161]
	v_mov_b32_e32 v146, v158
	v_mov_b32_e32 v147, v159
	v_add_f64 v[4:5], v[4:5], -v[160:161]
.LBB77_28:
	s_or_b32 exec_lo, exec_lo, s1
	s_mov_b32 s2, exec_lo
	s_waitcnt_vscnt null, 0x0
	s_barrier
	buffer_gl0_inv
	v_cmpx_eq_u32_e32 3, v0
	s_cbranch_execz .LBB77_35
; %bb.29:
	ds_write2_b64 v1, v[142:143], v[144:145] offset1:1
	ds_write2_b64 v218, v[138:139], v[140:141] offset0:8 offset1:9
	ds_write2_b64 v218, v[134:135], v[136:137] offset0:10 offset1:11
	;; [unrolled: 1-line block ×35, first 2 shown]
	ds_read2_b64 v[158:161], v1 offset1:1
	s_waitcnt lgkmcnt(0)
	v_cmp_neq_f64_e32 vcc_lo, 0, v[158:159]
	v_cmp_neq_f64_e64 s1, 0, v[160:161]
	s_or_b32 s1, vcc_lo, s1
	s_and_b32 exec_lo, exec_lo, s1
	s_cbranch_execz .LBB77_35
; %bb.30:
	v_cmp_ngt_f64_e64 s1, |v[158:159]|, |v[160:161]|
                                        ; implicit-def: $vgpr162_vgpr163
	s_and_saveexec_b32 s3, s1
	s_xor_b32 s1, exec_lo, s3
                                        ; implicit-def: $vgpr164_vgpr165
	s_cbranch_execz .LBB77_32
; %bb.31:
	v_div_scale_f64 v[162:163], null, v[160:161], v[160:161], v[158:159]
	v_div_scale_f64 v[168:169], vcc_lo, v[158:159], v[160:161], v[158:159]
	v_rcp_f64_e32 v[164:165], v[162:163]
	v_fma_f64 v[166:167], -v[162:163], v[164:165], 1.0
	v_fma_f64 v[164:165], v[164:165], v[166:167], v[164:165]
	v_fma_f64 v[166:167], -v[162:163], v[164:165], 1.0
	v_fma_f64 v[164:165], v[164:165], v[166:167], v[164:165]
	v_mul_f64 v[166:167], v[168:169], v[164:165]
	v_fma_f64 v[162:163], -v[162:163], v[166:167], v[168:169]
	v_div_fmas_f64 v[162:163], v[162:163], v[164:165], v[166:167]
	v_div_fixup_f64 v[162:163], v[162:163], v[160:161], v[158:159]
	v_fma_f64 v[158:159], v[158:159], v[162:163], v[160:161]
	v_div_scale_f64 v[160:161], null, v[158:159], v[158:159], 1.0
	v_rcp_f64_e32 v[164:165], v[160:161]
	v_fma_f64 v[166:167], -v[160:161], v[164:165], 1.0
	v_fma_f64 v[164:165], v[164:165], v[166:167], v[164:165]
	v_fma_f64 v[166:167], -v[160:161], v[164:165], 1.0
	v_fma_f64 v[164:165], v[164:165], v[166:167], v[164:165]
	v_div_scale_f64 v[166:167], vcc_lo, 1.0, v[158:159], 1.0
	v_mul_f64 v[168:169], v[166:167], v[164:165]
	v_fma_f64 v[160:161], -v[160:161], v[168:169], v[166:167]
	v_div_fmas_f64 v[160:161], v[160:161], v[164:165], v[168:169]
	v_div_fixup_f64 v[164:165], v[160:161], v[158:159], 1.0
                                        ; implicit-def: $vgpr158_vgpr159
	v_mul_f64 v[162:163], v[162:163], v[164:165]
	v_xor_b32_e32 v165, 0x80000000, v165
.LBB77_32:
	s_andn2_saveexec_b32 s1, s1
	s_cbranch_execz .LBB77_34
; %bb.33:
	v_div_scale_f64 v[162:163], null, v[158:159], v[158:159], v[160:161]
	v_div_scale_f64 v[168:169], vcc_lo, v[160:161], v[158:159], v[160:161]
	v_rcp_f64_e32 v[164:165], v[162:163]
	v_fma_f64 v[166:167], -v[162:163], v[164:165], 1.0
	v_fma_f64 v[164:165], v[164:165], v[166:167], v[164:165]
	v_fma_f64 v[166:167], -v[162:163], v[164:165], 1.0
	v_fma_f64 v[164:165], v[164:165], v[166:167], v[164:165]
	v_mul_f64 v[166:167], v[168:169], v[164:165]
	v_fma_f64 v[162:163], -v[162:163], v[166:167], v[168:169]
	v_div_fmas_f64 v[162:163], v[162:163], v[164:165], v[166:167]
	v_div_fixup_f64 v[164:165], v[162:163], v[158:159], v[160:161]
	v_fma_f64 v[158:159], v[160:161], v[164:165], v[158:159]
	v_div_scale_f64 v[160:161], null, v[158:159], v[158:159], 1.0
	v_rcp_f64_e32 v[162:163], v[160:161]
	v_fma_f64 v[166:167], -v[160:161], v[162:163], 1.0
	v_fma_f64 v[162:163], v[162:163], v[166:167], v[162:163]
	v_fma_f64 v[166:167], -v[160:161], v[162:163], 1.0
	v_fma_f64 v[162:163], v[162:163], v[166:167], v[162:163]
	v_div_scale_f64 v[166:167], vcc_lo, 1.0, v[158:159], 1.0
	v_mul_f64 v[168:169], v[166:167], v[162:163]
	v_fma_f64 v[160:161], -v[160:161], v[168:169], v[166:167]
	v_div_fmas_f64 v[160:161], v[160:161], v[162:163], v[168:169]
	v_div_fixup_f64 v[162:163], v[160:161], v[158:159], 1.0
	v_mul_f64 v[164:165], v[164:165], -v[162:163]
.LBB77_34:
	s_or_b32 exec_lo, exec_lo, s1
	ds_write2_b64 v1, v[162:163], v[164:165] offset1:1
.LBB77_35:
	s_or_b32 exec_lo, exec_lo, s2
	s_waitcnt lgkmcnt(0)
	s_barrier
	buffer_gl0_inv
	ds_read2_b64 v[158:161], v1 offset1:1
	s_mov_b32 s1, exec_lo
	s_waitcnt lgkmcnt(0)
	buffer_store_dword v158, off, s[16:19], 0 offset:224 ; 4-byte Folded Spill
	buffer_store_dword v159, off, s[16:19], 0 offset:228 ; 4-byte Folded Spill
	;; [unrolled: 1-line block ×4, first 2 shown]
	v_cmpx_lt_u32_e32 3, v0
	s_cbranch_execz .LBB77_37
; %bb.36:
	s_clause 0x3
	buffer_load_dword v160, off, s[16:19], 0 offset:224
	buffer_load_dword v161, off, s[16:19], 0 offset:228
	;; [unrolled: 1-line block ×4, first 2 shown]
	s_waitcnt vmcnt(0)
	v_mul_f64 v[158:159], v[162:163], v[144:145]
	v_mul_f64 v[144:145], v[160:161], v[144:145]
	v_fma_f64 v[158:159], v[160:161], v[142:143], -v[158:159]
	v_fma_f64 v[144:145], v[162:163], v[142:143], v[144:145]
	ds_read2_b64 v[160:163], v218 offset0:8 offset1:9
	s_waitcnt lgkmcnt(0)
	v_mul_f64 v[142:143], v[162:163], v[144:145]
	v_fma_f64 v[142:143], v[160:161], v[158:159], -v[142:143]
	v_mul_f64 v[160:161], v[160:161], v[144:145]
	v_add_f64 v[138:139], v[138:139], -v[142:143]
	v_fma_f64 v[160:161], v[162:163], v[158:159], v[160:161]
	v_add_f64 v[140:141], v[140:141], -v[160:161]
	ds_read2_b64 v[160:163], v218 offset0:10 offset1:11
	s_waitcnt lgkmcnt(0)
	v_mul_f64 v[142:143], v[162:163], v[144:145]
	v_fma_f64 v[142:143], v[160:161], v[158:159], -v[142:143]
	v_mul_f64 v[160:161], v[160:161], v[144:145]
	v_add_f64 v[134:135], v[134:135], -v[142:143]
	v_fma_f64 v[160:161], v[162:163], v[158:159], v[160:161]
	v_add_f64 v[136:137], v[136:137], -v[160:161]
	;; [unrolled: 8-line block ×34, first 2 shown]
	ds_read2_b64 v[160:163], v218 offset0:76 offset1:77
	s_waitcnt lgkmcnt(0)
	v_mul_f64 v[142:143], v[162:163], v[144:145]
	v_fma_f64 v[142:143], v[160:161], v[158:159], -v[142:143]
	v_mul_f64 v[160:161], v[160:161], v[144:145]
	v_add_f64 v[2:3], v[2:3], -v[142:143]
	v_fma_f64 v[160:161], v[162:163], v[158:159], v[160:161]
	v_mov_b32_e32 v142, v158
	v_mov_b32_e32 v143, v159
	v_add_f64 v[4:5], v[4:5], -v[160:161]
.LBB77_37:
	s_or_b32 exec_lo, exec_lo, s1
	s_mov_b32 s2, exec_lo
	s_waitcnt_vscnt null, 0x0
	s_barrier
	buffer_gl0_inv
	v_cmpx_eq_u32_e32 4, v0
	s_cbranch_execz .LBB77_44
; %bb.38:
	ds_write2_b64 v1, v[138:139], v[140:141] offset1:1
	ds_write2_b64 v218, v[134:135], v[136:137] offset0:10 offset1:11
	ds_write2_b64 v218, v[130:131], v[132:133] offset0:12 offset1:13
	;; [unrolled: 1-line block ×34, first 2 shown]
	ds_read2_b64 v[158:161], v1 offset1:1
	s_waitcnt lgkmcnt(0)
	v_cmp_neq_f64_e32 vcc_lo, 0, v[158:159]
	v_cmp_neq_f64_e64 s1, 0, v[160:161]
	s_or_b32 s1, vcc_lo, s1
	s_and_b32 exec_lo, exec_lo, s1
	s_cbranch_execz .LBB77_44
; %bb.39:
	v_cmp_ngt_f64_e64 s1, |v[158:159]|, |v[160:161]|
                                        ; implicit-def: $vgpr162_vgpr163
	s_and_saveexec_b32 s3, s1
	s_xor_b32 s1, exec_lo, s3
                                        ; implicit-def: $vgpr164_vgpr165
	s_cbranch_execz .LBB77_41
; %bb.40:
	v_div_scale_f64 v[162:163], null, v[160:161], v[160:161], v[158:159]
	v_div_scale_f64 v[168:169], vcc_lo, v[158:159], v[160:161], v[158:159]
	v_rcp_f64_e32 v[164:165], v[162:163]
	v_fma_f64 v[166:167], -v[162:163], v[164:165], 1.0
	v_fma_f64 v[164:165], v[164:165], v[166:167], v[164:165]
	v_fma_f64 v[166:167], -v[162:163], v[164:165], 1.0
	v_fma_f64 v[164:165], v[164:165], v[166:167], v[164:165]
	v_mul_f64 v[166:167], v[168:169], v[164:165]
	v_fma_f64 v[162:163], -v[162:163], v[166:167], v[168:169]
	v_div_fmas_f64 v[162:163], v[162:163], v[164:165], v[166:167]
	v_div_fixup_f64 v[162:163], v[162:163], v[160:161], v[158:159]
	v_fma_f64 v[158:159], v[158:159], v[162:163], v[160:161]
	v_div_scale_f64 v[160:161], null, v[158:159], v[158:159], 1.0
	v_rcp_f64_e32 v[164:165], v[160:161]
	v_fma_f64 v[166:167], -v[160:161], v[164:165], 1.0
	v_fma_f64 v[164:165], v[164:165], v[166:167], v[164:165]
	v_fma_f64 v[166:167], -v[160:161], v[164:165], 1.0
	v_fma_f64 v[164:165], v[164:165], v[166:167], v[164:165]
	v_div_scale_f64 v[166:167], vcc_lo, 1.0, v[158:159], 1.0
	v_mul_f64 v[168:169], v[166:167], v[164:165]
	v_fma_f64 v[160:161], -v[160:161], v[168:169], v[166:167]
	v_div_fmas_f64 v[160:161], v[160:161], v[164:165], v[168:169]
	v_div_fixup_f64 v[164:165], v[160:161], v[158:159], 1.0
                                        ; implicit-def: $vgpr158_vgpr159
	v_mul_f64 v[162:163], v[162:163], v[164:165]
	v_xor_b32_e32 v165, 0x80000000, v165
.LBB77_41:
	s_andn2_saveexec_b32 s1, s1
	s_cbranch_execz .LBB77_43
; %bb.42:
	v_div_scale_f64 v[162:163], null, v[158:159], v[158:159], v[160:161]
	v_div_scale_f64 v[168:169], vcc_lo, v[160:161], v[158:159], v[160:161]
	v_rcp_f64_e32 v[164:165], v[162:163]
	v_fma_f64 v[166:167], -v[162:163], v[164:165], 1.0
	v_fma_f64 v[164:165], v[164:165], v[166:167], v[164:165]
	v_fma_f64 v[166:167], -v[162:163], v[164:165], 1.0
	v_fma_f64 v[164:165], v[164:165], v[166:167], v[164:165]
	v_mul_f64 v[166:167], v[168:169], v[164:165]
	v_fma_f64 v[162:163], -v[162:163], v[166:167], v[168:169]
	v_div_fmas_f64 v[162:163], v[162:163], v[164:165], v[166:167]
	v_div_fixup_f64 v[164:165], v[162:163], v[158:159], v[160:161]
	v_fma_f64 v[158:159], v[160:161], v[164:165], v[158:159]
	v_div_scale_f64 v[160:161], null, v[158:159], v[158:159], 1.0
	v_rcp_f64_e32 v[162:163], v[160:161]
	v_fma_f64 v[166:167], -v[160:161], v[162:163], 1.0
	v_fma_f64 v[162:163], v[162:163], v[166:167], v[162:163]
	v_fma_f64 v[166:167], -v[160:161], v[162:163], 1.0
	v_fma_f64 v[162:163], v[162:163], v[166:167], v[162:163]
	v_div_scale_f64 v[166:167], vcc_lo, 1.0, v[158:159], 1.0
	v_mul_f64 v[168:169], v[166:167], v[162:163]
	v_fma_f64 v[160:161], -v[160:161], v[168:169], v[166:167]
	v_div_fmas_f64 v[160:161], v[160:161], v[162:163], v[168:169]
	v_div_fixup_f64 v[162:163], v[160:161], v[158:159], 1.0
	v_mul_f64 v[164:165], v[164:165], -v[162:163]
.LBB77_43:
	s_or_b32 exec_lo, exec_lo, s1
	ds_write2_b64 v1, v[162:163], v[164:165] offset1:1
.LBB77_44:
	s_or_b32 exec_lo, exec_lo, s2
	s_waitcnt lgkmcnt(0)
	s_barrier
	buffer_gl0_inv
	ds_read2_b64 v[158:161], v1 offset1:1
	s_mov_b32 s1, exec_lo
	s_waitcnt lgkmcnt(0)
	buffer_store_dword v158, off, s[16:19], 0 offset:240 ; 4-byte Folded Spill
	buffer_store_dword v159, off, s[16:19], 0 offset:244 ; 4-byte Folded Spill
	;; [unrolled: 1-line block ×4, first 2 shown]
	v_cmpx_lt_u32_e32 4, v0
	s_cbranch_execz .LBB77_46
; %bb.45:
	s_clause 0x3
	buffer_load_dword v160, off, s[16:19], 0 offset:240
	buffer_load_dword v161, off, s[16:19], 0 offset:244
	;; [unrolled: 1-line block ×4, first 2 shown]
	s_waitcnt vmcnt(0)
	v_mul_f64 v[158:159], v[162:163], v[140:141]
	v_mul_f64 v[140:141], v[160:161], v[140:141]
	v_fma_f64 v[158:159], v[160:161], v[138:139], -v[158:159]
	v_fma_f64 v[140:141], v[162:163], v[138:139], v[140:141]
	ds_read2_b64 v[160:163], v218 offset0:10 offset1:11
	s_waitcnt lgkmcnt(0)
	v_mul_f64 v[138:139], v[162:163], v[140:141]
	v_fma_f64 v[138:139], v[160:161], v[158:159], -v[138:139]
	v_mul_f64 v[160:161], v[160:161], v[140:141]
	v_add_f64 v[134:135], v[134:135], -v[138:139]
	v_fma_f64 v[160:161], v[162:163], v[158:159], v[160:161]
	v_add_f64 v[136:137], v[136:137], -v[160:161]
	ds_read2_b64 v[160:163], v218 offset0:12 offset1:13
	s_waitcnt lgkmcnt(0)
	v_mul_f64 v[138:139], v[162:163], v[140:141]
	v_fma_f64 v[138:139], v[160:161], v[158:159], -v[138:139]
	v_mul_f64 v[160:161], v[160:161], v[140:141]
	v_add_f64 v[130:131], v[130:131], -v[138:139]
	v_fma_f64 v[160:161], v[162:163], v[158:159], v[160:161]
	v_add_f64 v[132:133], v[132:133], -v[160:161]
	ds_read2_b64 v[160:163], v218 offset0:14 offset1:15
	s_waitcnt lgkmcnt(0)
	v_mul_f64 v[138:139], v[162:163], v[140:141]
	v_fma_f64 v[138:139], v[160:161], v[158:159], -v[138:139]
	v_mul_f64 v[160:161], v[160:161], v[140:141]
	v_add_f64 v[126:127], v[126:127], -v[138:139]
	v_fma_f64 v[160:161], v[162:163], v[158:159], v[160:161]
	v_add_f64 v[128:129], v[128:129], -v[160:161]
	ds_read2_b64 v[160:163], v218 offset0:16 offset1:17
	s_waitcnt lgkmcnt(0)
	v_mul_f64 v[138:139], v[162:163], v[140:141]
	v_fma_f64 v[138:139], v[160:161], v[158:159], -v[138:139]
	v_mul_f64 v[160:161], v[160:161], v[140:141]
	v_add_f64 v[122:123], v[122:123], -v[138:139]
	v_fma_f64 v[160:161], v[162:163], v[158:159], v[160:161]
	v_add_f64 v[124:125], v[124:125], -v[160:161]
	ds_read2_b64 v[160:163], v218 offset0:18 offset1:19
	s_waitcnt lgkmcnt(0)
	v_mul_f64 v[138:139], v[162:163], v[140:141]
	v_fma_f64 v[138:139], v[160:161], v[158:159], -v[138:139]
	v_mul_f64 v[160:161], v[160:161], v[140:141]
	v_add_f64 v[118:119], v[118:119], -v[138:139]
	v_fma_f64 v[160:161], v[162:163], v[158:159], v[160:161]
	v_add_f64 v[120:121], v[120:121], -v[160:161]
	ds_read2_b64 v[160:163], v218 offset0:20 offset1:21
	s_waitcnt lgkmcnt(0)
	v_mul_f64 v[138:139], v[162:163], v[140:141]
	v_fma_f64 v[138:139], v[160:161], v[158:159], -v[138:139]
	v_mul_f64 v[160:161], v[160:161], v[140:141]
	v_add_f64 v[114:115], v[114:115], -v[138:139]
	v_fma_f64 v[160:161], v[162:163], v[158:159], v[160:161]
	v_add_f64 v[116:117], v[116:117], -v[160:161]
	ds_read2_b64 v[160:163], v218 offset0:22 offset1:23
	s_waitcnt lgkmcnt(0)
	v_mul_f64 v[138:139], v[162:163], v[140:141]
	v_fma_f64 v[138:139], v[160:161], v[158:159], -v[138:139]
	v_mul_f64 v[160:161], v[160:161], v[140:141]
	v_add_f64 v[110:111], v[110:111], -v[138:139]
	v_fma_f64 v[160:161], v[162:163], v[158:159], v[160:161]
	v_add_f64 v[112:113], v[112:113], -v[160:161]
	ds_read2_b64 v[160:163], v218 offset0:24 offset1:25
	s_waitcnt lgkmcnt(0)
	v_mul_f64 v[138:139], v[162:163], v[140:141]
	v_fma_f64 v[138:139], v[160:161], v[158:159], -v[138:139]
	v_mul_f64 v[160:161], v[160:161], v[140:141]
	v_add_f64 v[106:107], v[106:107], -v[138:139]
	v_fma_f64 v[160:161], v[162:163], v[158:159], v[160:161]
	v_add_f64 v[108:109], v[108:109], -v[160:161]
	ds_read2_b64 v[160:163], v218 offset0:26 offset1:27
	s_waitcnt lgkmcnt(0)
	v_mul_f64 v[138:139], v[162:163], v[140:141]
	v_fma_f64 v[138:139], v[160:161], v[158:159], -v[138:139]
	v_mul_f64 v[160:161], v[160:161], v[140:141]
	v_add_f64 v[102:103], v[102:103], -v[138:139]
	v_fma_f64 v[160:161], v[162:163], v[158:159], v[160:161]
	v_add_f64 v[104:105], v[104:105], -v[160:161]
	ds_read2_b64 v[160:163], v218 offset0:28 offset1:29
	s_waitcnt lgkmcnt(0)
	v_mul_f64 v[138:139], v[162:163], v[140:141]
	v_fma_f64 v[138:139], v[160:161], v[158:159], -v[138:139]
	v_mul_f64 v[160:161], v[160:161], v[140:141]
	v_add_f64 v[98:99], v[98:99], -v[138:139]
	v_fma_f64 v[160:161], v[162:163], v[158:159], v[160:161]
	v_add_f64 v[100:101], v[100:101], -v[160:161]
	ds_read2_b64 v[160:163], v218 offset0:30 offset1:31
	s_waitcnt lgkmcnt(0)
	v_mul_f64 v[138:139], v[162:163], v[140:141]
	v_fma_f64 v[138:139], v[160:161], v[158:159], -v[138:139]
	v_mul_f64 v[160:161], v[160:161], v[140:141]
	v_add_f64 v[94:95], v[94:95], -v[138:139]
	v_fma_f64 v[160:161], v[162:163], v[158:159], v[160:161]
	v_add_f64 v[96:97], v[96:97], -v[160:161]
	ds_read2_b64 v[160:163], v218 offset0:32 offset1:33
	s_waitcnt lgkmcnt(0)
	v_mul_f64 v[138:139], v[162:163], v[140:141]
	v_fma_f64 v[138:139], v[160:161], v[158:159], -v[138:139]
	v_mul_f64 v[160:161], v[160:161], v[140:141]
	v_add_f64 v[90:91], v[90:91], -v[138:139]
	v_fma_f64 v[160:161], v[162:163], v[158:159], v[160:161]
	v_add_f64 v[92:93], v[92:93], -v[160:161]
	ds_read2_b64 v[160:163], v218 offset0:34 offset1:35
	s_waitcnt lgkmcnt(0)
	v_mul_f64 v[138:139], v[162:163], v[140:141]
	v_fma_f64 v[138:139], v[160:161], v[158:159], -v[138:139]
	v_mul_f64 v[160:161], v[160:161], v[140:141]
	v_add_f64 v[86:87], v[86:87], -v[138:139]
	v_fma_f64 v[160:161], v[162:163], v[158:159], v[160:161]
	v_add_f64 v[88:89], v[88:89], -v[160:161]
	ds_read2_b64 v[160:163], v218 offset0:36 offset1:37
	s_waitcnt lgkmcnt(0)
	v_mul_f64 v[138:139], v[162:163], v[140:141]
	v_fma_f64 v[138:139], v[160:161], v[158:159], -v[138:139]
	v_mul_f64 v[160:161], v[160:161], v[140:141]
	v_add_f64 v[82:83], v[82:83], -v[138:139]
	v_fma_f64 v[160:161], v[162:163], v[158:159], v[160:161]
	v_add_f64 v[84:85], v[84:85], -v[160:161]
	ds_read2_b64 v[160:163], v218 offset0:38 offset1:39
	s_waitcnt lgkmcnt(0)
	v_mul_f64 v[138:139], v[162:163], v[140:141]
	v_fma_f64 v[138:139], v[160:161], v[158:159], -v[138:139]
	v_mul_f64 v[160:161], v[160:161], v[140:141]
	v_add_f64 v[78:79], v[78:79], -v[138:139]
	v_fma_f64 v[160:161], v[162:163], v[158:159], v[160:161]
	v_add_f64 v[80:81], v[80:81], -v[160:161]
	ds_read2_b64 v[160:163], v218 offset0:40 offset1:41
	s_waitcnt lgkmcnt(0)
	v_mul_f64 v[138:139], v[162:163], v[140:141]
	v_fma_f64 v[138:139], v[160:161], v[158:159], -v[138:139]
	v_mul_f64 v[160:161], v[160:161], v[140:141]
	v_add_f64 v[74:75], v[74:75], -v[138:139]
	v_fma_f64 v[160:161], v[162:163], v[158:159], v[160:161]
	v_add_f64 v[76:77], v[76:77], -v[160:161]
	ds_read2_b64 v[160:163], v218 offset0:42 offset1:43
	s_waitcnt lgkmcnt(0)
	v_mul_f64 v[138:139], v[162:163], v[140:141]
	v_fma_f64 v[138:139], v[160:161], v[158:159], -v[138:139]
	v_mul_f64 v[160:161], v[160:161], v[140:141]
	v_add_f64 v[70:71], v[70:71], -v[138:139]
	v_fma_f64 v[160:161], v[162:163], v[158:159], v[160:161]
	v_add_f64 v[72:73], v[72:73], -v[160:161]
	ds_read2_b64 v[160:163], v218 offset0:44 offset1:45
	s_waitcnt lgkmcnt(0)
	v_mul_f64 v[138:139], v[162:163], v[140:141]
	v_fma_f64 v[138:139], v[160:161], v[158:159], -v[138:139]
	v_mul_f64 v[160:161], v[160:161], v[140:141]
	v_add_f64 v[66:67], v[66:67], -v[138:139]
	v_fma_f64 v[160:161], v[162:163], v[158:159], v[160:161]
	v_add_f64 v[68:69], v[68:69], -v[160:161]
	ds_read2_b64 v[160:163], v218 offset0:46 offset1:47
	s_waitcnt lgkmcnt(0)
	v_mul_f64 v[138:139], v[162:163], v[140:141]
	v_fma_f64 v[138:139], v[160:161], v[158:159], -v[138:139]
	v_mul_f64 v[160:161], v[160:161], v[140:141]
	v_add_f64 v[62:63], v[62:63], -v[138:139]
	v_fma_f64 v[160:161], v[162:163], v[158:159], v[160:161]
	v_add_f64 v[64:65], v[64:65], -v[160:161]
	ds_read2_b64 v[160:163], v218 offset0:48 offset1:49
	s_waitcnt lgkmcnt(0)
	v_mul_f64 v[138:139], v[162:163], v[140:141]
	v_fma_f64 v[138:139], v[160:161], v[158:159], -v[138:139]
	v_mul_f64 v[160:161], v[160:161], v[140:141]
	v_add_f64 v[58:59], v[58:59], -v[138:139]
	v_fma_f64 v[160:161], v[162:163], v[158:159], v[160:161]
	v_add_f64 v[60:61], v[60:61], -v[160:161]
	ds_read2_b64 v[160:163], v218 offset0:50 offset1:51
	s_waitcnt lgkmcnt(0)
	v_mul_f64 v[138:139], v[162:163], v[140:141]
	v_fma_f64 v[138:139], v[160:161], v[158:159], -v[138:139]
	v_mul_f64 v[160:161], v[160:161], v[140:141]
	v_add_f64 v[54:55], v[54:55], -v[138:139]
	v_fma_f64 v[160:161], v[162:163], v[158:159], v[160:161]
	v_add_f64 v[56:57], v[56:57], -v[160:161]
	ds_read2_b64 v[160:163], v218 offset0:52 offset1:53
	s_waitcnt lgkmcnt(0)
	v_mul_f64 v[138:139], v[162:163], v[140:141]
	v_fma_f64 v[138:139], v[160:161], v[158:159], -v[138:139]
	v_mul_f64 v[160:161], v[160:161], v[140:141]
	v_add_f64 v[50:51], v[50:51], -v[138:139]
	v_fma_f64 v[160:161], v[162:163], v[158:159], v[160:161]
	v_add_f64 v[52:53], v[52:53], -v[160:161]
	ds_read2_b64 v[160:163], v218 offset0:54 offset1:55
	s_waitcnt lgkmcnt(0)
	v_mul_f64 v[138:139], v[162:163], v[140:141]
	v_fma_f64 v[138:139], v[160:161], v[158:159], -v[138:139]
	v_mul_f64 v[160:161], v[160:161], v[140:141]
	v_add_f64 v[46:47], v[46:47], -v[138:139]
	v_fma_f64 v[160:161], v[162:163], v[158:159], v[160:161]
	v_add_f64 v[48:49], v[48:49], -v[160:161]
	ds_read2_b64 v[160:163], v218 offset0:56 offset1:57
	s_waitcnt lgkmcnt(0)
	v_mul_f64 v[138:139], v[162:163], v[140:141]
	v_fma_f64 v[138:139], v[160:161], v[158:159], -v[138:139]
	v_mul_f64 v[160:161], v[160:161], v[140:141]
	v_add_f64 v[42:43], v[42:43], -v[138:139]
	v_fma_f64 v[160:161], v[162:163], v[158:159], v[160:161]
	v_add_f64 v[44:45], v[44:45], -v[160:161]
	ds_read2_b64 v[160:163], v218 offset0:58 offset1:59
	s_waitcnt lgkmcnt(0)
	v_mul_f64 v[138:139], v[162:163], v[140:141]
	v_fma_f64 v[138:139], v[160:161], v[158:159], -v[138:139]
	v_mul_f64 v[160:161], v[160:161], v[140:141]
	v_add_f64 v[38:39], v[38:39], -v[138:139]
	v_fma_f64 v[160:161], v[162:163], v[158:159], v[160:161]
	v_add_f64 v[40:41], v[40:41], -v[160:161]
	ds_read2_b64 v[160:163], v218 offset0:60 offset1:61
	s_waitcnt lgkmcnt(0)
	v_mul_f64 v[138:139], v[162:163], v[140:141]
	v_fma_f64 v[138:139], v[160:161], v[158:159], -v[138:139]
	v_mul_f64 v[160:161], v[160:161], v[140:141]
	v_add_f64 v[34:35], v[34:35], -v[138:139]
	v_fma_f64 v[160:161], v[162:163], v[158:159], v[160:161]
	v_add_f64 v[36:37], v[36:37], -v[160:161]
	ds_read2_b64 v[160:163], v218 offset0:62 offset1:63
	s_waitcnt lgkmcnt(0)
	v_mul_f64 v[138:139], v[162:163], v[140:141]
	v_fma_f64 v[138:139], v[160:161], v[158:159], -v[138:139]
	v_mul_f64 v[160:161], v[160:161], v[140:141]
	v_add_f64 v[30:31], v[30:31], -v[138:139]
	v_fma_f64 v[160:161], v[162:163], v[158:159], v[160:161]
	v_add_f64 v[32:33], v[32:33], -v[160:161]
	ds_read2_b64 v[160:163], v218 offset0:64 offset1:65
	s_waitcnt lgkmcnt(0)
	v_mul_f64 v[138:139], v[162:163], v[140:141]
	v_fma_f64 v[138:139], v[160:161], v[158:159], -v[138:139]
	v_mul_f64 v[160:161], v[160:161], v[140:141]
	v_add_f64 v[26:27], v[26:27], -v[138:139]
	v_fma_f64 v[160:161], v[162:163], v[158:159], v[160:161]
	v_add_f64 v[28:29], v[28:29], -v[160:161]
	ds_read2_b64 v[160:163], v218 offset0:66 offset1:67
	s_waitcnt lgkmcnt(0)
	v_mul_f64 v[138:139], v[162:163], v[140:141]
	v_fma_f64 v[138:139], v[160:161], v[158:159], -v[138:139]
	v_mul_f64 v[160:161], v[160:161], v[140:141]
	v_add_f64 v[22:23], v[22:23], -v[138:139]
	v_fma_f64 v[160:161], v[162:163], v[158:159], v[160:161]
	v_add_f64 v[24:25], v[24:25], -v[160:161]
	ds_read2_b64 v[160:163], v218 offset0:68 offset1:69
	s_waitcnt lgkmcnt(0)
	v_mul_f64 v[138:139], v[162:163], v[140:141]
	v_fma_f64 v[138:139], v[160:161], v[158:159], -v[138:139]
	v_mul_f64 v[160:161], v[160:161], v[140:141]
	v_add_f64 v[18:19], v[18:19], -v[138:139]
	v_fma_f64 v[160:161], v[162:163], v[158:159], v[160:161]
	v_add_f64 v[20:21], v[20:21], -v[160:161]
	ds_read2_b64 v[160:163], v218 offset0:70 offset1:71
	s_waitcnt lgkmcnt(0)
	v_mul_f64 v[138:139], v[162:163], v[140:141]
	v_fma_f64 v[138:139], v[160:161], v[158:159], -v[138:139]
	v_mul_f64 v[160:161], v[160:161], v[140:141]
	v_add_f64 v[14:15], v[14:15], -v[138:139]
	v_fma_f64 v[160:161], v[162:163], v[158:159], v[160:161]
	v_add_f64 v[16:17], v[16:17], -v[160:161]
	ds_read2_b64 v[160:163], v218 offset0:72 offset1:73
	s_waitcnt lgkmcnt(0)
	v_mul_f64 v[138:139], v[162:163], v[140:141]
	v_fma_f64 v[138:139], v[160:161], v[158:159], -v[138:139]
	v_mul_f64 v[160:161], v[160:161], v[140:141]
	v_add_f64 v[10:11], v[10:11], -v[138:139]
	v_fma_f64 v[160:161], v[162:163], v[158:159], v[160:161]
	v_add_f64 v[12:13], v[12:13], -v[160:161]
	ds_read2_b64 v[160:163], v218 offset0:74 offset1:75
	s_waitcnt lgkmcnt(0)
	v_mul_f64 v[138:139], v[162:163], v[140:141]
	v_fma_f64 v[138:139], v[160:161], v[158:159], -v[138:139]
	v_mul_f64 v[160:161], v[160:161], v[140:141]
	v_add_f64 v[6:7], v[6:7], -v[138:139]
	v_fma_f64 v[160:161], v[162:163], v[158:159], v[160:161]
	v_add_f64 v[8:9], v[8:9], -v[160:161]
	ds_read2_b64 v[160:163], v218 offset0:76 offset1:77
	s_waitcnt lgkmcnt(0)
	v_mul_f64 v[138:139], v[162:163], v[140:141]
	v_fma_f64 v[138:139], v[160:161], v[158:159], -v[138:139]
	v_mul_f64 v[160:161], v[160:161], v[140:141]
	v_add_f64 v[2:3], v[2:3], -v[138:139]
	v_fma_f64 v[160:161], v[162:163], v[158:159], v[160:161]
	v_mov_b32_e32 v138, v158
	v_mov_b32_e32 v139, v159
	v_add_f64 v[4:5], v[4:5], -v[160:161]
.LBB77_46:
	s_or_b32 exec_lo, exec_lo, s1
	s_mov_b32 s2, exec_lo
	s_waitcnt_vscnt null, 0x0
	s_barrier
	buffer_gl0_inv
	v_cmpx_eq_u32_e32 5, v0
	s_cbranch_execz .LBB77_53
; %bb.47:
	ds_write2_b64 v1, v[134:135], v[136:137] offset1:1
	ds_write2_b64 v218, v[130:131], v[132:133] offset0:12 offset1:13
	ds_write2_b64 v218, v[126:127], v[128:129] offset0:14 offset1:15
	;; [unrolled: 1-line block ×33, first 2 shown]
	ds_read2_b64 v[158:161], v1 offset1:1
	s_waitcnt lgkmcnt(0)
	v_cmp_neq_f64_e32 vcc_lo, 0, v[158:159]
	v_cmp_neq_f64_e64 s1, 0, v[160:161]
	s_or_b32 s1, vcc_lo, s1
	s_and_b32 exec_lo, exec_lo, s1
	s_cbranch_execz .LBB77_53
; %bb.48:
	v_cmp_ngt_f64_e64 s1, |v[158:159]|, |v[160:161]|
                                        ; implicit-def: $vgpr162_vgpr163
	s_and_saveexec_b32 s3, s1
	s_xor_b32 s1, exec_lo, s3
                                        ; implicit-def: $vgpr164_vgpr165
	s_cbranch_execz .LBB77_50
; %bb.49:
	v_div_scale_f64 v[162:163], null, v[160:161], v[160:161], v[158:159]
	v_div_scale_f64 v[168:169], vcc_lo, v[158:159], v[160:161], v[158:159]
	v_rcp_f64_e32 v[164:165], v[162:163]
	v_fma_f64 v[166:167], -v[162:163], v[164:165], 1.0
	v_fma_f64 v[164:165], v[164:165], v[166:167], v[164:165]
	v_fma_f64 v[166:167], -v[162:163], v[164:165], 1.0
	v_fma_f64 v[164:165], v[164:165], v[166:167], v[164:165]
	v_mul_f64 v[166:167], v[168:169], v[164:165]
	v_fma_f64 v[162:163], -v[162:163], v[166:167], v[168:169]
	v_div_fmas_f64 v[162:163], v[162:163], v[164:165], v[166:167]
	v_div_fixup_f64 v[162:163], v[162:163], v[160:161], v[158:159]
	v_fma_f64 v[158:159], v[158:159], v[162:163], v[160:161]
	v_div_scale_f64 v[160:161], null, v[158:159], v[158:159], 1.0
	v_rcp_f64_e32 v[164:165], v[160:161]
	v_fma_f64 v[166:167], -v[160:161], v[164:165], 1.0
	v_fma_f64 v[164:165], v[164:165], v[166:167], v[164:165]
	v_fma_f64 v[166:167], -v[160:161], v[164:165], 1.0
	v_fma_f64 v[164:165], v[164:165], v[166:167], v[164:165]
	v_div_scale_f64 v[166:167], vcc_lo, 1.0, v[158:159], 1.0
	v_mul_f64 v[168:169], v[166:167], v[164:165]
	v_fma_f64 v[160:161], -v[160:161], v[168:169], v[166:167]
	v_div_fmas_f64 v[160:161], v[160:161], v[164:165], v[168:169]
	v_div_fixup_f64 v[164:165], v[160:161], v[158:159], 1.0
                                        ; implicit-def: $vgpr158_vgpr159
	v_mul_f64 v[162:163], v[162:163], v[164:165]
	v_xor_b32_e32 v165, 0x80000000, v165
.LBB77_50:
	s_andn2_saveexec_b32 s1, s1
	s_cbranch_execz .LBB77_52
; %bb.51:
	v_div_scale_f64 v[162:163], null, v[158:159], v[158:159], v[160:161]
	v_div_scale_f64 v[168:169], vcc_lo, v[160:161], v[158:159], v[160:161]
	v_rcp_f64_e32 v[164:165], v[162:163]
	v_fma_f64 v[166:167], -v[162:163], v[164:165], 1.0
	v_fma_f64 v[164:165], v[164:165], v[166:167], v[164:165]
	v_fma_f64 v[166:167], -v[162:163], v[164:165], 1.0
	v_fma_f64 v[164:165], v[164:165], v[166:167], v[164:165]
	v_mul_f64 v[166:167], v[168:169], v[164:165]
	v_fma_f64 v[162:163], -v[162:163], v[166:167], v[168:169]
	v_div_fmas_f64 v[162:163], v[162:163], v[164:165], v[166:167]
	v_div_fixup_f64 v[164:165], v[162:163], v[158:159], v[160:161]
	v_fma_f64 v[158:159], v[160:161], v[164:165], v[158:159]
	v_div_scale_f64 v[160:161], null, v[158:159], v[158:159], 1.0
	v_rcp_f64_e32 v[162:163], v[160:161]
	v_fma_f64 v[166:167], -v[160:161], v[162:163], 1.0
	v_fma_f64 v[162:163], v[162:163], v[166:167], v[162:163]
	v_fma_f64 v[166:167], -v[160:161], v[162:163], 1.0
	v_fma_f64 v[162:163], v[162:163], v[166:167], v[162:163]
	v_div_scale_f64 v[166:167], vcc_lo, 1.0, v[158:159], 1.0
	v_mul_f64 v[168:169], v[166:167], v[162:163]
	v_fma_f64 v[160:161], -v[160:161], v[168:169], v[166:167]
	v_div_fmas_f64 v[160:161], v[160:161], v[162:163], v[168:169]
	v_div_fixup_f64 v[162:163], v[160:161], v[158:159], 1.0
	v_mul_f64 v[164:165], v[164:165], -v[162:163]
.LBB77_52:
	s_or_b32 exec_lo, exec_lo, s1
	ds_write2_b64 v1, v[162:163], v[164:165] offset1:1
.LBB77_53:
	s_or_b32 exec_lo, exec_lo, s2
	s_waitcnt lgkmcnt(0)
	s_barrier
	buffer_gl0_inv
	ds_read2_b64 v[158:161], v1 offset1:1
	s_mov_b32 s1, exec_lo
	s_waitcnt lgkmcnt(0)
	buffer_store_dword v158, off, s[16:19], 0 offset:256 ; 4-byte Folded Spill
	buffer_store_dword v159, off, s[16:19], 0 offset:260 ; 4-byte Folded Spill
	;; [unrolled: 1-line block ×4, first 2 shown]
	v_cmpx_lt_u32_e32 5, v0
	s_cbranch_execz .LBB77_55
; %bb.54:
	s_clause 0x3
	buffer_load_dword v160, off, s[16:19], 0 offset:256
	buffer_load_dword v161, off, s[16:19], 0 offset:260
	buffer_load_dword v162, off, s[16:19], 0 offset:264
	buffer_load_dword v163, off, s[16:19], 0 offset:268
	s_waitcnt vmcnt(0)
	v_mul_f64 v[158:159], v[162:163], v[136:137]
	v_mul_f64 v[136:137], v[160:161], v[136:137]
	v_fma_f64 v[158:159], v[160:161], v[134:135], -v[158:159]
	v_fma_f64 v[136:137], v[162:163], v[134:135], v[136:137]
	ds_read2_b64 v[160:163], v218 offset0:12 offset1:13
	s_waitcnt lgkmcnt(0)
	v_mul_f64 v[134:135], v[162:163], v[136:137]
	v_fma_f64 v[134:135], v[160:161], v[158:159], -v[134:135]
	v_mul_f64 v[160:161], v[160:161], v[136:137]
	v_add_f64 v[130:131], v[130:131], -v[134:135]
	v_fma_f64 v[160:161], v[162:163], v[158:159], v[160:161]
	v_add_f64 v[132:133], v[132:133], -v[160:161]
	ds_read2_b64 v[160:163], v218 offset0:14 offset1:15
	s_waitcnt lgkmcnt(0)
	v_mul_f64 v[134:135], v[162:163], v[136:137]
	v_fma_f64 v[134:135], v[160:161], v[158:159], -v[134:135]
	v_mul_f64 v[160:161], v[160:161], v[136:137]
	v_add_f64 v[126:127], v[126:127], -v[134:135]
	v_fma_f64 v[160:161], v[162:163], v[158:159], v[160:161]
	v_add_f64 v[128:129], v[128:129], -v[160:161]
	;; [unrolled: 8-line block ×32, first 2 shown]
	ds_read2_b64 v[160:163], v218 offset0:76 offset1:77
	s_waitcnt lgkmcnt(0)
	v_mul_f64 v[134:135], v[162:163], v[136:137]
	v_fma_f64 v[134:135], v[160:161], v[158:159], -v[134:135]
	v_mul_f64 v[160:161], v[160:161], v[136:137]
	v_add_f64 v[2:3], v[2:3], -v[134:135]
	v_fma_f64 v[160:161], v[162:163], v[158:159], v[160:161]
	v_mov_b32_e32 v134, v158
	v_mov_b32_e32 v135, v159
	v_add_f64 v[4:5], v[4:5], -v[160:161]
.LBB77_55:
	s_or_b32 exec_lo, exec_lo, s1
	s_mov_b32 s2, exec_lo
	s_waitcnt_vscnt null, 0x0
	s_barrier
	buffer_gl0_inv
	v_cmpx_eq_u32_e32 6, v0
	s_cbranch_execz .LBB77_62
; %bb.56:
	ds_write2_b64 v1, v[130:131], v[132:133] offset1:1
	ds_write2_b64 v218, v[126:127], v[128:129] offset0:14 offset1:15
	ds_write2_b64 v218, v[122:123], v[124:125] offset0:16 offset1:17
	;; [unrolled: 1-line block ×32, first 2 shown]
	ds_read2_b64 v[158:161], v1 offset1:1
	s_waitcnt lgkmcnt(0)
	v_cmp_neq_f64_e32 vcc_lo, 0, v[158:159]
	v_cmp_neq_f64_e64 s1, 0, v[160:161]
	s_or_b32 s1, vcc_lo, s1
	s_and_b32 exec_lo, exec_lo, s1
	s_cbranch_execz .LBB77_62
; %bb.57:
	v_cmp_ngt_f64_e64 s1, |v[158:159]|, |v[160:161]|
                                        ; implicit-def: $vgpr162_vgpr163
	s_and_saveexec_b32 s3, s1
	s_xor_b32 s1, exec_lo, s3
                                        ; implicit-def: $vgpr164_vgpr165
	s_cbranch_execz .LBB77_59
; %bb.58:
	v_div_scale_f64 v[162:163], null, v[160:161], v[160:161], v[158:159]
	v_div_scale_f64 v[168:169], vcc_lo, v[158:159], v[160:161], v[158:159]
	v_rcp_f64_e32 v[164:165], v[162:163]
	v_fma_f64 v[166:167], -v[162:163], v[164:165], 1.0
	v_fma_f64 v[164:165], v[164:165], v[166:167], v[164:165]
	v_fma_f64 v[166:167], -v[162:163], v[164:165], 1.0
	v_fma_f64 v[164:165], v[164:165], v[166:167], v[164:165]
	v_mul_f64 v[166:167], v[168:169], v[164:165]
	v_fma_f64 v[162:163], -v[162:163], v[166:167], v[168:169]
	v_div_fmas_f64 v[162:163], v[162:163], v[164:165], v[166:167]
	v_div_fixup_f64 v[162:163], v[162:163], v[160:161], v[158:159]
	v_fma_f64 v[158:159], v[158:159], v[162:163], v[160:161]
	v_div_scale_f64 v[160:161], null, v[158:159], v[158:159], 1.0
	v_rcp_f64_e32 v[164:165], v[160:161]
	v_fma_f64 v[166:167], -v[160:161], v[164:165], 1.0
	v_fma_f64 v[164:165], v[164:165], v[166:167], v[164:165]
	v_fma_f64 v[166:167], -v[160:161], v[164:165], 1.0
	v_fma_f64 v[164:165], v[164:165], v[166:167], v[164:165]
	v_div_scale_f64 v[166:167], vcc_lo, 1.0, v[158:159], 1.0
	v_mul_f64 v[168:169], v[166:167], v[164:165]
	v_fma_f64 v[160:161], -v[160:161], v[168:169], v[166:167]
	v_div_fmas_f64 v[160:161], v[160:161], v[164:165], v[168:169]
	v_div_fixup_f64 v[164:165], v[160:161], v[158:159], 1.0
                                        ; implicit-def: $vgpr158_vgpr159
	v_mul_f64 v[162:163], v[162:163], v[164:165]
	v_xor_b32_e32 v165, 0x80000000, v165
.LBB77_59:
	s_andn2_saveexec_b32 s1, s1
	s_cbranch_execz .LBB77_61
; %bb.60:
	v_div_scale_f64 v[162:163], null, v[158:159], v[158:159], v[160:161]
	v_div_scale_f64 v[168:169], vcc_lo, v[160:161], v[158:159], v[160:161]
	v_rcp_f64_e32 v[164:165], v[162:163]
	v_fma_f64 v[166:167], -v[162:163], v[164:165], 1.0
	v_fma_f64 v[164:165], v[164:165], v[166:167], v[164:165]
	v_fma_f64 v[166:167], -v[162:163], v[164:165], 1.0
	v_fma_f64 v[164:165], v[164:165], v[166:167], v[164:165]
	v_mul_f64 v[166:167], v[168:169], v[164:165]
	v_fma_f64 v[162:163], -v[162:163], v[166:167], v[168:169]
	v_div_fmas_f64 v[162:163], v[162:163], v[164:165], v[166:167]
	v_div_fixup_f64 v[164:165], v[162:163], v[158:159], v[160:161]
	v_fma_f64 v[158:159], v[160:161], v[164:165], v[158:159]
	v_div_scale_f64 v[160:161], null, v[158:159], v[158:159], 1.0
	v_rcp_f64_e32 v[162:163], v[160:161]
	v_fma_f64 v[166:167], -v[160:161], v[162:163], 1.0
	v_fma_f64 v[162:163], v[162:163], v[166:167], v[162:163]
	v_fma_f64 v[166:167], -v[160:161], v[162:163], 1.0
	v_fma_f64 v[162:163], v[162:163], v[166:167], v[162:163]
	v_div_scale_f64 v[166:167], vcc_lo, 1.0, v[158:159], 1.0
	v_mul_f64 v[168:169], v[166:167], v[162:163]
	v_fma_f64 v[160:161], -v[160:161], v[168:169], v[166:167]
	v_div_fmas_f64 v[160:161], v[160:161], v[162:163], v[168:169]
	v_div_fixup_f64 v[162:163], v[160:161], v[158:159], 1.0
	v_mul_f64 v[164:165], v[164:165], -v[162:163]
.LBB77_61:
	s_or_b32 exec_lo, exec_lo, s1
	ds_write2_b64 v1, v[162:163], v[164:165] offset1:1
.LBB77_62:
	s_or_b32 exec_lo, exec_lo, s2
	s_waitcnt lgkmcnt(0)
	s_barrier
	buffer_gl0_inv
	ds_read2_b64 v[158:161], v1 offset1:1
	s_mov_b32 s1, exec_lo
	s_waitcnt lgkmcnt(0)
	buffer_store_dword v158, off, s[16:19], 0 offset:272 ; 4-byte Folded Spill
	buffer_store_dword v159, off, s[16:19], 0 offset:276 ; 4-byte Folded Spill
	;; [unrolled: 1-line block ×4, first 2 shown]
	v_cmpx_lt_u32_e32 6, v0
	s_cbranch_execz .LBB77_64
; %bb.63:
	s_clause 0x3
	buffer_load_dword v160, off, s[16:19], 0 offset:272
	buffer_load_dword v161, off, s[16:19], 0 offset:276
	buffer_load_dword v162, off, s[16:19], 0 offset:280
	buffer_load_dword v163, off, s[16:19], 0 offset:284
	s_waitcnt vmcnt(0)
	v_mul_f64 v[158:159], v[162:163], v[132:133]
	v_mul_f64 v[132:133], v[160:161], v[132:133]
	v_fma_f64 v[158:159], v[160:161], v[130:131], -v[158:159]
	v_fma_f64 v[132:133], v[162:163], v[130:131], v[132:133]
	ds_read2_b64 v[160:163], v218 offset0:14 offset1:15
	s_waitcnt lgkmcnt(0)
	v_mul_f64 v[130:131], v[162:163], v[132:133]
	v_fma_f64 v[130:131], v[160:161], v[158:159], -v[130:131]
	v_mul_f64 v[160:161], v[160:161], v[132:133]
	v_add_f64 v[126:127], v[126:127], -v[130:131]
	v_fma_f64 v[160:161], v[162:163], v[158:159], v[160:161]
	v_add_f64 v[128:129], v[128:129], -v[160:161]
	ds_read2_b64 v[160:163], v218 offset0:16 offset1:17
	s_waitcnt lgkmcnt(0)
	v_mul_f64 v[130:131], v[162:163], v[132:133]
	v_fma_f64 v[130:131], v[160:161], v[158:159], -v[130:131]
	v_mul_f64 v[160:161], v[160:161], v[132:133]
	v_add_f64 v[122:123], v[122:123], -v[130:131]
	v_fma_f64 v[160:161], v[162:163], v[158:159], v[160:161]
	v_add_f64 v[124:125], v[124:125], -v[160:161]
	;; [unrolled: 8-line block ×31, first 2 shown]
	ds_read2_b64 v[160:163], v218 offset0:76 offset1:77
	s_waitcnt lgkmcnt(0)
	v_mul_f64 v[130:131], v[162:163], v[132:133]
	v_fma_f64 v[130:131], v[160:161], v[158:159], -v[130:131]
	v_mul_f64 v[160:161], v[160:161], v[132:133]
	v_add_f64 v[2:3], v[2:3], -v[130:131]
	v_fma_f64 v[160:161], v[162:163], v[158:159], v[160:161]
	v_mov_b32_e32 v130, v158
	v_mov_b32_e32 v131, v159
	v_add_f64 v[4:5], v[4:5], -v[160:161]
.LBB77_64:
	s_or_b32 exec_lo, exec_lo, s1
	s_mov_b32 s2, exec_lo
	s_waitcnt_vscnt null, 0x0
	s_barrier
	buffer_gl0_inv
	v_cmpx_eq_u32_e32 7, v0
	s_cbranch_execz .LBB77_71
; %bb.65:
	ds_write2_b64 v1, v[126:127], v[128:129] offset1:1
	ds_write2_b64 v218, v[122:123], v[124:125] offset0:16 offset1:17
	ds_write2_b64 v218, v[118:119], v[120:121] offset0:18 offset1:19
	;; [unrolled: 1-line block ×31, first 2 shown]
	ds_read2_b64 v[158:161], v1 offset1:1
	s_waitcnt lgkmcnt(0)
	v_cmp_neq_f64_e32 vcc_lo, 0, v[158:159]
	v_cmp_neq_f64_e64 s1, 0, v[160:161]
	s_or_b32 s1, vcc_lo, s1
	s_and_b32 exec_lo, exec_lo, s1
	s_cbranch_execz .LBB77_71
; %bb.66:
	v_cmp_ngt_f64_e64 s1, |v[158:159]|, |v[160:161]|
                                        ; implicit-def: $vgpr162_vgpr163
	s_and_saveexec_b32 s3, s1
	s_xor_b32 s1, exec_lo, s3
                                        ; implicit-def: $vgpr164_vgpr165
	s_cbranch_execz .LBB77_68
; %bb.67:
	v_div_scale_f64 v[162:163], null, v[160:161], v[160:161], v[158:159]
	v_div_scale_f64 v[168:169], vcc_lo, v[158:159], v[160:161], v[158:159]
	v_rcp_f64_e32 v[164:165], v[162:163]
	v_fma_f64 v[166:167], -v[162:163], v[164:165], 1.0
	v_fma_f64 v[164:165], v[164:165], v[166:167], v[164:165]
	v_fma_f64 v[166:167], -v[162:163], v[164:165], 1.0
	v_fma_f64 v[164:165], v[164:165], v[166:167], v[164:165]
	v_mul_f64 v[166:167], v[168:169], v[164:165]
	v_fma_f64 v[162:163], -v[162:163], v[166:167], v[168:169]
	v_div_fmas_f64 v[162:163], v[162:163], v[164:165], v[166:167]
	v_div_fixup_f64 v[162:163], v[162:163], v[160:161], v[158:159]
	v_fma_f64 v[158:159], v[158:159], v[162:163], v[160:161]
	v_div_scale_f64 v[160:161], null, v[158:159], v[158:159], 1.0
	v_rcp_f64_e32 v[164:165], v[160:161]
	v_fma_f64 v[166:167], -v[160:161], v[164:165], 1.0
	v_fma_f64 v[164:165], v[164:165], v[166:167], v[164:165]
	v_fma_f64 v[166:167], -v[160:161], v[164:165], 1.0
	v_fma_f64 v[164:165], v[164:165], v[166:167], v[164:165]
	v_div_scale_f64 v[166:167], vcc_lo, 1.0, v[158:159], 1.0
	v_mul_f64 v[168:169], v[166:167], v[164:165]
	v_fma_f64 v[160:161], -v[160:161], v[168:169], v[166:167]
	v_div_fmas_f64 v[160:161], v[160:161], v[164:165], v[168:169]
	v_div_fixup_f64 v[164:165], v[160:161], v[158:159], 1.0
                                        ; implicit-def: $vgpr158_vgpr159
	v_mul_f64 v[162:163], v[162:163], v[164:165]
	v_xor_b32_e32 v165, 0x80000000, v165
.LBB77_68:
	s_andn2_saveexec_b32 s1, s1
	s_cbranch_execz .LBB77_70
; %bb.69:
	v_div_scale_f64 v[162:163], null, v[158:159], v[158:159], v[160:161]
	v_div_scale_f64 v[168:169], vcc_lo, v[160:161], v[158:159], v[160:161]
	v_rcp_f64_e32 v[164:165], v[162:163]
	v_fma_f64 v[166:167], -v[162:163], v[164:165], 1.0
	v_fma_f64 v[164:165], v[164:165], v[166:167], v[164:165]
	v_fma_f64 v[166:167], -v[162:163], v[164:165], 1.0
	v_fma_f64 v[164:165], v[164:165], v[166:167], v[164:165]
	v_mul_f64 v[166:167], v[168:169], v[164:165]
	v_fma_f64 v[162:163], -v[162:163], v[166:167], v[168:169]
	v_div_fmas_f64 v[162:163], v[162:163], v[164:165], v[166:167]
	v_div_fixup_f64 v[164:165], v[162:163], v[158:159], v[160:161]
	v_fma_f64 v[158:159], v[160:161], v[164:165], v[158:159]
	v_div_scale_f64 v[160:161], null, v[158:159], v[158:159], 1.0
	v_rcp_f64_e32 v[162:163], v[160:161]
	v_fma_f64 v[166:167], -v[160:161], v[162:163], 1.0
	v_fma_f64 v[162:163], v[162:163], v[166:167], v[162:163]
	v_fma_f64 v[166:167], -v[160:161], v[162:163], 1.0
	v_fma_f64 v[162:163], v[162:163], v[166:167], v[162:163]
	v_div_scale_f64 v[166:167], vcc_lo, 1.0, v[158:159], 1.0
	v_mul_f64 v[168:169], v[166:167], v[162:163]
	v_fma_f64 v[160:161], -v[160:161], v[168:169], v[166:167]
	v_div_fmas_f64 v[160:161], v[160:161], v[162:163], v[168:169]
	v_div_fixup_f64 v[162:163], v[160:161], v[158:159], 1.0
	v_mul_f64 v[164:165], v[164:165], -v[162:163]
.LBB77_70:
	s_or_b32 exec_lo, exec_lo, s1
	ds_write2_b64 v1, v[162:163], v[164:165] offset1:1
.LBB77_71:
	s_or_b32 exec_lo, exec_lo, s2
	s_waitcnt lgkmcnt(0)
	s_barrier
	buffer_gl0_inv
	ds_read2_b64 v[158:161], v1 offset1:1
	s_mov_b32 s1, exec_lo
	s_waitcnt lgkmcnt(0)
	buffer_store_dword v158, off, s[16:19], 0 offset:288 ; 4-byte Folded Spill
	buffer_store_dword v159, off, s[16:19], 0 offset:292 ; 4-byte Folded Spill
	buffer_store_dword v160, off, s[16:19], 0 offset:296 ; 4-byte Folded Spill
	buffer_store_dword v161, off, s[16:19], 0 offset:300 ; 4-byte Folded Spill
	v_cmpx_lt_u32_e32 7, v0
	s_cbranch_execz .LBB77_73
; %bb.72:
	s_clause 0x3
	buffer_load_dword v160, off, s[16:19], 0 offset:288
	buffer_load_dword v161, off, s[16:19], 0 offset:292
	;; [unrolled: 1-line block ×4, first 2 shown]
	s_waitcnt vmcnt(0)
	v_mul_f64 v[158:159], v[162:163], v[128:129]
	v_mul_f64 v[128:129], v[160:161], v[128:129]
	v_fma_f64 v[158:159], v[160:161], v[126:127], -v[158:159]
	v_fma_f64 v[128:129], v[162:163], v[126:127], v[128:129]
	ds_read2_b64 v[160:163], v218 offset0:16 offset1:17
	s_waitcnt lgkmcnt(0)
	v_mul_f64 v[126:127], v[162:163], v[128:129]
	v_fma_f64 v[126:127], v[160:161], v[158:159], -v[126:127]
	v_mul_f64 v[160:161], v[160:161], v[128:129]
	v_add_f64 v[122:123], v[122:123], -v[126:127]
	v_fma_f64 v[160:161], v[162:163], v[158:159], v[160:161]
	v_add_f64 v[124:125], v[124:125], -v[160:161]
	ds_read2_b64 v[160:163], v218 offset0:18 offset1:19
	s_waitcnt lgkmcnt(0)
	v_mul_f64 v[126:127], v[162:163], v[128:129]
	v_fma_f64 v[126:127], v[160:161], v[158:159], -v[126:127]
	v_mul_f64 v[160:161], v[160:161], v[128:129]
	v_add_f64 v[118:119], v[118:119], -v[126:127]
	v_fma_f64 v[160:161], v[162:163], v[158:159], v[160:161]
	v_add_f64 v[120:121], v[120:121], -v[160:161]
	ds_read2_b64 v[160:163], v218 offset0:20 offset1:21
	s_waitcnt lgkmcnt(0)
	v_mul_f64 v[126:127], v[162:163], v[128:129]
	v_fma_f64 v[126:127], v[160:161], v[158:159], -v[126:127]
	v_mul_f64 v[160:161], v[160:161], v[128:129]
	v_add_f64 v[114:115], v[114:115], -v[126:127]
	v_fma_f64 v[160:161], v[162:163], v[158:159], v[160:161]
	v_add_f64 v[116:117], v[116:117], -v[160:161]
	ds_read2_b64 v[160:163], v218 offset0:22 offset1:23
	s_waitcnt lgkmcnt(0)
	v_mul_f64 v[126:127], v[162:163], v[128:129]
	v_fma_f64 v[126:127], v[160:161], v[158:159], -v[126:127]
	v_mul_f64 v[160:161], v[160:161], v[128:129]
	v_add_f64 v[110:111], v[110:111], -v[126:127]
	v_fma_f64 v[160:161], v[162:163], v[158:159], v[160:161]
	v_add_f64 v[112:113], v[112:113], -v[160:161]
	ds_read2_b64 v[160:163], v218 offset0:24 offset1:25
	s_waitcnt lgkmcnt(0)
	v_mul_f64 v[126:127], v[162:163], v[128:129]
	v_fma_f64 v[126:127], v[160:161], v[158:159], -v[126:127]
	v_mul_f64 v[160:161], v[160:161], v[128:129]
	v_add_f64 v[106:107], v[106:107], -v[126:127]
	v_fma_f64 v[160:161], v[162:163], v[158:159], v[160:161]
	v_add_f64 v[108:109], v[108:109], -v[160:161]
	ds_read2_b64 v[160:163], v218 offset0:26 offset1:27
	s_waitcnt lgkmcnt(0)
	v_mul_f64 v[126:127], v[162:163], v[128:129]
	v_fma_f64 v[126:127], v[160:161], v[158:159], -v[126:127]
	v_mul_f64 v[160:161], v[160:161], v[128:129]
	v_add_f64 v[102:103], v[102:103], -v[126:127]
	v_fma_f64 v[160:161], v[162:163], v[158:159], v[160:161]
	v_add_f64 v[104:105], v[104:105], -v[160:161]
	ds_read2_b64 v[160:163], v218 offset0:28 offset1:29
	s_waitcnt lgkmcnt(0)
	v_mul_f64 v[126:127], v[162:163], v[128:129]
	v_fma_f64 v[126:127], v[160:161], v[158:159], -v[126:127]
	v_mul_f64 v[160:161], v[160:161], v[128:129]
	v_add_f64 v[98:99], v[98:99], -v[126:127]
	v_fma_f64 v[160:161], v[162:163], v[158:159], v[160:161]
	v_add_f64 v[100:101], v[100:101], -v[160:161]
	ds_read2_b64 v[160:163], v218 offset0:30 offset1:31
	s_waitcnt lgkmcnt(0)
	v_mul_f64 v[126:127], v[162:163], v[128:129]
	v_fma_f64 v[126:127], v[160:161], v[158:159], -v[126:127]
	v_mul_f64 v[160:161], v[160:161], v[128:129]
	v_add_f64 v[94:95], v[94:95], -v[126:127]
	v_fma_f64 v[160:161], v[162:163], v[158:159], v[160:161]
	v_add_f64 v[96:97], v[96:97], -v[160:161]
	ds_read2_b64 v[160:163], v218 offset0:32 offset1:33
	s_waitcnt lgkmcnt(0)
	v_mul_f64 v[126:127], v[162:163], v[128:129]
	v_fma_f64 v[126:127], v[160:161], v[158:159], -v[126:127]
	v_mul_f64 v[160:161], v[160:161], v[128:129]
	v_add_f64 v[90:91], v[90:91], -v[126:127]
	v_fma_f64 v[160:161], v[162:163], v[158:159], v[160:161]
	v_add_f64 v[92:93], v[92:93], -v[160:161]
	ds_read2_b64 v[160:163], v218 offset0:34 offset1:35
	s_waitcnt lgkmcnt(0)
	v_mul_f64 v[126:127], v[162:163], v[128:129]
	v_fma_f64 v[126:127], v[160:161], v[158:159], -v[126:127]
	v_mul_f64 v[160:161], v[160:161], v[128:129]
	v_add_f64 v[86:87], v[86:87], -v[126:127]
	v_fma_f64 v[160:161], v[162:163], v[158:159], v[160:161]
	v_add_f64 v[88:89], v[88:89], -v[160:161]
	ds_read2_b64 v[160:163], v218 offset0:36 offset1:37
	s_waitcnt lgkmcnt(0)
	v_mul_f64 v[126:127], v[162:163], v[128:129]
	v_fma_f64 v[126:127], v[160:161], v[158:159], -v[126:127]
	v_mul_f64 v[160:161], v[160:161], v[128:129]
	v_add_f64 v[82:83], v[82:83], -v[126:127]
	v_fma_f64 v[160:161], v[162:163], v[158:159], v[160:161]
	v_add_f64 v[84:85], v[84:85], -v[160:161]
	ds_read2_b64 v[160:163], v218 offset0:38 offset1:39
	s_waitcnt lgkmcnt(0)
	v_mul_f64 v[126:127], v[162:163], v[128:129]
	v_fma_f64 v[126:127], v[160:161], v[158:159], -v[126:127]
	v_mul_f64 v[160:161], v[160:161], v[128:129]
	v_add_f64 v[78:79], v[78:79], -v[126:127]
	v_fma_f64 v[160:161], v[162:163], v[158:159], v[160:161]
	v_add_f64 v[80:81], v[80:81], -v[160:161]
	ds_read2_b64 v[160:163], v218 offset0:40 offset1:41
	s_waitcnt lgkmcnt(0)
	v_mul_f64 v[126:127], v[162:163], v[128:129]
	v_fma_f64 v[126:127], v[160:161], v[158:159], -v[126:127]
	v_mul_f64 v[160:161], v[160:161], v[128:129]
	v_add_f64 v[74:75], v[74:75], -v[126:127]
	v_fma_f64 v[160:161], v[162:163], v[158:159], v[160:161]
	v_add_f64 v[76:77], v[76:77], -v[160:161]
	ds_read2_b64 v[160:163], v218 offset0:42 offset1:43
	s_waitcnt lgkmcnt(0)
	v_mul_f64 v[126:127], v[162:163], v[128:129]
	v_fma_f64 v[126:127], v[160:161], v[158:159], -v[126:127]
	v_mul_f64 v[160:161], v[160:161], v[128:129]
	v_add_f64 v[70:71], v[70:71], -v[126:127]
	v_fma_f64 v[160:161], v[162:163], v[158:159], v[160:161]
	v_add_f64 v[72:73], v[72:73], -v[160:161]
	ds_read2_b64 v[160:163], v218 offset0:44 offset1:45
	s_waitcnt lgkmcnt(0)
	v_mul_f64 v[126:127], v[162:163], v[128:129]
	v_fma_f64 v[126:127], v[160:161], v[158:159], -v[126:127]
	v_mul_f64 v[160:161], v[160:161], v[128:129]
	v_add_f64 v[66:67], v[66:67], -v[126:127]
	v_fma_f64 v[160:161], v[162:163], v[158:159], v[160:161]
	v_add_f64 v[68:69], v[68:69], -v[160:161]
	ds_read2_b64 v[160:163], v218 offset0:46 offset1:47
	s_waitcnt lgkmcnt(0)
	v_mul_f64 v[126:127], v[162:163], v[128:129]
	v_fma_f64 v[126:127], v[160:161], v[158:159], -v[126:127]
	v_mul_f64 v[160:161], v[160:161], v[128:129]
	v_add_f64 v[62:63], v[62:63], -v[126:127]
	v_fma_f64 v[160:161], v[162:163], v[158:159], v[160:161]
	v_add_f64 v[64:65], v[64:65], -v[160:161]
	ds_read2_b64 v[160:163], v218 offset0:48 offset1:49
	s_waitcnt lgkmcnt(0)
	v_mul_f64 v[126:127], v[162:163], v[128:129]
	v_fma_f64 v[126:127], v[160:161], v[158:159], -v[126:127]
	v_mul_f64 v[160:161], v[160:161], v[128:129]
	v_add_f64 v[58:59], v[58:59], -v[126:127]
	v_fma_f64 v[160:161], v[162:163], v[158:159], v[160:161]
	v_add_f64 v[60:61], v[60:61], -v[160:161]
	ds_read2_b64 v[160:163], v218 offset0:50 offset1:51
	s_waitcnt lgkmcnt(0)
	v_mul_f64 v[126:127], v[162:163], v[128:129]
	v_fma_f64 v[126:127], v[160:161], v[158:159], -v[126:127]
	v_mul_f64 v[160:161], v[160:161], v[128:129]
	v_add_f64 v[54:55], v[54:55], -v[126:127]
	v_fma_f64 v[160:161], v[162:163], v[158:159], v[160:161]
	v_add_f64 v[56:57], v[56:57], -v[160:161]
	ds_read2_b64 v[160:163], v218 offset0:52 offset1:53
	s_waitcnt lgkmcnt(0)
	v_mul_f64 v[126:127], v[162:163], v[128:129]
	v_fma_f64 v[126:127], v[160:161], v[158:159], -v[126:127]
	v_mul_f64 v[160:161], v[160:161], v[128:129]
	v_add_f64 v[50:51], v[50:51], -v[126:127]
	v_fma_f64 v[160:161], v[162:163], v[158:159], v[160:161]
	v_add_f64 v[52:53], v[52:53], -v[160:161]
	ds_read2_b64 v[160:163], v218 offset0:54 offset1:55
	s_waitcnt lgkmcnt(0)
	v_mul_f64 v[126:127], v[162:163], v[128:129]
	v_fma_f64 v[126:127], v[160:161], v[158:159], -v[126:127]
	v_mul_f64 v[160:161], v[160:161], v[128:129]
	v_add_f64 v[46:47], v[46:47], -v[126:127]
	v_fma_f64 v[160:161], v[162:163], v[158:159], v[160:161]
	v_add_f64 v[48:49], v[48:49], -v[160:161]
	ds_read2_b64 v[160:163], v218 offset0:56 offset1:57
	s_waitcnt lgkmcnt(0)
	v_mul_f64 v[126:127], v[162:163], v[128:129]
	v_fma_f64 v[126:127], v[160:161], v[158:159], -v[126:127]
	v_mul_f64 v[160:161], v[160:161], v[128:129]
	v_add_f64 v[42:43], v[42:43], -v[126:127]
	v_fma_f64 v[160:161], v[162:163], v[158:159], v[160:161]
	v_add_f64 v[44:45], v[44:45], -v[160:161]
	ds_read2_b64 v[160:163], v218 offset0:58 offset1:59
	s_waitcnt lgkmcnt(0)
	v_mul_f64 v[126:127], v[162:163], v[128:129]
	v_fma_f64 v[126:127], v[160:161], v[158:159], -v[126:127]
	v_mul_f64 v[160:161], v[160:161], v[128:129]
	v_add_f64 v[38:39], v[38:39], -v[126:127]
	v_fma_f64 v[160:161], v[162:163], v[158:159], v[160:161]
	v_add_f64 v[40:41], v[40:41], -v[160:161]
	ds_read2_b64 v[160:163], v218 offset0:60 offset1:61
	s_waitcnt lgkmcnt(0)
	v_mul_f64 v[126:127], v[162:163], v[128:129]
	v_fma_f64 v[126:127], v[160:161], v[158:159], -v[126:127]
	v_mul_f64 v[160:161], v[160:161], v[128:129]
	v_add_f64 v[34:35], v[34:35], -v[126:127]
	v_fma_f64 v[160:161], v[162:163], v[158:159], v[160:161]
	v_add_f64 v[36:37], v[36:37], -v[160:161]
	ds_read2_b64 v[160:163], v218 offset0:62 offset1:63
	s_waitcnt lgkmcnt(0)
	v_mul_f64 v[126:127], v[162:163], v[128:129]
	v_fma_f64 v[126:127], v[160:161], v[158:159], -v[126:127]
	v_mul_f64 v[160:161], v[160:161], v[128:129]
	v_add_f64 v[30:31], v[30:31], -v[126:127]
	v_fma_f64 v[160:161], v[162:163], v[158:159], v[160:161]
	v_add_f64 v[32:33], v[32:33], -v[160:161]
	ds_read2_b64 v[160:163], v218 offset0:64 offset1:65
	s_waitcnt lgkmcnt(0)
	v_mul_f64 v[126:127], v[162:163], v[128:129]
	v_fma_f64 v[126:127], v[160:161], v[158:159], -v[126:127]
	v_mul_f64 v[160:161], v[160:161], v[128:129]
	v_add_f64 v[26:27], v[26:27], -v[126:127]
	v_fma_f64 v[160:161], v[162:163], v[158:159], v[160:161]
	v_add_f64 v[28:29], v[28:29], -v[160:161]
	ds_read2_b64 v[160:163], v218 offset0:66 offset1:67
	s_waitcnt lgkmcnt(0)
	v_mul_f64 v[126:127], v[162:163], v[128:129]
	v_fma_f64 v[126:127], v[160:161], v[158:159], -v[126:127]
	v_mul_f64 v[160:161], v[160:161], v[128:129]
	v_add_f64 v[22:23], v[22:23], -v[126:127]
	v_fma_f64 v[160:161], v[162:163], v[158:159], v[160:161]
	v_add_f64 v[24:25], v[24:25], -v[160:161]
	ds_read2_b64 v[160:163], v218 offset0:68 offset1:69
	s_waitcnt lgkmcnt(0)
	v_mul_f64 v[126:127], v[162:163], v[128:129]
	v_fma_f64 v[126:127], v[160:161], v[158:159], -v[126:127]
	v_mul_f64 v[160:161], v[160:161], v[128:129]
	v_add_f64 v[18:19], v[18:19], -v[126:127]
	v_fma_f64 v[160:161], v[162:163], v[158:159], v[160:161]
	v_add_f64 v[20:21], v[20:21], -v[160:161]
	ds_read2_b64 v[160:163], v218 offset0:70 offset1:71
	s_waitcnt lgkmcnt(0)
	v_mul_f64 v[126:127], v[162:163], v[128:129]
	v_fma_f64 v[126:127], v[160:161], v[158:159], -v[126:127]
	v_mul_f64 v[160:161], v[160:161], v[128:129]
	v_add_f64 v[14:15], v[14:15], -v[126:127]
	v_fma_f64 v[160:161], v[162:163], v[158:159], v[160:161]
	v_add_f64 v[16:17], v[16:17], -v[160:161]
	ds_read2_b64 v[160:163], v218 offset0:72 offset1:73
	s_waitcnt lgkmcnt(0)
	v_mul_f64 v[126:127], v[162:163], v[128:129]
	v_fma_f64 v[126:127], v[160:161], v[158:159], -v[126:127]
	v_mul_f64 v[160:161], v[160:161], v[128:129]
	v_add_f64 v[10:11], v[10:11], -v[126:127]
	v_fma_f64 v[160:161], v[162:163], v[158:159], v[160:161]
	v_add_f64 v[12:13], v[12:13], -v[160:161]
	ds_read2_b64 v[160:163], v218 offset0:74 offset1:75
	s_waitcnt lgkmcnt(0)
	v_mul_f64 v[126:127], v[162:163], v[128:129]
	v_fma_f64 v[126:127], v[160:161], v[158:159], -v[126:127]
	v_mul_f64 v[160:161], v[160:161], v[128:129]
	v_add_f64 v[6:7], v[6:7], -v[126:127]
	v_fma_f64 v[160:161], v[162:163], v[158:159], v[160:161]
	v_add_f64 v[8:9], v[8:9], -v[160:161]
	ds_read2_b64 v[160:163], v218 offset0:76 offset1:77
	s_waitcnt lgkmcnt(0)
	v_mul_f64 v[126:127], v[162:163], v[128:129]
	v_fma_f64 v[126:127], v[160:161], v[158:159], -v[126:127]
	v_mul_f64 v[160:161], v[160:161], v[128:129]
	v_add_f64 v[2:3], v[2:3], -v[126:127]
	v_fma_f64 v[160:161], v[162:163], v[158:159], v[160:161]
	v_mov_b32_e32 v126, v158
	v_mov_b32_e32 v127, v159
	v_add_f64 v[4:5], v[4:5], -v[160:161]
.LBB77_73:
	s_or_b32 exec_lo, exec_lo, s1
	s_mov_b32 s2, exec_lo
	s_waitcnt_vscnt null, 0x0
	s_barrier
	buffer_gl0_inv
	v_cmpx_eq_u32_e32 8, v0
	s_cbranch_execz .LBB77_80
; %bb.74:
	ds_write2_b64 v1, v[122:123], v[124:125] offset1:1
	ds_write2_b64 v218, v[118:119], v[120:121] offset0:18 offset1:19
	ds_write2_b64 v218, v[114:115], v[116:117] offset0:20 offset1:21
	;; [unrolled: 1-line block ×30, first 2 shown]
	ds_read2_b64 v[158:161], v1 offset1:1
	s_waitcnt lgkmcnt(0)
	v_cmp_neq_f64_e32 vcc_lo, 0, v[158:159]
	v_cmp_neq_f64_e64 s1, 0, v[160:161]
	s_or_b32 s1, vcc_lo, s1
	s_and_b32 exec_lo, exec_lo, s1
	s_cbranch_execz .LBB77_80
; %bb.75:
	v_cmp_ngt_f64_e64 s1, |v[158:159]|, |v[160:161]|
                                        ; implicit-def: $vgpr162_vgpr163
	s_and_saveexec_b32 s3, s1
	s_xor_b32 s1, exec_lo, s3
                                        ; implicit-def: $vgpr164_vgpr165
	s_cbranch_execz .LBB77_77
; %bb.76:
	v_div_scale_f64 v[162:163], null, v[160:161], v[160:161], v[158:159]
	v_div_scale_f64 v[168:169], vcc_lo, v[158:159], v[160:161], v[158:159]
	v_rcp_f64_e32 v[164:165], v[162:163]
	v_fma_f64 v[166:167], -v[162:163], v[164:165], 1.0
	v_fma_f64 v[164:165], v[164:165], v[166:167], v[164:165]
	v_fma_f64 v[166:167], -v[162:163], v[164:165], 1.0
	v_fma_f64 v[164:165], v[164:165], v[166:167], v[164:165]
	v_mul_f64 v[166:167], v[168:169], v[164:165]
	v_fma_f64 v[162:163], -v[162:163], v[166:167], v[168:169]
	v_div_fmas_f64 v[162:163], v[162:163], v[164:165], v[166:167]
	v_div_fixup_f64 v[162:163], v[162:163], v[160:161], v[158:159]
	v_fma_f64 v[158:159], v[158:159], v[162:163], v[160:161]
	v_div_scale_f64 v[160:161], null, v[158:159], v[158:159], 1.0
	v_rcp_f64_e32 v[164:165], v[160:161]
	v_fma_f64 v[166:167], -v[160:161], v[164:165], 1.0
	v_fma_f64 v[164:165], v[164:165], v[166:167], v[164:165]
	v_fma_f64 v[166:167], -v[160:161], v[164:165], 1.0
	v_fma_f64 v[164:165], v[164:165], v[166:167], v[164:165]
	v_div_scale_f64 v[166:167], vcc_lo, 1.0, v[158:159], 1.0
	v_mul_f64 v[168:169], v[166:167], v[164:165]
	v_fma_f64 v[160:161], -v[160:161], v[168:169], v[166:167]
	v_div_fmas_f64 v[160:161], v[160:161], v[164:165], v[168:169]
	v_div_fixup_f64 v[164:165], v[160:161], v[158:159], 1.0
                                        ; implicit-def: $vgpr158_vgpr159
	v_mul_f64 v[162:163], v[162:163], v[164:165]
	v_xor_b32_e32 v165, 0x80000000, v165
.LBB77_77:
	s_andn2_saveexec_b32 s1, s1
	s_cbranch_execz .LBB77_79
; %bb.78:
	v_div_scale_f64 v[162:163], null, v[158:159], v[158:159], v[160:161]
	v_div_scale_f64 v[168:169], vcc_lo, v[160:161], v[158:159], v[160:161]
	v_rcp_f64_e32 v[164:165], v[162:163]
	v_fma_f64 v[166:167], -v[162:163], v[164:165], 1.0
	v_fma_f64 v[164:165], v[164:165], v[166:167], v[164:165]
	v_fma_f64 v[166:167], -v[162:163], v[164:165], 1.0
	v_fma_f64 v[164:165], v[164:165], v[166:167], v[164:165]
	v_mul_f64 v[166:167], v[168:169], v[164:165]
	v_fma_f64 v[162:163], -v[162:163], v[166:167], v[168:169]
	v_div_fmas_f64 v[162:163], v[162:163], v[164:165], v[166:167]
	v_div_fixup_f64 v[164:165], v[162:163], v[158:159], v[160:161]
	v_fma_f64 v[158:159], v[160:161], v[164:165], v[158:159]
	v_div_scale_f64 v[160:161], null, v[158:159], v[158:159], 1.0
	v_rcp_f64_e32 v[162:163], v[160:161]
	v_fma_f64 v[166:167], -v[160:161], v[162:163], 1.0
	v_fma_f64 v[162:163], v[162:163], v[166:167], v[162:163]
	v_fma_f64 v[166:167], -v[160:161], v[162:163], 1.0
	v_fma_f64 v[162:163], v[162:163], v[166:167], v[162:163]
	v_div_scale_f64 v[166:167], vcc_lo, 1.0, v[158:159], 1.0
	v_mul_f64 v[168:169], v[166:167], v[162:163]
	v_fma_f64 v[160:161], -v[160:161], v[168:169], v[166:167]
	v_div_fmas_f64 v[160:161], v[160:161], v[162:163], v[168:169]
	v_div_fixup_f64 v[162:163], v[160:161], v[158:159], 1.0
	v_mul_f64 v[164:165], v[164:165], -v[162:163]
.LBB77_79:
	s_or_b32 exec_lo, exec_lo, s1
	ds_write2_b64 v1, v[162:163], v[164:165] offset1:1
.LBB77_80:
	s_or_b32 exec_lo, exec_lo, s2
	s_waitcnt lgkmcnt(0)
	s_barrier
	buffer_gl0_inv
	ds_read2_b64 v[158:161], v1 offset1:1
	s_mov_b32 s1, exec_lo
	s_waitcnt lgkmcnt(0)
	buffer_store_dword v158, off, s[16:19], 0 offset:304 ; 4-byte Folded Spill
	buffer_store_dword v159, off, s[16:19], 0 offset:308 ; 4-byte Folded Spill
	;; [unrolled: 1-line block ×4, first 2 shown]
	v_cmpx_lt_u32_e32 8, v0
	s_cbranch_execz .LBB77_82
; %bb.81:
	s_clause 0x3
	buffer_load_dword v160, off, s[16:19], 0 offset:304
	buffer_load_dword v161, off, s[16:19], 0 offset:308
	;; [unrolled: 1-line block ×4, first 2 shown]
	s_waitcnt vmcnt(0)
	v_mul_f64 v[158:159], v[162:163], v[124:125]
	v_mul_f64 v[124:125], v[160:161], v[124:125]
	v_fma_f64 v[158:159], v[160:161], v[122:123], -v[158:159]
	v_fma_f64 v[124:125], v[162:163], v[122:123], v[124:125]
	ds_read2_b64 v[160:163], v218 offset0:18 offset1:19
	s_waitcnt lgkmcnt(0)
	v_mul_f64 v[122:123], v[162:163], v[124:125]
	v_fma_f64 v[122:123], v[160:161], v[158:159], -v[122:123]
	v_mul_f64 v[160:161], v[160:161], v[124:125]
	v_add_f64 v[118:119], v[118:119], -v[122:123]
	v_fma_f64 v[160:161], v[162:163], v[158:159], v[160:161]
	v_add_f64 v[120:121], v[120:121], -v[160:161]
	ds_read2_b64 v[160:163], v218 offset0:20 offset1:21
	s_waitcnt lgkmcnt(0)
	v_mul_f64 v[122:123], v[162:163], v[124:125]
	v_fma_f64 v[122:123], v[160:161], v[158:159], -v[122:123]
	v_mul_f64 v[160:161], v[160:161], v[124:125]
	v_add_f64 v[114:115], v[114:115], -v[122:123]
	v_fma_f64 v[160:161], v[162:163], v[158:159], v[160:161]
	v_add_f64 v[116:117], v[116:117], -v[160:161]
	;; [unrolled: 8-line block ×29, first 2 shown]
	ds_read2_b64 v[160:163], v218 offset0:76 offset1:77
	s_waitcnt lgkmcnt(0)
	v_mul_f64 v[122:123], v[162:163], v[124:125]
	v_fma_f64 v[122:123], v[160:161], v[158:159], -v[122:123]
	v_mul_f64 v[160:161], v[160:161], v[124:125]
	v_add_f64 v[2:3], v[2:3], -v[122:123]
	v_fma_f64 v[160:161], v[162:163], v[158:159], v[160:161]
	v_mov_b32_e32 v122, v158
	v_mov_b32_e32 v123, v159
	v_add_f64 v[4:5], v[4:5], -v[160:161]
.LBB77_82:
	s_or_b32 exec_lo, exec_lo, s1
	s_mov_b32 s2, exec_lo
	s_waitcnt_vscnt null, 0x0
	s_barrier
	buffer_gl0_inv
	v_cmpx_eq_u32_e32 9, v0
	s_cbranch_execz .LBB77_89
; %bb.83:
	ds_write2_b64 v1, v[118:119], v[120:121] offset1:1
	ds_write2_b64 v218, v[114:115], v[116:117] offset0:20 offset1:21
	ds_write2_b64 v218, v[110:111], v[112:113] offset0:22 offset1:23
	;; [unrolled: 1-line block ×29, first 2 shown]
	ds_read2_b64 v[158:161], v1 offset1:1
	s_waitcnt lgkmcnt(0)
	v_cmp_neq_f64_e32 vcc_lo, 0, v[158:159]
	v_cmp_neq_f64_e64 s1, 0, v[160:161]
	s_or_b32 s1, vcc_lo, s1
	s_and_b32 exec_lo, exec_lo, s1
	s_cbranch_execz .LBB77_89
; %bb.84:
	v_cmp_ngt_f64_e64 s1, |v[158:159]|, |v[160:161]|
                                        ; implicit-def: $vgpr162_vgpr163
	s_and_saveexec_b32 s3, s1
	s_xor_b32 s1, exec_lo, s3
                                        ; implicit-def: $vgpr164_vgpr165
	s_cbranch_execz .LBB77_86
; %bb.85:
	v_div_scale_f64 v[162:163], null, v[160:161], v[160:161], v[158:159]
	v_div_scale_f64 v[168:169], vcc_lo, v[158:159], v[160:161], v[158:159]
	v_rcp_f64_e32 v[164:165], v[162:163]
	v_fma_f64 v[166:167], -v[162:163], v[164:165], 1.0
	v_fma_f64 v[164:165], v[164:165], v[166:167], v[164:165]
	v_fma_f64 v[166:167], -v[162:163], v[164:165], 1.0
	v_fma_f64 v[164:165], v[164:165], v[166:167], v[164:165]
	v_mul_f64 v[166:167], v[168:169], v[164:165]
	v_fma_f64 v[162:163], -v[162:163], v[166:167], v[168:169]
	v_div_fmas_f64 v[162:163], v[162:163], v[164:165], v[166:167]
	v_div_fixup_f64 v[162:163], v[162:163], v[160:161], v[158:159]
	v_fma_f64 v[158:159], v[158:159], v[162:163], v[160:161]
	v_div_scale_f64 v[160:161], null, v[158:159], v[158:159], 1.0
	v_rcp_f64_e32 v[164:165], v[160:161]
	v_fma_f64 v[166:167], -v[160:161], v[164:165], 1.0
	v_fma_f64 v[164:165], v[164:165], v[166:167], v[164:165]
	v_fma_f64 v[166:167], -v[160:161], v[164:165], 1.0
	v_fma_f64 v[164:165], v[164:165], v[166:167], v[164:165]
	v_div_scale_f64 v[166:167], vcc_lo, 1.0, v[158:159], 1.0
	v_mul_f64 v[168:169], v[166:167], v[164:165]
	v_fma_f64 v[160:161], -v[160:161], v[168:169], v[166:167]
	v_div_fmas_f64 v[160:161], v[160:161], v[164:165], v[168:169]
	v_div_fixup_f64 v[164:165], v[160:161], v[158:159], 1.0
                                        ; implicit-def: $vgpr158_vgpr159
	v_mul_f64 v[162:163], v[162:163], v[164:165]
	v_xor_b32_e32 v165, 0x80000000, v165
.LBB77_86:
	s_andn2_saveexec_b32 s1, s1
	s_cbranch_execz .LBB77_88
; %bb.87:
	v_div_scale_f64 v[162:163], null, v[158:159], v[158:159], v[160:161]
	v_div_scale_f64 v[168:169], vcc_lo, v[160:161], v[158:159], v[160:161]
	v_rcp_f64_e32 v[164:165], v[162:163]
	v_fma_f64 v[166:167], -v[162:163], v[164:165], 1.0
	v_fma_f64 v[164:165], v[164:165], v[166:167], v[164:165]
	v_fma_f64 v[166:167], -v[162:163], v[164:165], 1.0
	v_fma_f64 v[164:165], v[164:165], v[166:167], v[164:165]
	v_mul_f64 v[166:167], v[168:169], v[164:165]
	v_fma_f64 v[162:163], -v[162:163], v[166:167], v[168:169]
	v_div_fmas_f64 v[162:163], v[162:163], v[164:165], v[166:167]
	v_div_fixup_f64 v[164:165], v[162:163], v[158:159], v[160:161]
	v_fma_f64 v[158:159], v[160:161], v[164:165], v[158:159]
	v_div_scale_f64 v[160:161], null, v[158:159], v[158:159], 1.0
	v_rcp_f64_e32 v[162:163], v[160:161]
	v_fma_f64 v[166:167], -v[160:161], v[162:163], 1.0
	v_fma_f64 v[162:163], v[162:163], v[166:167], v[162:163]
	v_fma_f64 v[166:167], -v[160:161], v[162:163], 1.0
	v_fma_f64 v[162:163], v[162:163], v[166:167], v[162:163]
	v_div_scale_f64 v[166:167], vcc_lo, 1.0, v[158:159], 1.0
	v_mul_f64 v[168:169], v[166:167], v[162:163]
	v_fma_f64 v[160:161], -v[160:161], v[168:169], v[166:167]
	v_div_fmas_f64 v[160:161], v[160:161], v[162:163], v[168:169]
	v_div_fixup_f64 v[162:163], v[160:161], v[158:159], 1.0
	v_mul_f64 v[164:165], v[164:165], -v[162:163]
.LBB77_88:
	s_or_b32 exec_lo, exec_lo, s1
	ds_write2_b64 v1, v[162:163], v[164:165] offset1:1
.LBB77_89:
	s_or_b32 exec_lo, exec_lo, s2
	s_waitcnt lgkmcnt(0)
	s_barrier
	buffer_gl0_inv
	ds_read2_b64 v[158:161], v1 offset1:1
	s_mov_b32 s1, exec_lo
	s_waitcnt lgkmcnt(0)
	buffer_store_dword v158, off, s[16:19], 0 offset:320 ; 4-byte Folded Spill
	buffer_store_dword v159, off, s[16:19], 0 offset:324 ; 4-byte Folded Spill
	;; [unrolled: 1-line block ×4, first 2 shown]
	v_cmpx_lt_u32_e32 9, v0
	s_cbranch_execz .LBB77_91
; %bb.90:
	s_clause 0x3
	buffer_load_dword v160, off, s[16:19], 0 offset:320
	buffer_load_dword v161, off, s[16:19], 0 offset:324
	;; [unrolled: 1-line block ×4, first 2 shown]
	s_waitcnt vmcnt(0)
	v_mul_f64 v[158:159], v[162:163], v[120:121]
	v_mul_f64 v[120:121], v[160:161], v[120:121]
	v_fma_f64 v[158:159], v[160:161], v[118:119], -v[158:159]
	v_fma_f64 v[120:121], v[162:163], v[118:119], v[120:121]
	ds_read2_b64 v[160:163], v218 offset0:20 offset1:21
	s_waitcnt lgkmcnt(0)
	v_mul_f64 v[118:119], v[162:163], v[120:121]
	v_fma_f64 v[118:119], v[160:161], v[158:159], -v[118:119]
	v_mul_f64 v[160:161], v[160:161], v[120:121]
	v_add_f64 v[114:115], v[114:115], -v[118:119]
	v_fma_f64 v[160:161], v[162:163], v[158:159], v[160:161]
	v_add_f64 v[116:117], v[116:117], -v[160:161]
	ds_read2_b64 v[160:163], v218 offset0:22 offset1:23
	s_waitcnt lgkmcnt(0)
	v_mul_f64 v[118:119], v[162:163], v[120:121]
	v_fma_f64 v[118:119], v[160:161], v[158:159], -v[118:119]
	v_mul_f64 v[160:161], v[160:161], v[120:121]
	v_add_f64 v[110:111], v[110:111], -v[118:119]
	v_fma_f64 v[160:161], v[162:163], v[158:159], v[160:161]
	v_add_f64 v[112:113], v[112:113], -v[160:161]
	;; [unrolled: 8-line block ×28, first 2 shown]
	ds_read2_b64 v[160:163], v218 offset0:76 offset1:77
	s_waitcnt lgkmcnt(0)
	v_mul_f64 v[118:119], v[162:163], v[120:121]
	v_fma_f64 v[118:119], v[160:161], v[158:159], -v[118:119]
	v_mul_f64 v[160:161], v[160:161], v[120:121]
	v_add_f64 v[2:3], v[2:3], -v[118:119]
	v_fma_f64 v[160:161], v[162:163], v[158:159], v[160:161]
	v_mov_b32_e32 v118, v158
	v_mov_b32_e32 v119, v159
	v_add_f64 v[4:5], v[4:5], -v[160:161]
.LBB77_91:
	s_or_b32 exec_lo, exec_lo, s1
	s_mov_b32 s2, exec_lo
	s_waitcnt_vscnt null, 0x0
	s_barrier
	buffer_gl0_inv
	v_cmpx_eq_u32_e32 10, v0
	s_cbranch_execz .LBB77_98
; %bb.92:
	ds_write2_b64 v1, v[114:115], v[116:117] offset1:1
	ds_write2_b64 v218, v[110:111], v[112:113] offset0:22 offset1:23
	ds_write2_b64 v218, v[106:107], v[108:109] offset0:24 offset1:25
	;; [unrolled: 1-line block ×28, first 2 shown]
	ds_read2_b64 v[158:161], v1 offset1:1
	s_waitcnt lgkmcnt(0)
	v_cmp_neq_f64_e32 vcc_lo, 0, v[158:159]
	v_cmp_neq_f64_e64 s1, 0, v[160:161]
	s_or_b32 s1, vcc_lo, s1
	s_and_b32 exec_lo, exec_lo, s1
	s_cbranch_execz .LBB77_98
; %bb.93:
	v_cmp_ngt_f64_e64 s1, |v[158:159]|, |v[160:161]|
                                        ; implicit-def: $vgpr162_vgpr163
	s_and_saveexec_b32 s3, s1
	s_xor_b32 s1, exec_lo, s3
                                        ; implicit-def: $vgpr164_vgpr165
	s_cbranch_execz .LBB77_95
; %bb.94:
	v_div_scale_f64 v[162:163], null, v[160:161], v[160:161], v[158:159]
	v_div_scale_f64 v[168:169], vcc_lo, v[158:159], v[160:161], v[158:159]
	v_rcp_f64_e32 v[164:165], v[162:163]
	v_fma_f64 v[166:167], -v[162:163], v[164:165], 1.0
	v_fma_f64 v[164:165], v[164:165], v[166:167], v[164:165]
	v_fma_f64 v[166:167], -v[162:163], v[164:165], 1.0
	v_fma_f64 v[164:165], v[164:165], v[166:167], v[164:165]
	v_mul_f64 v[166:167], v[168:169], v[164:165]
	v_fma_f64 v[162:163], -v[162:163], v[166:167], v[168:169]
	v_div_fmas_f64 v[162:163], v[162:163], v[164:165], v[166:167]
	v_div_fixup_f64 v[162:163], v[162:163], v[160:161], v[158:159]
	v_fma_f64 v[158:159], v[158:159], v[162:163], v[160:161]
	v_div_scale_f64 v[160:161], null, v[158:159], v[158:159], 1.0
	v_rcp_f64_e32 v[164:165], v[160:161]
	v_fma_f64 v[166:167], -v[160:161], v[164:165], 1.0
	v_fma_f64 v[164:165], v[164:165], v[166:167], v[164:165]
	v_fma_f64 v[166:167], -v[160:161], v[164:165], 1.0
	v_fma_f64 v[164:165], v[164:165], v[166:167], v[164:165]
	v_div_scale_f64 v[166:167], vcc_lo, 1.0, v[158:159], 1.0
	v_mul_f64 v[168:169], v[166:167], v[164:165]
	v_fma_f64 v[160:161], -v[160:161], v[168:169], v[166:167]
	v_div_fmas_f64 v[160:161], v[160:161], v[164:165], v[168:169]
	v_div_fixup_f64 v[164:165], v[160:161], v[158:159], 1.0
                                        ; implicit-def: $vgpr158_vgpr159
	v_mul_f64 v[162:163], v[162:163], v[164:165]
	v_xor_b32_e32 v165, 0x80000000, v165
.LBB77_95:
	s_andn2_saveexec_b32 s1, s1
	s_cbranch_execz .LBB77_97
; %bb.96:
	v_div_scale_f64 v[162:163], null, v[158:159], v[158:159], v[160:161]
	v_div_scale_f64 v[168:169], vcc_lo, v[160:161], v[158:159], v[160:161]
	v_rcp_f64_e32 v[164:165], v[162:163]
	v_fma_f64 v[166:167], -v[162:163], v[164:165], 1.0
	v_fma_f64 v[164:165], v[164:165], v[166:167], v[164:165]
	v_fma_f64 v[166:167], -v[162:163], v[164:165], 1.0
	v_fma_f64 v[164:165], v[164:165], v[166:167], v[164:165]
	v_mul_f64 v[166:167], v[168:169], v[164:165]
	v_fma_f64 v[162:163], -v[162:163], v[166:167], v[168:169]
	v_div_fmas_f64 v[162:163], v[162:163], v[164:165], v[166:167]
	v_div_fixup_f64 v[164:165], v[162:163], v[158:159], v[160:161]
	v_fma_f64 v[158:159], v[160:161], v[164:165], v[158:159]
	v_div_scale_f64 v[160:161], null, v[158:159], v[158:159], 1.0
	v_rcp_f64_e32 v[162:163], v[160:161]
	v_fma_f64 v[166:167], -v[160:161], v[162:163], 1.0
	v_fma_f64 v[162:163], v[162:163], v[166:167], v[162:163]
	v_fma_f64 v[166:167], -v[160:161], v[162:163], 1.0
	v_fma_f64 v[162:163], v[162:163], v[166:167], v[162:163]
	v_div_scale_f64 v[166:167], vcc_lo, 1.0, v[158:159], 1.0
	v_mul_f64 v[168:169], v[166:167], v[162:163]
	v_fma_f64 v[160:161], -v[160:161], v[168:169], v[166:167]
	v_div_fmas_f64 v[160:161], v[160:161], v[162:163], v[168:169]
	v_div_fixup_f64 v[162:163], v[160:161], v[158:159], 1.0
	v_mul_f64 v[164:165], v[164:165], -v[162:163]
.LBB77_97:
	s_or_b32 exec_lo, exec_lo, s1
	ds_write2_b64 v1, v[162:163], v[164:165] offset1:1
.LBB77_98:
	s_or_b32 exec_lo, exec_lo, s2
	s_waitcnt lgkmcnt(0)
	s_barrier
	buffer_gl0_inv
	ds_read2_b64 v[158:161], v1 offset1:1
	s_mov_b32 s1, exec_lo
	s_waitcnt lgkmcnt(0)
	buffer_store_dword v158, off, s[16:19], 0 offset:336 ; 4-byte Folded Spill
	buffer_store_dword v159, off, s[16:19], 0 offset:340 ; 4-byte Folded Spill
	;; [unrolled: 1-line block ×4, first 2 shown]
	v_cmpx_lt_u32_e32 10, v0
	s_cbranch_execz .LBB77_100
; %bb.99:
	s_clause 0x3
	buffer_load_dword v160, off, s[16:19], 0 offset:336
	buffer_load_dword v161, off, s[16:19], 0 offset:340
	buffer_load_dword v162, off, s[16:19], 0 offset:344
	buffer_load_dword v163, off, s[16:19], 0 offset:348
	s_waitcnt vmcnt(0)
	v_mul_f64 v[158:159], v[162:163], v[116:117]
	v_mul_f64 v[116:117], v[160:161], v[116:117]
	v_fma_f64 v[158:159], v[160:161], v[114:115], -v[158:159]
	v_fma_f64 v[116:117], v[162:163], v[114:115], v[116:117]
	ds_read2_b64 v[160:163], v218 offset0:22 offset1:23
	s_waitcnt lgkmcnt(0)
	v_mul_f64 v[114:115], v[162:163], v[116:117]
	v_fma_f64 v[114:115], v[160:161], v[158:159], -v[114:115]
	v_mul_f64 v[160:161], v[160:161], v[116:117]
	v_add_f64 v[110:111], v[110:111], -v[114:115]
	v_fma_f64 v[160:161], v[162:163], v[158:159], v[160:161]
	v_add_f64 v[112:113], v[112:113], -v[160:161]
	ds_read2_b64 v[160:163], v218 offset0:24 offset1:25
	s_waitcnt lgkmcnt(0)
	v_mul_f64 v[114:115], v[162:163], v[116:117]
	v_fma_f64 v[114:115], v[160:161], v[158:159], -v[114:115]
	v_mul_f64 v[160:161], v[160:161], v[116:117]
	v_add_f64 v[106:107], v[106:107], -v[114:115]
	v_fma_f64 v[160:161], v[162:163], v[158:159], v[160:161]
	v_add_f64 v[108:109], v[108:109], -v[160:161]
	;; [unrolled: 8-line block ×27, first 2 shown]
	ds_read2_b64 v[160:163], v218 offset0:76 offset1:77
	s_waitcnt lgkmcnt(0)
	v_mul_f64 v[114:115], v[162:163], v[116:117]
	v_fma_f64 v[114:115], v[160:161], v[158:159], -v[114:115]
	v_mul_f64 v[160:161], v[160:161], v[116:117]
	v_add_f64 v[2:3], v[2:3], -v[114:115]
	v_fma_f64 v[160:161], v[162:163], v[158:159], v[160:161]
	v_mov_b32_e32 v114, v158
	v_mov_b32_e32 v115, v159
	v_add_f64 v[4:5], v[4:5], -v[160:161]
.LBB77_100:
	s_or_b32 exec_lo, exec_lo, s1
	s_mov_b32 s2, exec_lo
	s_waitcnt_vscnt null, 0x0
	s_barrier
	buffer_gl0_inv
	v_cmpx_eq_u32_e32 11, v0
	s_cbranch_execz .LBB77_107
; %bb.101:
	ds_write2_b64 v1, v[110:111], v[112:113] offset1:1
	ds_write2_b64 v218, v[106:107], v[108:109] offset0:24 offset1:25
	ds_write2_b64 v218, v[102:103], v[104:105] offset0:26 offset1:27
	;; [unrolled: 1-line block ×27, first 2 shown]
	ds_read2_b64 v[158:161], v1 offset1:1
	s_waitcnt lgkmcnt(0)
	v_cmp_neq_f64_e32 vcc_lo, 0, v[158:159]
	v_cmp_neq_f64_e64 s1, 0, v[160:161]
	s_or_b32 s1, vcc_lo, s1
	s_and_b32 exec_lo, exec_lo, s1
	s_cbranch_execz .LBB77_107
; %bb.102:
	v_cmp_ngt_f64_e64 s1, |v[158:159]|, |v[160:161]|
                                        ; implicit-def: $vgpr162_vgpr163
	s_and_saveexec_b32 s3, s1
	s_xor_b32 s1, exec_lo, s3
                                        ; implicit-def: $vgpr164_vgpr165
	s_cbranch_execz .LBB77_104
; %bb.103:
	v_div_scale_f64 v[162:163], null, v[160:161], v[160:161], v[158:159]
	v_div_scale_f64 v[168:169], vcc_lo, v[158:159], v[160:161], v[158:159]
	v_rcp_f64_e32 v[164:165], v[162:163]
	v_fma_f64 v[166:167], -v[162:163], v[164:165], 1.0
	v_fma_f64 v[164:165], v[164:165], v[166:167], v[164:165]
	v_fma_f64 v[166:167], -v[162:163], v[164:165], 1.0
	v_fma_f64 v[164:165], v[164:165], v[166:167], v[164:165]
	v_mul_f64 v[166:167], v[168:169], v[164:165]
	v_fma_f64 v[162:163], -v[162:163], v[166:167], v[168:169]
	v_div_fmas_f64 v[162:163], v[162:163], v[164:165], v[166:167]
	v_div_fixup_f64 v[162:163], v[162:163], v[160:161], v[158:159]
	v_fma_f64 v[158:159], v[158:159], v[162:163], v[160:161]
	v_div_scale_f64 v[160:161], null, v[158:159], v[158:159], 1.0
	v_rcp_f64_e32 v[164:165], v[160:161]
	v_fma_f64 v[166:167], -v[160:161], v[164:165], 1.0
	v_fma_f64 v[164:165], v[164:165], v[166:167], v[164:165]
	v_fma_f64 v[166:167], -v[160:161], v[164:165], 1.0
	v_fma_f64 v[164:165], v[164:165], v[166:167], v[164:165]
	v_div_scale_f64 v[166:167], vcc_lo, 1.0, v[158:159], 1.0
	v_mul_f64 v[168:169], v[166:167], v[164:165]
	v_fma_f64 v[160:161], -v[160:161], v[168:169], v[166:167]
	v_div_fmas_f64 v[160:161], v[160:161], v[164:165], v[168:169]
	v_div_fixup_f64 v[164:165], v[160:161], v[158:159], 1.0
                                        ; implicit-def: $vgpr158_vgpr159
	v_mul_f64 v[162:163], v[162:163], v[164:165]
	v_xor_b32_e32 v165, 0x80000000, v165
.LBB77_104:
	s_andn2_saveexec_b32 s1, s1
	s_cbranch_execz .LBB77_106
; %bb.105:
	v_div_scale_f64 v[162:163], null, v[158:159], v[158:159], v[160:161]
	v_div_scale_f64 v[168:169], vcc_lo, v[160:161], v[158:159], v[160:161]
	v_rcp_f64_e32 v[164:165], v[162:163]
	v_fma_f64 v[166:167], -v[162:163], v[164:165], 1.0
	v_fma_f64 v[164:165], v[164:165], v[166:167], v[164:165]
	v_fma_f64 v[166:167], -v[162:163], v[164:165], 1.0
	v_fma_f64 v[164:165], v[164:165], v[166:167], v[164:165]
	v_mul_f64 v[166:167], v[168:169], v[164:165]
	v_fma_f64 v[162:163], -v[162:163], v[166:167], v[168:169]
	v_div_fmas_f64 v[162:163], v[162:163], v[164:165], v[166:167]
	v_div_fixup_f64 v[164:165], v[162:163], v[158:159], v[160:161]
	v_fma_f64 v[158:159], v[160:161], v[164:165], v[158:159]
	v_div_scale_f64 v[160:161], null, v[158:159], v[158:159], 1.0
	v_rcp_f64_e32 v[162:163], v[160:161]
	v_fma_f64 v[166:167], -v[160:161], v[162:163], 1.0
	v_fma_f64 v[162:163], v[162:163], v[166:167], v[162:163]
	v_fma_f64 v[166:167], -v[160:161], v[162:163], 1.0
	v_fma_f64 v[162:163], v[162:163], v[166:167], v[162:163]
	v_div_scale_f64 v[166:167], vcc_lo, 1.0, v[158:159], 1.0
	v_mul_f64 v[168:169], v[166:167], v[162:163]
	v_fma_f64 v[160:161], -v[160:161], v[168:169], v[166:167]
	v_div_fmas_f64 v[160:161], v[160:161], v[162:163], v[168:169]
	v_div_fixup_f64 v[162:163], v[160:161], v[158:159], 1.0
	v_mul_f64 v[164:165], v[164:165], -v[162:163]
.LBB77_106:
	s_or_b32 exec_lo, exec_lo, s1
	ds_write2_b64 v1, v[162:163], v[164:165] offset1:1
.LBB77_107:
	s_or_b32 exec_lo, exec_lo, s2
	s_waitcnt lgkmcnt(0)
	s_barrier
	buffer_gl0_inv
	ds_read2_b64 v[158:161], v1 offset1:1
	s_mov_b32 s1, exec_lo
	s_waitcnt lgkmcnt(0)
	buffer_store_dword v158, off, s[16:19], 0 offset:352 ; 4-byte Folded Spill
	buffer_store_dword v159, off, s[16:19], 0 offset:356 ; 4-byte Folded Spill
	;; [unrolled: 1-line block ×4, first 2 shown]
	v_cmpx_lt_u32_e32 11, v0
	s_cbranch_execz .LBB77_109
; %bb.108:
	s_clause 0x3
	buffer_load_dword v160, off, s[16:19], 0 offset:352
	buffer_load_dword v161, off, s[16:19], 0 offset:356
	;; [unrolled: 1-line block ×4, first 2 shown]
	s_waitcnt vmcnt(0)
	v_mul_f64 v[158:159], v[162:163], v[112:113]
	v_mul_f64 v[112:113], v[160:161], v[112:113]
	v_fma_f64 v[158:159], v[160:161], v[110:111], -v[158:159]
	v_fma_f64 v[112:113], v[162:163], v[110:111], v[112:113]
	ds_read2_b64 v[160:163], v218 offset0:24 offset1:25
	s_waitcnt lgkmcnt(0)
	v_mul_f64 v[110:111], v[162:163], v[112:113]
	v_fma_f64 v[110:111], v[160:161], v[158:159], -v[110:111]
	v_mul_f64 v[160:161], v[160:161], v[112:113]
	v_add_f64 v[106:107], v[106:107], -v[110:111]
	v_fma_f64 v[160:161], v[162:163], v[158:159], v[160:161]
	v_add_f64 v[108:109], v[108:109], -v[160:161]
	ds_read2_b64 v[160:163], v218 offset0:26 offset1:27
	s_waitcnt lgkmcnt(0)
	v_mul_f64 v[110:111], v[162:163], v[112:113]
	v_fma_f64 v[110:111], v[160:161], v[158:159], -v[110:111]
	v_mul_f64 v[160:161], v[160:161], v[112:113]
	v_add_f64 v[102:103], v[102:103], -v[110:111]
	v_fma_f64 v[160:161], v[162:163], v[158:159], v[160:161]
	v_add_f64 v[104:105], v[104:105], -v[160:161]
	;; [unrolled: 8-line block ×26, first 2 shown]
	ds_read2_b64 v[160:163], v218 offset0:76 offset1:77
	s_waitcnt lgkmcnt(0)
	v_mul_f64 v[110:111], v[162:163], v[112:113]
	v_fma_f64 v[110:111], v[160:161], v[158:159], -v[110:111]
	v_mul_f64 v[160:161], v[160:161], v[112:113]
	v_add_f64 v[2:3], v[2:3], -v[110:111]
	v_fma_f64 v[160:161], v[162:163], v[158:159], v[160:161]
	v_mov_b32_e32 v110, v158
	v_mov_b32_e32 v111, v159
	v_add_f64 v[4:5], v[4:5], -v[160:161]
.LBB77_109:
	s_or_b32 exec_lo, exec_lo, s1
	s_mov_b32 s2, exec_lo
	s_waitcnt_vscnt null, 0x0
	s_barrier
	buffer_gl0_inv
	v_cmpx_eq_u32_e32 12, v0
	s_cbranch_execz .LBB77_116
; %bb.110:
	ds_write2_b64 v1, v[106:107], v[108:109] offset1:1
	ds_write2_b64 v218, v[102:103], v[104:105] offset0:26 offset1:27
	ds_write2_b64 v218, v[98:99], v[100:101] offset0:28 offset1:29
	;; [unrolled: 1-line block ×26, first 2 shown]
	ds_read2_b64 v[158:161], v1 offset1:1
	s_waitcnt lgkmcnt(0)
	v_cmp_neq_f64_e32 vcc_lo, 0, v[158:159]
	v_cmp_neq_f64_e64 s1, 0, v[160:161]
	s_or_b32 s1, vcc_lo, s1
	s_and_b32 exec_lo, exec_lo, s1
	s_cbranch_execz .LBB77_116
; %bb.111:
	v_cmp_ngt_f64_e64 s1, |v[158:159]|, |v[160:161]|
                                        ; implicit-def: $vgpr162_vgpr163
	s_and_saveexec_b32 s3, s1
	s_xor_b32 s1, exec_lo, s3
                                        ; implicit-def: $vgpr164_vgpr165
	s_cbranch_execz .LBB77_113
; %bb.112:
	v_div_scale_f64 v[162:163], null, v[160:161], v[160:161], v[158:159]
	v_div_scale_f64 v[168:169], vcc_lo, v[158:159], v[160:161], v[158:159]
	v_rcp_f64_e32 v[164:165], v[162:163]
	v_fma_f64 v[166:167], -v[162:163], v[164:165], 1.0
	v_fma_f64 v[164:165], v[164:165], v[166:167], v[164:165]
	v_fma_f64 v[166:167], -v[162:163], v[164:165], 1.0
	v_fma_f64 v[164:165], v[164:165], v[166:167], v[164:165]
	v_mul_f64 v[166:167], v[168:169], v[164:165]
	v_fma_f64 v[162:163], -v[162:163], v[166:167], v[168:169]
	v_div_fmas_f64 v[162:163], v[162:163], v[164:165], v[166:167]
	v_div_fixup_f64 v[162:163], v[162:163], v[160:161], v[158:159]
	v_fma_f64 v[158:159], v[158:159], v[162:163], v[160:161]
	v_div_scale_f64 v[160:161], null, v[158:159], v[158:159], 1.0
	v_rcp_f64_e32 v[164:165], v[160:161]
	v_fma_f64 v[166:167], -v[160:161], v[164:165], 1.0
	v_fma_f64 v[164:165], v[164:165], v[166:167], v[164:165]
	v_fma_f64 v[166:167], -v[160:161], v[164:165], 1.0
	v_fma_f64 v[164:165], v[164:165], v[166:167], v[164:165]
	v_div_scale_f64 v[166:167], vcc_lo, 1.0, v[158:159], 1.0
	v_mul_f64 v[168:169], v[166:167], v[164:165]
	v_fma_f64 v[160:161], -v[160:161], v[168:169], v[166:167]
	v_div_fmas_f64 v[160:161], v[160:161], v[164:165], v[168:169]
	v_div_fixup_f64 v[164:165], v[160:161], v[158:159], 1.0
                                        ; implicit-def: $vgpr158_vgpr159
	v_mul_f64 v[162:163], v[162:163], v[164:165]
	v_xor_b32_e32 v165, 0x80000000, v165
.LBB77_113:
	s_andn2_saveexec_b32 s1, s1
	s_cbranch_execz .LBB77_115
; %bb.114:
	v_div_scale_f64 v[162:163], null, v[158:159], v[158:159], v[160:161]
	v_div_scale_f64 v[168:169], vcc_lo, v[160:161], v[158:159], v[160:161]
	v_rcp_f64_e32 v[164:165], v[162:163]
	v_fma_f64 v[166:167], -v[162:163], v[164:165], 1.0
	v_fma_f64 v[164:165], v[164:165], v[166:167], v[164:165]
	v_fma_f64 v[166:167], -v[162:163], v[164:165], 1.0
	v_fma_f64 v[164:165], v[164:165], v[166:167], v[164:165]
	v_mul_f64 v[166:167], v[168:169], v[164:165]
	v_fma_f64 v[162:163], -v[162:163], v[166:167], v[168:169]
	v_div_fmas_f64 v[162:163], v[162:163], v[164:165], v[166:167]
	v_div_fixup_f64 v[164:165], v[162:163], v[158:159], v[160:161]
	v_fma_f64 v[158:159], v[160:161], v[164:165], v[158:159]
	v_div_scale_f64 v[160:161], null, v[158:159], v[158:159], 1.0
	v_rcp_f64_e32 v[162:163], v[160:161]
	v_fma_f64 v[166:167], -v[160:161], v[162:163], 1.0
	v_fma_f64 v[162:163], v[162:163], v[166:167], v[162:163]
	v_fma_f64 v[166:167], -v[160:161], v[162:163], 1.0
	v_fma_f64 v[162:163], v[162:163], v[166:167], v[162:163]
	v_div_scale_f64 v[166:167], vcc_lo, 1.0, v[158:159], 1.0
	v_mul_f64 v[168:169], v[166:167], v[162:163]
	v_fma_f64 v[160:161], -v[160:161], v[168:169], v[166:167]
	v_div_fmas_f64 v[160:161], v[160:161], v[162:163], v[168:169]
	v_div_fixup_f64 v[162:163], v[160:161], v[158:159], 1.0
	v_mul_f64 v[164:165], v[164:165], -v[162:163]
.LBB77_115:
	s_or_b32 exec_lo, exec_lo, s1
	ds_write2_b64 v1, v[162:163], v[164:165] offset1:1
.LBB77_116:
	s_or_b32 exec_lo, exec_lo, s2
	s_waitcnt lgkmcnt(0)
	s_barrier
	buffer_gl0_inv
	ds_read2_b64 v[158:161], v1 offset1:1
	s_mov_b32 s1, exec_lo
	s_waitcnt lgkmcnt(0)
	buffer_store_dword v158, off, s[16:19], 0 offset:368 ; 4-byte Folded Spill
	buffer_store_dword v159, off, s[16:19], 0 offset:372 ; 4-byte Folded Spill
	;; [unrolled: 1-line block ×4, first 2 shown]
	v_cmpx_lt_u32_e32 12, v0
	s_cbranch_execz .LBB77_118
; %bb.117:
	s_clause 0x3
	buffer_load_dword v160, off, s[16:19], 0 offset:368
	buffer_load_dword v161, off, s[16:19], 0 offset:372
	;; [unrolled: 1-line block ×4, first 2 shown]
	s_waitcnt vmcnt(0)
	v_mul_f64 v[158:159], v[162:163], v[108:109]
	v_mul_f64 v[108:109], v[160:161], v[108:109]
	v_fma_f64 v[158:159], v[160:161], v[106:107], -v[158:159]
	v_fma_f64 v[108:109], v[162:163], v[106:107], v[108:109]
	ds_read2_b64 v[160:163], v218 offset0:26 offset1:27
	s_waitcnt lgkmcnt(0)
	v_mul_f64 v[106:107], v[162:163], v[108:109]
	v_fma_f64 v[106:107], v[160:161], v[158:159], -v[106:107]
	v_mul_f64 v[160:161], v[160:161], v[108:109]
	v_add_f64 v[102:103], v[102:103], -v[106:107]
	v_fma_f64 v[160:161], v[162:163], v[158:159], v[160:161]
	v_add_f64 v[104:105], v[104:105], -v[160:161]
	ds_read2_b64 v[160:163], v218 offset0:28 offset1:29
	s_waitcnt lgkmcnt(0)
	v_mul_f64 v[106:107], v[162:163], v[108:109]
	v_fma_f64 v[106:107], v[160:161], v[158:159], -v[106:107]
	v_mul_f64 v[160:161], v[160:161], v[108:109]
	v_add_f64 v[98:99], v[98:99], -v[106:107]
	v_fma_f64 v[160:161], v[162:163], v[158:159], v[160:161]
	v_add_f64 v[100:101], v[100:101], -v[160:161]
	;; [unrolled: 8-line block ×25, first 2 shown]
	ds_read2_b64 v[160:163], v218 offset0:76 offset1:77
	s_waitcnt lgkmcnt(0)
	v_mul_f64 v[106:107], v[162:163], v[108:109]
	v_fma_f64 v[106:107], v[160:161], v[158:159], -v[106:107]
	v_mul_f64 v[160:161], v[160:161], v[108:109]
	v_add_f64 v[2:3], v[2:3], -v[106:107]
	v_fma_f64 v[160:161], v[162:163], v[158:159], v[160:161]
	v_mov_b32_e32 v106, v158
	v_mov_b32_e32 v107, v159
	v_add_f64 v[4:5], v[4:5], -v[160:161]
.LBB77_118:
	s_or_b32 exec_lo, exec_lo, s1
	s_mov_b32 s2, exec_lo
	s_waitcnt_vscnt null, 0x0
	s_barrier
	buffer_gl0_inv
	v_cmpx_eq_u32_e32 13, v0
	s_cbranch_execz .LBB77_125
; %bb.119:
	ds_write2_b64 v1, v[102:103], v[104:105] offset1:1
	ds_write2_b64 v218, v[98:99], v[100:101] offset0:28 offset1:29
	ds_write2_b64 v218, v[94:95], v[96:97] offset0:30 offset1:31
	;; [unrolled: 1-line block ×25, first 2 shown]
	ds_read2_b64 v[158:161], v1 offset1:1
	s_waitcnt lgkmcnt(0)
	v_cmp_neq_f64_e32 vcc_lo, 0, v[158:159]
	v_cmp_neq_f64_e64 s1, 0, v[160:161]
	s_or_b32 s1, vcc_lo, s1
	s_and_b32 exec_lo, exec_lo, s1
	s_cbranch_execz .LBB77_125
; %bb.120:
	v_cmp_ngt_f64_e64 s1, |v[158:159]|, |v[160:161]|
                                        ; implicit-def: $vgpr162_vgpr163
	s_and_saveexec_b32 s3, s1
	s_xor_b32 s1, exec_lo, s3
                                        ; implicit-def: $vgpr164_vgpr165
	s_cbranch_execz .LBB77_122
; %bb.121:
	v_div_scale_f64 v[162:163], null, v[160:161], v[160:161], v[158:159]
	v_div_scale_f64 v[168:169], vcc_lo, v[158:159], v[160:161], v[158:159]
	v_rcp_f64_e32 v[164:165], v[162:163]
	v_fma_f64 v[166:167], -v[162:163], v[164:165], 1.0
	v_fma_f64 v[164:165], v[164:165], v[166:167], v[164:165]
	v_fma_f64 v[166:167], -v[162:163], v[164:165], 1.0
	v_fma_f64 v[164:165], v[164:165], v[166:167], v[164:165]
	v_mul_f64 v[166:167], v[168:169], v[164:165]
	v_fma_f64 v[162:163], -v[162:163], v[166:167], v[168:169]
	v_div_fmas_f64 v[162:163], v[162:163], v[164:165], v[166:167]
	v_div_fixup_f64 v[162:163], v[162:163], v[160:161], v[158:159]
	v_fma_f64 v[158:159], v[158:159], v[162:163], v[160:161]
	v_div_scale_f64 v[160:161], null, v[158:159], v[158:159], 1.0
	v_rcp_f64_e32 v[164:165], v[160:161]
	v_fma_f64 v[166:167], -v[160:161], v[164:165], 1.0
	v_fma_f64 v[164:165], v[164:165], v[166:167], v[164:165]
	v_fma_f64 v[166:167], -v[160:161], v[164:165], 1.0
	v_fma_f64 v[164:165], v[164:165], v[166:167], v[164:165]
	v_div_scale_f64 v[166:167], vcc_lo, 1.0, v[158:159], 1.0
	v_mul_f64 v[168:169], v[166:167], v[164:165]
	v_fma_f64 v[160:161], -v[160:161], v[168:169], v[166:167]
	v_div_fmas_f64 v[160:161], v[160:161], v[164:165], v[168:169]
	v_div_fixup_f64 v[164:165], v[160:161], v[158:159], 1.0
                                        ; implicit-def: $vgpr158_vgpr159
	v_mul_f64 v[162:163], v[162:163], v[164:165]
	v_xor_b32_e32 v165, 0x80000000, v165
.LBB77_122:
	s_andn2_saveexec_b32 s1, s1
	s_cbranch_execz .LBB77_124
; %bb.123:
	v_div_scale_f64 v[162:163], null, v[158:159], v[158:159], v[160:161]
	v_div_scale_f64 v[168:169], vcc_lo, v[160:161], v[158:159], v[160:161]
	v_rcp_f64_e32 v[164:165], v[162:163]
	v_fma_f64 v[166:167], -v[162:163], v[164:165], 1.0
	v_fma_f64 v[164:165], v[164:165], v[166:167], v[164:165]
	v_fma_f64 v[166:167], -v[162:163], v[164:165], 1.0
	v_fma_f64 v[164:165], v[164:165], v[166:167], v[164:165]
	v_mul_f64 v[166:167], v[168:169], v[164:165]
	v_fma_f64 v[162:163], -v[162:163], v[166:167], v[168:169]
	v_div_fmas_f64 v[162:163], v[162:163], v[164:165], v[166:167]
	v_div_fixup_f64 v[164:165], v[162:163], v[158:159], v[160:161]
	v_fma_f64 v[158:159], v[160:161], v[164:165], v[158:159]
	v_div_scale_f64 v[160:161], null, v[158:159], v[158:159], 1.0
	v_rcp_f64_e32 v[162:163], v[160:161]
	v_fma_f64 v[166:167], -v[160:161], v[162:163], 1.0
	v_fma_f64 v[162:163], v[162:163], v[166:167], v[162:163]
	v_fma_f64 v[166:167], -v[160:161], v[162:163], 1.0
	v_fma_f64 v[162:163], v[162:163], v[166:167], v[162:163]
	v_div_scale_f64 v[166:167], vcc_lo, 1.0, v[158:159], 1.0
	v_mul_f64 v[168:169], v[166:167], v[162:163]
	v_fma_f64 v[160:161], -v[160:161], v[168:169], v[166:167]
	v_div_fmas_f64 v[160:161], v[160:161], v[162:163], v[168:169]
	v_div_fixup_f64 v[162:163], v[160:161], v[158:159], 1.0
	v_mul_f64 v[164:165], v[164:165], -v[162:163]
.LBB77_124:
	s_or_b32 exec_lo, exec_lo, s1
	ds_write2_b64 v1, v[162:163], v[164:165] offset1:1
.LBB77_125:
	s_or_b32 exec_lo, exec_lo, s2
	s_waitcnt lgkmcnt(0)
	s_barrier
	buffer_gl0_inv
	ds_read2_b64 v[158:161], v1 offset1:1
	s_mov_b32 s1, exec_lo
	s_waitcnt lgkmcnt(0)
	buffer_store_dword v158, off, s[16:19], 0 offset:384 ; 4-byte Folded Spill
	buffer_store_dword v159, off, s[16:19], 0 offset:388 ; 4-byte Folded Spill
	;; [unrolled: 1-line block ×4, first 2 shown]
	v_cmpx_lt_u32_e32 13, v0
	s_cbranch_execz .LBB77_127
; %bb.126:
	s_clause 0x3
	buffer_load_dword v160, off, s[16:19], 0 offset:384
	buffer_load_dword v161, off, s[16:19], 0 offset:388
	;; [unrolled: 1-line block ×4, first 2 shown]
	s_waitcnt vmcnt(0)
	v_mul_f64 v[158:159], v[162:163], v[104:105]
	v_mul_f64 v[104:105], v[160:161], v[104:105]
	v_fma_f64 v[158:159], v[160:161], v[102:103], -v[158:159]
	v_fma_f64 v[104:105], v[162:163], v[102:103], v[104:105]
	ds_read2_b64 v[160:163], v218 offset0:28 offset1:29
	s_waitcnt lgkmcnt(0)
	v_mul_f64 v[102:103], v[162:163], v[104:105]
	v_fma_f64 v[102:103], v[160:161], v[158:159], -v[102:103]
	v_mul_f64 v[160:161], v[160:161], v[104:105]
	v_add_f64 v[98:99], v[98:99], -v[102:103]
	v_fma_f64 v[160:161], v[162:163], v[158:159], v[160:161]
	v_add_f64 v[100:101], v[100:101], -v[160:161]
	ds_read2_b64 v[160:163], v218 offset0:30 offset1:31
	s_waitcnt lgkmcnt(0)
	v_mul_f64 v[102:103], v[162:163], v[104:105]
	v_fma_f64 v[102:103], v[160:161], v[158:159], -v[102:103]
	v_mul_f64 v[160:161], v[160:161], v[104:105]
	v_add_f64 v[94:95], v[94:95], -v[102:103]
	v_fma_f64 v[160:161], v[162:163], v[158:159], v[160:161]
	v_add_f64 v[96:97], v[96:97], -v[160:161]
	;; [unrolled: 8-line block ×24, first 2 shown]
	ds_read2_b64 v[160:163], v218 offset0:76 offset1:77
	s_waitcnt lgkmcnt(0)
	v_mul_f64 v[102:103], v[162:163], v[104:105]
	v_fma_f64 v[102:103], v[160:161], v[158:159], -v[102:103]
	v_mul_f64 v[160:161], v[160:161], v[104:105]
	v_add_f64 v[2:3], v[2:3], -v[102:103]
	v_fma_f64 v[160:161], v[162:163], v[158:159], v[160:161]
	v_mov_b32_e32 v102, v158
	v_mov_b32_e32 v103, v159
	v_add_f64 v[4:5], v[4:5], -v[160:161]
.LBB77_127:
	s_or_b32 exec_lo, exec_lo, s1
	s_mov_b32 s2, exec_lo
	s_waitcnt_vscnt null, 0x0
	s_barrier
	buffer_gl0_inv
	v_cmpx_eq_u32_e32 14, v0
	s_cbranch_execz .LBB77_134
; %bb.128:
	ds_write2_b64 v1, v[98:99], v[100:101] offset1:1
	ds_write2_b64 v218, v[94:95], v[96:97] offset0:30 offset1:31
	ds_write2_b64 v218, v[90:91], v[92:93] offset0:32 offset1:33
	;; [unrolled: 1-line block ×24, first 2 shown]
	ds_read2_b64 v[158:161], v1 offset1:1
	s_waitcnt lgkmcnt(0)
	v_cmp_neq_f64_e32 vcc_lo, 0, v[158:159]
	v_cmp_neq_f64_e64 s1, 0, v[160:161]
	s_or_b32 s1, vcc_lo, s1
	s_and_b32 exec_lo, exec_lo, s1
	s_cbranch_execz .LBB77_134
; %bb.129:
	v_cmp_ngt_f64_e64 s1, |v[158:159]|, |v[160:161]|
                                        ; implicit-def: $vgpr162_vgpr163
	s_and_saveexec_b32 s3, s1
	s_xor_b32 s1, exec_lo, s3
                                        ; implicit-def: $vgpr164_vgpr165
	s_cbranch_execz .LBB77_131
; %bb.130:
	v_div_scale_f64 v[162:163], null, v[160:161], v[160:161], v[158:159]
	v_div_scale_f64 v[168:169], vcc_lo, v[158:159], v[160:161], v[158:159]
	v_rcp_f64_e32 v[164:165], v[162:163]
	v_fma_f64 v[166:167], -v[162:163], v[164:165], 1.0
	v_fma_f64 v[164:165], v[164:165], v[166:167], v[164:165]
	v_fma_f64 v[166:167], -v[162:163], v[164:165], 1.0
	v_fma_f64 v[164:165], v[164:165], v[166:167], v[164:165]
	v_mul_f64 v[166:167], v[168:169], v[164:165]
	v_fma_f64 v[162:163], -v[162:163], v[166:167], v[168:169]
	v_div_fmas_f64 v[162:163], v[162:163], v[164:165], v[166:167]
	v_div_fixup_f64 v[162:163], v[162:163], v[160:161], v[158:159]
	v_fma_f64 v[158:159], v[158:159], v[162:163], v[160:161]
	v_div_scale_f64 v[160:161], null, v[158:159], v[158:159], 1.0
	v_rcp_f64_e32 v[164:165], v[160:161]
	v_fma_f64 v[166:167], -v[160:161], v[164:165], 1.0
	v_fma_f64 v[164:165], v[164:165], v[166:167], v[164:165]
	v_fma_f64 v[166:167], -v[160:161], v[164:165], 1.0
	v_fma_f64 v[164:165], v[164:165], v[166:167], v[164:165]
	v_div_scale_f64 v[166:167], vcc_lo, 1.0, v[158:159], 1.0
	v_mul_f64 v[168:169], v[166:167], v[164:165]
	v_fma_f64 v[160:161], -v[160:161], v[168:169], v[166:167]
	v_div_fmas_f64 v[160:161], v[160:161], v[164:165], v[168:169]
	v_div_fixup_f64 v[164:165], v[160:161], v[158:159], 1.0
                                        ; implicit-def: $vgpr158_vgpr159
	v_mul_f64 v[162:163], v[162:163], v[164:165]
	v_xor_b32_e32 v165, 0x80000000, v165
.LBB77_131:
	s_andn2_saveexec_b32 s1, s1
	s_cbranch_execz .LBB77_133
; %bb.132:
	v_div_scale_f64 v[162:163], null, v[158:159], v[158:159], v[160:161]
	v_div_scale_f64 v[168:169], vcc_lo, v[160:161], v[158:159], v[160:161]
	v_rcp_f64_e32 v[164:165], v[162:163]
	v_fma_f64 v[166:167], -v[162:163], v[164:165], 1.0
	v_fma_f64 v[164:165], v[164:165], v[166:167], v[164:165]
	v_fma_f64 v[166:167], -v[162:163], v[164:165], 1.0
	v_fma_f64 v[164:165], v[164:165], v[166:167], v[164:165]
	v_mul_f64 v[166:167], v[168:169], v[164:165]
	v_fma_f64 v[162:163], -v[162:163], v[166:167], v[168:169]
	v_div_fmas_f64 v[162:163], v[162:163], v[164:165], v[166:167]
	v_div_fixup_f64 v[164:165], v[162:163], v[158:159], v[160:161]
	v_fma_f64 v[158:159], v[160:161], v[164:165], v[158:159]
	v_div_scale_f64 v[160:161], null, v[158:159], v[158:159], 1.0
	v_rcp_f64_e32 v[162:163], v[160:161]
	v_fma_f64 v[166:167], -v[160:161], v[162:163], 1.0
	v_fma_f64 v[162:163], v[162:163], v[166:167], v[162:163]
	v_fma_f64 v[166:167], -v[160:161], v[162:163], 1.0
	v_fma_f64 v[162:163], v[162:163], v[166:167], v[162:163]
	v_div_scale_f64 v[166:167], vcc_lo, 1.0, v[158:159], 1.0
	v_mul_f64 v[168:169], v[166:167], v[162:163]
	v_fma_f64 v[160:161], -v[160:161], v[168:169], v[166:167]
	v_div_fmas_f64 v[160:161], v[160:161], v[162:163], v[168:169]
	v_div_fixup_f64 v[162:163], v[160:161], v[158:159], 1.0
	v_mul_f64 v[164:165], v[164:165], -v[162:163]
.LBB77_133:
	s_or_b32 exec_lo, exec_lo, s1
	ds_write2_b64 v1, v[162:163], v[164:165] offset1:1
.LBB77_134:
	s_or_b32 exec_lo, exec_lo, s2
	s_waitcnt lgkmcnt(0)
	s_barrier
	buffer_gl0_inv
	ds_read2_b64 v[158:161], v1 offset1:1
	s_mov_b32 s1, exec_lo
	s_waitcnt lgkmcnt(0)
	buffer_store_dword v158, off, s[16:19], 0 offset:400 ; 4-byte Folded Spill
	buffer_store_dword v159, off, s[16:19], 0 offset:404 ; 4-byte Folded Spill
	;; [unrolled: 1-line block ×4, first 2 shown]
	v_cmpx_lt_u32_e32 14, v0
	s_cbranch_execz .LBB77_136
; %bb.135:
	s_clause 0x3
	buffer_load_dword v160, off, s[16:19], 0 offset:400
	buffer_load_dword v161, off, s[16:19], 0 offset:404
	;; [unrolled: 1-line block ×4, first 2 shown]
	s_waitcnt vmcnt(0)
	v_mul_f64 v[158:159], v[162:163], v[100:101]
	v_mul_f64 v[100:101], v[160:161], v[100:101]
	v_fma_f64 v[158:159], v[160:161], v[98:99], -v[158:159]
	v_fma_f64 v[100:101], v[162:163], v[98:99], v[100:101]
	ds_read2_b64 v[160:163], v218 offset0:30 offset1:31
	s_waitcnt lgkmcnt(0)
	v_mul_f64 v[98:99], v[162:163], v[100:101]
	v_fma_f64 v[98:99], v[160:161], v[158:159], -v[98:99]
	v_mul_f64 v[160:161], v[160:161], v[100:101]
	v_add_f64 v[94:95], v[94:95], -v[98:99]
	v_fma_f64 v[160:161], v[162:163], v[158:159], v[160:161]
	v_add_f64 v[96:97], v[96:97], -v[160:161]
	ds_read2_b64 v[160:163], v218 offset0:32 offset1:33
	s_waitcnt lgkmcnt(0)
	v_mul_f64 v[98:99], v[162:163], v[100:101]
	v_fma_f64 v[98:99], v[160:161], v[158:159], -v[98:99]
	v_mul_f64 v[160:161], v[160:161], v[100:101]
	v_add_f64 v[90:91], v[90:91], -v[98:99]
	v_fma_f64 v[160:161], v[162:163], v[158:159], v[160:161]
	v_add_f64 v[92:93], v[92:93], -v[160:161]
	;; [unrolled: 8-line block ×23, first 2 shown]
	ds_read2_b64 v[160:163], v218 offset0:76 offset1:77
	s_waitcnt lgkmcnt(0)
	v_mul_f64 v[98:99], v[162:163], v[100:101]
	v_fma_f64 v[98:99], v[160:161], v[158:159], -v[98:99]
	v_mul_f64 v[160:161], v[160:161], v[100:101]
	v_add_f64 v[2:3], v[2:3], -v[98:99]
	v_fma_f64 v[160:161], v[162:163], v[158:159], v[160:161]
	v_mov_b32_e32 v98, v158
	v_mov_b32_e32 v99, v159
	v_add_f64 v[4:5], v[4:5], -v[160:161]
.LBB77_136:
	s_or_b32 exec_lo, exec_lo, s1
	s_mov_b32 s2, exec_lo
	s_waitcnt_vscnt null, 0x0
	s_barrier
	buffer_gl0_inv
	v_cmpx_eq_u32_e32 15, v0
	s_cbranch_execz .LBB77_143
; %bb.137:
	ds_write2_b64 v1, v[94:95], v[96:97] offset1:1
	ds_write2_b64 v218, v[90:91], v[92:93] offset0:32 offset1:33
	ds_write2_b64 v218, v[86:87], v[88:89] offset0:34 offset1:35
	;; [unrolled: 1-line block ×23, first 2 shown]
	ds_read2_b64 v[158:161], v1 offset1:1
	s_waitcnt lgkmcnt(0)
	v_cmp_neq_f64_e32 vcc_lo, 0, v[158:159]
	v_cmp_neq_f64_e64 s1, 0, v[160:161]
	s_or_b32 s1, vcc_lo, s1
	s_and_b32 exec_lo, exec_lo, s1
	s_cbranch_execz .LBB77_143
; %bb.138:
	v_cmp_ngt_f64_e64 s1, |v[158:159]|, |v[160:161]|
                                        ; implicit-def: $vgpr162_vgpr163
	s_and_saveexec_b32 s3, s1
	s_xor_b32 s1, exec_lo, s3
                                        ; implicit-def: $vgpr164_vgpr165
	s_cbranch_execz .LBB77_140
; %bb.139:
	v_div_scale_f64 v[162:163], null, v[160:161], v[160:161], v[158:159]
	v_div_scale_f64 v[168:169], vcc_lo, v[158:159], v[160:161], v[158:159]
	v_rcp_f64_e32 v[164:165], v[162:163]
	v_fma_f64 v[166:167], -v[162:163], v[164:165], 1.0
	v_fma_f64 v[164:165], v[164:165], v[166:167], v[164:165]
	v_fma_f64 v[166:167], -v[162:163], v[164:165], 1.0
	v_fma_f64 v[164:165], v[164:165], v[166:167], v[164:165]
	v_mul_f64 v[166:167], v[168:169], v[164:165]
	v_fma_f64 v[162:163], -v[162:163], v[166:167], v[168:169]
	v_div_fmas_f64 v[162:163], v[162:163], v[164:165], v[166:167]
	v_div_fixup_f64 v[162:163], v[162:163], v[160:161], v[158:159]
	v_fma_f64 v[158:159], v[158:159], v[162:163], v[160:161]
	v_div_scale_f64 v[160:161], null, v[158:159], v[158:159], 1.0
	v_rcp_f64_e32 v[164:165], v[160:161]
	v_fma_f64 v[166:167], -v[160:161], v[164:165], 1.0
	v_fma_f64 v[164:165], v[164:165], v[166:167], v[164:165]
	v_fma_f64 v[166:167], -v[160:161], v[164:165], 1.0
	v_fma_f64 v[164:165], v[164:165], v[166:167], v[164:165]
	v_div_scale_f64 v[166:167], vcc_lo, 1.0, v[158:159], 1.0
	v_mul_f64 v[168:169], v[166:167], v[164:165]
	v_fma_f64 v[160:161], -v[160:161], v[168:169], v[166:167]
	v_div_fmas_f64 v[160:161], v[160:161], v[164:165], v[168:169]
	v_div_fixup_f64 v[164:165], v[160:161], v[158:159], 1.0
                                        ; implicit-def: $vgpr158_vgpr159
	v_mul_f64 v[162:163], v[162:163], v[164:165]
	v_xor_b32_e32 v165, 0x80000000, v165
.LBB77_140:
	s_andn2_saveexec_b32 s1, s1
	s_cbranch_execz .LBB77_142
; %bb.141:
	v_div_scale_f64 v[162:163], null, v[158:159], v[158:159], v[160:161]
	v_div_scale_f64 v[168:169], vcc_lo, v[160:161], v[158:159], v[160:161]
	v_rcp_f64_e32 v[164:165], v[162:163]
	v_fma_f64 v[166:167], -v[162:163], v[164:165], 1.0
	v_fma_f64 v[164:165], v[164:165], v[166:167], v[164:165]
	v_fma_f64 v[166:167], -v[162:163], v[164:165], 1.0
	v_fma_f64 v[164:165], v[164:165], v[166:167], v[164:165]
	v_mul_f64 v[166:167], v[168:169], v[164:165]
	v_fma_f64 v[162:163], -v[162:163], v[166:167], v[168:169]
	v_div_fmas_f64 v[162:163], v[162:163], v[164:165], v[166:167]
	v_div_fixup_f64 v[164:165], v[162:163], v[158:159], v[160:161]
	v_fma_f64 v[158:159], v[160:161], v[164:165], v[158:159]
	v_div_scale_f64 v[160:161], null, v[158:159], v[158:159], 1.0
	v_rcp_f64_e32 v[162:163], v[160:161]
	v_fma_f64 v[166:167], -v[160:161], v[162:163], 1.0
	v_fma_f64 v[162:163], v[162:163], v[166:167], v[162:163]
	v_fma_f64 v[166:167], -v[160:161], v[162:163], 1.0
	v_fma_f64 v[162:163], v[162:163], v[166:167], v[162:163]
	v_div_scale_f64 v[166:167], vcc_lo, 1.0, v[158:159], 1.0
	v_mul_f64 v[168:169], v[166:167], v[162:163]
	v_fma_f64 v[160:161], -v[160:161], v[168:169], v[166:167]
	v_div_fmas_f64 v[160:161], v[160:161], v[162:163], v[168:169]
	v_div_fixup_f64 v[162:163], v[160:161], v[158:159], 1.0
	v_mul_f64 v[164:165], v[164:165], -v[162:163]
.LBB77_142:
	s_or_b32 exec_lo, exec_lo, s1
	ds_write2_b64 v1, v[162:163], v[164:165] offset1:1
.LBB77_143:
	s_or_b32 exec_lo, exec_lo, s2
	s_waitcnt lgkmcnt(0)
	s_barrier
	buffer_gl0_inv
	ds_read2_b64 v[158:161], v1 offset1:1
	s_mov_b32 s1, exec_lo
	s_waitcnt lgkmcnt(0)
	buffer_store_dword v158, off, s[16:19], 0 offset:416 ; 4-byte Folded Spill
	buffer_store_dword v159, off, s[16:19], 0 offset:420 ; 4-byte Folded Spill
	;; [unrolled: 1-line block ×4, first 2 shown]
	v_cmpx_lt_u32_e32 15, v0
	s_cbranch_execz .LBB77_145
; %bb.144:
	s_clause 0x3
	buffer_load_dword v160, off, s[16:19], 0 offset:416
	buffer_load_dword v161, off, s[16:19], 0 offset:420
	;; [unrolled: 1-line block ×4, first 2 shown]
	s_waitcnt vmcnt(0)
	v_mul_f64 v[158:159], v[162:163], v[96:97]
	v_mul_f64 v[96:97], v[160:161], v[96:97]
	v_fma_f64 v[158:159], v[160:161], v[94:95], -v[158:159]
	v_fma_f64 v[96:97], v[162:163], v[94:95], v[96:97]
	ds_read2_b64 v[160:163], v218 offset0:32 offset1:33
	s_waitcnt lgkmcnt(0)
	v_mul_f64 v[94:95], v[162:163], v[96:97]
	v_fma_f64 v[94:95], v[160:161], v[158:159], -v[94:95]
	v_mul_f64 v[160:161], v[160:161], v[96:97]
	v_add_f64 v[90:91], v[90:91], -v[94:95]
	v_fma_f64 v[160:161], v[162:163], v[158:159], v[160:161]
	v_add_f64 v[92:93], v[92:93], -v[160:161]
	ds_read2_b64 v[160:163], v218 offset0:34 offset1:35
	s_waitcnt lgkmcnt(0)
	v_mul_f64 v[94:95], v[162:163], v[96:97]
	v_fma_f64 v[94:95], v[160:161], v[158:159], -v[94:95]
	v_mul_f64 v[160:161], v[160:161], v[96:97]
	v_add_f64 v[86:87], v[86:87], -v[94:95]
	v_fma_f64 v[160:161], v[162:163], v[158:159], v[160:161]
	v_add_f64 v[88:89], v[88:89], -v[160:161]
	;; [unrolled: 8-line block ×22, first 2 shown]
	ds_read2_b64 v[160:163], v218 offset0:76 offset1:77
	s_waitcnt lgkmcnt(0)
	v_mul_f64 v[94:95], v[162:163], v[96:97]
	v_fma_f64 v[94:95], v[160:161], v[158:159], -v[94:95]
	v_mul_f64 v[160:161], v[160:161], v[96:97]
	v_add_f64 v[2:3], v[2:3], -v[94:95]
	v_fma_f64 v[160:161], v[162:163], v[158:159], v[160:161]
	v_mov_b32_e32 v94, v158
	v_mov_b32_e32 v95, v159
	v_add_f64 v[4:5], v[4:5], -v[160:161]
.LBB77_145:
	s_or_b32 exec_lo, exec_lo, s1
	s_mov_b32 s2, exec_lo
	s_waitcnt_vscnt null, 0x0
	s_barrier
	buffer_gl0_inv
	v_cmpx_eq_u32_e32 16, v0
	s_cbranch_execz .LBB77_152
; %bb.146:
	ds_write2_b64 v1, v[90:91], v[92:93] offset1:1
	ds_write2_b64 v218, v[86:87], v[88:89] offset0:34 offset1:35
	ds_write2_b64 v218, v[82:83], v[84:85] offset0:36 offset1:37
	;; [unrolled: 1-line block ×22, first 2 shown]
	ds_read2_b64 v[158:161], v1 offset1:1
	s_waitcnt lgkmcnt(0)
	v_cmp_neq_f64_e32 vcc_lo, 0, v[158:159]
	v_cmp_neq_f64_e64 s1, 0, v[160:161]
	s_or_b32 s1, vcc_lo, s1
	s_and_b32 exec_lo, exec_lo, s1
	s_cbranch_execz .LBB77_152
; %bb.147:
	v_cmp_ngt_f64_e64 s1, |v[158:159]|, |v[160:161]|
                                        ; implicit-def: $vgpr162_vgpr163
	s_and_saveexec_b32 s3, s1
	s_xor_b32 s1, exec_lo, s3
                                        ; implicit-def: $vgpr164_vgpr165
	s_cbranch_execz .LBB77_149
; %bb.148:
	v_div_scale_f64 v[162:163], null, v[160:161], v[160:161], v[158:159]
	v_div_scale_f64 v[168:169], vcc_lo, v[158:159], v[160:161], v[158:159]
	v_rcp_f64_e32 v[164:165], v[162:163]
	v_fma_f64 v[166:167], -v[162:163], v[164:165], 1.0
	v_fma_f64 v[164:165], v[164:165], v[166:167], v[164:165]
	v_fma_f64 v[166:167], -v[162:163], v[164:165], 1.0
	v_fma_f64 v[164:165], v[164:165], v[166:167], v[164:165]
	v_mul_f64 v[166:167], v[168:169], v[164:165]
	v_fma_f64 v[162:163], -v[162:163], v[166:167], v[168:169]
	v_div_fmas_f64 v[162:163], v[162:163], v[164:165], v[166:167]
	v_div_fixup_f64 v[162:163], v[162:163], v[160:161], v[158:159]
	v_fma_f64 v[158:159], v[158:159], v[162:163], v[160:161]
	v_div_scale_f64 v[160:161], null, v[158:159], v[158:159], 1.0
	v_rcp_f64_e32 v[164:165], v[160:161]
	v_fma_f64 v[166:167], -v[160:161], v[164:165], 1.0
	v_fma_f64 v[164:165], v[164:165], v[166:167], v[164:165]
	v_fma_f64 v[166:167], -v[160:161], v[164:165], 1.0
	v_fma_f64 v[164:165], v[164:165], v[166:167], v[164:165]
	v_div_scale_f64 v[166:167], vcc_lo, 1.0, v[158:159], 1.0
	v_mul_f64 v[168:169], v[166:167], v[164:165]
	v_fma_f64 v[160:161], -v[160:161], v[168:169], v[166:167]
	v_div_fmas_f64 v[160:161], v[160:161], v[164:165], v[168:169]
	v_div_fixup_f64 v[164:165], v[160:161], v[158:159], 1.0
                                        ; implicit-def: $vgpr158_vgpr159
	v_mul_f64 v[162:163], v[162:163], v[164:165]
	v_xor_b32_e32 v165, 0x80000000, v165
.LBB77_149:
	s_andn2_saveexec_b32 s1, s1
	s_cbranch_execz .LBB77_151
; %bb.150:
	v_div_scale_f64 v[162:163], null, v[158:159], v[158:159], v[160:161]
	v_div_scale_f64 v[168:169], vcc_lo, v[160:161], v[158:159], v[160:161]
	v_rcp_f64_e32 v[164:165], v[162:163]
	v_fma_f64 v[166:167], -v[162:163], v[164:165], 1.0
	v_fma_f64 v[164:165], v[164:165], v[166:167], v[164:165]
	v_fma_f64 v[166:167], -v[162:163], v[164:165], 1.0
	v_fma_f64 v[164:165], v[164:165], v[166:167], v[164:165]
	v_mul_f64 v[166:167], v[168:169], v[164:165]
	v_fma_f64 v[162:163], -v[162:163], v[166:167], v[168:169]
	v_div_fmas_f64 v[162:163], v[162:163], v[164:165], v[166:167]
	v_div_fixup_f64 v[164:165], v[162:163], v[158:159], v[160:161]
	v_fma_f64 v[158:159], v[160:161], v[164:165], v[158:159]
	v_div_scale_f64 v[160:161], null, v[158:159], v[158:159], 1.0
	v_rcp_f64_e32 v[162:163], v[160:161]
	v_fma_f64 v[166:167], -v[160:161], v[162:163], 1.0
	v_fma_f64 v[162:163], v[162:163], v[166:167], v[162:163]
	v_fma_f64 v[166:167], -v[160:161], v[162:163], 1.0
	v_fma_f64 v[162:163], v[162:163], v[166:167], v[162:163]
	v_div_scale_f64 v[166:167], vcc_lo, 1.0, v[158:159], 1.0
	v_mul_f64 v[168:169], v[166:167], v[162:163]
	v_fma_f64 v[160:161], -v[160:161], v[168:169], v[166:167]
	v_div_fmas_f64 v[160:161], v[160:161], v[162:163], v[168:169]
	v_div_fixup_f64 v[162:163], v[160:161], v[158:159], 1.0
	v_mul_f64 v[164:165], v[164:165], -v[162:163]
.LBB77_151:
	s_or_b32 exec_lo, exec_lo, s1
	ds_write2_b64 v1, v[162:163], v[164:165] offset1:1
.LBB77_152:
	s_or_b32 exec_lo, exec_lo, s2
	s_waitcnt lgkmcnt(0)
	s_barrier
	buffer_gl0_inv
	ds_read2_b64 v[158:161], v1 offset1:1
	s_mov_b32 s1, exec_lo
	s_waitcnt lgkmcnt(0)
	buffer_store_dword v158, off, s[16:19], 0 offset:432 ; 4-byte Folded Spill
	buffer_store_dword v159, off, s[16:19], 0 offset:436 ; 4-byte Folded Spill
	;; [unrolled: 1-line block ×4, first 2 shown]
	v_cmpx_lt_u32_e32 16, v0
	s_cbranch_execz .LBB77_154
; %bb.153:
	s_clause 0x3
	buffer_load_dword v160, off, s[16:19], 0 offset:432
	buffer_load_dword v161, off, s[16:19], 0 offset:436
	;; [unrolled: 1-line block ×4, first 2 shown]
	s_waitcnt vmcnt(0)
	v_mul_f64 v[158:159], v[162:163], v[92:93]
	v_mul_f64 v[92:93], v[160:161], v[92:93]
	v_fma_f64 v[158:159], v[160:161], v[90:91], -v[158:159]
	v_fma_f64 v[92:93], v[162:163], v[90:91], v[92:93]
	ds_read2_b64 v[160:163], v218 offset0:34 offset1:35
	s_waitcnt lgkmcnt(0)
	v_mul_f64 v[90:91], v[162:163], v[92:93]
	v_fma_f64 v[90:91], v[160:161], v[158:159], -v[90:91]
	v_mul_f64 v[160:161], v[160:161], v[92:93]
	v_add_f64 v[86:87], v[86:87], -v[90:91]
	v_fma_f64 v[160:161], v[162:163], v[158:159], v[160:161]
	v_add_f64 v[88:89], v[88:89], -v[160:161]
	ds_read2_b64 v[160:163], v218 offset0:36 offset1:37
	s_waitcnt lgkmcnt(0)
	v_mul_f64 v[90:91], v[162:163], v[92:93]
	v_fma_f64 v[90:91], v[160:161], v[158:159], -v[90:91]
	v_mul_f64 v[160:161], v[160:161], v[92:93]
	v_add_f64 v[82:83], v[82:83], -v[90:91]
	v_fma_f64 v[160:161], v[162:163], v[158:159], v[160:161]
	v_add_f64 v[84:85], v[84:85], -v[160:161]
	;; [unrolled: 8-line block ×21, first 2 shown]
	ds_read2_b64 v[160:163], v218 offset0:76 offset1:77
	s_waitcnt lgkmcnt(0)
	v_mul_f64 v[90:91], v[162:163], v[92:93]
	v_fma_f64 v[90:91], v[160:161], v[158:159], -v[90:91]
	v_mul_f64 v[160:161], v[160:161], v[92:93]
	v_add_f64 v[2:3], v[2:3], -v[90:91]
	v_fma_f64 v[160:161], v[162:163], v[158:159], v[160:161]
	v_mov_b32_e32 v90, v158
	v_mov_b32_e32 v91, v159
	v_add_f64 v[4:5], v[4:5], -v[160:161]
.LBB77_154:
	s_or_b32 exec_lo, exec_lo, s1
	s_mov_b32 s2, exec_lo
	s_waitcnt_vscnt null, 0x0
	s_barrier
	buffer_gl0_inv
	v_cmpx_eq_u32_e32 17, v0
	s_cbranch_execz .LBB77_161
; %bb.155:
	ds_write2_b64 v1, v[86:87], v[88:89] offset1:1
	ds_write2_b64 v218, v[82:83], v[84:85] offset0:36 offset1:37
	ds_write2_b64 v218, v[78:79], v[80:81] offset0:38 offset1:39
	;; [unrolled: 1-line block ×21, first 2 shown]
	ds_read2_b64 v[158:161], v1 offset1:1
	s_waitcnt lgkmcnt(0)
	v_cmp_neq_f64_e32 vcc_lo, 0, v[158:159]
	v_cmp_neq_f64_e64 s1, 0, v[160:161]
	s_or_b32 s1, vcc_lo, s1
	s_and_b32 exec_lo, exec_lo, s1
	s_cbranch_execz .LBB77_161
; %bb.156:
	v_cmp_ngt_f64_e64 s1, |v[158:159]|, |v[160:161]|
                                        ; implicit-def: $vgpr162_vgpr163
	s_and_saveexec_b32 s3, s1
	s_xor_b32 s1, exec_lo, s3
                                        ; implicit-def: $vgpr164_vgpr165
	s_cbranch_execz .LBB77_158
; %bb.157:
	v_div_scale_f64 v[162:163], null, v[160:161], v[160:161], v[158:159]
	v_div_scale_f64 v[168:169], vcc_lo, v[158:159], v[160:161], v[158:159]
	v_rcp_f64_e32 v[164:165], v[162:163]
	v_fma_f64 v[166:167], -v[162:163], v[164:165], 1.0
	v_fma_f64 v[164:165], v[164:165], v[166:167], v[164:165]
	v_fma_f64 v[166:167], -v[162:163], v[164:165], 1.0
	v_fma_f64 v[164:165], v[164:165], v[166:167], v[164:165]
	v_mul_f64 v[166:167], v[168:169], v[164:165]
	v_fma_f64 v[162:163], -v[162:163], v[166:167], v[168:169]
	v_div_fmas_f64 v[162:163], v[162:163], v[164:165], v[166:167]
	v_div_fixup_f64 v[162:163], v[162:163], v[160:161], v[158:159]
	v_fma_f64 v[158:159], v[158:159], v[162:163], v[160:161]
	v_div_scale_f64 v[160:161], null, v[158:159], v[158:159], 1.0
	v_rcp_f64_e32 v[164:165], v[160:161]
	v_fma_f64 v[166:167], -v[160:161], v[164:165], 1.0
	v_fma_f64 v[164:165], v[164:165], v[166:167], v[164:165]
	v_fma_f64 v[166:167], -v[160:161], v[164:165], 1.0
	v_fma_f64 v[164:165], v[164:165], v[166:167], v[164:165]
	v_div_scale_f64 v[166:167], vcc_lo, 1.0, v[158:159], 1.0
	v_mul_f64 v[168:169], v[166:167], v[164:165]
	v_fma_f64 v[160:161], -v[160:161], v[168:169], v[166:167]
	v_div_fmas_f64 v[160:161], v[160:161], v[164:165], v[168:169]
	v_div_fixup_f64 v[164:165], v[160:161], v[158:159], 1.0
                                        ; implicit-def: $vgpr158_vgpr159
	v_mul_f64 v[162:163], v[162:163], v[164:165]
	v_xor_b32_e32 v165, 0x80000000, v165
.LBB77_158:
	s_andn2_saveexec_b32 s1, s1
	s_cbranch_execz .LBB77_160
; %bb.159:
	v_div_scale_f64 v[162:163], null, v[158:159], v[158:159], v[160:161]
	v_div_scale_f64 v[168:169], vcc_lo, v[160:161], v[158:159], v[160:161]
	v_rcp_f64_e32 v[164:165], v[162:163]
	v_fma_f64 v[166:167], -v[162:163], v[164:165], 1.0
	v_fma_f64 v[164:165], v[164:165], v[166:167], v[164:165]
	v_fma_f64 v[166:167], -v[162:163], v[164:165], 1.0
	v_fma_f64 v[164:165], v[164:165], v[166:167], v[164:165]
	v_mul_f64 v[166:167], v[168:169], v[164:165]
	v_fma_f64 v[162:163], -v[162:163], v[166:167], v[168:169]
	v_div_fmas_f64 v[162:163], v[162:163], v[164:165], v[166:167]
	v_div_fixup_f64 v[164:165], v[162:163], v[158:159], v[160:161]
	v_fma_f64 v[158:159], v[160:161], v[164:165], v[158:159]
	v_div_scale_f64 v[160:161], null, v[158:159], v[158:159], 1.0
	v_rcp_f64_e32 v[162:163], v[160:161]
	v_fma_f64 v[166:167], -v[160:161], v[162:163], 1.0
	v_fma_f64 v[162:163], v[162:163], v[166:167], v[162:163]
	v_fma_f64 v[166:167], -v[160:161], v[162:163], 1.0
	v_fma_f64 v[162:163], v[162:163], v[166:167], v[162:163]
	v_div_scale_f64 v[166:167], vcc_lo, 1.0, v[158:159], 1.0
	v_mul_f64 v[168:169], v[166:167], v[162:163]
	v_fma_f64 v[160:161], -v[160:161], v[168:169], v[166:167]
	v_div_fmas_f64 v[160:161], v[160:161], v[162:163], v[168:169]
	v_div_fixup_f64 v[162:163], v[160:161], v[158:159], 1.0
	v_mul_f64 v[164:165], v[164:165], -v[162:163]
.LBB77_160:
	s_or_b32 exec_lo, exec_lo, s1
	ds_write2_b64 v1, v[162:163], v[164:165] offset1:1
.LBB77_161:
	s_or_b32 exec_lo, exec_lo, s2
	s_waitcnt lgkmcnt(0)
	s_barrier
	buffer_gl0_inv
	ds_read2_b64 v[158:161], v1 offset1:1
	s_mov_b32 s1, exec_lo
	s_waitcnt lgkmcnt(0)
	buffer_store_dword v158, off, s[16:19], 0 offset:448 ; 4-byte Folded Spill
	buffer_store_dword v159, off, s[16:19], 0 offset:452 ; 4-byte Folded Spill
	;; [unrolled: 1-line block ×4, first 2 shown]
	v_cmpx_lt_u32_e32 17, v0
	s_cbranch_execz .LBB77_163
; %bb.162:
	s_clause 0x3
	buffer_load_dword v160, off, s[16:19], 0 offset:448
	buffer_load_dword v161, off, s[16:19], 0 offset:452
	;; [unrolled: 1-line block ×4, first 2 shown]
	s_waitcnt vmcnt(0)
	v_mul_f64 v[158:159], v[162:163], v[88:89]
	v_mul_f64 v[88:89], v[160:161], v[88:89]
	v_fma_f64 v[158:159], v[160:161], v[86:87], -v[158:159]
	v_fma_f64 v[88:89], v[162:163], v[86:87], v[88:89]
	ds_read2_b64 v[160:163], v218 offset0:36 offset1:37
	s_waitcnt lgkmcnt(0)
	v_mul_f64 v[86:87], v[162:163], v[88:89]
	v_fma_f64 v[86:87], v[160:161], v[158:159], -v[86:87]
	v_mul_f64 v[160:161], v[160:161], v[88:89]
	v_add_f64 v[82:83], v[82:83], -v[86:87]
	v_fma_f64 v[160:161], v[162:163], v[158:159], v[160:161]
	v_add_f64 v[84:85], v[84:85], -v[160:161]
	ds_read2_b64 v[160:163], v218 offset0:38 offset1:39
	s_waitcnt lgkmcnt(0)
	v_mul_f64 v[86:87], v[162:163], v[88:89]
	v_fma_f64 v[86:87], v[160:161], v[158:159], -v[86:87]
	v_mul_f64 v[160:161], v[160:161], v[88:89]
	v_add_f64 v[78:79], v[78:79], -v[86:87]
	v_fma_f64 v[160:161], v[162:163], v[158:159], v[160:161]
	v_add_f64 v[80:81], v[80:81], -v[160:161]
	;; [unrolled: 8-line block ×20, first 2 shown]
	ds_read2_b64 v[160:163], v218 offset0:76 offset1:77
	s_waitcnt lgkmcnt(0)
	v_mul_f64 v[86:87], v[162:163], v[88:89]
	v_fma_f64 v[86:87], v[160:161], v[158:159], -v[86:87]
	v_mul_f64 v[160:161], v[160:161], v[88:89]
	v_add_f64 v[2:3], v[2:3], -v[86:87]
	v_fma_f64 v[160:161], v[162:163], v[158:159], v[160:161]
	v_mov_b32_e32 v86, v158
	v_mov_b32_e32 v87, v159
	v_add_f64 v[4:5], v[4:5], -v[160:161]
.LBB77_163:
	s_or_b32 exec_lo, exec_lo, s1
	s_mov_b32 s2, exec_lo
	s_waitcnt_vscnt null, 0x0
	s_barrier
	buffer_gl0_inv
	v_cmpx_eq_u32_e32 18, v0
	s_cbranch_execz .LBB77_170
; %bb.164:
	ds_write2_b64 v1, v[82:83], v[84:85] offset1:1
	ds_write2_b64 v218, v[78:79], v[80:81] offset0:38 offset1:39
	ds_write2_b64 v218, v[74:75], v[76:77] offset0:40 offset1:41
	;; [unrolled: 1-line block ×20, first 2 shown]
	ds_read2_b64 v[158:161], v1 offset1:1
	s_waitcnt lgkmcnt(0)
	v_cmp_neq_f64_e32 vcc_lo, 0, v[158:159]
	v_cmp_neq_f64_e64 s1, 0, v[160:161]
	s_or_b32 s1, vcc_lo, s1
	s_and_b32 exec_lo, exec_lo, s1
	s_cbranch_execz .LBB77_170
; %bb.165:
	v_cmp_ngt_f64_e64 s1, |v[158:159]|, |v[160:161]|
                                        ; implicit-def: $vgpr162_vgpr163
	s_and_saveexec_b32 s3, s1
	s_xor_b32 s1, exec_lo, s3
                                        ; implicit-def: $vgpr164_vgpr165
	s_cbranch_execz .LBB77_167
; %bb.166:
	v_div_scale_f64 v[162:163], null, v[160:161], v[160:161], v[158:159]
	v_div_scale_f64 v[168:169], vcc_lo, v[158:159], v[160:161], v[158:159]
	v_rcp_f64_e32 v[164:165], v[162:163]
	v_fma_f64 v[166:167], -v[162:163], v[164:165], 1.0
	v_fma_f64 v[164:165], v[164:165], v[166:167], v[164:165]
	v_fma_f64 v[166:167], -v[162:163], v[164:165], 1.0
	v_fma_f64 v[164:165], v[164:165], v[166:167], v[164:165]
	v_mul_f64 v[166:167], v[168:169], v[164:165]
	v_fma_f64 v[162:163], -v[162:163], v[166:167], v[168:169]
	v_div_fmas_f64 v[162:163], v[162:163], v[164:165], v[166:167]
	v_div_fixup_f64 v[162:163], v[162:163], v[160:161], v[158:159]
	v_fma_f64 v[158:159], v[158:159], v[162:163], v[160:161]
	v_div_scale_f64 v[160:161], null, v[158:159], v[158:159], 1.0
	v_rcp_f64_e32 v[164:165], v[160:161]
	v_fma_f64 v[166:167], -v[160:161], v[164:165], 1.0
	v_fma_f64 v[164:165], v[164:165], v[166:167], v[164:165]
	v_fma_f64 v[166:167], -v[160:161], v[164:165], 1.0
	v_fma_f64 v[164:165], v[164:165], v[166:167], v[164:165]
	v_div_scale_f64 v[166:167], vcc_lo, 1.0, v[158:159], 1.0
	v_mul_f64 v[168:169], v[166:167], v[164:165]
	v_fma_f64 v[160:161], -v[160:161], v[168:169], v[166:167]
	v_div_fmas_f64 v[160:161], v[160:161], v[164:165], v[168:169]
	v_div_fixup_f64 v[164:165], v[160:161], v[158:159], 1.0
                                        ; implicit-def: $vgpr158_vgpr159
	v_mul_f64 v[162:163], v[162:163], v[164:165]
	v_xor_b32_e32 v165, 0x80000000, v165
.LBB77_167:
	s_andn2_saveexec_b32 s1, s1
	s_cbranch_execz .LBB77_169
; %bb.168:
	v_div_scale_f64 v[162:163], null, v[158:159], v[158:159], v[160:161]
	v_div_scale_f64 v[168:169], vcc_lo, v[160:161], v[158:159], v[160:161]
	v_rcp_f64_e32 v[164:165], v[162:163]
	v_fma_f64 v[166:167], -v[162:163], v[164:165], 1.0
	v_fma_f64 v[164:165], v[164:165], v[166:167], v[164:165]
	v_fma_f64 v[166:167], -v[162:163], v[164:165], 1.0
	v_fma_f64 v[164:165], v[164:165], v[166:167], v[164:165]
	v_mul_f64 v[166:167], v[168:169], v[164:165]
	v_fma_f64 v[162:163], -v[162:163], v[166:167], v[168:169]
	v_div_fmas_f64 v[162:163], v[162:163], v[164:165], v[166:167]
	v_div_fixup_f64 v[164:165], v[162:163], v[158:159], v[160:161]
	v_fma_f64 v[158:159], v[160:161], v[164:165], v[158:159]
	v_div_scale_f64 v[160:161], null, v[158:159], v[158:159], 1.0
	v_rcp_f64_e32 v[162:163], v[160:161]
	v_fma_f64 v[166:167], -v[160:161], v[162:163], 1.0
	v_fma_f64 v[162:163], v[162:163], v[166:167], v[162:163]
	v_fma_f64 v[166:167], -v[160:161], v[162:163], 1.0
	v_fma_f64 v[162:163], v[162:163], v[166:167], v[162:163]
	v_div_scale_f64 v[166:167], vcc_lo, 1.0, v[158:159], 1.0
	v_mul_f64 v[168:169], v[166:167], v[162:163]
	v_fma_f64 v[160:161], -v[160:161], v[168:169], v[166:167]
	v_div_fmas_f64 v[160:161], v[160:161], v[162:163], v[168:169]
	v_div_fixup_f64 v[162:163], v[160:161], v[158:159], 1.0
	v_mul_f64 v[164:165], v[164:165], -v[162:163]
.LBB77_169:
	s_or_b32 exec_lo, exec_lo, s1
	ds_write2_b64 v1, v[162:163], v[164:165] offset1:1
.LBB77_170:
	s_or_b32 exec_lo, exec_lo, s2
	s_waitcnt lgkmcnt(0)
	s_barrier
	buffer_gl0_inv
	ds_read2_b64 v[158:161], v1 offset1:1
	s_mov_b32 s1, exec_lo
	s_waitcnt lgkmcnt(0)
	buffer_store_dword v158, off, s[16:19], 0 offset:464 ; 4-byte Folded Spill
	buffer_store_dword v159, off, s[16:19], 0 offset:468 ; 4-byte Folded Spill
	;; [unrolled: 1-line block ×4, first 2 shown]
	v_cmpx_lt_u32_e32 18, v0
	s_cbranch_execz .LBB77_172
; %bb.171:
	s_clause 0x3
	buffer_load_dword v160, off, s[16:19], 0 offset:464
	buffer_load_dword v161, off, s[16:19], 0 offset:468
	buffer_load_dword v162, off, s[16:19], 0 offset:472
	buffer_load_dword v163, off, s[16:19], 0 offset:476
	s_waitcnt vmcnt(0)
	v_mul_f64 v[158:159], v[162:163], v[84:85]
	v_mul_f64 v[84:85], v[160:161], v[84:85]
	v_fma_f64 v[158:159], v[160:161], v[82:83], -v[158:159]
	v_fma_f64 v[84:85], v[162:163], v[82:83], v[84:85]
	ds_read2_b64 v[160:163], v218 offset0:38 offset1:39
	s_waitcnt lgkmcnt(0)
	v_mul_f64 v[82:83], v[162:163], v[84:85]
	v_fma_f64 v[82:83], v[160:161], v[158:159], -v[82:83]
	v_mul_f64 v[160:161], v[160:161], v[84:85]
	v_add_f64 v[78:79], v[78:79], -v[82:83]
	v_fma_f64 v[160:161], v[162:163], v[158:159], v[160:161]
	v_add_f64 v[80:81], v[80:81], -v[160:161]
	ds_read2_b64 v[160:163], v218 offset0:40 offset1:41
	s_waitcnt lgkmcnt(0)
	v_mul_f64 v[82:83], v[162:163], v[84:85]
	v_fma_f64 v[82:83], v[160:161], v[158:159], -v[82:83]
	v_mul_f64 v[160:161], v[160:161], v[84:85]
	v_add_f64 v[74:75], v[74:75], -v[82:83]
	v_fma_f64 v[160:161], v[162:163], v[158:159], v[160:161]
	v_add_f64 v[76:77], v[76:77], -v[160:161]
	;; [unrolled: 8-line block ×19, first 2 shown]
	ds_read2_b64 v[160:163], v218 offset0:76 offset1:77
	s_waitcnt lgkmcnt(0)
	v_mul_f64 v[82:83], v[162:163], v[84:85]
	v_fma_f64 v[82:83], v[160:161], v[158:159], -v[82:83]
	v_mul_f64 v[160:161], v[160:161], v[84:85]
	v_add_f64 v[2:3], v[2:3], -v[82:83]
	v_fma_f64 v[160:161], v[162:163], v[158:159], v[160:161]
	v_mov_b32_e32 v82, v158
	v_mov_b32_e32 v83, v159
	v_add_f64 v[4:5], v[4:5], -v[160:161]
.LBB77_172:
	s_or_b32 exec_lo, exec_lo, s1
	s_mov_b32 s2, exec_lo
	s_waitcnt_vscnt null, 0x0
	s_barrier
	buffer_gl0_inv
	v_cmpx_eq_u32_e32 19, v0
	s_cbranch_execz .LBB77_179
; %bb.173:
	ds_write2_b64 v1, v[78:79], v[80:81] offset1:1
	ds_write2_b64 v218, v[74:75], v[76:77] offset0:40 offset1:41
	ds_write2_b64 v218, v[70:71], v[72:73] offset0:42 offset1:43
	;; [unrolled: 1-line block ×19, first 2 shown]
	ds_read2_b64 v[158:161], v1 offset1:1
	s_waitcnt lgkmcnt(0)
	v_cmp_neq_f64_e32 vcc_lo, 0, v[158:159]
	v_cmp_neq_f64_e64 s1, 0, v[160:161]
	s_or_b32 s1, vcc_lo, s1
	s_and_b32 exec_lo, exec_lo, s1
	s_cbranch_execz .LBB77_179
; %bb.174:
	v_cmp_ngt_f64_e64 s1, |v[158:159]|, |v[160:161]|
                                        ; implicit-def: $vgpr162_vgpr163
	s_and_saveexec_b32 s3, s1
	s_xor_b32 s1, exec_lo, s3
                                        ; implicit-def: $vgpr164_vgpr165
	s_cbranch_execz .LBB77_176
; %bb.175:
	v_div_scale_f64 v[162:163], null, v[160:161], v[160:161], v[158:159]
	v_div_scale_f64 v[168:169], vcc_lo, v[158:159], v[160:161], v[158:159]
	v_rcp_f64_e32 v[164:165], v[162:163]
	v_fma_f64 v[166:167], -v[162:163], v[164:165], 1.0
	v_fma_f64 v[164:165], v[164:165], v[166:167], v[164:165]
	v_fma_f64 v[166:167], -v[162:163], v[164:165], 1.0
	v_fma_f64 v[164:165], v[164:165], v[166:167], v[164:165]
	v_mul_f64 v[166:167], v[168:169], v[164:165]
	v_fma_f64 v[162:163], -v[162:163], v[166:167], v[168:169]
	v_div_fmas_f64 v[162:163], v[162:163], v[164:165], v[166:167]
	v_div_fixup_f64 v[162:163], v[162:163], v[160:161], v[158:159]
	v_fma_f64 v[158:159], v[158:159], v[162:163], v[160:161]
	v_div_scale_f64 v[160:161], null, v[158:159], v[158:159], 1.0
	v_rcp_f64_e32 v[164:165], v[160:161]
	v_fma_f64 v[166:167], -v[160:161], v[164:165], 1.0
	v_fma_f64 v[164:165], v[164:165], v[166:167], v[164:165]
	v_fma_f64 v[166:167], -v[160:161], v[164:165], 1.0
	v_fma_f64 v[164:165], v[164:165], v[166:167], v[164:165]
	v_div_scale_f64 v[166:167], vcc_lo, 1.0, v[158:159], 1.0
	v_mul_f64 v[168:169], v[166:167], v[164:165]
	v_fma_f64 v[160:161], -v[160:161], v[168:169], v[166:167]
	v_div_fmas_f64 v[160:161], v[160:161], v[164:165], v[168:169]
	v_div_fixup_f64 v[164:165], v[160:161], v[158:159], 1.0
                                        ; implicit-def: $vgpr158_vgpr159
	v_mul_f64 v[162:163], v[162:163], v[164:165]
	v_xor_b32_e32 v165, 0x80000000, v165
.LBB77_176:
	s_andn2_saveexec_b32 s1, s1
	s_cbranch_execz .LBB77_178
; %bb.177:
	v_div_scale_f64 v[162:163], null, v[158:159], v[158:159], v[160:161]
	v_div_scale_f64 v[168:169], vcc_lo, v[160:161], v[158:159], v[160:161]
	v_rcp_f64_e32 v[164:165], v[162:163]
	v_fma_f64 v[166:167], -v[162:163], v[164:165], 1.0
	v_fma_f64 v[164:165], v[164:165], v[166:167], v[164:165]
	v_fma_f64 v[166:167], -v[162:163], v[164:165], 1.0
	v_fma_f64 v[164:165], v[164:165], v[166:167], v[164:165]
	v_mul_f64 v[166:167], v[168:169], v[164:165]
	v_fma_f64 v[162:163], -v[162:163], v[166:167], v[168:169]
	v_div_fmas_f64 v[162:163], v[162:163], v[164:165], v[166:167]
	v_div_fixup_f64 v[164:165], v[162:163], v[158:159], v[160:161]
	v_fma_f64 v[158:159], v[160:161], v[164:165], v[158:159]
	v_div_scale_f64 v[160:161], null, v[158:159], v[158:159], 1.0
	v_rcp_f64_e32 v[162:163], v[160:161]
	v_fma_f64 v[166:167], -v[160:161], v[162:163], 1.0
	v_fma_f64 v[162:163], v[162:163], v[166:167], v[162:163]
	v_fma_f64 v[166:167], -v[160:161], v[162:163], 1.0
	v_fma_f64 v[162:163], v[162:163], v[166:167], v[162:163]
	v_div_scale_f64 v[166:167], vcc_lo, 1.0, v[158:159], 1.0
	v_mul_f64 v[168:169], v[166:167], v[162:163]
	v_fma_f64 v[160:161], -v[160:161], v[168:169], v[166:167]
	v_div_fmas_f64 v[160:161], v[160:161], v[162:163], v[168:169]
	v_div_fixup_f64 v[162:163], v[160:161], v[158:159], 1.0
	v_mul_f64 v[164:165], v[164:165], -v[162:163]
.LBB77_178:
	s_or_b32 exec_lo, exec_lo, s1
	ds_write2_b64 v1, v[162:163], v[164:165] offset1:1
.LBB77_179:
	s_or_b32 exec_lo, exec_lo, s2
	s_waitcnt lgkmcnt(0)
	s_barrier
	buffer_gl0_inv
	ds_read2_b64 v[158:161], v1 offset1:1
	s_mov_b32 s1, exec_lo
	s_waitcnt lgkmcnt(0)
	buffer_store_dword v158, off, s[16:19], 0 offset:480 ; 4-byte Folded Spill
	buffer_store_dword v159, off, s[16:19], 0 offset:484 ; 4-byte Folded Spill
	;; [unrolled: 1-line block ×4, first 2 shown]
	v_cmpx_lt_u32_e32 19, v0
	s_cbranch_execz .LBB77_181
; %bb.180:
	s_clause 0x3
	buffer_load_dword v160, off, s[16:19], 0 offset:480
	buffer_load_dword v161, off, s[16:19], 0 offset:484
	;; [unrolled: 1-line block ×4, first 2 shown]
	s_waitcnt vmcnt(0)
	v_mul_f64 v[158:159], v[162:163], v[80:81]
	v_mul_f64 v[80:81], v[160:161], v[80:81]
	v_fma_f64 v[158:159], v[160:161], v[78:79], -v[158:159]
	v_fma_f64 v[80:81], v[162:163], v[78:79], v[80:81]
	ds_read2_b64 v[160:163], v218 offset0:40 offset1:41
	s_waitcnt lgkmcnt(0)
	v_mul_f64 v[78:79], v[162:163], v[80:81]
	v_fma_f64 v[78:79], v[160:161], v[158:159], -v[78:79]
	v_mul_f64 v[160:161], v[160:161], v[80:81]
	v_add_f64 v[74:75], v[74:75], -v[78:79]
	v_fma_f64 v[160:161], v[162:163], v[158:159], v[160:161]
	v_add_f64 v[76:77], v[76:77], -v[160:161]
	ds_read2_b64 v[160:163], v218 offset0:42 offset1:43
	s_waitcnt lgkmcnt(0)
	v_mul_f64 v[78:79], v[162:163], v[80:81]
	v_fma_f64 v[78:79], v[160:161], v[158:159], -v[78:79]
	v_mul_f64 v[160:161], v[160:161], v[80:81]
	v_add_f64 v[70:71], v[70:71], -v[78:79]
	v_fma_f64 v[160:161], v[162:163], v[158:159], v[160:161]
	v_add_f64 v[72:73], v[72:73], -v[160:161]
	ds_read2_b64 v[160:163], v218 offset0:44 offset1:45
	s_waitcnt lgkmcnt(0)
	v_mul_f64 v[78:79], v[162:163], v[80:81]
	v_fma_f64 v[78:79], v[160:161], v[158:159], -v[78:79]
	v_mul_f64 v[160:161], v[160:161], v[80:81]
	v_add_f64 v[66:67], v[66:67], -v[78:79]
	v_fma_f64 v[160:161], v[162:163], v[158:159], v[160:161]
	v_add_f64 v[68:69], v[68:69], -v[160:161]
	ds_read2_b64 v[160:163], v218 offset0:46 offset1:47
	s_waitcnt lgkmcnt(0)
	v_mul_f64 v[78:79], v[162:163], v[80:81]
	v_fma_f64 v[78:79], v[160:161], v[158:159], -v[78:79]
	v_mul_f64 v[160:161], v[160:161], v[80:81]
	v_add_f64 v[62:63], v[62:63], -v[78:79]
	v_fma_f64 v[160:161], v[162:163], v[158:159], v[160:161]
	v_add_f64 v[64:65], v[64:65], -v[160:161]
	ds_read2_b64 v[160:163], v218 offset0:48 offset1:49
	s_waitcnt lgkmcnt(0)
	v_mul_f64 v[78:79], v[162:163], v[80:81]
	v_fma_f64 v[78:79], v[160:161], v[158:159], -v[78:79]
	v_mul_f64 v[160:161], v[160:161], v[80:81]
	v_add_f64 v[58:59], v[58:59], -v[78:79]
	v_fma_f64 v[160:161], v[162:163], v[158:159], v[160:161]
	v_add_f64 v[60:61], v[60:61], -v[160:161]
	ds_read2_b64 v[160:163], v218 offset0:50 offset1:51
	s_waitcnt lgkmcnt(0)
	v_mul_f64 v[78:79], v[162:163], v[80:81]
	v_fma_f64 v[78:79], v[160:161], v[158:159], -v[78:79]
	v_mul_f64 v[160:161], v[160:161], v[80:81]
	v_add_f64 v[54:55], v[54:55], -v[78:79]
	v_fma_f64 v[160:161], v[162:163], v[158:159], v[160:161]
	v_add_f64 v[56:57], v[56:57], -v[160:161]
	ds_read2_b64 v[160:163], v218 offset0:52 offset1:53
	s_waitcnt lgkmcnt(0)
	v_mul_f64 v[78:79], v[162:163], v[80:81]
	v_fma_f64 v[78:79], v[160:161], v[158:159], -v[78:79]
	v_mul_f64 v[160:161], v[160:161], v[80:81]
	v_add_f64 v[50:51], v[50:51], -v[78:79]
	v_fma_f64 v[160:161], v[162:163], v[158:159], v[160:161]
	v_add_f64 v[52:53], v[52:53], -v[160:161]
	ds_read2_b64 v[160:163], v218 offset0:54 offset1:55
	s_waitcnt lgkmcnt(0)
	v_mul_f64 v[78:79], v[162:163], v[80:81]
	v_fma_f64 v[78:79], v[160:161], v[158:159], -v[78:79]
	v_mul_f64 v[160:161], v[160:161], v[80:81]
	v_add_f64 v[46:47], v[46:47], -v[78:79]
	v_fma_f64 v[160:161], v[162:163], v[158:159], v[160:161]
	v_add_f64 v[48:49], v[48:49], -v[160:161]
	ds_read2_b64 v[160:163], v218 offset0:56 offset1:57
	s_waitcnt lgkmcnt(0)
	v_mul_f64 v[78:79], v[162:163], v[80:81]
	v_fma_f64 v[78:79], v[160:161], v[158:159], -v[78:79]
	v_mul_f64 v[160:161], v[160:161], v[80:81]
	v_add_f64 v[42:43], v[42:43], -v[78:79]
	v_fma_f64 v[160:161], v[162:163], v[158:159], v[160:161]
	v_add_f64 v[44:45], v[44:45], -v[160:161]
	ds_read2_b64 v[160:163], v218 offset0:58 offset1:59
	s_waitcnt lgkmcnt(0)
	v_mul_f64 v[78:79], v[162:163], v[80:81]
	v_fma_f64 v[78:79], v[160:161], v[158:159], -v[78:79]
	v_mul_f64 v[160:161], v[160:161], v[80:81]
	v_add_f64 v[38:39], v[38:39], -v[78:79]
	v_fma_f64 v[160:161], v[162:163], v[158:159], v[160:161]
	v_add_f64 v[40:41], v[40:41], -v[160:161]
	ds_read2_b64 v[160:163], v218 offset0:60 offset1:61
	s_waitcnt lgkmcnt(0)
	v_mul_f64 v[78:79], v[162:163], v[80:81]
	v_fma_f64 v[78:79], v[160:161], v[158:159], -v[78:79]
	v_mul_f64 v[160:161], v[160:161], v[80:81]
	v_add_f64 v[34:35], v[34:35], -v[78:79]
	v_fma_f64 v[160:161], v[162:163], v[158:159], v[160:161]
	v_add_f64 v[36:37], v[36:37], -v[160:161]
	ds_read2_b64 v[160:163], v218 offset0:62 offset1:63
	s_waitcnt lgkmcnt(0)
	v_mul_f64 v[78:79], v[162:163], v[80:81]
	v_fma_f64 v[78:79], v[160:161], v[158:159], -v[78:79]
	v_mul_f64 v[160:161], v[160:161], v[80:81]
	v_add_f64 v[30:31], v[30:31], -v[78:79]
	v_fma_f64 v[160:161], v[162:163], v[158:159], v[160:161]
	v_add_f64 v[32:33], v[32:33], -v[160:161]
	ds_read2_b64 v[160:163], v218 offset0:64 offset1:65
	s_waitcnt lgkmcnt(0)
	v_mul_f64 v[78:79], v[162:163], v[80:81]
	v_fma_f64 v[78:79], v[160:161], v[158:159], -v[78:79]
	v_mul_f64 v[160:161], v[160:161], v[80:81]
	v_add_f64 v[26:27], v[26:27], -v[78:79]
	v_fma_f64 v[160:161], v[162:163], v[158:159], v[160:161]
	v_add_f64 v[28:29], v[28:29], -v[160:161]
	ds_read2_b64 v[160:163], v218 offset0:66 offset1:67
	s_waitcnt lgkmcnt(0)
	v_mul_f64 v[78:79], v[162:163], v[80:81]
	v_fma_f64 v[78:79], v[160:161], v[158:159], -v[78:79]
	v_mul_f64 v[160:161], v[160:161], v[80:81]
	v_add_f64 v[22:23], v[22:23], -v[78:79]
	v_fma_f64 v[160:161], v[162:163], v[158:159], v[160:161]
	v_add_f64 v[24:25], v[24:25], -v[160:161]
	ds_read2_b64 v[160:163], v218 offset0:68 offset1:69
	s_waitcnt lgkmcnt(0)
	v_mul_f64 v[78:79], v[162:163], v[80:81]
	v_fma_f64 v[78:79], v[160:161], v[158:159], -v[78:79]
	v_mul_f64 v[160:161], v[160:161], v[80:81]
	v_add_f64 v[18:19], v[18:19], -v[78:79]
	v_fma_f64 v[160:161], v[162:163], v[158:159], v[160:161]
	v_add_f64 v[20:21], v[20:21], -v[160:161]
	ds_read2_b64 v[160:163], v218 offset0:70 offset1:71
	s_waitcnt lgkmcnt(0)
	v_mul_f64 v[78:79], v[162:163], v[80:81]
	v_fma_f64 v[78:79], v[160:161], v[158:159], -v[78:79]
	v_mul_f64 v[160:161], v[160:161], v[80:81]
	v_add_f64 v[14:15], v[14:15], -v[78:79]
	v_fma_f64 v[160:161], v[162:163], v[158:159], v[160:161]
	v_add_f64 v[16:17], v[16:17], -v[160:161]
	ds_read2_b64 v[160:163], v218 offset0:72 offset1:73
	s_waitcnt lgkmcnt(0)
	v_mul_f64 v[78:79], v[162:163], v[80:81]
	v_fma_f64 v[78:79], v[160:161], v[158:159], -v[78:79]
	v_mul_f64 v[160:161], v[160:161], v[80:81]
	v_add_f64 v[10:11], v[10:11], -v[78:79]
	v_fma_f64 v[160:161], v[162:163], v[158:159], v[160:161]
	v_add_f64 v[12:13], v[12:13], -v[160:161]
	ds_read2_b64 v[160:163], v218 offset0:74 offset1:75
	s_waitcnt lgkmcnt(0)
	v_mul_f64 v[78:79], v[162:163], v[80:81]
	v_fma_f64 v[78:79], v[160:161], v[158:159], -v[78:79]
	v_mul_f64 v[160:161], v[160:161], v[80:81]
	v_add_f64 v[6:7], v[6:7], -v[78:79]
	v_fma_f64 v[160:161], v[162:163], v[158:159], v[160:161]
	v_add_f64 v[8:9], v[8:9], -v[160:161]
	ds_read2_b64 v[160:163], v218 offset0:76 offset1:77
	s_waitcnt lgkmcnt(0)
	v_mul_f64 v[78:79], v[162:163], v[80:81]
	v_fma_f64 v[78:79], v[160:161], v[158:159], -v[78:79]
	v_mul_f64 v[160:161], v[160:161], v[80:81]
	v_add_f64 v[2:3], v[2:3], -v[78:79]
	v_fma_f64 v[160:161], v[162:163], v[158:159], v[160:161]
	v_mov_b32_e32 v78, v158
	v_mov_b32_e32 v79, v159
	v_add_f64 v[4:5], v[4:5], -v[160:161]
.LBB77_181:
	s_or_b32 exec_lo, exec_lo, s1
	s_mov_b32 s2, exec_lo
	s_waitcnt_vscnt null, 0x0
	s_barrier
	buffer_gl0_inv
	v_cmpx_eq_u32_e32 20, v0
	s_cbranch_execz .LBB77_188
; %bb.182:
	ds_write2_b64 v1, v[74:75], v[76:77] offset1:1
	ds_write2_b64 v218, v[70:71], v[72:73] offset0:42 offset1:43
	ds_write2_b64 v218, v[66:67], v[68:69] offset0:44 offset1:45
	;; [unrolled: 1-line block ×18, first 2 shown]
	ds_read2_b64 v[158:161], v1 offset1:1
	s_waitcnt lgkmcnt(0)
	v_cmp_neq_f64_e32 vcc_lo, 0, v[158:159]
	v_cmp_neq_f64_e64 s1, 0, v[160:161]
	s_or_b32 s1, vcc_lo, s1
	s_and_b32 exec_lo, exec_lo, s1
	s_cbranch_execz .LBB77_188
; %bb.183:
	v_cmp_ngt_f64_e64 s1, |v[158:159]|, |v[160:161]|
                                        ; implicit-def: $vgpr162_vgpr163
	s_and_saveexec_b32 s3, s1
	s_xor_b32 s1, exec_lo, s3
                                        ; implicit-def: $vgpr164_vgpr165
	s_cbranch_execz .LBB77_185
; %bb.184:
	v_div_scale_f64 v[162:163], null, v[160:161], v[160:161], v[158:159]
	v_div_scale_f64 v[168:169], vcc_lo, v[158:159], v[160:161], v[158:159]
	v_rcp_f64_e32 v[164:165], v[162:163]
	v_fma_f64 v[166:167], -v[162:163], v[164:165], 1.0
	v_fma_f64 v[164:165], v[164:165], v[166:167], v[164:165]
	v_fma_f64 v[166:167], -v[162:163], v[164:165], 1.0
	v_fma_f64 v[164:165], v[164:165], v[166:167], v[164:165]
	v_mul_f64 v[166:167], v[168:169], v[164:165]
	v_fma_f64 v[162:163], -v[162:163], v[166:167], v[168:169]
	v_div_fmas_f64 v[162:163], v[162:163], v[164:165], v[166:167]
	v_div_fixup_f64 v[162:163], v[162:163], v[160:161], v[158:159]
	v_fma_f64 v[158:159], v[158:159], v[162:163], v[160:161]
	v_div_scale_f64 v[160:161], null, v[158:159], v[158:159], 1.0
	v_rcp_f64_e32 v[164:165], v[160:161]
	v_fma_f64 v[166:167], -v[160:161], v[164:165], 1.0
	v_fma_f64 v[164:165], v[164:165], v[166:167], v[164:165]
	v_fma_f64 v[166:167], -v[160:161], v[164:165], 1.0
	v_fma_f64 v[164:165], v[164:165], v[166:167], v[164:165]
	v_div_scale_f64 v[166:167], vcc_lo, 1.0, v[158:159], 1.0
	v_mul_f64 v[168:169], v[166:167], v[164:165]
	v_fma_f64 v[160:161], -v[160:161], v[168:169], v[166:167]
	v_div_fmas_f64 v[160:161], v[160:161], v[164:165], v[168:169]
	v_div_fixup_f64 v[164:165], v[160:161], v[158:159], 1.0
                                        ; implicit-def: $vgpr158_vgpr159
	v_mul_f64 v[162:163], v[162:163], v[164:165]
	v_xor_b32_e32 v165, 0x80000000, v165
.LBB77_185:
	s_andn2_saveexec_b32 s1, s1
	s_cbranch_execz .LBB77_187
; %bb.186:
	v_div_scale_f64 v[162:163], null, v[158:159], v[158:159], v[160:161]
	v_div_scale_f64 v[168:169], vcc_lo, v[160:161], v[158:159], v[160:161]
	v_rcp_f64_e32 v[164:165], v[162:163]
	v_fma_f64 v[166:167], -v[162:163], v[164:165], 1.0
	v_fma_f64 v[164:165], v[164:165], v[166:167], v[164:165]
	v_fma_f64 v[166:167], -v[162:163], v[164:165], 1.0
	v_fma_f64 v[164:165], v[164:165], v[166:167], v[164:165]
	v_mul_f64 v[166:167], v[168:169], v[164:165]
	v_fma_f64 v[162:163], -v[162:163], v[166:167], v[168:169]
	v_div_fmas_f64 v[162:163], v[162:163], v[164:165], v[166:167]
	v_div_fixup_f64 v[164:165], v[162:163], v[158:159], v[160:161]
	v_fma_f64 v[158:159], v[160:161], v[164:165], v[158:159]
	v_div_scale_f64 v[160:161], null, v[158:159], v[158:159], 1.0
	v_rcp_f64_e32 v[162:163], v[160:161]
	v_fma_f64 v[166:167], -v[160:161], v[162:163], 1.0
	v_fma_f64 v[162:163], v[162:163], v[166:167], v[162:163]
	v_fma_f64 v[166:167], -v[160:161], v[162:163], 1.0
	v_fma_f64 v[162:163], v[162:163], v[166:167], v[162:163]
	v_div_scale_f64 v[166:167], vcc_lo, 1.0, v[158:159], 1.0
	v_mul_f64 v[168:169], v[166:167], v[162:163]
	v_fma_f64 v[160:161], -v[160:161], v[168:169], v[166:167]
	v_div_fmas_f64 v[160:161], v[160:161], v[162:163], v[168:169]
	v_div_fixup_f64 v[162:163], v[160:161], v[158:159], 1.0
	v_mul_f64 v[164:165], v[164:165], -v[162:163]
.LBB77_187:
	s_or_b32 exec_lo, exec_lo, s1
	ds_write2_b64 v1, v[162:163], v[164:165] offset1:1
.LBB77_188:
	s_or_b32 exec_lo, exec_lo, s2
	s_waitcnt lgkmcnt(0)
	s_barrier
	buffer_gl0_inv
	ds_read2_b64 v[158:161], v1 offset1:1
	s_mov_b32 s1, exec_lo
	s_waitcnt lgkmcnt(0)
	buffer_store_dword v158, off, s[16:19], 0 offset:496 ; 4-byte Folded Spill
	buffer_store_dword v159, off, s[16:19], 0 offset:500 ; 4-byte Folded Spill
	;; [unrolled: 1-line block ×4, first 2 shown]
	v_cmpx_lt_u32_e32 20, v0
	s_cbranch_execz .LBB77_190
; %bb.189:
	s_clause 0x3
	buffer_load_dword v160, off, s[16:19], 0 offset:496
	buffer_load_dword v161, off, s[16:19], 0 offset:500
	;; [unrolled: 1-line block ×4, first 2 shown]
	s_waitcnt vmcnt(0)
	v_mul_f64 v[158:159], v[162:163], v[76:77]
	v_mul_f64 v[76:77], v[160:161], v[76:77]
	v_fma_f64 v[158:159], v[160:161], v[74:75], -v[158:159]
	v_fma_f64 v[76:77], v[162:163], v[74:75], v[76:77]
	ds_read2_b64 v[160:163], v218 offset0:42 offset1:43
	s_waitcnt lgkmcnt(0)
	v_mul_f64 v[74:75], v[162:163], v[76:77]
	v_fma_f64 v[74:75], v[160:161], v[158:159], -v[74:75]
	v_mul_f64 v[160:161], v[160:161], v[76:77]
	v_add_f64 v[70:71], v[70:71], -v[74:75]
	v_fma_f64 v[160:161], v[162:163], v[158:159], v[160:161]
	v_add_f64 v[72:73], v[72:73], -v[160:161]
	ds_read2_b64 v[160:163], v218 offset0:44 offset1:45
	s_waitcnt lgkmcnt(0)
	v_mul_f64 v[74:75], v[162:163], v[76:77]
	v_fma_f64 v[74:75], v[160:161], v[158:159], -v[74:75]
	v_mul_f64 v[160:161], v[160:161], v[76:77]
	v_add_f64 v[66:67], v[66:67], -v[74:75]
	v_fma_f64 v[160:161], v[162:163], v[158:159], v[160:161]
	v_add_f64 v[68:69], v[68:69], -v[160:161]
	;; [unrolled: 8-line block ×17, first 2 shown]
	ds_read2_b64 v[160:163], v218 offset0:76 offset1:77
	s_waitcnt lgkmcnt(0)
	v_mul_f64 v[74:75], v[162:163], v[76:77]
	v_fma_f64 v[74:75], v[160:161], v[158:159], -v[74:75]
	v_mul_f64 v[160:161], v[160:161], v[76:77]
	v_add_f64 v[2:3], v[2:3], -v[74:75]
	v_fma_f64 v[160:161], v[162:163], v[158:159], v[160:161]
	v_mov_b32_e32 v74, v158
	v_mov_b32_e32 v75, v159
	v_add_f64 v[4:5], v[4:5], -v[160:161]
.LBB77_190:
	s_or_b32 exec_lo, exec_lo, s1
	s_mov_b32 s2, exec_lo
	s_waitcnt_vscnt null, 0x0
	s_barrier
	buffer_gl0_inv
	v_cmpx_eq_u32_e32 21, v0
	s_cbranch_execz .LBB77_197
; %bb.191:
	ds_write2_b64 v1, v[70:71], v[72:73] offset1:1
	ds_write2_b64 v218, v[66:67], v[68:69] offset0:44 offset1:45
	ds_write2_b64 v218, v[62:63], v[64:65] offset0:46 offset1:47
	;; [unrolled: 1-line block ×17, first 2 shown]
	ds_read2_b64 v[158:161], v1 offset1:1
	s_waitcnt lgkmcnt(0)
	v_cmp_neq_f64_e32 vcc_lo, 0, v[158:159]
	v_cmp_neq_f64_e64 s1, 0, v[160:161]
	s_or_b32 s1, vcc_lo, s1
	s_and_b32 exec_lo, exec_lo, s1
	s_cbranch_execz .LBB77_197
; %bb.192:
	v_cmp_ngt_f64_e64 s1, |v[158:159]|, |v[160:161]|
                                        ; implicit-def: $vgpr162_vgpr163
	s_and_saveexec_b32 s3, s1
	s_xor_b32 s1, exec_lo, s3
                                        ; implicit-def: $vgpr164_vgpr165
	s_cbranch_execz .LBB77_194
; %bb.193:
	v_div_scale_f64 v[162:163], null, v[160:161], v[160:161], v[158:159]
	v_div_scale_f64 v[168:169], vcc_lo, v[158:159], v[160:161], v[158:159]
	v_rcp_f64_e32 v[164:165], v[162:163]
	v_fma_f64 v[166:167], -v[162:163], v[164:165], 1.0
	v_fma_f64 v[164:165], v[164:165], v[166:167], v[164:165]
	v_fma_f64 v[166:167], -v[162:163], v[164:165], 1.0
	v_fma_f64 v[164:165], v[164:165], v[166:167], v[164:165]
	v_mul_f64 v[166:167], v[168:169], v[164:165]
	v_fma_f64 v[162:163], -v[162:163], v[166:167], v[168:169]
	v_div_fmas_f64 v[162:163], v[162:163], v[164:165], v[166:167]
	v_div_fixup_f64 v[162:163], v[162:163], v[160:161], v[158:159]
	v_fma_f64 v[158:159], v[158:159], v[162:163], v[160:161]
	v_div_scale_f64 v[160:161], null, v[158:159], v[158:159], 1.0
	v_rcp_f64_e32 v[164:165], v[160:161]
	v_fma_f64 v[166:167], -v[160:161], v[164:165], 1.0
	v_fma_f64 v[164:165], v[164:165], v[166:167], v[164:165]
	v_fma_f64 v[166:167], -v[160:161], v[164:165], 1.0
	v_fma_f64 v[164:165], v[164:165], v[166:167], v[164:165]
	v_div_scale_f64 v[166:167], vcc_lo, 1.0, v[158:159], 1.0
	v_mul_f64 v[168:169], v[166:167], v[164:165]
	v_fma_f64 v[160:161], -v[160:161], v[168:169], v[166:167]
	v_div_fmas_f64 v[160:161], v[160:161], v[164:165], v[168:169]
	v_div_fixup_f64 v[164:165], v[160:161], v[158:159], 1.0
                                        ; implicit-def: $vgpr158_vgpr159
	v_mul_f64 v[162:163], v[162:163], v[164:165]
	v_xor_b32_e32 v165, 0x80000000, v165
.LBB77_194:
	s_andn2_saveexec_b32 s1, s1
	s_cbranch_execz .LBB77_196
; %bb.195:
	v_div_scale_f64 v[162:163], null, v[158:159], v[158:159], v[160:161]
	v_div_scale_f64 v[168:169], vcc_lo, v[160:161], v[158:159], v[160:161]
	v_rcp_f64_e32 v[164:165], v[162:163]
	v_fma_f64 v[166:167], -v[162:163], v[164:165], 1.0
	v_fma_f64 v[164:165], v[164:165], v[166:167], v[164:165]
	v_fma_f64 v[166:167], -v[162:163], v[164:165], 1.0
	v_fma_f64 v[164:165], v[164:165], v[166:167], v[164:165]
	v_mul_f64 v[166:167], v[168:169], v[164:165]
	v_fma_f64 v[162:163], -v[162:163], v[166:167], v[168:169]
	v_div_fmas_f64 v[162:163], v[162:163], v[164:165], v[166:167]
	v_div_fixup_f64 v[164:165], v[162:163], v[158:159], v[160:161]
	v_fma_f64 v[158:159], v[160:161], v[164:165], v[158:159]
	v_div_scale_f64 v[160:161], null, v[158:159], v[158:159], 1.0
	v_rcp_f64_e32 v[162:163], v[160:161]
	v_fma_f64 v[166:167], -v[160:161], v[162:163], 1.0
	v_fma_f64 v[162:163], v[162:163], v[166:167], v[162:163]
	v_fma_f64 v[166:167], -v[160:161], v[162:163], 1.0
	v_fma_f64 v[162:163], v[162:163], v[166:167], v[162:163]
	v_div_scale_f64 v[166:167], vcc_lo, 1.0, v[158:159], 1.0
	v_mul_f64 v[168:169], v[166:167], v[162:163]
	v_fma_f64 v[160:161], -v[160:161], v[168:169], v[166:167]
	v_div_fmas_f64 v[160:161], v[160:161], v[162:163], v[168:169]
	v_div_fixup_f64 v[162:163], v[160:161], v[158:159], 1.0
	v_mul_f64 v[164:165], v[164:165], -v[162:163]
.LBB77_196:
	s_or_b32 exec_lo, exec_lo, s1
	ds_write2_b64 v1, v[162:163], v[164:165] offset1:1
.LBB77_197:
	s_or_b32 exec_lo, exec_lo, s2
	s_waitcnt lgkmcnt(0)
	s_barrier
	buffer_gl0_inv
	ds_read2_b64 v[158:161], v1 offset1:1
	s_mov_b32 s1, exec_lo
	s_waitcnt lgkmcnt(0)
	buffer_store_dword v158, off, s[16:19], 0 offset:512 ; 4-byte Folded Spill
	buffer_store_dword v159, off, s[16:19], 0 offset:516 ; 4-byte Folded Spill
	;; [unrolled: 1-line block ×4, first 2 shown]
	v_cmpx_lt_u32_e32 21, v0
	s_cbranch_execz .LBB77_199
; %bb.198:
	s_clause 0x3
	buffer_load_dword v160, off, s[16:19], 0 offset:512
	buffer_load_dword v161, off, s[16:19], 0 offset:516
	;; [unrolled: 1-line block ×4, first 2 shown]
	s_waitcnt vmcnt(0)
	v_mul_f64 v[158:159], v[162:163], v[72:73]
	v_mul_f64 v[72:73], v[160:161], v[72:73]
	v_fma_f64 v[158:159], v[160:161], v[70:71], -v[158:159]
	v_fma_f64 v[72:73], v[162:163], v[70:71], v[72:73]
	ds_read2_b64 v[160:163], v218 offset0:44 offset1:45
	s_waitcnt lgkmcnt(0)
	v_mul_f64 v[70:71], v[162:163], v[72:73]
	v_fma_f64 v[70:71], v[160:161], v[158:159], -v[70:71]
	v_mul_f64 v[160:161], v[160:161], v[72:73]
	v_add_f64 v[66:67], v[66:67], -v[70:71]
	v_fma_f64 v[160:161], v[162:163], v[158:159], v[160:161]
	v_add_f64 v[68:69], v[68:69], -v[160:161]
	ds_read2_b64 v[160:163], v218 offset0:46 offset1:47
	s_waitcnt lgkmcnt(0)
	v_mul_f64 v[70:71], v[162:163], v[72:73]
	v_fma_f64 v[70:71], v[160:161], v[158:159], -v[70:71]
	v_mul_f64 v[160:161], v[160:161], v[72:73]
	v_add_f64 v[62:63], v[62:63], -v[70:71]
	v_fma_f64 v[160:161], v[162:163], v[158:159], v[160:161]
	v_add_f64 v[64:65], v[64:65], -v[160:161]
	;; [unrolled: 8-line block ×16, first 2 shown]
	ds_read2_b64 v[160:163], v218 offset0:76 offset1:77
	s_waitcnt lgkmcnt(0)
	v_mul_f64 v[70:71], v[162:163], v[72:73]
	v_fma_f64 v[70:71], v[160:161], v[158:159], -v[70:71]
	v_mul_f64 v[160:161], v[160:161], v[72:73]
	v_add_f64 v[2:3], v[2:3], -v[70:71]
	v_fma_f64 v[160:161], v[162:163], v[158:159], v[160:161]
	v_mov_b32_e32 v70, v158
	v_mov_b32_e32 v71, v159
	v_add_f64 v[4:5], v[4:5], -v[160:161]
.LBB77_199:
	s_or_b32 exec_lo, exec_lo, s1
	s_mov_b32 s2, exec_lo
	s_waitcnt_vscnt null, 0x0
	s_barrier
	buffer_gl0_inv
	v_cmpx_eq_u32_e32 22, v0
	s_cbranch_execz .LBB77_206
; %bb.200:
	ds_write2_b64 v1, v[66:67], v[68:69] offset1:1
	ds_write2_b64 v218, v[62:63], v[64:65] offset0:46 offset1:47
	ds_write2_b64 v218, v[58:59], v[60:61] offset0:48 offset1:49
	;; [unrolled: 1-line block ×16, first 2 shown]
	ds_read2_b64 v[158:161], v1 offset1:1
	s_waitcnt lgkmcnt(0)
	v_cmp_neq_f64_e32 vcc_lo, 0, v[158:159]
	v_cmp_neq_f64_e64 s1, 0, v[160:161]
	s_or_b32 s1, vcc_lo, s1
	s_and_b32 exec_lo, exec_lo, s1
	s_cbranch_execz .LBB77_206
; %bb.201:
	v_cmp_ngt_f64_e64 s1, |v[158:159]|, |v[160:161]|
                                        ; implicit-def: $vgpr162_vgpr163
	s_and_saveexec_b32 s3, s1
	s_xor_b32 s1, exec_lo, s3
                                        ; implicit-def: $vgpr164_vgpr165
	s_cbranch_execz .LBB77_203
; %bb.202:
	v_div_scale_f64 v[162:163], null, v[160:161], v[160:161], v[158:159]
	v_div_scale_f64 v[168:169], vcc_lo, v[158:159], v[160:161], v[158:159]
	v_rcp_f64_e32 v[164:165], v[162:163]
	v_fma_f64 v[166:167], -v[162:163], v[164:165], 1.0
	v_fma_f64 v[164:165], v[164:165], v[166:167], v[164:165]
	v_fma_f64 v[166:167], -v[162:163], v[164:165], 1.0
	v_fma_f64 v[164:165], v[164:165], v[166:167], v[164:165]
	v_mul_f64 v[166:167], v[168:169], v[164:165]
	v_fma_f64 v[162:163], -v[162:163], v[166:167], v[168:169]
	v_div_fmas_f64 v[162:163], v[162:163], v[164:165], v[166:167]
	v_div_fixup_f64 v[162:163], v[162:163], v[160:161], v[158:159]
	v_fma_f64 v[158:159], v[158:159], v[162:163], v[160:161]
	v_div_scale_f64 v[160:161], null, v[158:159], v[158:159], 1.0
	v_rcp_f64_e32 v[164:165], v[160:161]
	v_fma_f64 v[166:167], -v[160:161], v[164:165], 1.0
	v_fma_f64 v[164:165], v[164:165], v[166:167], v[164:165]
	v_fma_f64 v[166:167], -v[160:161], v[164:165], 1.0
	v_fma_f64 v[164:165], v[164:165], v[166:167], v[164:165]
	v_div_scale_f64 v[166:167], vcc_lo, 1.0, v[158:159], 1.0
	v_mul_f64 v[168:169], v[166:167], v[164:165]
	v_fma_f64 v[160:161], -v[160:161], v[168:169], v[166:167]
	v_div_fmas_f64 v[160:161], v[160:161], v[164:165], v[168:169]
	v_div_fixup_f64 v[164:165], v[160:161], v[158:159], 1.0
                                        ; implicit-def: $vgpr158_vgpr159
	v_mul_f64 v[162:163], v[162:163], v[164:165]
	v_xor_b32_e32 v165, 0x80000000, v165
.LBB77_203:
	s_andn2_saveexec_b32 s1, s1
	s_cbranch_execz .LBB77_205
; %bb.204:
	v_div_scale_f64 v[162:163], null, v[158:159], v[158:159], v[160:161]
	v_div_scale_f64 v[168:169], vcc_lo, v[160:161], v[158:159], v[160:161]
	v_rcp_f64_e32 v[164:165], v[162:163]
	v_fma_f64 v[166:167], -v[162:163], v[164:165], 1.0
	v_fma_f64 v[164:165], v[164:165], v[166:167], v[164:165]
	v_fma_f64 v[166:167], -v[162:163], v[164:165], 1.0
	v_fma_f64 v[164:165], v[164:165], v[166:167], v[164:165]
	v_mul_f64 v[166:167], v[168:169], v[164:165]
	v_fma_f64 v[162:163], -v[162:163], v[166:167], v[168:169]
	v_div_fmas_f64 v[162:163], v[162:163], v[164:165], v[166:167]
	v_div_fixup_f64 v[164:165], v[162:163], v[158:159], v[160:161]
	v_fma_f64 v[158:159], v[160:161], v[164:165], v[158:159]
	v_div_scale_f64 v[160:161], null, v[158:159], v[158:159], 1.0
	v_rcp_f64_e32 v[162:163], v[160:161]
	v_fma_f64 v[166:167], -v[160:161], v[162:163], 1.0
	v_fma_f64 v[162:163], v[162:163], v[166:167], v[162:163]
	v_fma_f64 v[166:167], -v[160:161], v[162:163], 1.0
	v_fma_f64 v[162:163], v[162:163], v[166:167], v[162:163]
	v_div_scale_f64 v[166:167], vcc_lo, 1.0, v[158:159], 1.0
	v_mul_f64 v[168:169], v[166:167], v[162:163]
	v_fma_f64 v[160:161], -v[160:161], v[168:169], v[166:167]
	v_div_fmas_f64 v[160:161], v[160:161], v[162:163], v[168:169]
	v_div_fixup_f64 v[162:163], v[160:161], v[158:159], 1.0
	v_mul_f64 v[164:165], v[164:165], -v[162:163]
.LBB77_205:
	s_or_b32 exec_lo, exec_lo, s1
	ds_write2_b64 v1, v[162:163], v[164:165] offset1:1
.LBB77_206:
	s_or_b32 exec_lo, exec_lo, s2
	s_waitcnt lgkmcnt(0)
	s_barrier
	buffer_gl0_inv
	ds_read2_b64 v[158:161], v1 offset1:1
	s_mov_b32 s1, exec_lo
	s_waitcnt lgkmcnt(0)
	buffer_store_dword v158, off, s[16:19], 0 offset:528 ; 4-byte Folded Spill
	buffer_store_dword v159, off, s[16:19], 0 offset:532 ; 4-byte Folded Spill
	;; [unrolled: 1-line block ×4, first 2 shown]
	v_cmpx_lt_u32_e32 22, v0
	s_cbranch_execz .LBB77_208
; %bb.207:
	s_clause 0x3
	buffer_load_dword v160, off, s[16:19], 0 offset:528
	buffer_load_dword v161, off, s[16:19], 0 offset:532
	;; [unrolled: 1-line block ×4, first 2 shown]
	s_waitcnt vmcnt(2)
	v_mul_f64 v[158:159], v[160:161], v[68:69]
	s_waitcnt vmcnt(0)
	v_mul_f64 v[68:69], v[162:163], v[68:69]
	v_fma_f64 v[158:159], v[162:163], v[66:67], v[158:159]
	v_fma_f64 v[66:67], v[160:161], v[66:67], -v[68:69]
	ds_read2_b64 v[160:163], v218 offset0:46 offset1:47
	s_waitcnt lgkmcnt(0)
	v_mul_f64 v[68:69], v[162:163], v[158:159]
	v_fma_f64 v[68:69], v[160:161], v[66:67], -v[68:69]
	v_mul_f64 v[160:161], v[160:161], v[158:159]
	v_add_f64 v[62:63], v[62:63], -v[68:69]
	v_fma_f64 v[160:161], v[162:163], v[66:67], v[160:161]
	v_add_f64 v[64:65], v[64:65], -v[160:161]
	ds_read2_b64 v[160:163], v218 offset0:48 offset1:49
	s_waitcnt lgkmcnt(0)
	v_mul_f64 v[68:69], v[162:163], v[158:159]
	v_fma_f64 v[68:69], v[160:161], v[66:67], -v[68:69]
	v_mul_f64 v[160:161], v[160:161], v[158:159]
	v_add_f64 v[58:59], v[58:59], -v[68:69]
	v_fma_f64 v[160:161], v[162:163], v[66:67], v[160:161]
	v_add_f64 v[60:61], v[60:61], -v[160:161]
	;; [unrolled: 8-line block ×15, first 2 shown]
	ds_read2_b64 v[160:163], v218 offset0:76 offset1:77
	s_waitcnt lgkmcnt(0)
	v_mul_f64 v[68:69], v[162:163], v[158:159]
	v_fma_f64 v[68:69], v[160:161], v[66:67], -v[68:69]
	v_mul_f64 v[160:161], v[160:161], v[158:159]
	v_add_f64 v[2:3], v[2:3], -v[68:69]
	v_fma_f64 v[160:161], v[162:163], v[66:67], v[160:161]
	v_mov_b32_e32 v68, v158
	v_mov_b32_e32 v69, v159
	v_add_f64 v[4:5], v[4:5], -v[160:161]
.LBB77_208:
	s_or_b32 exec_lo, exec_lo, s1
	s_mov_b32 s2, exec_lo
	s_waitcnt_vscnt null, 0x0
	s_barrier
	buffer_gl0_inv
	v_cmpx_eq_u32_e32 23, v0
	s_cbranch_execz .LBB77_215
; %bb.209:
	ds_write2_b64 v1, v[62:63], v[64:65] offset1:1
	ds_write2_b64 v218, v[58:59], v[60:61] offset0:48 offset1:49
	ds_write2_b64 v218, v[54:55], v[56:57] offset0:50 offset1:51
	;; [unrolled: 1-line block ×15, first 2 shown]
	ds_read2_b64 v[158:161], v1 offset1:1
	s_waitcnt lgkmcnt(0)
	v_cmp_neq_f64_e32 vcc_lo, 0, v[158:159]
	v_cmp_neq_f64_e64 s1, 0, v[160:161]
	s_or_b32 s1, vcc_lo, s1
	s_and_b32 exec_lo, exec_lo, s1
	s_cbranch_execz .LBB77_215
; %bb.210:
	v_cmp_ngt_f64_e64 s1, |v[158:159]|, |v[160:161]|
                                        ; implicit-def: $vgpr162_vgpr163
	s_and_saveexec_b32 s3, s1
	s_xor_b32 s1, exec_lo, s3
                                        ; implicit-def: $vgpr164_vgpr165
	s_cbranch_execz .LBB77_212
; %bb.211:
	v_div_scale_f64 v[162:163], null, v[160:161], v[160:161], v[158:159]
	v_div_scale_f64 v[168:169], vcc_lo, v[158:159], v[160:161], v[158:159]
	v_rcp_f64_e32 v[164:165], v[162:163]
	v_fma_f64 v[166:167], -v[162:163], v[164:165], 1.0
	v_fma_f64 v[164:165], v[164:165], v[166:167], v[164:165]
	v_fma_f64 v[166:167], -v[162:163], v[164:165], 1.0
	v_fma_f64 v[164:165], v[164:165], v[166:167], v[164:165]
	v_mul_f64 v[166:167], v[168:169], v[164:165]
	v_fma_f64 v[162:163], -v[162:163], v[166:167], v[168:169]
	v_div_fmas_f64 v[162:163], v[162:163], v[164:165], v[166:167]
	v_div_fixup_f64 v[162:163], v[162:163], v[160:161], v[158:159]
	v_fma_f64 v[158:159], v[158:159], v[162:163], v[160:161]
	v_div_scale_f64 v[160:161], null, v[158:159], v[158:159], 1.0
	v_rcp_f64_e32 v[164:165], v[160:161]
	v_fma_f64 v[166:167], -v[160:161], v[164:165], 1.0
	v_fma_f64 v[164:165], v[164:165], v[166:167], v[164:165]
	v_fma_f64 v[166:167], -v[160:161], v[164:165], 1.0
	v_fma_f64 v[164:165], v[164:165], v[166:167], v[164:165]
	v_div_scale_f64 v[166:167], vcc_lo, 1.0, v[158:159], 1.0
	v_mul_f64 v[168:169], v[166:167], v[164:165]
	v_fma_f64 v[160:161], -v[160:161], v[168:169], v[166:167]
	v_div_fmas_f64 v[160:161], v[160:161], v[164:165], v[168:169]
	v_div_fixup_f64 v[164:165], v[160:161], v[158:159], 1.0
                                        ; implicit-def: $vgpr158_vgpr159
	v_mul_f64 v[162:163], v[162:163], v[164:165]
	v_xor_b32_e32 v165, 0x80000000, v165
.LBB77_212:
	s_andn2_saveexec_b32 s1, s1
	s_cbranch_execz .LBB77_214
; %bb.213:
	v_div_scale_f64 v[162:163], null, v[158:159], v[158:159], v[160:161]
	v_div_scale_f64 v[168:169], vcc_lo, v[160:161], v[158:159], v[160:161]
	v_rcp_f64_e32 v[164:165], v[162:163]
	v_fma_f64 v[166:167], -v[162:163], v[164:165], 1.0
	v_fma_f64 v[164:165], v[164:165], v[166:167], v[164:165]
	v_fma_f64 v[166:167], -v[162:163], v[164:165], 1.0
	v_fma_f64 v[164:165], v[164:165], v[166:167], v[164:165]
	v_mul_f64 v[166:167], v[168:169], v[164:165]
	v_fma_f64 v[162:163], -v[162:163], v[166:167], v[168:169]
	v_div_fmas_f64 v[162:163], v[162:163], v[164:165], v[166:167]
	v_div_fixup_f64 v[164:165], v[162:163], v[158:159], v[160:161]
	v_fma_f64 v[158:159], v[160:161], v[164:165], v[158:159]
	v_div_scale_f64 v[160:161], null, v[158:159], v[158:159], 1.0
	v_rcp_f64_e32 v[162:163], v[160:161]
	v_fma_f64 v[166:167], -v[160:161], v[162:163], 1.0
	v_fma_f64 v[162:163], v[162:163], v[166:167], v[162:163]
	v_fma_f64 v[166:167], -v[160:161], v[162:163], 1.0
	v_fma_f64 v[162:163], v[162:163], v[166:167], v[162:163]
	v_div_scale_f64 v[166:167], vcc_lo, 1.0, v[158:159], 1.0
	v_mul_f64 v[168:169], v[166:167], v[162:163]
	v_fma_f64 v[160:161], -v[160:161], v[168:169], v[166:167]
	v_div_fmas_f64 v[160:161], v[160:161], v[162:163], v[168:169]
	v_div_fixup_f64 v[162:163], v[160:161], v[158:159], 1.0
	v_mul_f64 v[164:165], v[164:165], -v[162:163]
.LBB77_214:
	s_or_b32 exec_lo, exec_lo, s1
	ds_write2_b64 v1, v[162:163], v[164:165] offset1:1
.LBB77_215:
	s_or_b32 exec_lo, exec_lo, s2
	s_waitcnt lgkmcnt(0)
	s_barrier
	buffer_gl0_inv
	ds_read2_b64 v[158:161], v1 offset1:1
	s_mov_b32 s1, exec_lo
	s_waitcnt lgkmcnt(0)
	buffer_store_dword v158, off, s[16:19], 0 offset:544 ; 4-byte Folded Spill
	buffer_store_dword v159, off, s[16:19], 0 offset:548 ; 4-byte Folded Spill
	;; [unrolled: 1-line block ×4, first 2 shown]
	v_cmpx_lt_u32_e32 23, v0
	s_cbranch_execz .LBB77_217
; %bb.216:
	s_clause 0x3
	buffer_load_dword v160, off, s[16:19], 0 offset:544
	buffer_load_dword v161, off, s[16:19], 0 offset:548
	;; [unrolled: 1-line block ×4, first 2 shown]
	s_waitcnt vmcnt(2)
	v_mul_f64 v[158:159], v[160:161], v[64:65]
	s_waitcnt vmcnt(0)
	v_mul_f64 v[64:65], v[162:163], v[64:65]
	v_fma_f64 v[158:159], v[162:163], v[62:63], v[158:159]
	v_fma_f64 v[62:63], v[160:161], v[62:63], -v[64:65]
	ds_read2_b64 v[160:163], v218 offset0:48 offset1:49
	s_waitcnt lgkmcnt(0)
	v_mul_f64 v[64:65], v[162:163], v[158:159]
	v_fma_f64 v[64:65], v[160:161], v[62:63], -v[64:65]
	v_mul_f64 v[160:161], v[160:161], v[158:159]
	v_add_f64 v[58:59], v[58:59], -v[64:65]
	v_fma_f64 v[160:161], v[162:163], v[62:63], v[160:161]
	v_add_f64 v[60:61], v[60:61], -v[160:161]
	ds_read2_b64 v[160:163], v218 offset0:50 offset1:51
	s_waitcnt lgkmcnt(0)
	v_mul_f64 v[64:65], v[162:163], v[158:159]
	v_fma_f64 v[64:65], v[160:161], v[62:63], -v[64:65]
	v_mul_f64 v[160:161], v[160:161], v[158:159]
	v_add_f64 v[54:55], v[54:55], -v[64:65]
	v_fma_f64 v[160:161], v[162:163], v[62:63], v[160:161]
	v_add_f64 v[56:57], v[56:57], -v[160:161]
	;; [unrolled: 8-line block ×14, first 2 shown]
	ds_read2_b64 v[160:163], v218 offset0:76 offset1:77
	s_waitcnt lgkmcnt(0)
	v_mul_f64 v[64:65], v[162:163], v[158:159]
	v_fma_f64 v[64:65], v[160:161], v[62:63], -v[64:65]
	v_mul_f64 v[160:161], v[160:161], v[158:159]
	v_add_f64 v[2:3], v[2:3], -v[64:65]
	v_fma_f64 v[160:161], v[162:163], v[62:63], v[160:161]
	v_mov_b32_e32 v64, v158
	v_mov_b32_e32 v65, v159
	v_add_f64 v[4:5], v[4:5], -v[160:161]
.LBB77_217:
	s_or_b32 exec_lo, exec_lo, s1
	s_mov_b32 s2, exec_lo
	s_waitcnt_vscnt null, 0x0
	s_barrier
	buffer_gl0_inv
	v_cmpx_eq_u32_e32 24, v0
	s_cbranch_execz .LBB77_224
; %bb.218:
	ds_write2_b64 v1, v[58:59], v[60:61] offset1:1
	ds_write2_b64 v218, v[54:55], v[56:57] offset0:50 offset1:51
	ds_write2_b64 v218, v[50:51], v[52:53] offset0:52 offset1:53
	;; [unrolled: 1-line block ×14, first 2 shown]
	ds_read2_b64 v[158:161], v1 offset1:1
	s_waitcnt lgkmcnt(0)
	v_cmp_neq_f64_e32 vcc_lo, 0, v[158:159]
	v_cmp_neq_f64_e64 s1, 0, v[160:161]
	s_or_b32 s1, vcc_lo, s1
	s_and_b32 exec_lo, exec_lo, s1
	s_cbranch_execz .LBB77_224
; %bb.219:
	v_cmp_ngt_f64_e64 s1, |v[158:159]|, |v[160:161]|
                                        ; implicit-def: $vgpr162_vgpr163
	s_and_saveexec_b32 s3, s1
	s_xor_b32 s1, exec_lo, s3
                                        ; implicit-def: $vgpr164_vgpr165
	s_cbranch_execz .LBB77_221
; %bb.220:
	v_div_scale_f64 v[162:163], null, v[160:161], v[160:161], v[158:159]
	v_div_scale_f64 v[168:169], vcc_lo, v[158:159], v[160:161], v[158:159]
	v_rcp_f64_e32 v[164:165], v[162:163]
	v_fma_f64 v[166:167], -v[162:163], v[164:165], 1.0
	v_fma_f64 v[164:165], v[164:165], v[166:167], v[164:165]
	v_fma_f64 v[166:167], -v[162:163], v[164:165], 1.0
	v_fma_f64 v[164:165], v[164:165], v[166:167], v[164:165]
	v_mul_f64 v[166:167], v[168:169], v[164:165]
	v_fma_f64 v[162:163], -v[162:163], v[166:167], v[168:169]
	v_div_fmas_f64 v[162:163], v[162:163], v[164:165], v[166:167]
	v_div_fixup_f64 v[162:163], v[162:163], v[160:161], v[158:159]
	v_fma_f64 v[158:159], v[158:159], v[162:163], v[160:161]
	v_div_scale_f64 v[160:161], null, v[158:159], v[158:159], 1.0
	v_rcp_f64_e32 v[164:165], v[160:161]
	v_fma_f64 v[166:167], -v[160:161], v[164:165], 1.0
	v_fma_f64 v[164:165], v[164:165], v[166:167], v[164:165]
	v_fma_f64 v[166:167], -v[160:161], v[164:165], 1.0
	v_fma_f64 v[164:165], v[164:165], v[166:167], v[164:165]
	v_div_scale_f64 v[166:167], vcc_lo, 1.0, v[158:159], 1.0
	v_mul_f64 v[168:169], v[166:167], v[164:165]
	v_fma_f64 v[160:161], -v[160:161], v[168:169], v[166:167]
	v_div_fmas_f64 v[160:161], v[160:161], v[164:165], v[168:169]
	v_div_fixup_f64 v[164:165], v[160:161], v[158:159], 1.0
                                        ; implicit-def: $vgpr158_vgpr159
	v_mul_f64 v[162:163], v[162:163], v[164:165]
	v_xor_b32_e32 v165, 0x80000000, v165
.LBB77_221:
	s_andn2_saveexec_b32 s1, s1
	s_cbranch_execz .LBB77_223
; %bb.222:
	v_div_scale_f64 v[162:163], null, v[158:159], v[158:159], v[160:161]
	v_div_scale_f64 v[168:169], vcc_lo, v[160:161], v[158:159], v[160:161]
	v_rcp_f64_e32 v[164:165], v[162:163]
	v_fma_f64 v[166:167], -v[162:163], v[164:165], 1.0
	v_fma_f64 v[164:165], v[164:165], v[166:167], v[164:165]
	v_fma_f64 v[166:167], -v[162:163], v[164:165], 1.0
	v_fma_f64 v[164:165], v[164:165], v[166:167], v[164:165]
	v_mul_f64 v[166:167], v[168:169], v[164:165]
	v_fma_f64 v[162:163], -v[162:163], v[166:167], v[168:169]
	v_div_fmas_f64 v[162:163], v[162:163], v[164:165], v[166:167]
	v_div_fixup_f64 v[164:165], v[162:163], v[158:159], v[160:161]
	v_fma_f64 v[158:159], v[160:161], v[164:165], v[158:159]
	v_div_scale_f64 v[160:161], null, v[158:159], v[158:159], 1.0
	v_rcp_f64_e32 v[162:163], v[160:161]
	v_fma_f64 v[166:167], -v[160:161], v[162:163], 1.0
	v_fma_f64 v[162:163], v[162:163], v[166:167], v[162:163]
	v_fma_f64 v[166:167], -v[160:161], v[162:163], 1.0
	v_fma_f64 v[162:163], v[162:163], v[166:167], v[162:163]
	v_div_scale_f64 v[166:167], vcc_lo, 1.0, v[158:159], 1.0
	v_mul_f64 v[168:169], v[166:167], v[162:163]
	v_fma_f64 v[160:161], -v[160:161], v[168:169], v[166:167]
	v_div_fmas_f64 v[160:161], v[160:161], v[162:163], v[168:169]
	v_div_fixup_f64 v[162:163], v[160:161], v[158:159], 1.0
	v_mul_f64 v[164:165], v[164:165], -v[162:163]
.LBB77_223:
	s_or_b32 exec_lo, exec_lo, s1
	ds_write2_b64 v1, v[162:163], v[164:165] offset1:1
.LBB77_224:
	s_or_b32 exec_lo, exec_lo, s2
	s_waitcnt lgkmcnt(0)
	s_barrier
	buffer_gl0_inv
	ds_read2_b64 v[158:161], v1 offset1:1
	s_mov_b32 s1, exec_lo
	s_waitcnt lgkmcnt(0)
	buffer_store_dword v158, off, s[16:19], 0 offset:560 ; 4-byte Folded Spill
	buffer_store_dword v159, off, s[16:19], 0 offset:564 ; 4-byte Folded Spill
	;; [unrolled: 1-line block ×4, first 2 shown]
	v_cmpx_lt_u32_e32 24, v0
	s_cbranch_execz .LBB77_226
; %bb.225:
	s_clause 0x3
	buffer_load_dword v158, off, s[16:19], 0 offset:560
	buffer_load_dword v159, off, s[16:19], 0 offset:564
	;; [unrolled: 1-line block ×4, first 2 shown]
	ds_read2_b64 v[164:167], v218 offset0:50 offset1:51
	s_waitcnt vmcnt(2)
	v_mul_f64 v[162:163], v[158:159], v[60:61]
	s_waitcnt vmcnt(0)
	v_mul_f64 v[60:61], v[160:161], v[60:61]
	v_fma_f64 v[162:163], v[160:161], v[58:59], v[162:163]
	v_fma_f64 v[58:59], v[158:159], v[58:59], -v[60:61]
	s_waitcnt lgkmcnt(0)
	v_mul_f64 v[60:61], v[166:167], v[162:163]
	v_fma_f64 v[60:61], v[164:165], v[58:59], -v[60:61]
	v_mul_f64 v[164:165], v[164:165], v[162:163]
	v_add_f64 v[54:55], v[54:55], -v[60:61]
	v_fma_f64 v[164:165], v[166:167], v[58:59], v[164:165]
	v_add_f64 v[56:57], v[56:57], -v[164:165]
	ds_read2_b64 v[164:167], v218 offset0:52 offset1:53
	s_waitcnt lgkmcnt(0)
	v_mul_f64 v[60:61], v[166:167], v[162:163]
	v_fma_f64 v[60:61], v[164:165], v[58:59], -v[60:61]
	v_mul_f64 v[164:165], v[164:165], v[162:163]
	v_add_f64 v[50:51], v[50:51], -v[60:61]
	v_fma_f64 v[164:165], v[166:167], v[58:59], v[164:165]
	v_add_f64 v[52:53], v[52:53], -v[164:165]
	ds_read2_b64 v[164:167], v218 offset0:54 offset1:55
	;; [unrolled: 8-line block ×13, first 2 shown]
	s_waitcnt lgkmcnt(0)
	v_mul_f64 v[60:61], v[166:167], v[162:163]
	v_fma_f64 v[60:61], v[164:165], v[58:59], -v[60:61]
	v_mul_f64 v[164:165], v[164:165], v[162:163]
	v_add_f64 v[2:3], v[2:3], -v[60:61]
	v_fma_f64 v[164:165], v[166:167], v[58:59], v[164:165]
	v_mov_b32_e32 v60, v162
	v_mov_b32_e32 v61, v163
	v_add_f64 v[4:5], v[4:5], -v[164:165]
.LBB77_226:
	s_or_b32 exec_lo, exec_lo, s1
	s_mov_b32 s2, exec_lo
	s_waitcnt_vscnt null, 0x0
	s_barrier
	buffer_gl0_inv
	v_cmpx_eq_u32_e32 25, v0
	s_cbranch_execz .LBB77_233
; %bb.227:
	ds_write2_b64 v1, v[54:55], v[56:57] offset1:1
	ds_write2_b64 v218, v[50:51], v[52:53] offset0:52 offset1:53
	ds_write2_b64 v218, v[46:47], v[48:49] offset0:54 offset1:55
	ds_write2_b64 v218, v[42:43], v[44:45] offset0:56 offset1:57
	ds_write2_b64 v218, v[38:39], v[40:41] offset0:58 offset1:59
	ds_write2_b64 v218, v[34:35], v[36:37] offset0:60 offset1:61
	ds_write2_b64 v218, v[30:31], v[32:33] offset0:62 offset1:63
	ds_write2_b64 v218, v[26:27], v[28:29] offset0:64 offset1:65
	ds_write2_b64 v218, v[22:23], v[24:25] offset0:66 offset1:67
	ds_write2_b64 v218, v[18:19], v[20:21] offset0:68 offset1:69
	ds_write2_b64 v218, v[14:15], v[16:17] offset0:70 offset1:71
	ds_write2_b64 v218, v[10:11], v[12:13] offset0:72 offset1:73
	ds_write2_b64 v218, v[6:7], v[8:9] offset0:74 offset1:75
	ds_write2_b64 v218, v[2:3], v[4:5] offset0:76 offset1:77
	ds_read2_b64 v[162:165], v1 offset1:1
	s_waitcnt lgkmcnt(0)
	v_cmp_neq_f64_e32 vcc_lo, 0, v[162:163]
	v_cmp_neq_f64_e64 s1, 0, v[164:165]
	s_or_b32 s1, vcc_lo, s1
	s_and_b32 exec_lo, exec_lo, s1
	s_cbranch_execz .LBB77_233
; %bb.228:
	v_cmp_ngt_f64_e64 s1, |v[162:163]|, |v[164:165]|
                                        ; implicit-def: $vgpr166_vgpr167
	s_and_saveexec_b32 s3, s1
	s_xor_b32 s1, exec_lo, s3
                                        ; implicit-def: $vgpr168_vgpr169
	s_cbranch_execz .LBB77_230
; %bb.229:
	v_div_scale_f64 v[166:167], null, v[164:165], v[164:165], v[162:163]
	v_div_scale_f64 v[172:173], vcc_lo, v[162:163], v[164:165], v[162:163]
	v_rcp_f64_e32 v[168:169], v[166:167]
	v_fma_f64 v[170:171], -v[166:167], v[168:169], 1.0
	v_fma_f64 v[168:169], v[168:169], v[170:171], v[168:169]
	v_fma_f64 v[170:171], -v[166:167], v[168:169], 1.0
	v_fma_f64 v[168:169], v[168:169], v[170:171], v[168:169]
	v_mul_f64 v[170:171], v[172:173], v[168:169]
	v_fma_f64 v[166:167], -v[166:167], v[170:171], v[172:173]
	v_div_fmas_f64 v[166:167], v[166:167], v[168:169], v[170:171]
	v_div_fixup_f64 v[166:167], v[166:167], v[164:165], v[162:163]
	v_fma_f64 v[162:163], v[162:163], v[166:167], v[164:165]
	v_div_scale_f64 v[164:165], null, v[162:163], v[162:163], 1.0
	v_rcp_f64_e32 v[168:169], v[164:165]
	v_fma_f64 v[170:171], -v[164:165], v[168:169], 1.0
	v_fma_f64 v[168:169], v[168:169], v[170:171], v[168:169]
	v_fma_f64 v[170:171], -v[164:165], v[168:169], 1.0
	v_fma_f64 v[168:169], v[168:169], v[170:171], v[168:169]
	v_div_scale_f64 v[170:171], vcc_lo, 1.0, v[162:163], 1.0
	v_mul_f64 v[172:173], v[170:171], v[168:169]
	v_fma_f64 v[164:165], -v[164:165], v[172:173], v[170:171]
	v_div_fmas_f64 v[164:165], v[164:165], v[168:169], v[172:173]
	v_div_fixup_f64 v[168:169], v[164:165], v[162:163], 1.0
                                        ; implicit-def: $vgpr162_vgpr163
	v_mul_f64 v[166:167], v[166:167], v[168:169]
	v_xor_b32_e32 v169, 0x80000000, v169
.LBB77_230:
	s_andn2_saveexec_b32 s1, s1
	s_cbranch_execz .LBB77_232
; %bb.231:
	v_div_scale_f64 v[166:167], null, v[162:163], v[162:163], v[164:165]
	v_div_scale_f64 v[172:173], vcc_lo, v[164:165], v[162:163], v[164:165]
	v_rcp_f64_e32 v[168:169], v[166:167]
	v_fma_f64 v[170:171], -v[166:167], v[168:169], 1.0
	v_fma_f64 v[168:169], v[168:169], v[170:171], v[168:169]
	v_fma_f64 v[170:171], -v[166:167], v[168:169], 1.0
	v_fma_f64 v[168:169], v[168:169], v[170:171], v[168:169]
	v_mul_f64 v[170:171], v[172:173], v[168:169]
	v_fma_f64 v[166:167], -v[166:167], v[170:171], v[172:173]
	v_div_fmas_f64 v[166:167], v[166:167], v[168:169], v[170:171]
	v_div_fixup_f64 v[168:169], v[166:167], v[162:163], v[164:165]
	v_fma_f64 v[162:163], v[164:165], v[168:169], v[162:163]
	v_div_scale_f64 v[164:165], null, v[162:163], v[162:163], 1.0
	v_rcp_f64_e32 v[166:167], v[164:165]
	v_fma_f64 v[170:171], -v[164:165], v[166:167], 1.0
	v_fma_f64 v[166:167], v[166:167], v[170:171], v[166:167]
	v_fma_f64 v[170:171], -v[164:165], v[166:167], 1.0
	v_fma_f64 v[166:167], v[166:167], v[170:171], v[166:167]
	v_div_scale_f64 v[170:171], vcc_lo, 1.0, v[162:163], 1.0
	v_mul_f64 v[172:173], v[170:171], v[166:167]
	v_fma_f64 v[164:165], -v[164:165], v[172:173], v[170:171]
	v_div_fmas_f64 v[164:165], v[164:165], v[166:167], v[172:173]
	v_div_fixup_f64 v[166:167], v[164:165], v[162:163], 1.0
	v_mul_f64 v[168:169], v[168:169], -v[166:167]
.LBB77_232:
	s_or_b32 exec_lo, exec_lo, s1
	ds_write2_b64 v1, v[166:167], v[168:169] offset1:1
.LBB77_233:
	s_or_b32 exec_lo, exec_lo, s2
	s_waitcnt lgkmcnt(0)
	s_barrier
	buffer_gl0_inv
	ds_read2_b64 v[162:165], v1 offset1:1
	s_mov_b32 s1, exec_lo
	v_cmpx_lt_u32_e32 25, v0
	s_cbranch_execz .LBB77_235
; %bb.234:
	s_waitcnt lgkmcnt(0)
	v_mul_f64 v[166:167], v[162:163], v[56:57]
	v_mul_f64 v[56:57], v[164:165], v[56:57]
	ds_read2_b64 v[168:171], v218 offset0:52 offset1:53
	v_fma_f64 v[166:167], v[164:165], v[54:55], v[166:167]
	v_fma_f64 v[54:55], v[162:163], v[54:55], -v[56:57]
	s_waitcnt lgkmcnt(0)
	v_mul_f64 v[56:57], v[170:171], v[166:167]
	v_fma_f64 v[56:57], v[168:169], v[54:55], -v[56:57]
	v_mul_f64 v[168:169], v[168:169], v[166:167]
	v_add_f64 v[50:51], v[50:51], -v[56:57]
	v_fma_f64 v[168:169], v[170:171], v[54:55], v[168:169]
	v_add_f64 v[52:53], v[52:53], -v[168:169]
	ds_read2_b64 v[168:171], v218 offset0:54 offset1:55
	s_waitcnt lgkmcnt(0)
	v_mul_f64 v[56:57], v[170:171], v[166:167]
	v_fma_f64 v[56:57], v[168:169], v[54:55], -v[56:57]
	v_mul_f64 v[168:169], v[168:169], v[166:167]
	v_add_f64 v[46:47], v[46:47], -v[56:57]
	v_fma_f64 v[168:169], v[170:171], v[54:55], v[168:169]
	v_add_f64 v[48:49], v[48:49], -v[168:169]
	ds_read2_b64 v[168:171], v218 offset0:56 offset1:57
	;; [unrolled: 8-line block ×12, first 2 shown]
	s_waitcnt lgkmcnt(0)
	v_mul_f64 v[56:57], v[170:171], v[166:167]
	v_fma_f64 v[56:57], v[168:169], v[54:55], -v[56:57]
	v_mul_f64 v[168:169], v[168:169], v[166:167]
	v_add_f64 v[2:3], v[2:3], -v[56:57]
	v_fma_f64 v[168:169], v[170:171], v[54:55], v[168:169]
	v_mov_b32_e32 v56, v166
	v_mov_b32_e32 v57, v167
	v_add_f64 v[4:5], v[4:5], -v[168:169]
.LBB77_235:
	s_or_b32 exec_lo, exec_lo, s1
	s_mov_b32 s2, exec_lo
	s_waitcnt lgkmcnt(0)
	s_barrier
	buffer_gl0_inv
	v_cmpx_eq_u32_e32 26, v0
	s_cbranch_execz .LBB77_242
; %bb.236:
	ds_write2_b64 v1, v[50:51], v[52:53] offset1:1
	ds_write2_b64 v218, v[46:47], v[48:49] offset0:54 offset1:55
	ds_write2_b64 v218, v[42:43], v[44:45] offset0:56 offset1:57
	;; [unrolled: 1-line block ×12, first 2 shown]
	ds_read2_b64 v[166:169], v1 offset1:1
	s_waitcnt lgkmcnt(0)
	v_cmp_neq_f64_e32 vcc_lo, 0, v[166:167]
	v_cmp_neq_f64_e64 s1, 0, v[168:169]
	s_or_b32 s1, vcc_lo, s1
	s_and_b32 exec_lo, exec_lo, s1
	s_cbranch_execz .LBB77_242
; %bb.237:
	v_cmp_ngt_f64_e64 s1, |v[166:167]|, |v[168:169]|
                                        ; implicit-def: $vgpr170_vgpr171
	s_and_saveexec_b32 s3, s1
	s_xor_b32 s1, exec_lo, s3
                                        ; implicit-def: $vgpr172_vgpr173
	s_cbranch_execz .LBB77_239
; %bb.238:
	v_div_scale_f64 v[170:171], null, v[168:169], v[168:169], v[166:167]
	v_div_scale_f64 v[176:177], vcc_lo, v[166:167], v[168:169], v[166:167]
	v_rcp_f64_e32 v[172:173], v[170:171]
	v_fma_f64 v[174:175], -v[170:171], v[172:173], 1.0
	v_fma_f64 v[172:173], v[172:173], v[174:175], v[172:173]
	v_fma_f64 v[174:175], -v[170:171], v[172:173], 1.0
	v_fma_f64 v[172:173], v[172:173], v[174:175], v[172:173]
	v_mul_f64 v[174:175], v[176:177], v[172:173]
	v_fma_f64 v[170:171], -v[170:171], v[174:175], v[176:177]
	v_div_fmas_f64 v[170:171], v[170:171], v[172:173], v[174:175]
	v_div_fixup_f64 v[170:171], v[170:171], v[168:169], v[166:167]
	v_fma_f64 v[166:167], v[166:167], v[170:171], v[168:169]
	v_div_scale_f64 v[168:169], null, v[166:167], v[166:167], 1.0
	v_rcp_f64_e32 v[172:173], v[168:169]
	v_fma_f64 v[174:175], -v[168:169], v[172:173], 1.0
	v_fma_f64 v[172:173], v[172:173], v[174:175], v[172:173]
	v_fma_f64 v[174:175], -v[168:169], v[172:173], 1.0
	v_fma_f64 v[172:173], v[172:173], v[174:175], v[172:173]
	v_div_scale_f64 v[174:175], vcc_lo, 1.0, v[166:167], 1.0
	v_mul_f64 v[176:177], v[174:175], v[172:173]
	v_fma_f64 v[168:169], -v[168:169], v[176:177], v[174:175]
	v_div_fmas_f64 v[168:169], v[168:169], v[172:173], v[176:177]
	v_div_fixup_f64 v[172:173], v[168:169], v[166:167], 1.0
                                        ; implicit-def: $vgpr166_vgpr167
	v_mul_f64 v[170:171], v[170:171], v[172:173]
	v_xor_b32_e32 v173, 0x80000000, v173
.LBB77_239:
	s_andn2_saveexec_b32 s1, s1
	s_cbranch_execz .LBB77_241
; %bb.240:
	v_div_scale_f64 v[170:171], null, v[166:167], v[166:167], v[168:169]
	v_div_scale_f64 v[176:177], vcc_lo, v[168:169], v[166:167], v[168:169]
	v_rcp_f64_e32 v[172:173], v[170:171]
	v_fma_f64 v[174:175], -v[170:171], v[172:173], 1.0
	v_fma_f64 v[172:173], v[172:173], v[174:175], v[172:173]
	v_fma_f64 v[174:175], -v[170:171], v[172:173], 1.0
	v_fma_f64 v[172:173], v[172:173], v[174:175], v[172:173]
	v_mul_f64 v[174:175], v[176:177], v[172:173]
	v_fma_f64 v[170:171], -v[170:171], v[174:175], v[176:177]
	v_div_fmas_f64 v[170:171], v[170:171], v[172:173], v[174:175]
	v_div_fixup_f64 v[172:173], v[170:171], v[166:167], v[168:169]
	v_fma_f64 v[166:167], v[168:169], v[172:173], v[166:167]
	v_div_scale_f64 v[168:169], null, v[166:167], v[166:167], 1.0
	v_rcp_f64_e32 v[170:171], v[168:169]
	v_fma_f64 v[174:175], -v[168:169], v[170:171], 1.0
	v_fma_f64 v[170:171], v[170:171], v[174:175], v[170:171]
	v_fma_f64 v[174:175], -v[168:169], v[170:171], 1.0
	v_fma_f64 v[170:171], v[170:171], v[174:175], v[170:171]
	v_div_scale_f64 v[174:175], vcc_lo, 1.0, v[166:167], 1.0
	v_mul_f64 v[176:177], v[174:175], v[170:171]
	v_fma_f64 v[168:169], -v[168:169], v[176:177], v[174:175]
	v_div_fmas_f64 v[168:169], v[168:169], v[170:171], v[176:177]
	v_div_fixup_f64 v[170:171], v[168:169], v[166:167], 1.0
	v_mul_f64 v[172:173], v[172:173], -v[170:171]
.LBB77_241:
	s_or_b32 exec_lo, exec_lo, s1
	ds_write2_b64 v1, v[170:171], v[172:173] offset1:1
.LBB77_242:
	s_or_b32 exec_lo, exec_lo, s2
	s_waitcnt lgkmcnt(0)
	s_barrier
	buffer_gl0_inv
	ds_read2_b64 v[166:169], v1 offset1:1
	s_mov_b32 s1, exec_lo
	v_cmpx_lt_u32_e32 26, v0
	s_cbranch_execz .LBB77_244
; %bb.243:
	s_waitcnt lgkmcnt(0)
	v_mul_f64 v[170:171], v[166:167], v[52:53]
	v_mul_f64 v[52:53], v[168:169], v[52:53]
	ds_read2_b64 v[172:175], v218 offset0:54 offset1:55
	v_fma_f64 v[170:171], v[168:169], v[50:51], v[170:171]
	v_fma_f64 v[50:51], v[166:167], v[50:51], -v[52:53]
	s_waitcnt lgkmcnt(0)
	v_mul_f64 v[52:53], v[174:175], v[170:171]
	v_fma_f64 v[52:53], v[172:173], v[50:51], -v[52:53]
	v_mul_f64 v[172:173], v[172:173], v[170:171]
	v_add_f64 v[46:47], v[46:47], -v[52:53]
	v_fma_f64 v[172:173], v[174:175], v[50:51], v[172:173]
	v_add_f64 v[48:49], v[48:49], -v[172:173]
	ds_read2_b64 v[172:175], v218 offset0:56 offset1:57
	s_waitcnt lgkmcnt(0)
	v_mul_f64 v[52:53], v[174:175], v[170:171]
	v_fma_f64 v[52:53], v[172:173], v[50:51], -v[52:53]
	v_mul_f64 v[172:173], v[172:173], v[170:171]
	v_add_f64 v[42:43], v[42:43], -v[52:53]
	v_fma_f64 v[172:173], v[174:175], v[50:51], v[172:173]
	v_add_f64 v[44:45], v[44:45], -v[172:173]
	ds_read2_b64 v[172:175], v218 offset0:58 offset1:59
	;; [unrolled: 8-line block ×11, first 2 shown]
	s_waitcnt lgkmcnt(0)
	v_mul_f64 v[52:53], v[174:175], v[170:171]
	v_fma_f64 v[52:53], v[172:173], v[50:51], -v[52:53]
	v_mul_f64 v[172:173], v[172:173], v[170:171]
	v_add_f64 v[2:3], v[2:3], -v[52:53]
	v_fma_f64 v[172:173], v[174:175], v[50:51], v[172:173]
	v_mov_b32_e32 v52, v170
	v_mov_b32_e32 v53, v171
	v_add_f64 v[4:5], v[4:5], -v[172:173]
.LBB77_244:
	s_or_b32 exec_lo, exec_lo, s1
	s_mov_b32 s2, exec_lo
	s_waitcnt lgkmcnt(0)
	s_barrier
	buffer_gl0_inv
	v_cmpx_eq_u32_e32 27, v0
	s_cbranch_execz .LBB77_251
; %bb.245:
	ds_write2_b64 v1, v[46:47], v[48:49] offset1:1
	ds_write2_b64 v218, v[42:43], v[44:45] offset0:56 offset1:57
	ds_write2_b64 v218, v[38:39], v[40:41] offset0:58 offset1:59
	;; [unrolled: 1-line block ×11, first 2 shown]
	ds_read2_b64 v[170:173], v1 offset1:1
	s_waitcnt lgkmcnt(0)
	v_cmp_neq_f64_e32 vcc_lo, 0, v[170:171]
	v_cmp_neq_f64_e64 s1, 0, v[172:173]
	s_or_b32 s1, vcc_lo, s1
	s_and_b32 exec_lo, exec_lo, s1
	s_cbranch_execz .LBB77_251
; %bb.246:
	v_cmp_ngt_f64_e64 s1, |v[170:171]|, |v[172:173]|
                                        ; implicit-def: $vgpr174_vgpr175
	s_and_saveexec_b32 s3, s1
	s_xor_b32 s1, exec_lo, s3
                                        ; implicit-def: $vgpr176_vgpr177
	s_cbranch_execz .LBB77_248
; %bb.247:
	v_div_scale_f64 v[174:175], null, v[172:173], v[172:173], v[170:171]
	v_div_scale_f64 v[180:181], vcc_lo, v[170:171], v[172:173], v[170:171]
	v_rcp_f64_e32 v[176:177], v[174:175]
	v_fma_f64 v[178:179], -v[174:175], v[176:177], 1.0
	v_fma_f64 v[176:177], v[176:177], v[178:179], v[176:177]
	v_fma_f64 v[178:179], -v[174:175], v[176:177], 1.0
	v_fma_f64 v[176:177], v[176:177], v[178:179], v[176:177]
	v_mul_f64 v[178:179], v[180:181], v[176:177]
	v_fma_f64 v[174:175], -v[174:175], v[178:179], v[180:181]
	v_div_fmas_f64 v[174:175], v[174:175], v[176:177], v[178:179]
	v_div_fixup_f64 v[174:175], v[174:175], v[172:173], v[170:171]
	v_fma_f64 v[170:171], v[170:171], v[174:175], v[172:173]
	v_div_scale_f64 v[172:173], null, v[170:171], v[170:171], 1.0
	v_rcp_f64_e32 v[176:177], v[172:173]
	v_fma_f64 v[178:179], -v[172:173], v[176:177], 1.0
	v_fma_f64 v[176:177], v[176:177], v[178:179], v[176:177]
	v_fma_f64 v[178:179], -v[172:173], v[176:177], 1.0
	v_fma_f64 v[176:177], v[176:177], v[178:179], v[176:177]
	v_div_scale_f64 v[178:179], vcc_lo, 1.0, v[170:171], 1.0
	v_mul_f64 v[180:181], v[178:179], v[176:177]
	v_fma_f64 v[172:173], -v[172:173], v[180:181], v[178:179]
	v_div_fmas_f64 v[172:173], v[172:173], v[176:177], v[180:181]
	v_div_fixup_f64 v[176:177], v[172:173], v[170:171], 1.0
                                        ; implicit-def: $vgpr170_vgpr171
	v_mul_f64 v[174:175], v[174:175], v[176:177]
	v_xor_b32_e32 v177, 0x80000000, v177
.LBB77_248:
	s_andn2_saveexec_b32 s1, s1
	s_cbranch_execz .LBB77_250
; %bb.249:
	v_div_scale_f64 v[174:175], null, v[170:171], v[170:171], v[172:173]
	v_div_scale_f64 v[180:181], vcc_lo, v[172:173], v[170:171], v[172:173]
	v_rcp_f64_e32 v[176:177], v[174:175]
	v_fma_f64 v[178:179], -v[174:175], v[176:177], 1.0
	v_fma_f64 v[176:177], v[176:177], v[178:179], v[176:177]
	v_fma_f64 v[178:179], -v[174:175], v[176:177], 1.0
	v_fma_f64 v[176:177], v[176:177], v[178:179], v[176:177]
	v_mul_f64 v[178:179], v[180:181], v[176:177]
	v_fma_f64 v[174:175], -v[174:175], v[178:179], v[180:181]
	v_div_fmas_f64 v[174:175], v[174:175], v[176:177], v[178:179]
	v_div_fixup_f64 v[176:177], v[174:175], v[170:171], v[172:173]
	v_fma_f64 v[170:171], v[172:173], v[176:177], v[170:171]
	v_div_scale_f64 v[172:173], null, v[170:171], v[170:171], 1.0
	v_rcp_f64_e32 v[174:175], v[172:173]
	v_fma_f64 v[178:179], -v[172:173], v[174:175], 1.0
	v_fma_f64 v[174:175], v[174:175], v[178:179], v[174:175]
	v_fma_f64 v[178:179], -v[172:173], v[174:175], 1.0
	v_fma_f64 v[174:175], v[174:175], v[178:179], v[174:175]
	v_div_scale_f64 v[178:179], vcc_lo, 1.0, v[170:171], 1.0
	v_mul_f64 v[180:181], v[178:179], v[174:175]
	v_fma_f64 v[172:173], -v[172:173], v[180:181], v[178:179]
	v_div_fmas_f64 v[172:173], v[172:173], v[174:175], v[180:181]
	v_div_fixup_f64 v[174:175], v[172:173], v[170:171], 1.0
	v_mul_f64 v[176:177], v[176:177], -v[174:175]
.LBB77_250:
	s_or_b32 exec_lo, exec_lo, s1
	ds_write2_b64 v1, v[174:175], v[176:177] offset1:1
.LBB77_251:
	s_or_b32 exec_lo, exec_lo, s2
	s_waitcnt lgkmcnt(0)
	s_barrier
	buffer_gl0_inv
	ds_read2_b64 v[170:173], v1 offset1:1
	s_mov_b32 s1, exec_lo
	v_cmpx_lt_u32_e32 27, v0
	s_cbranch_execz .LBB77_253
; %bb.252:
	s_waitcnt lgkmcnt(0)
	v_mul_f64 v[174:175], v[170:171], v[48:49]
	v_mul_f64 v[48:49], v[172:173], v[48:49]
	ds_read2_b64 v[176:179], v218 offset0:56 offset1:57
	v_fma_f64 v[174:175], v[172:173], v[46:47], v[174:175]
	v_fma_f64 v[46:47], v[170:171], v[46:47], -v[48:49]
	s_waitcnt lgkmcnt(0)
	v_mul_f64 v[48:49], v[178:179], v[174:175]
	v_fma_f64 v[48:49], v[176:177], v[46:47], -v[48:49]
	v_mul_f64 v[176:177], v[176:177], v[174:175]
	v_add_f64 v[42:43], v[42:43], -v[48:49]
	v_fma_f64 v[176:177], v[178:179], v[46:47], v[176:177]
	v_add_f64 v[44:45], v[44:45], -v[176:177]
	ds_read2_b64 v[176:179], v218 offset0:58 offset1:59
	s_waitcnt lgkmcnt(0)
	v_mul_f64 v[48:49], v[178:179], v[174:175]
	v_fma_f64 v[48:49], v[176:177], v[46:47], -v[48:49]
	v_mul_f64 v[176:177], v[176:177], v[174:175]
	v_add_f64 v[38:39], v[38:39], -v[48:49]
	v_fma_f64 v[176:177], v[178:179], v[46:47], v[176:177]
	v_add_f64 v[40:41], v[40:41], -v[176:177]
	ds_read2_b64 v[176:179], v218 offset0:60 offset1:61
	;; [unrolled: 8-line block ×10, first 2 shown]
	s_waitcnt lgkmcnt(0)
	v_mul_f64 v[48:49], v[178:179], v[174:175]
	v_fma_f64 v[48:49], v[176:177], v[46:47], -v[48:49]
	v_mul_f64 v[176:177], v[176:177], v[174:175]
	v_add_f64 v[2:3], v[2:3], -v[48:49]
	v_fma_f64 v[176:177], v[178:179], v[46:47], v[176:177]
	v_mov_b32_e32 v48, v174
	v_mov_b32_e32 v49, v175
	v_add_f64 v[4:5], v[4:5], -v[176:177]
.LBB77_253:
	s_or_b32 exec_lo, exec_lo, s1
	s_mov_b32 s2, exec_lo
	s_waitcnt lgkmcnt(0)
	s_barrier
	buffer_gl0_inv
	v_cmpx_eq_u32_e32 28, v0
	s_cbranch_execz .LBB77_260
; %bb.254:
	ds_write2_b64 v1, v[42:43], v[44:45] offset1:1
	ds_write2_b64 v218, v[38:39], v[40:41] offset0:58 offset1:59
	ds_write2_b64 v218, v[34:35], v[36:37] offset0:60 offset1:61
	;; [unrolled: 1-line block ×10, first 2 shown]
	ds_read2_b64 v[174:177], v1 offset1:1
	s_waitcnt lgkmcnt(0)
	v_cmp_neq_f64_e32 vcc_lo, 0, v[174:175]
	v_cmp_neq_f64_e64 s1, 0, v[176:177]
	s_or_b32 s1, vcc_lo, s1
	s_and_b32 exec_lo, exec_lo, s1
	s_cbranch_execz .LBB77_260
; %bb.255:
	v_cmp_ngt_f64_e64 s1, |v[174:175]|, |v[176:177]|
                                        ; implicit-def: $vgpr178_vgpr179
	s_and_saveexec_b32 s3, s1
	s_xor_b32 s1, exec_lo, s3
                                        ; implicit-def: $vgpr180_vgpr181
	s_cbranch_execz .LBB77_257
; %bb.256:
	v_div_scale_f64 v[178:179], null, v[176:177], v[176:177], v[174:175]
	v_div_scale_f64 v[184:185], vcc_lo, v[174:175], v[176:177], v[174:175]
	v_rcp_f64_e32 v[180:181], v[178:179]
	v_fma_f64 v[182:183], -v[178:179], v[180:181], 1.0
	v_fma_f64 v[180:181], v[180:181], v[182:183], v[180:181]
	v_fma_f64 v[182:183], -v[178:179], v[180:181], 1.0
	v_fma_f64 v[180:181], v[180:181], v[182:183], v[180:181]
	v_mul_f64 v[182:183], v[184:185], v[180:181]
	v_fma_f64 v[178:179], -v[178:179], v[182:183], v[184:185]
	v_div_fmas_f64 v[178:179], v[178:179], v[180:181], v[182:183]
	v_div_fixup_f64 v[178:179], v[178:179], v[176:177], v[174:175]
	v_fma_f64 v[174:175], v[174:175], v[178:179], v[176:177]
	v_div_scale_f64 v[176:177], null, v[174:175], v[174:175], 1.0
	v_rcp_f64_e32 v[180:181], v[176:177]
	v_fma_f64 v[182:183], -v[176:177], v[180:181], 1.0
	v_fma_f64 v[180:181], v[180:181], v[182:183], v[180:181]
	v_fma_f64 v[182:183], -v[176:177], v[180:181], 1.0
	v_fma_f64 v[180:181], v[180:181], v[182:183], v[180:181]
	v_div_scale_f64 v[182:183], vcc_lo, 1.0, v[174:175], 1.0
	v_mul_f64 v[184:185], v[182:183], v[180:181]
	v_fma_f64 v[176:177], -v[176:177], v[184:185], v[182:183]
	v_div_fmas_f64 v[176:177], v[176:177], v[180:181], v[184:185]
	v_div_fixup_f64 v[180:181], v[176:177], v[174:175], 1.0
                                        ; implicit-def: $vgpr174_vgpr175
	v_mul_f64 v[178:179], v[178:179], v[180:181]
	v_xor_b32_e32 v181, 0x80000000, v181
.LBB77_257:
	s_andn2_saveexec_b32 s1, s1
	s_cbranch_execz .LBB77_259
; %bb.258:
	v_div_scale_f64 v[178:179], null, v[174:175], v[174:175], v[176:177]
	v_div_scale_f64 v[184:185], vcc_lo, v[176:177], v[174:175], v[176:177]
	v_rcp_f64_e32 v[180:181], v[178:179]
	v_fma_f64 v[182:183], -v[178:179], v[180:181], 1.0
	v_fma_f64 v[180:181], v[180:181], v[182:183], v[180:181]
	v_fma_f64 v[182:183], -v[178:179], v[180:181], 1.0
	v_fma_f64 v[180:181], v[180:181], v[182:183], v[180:181]
	v_mul_f64 v[182:183], v[184:185], v[180:181]
	v_fma_f64 v[178:179], -v[178:179], v[182:183], v[184:185]
	v_div_fmas_f64 v[178:179], v[178:179], v[180:181], v[182:183]
	v_div_fixup_f64 v[180:181], v[178:179], v[174:175], v[176:177]
	v_fma_f64 v[174:175], v[176:177], v[180:181], v[174:175]
	v_div_scale_f64 v[176:177], null, v[174:175], v[174:175], 1.0
	v_rcp_f64_e32 v[178:179], v[176:177]
	v_fma_f64 v[182:183], -v[176:177], v[178:179], 1.0
	v_fma_f64 v[178:179], v[178:179], v[182:183], v[178:179]
	v_fma_f64 v[182:183], -v[176:177], v[178:179], 1.0
	v_fma_f64 v[178:179], v[178:179], v[182:183], v[178:179]
	v_div_scale_f64 v[182:183], vcc_lo, 1.0, v[174:175], 1.0
	v_mul_f64 v[184:185], v[182:183], v[178:179]
	v_fma_f64 v[176:177], -v[176:177], v[184:185], v[182:183]
	v_div_fmas_f64 v[176:177], v[176:177], v[178:179], v[184:185]
	v_div_fixup_f64 v[178:179], v[176:177], v[174:175], 1.0
	v_mul_f64 v[180:181], v[180:181], -v[178:179]
.LBB77_259:
	s_or_b32 exec_lo, exec_lo, s1
	ds_write2_b64 v1, v[178:179], v[180:181] offset1:1
.LBB77_260:
	s_or_b32 exec_lo, exec_lo, s2
	s_waitcnt lgkmcnt(0)
	s_barrier
	buffer_gl0_inv
	ds_read2_b64 v[174:177], v1 offset1:1
	s_mov_b32 s1, exec_lo
	v_cmpx_lt_u32_e32 28, v0
	s_cbranch_execz .LBB77_262
; %bb.261:
	s_waitcnt lgkmcnt(0)
	v_mul_f64 v[178:179], v[174:175], v[44:45]
	v_mul_f64 v[44:45], v[176:177], v[44:45]
	v_fma_f64 v[182:183], v[176:177], v[42:43], v[178:179]
	ds_read2_b64 v[178:181], v218 offset0:58 offset1:59
	v_fma_f64 v[42:43], v[174:175], v[42:43], -v[44:45]
	s_waitcnt lgkmcnt(0)
	v_mul_f64 v[44:45], v[180:181], v[182:183]
	v_fma_f64 v[44:45], v[178:179], v[42:43], -v[44:45]
	v_mul_f64 v[178:179], v[178:179], v[182:183]
	v_add_f64 v[38:39], v[38:39], -v[44:45]
	v_fma_f64 v[178:179], v[180:181], v[42:43], v[178:179]
	v_add_f64 v[40:41], v[40:41], -v[178:179]
	ds_read2_b64 v[178:181], v218 offset0:60 offset1:61
	s_waitcnt lgkmcnt(0)
	v_mul_f64 v[44:45], v[180:181], v[182:183]
	v_fma_f64 v[44:45], v[178:179], v[42:43], -v[44:45]
	v_mul_f64 v[178:179], v[178:179], v[182:183]
	v_add_f64 v[34:35], v[34:35], -v[44:45]
	v_fma_f64 v[178:179], v[180:181], v[42:43], v[178:179]
	v_add_f64 v[36:37], v[36:37], -v[178:179]
	ds_read2_b64 v[178:181], v218 offset0:62 offset1:63
	;; [unrolled: 8-line block ×9, first 2 shown]
	s_waitcnt lgkmcnt(0)
	v_mul_f64 v[44:45], v[180:181], v[182:183]
	v_fma_f64 v[44:45], v[178:179], v[42:43], -v[44:45]
	v_mul_f64 v[178:179], v[178:179], v[182:183]
	v_add_f64 v[2:3], v[2:3], -v[44:45]
	v_fma_f64 v[178:179], v[180:181], v[42:43], v[178:179]
	v_mov_b32_e32 v44, v182
	v_mov_b32_e32 v45, v183
	v_add_f64 v[4:5], v[4:5], -v[178:179]
.LBB77_262:
	s_or_b32 exec_lo, exec_lo, s1
	s_mov_b32 s2, exec_lo
	s_waitcnt lgkmcnt(0)
	s_barrier
	buffer_gl0_inv
	v_cmpx_eq_u32_e32 29, v0
	s_cbranch_execz .LBB77_269
; %bb.263:
	ds_write2_b64 v1, v[38:39], v[40:41] offset1:1
	ds_write2_b64 v218, v[34:35], v[36:37] offset0:60 offset1:61
	ds_write2_b64 v218, v[30:31], v[32:33] offset0:62 offset1:63
	ds_write2_b64 v218, v[26:27], v[28:29] offset0:64 offset1:65
	ds_write2_b64 v218, v[22:23], v[24:25] offset0:66 offset1:67
	ds_write2_b64 v218, v[18:19], v[20:21] offset0:68 offset1:69
	ds_write2_b64 v218, v[14:15], v[16:17] offset0:70 offset1:71
	ds_write2_b64 v218, v[10:11], v[12:13] offset0:72 offset1:73
	ds_write2_b64 v218, v[6:7], v[8:9] offset0:74 offset1:75
	ds_write2_b64 v218, v[2:3], v[4:5] offset0:76 offset1:77
	ds_read2_b64 v[178:181], v1 offset1:1
	s_waitcnt lgkmcnt(0)
	v_cmp_neq_f64_e32 vcc_lo, 0, v[178:179]
	v_cmp_neq_f64_e64 s1, 0, v[180:181]
	s_or_b32 s1, vcc_lo, s1
	s_and_b32 exec_lo, exec_lo, s1
	s_cbranch_execz .LBB77_269
; %bb.264:
	v_cmp_ngt_f64_e64 s1, |v[178:179]|, |v[180:181]|
                                        ; implicit-def: $vgpr182_vgpr183
	s_and_saveexec_b32 s3, s1
	s_xor_b32 s1, exec_lo, s3
                                        ; implicit-def: $vgpr184_vgpr185
	s_cbranch_execz .LBB77_266
; %bb.265:
	v_div_scale_f64 v[182:183], null, v[180:181], v[180:181], v[178:179]
	v_div_scale_f64 v[188:189], vcc_lo, v[178:179], v[180:181], v[178:179]
	v_rcp_f64_e32 v[184:185], v[182:183]
	v_fma_f64 v[186:187], -v[182:183], v[184:185], 1.0
	v_fma_f64 v[184:185], v[184:185], v[186:187], v[184:185]
	v_fma_f64 v[186:187], -v[182:183], v[184:185], 1.0
	v_fma_f64 v[184:185], v[184:185], v[186:187], v[184:185]
	v_mul_f64 v[186:187], v[188:189], v[184:185]
	v_fma_f64 v[182:183], -v[182:183], v[186:187], v[188:189]
	v_div_fmas_f64 v[182:183], v[182:183], v[184:185], v[186:187]
	v_div_fixup_f64 v[182:183], v[182:183], v[180:181], v[178:179]
	v_fma_f64 v[178:179], v[178:179], v[182:183], v[180:181]
	v_div_scale_f64 v[180:181], null, v[178:179], v[178:179], 1.0
	v_rcp_f64_e32 v[184:185], v[180:181]
	v_fma_f64 v[186:187], -v[180:181], v[184:185], 1.0
	v_fma_f64 v[184:185], v[184:185], v[186:187], v[184:185]
	v_fma_f64 v[186:187], -v[180:181], v[184:185], 1.0
	v_fma_f64 v[184:185], v[184:185], v[186:187], v[184:185]
	v_div_scale_f64 v[186:187], vcc_lo, 1.0, v[178:179], 1.0
	v_mul_f64 v[188:189], v[186:187], v[184:185]
	v_fma_f64 v[180:181], -v[180:181], v[188:189], v[186:187]
	v_div_fmas_f64 v[180:181], v[180:181], v[184:185], v[188:189]
	v_div_fixup_f64 v[184:185], v[180:181], v[178:179], 1.0
                                        ; implicit-def: $vgpr178_vgpr179
	v_mul_f64 v[182:183], v[182:183], v[184:185]
	v_xor_b32_e32 v185, 0x80000000, v185
.LBB77_266:
	s_andn2_saveexec_b32 s1, s1
	s_cbranch_execz .LBB77_268
; %bb.267:
	v_div_scale_f64 v[182:183], null, v[178:179], v[178:179], v[180:181]
	v_div_scale_f64 v[188:189], vcc_lo, v[180:181], v[178:179], v[180:181]
	v_rcp_f64_e32 v[184:185], v[182:183]
	v_fma_f64 v[186:187], -v[182:183], v[184:185], 1.0
	v_fma_f64 v[184:185], v[184:185], v[186:187], v[184:185]
	v_fma_f64 v[186:187], -v[182:183], v[184:185], 1.0
	v_fma_f64 v[184:185], v[184:185], v[186:187], v[184:185]
	v_mul_f64 v[186:187], v[188:189], v[184:185]
	v_fma_f64 v[182:183], -v[182:183], v[186:187], v[188:189]
	v_div_fmas_f64 v[182:183], v[182:183], v[184:185], v[186:187]
	v_div_fixup_f64 v[184:185], v[182:183], v[178:179], v[180:181]
	v_fma_f64 v[178:179], v[180:181], v[184:185], v[178:179]
	v_div_scale_f64 v[180:181], null, v[178:179], v[178:179], 1.0
	v_rcp_f64_e32 v[182:183], v[180:181]
	v_fma_f64 v[186:187], -v[180:181], v[182:183], 1.0
	v_fma_f64 v[182:183], v[182:183], v[186:187], v[182:183]
	v_fma_f64 v[186:187], -v[180:181], v[182:183], 1.0
	v_fma_f64 v[182:183], v[182:183], v[186:187], v[182:183]
	v_div_scale_f64 v[186:187], vcc_lo, 1.0, v[178:179], 1.0
	v_mul_f64 v[188:189], v[186:187], v[182:183]
	v_fma_f64 v[180:181], -v[180:181], v[188:189], v[186:187]
	v_div_fmas_f64 v[180:181], v[180:181], v[182:183], v[188:189]
	v_div_fixup_f64 v[182:183], v[180:181], v[178:179], 1.0
	v_mul_f64 v[184:185], v[184:185], -v[182:183]
.LBB77_268:
	s_or_b32 exec_lo, exec_lo, s1
	ds_write2_b64 v1, v[182:183], v[184:185] offset1:1
.LBB77_269:
	s_or_b32 exec_lo, exec_lo, s2
	s_waitcnt lgkmcnt(0)
	s_barrier
	buffer_gl0_inv
	ds_read2_b64 v[178:181], v1 offset1:1
	s_mov_b32 s1, exec_lo
	v_cmpx_lt_u32_e32 29, v0
	s_cbranch_execz .LBB77_271
; %bb.270:
	s_waitcnt lgkmcnt(0)
	v_mul_f64 v[182:183], v[178:179], v[40:41]
	v_mul_f64 v[40:41], v[180:181], v[40:41]
	v_fma_f64 v[186:187], v[180:181], v[38:39], v[182:183]
	ds_read2_b64 v[182:185], v218 offset0:60 offset1:61
	v_fma_f64 v[38:39], v[178:179], v[38:39], -v[40:41]
	s_waitcnt lgkmcnt(0)
	v_mul_f64 v[40:41], v[184:185], v[186:187]
	v_fma_f64 v[40:41], v[182:183], v[38:39], -v[40:41]
	v_mul_f64 v[182:183], v[182:183], v[186:187]
	v_add_f64 v[34:35], v[34:35], -v[40:41]
	v_fma_f64 v[182:183], v[184:185], v[38:39], v[182:183]
	v_add_f64 v[36:37], v[36:37], -v[182:183]
	ds_read2_b64 v[182:185], v218 offset0:62 offset1:63
	s_waitcnt lgkmcnt(0)
	v_mul_f64 v[40:41], v[184:185], v[186:187]
	v_fma_f64 v[40:41], v[182:183], v[38:39], -v[40:41]
	v_mul_f64 v[182:183], v[182:183], v[186:187]
	v_add_f64 v[30:31], v[30:31], -v[40:41]
	v_fma_f64 v[182:183], v[184:185], v[38:39], v[182:183]
	v_add_f64 v[32:33], v[32:33], -v[182:183]
	ds_read2_b64 v[182:185], v218 offset0:64 offset1:65
	;; [unrolled: 8-line block ×8, first 2 shown]
	s_waitcnt lgkmcnt(0)
	v_mul_f64 v[40:41], v[184:185], v[186:187]
	v_fma_f64 v[40:41], v[182:183], v[38:39], -v[40:41]
	v_mul_f64 v[182:183], v[182:183], v[186:187]
	v_add_f64 v[2:3], v[2:3], -v[40:41]
	v_fma_f64 v[182:183], v[184:185], v[38:39], v[182:183]
	v_mov_b32_e32 v40, v186
	v_mov_b32_e32 v41, v187
	v_add_f64 v[4:5], v[4:5], -v[182:183]
.LBB77_271:
	s_or_b32 exec_lo, exec_lo, s1
	s_mov_b32 s2, exec_lo
	s_waitcnt lgkmcnt(0)
	s_barrier
	buffer_gl0_inv
	v_cmpx_eq_u32_e32 30, v0
	s_cbranch_execz .LBB77_278
; %bb.272:
	ds_write2_b64 v1, v[34:35], v[36:37] offset1:1
	ds_write2_b64 v218, v[30:31], v[32:33] offset0:62 offset1:63
	ds_write2_b64 v218, v[26:27], v[28:29] offset0:64 offset1:65
	;; [unrolled: 1-line block ×8, first 2 shown]
	ds_read2_b64 v[182:185], v1 offset1:1
	s_waitcnt lgkmcnt(0)
	v_cmp_neq_f64_e32 vcc_lo, 0, v[182:183]
	v_cmp_neq_f64_e64 s1, 0, v[184:185]
	s_or_b32 s1, vcc_lo, s1
	s_and_b32 exec_lo, exec_lo, s1
	s_cbranch_execz .LBB77_278
; %bb.273:
	v_cmp_ngt_f64_e64 s1, |v[182:183]|, |v[184:185]|
                                        ; implicit-def: $vgpr186_vgpr187
	s_and_saveexec_b32 s3, s1
	s_xor_b32 s1, exec_lo, s3
                                        ; implicit-def: $vgpr188_vgpr189
	s_cbranch_execz .LBB77_275
; %bb.274:
	v_div_scale_f64 v[186:187], null, v[184:185], v[184:185], v[182:183]
	v_div_scale_f64 v[192:193], vcc_lo, v[182:183], v[184:185], v[182:183]
	v_rcp_f64_e32 v[188:189], v[186:187]
	v_fma_f64 v[190:191], -v[186:187], v[188:189], 1.0
	v_fma_f64 v[188:189], v[188:189], v[190:191], v[188:189]
	v_fma_f64 v[190:191], -v[186:187], v[188:189], 1.0
	v_fma_f64 v[188:189], v[188:189], v[190:191], v[188:189]
	v_mul_f64 v[190:191], v[192:193], v[188:189]
	v_fma_f64 v[186:187], -v[186:187], v[190:191], v[192:193]
	v_div_fmas_f64 v[186:187], v[186:187], v[188:189], v[190:191]
	v_div_fixup_f64 v[186:187], v[186:187], v[184:185], v[182:183]
	v_fma_f64 v[182:183], v[182:183], v[186:187], v[184:185]
	v_div_scale_f64 v[184:185], null, v[182:183], v[182:183], 1.0
	v_rcp_f64_e32 v[188:189], v[184:185]
	v_fma_f64 v[190:191], -v[184:185], v[188:189], 1.0
	v_fma_f64 v[188:189], v[188:189], v[190:191], v[188:189]
	v_fma_f64 v[190:191], -v[184:185], v[188:189], 1.0
	v_fma_f64 v[188:189], v[188:189], v[190:191], v[188:189]
	v_div_scale_f64 v[190:191], vcc_lo, 1.0, v[182:183], 1.0
	v_mul_f64 v[192:193], v[190:191], v[188:189]
	v_fma_f64 v[184:185], -v[184:185], v[192:193], v[190:191]
	v_div_fmas_f64 v[184:185], v[184:185], v[188:189], v[192:193]
	v_div_fixup_f64 v[188:189], v[184:185], v[182:183], 1.0
                                        ; implicit-def: $vgpr182_vgpr183
	v_mul_f64 v[186:187], v[186:187], v[188:189]
	v_xor_b32_e32 v189, 0x80000000, v189
.LBB77_275:
	s_andn2_saveexec_b32 s1, s1
	s_cbranch_execz .LBB77_277
; %bb.276:
	v_div_scale_f64 v[186:187], null, v[182:183], v[182:183], v[184:185]
	v_div_scale_f64 v[192:193], vcc_lo, v[184:185], v[182:183], v[184:185]
	v_rcp_f64_e32 v[188:189], v[186:187]
	v_fma_f64 v[190:191], -v[186:187], v[188:189], 1.0
	v_fma_f64 v[188:189], v[188:189], v[190:191], v[188:189]
	v_fma_f64 v[190:191], -v[186:187], v[188:189], 1.0
	v_fma_f64 v[188:189], v[188:189], v[190:191], v[188:189]
	v_mul_f64 v[190:191], v[192:193], v[188:189]
	v_fma_f64 v[186:187], -v[186:187], v[190:191], v[192:193]
	v_div_fmas_f64 v[186:187], v[186:187], v[188:189], v[190:191]
	v_div_fixup_f64 v[188:189], v[186:187], v[182:183], v[184:185]
	v_fma_f64 v[182:183], v[184:185], v[188:189], v[182:183]
	v_div_scale_f64 v[184:185], null, v[182:183], v[182:183], 1.0
	v_rcp_f64_e32 v[186:187], v[184:185]
	v_fma_f64 v[190:191], -v[184:185], v[186:187], 1.0
	v_fma_f64 v[186:187], v[186:187], v[190:191], v[186:187]
	v_fma_f64 v[190:191], -v[184:185], v[186:187], 1.0
	v_fma_f64 v[186:187], v[186:187], v[190:191], v[186:187]
	v_div_scale_f64 v[190:191], vcc_lo, 1.0, v[182:183], 1.0
	v_mul_f64 v[192:193], v[190:191], v[186:187]
	v_fma_f64 v[184:185], -v[184:185], v[192:193], v[190:191]
	v_div_fmas_f64 v[184:185], v[184:185], v[186:187], v[192:193]
	v_div_fixup_f64 v[186:187], v[184:185], v[182:183], 1.0
	v_mul_f64 v[188:189], v[188:189], -v[186:187]
.LBB77_277:
	s_or_b32 exec_lo, exec_lo, s1
	ds_write2_b64 v1, v[186:187], v[188:189] offset1:1
.LBB77_278:
	s_or_b32 exec_lo, exec_lo, s2
	s_waitcnt lgkmcnt(0)
	s_barrier
	buffer_gl0_inv
	ds_read2_b64 v[182:185], v1 offset1:1
	s_mov_b32 s1, exec_lo
	v_cmpx_lt_u32_e32 30, v0
	s_cbranch_execz .LBB77_280
; %bb.279:
	s_waitcnt lgkmcnt(0)
	v_mul_f64 v[186:187], v[182:183], v[36:37]
	v_mul_f64 v[36:37], v[184:185], v[36:37]
	v_fma_f64 v[190:191], v[184:185], v[34:35], v[186:187]
	ds_read2_b64 v[186:189], v218 offset0:62 offset1:63
	v_fma_f64 v[34:35], v[182:183], v[34:35], -v[36:37]
	s_waitcnt lgkmcnt(0)
	v_mul_f64 v[36:37], v[188:189], v[190:191]
	v_fma_f64 v[36:37], v[186:187], v[34:35], -v[36:37]
	v_mul_f64 v[186:187], v[186:187], v[190:191]
	v_add_f64 v[30:31], v[30:31], -v[36:37]
	v_fma_f64 v[186:187], v[188:189], v[34:35], v[186:187]
	v_add_f64 v[32:33], v[32:33], -v[186:187]
	ds_read2_b64 v[186:189], v218 offset0:64 offset1:65
	s_waitcnt lgkmcnt(0)
	v_mul_f64 v[36:37], v[188:189], v[190:191]
	v_fma_f64 v[36:37], v[186:187], v[34:35], -v[36:37]
	v_mul_f64 v[186:187], v[186:187], v[190:191]
	v_add_f64 v[26:27], v[26:27], -v[36:37]
	v_fma_f64 v[186:187], v[188:189], v[34:35], v[186:187]
	v_add_f64 v[28:29], v[28:29], -v[186:187]
	ds_read2_b64 v[186:189], v218 offset0:66 offset1:67
	;; [unrolled: 8-line block ×7, first 2 shown]
	s_waitcnt lgkmcnt(0)
	v_mul_f64 v[36:37], v[188:189], v[190:191]
	v_fma_f64 v[36:37], v[186:187], v[34:35], -v[36:37]
	v_mul_f64 v[186:187], v[186:187], v[190:191]
	v_add_f64 v[2:3], v[2:3], -v[36:37]
	v_fma_f64 v[186:187], v[188:189], v[34:35], v[186:187]
	v_mov_b32_e32 v36, v190
	v_mov_b32_e32 v37, v191
	v_add_f64 v[4:5], v[4:5], -v[186:187]
.LBB77_280:
	s_or_b32 exec_lo, exec_lo, s1
	s_mov_b32 s2, exec_lo
	s_waitcnt lgkmcnt(0)
	s_barrier
	buffer_gl0_inv
	v_cmpx_eq_u32_e32 31, v0
	s_cbranch_execz .LBB77_287
; %bb.281:
	ds_write2_b64 v1, v[30:31], v[32:33] offset1:1
	ds_write2_b64 v218, v[26:27], v[28:29] offset0:64 offset1:65
	ds_write2_b64 v218, v[22:23], v[24:25] offset0:66 offset1:67
	;; [unrolled: 1-line block ×7, first 2 shown]
	ds_read2_b64 v[186:189], v1 offset1:1
	s_waitcnt lgkmcnt(0)
	v_cmp_neq_f64_e32 vcc_lo, 0, v[186:187]
	v_cmp_neq_f64_e64 s1, 0, v[188:189]
	s_or_b32 s1, vcc_lo, s1
	s_and_b32 exec_lo, exec_lo, s1
	s_cbranch_execz .LBB77_287
; %bb.282:
	v_cmp_ngt_f64_e64 s1, |v[186:187]|, |v[188:189]|
                                        ; implicit-def: $vgpr190_vgpr191
	s_and_saveexec_b32 s3, s1
	s_xor_b32 s1, exec_lo, s3
                                        ; implicit-def: $vgpr192_vgpr193
	s_cbranch_execz .LBB77_284
; %bb.283:
	v_div_scale_f64 v[190:191], null, v[188:189], v[188:189], v[186:187]
	v_div_scale_f64 v[196:197], vcc_lo, v[186:187], v[188:189], v[186:187]
	v_rcp_f64_e32 v[192:193], v[190:191]
	v_fma_f64 v[194:195], -v[190:191], v[192:193], 1.0
	v_fma_f64 v[192:193], v[192:193], v[194:195], v[192:193]
	v_fma_f64 v[194:195], -v[190:191], v[192:193], 1.0
	v_fma_f64 v[192:193], v[192:193], v[194:195], v[192:193]
	v_mul_f64 v[194:195], v[196:197], v[192:193]
	v_fma_f64 v[190:191], -v[190:191], v[194:195], v[196:197]
	v_div_fmas_f64 v[190:191], v[190:191], v[192:193], v[194:195]
	v_div_fixup_f64 v[190:191], v[190:191], v[188:189], v[186:187]
	v_fma_f64 v[186:187], v[186:187], v[190:191], v[188:189]
	v_div_scale_f64 v[188:189], null, v[186:187], v[186:187], 1.0
	v_rcp_f64_e32 v[192:193], v[188:189]
	v_fma_f64 v[194:195], -v[188:189], v[192:193], 1.0
	v_fma_f64 v[192:193], v[192:193], v[194:195], v[192:193]
	v_fma_f64 v[194:195], -v[188:189], v[192:193], 1.0
	v_fma_f64 v[192:193], v[192:193], v[194:195], v[192:193]
	v_div_scale_f64 v[194:195], vcc_lo, 1.0, v[186:187], 1.0
	v_mul_f64 v[196:197], v[194:195], v[192:193]
	v_fma_f64 v[188:189], -v[188:189], v[196:197], v[194:195]
	v_div_fmas_f64 v[188:189], v[188:189], v[192:193], v[196:197]
	v_div_fixup_f64 v[192:193], v[188:189], v[186:187], 1.0
                                        ; implicit-def: $vgpr186_vgpr187
	v_mul_f64 v[190:191], v[190:191], v[192:193]
	v_xor_b32_e32 v193, 0x80000000, v193
.LBB77_284:
	s_andn2_saveexec_b32 s1, s1
	s_cbranch_execz .LBB77_286
; %bb.285:
	v_div_scale_f64 v[190:191], null, v[186:187], v[186:187], v[188:189]
	v_div_scale_f64 v[196:197], vcc_lo, v[188:189], v[186:187], v[188:189]
	v_rcp_f64_e32 v[192:193], v[190:191]
	v_fma_f64 v[194:195], -v[190:191], v[192:193], 1.0
	v_fma_f64 v[192:193], v[192:193], v[194:195], v[192:193]
	v_fma_f64 v[194:195], -v[190:191], v[192:193], 1.0
	v_fma_f64 v[192:193], v[192:193], v[194:195], v[192:193]
	v_mul_f64 v[194:195], v[196:197], v[192:193]
	v_fma_f64 v[190:191], -v[190:191], v[194:195], v[196:197]
	v_div_fmas_f64 v[190:191], v[190:191], v[192:193], v[194:195]
	v_div_fixup_f64 v[192:193], v[190:191], v[186:187], v[188:189]
	v_fma_f64 v[186:187], v[188:189], v[192:193], v[186:187]
	v_div_scale_f64 v[188:189], null, v[186:187], v[186:187], 1.0
	v_rcp_f64_e32 v[190:191], v[188:189]
	v_fma_f64 v[194:195], -v[188:189], v[190:191], 1.0
	v_fma_f64 v[190:191], v[190:191], v[194:195], v[190:191]
	v_fma_f64 v[194:195], -v[188:189], v[190:191], 1.0
	v_fma_f64 v[190:191], v[190:191], v[194:195], v[190:191]
	v_div_scale_f64 v[194:195], vcc_lo, 1.0, v[186:187], 1.0
	v_mul_f64 v[196:197], v[194:195], v[190:191]
	v_fma_f64 v[188:189], -v[188:189], v[196:197], v[194:195]
	v_div_fmas_f64 v[188:189], v[188:189], v[190:191], v[196:197]
	v_div_fixup_f64 v[190:191], v[188:189], v[186:187], 1.0
	v_mul_f64 v[192:193], v[192:193], -v[190:191]
.LBB77_286:
	s_or_b32 exec_lo, exec_lo, s1
	ds_write2_b64 v1, v[190:191], v[192:193] offset1:1
.LBB77_287:
	s_or_b32 exec_lo, exec_lo, s2
	s_waitcnt lgkmcnt(0)
	s_barrier
	buffer_gl0_inv
	ds_read2_b64 v[186:189], v1 offset1:1
	s_mov_b32 s1, exec_lo
	v_cmpx_lt_u32_e32 31, v0
	s_cbranch_execz .LBB77_289
; %bb.288:
	s_waitcnt lgkmcnt(0)
	v_mul_f64 v[190:191], v[186:187], v[32:33]
	v_mul_f64 v[32:33], v[188:189], v[32:33]
	v_fma_f64 v[194:195], v[188:189], v[30:31], v[190:191]
	ds_read2_b64 v[190:193], v218 offset0:64 offset1:65
	v_fma_f64 v[30:31], v[186:187], v[30:31], -v[32:33]
	s_waitcnt lgkmcnt(0)
	v_mul_f64 v[32:33], v[192:193], v[194:195]
	v_fma_f64 v[32:33], v[190:191], v[30:31], -v[32:33]
	v_mul_f64 v[190:191], v[190:191], v[194:195]
	v_add_f64 v[26:27], v[26:27], -v[32:33]
	v_fma_f64 v[190:191], v[192:193], v[30:31], v[190:191]
	v_add_f64 v[28:29], v[28:29], -v[190:191]
	ds_read2_b64 v[190:193], v218 offset0:66 offset1:67
	s_waitcnt lgkmcnt(0)
	v_mul_f64 v[32:33], v[192:193], v[194:195]
	v_fma_f64 v[32:33], v[190:191], v[30:31], -v[32:33]
	v_mul_f64 v[190:191], v[190:191], v[194:195]
	v_add_f64 v[22:23], v[22:23], -v[32:33]
	v_fma_f64 v[190:191], v[192:193], v[30:31], v[190:191]
	v_add_f64 v[24:25], v[24:25], -v[190:191]
	ds_read2_b64 v[190:193], v218 offset0:68 offset1:69
	;; [unrolled: 8-line block ×6, first 2 shown]
	s_waitcnt lgkmcnt(0)
	v_mul_f64 v[32:33], v[192:193], v[194:195]
	v_fma_f64 v[32:33], v[190:191], v[30:31], -v[32:33]
	v_mul_f64 v[190:191], v[190:191], v[194:195]
	v_add_f64 v[2:3], v[2:3], -v[32:33]
	v_fma_f64 v[190:191], v[192:193], v[30:31], v[190:191]
	v_mov_b32_e32 v32, v194
	v_mov_b32_e32 v33, v195
	v_add_f64 v[4:5], v[4:5], -v[190:191]
.LBB77_289:
	s_or_b32 exec_lo, exec_lo, s1
	s_mov_b32 s2, exec_lo
	s_waitcnt lgkmcnt(0)
	s_barrier
	buffer_gl0_inv
	v_cmpx_eq_u32_e32 32, v0
	s_cbranch_execz .LBB77_296
; %bb.290:
	ds_write2_b64 v1, v[26:27], v[28:29] offset1:1
	ds_write2_b64 v218, v[22:23], v[24:25] offset0:66 offset1:67
	ds_write2_b64 v218, v[18:19], v[20:21] offset0:68 offset1:69
	;; [unrolled: 1-line block ×6, first 2 shown]
	ds_read2_b64 v[190:193], v1 offset1:1
	s_waitcnt lgkmcnt(0)
	v_cmp_neq_f64_e32 vcc_lo, 0, v[190:191]
	v_cmp_neq_f64_e64 s1, 0, v[192:193]
	s_or_b32 s1, vcc_lo, s1
	s_and_b32 exec_lo, exec_lo, s1
	s_cbranch_execz .LBB77_296
; %bb.291:
	v_cmp_ngt_f64_e64 s1, |v[190:191]|, |v[192:193]|
                                        ; implicit-def: $vgpr194_vgpr195
	s_and_saveexec_b32 s3, s1
	s_xor_b32 s1, exec_lo, s3
                                        ; implicit-def: $vgpr196_vgpr197
	s_cbranch_execz .LBB77_293
; %bb.292:
	v_div_scale_f64 v[194:195], null, v[192:193], v[192:193], v[190:191]
	v_div_scale_f64 v[200:201], vcc_lo, v[190:191], v[192:193], v[190:191]
	v_rcp_f64_e32 v[196:197], v[194:195]
	v_fma_f64 v[198:199], -v[194:195], v[196:197], 1.0
	v_fma_f64 v[196:197], v[196:197], v[198:199], v[196:197]
	v_fma_f64 v[198:199], -v[194:195], v[196:197], 1.0
	v_fma_f64 v[196:197], v[196:197], v[198:199], v[196:197]
	v_mul_f64 v[198:199], v[200:201], v[196:197]
	v_fma_f64 v[194:195], -v[194:195], v[198:199], v[200:201]
	v_div_fmas_f64 v[194:195], v[194:195], v[196:197], v[198:199]
	v_div_fixup_f64 v[194:195], v[194:195], v[192:193], v[190:191]
	v_fma_f64 v[190:191], v[190:191], v[194:195], v[192:193]
	v_div_scale_f64 v[192:193], null, v[190:191], v[190:191], 1.0
	v_rcp_f64_e32 v[196:197], v[192:193]
	v_fma_f64 v[198:199], -v[192:193], v[196:197], 1.0
	v_fma_f64 v[196:197], v[196:197], v[198:199], v[196:197]
	v_fma_f64 v[198:199], -v[192:193], v[196:197], 1.0
	v_fma_f64 v[196:197], v[196:197], v[198:199], v[196:197]
	v_div_scale_f64 v[198:199], vcc_lo, 1.0, v[190:191], 1.0
	v_mul_f64 v[200:201], v[198:199], v[196:197]
	v_fma_f64 v[192:193], -v[192:193], v[200:201], v[198:199]
	v_div_fmas_f64 v[192:193], v[192:193], v[196:197], v[200:201]
	v_div_fixup_f64 v[196:197], v[192:193], v[190:191], 1.0
                                        ; implicit-def: $vgpr190_vgpr191
	v_mul_f64 v[194:195], v[194:195], v[196:197]
	v_xor_b32_e32 v197, 0x80000000, v197
.LBB77_293:
	s_andn2_saveexec_b32 s1, s1
	s_cbranch_execz .LBB77_295
; %bb.294:
	v_div_scale_f64 v[194:195], null, v[190:191], v[190:191], v[192:193]
	v_div_scale_f64 v[200:201], vcc_lo, v[192:193], v[190:191], v[192:193]
	v_rcp_f64_e32 v[196:197], v[194:195]
	v_fma_f64 v[198:199], -v[194:195], v[196:197], 1.0
	v_fma_f64 v[196:197], v[196:197], v[198:199], v[196:197]
	v_fma_f64 v[198:199], -v[194:195], v[196:197], 1.0
	v_fma_f64 v[196:197], v[196:197], v[198:199], v[196:197]
	v_mul_f64 v[198:199], v[200:201], v[196:197]
	v_fma_f64 v[194:195], -v[194:195], v[198:199], v[200:201]
	v_div_fmas_f64 v[194:195], v[194:195], v[196:197], v[198:199]
	v_div_fixup_f64 v[196:197], v[194:195], v[190:191], v[192:193]
	v_fma_f64 v[190:191], v[192:193], v[196:197], v[190:191]
	v_div_scale_f64 v[192:193], null, v[190:191], v[190:191], 1.0
	v_rcp_f64_e32 v[194:195], v[192:193]
	v_fma_f64 v[198:199], -v[192:193], v[194:195], 1.0
	v_fma_f64 v[194:195], v[194:195], v[198:199], v[194:195]
	v_fma_f64 v[198:199], -v[192:193], v[194:195], 1.0
	v_fma_f64 v[194:195], v[194:195], v[198:199], v[194:195]
	v_div_scale_f64 v[198:199], vcc_lo, 1.0, v[190:191], 1.0
	v_mul_f64 v[200:201], v[198:199], v[194:195]
	v_fma_f64 v[192:193], -v[192:193], v[200:201], v[198:199]
	v_div_fmas_f64 v[192:193], v[192:193], v[194:195], v[200:201]
	v_div_fixup_f64 v[194:195], v[192:193], v[190:191], 1.0
	v_mul_f64 v[196:197], v[196:197], -v[194:195]
.LBB77_295:
	s_or_b32 exec_lo, exec_lo, s1
	ds_write2_b64 v1, v[194:195], v[196:197] offset1:1
.LBB77_296:
	s_or_b32 exec_lo, exec_lo, s2
	s_waitcnt lgkmcnt(0)
	s_barrier
	buffer_gl0_inv
	ds_read2_b64 v[190:193], v1 offset1:1
	s_mov_b32 s1, exec_lo
	v_cmpx_lt_u32_e32 32, v0
	s_cbranch_execz .LBB77_298
; %bb.297:
	s_waitcnt lgkmcnt(0)
	v_mul_f64 v[194:195], v[190:191], v[28:29]
	v_mul_f64 v[28:29], v[192:193], v[28:29]
	v_fma_f64 v[198:199], v[192:193], v[26:27], v[194:195]
	ds_read2_b64 v[194:197], v218 offset0:66 offset1:67
	v_fma_f64 v[26:27], v[190:191], v[26:27], -v[28:29]
	s_waitcnt lgkmcnt(0)
	v_mul_f64 v[28:29], v[196:197], v[198:199]
	v_fma_f64 v[28:29], v[194:195], v[26:27], -v[28:29]
	v_mul_f64 v[194:195], v[194:195], v[198:199]
	v_add_f64 v[22:23], v[22:23], -v[28:29]
	v_fma_f64 v[194:195], v[196:197], v[26:27], v[194:195]
	v_add_f64 v[24:25], v[24:25], -v[194:195]
	ds_read2_b64 v[194:197], v218 offset0:68 offset1:69
	s_waitcnt lgkmcnt(0)
	v_mul_f64 v[28:29], v[196:197], v[198:199]
	v_fma_f64 v[28:29], v[194:195], v[26:27], -v[28:29]
	v_mul_f64 v[194:195], v[194:195], v[198:199]
	v_add_f64 v[18:19], v[18:19], -v[28:29]
	v_fma_f64 v[194:195], v[196:197], v[26:27], v[194:195]
	v_add_f64 v[20:21], v[20:21], -v[194:195]
	ds_read2_b64 v[194:197], v218 offset0:70 offset1:71
	s_waitcnt lgkmcnt(0)
	v_mul_f64 v[28:29], v[196:197], v[198:199]
	v_fma_f64 v[28:29], v[194:195], v[26:27], -v[28:29]
	v_mul_f64 v[194:195], v[194:195], v[198:199]
	v_add_f64 v[14:15], v[14:15], -v[28:29]
	v_fma_f64 v[194:195], v[196:197], v[26:27], v[194:195]
	v_add_f64 v[16:17], v[16:17], -v[194:195]
	ds_read2_b64 v[194:197], v218 offset0:72 offset1:73
	s_waitcnt lgkmcnt(0)
	v_mul_f64 v[28:29], v[196:197], v[198:199]
	v_fma_f64 v[28:29], v[194:195], v[26:27], -v[28:29]
	v_mul_f64 v[194:195], v[194:195], v[198:199]
	v_add_f64 v[10:11], v[10:11], -v[28:29]
	v_fma_f64 v[194:195], v[196:197], v[26:27], v[194:195]
	v_add_f64 v[12:13], v[12:13], -v[194:195]
	ds_read2_b64 v[194:197], v218 offset0:74 offset1:75
	s_waitcnt lgkmcnt(0)
	v_mul_f64 v[28:29], v[196:197], v[198:199]
	v_fma_f64 v[28:29], v[194:195], v[26:27], -v[28:29]
	v_mul_f64 v[194:195], v[194:195], v[198:199]
	v_add_f64 v[6:7], v[6:7], -v[28:29]
	v_fma_f64 v[194:195], v[196:197], v[26:27], v[194:195]
	v_add_f64 v[8:9], v[8:9], -v[194:195]
	ds_read2_b64 v[194:197], v218 offset0:76 offset1:77
	s_waitcnt lgkmcnt(0)
	v_mul_f64 v[28:29], v[196:197], v[198:199]
	v_fma_f64 v[28:29], v[194:195], v[26:27], -v[28:29]
	v_mul_f64 v[194:195], v[194:195], v[198:199]
	v_add_f64 v[2:3], v[2:3], -v[28:29]
	v_fma_f64 v[194:195], v[196:197], v[26:27], v[194:195]
	v_mov_b32_e32 v28, v198
	v_mov_b32_e32 v29, v199
	v_add_f64 v[4:5], v[4:5], -v[194:195]
.LBB77_298:
	s_or_b32 exec_lo, exec_lo, s1
	s_mov_b32 s2, exec_lo
	s_waitcnt lgkmcnt(0)
	s_barrier
	buffer_gl0_inv
	v_cmpx_eq_u32_e32 33, v0
	s_cbranch_execz .LBB77_305
; %bb.299:
	ds_write2_b64 v1, v[22:23], v[24:25] offset1:1
	ds_write2_b64 v218, v[18:19], v[20:21] offset0:68 offset1:69
	ds_write2_b64 v218, v[14:15], v[16:17] offset0:70 offset1:71
	;; [unrolled: 1-line block ×5, first 2 shown]
	ds_read2_b64 v[194:197], v1 offset1:1
	s_waitcnt lgkmcnt(0)
	v_cmp_neq_f64_e32 vcc_lo, 0, v[194:195]
	v_cmp_neq_f64_e64 s1, 0, v[196:197]
	s_or_b32 s1, vcc_lo, s1
	s_and_b32 exec_lo, exec_lo, s1
	s_cbranch_execz .LBB77_305
; %bb.300:
	v_cmp_ngt_f64_e64 s1, |v[194:195]|, |v[196:197]|
                                        ; implicit-def: $vgpr198_vgpr199
	s_and_saveexec_b32 s3, s1
	s_xor_b32 s1, exec_lo, s3
                                        ; implicit-def: $vgpr200_vgpr201
	s_cbranch_execz .LBB77_302
; %bb.301:
	v_div_scale_f64 v[198:199], null, v[196:197], v[196:197], v[194:195]
	v_div_scale_f64 v[204:205], vcc_lo, v[194:195], v[196:197], v[194:195]
	v_rcp_f64_e32 v[200:201], v[198:199]
	v_fma_f64 v[202:203], -v[198:199], v[200:201], 1.0
	v_fma_f64 v[200:201], v[200:201], v[202:203], v[200:201]
	v_fma_f64 v[202:203], -v[198:199], v[200:201], 1.0
	v_fma_f64 v[200:201], v[200:201], v[202:203], v[200:201]
	v_mul_f64 v[202:203], v[204:205], v[200:201]
	v_fma_f64 v[198:199], -v[198:199], v[202:203], v[204:205]
	v_div_fmas_f64 v[198:199], v[198:199], v[200:201], v[202:203]
	v_div_fixup_f64 v[198:199], v[198:199], v[196:197], v[194:195]
	v_fma_f64 v[194:195], v[194:195], v[198:199], v[196:197]
	v_div_scale_f64 v[196:197], null, v[194:195], v[194:195], 1.0
	v_rcp_f64_e32 v[200:201], v[196:197]
	v_fma_f64 v[202:203], -v[196:197], v[200:201], 1.0
	v_fma_f64 v[200:201], v[200:201], v[202:203], v[200:201]
	v_fma_f64 v[202:203], -v[196:197], v[200:201], 1.0
	v_fma_f64 v[200:201], v[200:201], v[202:203], v[200:201]
	v_div_scale_f64 v[202:203], vcc_lo, 1.0, v[194:195], 1.0
	v_mul_f64 v[204:205], v[202:203], v[200:201]
	v_fma_f64 v[196:197], -v[196:197], v[204:205], v[202:203]
	v_div_fmas_f64 v[196:197], v[196:197], v[200:201], v[204:205]
	v_div_fixup_f64 v[200:201], v[196:197], v[194:195], 1.0
                                        ; implicit-def: $vgpr194_vgpr195
	v_mul_f64 v[198:199], v[198:199], v[200:201]
	v_xor_b32_e32 v201, 0x80000000, v201
.LBB77_302:
	s_andn2_saveexec_b32 s1, s1
	s_cbranch_execz .LBB77_304
; %bb.303:
	v_div_scale_f64 v[198:199], null, v[194:195], v[194:195], v[196:197]
	v_div_scale_f64 v[204:205], vcc_lo, v[196:197], v[194:195], v[196:197]
	v_rcp_f64_e32 v[200:201], v[198:199]
	v_fma_f64 v[202:203], -v[198:199], v[200:201], 1.0
	v_fma_f64 v[200:201], v[200:201], v[202:203], v[200:201]
	v_fma_f64 v[202:203], -v[198:199], v[200:201], 1.0
	v_fma_f64 v[200:201], v[200:201], v[202:203], v[200:201]
	v_mul_f64 v[202:203], v[204:205], v[200:201]
	v_fma_f64 v[198:199], -v[198:199], v[202:203], v[204:205]
	v_div_fmas_f64 v[198:199], v[198:199], v[200:201], v[202:203]
	v_div_fixup_f64 v[200:201], v[198:199], v[194:195], v[196:197]
	v_fma_f64 v[194:195], v[196:197], v[200:201], v[194:195]
	v_div_scale_f64 v[196:197], null, v[194:195], v[194:195], 1.0
	v_rcp_f64_e32 v[198:199], v[196:197]
	v_fma_f64 v[202:203], -v[196:197], v[198:199], 1.0
	v_fma_f64 v[198:199], v[198:199], v[202:203], v[198:199]
	v_fma_f64 v[202:203], -v[196:197], v[198:199], 1.0
	v_fma_f64 v[198:199], v[198:199], v[202:203], v[198:199]
	v_div_scale_f64 v[202:203], vcc_lo, 1.0, v[194:195], 1.0
	v_mul_f64 v[204:205], v[202:203], v[198:199]
	v_fma_f64 v[196:197], -v[196:197], v[204:205], v[202:203]
	v_div_fmas_f64 v[196:197], v[196:197], v[198:199], v[204:205]
	v_div_fixup_f64 v[198:199], v[196:197], v[194:195], 1.0
	v_mul_f64 v[200:201], v[200:201], -v[198:199]
.LBB77_304:
	s_or_b32 exec_lo, exec_lo, s1
	ds_write2_b64 v1, v[198:199], v[200:201] offset1:1
.LBB77_305:
	s_or_b32 exec_lo, exec_lo, s2
	s_waitcnt lgkmcnt(0)
	s_barrier
	buffer_gl0_inv
	ds_read2_b64 v[194:197], v1 offset1:1
	s_mov_b32 s1, exec_lo
	v_cmpx_lt_u32_e32 33, v0
	s_cbranch_execz .LBB77_307
; %bb.306:
	s_waitcnt lgkmcnt(0)
	v_mul_f64 v[198:199], v[194:195], v[24:25]
	v_mul_f64 v[24:25], v[196:197], v[24:25]
	v_fma_f64 v[202:203], v[196:197], v[22:23], v[198:199]
	ds_read2_b64 v[198:201], v218 offset0:68 offset1:69
	v_fma_f64 v[22:23], v[194:195], v[22:23], -v[24:25]
	s_waitcnt lgkmcnt(0)
	v_mul_f64 v[24:25], v[200:201], v[202:203]
	v_fma_f64 v[24:25], v[198:199], v[22:23], -v[24:25]
	v_mul_f64 v[198:199], v[198:199], v[202:203]
	v_add_f64 v[18:19], v[18:19], -v[24:25]
	v_fma_f64 v[198:199], v[200:201], v[22:23], v[198:199]
	v_add_f64 v[20:21], v[20:21], -v[198:199]
	ds_read2_b64 v[198:201], v218 offset0:70 offset1:71
	s_waitcnt lgkmcnt(0)
	v_mul_f64 v[24:25], v[200:201], v[202:203]
	v_fma_f64 v[24:25], v[198:199], v[22:23], -v[24:25]
	v_mul_f64 v[198:199], v[198:199], v[202:203]
	v_add_f64 v[14:15], v[14:15], -v[24:25]
	v_fma_f64 v[198:199], v[200:201], v[22:23], v[198:199]
	v_add_f64 v[16:17], v[16:17], -v[198:199]
	ds_read2_b64 v[198:201], v218 offset0:72 offset1:73
	;; [unrolled: 8-line block ×4, first 2 shown]
	s_waitcnt lgkmcnt(0)
	v_mul_f64 v[24:25], v[200:201], v[202:203]
	v_fma_f64 v[24:25], v[198:199], v[22:23], -v[24:25]
	v_mul_f64 v[198:199], v[198:199], v[202:203]
	v_add_f64 v[2:3], v[2:3], -v[24:25]
	v_fma_f64 v[198:199], v[200:201], v[22:23], v[198:199]
	v_mov_b32_e32 v24, v202
	v_mov_b32_e32 v25, v203
	v_add_f64 v[4:5], v[4:5], -v[198:199]
.LBB77_307:
	s_or_b32 exec_lo, exec_lo, s1
	s_mov_b32 s2, exec_lo
	s_waitcnt lgkmcnt(0)
	s_barrier
	buffer_gl0_inv
	v_cmpx_eq_u32_e32 34, v0
	s_cbranch_execz .LBB77_314
; %bb.308:
	ds_write2_b64 v1, v[18:19], v[20:21] offset1:1
	ds_write2_b64 v218, v[14:15], v[16:17] offset0:70 offset1:71
	ds_write2_b64 v218, v[10:11], v[12:13] offset0:72 offset1:73
	;; [unrolled: 1-line block ×4, first 2 shown]
	ds_read2_b64 v[198:201], v1 offset1:1
	s_waitcnt lgkmcnt(0)
	v_cmp_neq_f64_e32 vcc_lo, 0, v[198:199]
	v_cmp_neq_f64_e64 s1, 0, v[200:201]
	s_or_b32 s1, vcc_lo, s1
	s_and_b32 exec_lo, exec_lo, s1
	s_cbranch_execz .LBB77_314
; %bb.309:
	v_cmp_ngt_f64_e64 s1, |v[198:199]|, |v[200:201]|
                                        ; implicit-def: $vgpr202_vgpr203
	s_and_saveexec_b32 s3, s1
	s_xor_b32 s1, exec_lo, s3
                                        ; implicit-def: $vgpr204_vgpr205
	s_cbranch_execz .LBB77_311
; %bb.310:
	v_div_scale_f64 v[202:203], null, v[200:201], v[200:201], v[198:199]
	v_div_scale_f64 v[208:209], vcc_lo, v[198:199], v[200:201], v[198:199]
	v_rcp_f64_e32 v[204:205], v[202:203]
	v_fma_f64 v[206:207], -v[202:203], v[204:205], 1.0
	v_fma_f64 v[204:205], v[204:205], v[206:207], v[204:205]
	v_fma_f64 v[206:207], -v[202:203], v[204:205], 1.0
	v_fma_f64 v[204:205], v[204:205], v[206:207], v[204:205]
	v_mul_f64 v[206:207], v[208:209], v[204:205]
	v_fma_f64 v[202:203], -v[202:203], v[206:207], v[208:209]
	v_div_fmas_f64 v[202:203], v[202:203], v[204:205], v[206:207]
	v_div_fixup_f64 v[202:203], v[202:203], v[200:201], v[198:199]
	v_fma_f64 v[198:199], v[198:199], v[202:203], v[200:201]
	v_div_scale_f64 v[200:201], null, v[198:199], v[198:199], 1.0
	v_rcp_f64_e32 v[204:205], v[200:201]
	v_fma_f64 v[206:207], -v[200:201], v[204:205], 1.0
	v_fma_f64 v[204:205], v[204:205], v[206:207], v[204:205]
	v_fma_f64 v[206:207], -v[200:201], v[204:205], 1.0
	v_fma_f64 v[204:205], v[204:205], v[206:207], v[204:205]
	v_div_scale_f64 v[206:207], vcc_lo, 1.0, v[198:199], 1.0
	v_mul_f64 v[208:209], v[206:207], v[204:205]
	v_fma_f64 v[200:201], -v[200:201], v[208:209], v[206:207]
	v_div_fmas_f64 v[200:201], v[200:201], v[204:205], v[208:209]
	v_div_fixup_f64 v[204:205], v[200:201], v[198:199], 1.0
                                        ; implicit-def: $vgpr198_vgpr199
	v_mul_f64 v[202:203], v[202:203], v[204:205]
	v_xor_b32_e32 v205, 0x80000000, v205
.LBB77_311:
	s_andn2_saveexec_b32 s1, s1
	s_cbranch_execz .LBB77_313
; %bb.312:
	v_div_scale_f64 v[202:203], null, v[198:199], v[198:199], v[200:201]
	v_div_scale_f64 v[208:209], vcc_lo, v[200:201], v[198:199], v[200:201]
	v_rcp_f64_e32 v[204:205], v[202:203]
	v_fma_f64 v[206:207], -v[202:203], v[204:205], 1.0
	v_fma_f64 v[204:205], v[204:205], v[206:207], v[204:205]
	v_fma_f64 v[206:207], -v[202:203], v[204:205], 1.0
	v_fma_f64 v[204:205], v[204:205], v[206:207], v[204:205]
	v_mul_f64 v[206:207], v[208:209], v[204:205]
	v_fma_f64 v[202:203], -v[202:203], v[206:207], v[208:209]
	v_div_fmas_f64 v[202:203], v[202:203], v[204:205], v[206:207]
	v_div_fixup_f64 v[204:205], v[202:203], v[198:199], v[200:201]
	v_fma_f64 v[198:199], v[200:201], v[204:205], v[198:199]
	v_div_scale_f64 v[200:201], null, v[198:199], v[198:199], 1.0
	v_rcp_f64_e32 v[202:203], v[200:201]
	v_fma_f64 v[206:207], -v[200:201], v[202:203], 1.0
	v_fma_f64 v[202:203], v[202:203], v[206:207], v[202:203]
	v_fma_f64 v[206:207], -v[200:201], v[202:203], 1.0
	v_fma_f64 v[202:203], v[202:203], v[206:207], v[202:203]
	v_div_scale_f64 v[206:207], vcc_lo, 1.0, v[198:199], 1.0
	v_mul_f64 v[208:209], v[206:207], v[202:203]
	v_fma_f64 v[200:201], -v[200:201], v[208:209], v[206:207]
	v_div_fmas_f64 v[200:201], v[200:201], v[202:203], v[208:209]
	v_div_fixup_f64 v[202:203], v[200:201], v[198:199], 1.0
	v_mul_f64 v[204:205], v[204:205], -v[202:203]
.LBB77_313:
	s_or_b32 exec_lo, exec_lo, s1
	ds_write2_b64 v1, v[202:203], v[204:205] offset1:1
.LBB77_314:
	s_or_b32 exec_lo, exec_lo, s2
	s_waitcnt lgkmcnt(0)
	s_barrier
	buffer_gl0_inv
	ds_read2_b64 v[198:201], v1 offset1:1
	s_mov_b32 s1, exec_lo
	v_cmpx_lt_u32_e32 34, v0
	s_cbranch_execz .LBB77_316
; %bb.315:
	s_waitcnt lgkmcnt(0)
	v_mul_f64 v[202:203], v[198:199], v[20:21]
	v_mul_f64 v[20:21], v[200:201], v[20:21]
	v_fma_f64 v[206:207], v[200:201], v[18:19], v[202:203]
	ds_read2_b64 v[202:205], v218 offset0:70 offset1:71
	v_fma_f64 v[18:19], v[198:199], v[18:19], -v[20:21]
	s_waitcnt lgkmcnt(0)
	v_mul_f64 v[20:21], v[204:205], v[206:207]
	v_fma_f64 v[20:21], v[202:203], v[18:19], -v[20:21]
	v_mul_f64 v[202:203], v[202:203], v[206:207]
	v_add_f64 v[14:15], v[14:15], -v[20:21]
	v_fma_f64 v[202:203], v[204:205], v[18:19], v[202:203]
	v_add_f64 v[16:17], v[16:17], -v[202:203]
	ds_read2_b64 v[202:205], v218 offset0:72 offset1:73
	s_waitcnt lgkmcnt(0)
	v_mul_f64 v[20:21], v[204:205], v[206:207]
	v_fma_f64 v[20:21], v[202:203], v[18:19], -v[20:21]
	v_mul_f64 v[202:203], v[202:203], v[206:207]
	v_add_f64 v[10:11], v[10:11], -v[20:21]
	v_fma_f64 v[202:203], v[204:205], v[18:19], v[202:203]
	v_add_f64 v[12:13], v[12:13], -v[202:203]
	ds_read2_b64 v[202:205], v218 offset0:74 offset1:75
	;; [unrolled: 8-line block ×3, first 2 shown]
	s_waitcnt lgkmcnt(0)
	v_mul_f64 v[20:21], v[204:205], v[206:207]
	v_fma_f64 v[20:21], v[202:203], v[18:19], -v[20:21]
	v_mul_f64 v[202:203], v[202:203], v[206:207]
	v_add_f64 v[2:3], v[2:3], -v[20:21]
	v_fma_f64 v[202:203], v[204:205], v[18:19], v[202:203]
	v_mov_b32_e32 v20, v206
	v_mov_b32_e32 v21, v207
	v_add_f64 v[4:5], v[4:5], -v[202:203]
.LBB77_316:
	s_or_b32 exec_lo, exec_lo, s1
	s_mov_b32 s2, exec_lo
	s_waitcnt lgkmcnt(0)
	s_barrier
	buffer_gl0_inv
	v_cmpx_eq_u32_e32 35, v0
	s_cbranch_execz .LBB77_323
; %bb.317:
	ds_write2_b64 v1, v[14:15], v[16:17] offset1:1
	ds_write2_b64 v218, v[10:11], v[12:13] offset0:72 offset1:73
	ds_write2_b64 v218, v[6:7], v[8:9] offset0:74 offset1:75
	;; [unrolled: 1-line block ×3, first 2 shown]
	ds_read2_b64 v[202:205], v1 offset1:1
	s_waitcnt lgkmcnt(0)
	v_cmp_neq_f64_e32 vcc_lo, 0, v[202:203]
	v_cmp_neq_f64_e64 s1, 0, v[204:205]
	s_or_b32 s1, vcc_lo, s1
	s_and_b32 exec_lo, exec_lo, s1
	s_cbranch_execz .LBB77_323
; %bb.318:
	v_cmp_ngt_f64_e64 s1, |v[202:203]|, |v[204:205]|
                                        ; implicit-def: $vgpr206_vgpr207
	s_and_saveexec_b32 s3, s1
	s_xor_b32 s1, exec_lo, s3
                                        ; implicit-def: $vgpr208_vgpr209
	s_cbranch_execz .LBB77_320
; %bb.319:
	v_div_scale_f64 v[206:207], null, v[204:205], v[204:205], v[202:203]
	v_div_scale_f64 v[212:213], vcc_lo, v[202:203], v[204:205], v[202:203]
	v_rcp_f64_e32 v[208:209], v[206:207]
	v_fma_f64 v[210:211], -v[206:207], v[208:209], 1.0
	v_fma_f64 v[208:209], v[208:209], v[210:211], v[208:209]
	v_fma_f64 v[210:211], -v[206:207], v[208:209], 1.0
	v_fma_f64 v[208:209], v[208:209], v[210:211], v[208:209]
	v_mul_f64 v[210:211], v[212:213], v[208:209]
	v_fma_f64 v[206:207], -v[206:207], v[210:211], v[212:213]
	v_div_fmas_f64 v[206:207], v[206:207], v[208:209], v[210:211]
	v_div_fixup_f64 v[206:207], v[206:207], v[204:205], v[202:203]
	v_fma_f64 v[202:203], v[202:203], v[206:207], v[204:205]
	v_div_scale_f64 v[204:205], null, v[202:203], v[202:203], 1.0
	v_rcp_f64_e32 v[208:209], v[204:205]
	v_fma_f64 v[210:211], -v[204:205], v[208:209], 1.0
	v_fma_f64 v[208:209], v[208:209], v[210:211], v[208:209]
	v_fma_f64 v[210:211], -v[204:205], v[208:209], 1.0
	v_fma_f64 v[208:209], v[208:209], v[210:211], v[208:209]
	v_div_scale_f64 v[210:211], vcc_lo, 1.0, v[202:203], 1.0
	v_mul_f64 v[212:213], v[210:211], v[208:209]
	v_fma_f64 v[204:205], -v[204:205], v[212:213], v[210:211]
	v_div_fmas_f64 v[204:205], v[204:205], v[208:209], v[212:213]
	v_div_fixup_f64 v[208:209], v[204:205], v[202:203], 1.0
                                        ; implicit-def: $vgpr202_vgpr203
	v_mul_f64 v[206:207], v[206:207], v[208:209]
	v_xor_b32_e32 v209, 0x80000000, v209
.LBB77_320:
	s_andn2_saveexec_b32 s1, s1
	s_cbranch_execz .LBB77_322
; %bb.321:
	v_div_scale_f64 v[206:207], null, v[202:203], v[202:203], v[204:205]
	v_div_scale_f64 v[212:213], vcc_lo, v[204:205], v[202:203], v[204:205]
	v_rcp_f64_e32 v[208:209], v[206:207]
	v_fma_f64 v[210:211], -v[206:207], v[208:209], 1.0
	v_fma_f64 v[208:209], v[208:209], v[210:211], v[208:209]
	v_fma_f64 v[210:211], -v[206:207], v[208:209], 1.0
	v_fma_f64 v[208:209], v[208:209], v[210:211], v[208:209]
	v_mul_f64 v[210:211], v[212:213], v[208:209]
	v_fma_f64 v[206:207], -v[206:207], v[210:211], v[212:213]
	v_div_fmas_f64 v[206:207], v[206:207], v[208:209], v[210:211]
	v_div_fixup_f64 v[208:209], v[206:207], v[202:203], v[204:205]
	v_fma_f64 v[202:203], v[204:205], v[208:209], v[202:203]
	v_div_scale_f64 v[204:205], null, v[202:203], v[202:203], 1.0
	v_rcp_f64_e32 v[206:207], v[204:205]
	v_fma_f64 v[210:211], -v[204:205], v[206:207], 1.0
	v_fma_f64 v[206:207], v[206:207], v[210:211], v[206:207]
	v_fma_f64 v[210:211], -v[204:205], v[206:207], 1.0
	v_fma_f64 v[206:207], v[206:207], v[210:211], v[206:207]
	v_div_scale_f64 v[210:211], vcc_lo, 1.0, v[202:203], 1.0
	v_mul_f64 v[212:213], v[210:211], v[206:207]
	v_fma_f64 v[204:205], -v[204:205], v[212:213], v[210:211]
	v_div_fmas_f64 v[204:205], v[204:205], v[206:207], v[212:213]
	v_div_fixup_f64 v[206:207], v[204:205], v[202:203], 1.0
	v_mul_f64 v[208:209], v[208:209], -v[206:207]
.LBB77_322:
	s_or_b32 exec_lo, exec_lo, s1
	ds_write2_b64 v1, v[206:207], v[208:209] offset1:1
.LBB77_323:
	s_or_b32 exec_lo, exec_lo, s2
	s_waitcnt lgkmcnt(0)
	s_barrier
	buffer_gl0_inv
	ds_read2_b64 v[202:205], v1 offset1:1
	s_mov_b32 s1, exec_lo
	v_cmpx_lt_u32_e32 35, v0
	s_cbranch_execz .LBB77_325
; %bb.324:
	s_waitcnt lgkmcnt(0)
	v_mul_f64 v[206:207], v[202:203], v[16:17]
	v_mul_f64 v[16:17], v[204:205], v[16:17]
	v_fma_f64 v[210:211], v[204:205], v[14:15], v[206:207]
	ds_read2_b64 v[206:209], v218 offset0:72 offset1:73
	v_fma_f64 v[14:15], v[202:203], v[14:15], -v[16:17]
	s_waitcnt lgkmcnt(0)
	v_mul_f64 v[16:17], v[208:209], v[210:211]
	v_fma_f64 v[16:17], v[206:207], v[14:15], -v[16:17]
	v_mul_f64 v[206:207], v[206:207], v[210:211]
	v_add_f64 v[10:11], v[10:11], -v[16:17]
	v_fma_f64 v[206:207], v[208:209], v[14:15], v[206:207]
	v_add_f64 v[12:13], v[12:13], -v[206:207]
	ds_read2_b64 v[206:209], v218 offset0:74 offset1:75
	s_waitcnt lgkmcnt(0)
	v_mul_f64 v[16:17], v[208:209], v[210:211]
	v_fma_f64 v[16:17], v[206:207], v[14:15], -v[16:17]
	v_mul_f64 v[206:207], v[206:207], v[210:211]
	v_add_f64 v[6:7], v[6:7], -v[16:17]
	v_fma_f64 v[206:207], v[208:209], v[14:15], v[206:207]
	v_add_f64 v[8:9], v[8:9], -v[206:207]
	ds_read2_b64 v[206:209], v218 offset0:76 offset1:77
	s_waitcnt lgkmcnt(0)
	v_mul_f64 v[16:17], v[208:209], v[210:211]
	v_fma_f64 v[16:17], v[206:207], v[14:15], -v[16:17]
	v_mul_f64 v[206:207], v[206:207], v[210:211]
	v_add_f64 v[2:3], v[2:3], -v[16:17]
	v_fma_f64 v[206:207], v[208:209], v[14:15], v[206:207]
	v_mov_b32_e32 v16, v210
	v_mov_b32_e32 v17, v211
	v_add_f64 v[4:5], v[4:5], -v[206:207]
.LBB77_325:
	s_or_b32 exec_lo, exec_lo, s1
	s_mov_b32 s2, exec_lo
	s_waitcnt lgkmcnt(0)
	s_barrier
	buffer_gl0_inv
	v_cmpx_eq_u32_e32 36, v0
	s_cbranch_execz .LBB77_332
; %bb.326:
	ds_write2_b64 v1, v[10:11], v[12:13] offset1:1
	ds_write2_b64 v218, v[6:7], v[8:9] offset0:74 offset1:75
	ds_write2_b64 v218, v[2:3], v[4:5] offset0:76 offset1:77
	ds_read2_b64 v[206:209], v1 offset1:1
	s_waitcnt lgkmcnt(0)
	v_cmp_neq_f64_e32 vcc_lo, 0, v[206:207]
	v_cmp_neq_f64_e64 s1, 0, v[208:209]
	s_or_b32 s1, vcc_lo, s1
	s_and_b32 exec_lo, exec_lo, s1
	s_cbranch_execz .LBB77_332
; %bb.327:
	v_cmp_ngt_f64_e64 s1, |v[206:207]|, |v[208:209]|
                                        ; implicit-def: $vgpr210_vgpr211
	s_and_saveexec_b32 s3, s1
	s_xor_b32 s1, exec_lo, s3
                                        ; implicit-def: $vgpr212_vgpr213
	s_cbranch_execz .LBB77_329
; %bb.328:
	v_div_scale_f64 v[210:211], null, v[208:209], v[208:209], v[206:207]
	v_div_scale_f64 v[216:217], vcc_lo, v[206:207], v[208:209], v[206:207]
	v_rcp_f64_e32 v[212:213], v[210:211]
	v_fma_f64 v[214:215], -v[210:211], v[212:213], 1.0
	v_fma_f64 v[212:213], v[212:213], v[214:215], v[212:213]
	v_fma_f64 v[214:215], -v[210:211], v[212:213], 1.0
	v_fma_f64 v[212:213], v[212:213], v[214:215], v[212:213]
	v_mul_f64 v[214:215], v[216:217], v[212:213]
	v_fma_f64 v[210:211], -v[210:211], v[214:215], v[216:217]
	v_div_fmas_f64 v[210:211], v[210:211], v[212:213], v[214:215]
	v_div_fixup_f64 v[210:211], v[210:211], v[208:209], v[206:207]
	v_fma_f64 v[206:207], v[206:207], v[210:211], v[208:209]
	v_div_scale_f64 v[208:209], null, v[206:207], v[206:207], 1.0
	v_rcp_f64_e32 v[212:213], v[208:209]
	v_fma_f64 v[214:215], -v[208:209], v[212:213], 1.0
	v_fma_f64 v[212:213], v[212:213], v[214:215], v[212:213]
	v_fma_f64 v[214:215], -v[208:209], v[212:213], 1.0
	v_fma_f64 v[212:213], v[212:213], v[214:215], v[212:213]
	v_div_scale_f64 v[214:215], vcc_lo, 1.0, v[206:207], 1.0
	v_mul_f64 v[216:217], v[214:215], v[212:213]
	v_fma_f64 v[208:209], -v[208:209], v[216:217], v[214:215]
	v_div_fmas_f64 v[208:209], v[208:209], v[212:213], v[216:217]
	v_div_fixup_f64 v[212:213], v[208:209], v[206:207], 1.0
                                        ; implicit-def: $vgpr206_vgpr207
	v_mul_f64 v[210:211], v[210:211], v[212:213]
	v_xor_b32_e32 v213, 0x80000000, v213
.LBB77_329:
	s_andn2_saveexec_b32 s1, s1
	s_cbranch_execz .LBB77_331
; %bb.330:
	v_div_scale_f64 v[210:211], null, v[206:207], v[206:207], v[208:209]
	v_div_scale_f64 v[216:217], vcc_lo, v[208:209], v[206:207], v[208:209]
	v_rcp_f64_e32 v[212:213], v[210:211]
	v_fma_f64 v[214:215], -v[210:211], v[212:213], 1.0
	v_fma_f64 v[212:213], v[212:213], v[214:215], v[212:213]
	v_fma_f64 v[214:215], -v[210:211], v[212:213], 1.0
	v_fma_f64 v[212:213], v[212:213], v[214:215], v[212:213]
	v_mul_f64 v[214:215], v[216:217], v[212:213]
	v_fma_f64 v[210:211], -v[210:211], v[214:215], v[216:217]
	v_div_fmas_f64 v[210:211], v[210:211], v[212:213], v[214:215]
	v_div_fixup_f64 v[212:213], v[210:211], v[206:207], v[208:209]
	v_fma_f64 v[206:207], v[208:209], v[212:213], v[206:207]
	v_div_scale_f64 v[208:209], null, v[206:207], v[206:207], 1.0
	v_rcp_f64_e32 v[210:211], v[208:209]
	v_fma_f64 v[214:215], -v[208:209], v[210:211], 1.0
	v_fma_f64 v[210:211], v[210:211], v[214:215], v[210:211]
	v_fma_f64 v[214:215], -v[208:209], v[210:211], 1.0
	v_fma_f64 v[210:211], v[210:211], v[214:215], v[210:211]
	v_div_scale_f64 v[214:215], vcc_lo, 1.0, v[206:207], 1.0
	v_mul_f64 v[216:217], v[214:215], v[210:211]
	v_fma_f64 v[208:209], -v[208:209], v[216:217], v[214:215]
	v_div_fmas_f64 v[208:209], v[208:209], v[210:211], v[216:217]
	v_div_fixup_f64 v[210:211], v[208:209], v[206:207], 1.0
	v_mul_f64 v[212:213], v[212:213], -v[210:211]
.LBB77_331:
	s_or_b32 exec_lo, exec_lo, s1
	ds_write2_b64 v1, v[210:211], v[212:213] offset1:1
.LBB77_332:
	s_or_b32 exec_lo, exec_lo, s2
	s_waitcnt lgkmcnt(0)
	s_barrier
	buffer_gl0_inv
	ds_read2_b64 v[206:209], v1 offset1:1
	s_mov_b32 s1, exec_lo
	v_cmpx_lt_u32_e32 36, v0
	s_cbranch_execz .LBB77_334
; %bb.333:
	s_waitcnt lgkmcnt(0)
	v_mul_f64 v[210:211], v[206:207], v[12:13]
	v_mul_f64 v[12:13], v[208:209], v[12:13]
	v_fma_f64 v[214:215], v[208:209], v[10:11], v[210:211]
	ds_read2_b64 v[210:213], v218 offset0:74 offset1:75
	v_fma_f64 v[10:11], v[206:207], v[10:11], -v[12:13]
	s_waitcnt lgkmcnt(0)
	v_mul_f64 v[12:13], v[212:213], v[214:215]
	v_fma_f64 v[12:13], v[210:211], v[10:11], -v[12:13]
	v_mul_f64 v[210:211], v[210:211], v[214:215]
	v_add_f64 v[6:7], v[6:7], -v[12:13]
	v_fma_f64 v[210:211], v[212:213], v[10:11], v[210:211]
	v_add_f64 v[8:9], v[8:9], -v[210:211]
	ds_read2_b64 v[210:213], v218 offset0:76 offset1:77
	s_waitcnt lgkmcnt(0)
	v_mul_f64 v[12:13], v[212:213], v[214:215]
	v_fma_f64 v[12:13], v[210:211], v[10:11], -v[12:13]
	v_mul_f64 v[210:211], v[210:211], v[214:215]
	v_add_f64 v[2:3], v[2:3], -v[12:13]
	v_fma_f64 v[210:211], v[212:213], v[10:11], v[210:211]
	v_mov_b32_e32 v12, v214
	v_mov_b32_e32 v13, v215
	v_add_f64 v[4:5], v[4:5], -v[210:211]
.LBB77_334:
	s_or_b32 exec_lo, exec_lo, s1
	s_mov_b32 s2, exec_lo
	s_waitcnt lgkmcnt(0)
	s_barrier
	buffer_gl0_inv
	v_cmpx_eq_u32_e32 37, v0
	s_cbranch_execz .LBB77_341
; %bb.335:
	ds_write2_b64 v1, v[6:7], v[8:9] offset1:1
	ds_write2_b64 v218, v[2:3], v[4:5] offset0:76 offset1:77
	ds_read2_b64 v[210:213], v1 offset1:1
	s_waitcnt lgkmcnt(0)
	v_cmp_neq_f64_e32 vcc_lo, 0, v[210:211]
	v_cmp_neq_f64_e64 s1, 0, v[212:213]
	s_or_b32 s1, vcc_lo, s1
	s_and_b32 exec_lo, exec_lo, s1
	s_cbranch_execz .LBB77_341
; %bb.336:
	v_cmp_ngt_f64_e64 s1, |v[210:211]|, |v[212:213]|
                                        ; implicit-def: $vgpr214_vgpr215
	s_and_saveexec_b32 s3, s1
	s_xor_b32 s1, exec_lo, s3
                                        ; implicit-def: $vgpr216_vgpr217
	s_cbranch_execz .LBB77_338
; %bb.337:
	v_div_scale_f64 v[214:215], null, v[212:213], v[212:213], v[210:211]
	v_mov_b32_e32 v158, v253
	v_mov_b32_e32 v159, v254
	v_div_scale_f64 v[254:255], vcc_lo, v[210:211], v[212:213], v[210:211]
	v_rcp_f64_e32 v[216:217], v[214:215]
	v_fma_f64 v[219:220], -v[214:215], v[216:217], 1.0
	v_fma_f64 v[216:217], v[216:217], v[219:220], v[216:217]
	v_fma_f64 v[219:220], -v[214:215], v[216:217], 1.0
	v_fma_f64 v[216:217], v[216:217], v[219:220], v[216:217]
	v_mul_f64 v[219:220], v[254:255], v[216:217]
	v_fma_f64 v[214:215], -v[214:215], v[219:220], v[254:255]
	v_div_fmas_f64 v[214:215], v[214:215], v[216:217], v[219:220]
	v_div_fixup_f64 v[214:215], v[214:215], v[212:213], v[210:211]
	v_fma_f64 v[210:211], v[210:211], v[214:215], v[212:213]
	v_div_scale_f64 v[212:213], null, v[210:211], v[210:211], 1.0
	v_rcp_f64_e32 v[216:217], v[212:213]
	v_fma_f64 v[219:220], -v[212:213], v[216:217], 1.0
	v_fma_f64 v[216:217], v[216:217], v[219:220], v[216:217]
	v_fma_f64 v[219:220], -v[212:213], v[216:217], 1.0
	v_fma_f64 v[216:217], v[216:217], v[219:220], v[216:217]
	v_div_scale_f64 v[219:220], vcc_lo, 1.0, v[210:211], 1.0
	v_mul_f64 v[254:255], v[219:220], v[216:217]
	v_fma_f64 v[212:213], -v[212:213], v[254:255], v[219:220]
	v_div_fmas_f64 v[212:213], v[212:213], v[216:217], v[254:255]
	v_mov_b32_e32 v254, v159
	v_mov_b32_e32 v253, v158
	v_div_fixup_f64 v[216:217], v[212:213], v[210:211], 1.0
                                        ; implicit-def: $vgpr210_vgpr211
	v_mul_f64 v[214:215], v[214:215], v[216:217]
	v_xor_b32_e32 v217, 0x80000000, v217
.LBB77_338:
	s_andn2_saveexec_b32 s1, s1
	s_cbranch_execz .LBB77_340
; %bb.339:
	v_div_scale_f64 v[214:215], null, v[210:211], v[210:211], v[212:213]
	v_mov_b32_e32 v158, v253
	v_mov_b32_e32 v159, v254
	v_div_scale_f64 v[254:255], vcc_lo, v[212:213], v[210:211], v[212:213]
	v_rcp_f64_e32 v[216:217], v[214:215]
	v_fma_f64 v[219:220], -v[214:215], v[216:217], 1.0
	v_fma_f64 v[216:217], v[216:217], v[219:220], v[216:217]
	v_fma_f64 v[219:220], -v[214:215], v[216:217], 1.0
	v_fma_f64 v[216:217], v[216:217], v[219:220], v[216:217]
	v_mul_f64 v[219:220], v[254:255], v[216:217]
	v_fma_f64 v[214:215], -v[214:215], v[219:220], v[254:255]
	v_div_fmas_f64 v[214:215], v[214:215], v[216:217], v[219:220]
	v_div_fixup_f64 v[216:217], v[214:215], v[210:211], v[212:213]
	v_fma_f64 v[210:211], v[212:213], v[216:217], v[210:211]
	v_div_scale_f64 v[212:213], null, v[210:211], v[210:211], 1.0
	v_rcp_f64_e32 v[214:215], v[212:213]
	v_fma_f64 v[219:220], -v[212:213], v[214:215], 1.0
	v_fma_f64 v[214:215], v[214:215], v[219:220], v[214:215]
	v_fma_f64 v[219:220], -v[212:213], v[214:215], 1.0
	v_fma_f64 v[214:215], v[214:215], v[219:220], v[214:215]
	v_div_scale_f64 v[219:220], vcc_lo, 1.0, v[210:211], 1.0
	v_mul_f64 v[254:255], v[219:220], v[214:215]
	v_fma_f64 v[212:213], -v[212:213], v[254:255], v[219:220]
	v_div_fmas_f64 v[212:213], v[212:213], v[214:215], v[254:255]
	v_mov_b32_e32 v254, v159
	v_mov_b32_e32 v253, v158
	v_div_fixup_f64 v[214:215], v[212:213], v[210:211], 1.0
	v_mul_f64 v[216:217], v[216:217], -v[214:215]
.LBB77_340:
	s_or_b32 exec_lo, exec_lo, s1
	ds_write2_b64 v1, v[214:215], v[216:217] offset1:1
.LBB77_341:
	s_or_b32 exec_lo, exec_lo, s2
	s_waitcnt lgkmcnt(0)
	s_barrier
	buffer_gl0_inv
	ds_read2_b64 v[210:213], v1 offset1:1
	s_mov_b32 s1, exec_lo
	v_cmpx_lt_u32_e32 37, v0
	s_cbranch_execz .LBB77_343
; %bb.342:
	s_waitcnt lgkmcnt(0)
	v_mul_f64 v[214:215], v[210:211], v[8:9]
	v_mul_f64 v[8:9], v[212:213], v[8:9]
	v_fma_f64 v[219:220], v[212:213], v[6:7], v[214:215]
	ds_read2_b64 v[214:217], v218 offset0:76 offset1:77
	v_fma_f64 v[6:7], v[210:211], v[6:7], -v[8:9]
	s_waitcnt lgkmcnt(0)
	v_mul_f64 v[8:9], v[216:217], v[219:220]
	v_fma_f64 v[8:9], v[214:215], v[6:7], -v[8:9]
	v_mul_f64 v[214:215], v[214:215], v[219:220]
	v_add_f64 v[2:3], v[2:3], -v[8:9]
	v_fma_f64 v[214:215], v[216:217], v[6:7], v[214:215]
	v_mov_b32_e32 v8, v219
	v_mov_b32_e32 v9, v220
	v_add_f64 v[4:5], v[4:5], -v[214:215]
.LBB77_343:
	s_or_b32 exec_lo, exec_lo, s1
	s_mov_b32 s2, exec_lo
	s_waitcnt lgkmcnt(0)
	s_barrier
	buffer_gl0_inv
	v_cmpx_eq_u32_e32 38, v0
	s_cbranch_execz .LBB77_350
; %bb.344:
	v_cmp_neq_f64_e32 vcc_lo, 0, v[2:3]
	v_cmp_neq_f64_e64 s1, 0, v[4:5]
	ds_write2_b64 v1, v[2:3], v[4:5] offset1:1
	s_or_b32 s1, vcc_lo, s1
	s_and_b32 exec_lo, exec_lo, s1
	s_cbranch_execz .LBB77_350
; %bb.345:
	v_cmp_ngt_f64_e64 s1, |v[2:3]|, |v[4:5]|
                                        ; implicit-def: $vgpr214_vgpr215
	s_and_saveexec_b32 s3, s1
	s_xor_b32 s1, exec_lo, s3
                                        ; implicit-def: $vgpr216_vgpr217
	s_cbranch_execz .LBB77_347
; %bb.346:
	v_div_scale_f64 v[214:215], null, v[4:5], v[4:5], v[2:3]
	v_mov_b32_e32 v158, v251
	v_mov_b32_e32 v160, v253
	;; [unrolled: 1-line block ×20, first 2 shown]
	v_rcp_f64_e32 v[216:217], v[214:215]
	v_mov_b32_e32 v237, v234
	v_mov_b32_e32 v236, v233
	;; [unrolled: 1-line block ×14, first 2 shown]
	v_div_scale_f64 v[220:221], vcc_lo, v[2:3], v[4:5], v[2:3]
	v_fma_f64 v[218:219], -v[214:215], v[216:217], 1.0
	v_fma_f64 v[216:217], v[216:217], v[218:219], v[216:217]
	v_fma_f64 v[218:219], -v[214:215], v[216:217], 1.0
	v_fma_f64 v[216:217], v[216:217], v[218:219], v[216:217]
	v_mul_f64 v[218:219], v[220:221], v[216:217]
	v_fma_f64 v[214:215], -v[214:215], v[218:219], v[220:221]
	v_div_fmas_f64 v[214:215], v[214:215], v[216:217], v[218:219]
	v_div_fixup_f64 v[214:215], v[214:215], v[4:5], v[2:3]
	v_fma_f64 v[216:217], v[2:3], v[214:215], v[4:5]
	v_div_scale_f64 v[218:219], null, v[216:217], v[216:217], 1.0
	v_rcp_f64_e32 v[220:221], v[218:219]
	v_fma_f64 v[254:255], -v[218:219], v[220:221], 1.0
	v_fma_f64 v[220:221], v[220:221], v[254:255], v[220:221]
	v_fma_f64 v[254:255], -v[218:219], v[220:221], 1.0
	v_fma_f64 v[220:221], v[220:221], v[254:255], v[220:221]
	v_div_scale_f64 v[254:255], vcc_lo, 1.0, v[216:217], 1.0
	v_mul_f64 v[222:223], v[254:255], v[220:221]
	v_fma_f64 v[218:219], -v[218:219], v[222:223], v[254:255]
	v_div_fmas_f64 v[218:219], v[218:219], v[220:221], v[222:223]
	v_mov_b32_e32 v221, v224
	v_mov_b32_e32 v222, v225
	v_mov_b32_e32 v223, v226
	v_mov_b32_e32 v224, v227
	v_mov_b32_e32 v225, v228
	v_mov_b32_e32 v226, v229
	v_mov_b32_e32 v227, v230
	v_mov_b32_e32 v228, v231
	v_mov_b32_e32 v229, v232
	v_mov_b32_e32 v230, v233
	v_mov_b32_e32 v231, v234
	v_mov_b32_e32 v232, v235
	v_mov_b32_e32 v233, v236
	v_mov_b32_e32 v234, v237
	v_mov_b32_e32 v235, v238
	v_mov_b32_e32 v236, v239
	v_mov_b32_e32 v237, v240
	v_mov_b32_e32 v238, v241
	v_mov_b32_e32 v239, v242
	v_mov_b32_e32 v240, v243
	v_mov_b32_e32 v241, v244
	v_div_fixup_f64 v[216:217], v[218:219], v[216:217], 1.0
	v_mov_b32_e32 v242, v245
	v_mov_b32_e32 v243, v246
	;; [unrolled: 1-line block ×13, first 2 shown]
	v_mul_f64 v[214:215], v[214:215], v[216:217]
	v_xor_b32_e32 v217, 0x80000000, v217
.LBB77_347:
	s_andn2_saveexec_b32 s1, s1
	s_cbranch_execz .LBB77_349
; %bb.348:
	v_div_scale_f64 v[214:215], null, v[2:3], v[2:3], v[4:5]
	v_mov_b32_e32 v160, v253
	v_mov_b32_e32 v161, v254
	;; [unrolled: 1-line block ×4, first 2 shown]
	v_div_scale_f64 v[220:221], vcc_lo, v[4:5], v[2:3], v[4:5]
	v_mov_b32_e32 v158, v251
	v_mov_b32_e32 v159, v252
	;; [unrolled: 1-line block ×14, first 2 shown]
	v_rcp_f64_e32 v[216:217], v[214:215]
	v_mov_b32_e32 v241, v238
	v_mov_b32_e32 v240, v237
	;; [unrolled: 1-line block ×16, first 2 shown]
	v_fma_f64 v[218:219], -v[214:215], v[216:217], 1.0
	v_fma_f64 v[216:217], v[216:217], v[218:219], v[216:217]
	v_fma_f64 v[218:219], -v[214:215], v[216:217], 1.0
	v_fma_f64 v[216:217], v[216:217], v[218:219], v[216:217]
	v_mul_f64 v[218:219], v[220:221], v[216:217]
	v_fma_f64 v[214:215], -v[214:215], v[218:219], v[220:221]
	v_div_fmas_f64 v[214:215], v[214:215], v[216:217], v[218:219]
	v_div_fixup_f64 v[216:217], v[214:215], v[2:3], v[4:5]
	v_fma_f64 v[214:215], v[4:5], v[216:217], v[2:3]
	v_div_scale_f64 v[218:219], null, v[214:215], v[214:215], 1.0
	v_rcp_f64_e32 v[220:221], v[218:219]
	v_fma_f64 v[222:223], -v[218:219], v[220:221], 1.0
	v_fma_f64 v[220:221], v[220:221], v[222:223], v[220:221]
	v_fma_f64 v[222:223], -v[218:219], v[220:221], 1.0
	v_fma_f64 v[220:221], v[220:221], v[222:223], v[220:221]
	v_div_scale_f64 v[222:223], vcc_lo, 1.0, v[214:215], 1.0
	v_mul_f64 v[224:225], v[222:223], v[220:221]
	v_fma_f64 v[218:219], -v[218:219], v[224:225], v[222:223]
	v_div_fmas_f64 v[218:219], v[218:219], v[220:221], v[224:225]
	v_mov_b32_e32 v223, v226
	v_mov_b32_e32 v224, v227
	;; [unrolled: 1-line block ×21, first 2 shown]
	v_div_fixup_f64 v[214:215], v[218:219], v[214:215], 1.0
	v_mov_b32_e32 v244, v247
	v_mov_b32_e32 v245, v248
	;; [unrolled: 1-line block ×13, first 2 shown]
	v_mul_f64 v[216:217], v[216:217], -v[214:215]
.LBB77_349:
	s_or_b32 exec_lo, exec_lo, s1
	ds_write2_b64 v1, v[214:215], v[216:217] offset1:1
.LBB77_350:
	s_or_b32 exec_lo, exec_lo, s2
	s_waitcnt lgkmcnt(0)
	s_barrier
	buffer_gl0_inv
	ds_read2_b64 v[214:217], v1 offset1:1
	s_mov_b32 s1, exec_lo
	v_cmpx_lt_u32_e32 38, v0
	s_cbranch_execz .LBB77_352
; %bb.351:
	s_waitcnt lgkmcnt(0)
	v_mul_f64 v[0:1], v[216:217], v[4:5]
	v_mul_f64 v[4:5], v[214:215], v[4:5]
	v_fma_f64 v[0:1], v[214:215], v[2:3], -v[0:1]
	v_fma_f64 v[4:5], v[216:217], v[2:3], v[4:5]
	v_mov_b32_e32 v3, v1
	v_mov_b32_e32 v2, v0
.LBB77_352:
	s_or_b32 exec_lo, exec_lo, s1
	s_waitcnt lgkmcnt(0)
	s_barrier
	buffer_gl0_inv
	s_and_saveexec_b32 s7, s0
	s_cbranch_execz .LBB77_355
; %bb.353:
	s_clause 0x3
	buffer_load_dword v158, off, s[16:19], 0 offset:176
	buffer_load_dword v159, off, s[16:19], 0 offset:180
	;; [unrolled: 1-line block ×4, first 2 shown]
	s_waitcnt vmcnt(2)
	v_cmp_eq_f64_e32 vcc_lo, 0, v[158:159]
	s_waitcnt vmcnt(0)
	v_cmp_eq_f64_e64 s0, 0, v[160:161]
	s_clause 0x3
	buffer_load_dword v158, off, s[16:19], 0 offset:192
	buffer_load_dword v159, off, s[16:19], 0 offset:196
	;; [unrolled: 1-line block ×4, first 2 shown]
	s_and_b32 s0, vcc_lo, s0
	v_cndmask_b32_e64 v0, 0, 1, s0
	s_waitcnt vmcnt(2)
	v_cmp_neq_f64_e64 s1, 0, v[158:159]
	s_waitcnt vmcnt(0)
	v_cmp_neq_f64_e64 s2, 0, v[160:161]
	s_clause 0x3
	buffer_load_dword v158, off, s[16:19], 0 offset:208
	buffer_load_dword v159, off, s[16:19], 0 offset:212
	;; [unrolled: 1-line block ×4, first 2 shown]
	s_or_b32 s1, s1, s2
	s_or_b32 s0, s1, s0
	v_cndmask_b32_e64 v0, 2, v0, s0
	v_cmp_eq_u32_e64 s0, 0, v0
	s_waitcnt vmcnt(2)
	v_cmp_eq_f64_e64 s3, 0, v[158:159]
	s_waitcnt vmcnt(0)
	v_cmp_eq_f64_e64 s4, 0, v[160:161]
	s_clause 0x3
	buffer_load_dword v158, off, s[16:19], 0 offset:224
	buffer_load_dword v159, off, s[16:19], 0 offset:228
	;; [unrolled: 1-line block ×4, first 2 shown]
	s_and_b32 s3, s3, s4
	s_and_b32 s0, s3, s0
	v_cndmask_b32_e64 v0, v0, 3, s0
	v_cmp_eq_u32_e64 s0, 0, v0
	s_waitcnt vmcnt(2)
	v_cmp_eq_f64_e64 s5, 0, v[158:159]
	s_waitcnt vmcnt(0)
	v_cmp_eq_f64_e32 vcc_lo, 0, v[160:161]
	s_clause 0x3
	buffer_load_dword v158, off, s[16:19], 0 offset:240
	buffer_load_dword v159, off, s[16:19], 0 offset:244
	;; [unrolled: 1-line block ×4, first 2 shown]
	s_and_b32 s5, s5, vcc_lo
	s_and_b32 s0, s5, s0
	v_cndmask_b32_e64 v0, v0, 4, s0
	v_cmp_eq_u32_e32 vcc_lo, 0, v0
	s_waitcnt vmcnt(2)
	v_cmp_eq_f64_e64 s1, 0, v[158:159]
	s_waitcnt vmcnt(0)
	v_cmp_eq_f64_e64 s2, 0, v[160:161]
	s_clause 0x3
	buffer_load_dword v158, off, s[16:19], 0 offset:256
	buffer_load_dword v159, off, s[16:19], 0 offset:260
	buffer_load_dword v160, off, s[16:19], 0 offset:264
	buffer_load_dword v161, off, s[16:19], 0 offset:268
	s_and_b32 s1, s1, s2
	s_and_b32 s1, s1, vcc_lo
	v_cndmask_b32_e64 v0, v0, 5, s1
	v_cmp_eq_u32_e32 vcc_lo, 0, v0
	s_waitcnt vmcnt(2)
	v_cmp_eq_f64_e64 s3, 0, v[158:159]
	s_waitcnt vmcnt(0)
	v_cmp_eq_f64_e64 s4, 0, v[160:161]
	s_clause 0x3
	buffer_load_dword v158, off, s[16:19], 0 offset:272
	buffer_load_dword v159, off, s[16:19], 0 offset:276
	buffer_load_dword v160, off, s[16:19], 0 offset:280
	buffer_load_dword v161, off, s[16:19], 0 offset:284
	s_and_b32 s3, s3, s4
	s_and_b32 s3, s3, vcc_lo
	;; [unrolled: 13-line block ×4, first 2 shown]
	v_cndmask_b32_e64 v0, v0, 8, s0
	v_cmp_eq_u32_e64 s1, 0, v0
	s_waitcnt vmcnt(2)
	v_cmp_eq_f64_e64 s3, 0, v[158:159]
	s_waitcnt vmcnt(0)
	v_cmp_eq_f64_e64 s4, 0, v[160:161]
	s_clause 0x3
	buffer_load_dword v158, off, s[16:19], 0 offset:320
	buffer_load_dword v159, off, s[16:19], 0 offset:324
	;; [unrolled: 1-line block ×4, first 2 shown]
	s_and_b32 s2, s3, s4
	s_and_b32 s1, s2, s1
	v_cndmask_b32_e64 v218, v0, 9, s1
	v_cmp_eq_u32_e64 s3, 0, v218
	s_waitcnt vmcnt(2)
	v_cmp_eq_f64_e64 s5, 0, v[158:159]
	s_waitcnt vmcnt(0)
	v_cmp_eq_f64_e64 s6, 0, v[160:161]
	s_clause 0x5
	buffer_load_dword v158, off, s[16:19], 0 offset:336
	buffer_load_dword v159, off, s[16:19], 0 offset:340
	;; [unrolled: 1-line block ×6, first 2 shown]
	s_and_b32 s5, s5, s6
	s_and_b32 s3, s5, s3
	v_cndmask_b32_e64 v218, v218, 10, s3
	v_cmp_eq_u32_e64 s3, 0, v218
	s_waitcnt vmcnt(4)
	v_cmp_eq_f64_e32 vcc_lo, 0, v[158:159]
	s_waitcnt vmcnt(2)
	v_cmp_eq_f64_e64 s0, 0, v[160:161]
	s_clause 0x3
	buffer_load_dword v158, off, s[16:19], 0 offset:352
	buffer_load_dword v159, off, s[16:19], 0 offset:356
	;; [unrolled: 1-line block ×4, first 2 shown]
	s_waitcnt vmcnt(4)
	v_lshlrev_b64 v[0:1], 2, v[0:1]
	v_add_co_u32 v0, s4, s10, v0
	v_add_co_ci_u32_e64 v1, null, s11, v1, s4
	global_load_dword v219, v[0:1], off
	s_and_b32 s0, vcc_lo, s0
	s_and_b32 s0, s0, s3
	v_cndmask_b32_e64 v218, v218, 11, s0
	v_cmp_eq_u32_e32 vcc_lo, 0, v218
	s_waitcnt vmcnt(3)
	v_cmp_eq_f64_e64 s1, 0, v[158:159]
	s_waitcnt vmcnt(1)
	v_cmp_eq_f64_e64 s2, 0, v[160:161]
	s_clause 0x3
	buffer_load_dword v158, off, s[16:19], 0 offset:368
	buffer_load_dword v159, off, s[16:19], 0 offset:372
	buffer_load_dword v160, off, s[16:19], 0 offset:376
	buffer_load_dword v161, off, s[16:19], 0 offset:380
	s_and_b32 s1, s1, s2
	s_and_b32 s1, s1, vcc_lo
	v_cndmask_b32_e64 v218, v218, 12, s1
	v_cmp_eq_u32_e32 vcc_lo, 0, v218
	s_waitcnt vmcnt(2)
	v_cmp_eq_f64_e64 s4, 0, v[158:159]
	s_waitcnt vmcnt(0)
	v_cmp_eq_f64_e64 s5, 0, v[160:161]
	s_clause 0x3
	buffer_load_dword v158, off, s[16:19], 0 offset:384
	buffer_load_dword v159, off, s[16:19], 0 offset:388
	buffer_load_dword v160, off, s[16:19], 0 offset:392
	buffer_load_dword v161, off, s[16:19], 0 offset:396
	s_and_b32 s4, s4, s5
	s_and_b32 s4, s4, vcc_lo
	v_cndmask_b32_e64 v218, v218, 13, s4
	v_cmp_eq_u32_e32 vcc_lo, 0, v218
	s_waitcnt vmcnt(2)
	v_cmp_eq_f64_e64 s0, 0, v[158:159]
	s_waitcnt vmcnt(0)
	v_cmp_eq_f64_e64 s3, 0, v[160:161]
	s_clause 0x3
	buffer_load_dword v158, off, s[16:19], 0 offset:400
	buffer_load_dword v159, off, s[16:19], 0 offset:404
	buffer_load_dword v160, off, s[16:19], 0 offset:408
	buffer_load_dword v161, off, s[16:19], 0 offset:412
	s_and_b32 s0, s0, s3
	s_and_b32 s0, s0, vcc_lo
	v_cndmask_b32_e64 v218, v218, 14, s0
	v_cmp_eq_u32_e32 vcc_lo, 0, v218
	s_waitcnt vmcnt(2)
	v_cmp_eq_f64_e64 s1, 0, v[158:159]
	s_waitcnt vmcnt(0)
	v_cmp_eq_f64_e64 s2, 0, v[160:161]
	s_clause 0x3
	buffer_load_dword v158, off, s[16:19], 0 offset:416
	buffer_load_dword v159, off, s[16:19], 0 offset:420
	buffer_load_dword v160, off, s[16:19], 0 offset:424
	buffer_load_dword v161, off, s[16:19], 0 offset:428
	s_and_b32 s1, s1, s2
	s_and_b32 s1, s1, vcc_lo
	v_cndmask_b32_e64 v218, v218, 15, s1
	v_cmp_eq_u32_e32 vcc_lo, 0, v218
	s_waitcnt vmcnt(2)
	v_cmp_eq_f64_e64 s4, 0, v[158:159]
	s_waitcnt vmcnt(0)
	v_cmp_eq_f64_e64 s5, 0, v[160:161]
	s_clause 0x3
	buffer_load_dword v158, off, s[16:19], 0 offset:432
	buffer_load_dword v159, off, s[16:19], 0 offset:436
	buffer_load_dword v160, off, s[16:19], 0 offset:440
	buffer_load_dword v161, off, s[16:19], 0 offset:444
	s_and_b32 s4, s4, s5
	s_and_b32 s4, s4, vcc_lo
	v_cndmask_b32_e64 v218, v218, 16, s4
	v_cmp_eq_u32_e32 vcc_lo, 0, v218
	s_waitcnt vmcnt(2)
	v_cmp_eq_f64_e64 s0, 0, v[158:159]
	s_waitcnt vmcnt(0)
	v_cmp_eq_f64_e64 s3, 0, v[160:161]
	s_clause 0x3
	buffer_load_dword v158, off, s[16:19], 0 offset:448
	buffer_load_dword v159, off, s[16:19], 0 offset:452
	buffer_load_dword v160, off, s[16:19], 0 offset:456
	buffer_load_dword v161, off, s[16:19], 0 offset:460
	s_and_b32 s0, s0, s3
	s_and_b32 s0, s0, vcc_lo
	v_cndmask_b32_e64 v218, v218, 17, s0
	v_cmp_eq_u32_e32 vcc_lo, 0, v218
	s_waitcnt vmcnt(2)
	v_cmp_eq_f64_e64 s1, 0, v[158:159]
	s_waitcnt vmcnt(0)
	v_cmp_eq_f64_e64 s2, 0, v[160:161]
	s_clause 0x3
	buffer_load_dword v158, off, s[16:19], 0 offset:464
	buffer_load_dword v159, off, s[16:19], 0 offset:468
	buffer_load_dword v160, off, s[16:19], 0 offset:472
	buffer_load_dword v161, off, s[16:19], 0 offset:476
	s_and_b32 s1, s1, s2
	s_and_b32 s1, s1, vcc_lo
	v_cndmask_b32_e64 v218, v218, 18, s1
	v_cmp_eq_u32_e32 vcc_lo, 0, v218
	s_waitcnt vmcnt(2)
	v_cmp_eq_f64_e64 s4, 0, v[158:159]
	s_waitcnt vmcnt(0)
	v_cmp_eq_f64_e64 s5, 0, v[160:161]
	s_clause 0x3
	buffer_load_dword v158, off, s[16:19], 0 offset:480
	buffer_load_dword v159, off, s[16:19], 0 offset:484
	buffer_load_dword v160, off, s[16:19], 0 offset:488
	buffer_load_dword v161, off, s[16:19], 0 offset:492
	s_and_b32 s4, s4, s5
	s_and_b32 s4, s4, vcc_lo
	v_cndmask_b32_e64 v218, v218, 19, s4
	v_cmp_eq_u32_e32 vcc_lo, 0, v218
	s_waitcnt vmcnt(2)
	v_cmp_eq_f64_e64 s0, 0, v[158:159]
	s_waitcnt vmcnt(0)
	v_cmp_eq_f64_e64 s3, 0, v[160:161]
	s_clause 0x3
	buffer_load_dword v158, off, s[16:19], 0 offset:496
	buffer_load_dword v159, off, s[16:19], 0 offset:500
	buffer_load_dword v160, off, s[16:19], 0 offset:504
	buffer_load_dword v161, off, s[16:19], 0 offset:508
	s_and_b32 s0, s0, s3
	s_and_b32 s0, s0, vcc_lo
	v_cndmask_b32_e64 v218, v218, 20, s0
	v_cmp_eq_u32_e32 vcc_lo, 0, v218
	s_waitcnt vmcnt(2)
	v_cmp_eq_f64_e64 s1, 0, v[158:159]
	s_waitcnt vmcnt(0)
	v_cmp_eq_f64_e64 s2, 0, v[160:161]
	s_clause 0x3
	buffer_load_dword v158, off, s[16:19], 0 offset:512
	buffer_load_dword v159, off, s[16:19], 0 offset:516
	buffer_load_dword v160, off, s[16:19], 0 offset:520
	buffer_load_dword v161, off, s[16:19], 0 offset:524
	s_and_b32 s1, s1, s2
	s_and_b32 s1, s1, vcc_lo
	v_cndmask_b32_e64 v218, v218, 21, s1
	v_cmp_eq_u32_e32 vcc_lo, 0, v218
	s_waitcnt vmcnt(2)
	v_cmp_eq_f64_e64 s4, 0, v[158:159]
	s_waitcnt vmcnt(0)
	v_cmp_eq_f64_e64 s5, 0, v[160:161]
	s_clause 0x3
	buffer_load_dword v158, off, s[16:19], 0 offset:528
	buffer_load_dword v159, off, s[16:19], 0 offset:532
	buffer_load_dword v160, off, s[16:19], 0 offset:536
	buffer_load_dword v161, off, s[16:19], 0 offset:540
	s_and_b32 s4, s4, s5
	s_and_b32 s4, s4, vcc_lo
	v_cndmask_b32_e64 v218, v218, 22, s4
	v_cmp_eq_u32_e32 vcc_lo, 0, v218
	s_waitcnt vmcnt(2)
	v_cmp_eq_f64_e64 s0, 0, v[158:159]
	s_waitcnt vmcnt(0)
	v_cmp_eq_f64_e64 s3, 0, v[160:161]
	s_clause 0x3
	buffer_load_dword v158, off, s[16:19], 0 offset:544
	buffer_load_dword v159, off, s[16:19], 0 offset:548
	;; [unrolled: 1-line block ×4, first 2 shown]
	s_and_b32 s0, s0, s3
	v_cmp_eq_f64_e64 s3, 0, v[164:165]
	s_and_b32 s0, s0, vcc_lo
	s_waitcnt vmcnt(2)
	v_cmp_eq_f64_e64 s1, 0, v[158:159]
	s_waitcnt vmcnt(0)
	v_cmp_eq_f64_e64 s2, 0, v[160:161]
	s_clause 0x3
	buffer_load_dword v158, off, s[16:19], 0 offset:560
	buffer_load_dword v159, off, s[16:19], 0 offset:564
	;; [unrolled: 1-line block ×4, first 2 shown]
	s_and_b32 s1, s1, s2
	v_cmp_eq_f64_e64 s2, 0, v[168:169]
	s_waitcnt vmcnt(2)
	v_cmp_eq_f64_e64 s4, 0, v[158:159]
	v_cndmask_b32_e64 v158, v218, 23, s0
	s_waitcnt vmcnt(0)
	v_cmp_eq_f64_e64 s5, 0, v[160:161]
	v_cmp_eq_f64_e64 s0, 0, v[162:163]
	v_cmp_eq_u32_e32 vcc_lo, 0, v158
	s_and_b32 s1, s1, vcc_lo
	v_cndmask_b32_e64 v158, v158, 24, s1
	v_cmp_eq_f64_e64 s1, 0, v[166:167]
	v_cmp_eq_u32_e32 vcc_lo, 0, v158
	s_and_b32 s4, s4, s5
	s_and_b32 s0, s0, s3
	s_and_b32 s4, s4, vcc_lo
	v_cmp_eq_f64_e64 s5, 0, v[172:173]
	v_cndmask_b32_e64 v158, v158, 25, s4
	v_cmp_eq_f64_e64 s4, 0, v[170:171]
	v_cmp_eq_f64_e64 s3, 0, v[176:177]
	v_cmp_eq_u32_e32 vcc_lo, 0, v158
	s_and_b32 s1, s1, s2
	v_cmp_eq_f64_e64 s2, 0, v[180:181]
	s_and_b32 s0, s0, vcc_lo
	v_cndmask_b32_e64 v158, v158, 26, s0
	v_cmp_eq_f64_e64 s0, 0, v[174:175]
	v_cmp_eq_u32_e32 vcc_lo, 0, v158
	s_and_b32 s1, s1, vcc_lo
	s_and_b32 s4, s4, s5
	v_cndmask_b32_e64 v158, v158, 27, s1
	v_cmp_eq_f64_e64 s1, 0, v[178:179]
	v_cmp_eq_f64_e64 s5, 0, v[184:185]
	v_cmp_eq_u32_e32 vcc_lo, 0, v158
	s_and_b32 s4, s4, vcc_lo
	s_and_b32 s0, s0, s3
	v_cndmask_b32_e64 v158, v158, 28, s4
	v_cmp_eq_f64_e64 s4, 0, v[182:183]
	;; [unrolled: 6-line block ×10, first 2 shown]
	v_cmp_eq_u32_e32 vcc_lo, 0, v158
	s_and_b32 s4, s4, vcc_lo
	s_and_b32 s0, s0, s3
	v_cndmask_b32_e64 v158, v158, 37, s4
	v_cmp_eq_u32_e32 vcc_lo, 0, v158
	s_and_b32 s0, s0, vcc_lo
	v_cndmask_b32_e64 v158, v158, 38, s0
	s_and_b32 s0, s1, s2
	v_cmp_eq_u32_e32 vcc_lo, 0, v158
	s_and_b32 s0, s0, vcc_lo
	v_cmp_eq_u32_e32 vcc_lo, 0, v219
	v_cndmask_b32_e64 v158, v158, 39, s0
	v_cmp_ne_u32_e64 s0, 0, v158
	s_and_b32 s0, vcc_lo, s0
	s_and_b32 exec_lo, exec_lo, s0
	s_cbranch_execz .LBB77_355
; %bb.354:
	v_add_nc_u32_e32 v158, s13, v158
	global_store_dword v[0:1], v158, off
.LBB77_355:
	s_or_b32 exec_lo, exec_lo, s7
	s_clause 0x1
	buffer_load_dword v0, off, s[16:19], 0 offset:168
	buffer_load_dword v1, off, s[16:19], 0 offset:172
	s_waitcnt vmcnt(0)
	global_store_dwordx4 v[0:1], v[154:157], off
	s_clause 0x1
	buffer_load_dword v0, off, s[16:19], 0 offset:160
	buffer_load_dword v1, off, s[16:19], 0 offset:164
	s_waitcnt vmcnt(0)
	global_store_dwordx4 v[0:1], v[150:153], off
	global_store_dwordx4 v[223:224], v[146:149], off
	;; [unrolled: 1-line block ×3, first 2 shown]
	s_clause 0x1
	buffer_load_dword v0, off, s[16:19], 0
	buffer_load_dword v1, off, s[16:19], 0 offset:4
	s_waitcnt vmcnt(0)
	global_store_dwordx4 v[0:1], v[138:141], off
	global_store_dwordx4 v[227:228], v[134:137], off
	;; [unrolled: 1-line block ×16, first 2 shown]
	s_clause 0x1
	buffer_load_dword v0, off, s[16:19], 0 offset:8
	buffer_load_dword v1, off, s[16:19], 0 offset:12
	s_waitcnt vmcnt(0)
	global_store_dwordx4 v[0:1], v[74:77], off
	s_clause 0x1
	buffer_load_dword v0, off, s[16:19], 0 offset:16
	buffer_load_dword v1, off, s[16:19], 0 offset:20
	s_waitcnt vmcnt(0)
	global_store_dwordx4 v[0:1], v[70:73], off
	;; [unrolled: 5-line block ×19, first 2 shown]
.LBB77_356:
	s_endpgm
	.section	.rodata,"a",@progbits
	.p2align	6, 0x0
	.amdhsa_kernel _ZN9rocsolver6v33100L23getf2_npvt_small_kernelILi39E19rocblas_complex_numIdEiiPS3_EEvT1_T3_lS5_lPT2_S5_S5_
		.amdhsa_group_segment_fixed_size 0
		.amdhsa_private_segment_fixed_size 588
		.amdhsa_kernarg_size 312
		.amdhsa_user_sgpr_count 6
		.amdhsa_user_sgpr_private_segment_buffer 1
		.amdhsa_user_sgpr_dispatch_ptr 0
		.amdhsa_user_sgpr_queue_ptr 0
		.amdhsa_user_sgpr_kernarg_segment_ptr 1
		.amdhsa_user_sgpr_dispatch_id 0
		.amdhsa_user_sgpr_flat_scratch_init 0
		.amdhsa_user_sgpr_private_segment_size 0
		.amdhsa_wavefront_size32 1
		.amdhsa_uses_dynamic_stack 0
		.amdhsa_system_sgpr_private_segment_wavefront_offset 1
		.amdhsa_system_sgpr_workgroup_id_x 1
		.amdhsa_system_sgpr_workgroup_id_y 1
		.amdhsa_system_sgpr_workgroup_id_z 0
		.amdhsa_system_sgpr_workgroup_info 0
		.amdhsa_system_vgpr_workitem_id 1
		.amdhsa_next_free_vgpr 256
		.amdhsa_next_free_sgpr 20
		.amdhsa_reserve_vcc 1
		.amdhsa_reserve_flat_scratch 0
		.amdhsa_float_round_mode_32 0
		.amdhsa_float_round_mode_16_64 0
		.amdhsa_float_denorm_mode_32 3
		.amdhsa_float_denorm_mode_16_64 3
		.amdhsa_dx10_clamp 1
		.amdhsa_ieee_mode 1
		.amdhsa_fp16_overflow 0
		.amdhsa_workgroup_processor_mode 1
		.amdhsa_memory_ordered 1
		.amdhsa_forward_progress 1
		.amdhsa_shared_vgpr_count 0
		.amdhsa_exception_fp_ieee_invalid_op 0
		.amdhsa_exception_fp_denorm_src 0
		.amdhsa_exception_fp_ieee_div_zero 0
		.amdhsa_exception_fp_ieee_overflow 0
		.amdhsa_exception_fp_ieee_underflow 0
		.amdhsa_exception_fp_ieee_inexact 0
		.amdhsa_exception_int_div_zero 0
	.end_amdhsa_kernel
	.section	.text._ZN9rocsolver6v33100L23getf2_npvt_small_kernelILi39E19rocblas_complex_numIdEiiPS3_EEvT1_T3_lS5_lPT2_S5_S5_,"axG",@progbits,_ZN9rocsolver6v33100L23getf2_npvt_small_kernelILi39E19rocblas_complex_numIdEiiPS3_EEvT1_T3_lS5_lPT2_S5_S5_,comdat
.Lfunc_end77:
	.size	_ZN9rocsolver6v33100L23getf2_npvt_small_kernelILi39E19rocblas_complex_numIdEiiPS3_EEvT1_T3_lS5_lPT2_S5_S5_, .Lfunc_end77-_ZN9rocsolver6v33100L23getf2_npvt_small_kernelILi39E19rocblas_complex_numIdEiiPS3_EEvT1_T3_lS5_lPT2_S5_S5_
                                        ; -- End function
	.set _ZN9rocsolver6v33100L23getf2_npvt_small_kernelILi39E19rocblas_complex_numIdEiiPS3_EEvT1_T3_lS5_lPT2_S5_S5_.num_vgpr, 256
	.set _ZN9rocsolver6v33100L23getf2_npvt_small_kernelILi39E19rocblas_complex_numIdEiiPS3_EEvT1_T3_lS5_lPT2_S5_S5_.num_agpr, 0
	.set _ZN9rocsolver6v33100L23getf2_npvt_small_kernelILi39E19rocblas_complex_numIdEiiPS3_EEvT1_T3_lS5_lPT2_S5_S5_.numbered_sgpr, 20
	.set _ZN9rocsolver6v33100L23getf2_npvt_small_kernelILi39E19rocblas_complex_numIdEiiPS3_EEvT1_T3_lS5_lPT2_S5_S5_.num_named_barrier, 0
	.set _ZN9rocsolver6v33100L23getf2_npvt_small_kernelILi39E19rocblas_complex_numIdEiiPS3_EEvT1_T3_lS5_lPT2_S5_S5_.private_seg_size, 588
	.set _ZN9rocsolver6v33100L23getf2_npvt_small_kernelILi39E19rocblas_complex_numIdEiiPS3_EEvT1_T3_lS5_lPT2_S5_S5_.uses_vcc, 1
	.set _ZN9rocsolver6v33100L23getf2_npvt_small_kernelILi39E19rocblas_complex_numIdEiiPS3_EEvT1_T3_lS5_lPT2_S5_S5_.uses_flat_scratch, 0
	.set _ZN9rocsolver6v33100L23getf2_npvt_small_kernelILi39E19rocblas_complex_numIdEiiPS3_EEvT1_T3_lS5_lPT2_S5_S5_.has_dyn_sized_stack, 0
	.set _ZN9rocsolver6v33100L23getf2_npvt_small_kernelILi39E19rocblas_complex_numIdEiiPS3_EEvT1_T3_lS5_lPT2_S5_S5_.has_recursion, 0
	.set _ZN9rocsolver6v33100L23getf2_npvt_small_kernelILi39E19rocblas_complex_numIdEiiPS3_EEvT1_T3_lS5_lPT2_S5_S5_.has_indirect_call, 0
	.section	.AMDGPU.csdata,"",@progbits
; Kernel info:
; codeLenInByte = 80968
; TotalNumSgprs: 22
; NumVgprs: 256
; ScratchSize: 588
; MemoryBound: 1
; FloatMode: 240
; IeeeMode: 1
; LDSByteSize: 0 bytes/workgroup (compile time only)
; SGPRBlocks: 0
; VGPRBlocks: 31
; NumSGPRsForWavesPerEU: 22
; NumVGPRsForWavesPerEU: 256
; Occupancy: 4
; WaveLimiterHint : 0
; COMPUTE_PGM_RSRC2:SCRATCH_EN: 1
; COMPUTE_PGM_RSRC2:USER_SGPR: 6
; COMPUTE_PGM_RSRC2:TRAP_HANDLER: 0
; COMPUTE_PGM_RSRC2:TGID_X_EN: 1
; COMPUTE_PGM_RSRC2:TGID_Y_EN: 1
; COMPUTE_PGM_RSRC2:TGID_Z_EN: 0
; COMPUTE_PGM_RSRC2:TIDIG_COMP_CNT: 1
	.section	.text._ZN9rocsolver6v33100L18getf2_small_kernelILi40E19rocblas_complex_numIdEiiPS3_EEvT1_T3_lS5_lPS5_llPT2_S5_S5_S7_l,"axG",@progbits,_ZN9rocsolver6v33100L18getf2_small_kernelILi40E19rocblas_complex_numIdEiiPS3_EEvT1_T3_lS5_lPS5_llPT2_S5_S5_S7_l,comdat
	.globl	_ZN9rocsolver6v33100L18getf2_small_kernelILi40E19rocblas_complex_numIdEiiPS3_EEvT1_T3_lS5_lPS5_llPT2_S5_S5_S7_l ; -- Begin function _ZN9rocsolver6v33100L18getf2_small_kernelILi40E19rocblas_complex_numIdEiiPS3_EEvT1_T3_lS5_lPS5_llPT2_S5_S5_S7_l
	.p2align	8
	.type	_ZN9rocsolver6v33100L18getf2_small_kernelILi40E19rocblas_complex_numIdEiiPS3_EEvT1_T3_lS5_lPS5_llPT2_S5_S5_S7_l,@function
_ZN9rocsolver6v33100L18getf2_small_kernelILi40E19rocblas_complex_numIdEiiPS3_EEvT1_T3_lS5_lPS5_llPT2_S5_S5_S7_l: ; @_ZN9rocsolver6v33100L18getf2_small_kernelILi40E19rocblas_complex_numIdEiiPS3_EEvT1_T3_lS5_lPS5_llPT2_S5_S5_S7_l
; %bb.0:
	s_clause 0x1
	s_load_dword s0, s[4:5], 0x6c
	s_load_dwordx2 s[16:17], s[4:5], 0x48
	s_waitcnt lgkmcnt(0)
	s_lshr_b32 s0, s0, 16
	v_mad_u64_u32 v[166:167], null, s7, s0, v[1:2]
	s_mov_b32 s0, exec_lo
	v_cmpx_gt_i32_e64 s16, v166
	s_cbranch_execz .LBB78_843
; %bb.1:
	s_load_dwordx4 s[0:3], s[4:5], 0x50
	v_mov_b32_e32 v168, 0
	v_ashrrev_i32_e32 v167, 31, v166
	v_mov_b32_e32 v169, 0
	s_waitcnt lgkmcnt(0)
	s_cmp_eq_u64 s[0:1], 0
	s_cselect_b32 s16, -1, 0
	s_and_b32 vcc_lo, exec_lo, s16
	s_cbranch_vccnz .LBB78_3
; %bb.2:
	v_mul_lo_u32 v4, s3, v166
	v_mul_lo_u32 v5, s2, v167
	v_mad_u64_u32 v[2:3], null, s2, v166, 0
	v_add3_u32 v3, v3, v5, v4
	v_lshlrev_b64 v[2:3], 2, v[2:3]
	v_add_co_u32 v168, vcc_lo, s0, v2
	v_add_co_ci_u32_e64 v169, null, s1, v3, vcc_lo
.LBB78_3:
	s_clause 0x2
	s_load_dwordx8 s[8:15], s[4:5], 0x20
	s_load_dword s6, s[4:5], 0x18
	s_load_dwordx4 s[0:3], s[4:5], 0x8
	v_lshlrev_b32_e32 v172, 4, v0
	s_waitcnt lgkmcnt(0)
	v_mul_lo_u32 v5, s9, v166
	v_add3_u32 v4, s6, s6, v0
	v_mul_lo_u32 v7, s8, v167
	v_mad_u64_u32 v[2:3], null, s8, v166, 0
	s_lshl_b64 s[18:19], s[2:3], 4
	v_add_nc_u32_e32 v6, s6, v4
	s_ashr_i32 s7, s6, 31
	s_load_dword s8, s[4:5], 0x0
	s_lshl_b64 s[2:3], s[6:7], 4
	s_load_dwordx2 s[4:5], s[4:5], 0x40
	v_add3_u32 v3, v3, v7, v5
	v_add_nc_u32_e32 v8, s6, v6
	v_ashrrev_i32_e32 v5, 31, v4
	v_ashrrev_i32_e32 v7, 31, v6
	v_lshlrev_b64 v[2:3], 4, v[2:3]
	v_add_nc_u32_e32 v10, s6, v8
	v_ashrrev_i32_e32 v9, 31, v8
	v_lshlrev_b64 v[4:5], 4, v[4:5]
	v_lshlrev_b64 v[6:7], 4, v[6:7]
	v_add_co_u32 v12, vcc_lo, s0, v2
	v_add_nc_u32_e32 v2, s6, v10
	v_add_co_ci_u32_e64 v3, null, s1, v3, vcc_lo
	v_add_co_u32 v173, vcc_lo, v12, s18
	v_add_nc_u32_e32 v12, s6, v2
	v_ashrrev_i32_e32 v11, 31, v10
	v_add_co_ci_u32_e64 v174, null, s19, v3, vcc_lo
	v_lshlrev_b64 v[8:9], 4, v[8:9]
	v_add_co_u32 v14, vcc_lo, v173, v172
	v_add_nc_u32_e32 v16, s6, v12
	v_ashrrev_i32_e32 v3, 31, v2
	v_lshlrev_b64 v[10:11], 4, v[10:11]
	v_add_co_ci_u32_e64 v15, null, 0, v174, vcc_lo
	v_add_co_u32 v4, vcc_lo, v173, v4
	v_ashrrev_i32_e32 v13, 31, v12
	v_add_co_ci_u32_e64 v5, null, v174, v5, vcc_lo
	v_add_co_u32 v6, vcc_lo, v173, v6
	v_add_nc_u32_e32 v18, s6, v16
	v_lshlrev_b64 v[2:3], 4, v[2:3]
	v_add_co_ci_u32_e64 v7, null, v174, v7, vcc_lo
	v_add_co_u32 v8, vcc_lo, v173, v8
	v_add_co_ci_u32_e64 v9, null, v174, v9, vcc_lo
	v_add_co_u32 v10, vcc_lo, v173, v10
	v_lshlrev_b64 v[12:13], 4, v[12:13]
	v_add_co_ci_u32_e64 v11, null, v174, v11, vcc_lo
	v_ashrrev_i32_e32 v17, 31, v16
	v_add_co_u32 v20, vcc_lo, v14, s2
	s_clause 0x1
	global_load_dwordx4 v[150:153], v[4:5], off
	global_load_dwordx4 v[142:145], v[6:7], off
	v_add_nc_u32_e32 v6, s6, v18
	v_add_co_ci_u32_e64 v21, null, s3, v15, vcc_lo
	v_add_co_u32 v2, vcc_lo, v173, v2
	v_ashrrev_i32_e32 v19, 31, v18
	v_add_co_ci_u32_e64 v3, null, v174, v3, vcc_lo
	s_clause 0x1
	global_load_dwordx4 v[146:149], v[8:9], off
	global_load_dwordx4 v[130:133], v[10:11], off
	v_add_co_u32 v8, vcc_lo, v173, v12
	v_lshlrev_b64 v[4:5], 4, v[16:17]
	v_ashrrev_i32_e32 v7, 31, v6
	v_add_nc_u32_e32 v12, s6, v6
	v_add_co_ci_u32_e64 v9, null, v174, v13, vcc_lo
	v_lshlrev_b64 v[10:11], 4, v[18:19]
	s_clause 0x3
	global_load_dwordx4 v[154:157], v[14:15], off
	global_load_dwordx4 v[158:161], v[20:21], off
	;; [unrolled: 1-line block ×4, first 2 shown]
	v_lshlrev_b64 v[2:3], 4, v[6:7]
	v_ashrrev_i32_e32 v13, 31, v12
	v_add_nc_u32_e32 v6, s6, v12
	v_add_co_u32 v4, vcc_lo, v173, v4
	v_add_co_ci_u32_e64 v5, null, v174, v5, vcc_lo
	v_add_co_u32 v8, vcc_lo, v173, v10
	v_add_co_ci_u32_e64 v9, null, v174, v11, vcc_lo
	v_lshlrev_b64 v[10:11], 4, v[12:13]
	v_ashrrev_i32_e32 v7, 31, v6
	v_add_nc_u32_e32 v12, s6, v6
	s_clause 0x1
	global_load_dwordx4 v[126:129], v[4:5], off
	global_load_dwordx4 v[122:125], v[8:9], off
	v_add_co_u32 v2, vcc_lo, v173, v2
	v_lshlrev_b64 v[4:5], 4, v[6:7]
	v_ashrrev_i32_e32 v13, 31, v12
	v_add_nc_u32_e32 v6, s6, v12
	v_add_co_ci_u32_e64 v3, null, v174, v3, vcc_lo
	v_add_co_u32 v8, vcc_lo, v173, v10
	v_add_co_ci_u32_e64 v9, null, v174, v11, vcc_lo
	v_lshlrev_b64 v[10:11], 4, v[12:13]
	v_ashrrev_i32_e32 v7, 31, v6
	v_add_nc_u32_e32 v12, s6, v6
	s_clause 0x1
	global_load_dwordx4 v[114:117], v[2:3], off
	global_load_dwordx4 v[110:113], v[8:9], off
	v_add_co_u32 v4, vcc_lo, v173, v4
	v_lshlrev_b64 v[2:3], 4, v[6:7]
	v_ashrrev_i32_e32 v13, 31, v12
	v_add_nc_u32_e32 v6, s6, v12
	;; [unrolled: 13-line block ×10, first 2 shown]
	v_add_co_ci_u32_e64 v5, null, v174, v5, vcc_lo
	v_add_co_u32 v8, vcc_lo, v173, v10
	v_add_co_ci_u32_e64 v9, null, v174, v11, vcc_lo
	v_lshlrev_b64 v[10:11], 4, v[12:13]
	v_add_nc_u32_e32 v12, s6, v6
	v_ashrrev_i32_e32 v7, 31, v6
	v_add_co_u32 v2, vcc_lo, v173, v2
	v_add_co_ci_u32_e64 v3, null, v174, v3, vcc_lo
	v_add_nc_u32_e32 v14, s6, v12
	v_ashrrev_i32_e32 v13, 31, v12
	v_lshlrev_b64 v[6:7], 4, v[6:7]
	v_add_co_u32 v10, vcc_lo, v173, v10
	v_add_nc_u32_e32 v16, s6, v14
	v_ashrrev_i32_e32 v15, 31, v14
	v_lshlrev_b64 v[12:13], 4, v[12:13]
	v_add_co_ci_u32_e64 v11, null, v174, v11, vcc_lo
	v_add_nc_u32_e32 v18, s6, v16
	v_ashrrev_i32_e32 v17, 31, v16
	v_lshlrev_b64 v[14:15], 4, v[14:15]
	v_add_co_u32 v6, vcc_lo, v173, v6
	v_add_nc_u32_e32 v20, s6, v18
	v_ashrrev_i32_e32 v19, 31, v18
	v_lshlrev_b64 v[16:17], 4, v[16:17]
	v_add_co_ci_u32_e64 v7, null, v174, v7, vcc_lo
	v_add_nc_u32_e32 v22, s6, v20
	v_ashrrev_i32_e32 v21, 31, v20
	v_add_co_u32 v12, vcc_lo, v173, v12
	v_lshlrev_b64 v[18:19], 4, v[18:19]
	v_add_nc_u32_e32 v24, s6, v22
	v_add_co_ci_u32_e64 v13, null, v174, v13, vcc_lo
	v_add_co_u32 v14, vcc_lo, v173, v14
	v_lshlrev_b64 v[20:21], 4, v[20:21]
	v_ashrrev_i32_e32 v23, 31, v22
	v_add_co_ci_u32_e64 v15, null, v174, v15, vcc_lo
	v_add_co_u32 v16, vcc_lo, v173, v16
	v_ashrrev_i32_e32 v25, 31, v24
	v_add_co_ci_u32_e64 v17, null, v174, v17, vcc_lo
	v_add_co_u32 v162, vcc_lo, v173, v18
	v_add_co_ci_u32_e64 v163, null, v174, v19, vcc_lo
	v_lshlrev_b64 v[18:19], 4, v[22:23]
	v_add_co_u32 v164, vcc_lo, v173, v20
	v_add_co_ci_u32_e64 v165, null, v174, v21, vcc_lo
	v_lshlrev_b64 v[20:21], 4, v[24:25]
	v_add_co_u32 v170, vcc_lo, v173, v18
	v_add_co_ci_u32_e64 v171, null, v174, v19, vcc_lo
	s_waitcnt lgkmcnt(0)
	s_max_i32 s0, s8, 40
	v_add_co_u32 v175, vcc_lo, v173, v20
	v_add_co_ci_u32_e64 v176, null, v174, v21, vcc_lo
	s_clause 0xb
	global_load_dwordx4 v[58:61], v[4:5], off
	global_load_dwordx4 v[54:57], v[8:9], off
	;; [unrolled: 1-line block ×12, first 2 shown]
	v_mul_lo_u32 v170, s0, v1
	s_cmp_lt_i32 s8, 2
	v_lshl_add_u32 v1, v170, 4, 0
	v_add_nc_u32_e32 v162, v1, v172
	v_lshlrev_b32_e32 v172, 4, v170
	v_mov_b32_e32 v170, 0
	s_waitcnt vmcnt(35)
	ds_write2_b64 v162, v[154:155], v[156:157] offset1:1
	s_waitcnt vmcnt(0) lgkmcnt(0)
	s_barrier
	buffer_gl0_inv
	ds_read2_b64 v[162:165], v1 offset1:1
	s_cbranch_scc1 .LBB78_6
; %bb.4:
	v_add3_u32 v171, v172, 0, 16
	v_mov_b32_e32 v170, 0
	s_mov_b32 s1, 1
	s_inst_prefetch 0x1
	.p2align	6
.LBB78_5:                               ; =>This Inner Loop Header: Depth=1
	s_waitcnt lgkmcnt(0)
	v_cmp_gt_f64_e32 vcc_lo, 0, v[164:165]
	v_cmp_gt_f64_e64 s0, 0, v[162:163]
	ds_read2_b64 v[175:178], v171 offset1:1
	v_xor_b32_e32 v180, 0x80000000, v163
	v_xor_b32_e32 v182, 0x80000000, v165
	v_mov_b32_e32 v179, v162
	v_mov_b32_e32 v181, v164
	v_add_nc_u32_e32 v171, 16, v171
	s_waitcnt lgkmcnt(0)
	v_xor_b32_e32 v184, 0x80000000, v178
	v_cndmask_b32_e64 v180, v163, v180, s0
	v_cndmask_b32_e32 v182, v165, v182, vcc_lo
	v_cmp_gt_f64_e32 vcc_lo, 0, v[177:178]
	v_cmp_gt_f64_e64 s0, 0, v[175:176]
	v_mov_b32_e32 v183, v177
	v_add_f64 v[179:180], v[179:180], v[181:182]
	v_xor_b32_e32 v182, 0x80000000, v176
	v_mov_b32_e32 v181, v175
	v_cndmask_b32_e32 v184, v178, v184, vcc_lo
	v_cndmask_b32_e64 v182, v176, v182, s0
	v_add_f64 v[181:182], v[181:182], v[183:184]
	v_cmp_lt_f64_e32 vcc_lo, v[179:180], v[181:182]
	v_cndmask_b32_e32 v163, v163, v176, vcc_lo
	v_cndmask_b32_e32 v162, v162, v175, vcc_lo
	;; [unrolled: 1-line block ×4, first 2 shown]
	v_cndmask_b32_e64 v170, v170, s1, vcc_lo
	s_add_i32 s1, s1, 1
	s_cmp_eq_u32 s8, s1
	s_cbranch_scc0 .LBB78_5
.LBB78_6:
	s_inst_prefetch 0x2
	s_waitcnt lgkmcnt(0)
	v_cmp_neq_f64_e32 vcc_lo, 0, v[162:163]
	v_cmp_neq_f64_e64 s0, 0, v[164:165]
	v_mov_b32_e32 v175, 1
	v_mov_b32_e32 v177, 1
	s_or_b32 s1, vcc_lo, s0
	s_and_saveexec_b32 s0, s1
	s_cbranch_execz .LBB78_12
; %bb.7:
	v_cmp_ngt_f64_e64 s1, |v[162:163]|, |v[164:165]|
	s_and_saveexec_b32 s7, s1
	s_xor_b32 s1, exec_lo, s7
	s_cbranch_execz .LBB78_9
; %bb.8:
	v_div_scale_f64 v[175:176], null, v[164:165], v[164:165], v[162:163]
	v_div_scale_f64 v[181:182], vcc_lo, v[162:163], v[164:165], v[162:163]
	v_rcp_f64_e32 v[177:178], v[175:176]
	v_fma_f64 v[179:180], -v[175:176], v[177:178], 1.0
	v_fma_f64 v[177:178], v[177:178], v[179:180], v[177:178]
	v_fma_f64 v[179:180], -v[175:176], v[177:178], 1.0
	v_fma_f64 v[177:178], v[177:178], v[179:180], v[177:178]
	v_mul_f64 v[179:180], v[181:182], v[177:178]
	v_fma_f64 v[175:176], -v[175:176], v[179:180], v[181:182]
	v_div_fmas_f64 v[175:176], v[175:176], v[177:178], v[179:180]
	v_div_fixup_f64 v[175:176], v[175:176], v[164:165], v[162:163]
	v_fma_f64 v[162:163], v[162:163], v[175:176], v[164:165]
	v_div_scale_f64 v[164:165], null, v[162:163], v[162:163], 1.0
	v_rcp_f64_e32 v[177:178], v[164:165]
	v_fma_f64 v[179:180], -v[164:165], v[177:178], 1.0
	v_fma_f64 v[177:178], v[177:178], v[179:180], v[177:178]
	v_fma_f64 v[179:180], -v[164:165], v[177:178], 1.0
	v_fma_f64 v[177:178], v[177:178], v[179:180], v[177:178]
	v_div_scale_f64 v[179:180], vcc_lo, 1.0, v[162:163], 1.0
	v_mul_f64 v[181:182], v[179:180], v[177:178]
	v_fma_f64 v[164:165], -v[164:165], v[181:182], v[179:180]
	v_div_fmas_f64 v[164:165], v[164:165], v[177:178], v[181:182]
	v_div_fixup_f64 v[164:165], v[164:165], v[162:163], 1.0
	v_mul_f64 v[162:163], v[175:176], v[164:165]
	v_xor_b32_e32 v165, 0x80000000, v165
.LBB78_9:
	s_andn2_saveexec_b32 s1, s1
	s_cbranch_execz .LBB78_11
; %bb.10:
	v_div_scale_f64 v[175:176], null, v[162:163], v[162:163], v[164:165]
	v_div_scale_f64 v[181:182], vcc_lo, v[164:165], v[162:163], v[164:165]
	v_rcp_f64_e32 v[177:178], v[175:176]
	v_fma_f64 v[179:180], -v[175:176], v[177:178], 1.0
	v_fma_f64 v[177:178], v[177:178], v[179:180], v[177:178]
	v_fma_f64 v[179:180], -v[175:176], v[177:178], 1.0
	v_fma_f64 v[177:178], v[177:178], v[179:180], v[177:178]
	v_mul_f64 v[179:180], v[181:182], v[177:178]
	v_fma_f64 v[175:176], -v[175:176], v[179:180], v[181:182]
	v_div_fmas_f64 v[175:176], v[175:176], v[177:178], v[179:180]
	v_div_fixup_f64 v[175:176], v[175:176], v[162:163], v[164:165]
	v_fma_f64 v[162:163], v[164:165], v[175:176], v[162:163]
	v_div_scale_f64 v[164:165], null, v[162:163], v[162:163], 1.0
	v_rcp_f64_e32 v[177:178], v[164:165]
	v_fma_f64 v[179:180], -v[164:165], v[177:178], 1.0
	v_fma_f64 v[177:178], v[177:178], v[179:180], v[177:178]
	v_fma_f64 v[179:180], -v[164:165], v[177:178], 1.0
	v_fma_f64 v[177:178], v[177:178], v[179:180], v[177:178]
	v_div_scale_f64 v[179:180], vcc_lo, 1.0, v[162:163], 1.0
	v_mul_f64 v[181:182], v[179:180], v[177:178]
	v_fma_f64 v[164:165], -v[164:165], v[181:182], v[179:180]
	v_div_fmas_f64 v[164:165], v[164:165], v[177:178], v[181:182]
	v_div_fixup_f64 v[162:163], v[164:165], v[162:163], 1.0
	v_mul_f64 v[164:165], v[175:176], -v[162:163]
.LBB78_11:
	s_or_b32 exec_lo, exec_lo, s1
	v_mov_b32_e32 v177, 0
	v_mov_b32_e32 v175, 2
.LBB78_12:
	s_or_b32 exec_lo, exec_lo, s0
	s_mov_b32 s0, exec_lo
	v_cmpx_ne_u32_e64 v0, v170
	s_xor_b32 s0, exec_lo, s0
	s_cbranch_execz .LBB78_18
; %bb.13:
	s_mov_b32 s1, exec_lo
	v_cmpx_eq_u32_e32 0, v0
	s_cbranch_execz .LBB78_17
; %bb.14:
	v_cmp_ne_u32_e32 vcc_lo, 0, v170
	s_xor_b32 s7, s16, -1
	s_and_b32 s9, s7, vcc_lo
	s_and_saveexec_b32 s7, s9
	s_cbranch_execz .LBB78_16
; %bb.15:
	v_ashrrev_i32_e32 v171, 31, v170
	v_lshlrev_b64 v[178:179], 2, v[170:171]
	v_add_co_u32 v178, vcc_lo, v168, v178
	v_add_co_ci_u32_e64 v179, null, v169, v179, vcc_lo
	s_clause 0x1
	global_load_dword v0, v[178:179], off
	global_load_dword v171, v[168:169], off
	s_waitcnt vmcnt(1)
	global_store_dword v[168:169], v0, off
	s_waitcnt vmcnt(0)
	global_store_dword v[178:179], v171, off
.LBB78_16:
	s_or_b32 exec_lo, exec_lo, s7
	v_mov_b32_e32 v0, v170
.LBB78_17:
	s_or_b32 exec_lo, exec_lo, s1
.LBB78_18:
	s_or_saveexec_b32 s0, s0
	v_mov_b32_e32 v176, v0
	s_xor_b32 exec_lo, exec_lo, s0
	s_cbranch_execz .LBB78_20
; %bb.19:
	v_mov_b32_e32 v176, 0
	ds_write2_b64 v1, v[158:159], v[160:161] offset0:2 offset1:3
	ds_write2_b64 v1, v[150:151], v[152:153] offset0:4 offset1:5
	;; [unrolled: 1-line block ×39, first 2 shown]
.LBB78_20:
	s_or_b32 exec_lo, exec_lo, s0
	s_mov_b32 s0, exec_lo
	s_waitcnt lgkmcnt(0)
	s_waitcnt_vscnt null, 0x0
	s_barrier
	buffer_gl0_inv
	v_cmpx_lt_i32_e32 0, v176
	s_cbranch_execz .LBB78_22
; %bb.21:
	v_mul_f64 v[170:171], v[164:165], v[156:157]
	v_mul_f64 v[156:157], v[162:163], v[156:157]
	v_fma_f64 v[170:171], v[162:163], v[154:155], -v[170:171]
	v_fma_f64 v[156:157], v[164:165], v[154:155], v[156:157]
	ds_read2_b64 v[162:165], v1 offset0:2 offset1:3
	s_waitcnt lgkmcnt(0)
	v_mul_f64 v[154:155], v[164:165], v[156:157]
	v_fma_f64 v[154:155], v[162:163], v[170:171], -v[154:155]
	v_mul_f64 v[162:163], v[162:163], v[156:157]
	v_add_f64 v[158:159], v[158:159], -v[154:155]
	v_fma_f64 v[162:163], v[164:165], v[170:171], v[162:163]
	v_add_f64 v[160:161], v[160:161], -v[162:163]
	ds_read2_b64 v[162:165], v1 offset0:4 offset1:5
	s_waitcnt lgkmcnt(0)
	v_mul_f64 v[154:155], v[164:165], v[156:157]
	v_fma_f64 v[154:155], v[162:163], v[170:171], -v[154:155]
	v_mul_f64 v[162:163], v[162:163], v[156:157]
	v_add_f64 v[150:151], v[150:151], -v[154:155]
	v_fma_f64 v[162:163], v[164:165], v[170:171], v[162:163]
	v_add_f64 v[152:153], v[152:153], -v[162:163]
	;; [unrolled: 8-line block ×38, first 2 shown]
	ds_read2_b64 v[162:165], v1 offset0:78 offset1:79
	s_waitcnt lgkmcnt(0)
	v_mul_f64 v[154:155], v[164:165], v[156:157]
	v_fma_f64 v[154:155], v[162:163], v[170:171], -v[154:155]
	v_mul_f64 v[162:163], v[162:163], v[156:157]
	v_add_f64 v[2:3], v[2:3], -v[154:155]
	v_fma_f64 v[162:163], v[164:165], v[170:171], v[162:163]
	v_mov_b32_e32 v154, v170
	v_mov_b32_e32 v155, v171
	v_add_f64 v[4:5], v[4:5], -v[162:163]
.LBB78_22:
	s_or_b32 exec_lo, exec_lo, s0
	v_lshl_add_u32 v162, v176, 4, v1
	s_barrier
	buffer_gl0_inv
	v_mov_b32_e32 v170, 1
	ds_write2_b64 v162, v[158:159], v[160:161] offset1:1
	s_waitcnt lgkmcnt(0)
	s_barrier
	buffer_gl0_inv
	ds_read2_b64 v[162:165], v1 offset0:2 offset1:3
	s_cmp_lt_i32 s8, 3
	s_cbranch_scc1 .LBB78_25
; %bb.23:
	v_add3_u32 v171, v172, 0, 32
	v_mov_b32_e32 v170, 1
	s_mov_b32 s1, 2
	s_inst_prefetch 0x1
	.p2align	6
.LBB78_24:                              ; =>This Inner Loop Header: Depth=1
	s_waitcnt lgkmcnt(0)
	v_cmp_gt_f64_e32 vcc_lo, 0, v[164:165]
	v_cmp_gt_f64_e64 s0, 0, v[162:163]
	ds_read2_b64 v[178:181], v171 offset1:1
	v_xor_b32_e32 v183, 0x80000000, v163
	v_xor_b32_e32 v185, 0x80000000, v165
	v_mov_b32_e32 v182, v162
	v_mov_b32_e32 v184, v164
	v_add_nc_u32_e32 v171, 16, v171
	s_waitcnt lgkmcnt(0)
	v_xor_b32_e32 v187, 0x80000000, v181
	v_cndmask_b32_e64 v183, v163, v183, s0
	v_cndmask_b32_e32 v185, v165, v185, vcc_lo
	v_cmp_gt_f64_e32 vcc_lo, 0, v[180:181]
	v_cmp_gt_f64_e64 s0, 0, v[178:179]
	v_mov_b32_e32 v186, v180
	v_add_f64 v[182:183], v[182:183], v[184:185]
	v_xor_b32_e32 v185, 0x80000000, v179
	v_mov_b32_e32 v184, v178
	v_cndmask_b32_e32 v187, v181, v187, vcc_lo
	v_cndmask_b32_e64 v185, v179, v185, s0
	v_add_f64 v[184:185], v[184:185], v[186:187]
	v_cmp_lt_f64_e32 vcc_lo, v[182:183], v[184:185]
	v_cndmask_b32_e32 v163, v163, v179, vcc_lo
	v_cndmask_b32_e32 v162, v162, v178, vcc_lo
	;; [unrolled: 1-line block ×4, first 2 shown]
	v_cndmask_b32_e64 v170, v170, s1, vcc_lo
	s_add_i32 s1, s1, 1
	s_cmp_lg_u32 s8, s1
	s_cbranch_scc1 .LBB78_24
.LBB78_25:
	s_inst_prefetch 0x2
	s_waitcnt lgkmcnt(0)
	v_cmp_neq_f64_e32 vcc_lo, 0, v[162:163]
	v_cmp_neq_f64_e64 s0, 0, v[164:165]
	s_or_b32 s1, vcc_lo, s0
	s_and_saveexec_b32 s0, s1
	s_cbranch_execz .LBB78_31
; %bb.26:
	v_cmp_ngt_f64_e64 s1, |v[162:163]|, |v[164:165]|
	s_and_saveexec_b32 s7, s1
	s_xor_b32 s1, exec_lo, s7
	s_cbranch_execz .LBB78_28
; %bb.27:
	v_div_scale_f64 v[178:179], null, v[164:165], v[164:165], v[162:163]
	v_div_scale_f64 v[184:185], vcc_lo, v[162:163], v[164:165], v[162:163]
	v_rcp_f64_e32 v[180:181], v[178:179]
	v_fma_f64 v[182:183], -v[178:179], v[180:181], 1.0
	v_fma_f64 v[180:181], v[180:181], v[182:183], v[180:181]
	v_fma_f64 v[182:183], -v[178:179], v[180:181], 1.0
	v_fma_f64 v[180:181], v[180:181], v[182:183], v[180:181]
	v_mul_f64 v[182:183], v[184:185], v[180:181]
	v_fma_f64 v[178:179], -v[178:179], v[182:183], v[184:185]
	v_div_fmas_f64 v[178:179], v[178:179], v[180:181], v[182:183]
	v_div_fixup_f64 v[178:179], v[178:179], v[164:165], v[162:163]
	v_fma_f64 v[162:163], v[162:163], v[178:179], v[164:165]
	v_div_scale_f64 v[164:165], null, v[162:163], v[162:163], 1.0
	v_rcp_f64_e32 v[180:181], v[164:165]
	v_fma_f64 v[182:183], -v[164:165], v[180:181], 1.0
	v_fma_f64 v[180:181], v[180:181], v[182:183], v[180:181]
	v_fma_f64 v[182:183], -v[164:165], v[180:181], 1.0
	v_fma_f64 v[180:181], v[180:181], v[182:183], v[180:181]
	v_div_scale_f64 v[182:183], vcc_lo, 1.0, v[162:163], 1.0
	v_mul_f64 v[184:185], v[182:183], v[180:181]
	v_fma_f64 v[164:165], -v[164:165], v[184:185], v[182:183]
	v_div_fmas_f64 v[164:165], v[164:165], v[180:181], v[184:185]
	v_div_fixup_f64 v[164:165], v[164:165], v[162:163], 1.0
	v_mul_f64 v[162:163], v[178:179], v[164:165]
	v_xor_b32_e32 v165, 0x80000000, v165
.LBB78_28:
	s_andn2_saveexec_b32 s1, s1
	s_cbranch_execz .LBB78_30
; %bb.29:
	v_div_scale_f64 v[178:179], null, v[162:163], v[162:163], v[164:165]
	v_div_scale_f64 v[184:185], vcc_lo, v[164:165], v[162:163], v[164:165]
	v_rcp_f64_e32 v[180:181], v[178:179]
	v_fma_f64 v[182:183], -v[178:179], v[180:181], 1.0
	v_fma_f64 v[180:181], v[180:181], v[182:183], v[180:181]
	v_fma_f64 v[182:183], -v[178:179], v[180:181], 1.0
	v_fma_f64 v[180:181], v[180:181], v[182:183], v[180:181]
	v_mul_f64 v[182:183], v[184:185], v[180:181]
	v_fma_f64 v[178:179], -v[178:179], v[182:183], v[184:185]
	v_div_fmas_f64 v[178:179], v[178:179], v[180:181], v[182:183]
	v_div_fixup_f64 v[178:179], v[178:179], v[162:163], v[164:165]
	v_fma_f64 v[162:163], v[164:165], v[178:179], v[162:163]
	v_div_scale_f64 v[164:165], null, v[162:163], v[162:163], 1.0
	v_rcp_f64_e32 v[180:181], v[164:165]
	v_fma_f64 v[182:183], -v[164:165], v[180:181], 1.0
	v_fma_f64 v[180:181], v[180:181], v[182:183], v[180:181]
	v_fma_f64 v[182:183], -v[164:165], v[180:181], 1.0
	v_fma_f64 v[180:181], v[180:181], v[182:183], v[180:181]
	v_div_scale_f64 v[182:183], vcc_lo, 1.0, v[162:163], 1.0
	v_mul_f64 v[184:185], v[182:183], v[180:181]
	v_fma_f64 v[164:165], -v[164:165], v[184:185], v[182:183]
	v_div_fmas_f64 v[164:165], v[164:165], v[180:181], v[184:185]
	v_div_fixup_f64 v[162:163], v[164:165], v[162:163], 1.0
	v_mul_f64 v[164:165], v[178:179], -v[162:163]
.LBB78_30:
	s_or_b32 exec_lo, exec_lo, s1
	v_mov_b32_e32 v175, v177
.LBB78_31:
	s_or_b32 exec_lo, exec_lo, s0
	s_mov_b32 s0, exec_lo
	v_cmpx_ne_u32_e64 v176, v170
	s_xor_b32 s0, exec_lo, s0
	s_cbranch_execz .LBB78_37
; %bb.32:
	s_mov_b32 s1, exec_lo
	v_cmpx_eq_u32_e32 1, v176
	s_cbranch_execz .LBB78_36
; %bb.33:
	v_cmp_ne_u32_e32 vcc_lo, 1, v170
	s_xor_b32 s7, s16, -1
	s_and_b32 s9, s7, vcc_lo
	s_and_saveexec_b32 s7, s9
	s_cbranch_execz .LBB78_35
; %bb.34:
	v_ashrrev_i32_e32 v171, 31, v170
	v_lshlrev_b64 v[176:177], 2, v[170:171]
	v_add_co_u32 v176, vcc_lo, v168, v176
	v_add_co_ci_u32_e64 v177, null, v169, v177, vcc_lo
	s_clause 0x1
	global_load_dword v0, v[176:177], off
	global_load_dword v171, v[168:169], off offset:4
	s_waitcnt vmcnt(1)
	global_store_dword v[168:169], v0, off offset:4
	s_waitcnt vmcnt(0)
	global_store_dword v[176:177], v171, off
.LBB78_35:
	s_or_b32 exec_lo, exec_lo, s7
	v_mov_b32_e32 v176, v170
	v_mov_b32_e32 v0, v170
.LBB78_36:
	s_or_b32 exec_lo, exec_lo, s1
.LBB78_37:
	s_andn2_saveexec_b32 s0, s0
	s_cbranch_execz .LBB78_39
; %bb.38:
	v_mov_b32_e32 v176, 1
	ds_write2_b64 v1, v[150:151], v[152:153] offset0:4 offset1:5
	ds_write2_b64 v1, v[142:143], v[144:145] offset0:6 offset1:7
	;; [unrolled: 1-line block ×38, first 2 shown]
.LBB78_39:
	s_or_b32 exec_lo, exec_lo, s0
	s_mov_b32 s0, exec_lo
	s_waitcnt lgkmcnt(0)
	s_waitcnt_vscnt null, 0x0
	s_barrier
	buffer_gl0_inv
	v_cmpx_lt_i32_e32 1, v176
	s_cbranch_execz .LBB78_41
; %bb.40:
	v_mul_f64 v[170:171], v[164:165], v[160:161]
	v_mul_f64 v[160:161], v[162:163], v[160:161]
	v_fma_f64 v[170:171], v[162:163], v[158:159], -v[170:171]
	v_fma_f64 v[160:161], v[164:165], v[158:159], v[160:161]
	ds_read2_b64 v[162:165], v1 offset0:4 offset1:5
	s_waitcnt lgkmcnt(0)
	v_mul_f64 v[158:159], v[164:165], v[160:161]
	v_fma_f64 v[158:159], v[162:163], v[170:171], -v[158:159]
	v_mul_f64 v[162:163], v[162:163], v[160:161]
	v_add_f64 v[150:151], v[150:151], -v[158:159]
	v_fma_f64 v[162:163], v[164:165], v[170:171], v[162:163]
	v_add_f64 v[152:153], v[152:153], -v[162:163]
	ds_read2_b64 v[162:165], v1 offset0:6 offset1:7
	s_waitcnt lgkmcnt(0)
	v_mul_f64 v[158:159], v[164:165], v[160:161]
	v_fma_f64 v[158:159], v[162:163], v[170:171], -v[158:159]
	v_mul_f64 v[162:163], v[162:163], v[160:161]
	v_add_f64 v[142:143], v[142:143], -v[158:159]
	v_fma_f64 v[162:163], v[164:165], v[170:171], v[162:163]
	v_add_f64 v[144:145], v[144:145], -v[162:163]
	;; [unrolled: 8-line block ×37, first 2 shown]
	ds_read2_b64 v[162:165], v1 offset0:78 offset1:79
	s_waitcnt lgkmcnt(0)
	v_mul_f64 v[158:159], v[164:165], v[160:161]
	v_fma_f64 v[158:159], v[162:163], v[170:171], -v[158:159]
	v_mul_f64 v[162:163], v[162:163], v[160:161]
	v_add_f64 v[2:3], v[2:3], -v[158:159]
	v_fma_f64 v[162:163], v[164:165], v[170:171], v[162:163]
	v_mov_b32_e32 v158, v170
	v_mov_b32_e32 v159, v171
	v_add_f64 v[4:5], v[4:5], -v[162:163]
.LBB78_41:
	s_or_b32 exec_lo, exec_lo, s0
	v_lshl_add_u32 v162, v176, 4, v1
	s_barrier
	buffer_gl0_inv
	v_mov_b32_e32 v170, 2
	ds_write2_b64 v162, v[150:151], v[152:153] offset1:1
	s_waitcnt lgkmcnt(0)
	s_barrier
	buffer_gl0_inv
	ds_read2_b64 v[162:165], v1 offset0:4 offset1:5
	s_cmp_lt_i32 s8, 4
	s_cbranch_scc1 .LBB78_44
; %bb.42:
	v_add3_u32 v171, v172, 0, 48
	v_mov_b32_e32 v170, 2
	s_mov_b32 s1, 3
	s_inst_prefetch 0x1
	.p2align	6
.LBB78_43:                              ; =>This Inner Loop Header: Depth=1
	s_waitcnt lgkmcnt(0)
	v_cmp_gt_f64_e32 vcc_lo, 0, v[164:165]
	v_cmp_gt_f64_e64 s0, 0, v[162:163]
	ds_read2_b64 v[177:180], v171 offset1:1
	v_xor_b32_e32 v182, 0x80000000, v163
	v_xor_b32_e32 v184, 0x80000000, v165
	v_mov_b32_e32 v181, v162
	v_mov_b32_e32 v183, v164
	v_add_nc_u32_e32 v171, 16, v171
	s_waitcnt lgkmcnt(0)
	v_xor_b32_e32 v186, 0x80000000, v180
	v_cndmask_b32_e64 v182, v163, v182, s0
	v_cndmask_b32_e32 v184, v165, v184, vcc_lo
	v_cmp_gt_f64_e32 vcc_lo, 0, v[179:180]
	v_cmp_gt_f64_e64 s0, 0, v[177:178]
	v_mov_b32_e32 v185, v179
	v_add_f64 v[181:182], v[181:182], v[183:184]
	v_xor_b32_e32 v184, 0x80000000, v178
	v_mov_b32_e32 v183, v177
	v_cndmask_b32_e32 v186, v180, v186, vcc_lo
	v_cndmask_b32_e64 v184, v178, v184, s0
	v_add_f64 v[183:184], v[183:184], v[185:186]
	v_cmp_lt_f64_e32 vcc_lo, v[181:182], v[183:184]
	v_cndmask_b32_e32 v163, v163, v178, vcc_lo
	v_cndmask_b32_e32 v162, v162, v177, vcc_lo
	;; [unrolled: 1-line block ×4, first 2 shown]
	v_cndmask_b32_e64 v170, v170, s1, vcc_lo
	s_add_i32 s1, s1, 1
	s_cmp_lg_u32 s8, s1
	s_cbranch_scc1 .LBB78_43
.LBB78_44:
	s_inst_prefetch 0x2
	s_waitcnt lgkmcnt(0)
	v_cmp_eq_f64_e32 vcc_lo, 0, v[162:163]
	v_cmp_eq_f64_e64 s0, 0, v[164:165]
	s_and_b32 s0, vcc_lo, s0
	s_and_saveexec_b32 s1, s0
	s_xor_b32 s0, exec_lo, s1
; %bb.45:
	v_cmp_ne_u32_e32 vcc_lo, 0, v175
	v_cndmask_b32_e32 v175, 3, v175, vcc_lo
; %bb.46:
	s_andn2_saveexec_b32 s0, s0
	s_cbranch_execz .LBB78_52
; %bb.47:
	v_cmp_ngt_f64_e64 s1, |v[162:163]|, |v[164:165]|
	s_and_saveexec_b32 s7, s1
	s_xor_b32 s1, exec_lo, s7
	s_cbranch_execz .LBB78_49
; %bb.48:
	v_div_scale_f64 v[177:178], null, v[164:165], v[164:165], v[162:163]
	v_div_scale_f64 v[183:184], vcc_lo, v[162:163], v[164:165], v[162:163]
	v_rcp_f64_e32 v[179:180], v[177:178]
	v_fma_f64 v[181:182], -v[177:178], v[179:180], 1.0
	v_fma_f64 v[179:180], v[179:180], v[181:182], v[179:180]
	v_fma_f64 v[181:182], -v[177:178], v[179:180], 1.0
	v_fma_f64 v[179:180], v[179:180], v[181:182], v[179:180]
	v_mul_f64 v[181:182], v[183:184], v[179:180]
	v_fma_f64 v[177:178], -v[177:178], v[181:182], v[183:184]
	v_div_fmas_f64 v[177:178], v[177:178], v[179:180], v[181:182]
	v_div_fixup_f64 v[177:178], v[177:178], v[164:165], v[162:163]
	v_fma_f64 v[162:163], v[162:163], v[177:178], v[164:165]
	v_div_scale_f64 v[164:165], null, v[162:163], v[162:163], 1.0
	v_rcp_f64_e32 v[179:180], v[164:165]
	v_fma_f64 v[181:182], -v[164:165], v[179:180], 1.0
	v_fma_f64 v[179:180], v[179:180], v[181:182], v[179:180]
	v_fma_f64 v[181:182], -v[164:165], v[179:180], 1.0
	v_fma_f64 v[179:180], v[179:180], v[181:182], v[179:180]
	v_div_scale_f64 v[181:182], vcc_lo, 1.0, v[162:163], 1.0
	v_mul_f64 v[183:184], v[181:182], v[179:180]
	v_fma_f64 v[164:165], -v[164:165], v[183:184], v[181:182]
	v_div_fmas_f64 v[164:165], v[164:165], v[179:180], v[183:184]
	v_div_fixup_f64 v[164:165], v[164:165], v[162:163], 1.0
	v_mul_f64 v[162:163], v[177:178], v[164:165]
	v_xor_b32_e32 v165, 0x80000000, v165
.LBB78_49:
	s_andn2_saveexec_b32 s1, s1
	s_cbranch_execz .LBB78_51
; %bb.50:
	v_div_scale_f64 v[177:178], null, v[162:163], v[162:163], v[164:165]
	v_div_scale_f64 v[183:184], vcc_lo, v[164:165], v[162:163], v[164:165]
	v_rcp_f64_e32 v[179:180], v[177:178]
	v_fma_f64 v[181:182], -v[177:178], v[179:180], 1.0
	v_fma_f64 v[179:180], v[179:180], v[181:182], v[179:180]
	v_fma_f64 v[181:182], -v[177:178], v[179:180], 1.0
	v_fma_f64 v[179:180], v[179:180], v[181:182], v[179:180]
	v_mul_f64 v[181:182], v[183:184], v[179:180]
	v_fma_f64 v[177:178], -v[177:178], v[181:182], v[183:184]
	v_div_fmas_f64 v[177:178], v[177:178], v[179:180], v[181:182]
	v_div_fixup_f64 v[177:178], v[177:178], v[162:163], v[164:165]
	v_fma_f64 v[162:163], v[164:165], v[177:178], v[162:163]
	v_div_scale_f64 v[164:165], null, v[162:163], v[162:163], 1.0
	v_rcp_f64_e32 v[179:180], v[164:165]
	v_fma_f64 v[181:182], -v[164:165], v[179:180], 1.0
	v_fma_f64 v[179:180], v[179:180], v[181:182], v[179:180]
	v_fma_f64 v[181:182], -v[164:165], v[179:180], 1.0
	v_fma_f64 v[179:180], v[179:180], v[181:182], v[179:180]
	v_div_scale_f64 v[181:182], vcc_lo, 1.0, v[162:163], 1.0
	v_mul_f64 v[183:184], v[181:182], v[179:180]
	v_fma_f64 v[164:165], -v[164:165], v[183:184], v[181:182]
	v_div_fmas_f64 v[164:165], v[164:165], v[179:180], v[183:184]
	v_div_fixup_f64 v[162:163], v[164:165], v[162:163], 1.0
	v_mul_f64 v[164:165], v[177:178], -v[162:163]
.LBB78_51:
	s_or_b32 exec_lo, exec_lo, s1
.LBB78_52:
	s_or_b32 exec_lo, exec_lo, s0
	s_mov_b32 s0, exec_lo
	v_cmpx_ne_u32_e64 v176, v170
	s_xor_b32 s0, exec_lo, s0
	s_cbranch_execz .LBB78_58
; %bb.53:
	s_mov_b32 s1, exec_lo
	v_cmpx_eq_u32_e32 2, v176
	s_cbranch_execz .LBB78_57
; %bb.54:
	v_cmp_ne_u32_e32 vcc_lo, 2, v170
	s_xor_b32 s7, s16, -1
	s_and_b32 s9, s7, vcc_lo
	s_and_saveexec_b32 s7, s9
	s_cbranch_execz .LBB78_56
; %bb.55:
	v_ashrrev_i32_e32 v171, 31, v170
	v_lshlrev_b64 v[176:177], 2, v[170:171]
	v_add_co_u32 v176, vcc_lo, v168, v176
	v_add_co_ci_u32_e64 v177, null, v169, v177, vcc_lo
	s_clause 0x1
	global_load_dword v0, v[176:177], off
	global_load_dword v171, v[168:169], off offset:8
	s_waitcnt vmcnt(1)
	global_store_dword v[168:169], v0, off offset:8
	s_waitcnt vmcnt(0)
	global_store_dword v[176:177], v171, off
.LBB78_56:
	s_or_b32 exec_lo, exec_lo, s7
	v_mov_b32_e32 v176, v170
	v_mov_b32_e32 v0, v170
.LBB78_57:
	s_or_b32 exec_lo, exec_lo, s1
.LBB78_58:
	s_andn2_saveexec_b32 s0, s0
	s_cbranch_execz .LBB78_60
; %bb.59:
	v_mov_b32_e32 v176, 2
	ds_write2_b64 v1, v[142:143], v[144:145] offset0:6 offset1:7
	ds_write2_b64 v1, v[146:147], v[148:149] offset0:8 offset1:9
	;; [unrolled: 1-line block ×37, first 2 shown]
.LBB78_60:
	s_or_b32 exec_lo, exec_lo, s0
	s_mov_b32 s0, exec_lo
	s_waitcnt lgkmcnt(0)
	s_waitcnt_vscnt null, 0x0
	s_barrier
	buffer_gl0_inv
	v_cmpx_lt_i32_e32 2, v176
	s_cbranch_execz .LBB78_62
; %bb.61:
	v_mul_f64 v[170:171], v[164:165], v[152:153]
	v_mul_f64 v[152:153], v[162:163], v[152:153]
	v_fma_f64 v[170:171], v[162:163], v[150:151], -v[170:171]
	v_fma_f64 v[152:153], v[164:165], v[150:151], v[152:153]
	ds_read2_b64 v[162:165], v1 offset0:6 offset1:7
	s_waitcnt lgkmcnt(0)
	v_mul_f64 v[150:151], v[164:165], v[152:153]
	v_fma_f64 v[150:151], v[162:163], v[170:171], -v[150:151]
	v_mul_f64 v[162:163], v[162:163], v[152:153]
	v_add_f64 v[142:143], v[142:143], -v[150:151]
	v_fma_f64 v[162:163], v[164:165], v[170:171], v[162:163]
	v_add_f64 v[144:145], v[144:145], -v[162:163]
	ds_read2_b64 v[162:165], v1 offset0:8 offset1:9
	s_waitcnt lgkmcnt(0)
	v_mul_f64 v[150:151], v[164:165], v[152:153]
	v_fma_f64 v[150:151], v[162:163], v[170:171], -v[150:151]
	v_mul_f64 v[162:163], v[162:163], v[152:153]
	v_add_f64 v[146:147], v[146:147], -v[150:151]
	v_fma_f64 v[162:163], v[164:165], v[170:171], v[162:163]
	v_add_f64 v[148:149], v[148:149], -v[162:163]
	;; [unrolled: 8-line block ×36, first 2 shown]
	ds_read2_b64 v[162:165], v1 offset0:78 offset1:79
	s_waitcnt lgkmcnt(0)
	v_mul_f64 v[150:151], v[164:165], v[152:153]
	v_fma_f64 v[150:151], v[162:163], v[170:171], -v[150:151]
	v_mul_f64 v[162:163], v[162:163], v[152:153]
	v_add_f64 v[2:3], v[2:3], -v[150:151]
	v_fma_f64 v[162:163], v[164:165], v[170:171], v[162:163]
	v_mov_b32_e32 v150, v170
	v_mov_b32_e32 v151, v171
	v_add_f64 v[4:5], v[4:5], -v[162:163]
.LBB78_62:
	s_or_b32 exec_lo, exec_lo, s0
	v_lshl_add_u32 v162, v176, 4, v1
	s_barrier
	buffer_gl0_inv
	v_mov_b32_e32 v170, 3
	ds_write2_b64 v162, v[142:143], v[144:145] offset1:1
	s_waitcnt lgkmcnt(0)
	s_barrier
	buffer_gl0_inv
	ds_read2_b64 v[162:165], v1 offset0:6 offset1:7
	s_cmp_lt_i32 s8, 5
	s_mov_b32 s1, 4
	s_cbranch_scc1 .LBB78_65
; %bb.63:
	v_add3_u32 v171, v172, 0, 64
	v_mov_b32_e32 v170, 3
	s_inst_prefetch 0x1
	.p2align	6
.LBB78_64:                              ; =>This Inner Loop Header: Depth=1
	s_waitcnt lgkmcnt(0)
	v_cmp_gt_f64_e32 vcc_lo, 0, v[164:165]
	v_cmp_gt_f64_e64 s0, 0, v[162:163]
	ds_read2_b64 v[177:180], v171 offset1:1
	v_xor_b32_e32 v182, 0x80000000, v163
	v_xor_b32_e32 v184, 0x80000000, v165
	v_mov_b32_e32 v181, v162
	v_mov_b32_e32 v183, v164
	v_add_nc_u32_e32 v171, 16, v171
	s_waitcnt lgkmcnt(0)
	v_xor_b32_e32 v186, 0x80000000, v180
	v_cndmask_b32_e64 v182, v163, v182, s0
	v_cndmask_b32_e32 v184, v165, v184, vcc_lo
	v_cmp_gt_f64_e32 vcc_lo, 0, v[179:180]
	v_cmp_gt_f64_e64 s0, 0, v[177:178]
	v_mov_b32_e32 v185, v179
	v_add_f64 v[181:182], v[181:182], v[183:184]
	v_xor_b32_e32 v184, 0x80000000, v178
	v_mov_b32_e32 v183, v177
	v_cndmask_b32_e32 v186, v180, v186, vcc_lo
	v_cndmask_b32_e64 v184, v178, v184, s0
	v_add_f64 v[183:184], v[183:184], v[185:186]
	v_cmp_lt_f64_e32 vcc_lo, v[181:182], v[183:184]
	v_cndmask_b32_e32 v163, v163, v178, vcc_lo
	v_cndmask_b32_e32 v162, v162, v177, vcc_lo
	;; [unrolled: 1-line block ×4, first 2 shown]
	v_cndmask_b32_e64 v170, v170, s1, vcc_lo
	s_add_i32 s1, s1, 1
	s_cmp_lg_u32 s8, s1
	s_cbranch_scc1 .LBB78_64
.LBB78_65:
	s_inst_prefetch 0x2
	s_waitcnt lgkmcnt(0)
	v_cmp_eq_f64_e32 vcc_lo, 0, v[162:163]
	v_cmp_eq_f64_e64 s0, 0, v[164:165]
	s_and_b32 s0, vcc_lo, s0
	s_and_saveexec_b32 s1, s0
	s_xor_b32 s0, exec_lo, s1
; %bb.66:
	v_cmp_ne_u32_e32 vcc_lo, 0, v175
	v_cndmask_b32_e32 v175, 4, v175, vcc_lo
; %bb.67:
	s_andn2_saveexec_b32 s0, s0
	s_cbranch_execz .LBB78_73
; %bb.68:
	v_cmp_ngt_f64_e64 s1, |v[162:163]|, |v[164:165]|
	s_and_saveexec_b32 s7, s1
	s_xor_b32 s1, exec_lo, s7
	s_cbranch_execz .LBB78_70
; %bb.69:
	v_div_scale_f64 v[177:178], null, v[164:165], v[164:165], v[162:163]
	v_div_scale_f64 v[183:184], vcc_lo, v[162:163], v[164:165], v[162:163]
	v_rcp_f64_e32 v[179:180], v[177:178]
	v_fma_f64 v[181:182], -v[177:178], v[179:180], 1.0
	v_fma_f64 v[179:180], v[179:180], v[181:182], v[179:180]
	v_fma_f64 v[181:182], -v[177:178], v[179:180], 1.0
	v_fma_f64 v[179:180], v[179:180], v[181:182], v[179:180]
	v_mul_f64 v[181:182], v[183:184], v[179:180]
	v_fma_f64 v[177:178], -v[177:178], v[181:182], v[183:184]
	v_div_fmas_f64 v[177:178], v[177:178], v[179:180], v[181:182]
	v_div_fixup_f64 v[177:178], v[177:178], v[164:165], v[162:163]
	v_fma_f64 v[162:163], v[162:163], v[177:178], v[164:165]
	v_div_scale_f64 v[164:165], null, v[162:163], v[162:163], 1.0
	v_rcp_f64_e32 v[179:180], v[164:165]
	v_fma_f64 v[181:182], -v[164:165], v[179:180], 1.0
	v_fma_f64 v[179:180], v[179:180], v[181:182], v[179:180]
	v_fma_f64 v[181:182], -v[164:165], v[179:180], 1.0
	v_fma_f64 v[179:180], v[179:180], v[181:182], v[179:180]
	v_div_scale_f64 v[181:182], vcc_lo, 1.0, v[162:163], 1.0
	v_mul_f64 v[183:184], v[181:182], v[179:180]
	v_fma_f64 v[164:165], -v[164:165], v[183:184], v[181:182]
	v_div_fmas_f64 v[164:165], v[164:165], v[179:180], v[183:184]
	v_div_fixup_f64 v[164:165], v[164:165], v[162:163], 1.0
	v_mul_f64 v[162:163], v[177:178], v[164:165]
	v_xor_b32_e32 v165, 0x80000000, v165
.LBB78_70:
	s_andn2_saveexec_b32 s1, s1
	s_cbranch_execz .LBB78_72
; %bb.71:
	v_div_scale_f64 v[177:178], null, v[162:163], v[162:163], v[164:165]
	v_div_scale_f64 v[183:184], vcc_lo, v[164:165], v[162:163], v[164:165]
	v_rcp_f64_e32 v[179:180], v[177:178]
	v_fma_f64 v[181:182], -v[177:178], v[179:180], 1.0
	v_fma_f64 v[179:180], v[179:180], v[181:182], v[179:180]
	v_fma_f64 v[181:182], -v[177:178], v[179:180], 1.0
	v_fma_f64 v[179:180], v[179:180], v[181:182], v[179:180]
	v_mul_f64 v[181:182], v[183:184], v[179:180]
	v_fma_f64 v[177:178], -v[177:178], v[181:182], v[183:184]
	v_div_fmas_f64 v[177:178], v[177:178], v[179:180], v[181:182]
	v_div_fixup_f64 v[177:178], v[177:178], v[162:163], v[164:165]
	v_fma_f64 v[162:163], v[164:165], v[177:178], v[162:163]
	v_div_scale_f64 v[164:165], null, v[162:163], v[162:163], 1.0
	v_rcp_f64_e32 v[179:180], v[164:165]
	v_fma_f64 v[181:182], -v[164:165], v[179:180], 1.0
	v_fma_f64 v[179:180], v[179:180], v[181:182], v[179:180]
	v_fma_f64 v[181:182], -v[164:165], v[179:180], 1.0
	v_fma_f64 v[179:180], v[179:180], v[181:182], v[179:180]
	v_div_scale_f64 v[181:182], vcc_lo, 1.0, v[162:163], 1.0
	v_mul_f64 v[183:184], v[181:182], v[179:180]
	v_fma_f64 v[164:165], -v[164:165], v[183:184], v[181:182]
	v_div_fmas_f64 v[164:165], v[164:165], v[179:180], v[183:184]
	v_div_fixup_f64 v[162:163], v[164:165], v[162:163], 1.0
	v_mul_f64 v[164:165], v[177:178], -v[162:163]
.LBB78_72:
	s_or_b32 exec_lo, exec_lo, s1
.LBB78_73:
	s_or_b32 exec_lo, exec_lo, s0
	s_mov_b32 s0, exec_lo
	v_cmpx_ne_u32_e64 v176, v170
	s_xor_b32 s0, exec_lo, s0
	s_cbranch_execz .LBB78_79
; %bb.74:
	s_mov_b32 s1, exec_lo
	v_cmpx_eq_u32_e32 3, v176
	s_cbranch_execz .LBB78_78
; %bb.75:
	v_cmp_ne_u32_e32 vcc_lo, 3, v170
	s_xor_b32 s7, s16, -1
	s_and_b32 s9, s7, vcc_lo
	s_and_saveexec_b32 s7, s9
	s_cbranch_execz .LBB78_77
; %bb.76:
	v_ashrrev_i32_e32 v171, 31, v170
	v_lshlrev_b64 v[176:177], 2, v[170:171]
	v_add_co_u32 v176, vcc_lo, v168, v176
	v_add_co_ci_u32_e64 v177, null, v169, v177, vcc_lo
	s_clause 0x1
	global_load_dword v0, v[176:177], off
	global_load_dword v171, v[168:169], off offset:12
	s_waitcnt vmcnt(1)
	global_store_dword v[168:169], v0, off offset:12
	s_waitcnt vmcnt(0)
	global_store_dword v[176:177], v171, off
.LBB78_77:
	s_or_b32 exec_lo, exec_lo, s7
	v_mov_b32_e32 v176, v170
	v_mov_b32_e32 v0, v170
.LBB78_78:
	s_or_b32 exec_lo, exec_lo, s1
.LBB78_79:
	s_andn2_saveexec_b32 s0, s0
	s_cbranch_execz .LBB78_81
; %bb.80:
	v_mov_b32_e32 v176, 3
	ds_write2_b64 v1, v[146:147], v[148:149] offset0:8 offset1:9
	ds_write2_b64 v1, v[130:131], v[132:133] offset0:10 offset1:11
	;; [unrolled: 1-line block ×36, first 2 shown]
.LBB78_81:
	s_or_b32 exec_lo, exec_lo, s0
	s_mov_b32 s0, exec_lo
	s_waitcnt lgkmcnt(0)
	s_waitcnt_vscnt null, 0x0
	s_barrier
	buffer_gl0_inv
	v_cmpx_lt_i32_e32 3, v176
	s_cbranch_execz .LBB78_83
; %bb.82:
	v_mul_f64 v[170:171], v[164:165], v[144:145]
	v_mul_f64 v[144:145], v[162:163], v[144:145]
	v_fma_f64 v[170:171], v[162:163], v[142:143], -v[170:171]
	v_fma_f64 v[144:145], v[164:165], v[142:143], v[144:145]
	ds_read2_b64 v[162:165], v1 offset0:8 offset1:9
	s_waitcnt lgkmcnt(0)
	v_mul_f64 v[142:143], v[164:165], v[144:145]
	v_fma_f64 v[142:143], v[162:163], v[170:171], -v[142:143]
	v_mul_f64 v[162:163], v[162:163], v[144:145]
	v_add_f64 v[146:147], v[146:147], -v[142:143]
	v_fma_f64 v[162:163], v[164:165], v[170:171], v[162:163]
	v_add_f64 v[148:149], v[148:149], -v[162:163]
	ds_read2_b64 v[162:165], v1 offset0:10 offset1:11
	s_waitcnt lgkmcnt(0)
	v_mul_f64 v[142:143], v[164:165], v[144:145]
	v_fma_f64 v[142:143], v[162:163], v[170:171], -v[142:143]
	v_mul_f64 v[162:163], v[162:163], v[144:145]
	v_add_f64 v[130:131], v[130:131], -v[142:143]
	v_fma_f64 v[162:163], v[164:165], v[170:171], v[162:163]
	v_add_f64 v[132:133], v[132:133], -v[162:163]
	;; [unrolled: 8-line block ×35, first 2 shown]
	ds_read2_b64 v[162:165], v1 offset0:78 offset1:79
	s_waitcnt lgkmcnt(0)
	v_mul_f64 v[142:143], v[164:165], v[144:145]
	v_fma_f64 v[142:143], v[162:163], v[170:171], -v[142:143]
	v_mul_f64 v[162:163], v[162:163], v[144:145]
	v_add_f64 v[2:3], v[2:3], -v[142:143]
	v_fma_f64 v[162:163], v[164:165], v[170:171], v[162:163]
	v_mov_b32_e32 v142, v170
	v_mov_b32_e32 v143, v171
	v_add_f64 v[4:5], v[4:5], -v[162:163]
.LBB78_83:
	s_or_b32 exec_lo, exec_lo, s0
	v_lshl_add_u32 v162, v176, 4, v1
	s_barrier
	buffer_gl0_inv
	v_mov_b32_e32 v170, 4
	ds_write2_b64 v162, v[146:147], v[148:149] offset1:1
	s_waitcnt lgkmcnt(0)
	s_barrier
	buffer_gl0_inv
	ds_read2_b64 v[162:165], v1 offset0:8 offset1:9
	s_cmp_lt_i32 s8, 6
	s_cbranch_scc1 .LBB78_86
; %bb.84:
	v_mov_b32_e32 v170, 4
	v_add3_u32 v171, v172, 0, 0x50
	s_mov_b32 s1, 5
	s_inst_prefetch 0x1
	.p2align	6
.LBB78_85:                              ; =>This Inner Loop Header: Depth=1
	s_waitcnt lgkmcnt(0)
	v_cmp_gt_f64_e32 vcc_lo, 0, v[164:165]
	v_cmp_gt_f64_e64 s0, 0, v[162:163]
	ds_read2_b64 v[177:180], v171 offset1:1
	v_xor_b32_e32 v182, 0x80000000, v163
	v_xor_b32_e32 v184, 0x80000000, v165
	v_mov_b32_e32 v181, v162
	v_mov_b32_e32 v183, v164
	v_add_nc_u32_e32 v171, 16, v171
	s_waitcnt lgkmcnt(0)
	v_xor_b32_e32 v186, 0x80000000, v180
	v_cndmask_b32_e64 v182, v163, v182, s0
	v_cndmask_b32_e32 v184, v165, v184, vcc_lo
	v_cmp_gt_f64_e32 vcc_lo, 0, v[179:180]
	v_cmp_gt_f64_e64 s0, 0, v[177:178]
	v_mov_b32_e32 v185, v179
	v_add_f64 v[181:182], v[181:182], v[183:184]
	v_xor_b32_e32 v184, 0x80000000, v178
	v_mov_b32_e32 v183, v177
	v_cndmask_b32_e32 v186, v180, v186, vcc_lo
	v_cndmask_b32_e64 v184, v178, v184, s0
	v_add_f64 v[183:184], v[183:184], v[185:186]
	v_cmp_lt_f64_e32 vcc_lo, v[181:182], v[183:184]
	v_cndmask_b32_e32 v163, v163, v178, vcc_lo
	v_cndmask_b32_e32 v162, v162, v177, vcc_lo
	;; [unrolled: 1-line block ×4, first 2 shown]
	v_cndmask_b32_e64 v170, v170, s1, vcc_lo
	s_add_i32 s1, s1, 1
	s_cmp_lg_u32 s8, s1
	s_cbranch_scc1 .LBB78_85
.LBB78_86:
	s_inst_prefetch 0x2
	s_waitcnt lgkmcnt(0)
	v_cmp_eq_f64_e32 vcc_lo, 0, v[162:163]
	v_cmp_eq_f64_e64 s0, 0, v[164:165]
	s_and_b32 s0, vcc_lo, s0
	s_and_saveexec_b32 s1, s0
	s_xor_b32 s0, exec_lo, s1
; %bb.87:
	v_cmp_ne_u32_e32 vcc_lo, 0, v175
	v_cndmask_b32_e32 v175, 5, v175, vcc_lo
; %bb.88:
	s_andn2_saveexec_b32 s0, s0
	s_cbranch_execz .LBB78_94
; %bb.89:
	v_cmp_ngt_f64_e64 s1, |v[162:163]|, |v[164:165]|
	s_and_saveexec_b32 s7, s1
	s_xor_b32 s1, exec_lo, s7
	s_cbranch_execz .LBB78_91
; %bb.90:
	v_div_scale_f64 v[177:178], null, v[164:165], v[164:165], v[162:163]
	v_div_scale_f64 v[183:184], vcc_lo, v[162:163], v[164:165], v[162:163]
	v_rcp_f64_e32 v[179:180], v[177:178]
	v_fma_f64 v[181:182], -v[177:178], v[179:180], 1.0
	v_fma_f64 v[179:180], v[179:180], v[181:182], v[179:180]
	v_fma_f64 v[181:182], -v[177:178], v[179:180], 1.0
	v_fma_f64 v[179:180], v[179:180], v[181:182], v[179:180]
	v_mul_f64 v[181:182], v[183:184], v[179:180]
	v_fma_f64 v[177:178], -v[177:178], v[181:182], v[183:184]
	v_div_fmas_f64 v[177:178], v[177:178], v[179:180], v[181:182]
	v_div_fixup_f64 v[177:178], v[177:178], v[164:165], v[162:163]
	v_fma_f64 v[162:163], v[162:163], v[177:178], v[164:165]
	v_div_scale_f64 v[164:165], null, v[162:163], v[162:163], 1.0
	v_rcp_f64_e32 v[179:180], v[164:165]
	v_fma_f64 v[181:182], -v[164:165], v[179:180], 1.0
	v_fma_f64 v[179:180], v[179:180], v[181:182], v[179:180]
	v_fma_f64 v[181:182], -v[164:165], v[179:180], 1.0
	v_fma_f64 v[179:180], v[179:180], v[181:182], v[179:180]
	v_div_scale_f64 v[181:182], vcc_lo, 1.0, v[162:163], 1.0
	v_mul_f64 v[183:184], v[181:182], v[179:180]
	v_fma_f64 v[164:165], -v[164:165], v[183:184], v[181:182]
	v_div_fmas_f64 v[164:165], v[164:165], v[179:180], v[183:184]
	v_div_fixup_f64 v[164:165], v[164:165], v[162:163], 1.0
	v_mul_f64 v[162:163], v[177:178], v[164:165]
	v_xor_b32_e32 v165, 0x80000000, v165
.LBB78_91:
	s_andn2_saveexec_b32 s1, s1
	s_cbranch_execz .LBB78_93
; %bb.92:
	v_div_scale_f64 v[177:178], null, v[162:163], v[162:163], v[164:165]
	v_div_scale_f64 v[183:184], vcc_lo, v[164:165], v[162:163], v[164:165]
	v_rcp_f64_e32 v[179:180], v[177:178]
	v_fma_f64 v[181:182], -v[177:178], v[179:180], 1.0
	v_fma_f64 v[179:180], v[179:180], v[181:182], v[179:180]
	v_fma_f64 v[181:182], -v[177:178], v[179:180], 1.0
	v_fma_f64 v[179:180], v[179:180], v[181:182], v[179:180]
	v_mul_f64 v[181:182], v[183:184], v[179:180]
	v_fma_f64 v[177:178], -v[177:178], v[181:182], v[183:184]
	v_div_fmas_f64 v[177:178], v[177:178], v[179:180], v[181:182]
	v_div_fixup_f64 v[177:178], v[177:178], v[162:163], v[164:165]
	v_fma_f64 v[162:163], v[164:165], v[177:178], v[162:163]
	v_div_scale_f64 v[164:165], null, v[162:163], v[162:163], 1.0
	v_rcp_f64_e32 v[179:180], v[164:165]
	v_fma_f64 v[181:182], -v[164:165], v[179:180], 1.0
	v_fma_f64 v[179:180], v[179:180], v[181:182], v[179:180]
	v_fma_f64 v[181:182], -v[164:165], v[179:180], 1.0
	v_fma_f64 v[179:180], v[179:180], v[181:182], v[179:180]
	v_div_scale_f64 v[181:182], vcc_lo, 1.0, v[162:163], 1.0
	v_mul_f64 v[183:184], v[181:182], v[179:180]
	v_fma_f64 v[164:165], -v[164:165], v[183:184], v[181:182]
	v_div_fmas_f64 v[164:165], v[164:165], v[179:180], v[183:184]
	v_div_fixup_f64 v[162:163], v[164:165], v[162:163], 1.0
	v_mul_f64 v[164:165], v[177:178], -v[162:163]
.LBB78_93:
	s_or_b32 exec_lo, exec_lo, s1
.LBB78_94:
	s_or_b32 exec_lo, exec_lo, s0
	s_mov_b32 s0, exec_lo
	v_cmpx_ne_u32_e64 v176, v170
	s_xor_b32 s0, exec_lo, s0
	s_cbranch_execz .LBB78_100
; %bb.95:
	s_mov_b32 s1, exec_lo
	v_cmpx_eq_u32_e32 4, v176
	s_cbranch_execz .LBB78_99
; %bb.96:
	v_cmp_ne_u32_e32 vcc_lo, 4, v170
	s_xor_b32 s7, s16, -1
	s_and_b32 s9, s7, vcc_lo
	s_and_saveexec_b32 s7, s9
	s_cbranch_execz .LBB78_98
; %bb.97:
	v_ashrrev_i32_e32 v171, 31, v170
	v_lshlrev_b64 v[176:177], 2, v[170:171]
	v_add_co_u32 v176, vcc_lo, v168, v176
	v_add_co_ci_u32_e64 v177, null, v169, v177, vcc_lo
	s_clause 0x1
	global_load_dword v0, v[176:177], off
	global_load_dword v171, v[168:169], off offset:16
	s_waitcnt vmcnt(1)
	global_store_dword v[168:169], v0, off offset:16
	s_waitcnt vmcnt(0)
	global_store_dword v[176:177], v171, off
.LBB78_98:
	s_or_b32 exec_lo, exec_lo, s7
	v_mov_b32_e32 v176, v170
	v_mov_b32_e32 v0, v170
.LBB78_99:
	s_or_b32 exec_lo, exec_lo, s1
.LBB78_100:
	s_andn2_saveexec_b32 s0, s0
	s_cbranch_execz .LBB78_102
; %bb.101:
	v_mov_b32_e32 v176, 4
	ds_write2_b64 v1, v[130:131], v[132:133] offset0:10 offset1:11
	ds_write2_b64 v1, v[138:139], v[140:141] offset0:12 offset1:13
	;; [unrolled: 1-line block ×35, first 2 shown]
.LBB78_102:
	s_or_b32 exec_lo, exec_lo, s0
	s_mov_b32 s0, exec_lo
	s_waitcnt lgkmcnt(0)
	s_waitcnt_vscnt null, 0x0
	s_barrier
	buffer_gl0_inv
	v_cmpx_lt_i32_e32 4, v176
	s_cbranch_execz .LBB78_104
; %bb.103:
	v_mul_f64 v[170:171], v[164:165], v[148:149]
	v_mul_f64 v[148:149], v[162:163], v[148:149]
	v_fma_f64 v[170:171], v[162:163], v[146:147], -v[170:171]
	v_fma_f64 v[148:149], v[164:165], v[146:147], v[148:149]
	ds_read2_b64 v[162:165], v1 offset0:10 offset1:11
	s_waitcnt lgkmcnt(0)
	v_mul_f64 v[146:147], v[164:165], v[148:149]
	v_fma_f64 v[146:147], v[162:163], v[170:171], -v[146:147]
	v_mul_f64 v[162:163], v[162:163], v[148:149]
	v_add_f64 v[130:131], v[130:131], -v[146:147]
	v_fma_f64 v[162:163], v[164:165], v[170:171], v[162:163]
	v_add_f64 v[132:133], v[132:133], -v[162:163]
	ds_read2_b64 v[162:165], v1 offset0:12 offset1:13
	s_waitcnt lgkmcnt(0)
	v_mul_f64 v[146:147], v[164:165], v[148:149]
	v_fma_f64 v[146:147], v[162:163], v[170:171], -v[146:147]
	v_mul_f64 v[162:163], v[162:163], v[148:149]
	v_add_f64 v[138:139], v[138:139], -v[146:147]
	v_fma_f64 v[162:163], v[164:165], v[170:171], v[162:163]
	v_add_f64 v[140:141], v[140:141], -v[162:163]
	;; [unrolled: 8-line block ×34, first 2 shown]
	ds_read2_b64 v[162:165], v1 offset0:78 offset1:79
	s_waitcnt lgkmcnt(0)
	v_mul_f64 v[146:147], v[164:165], v[148:149]
	v_fma_f64 v[146:147], v[162:163], v[170:171], -v[146:147]
	v_mul_f64 v[162:163], v[162:163], v[148:149]
	v_add_f64 v[2:3], v[2:3], -v[146:147]
	v_fma_f64 v[162:163], v[164:165], v[170:171], v[162:163]
	v_mov_b32_e32 v146, v170
	v_mov_b32_e32 v147, v171
	v_add_f64 v[4:5], v[4:5], -v[162:163]
.LBB78_104:
	s_or_b32 exec_lo, exec_lo, s0
	v_lshl_add_u32 v162, v176, 4, v1
	s_barrier
	buffer_gl0_inv
	v_mov_b32_e32 v170, 5
	ds_write2_b64 v162, v[130:131], v[132:133] offset1:1
	s_waitcnt lgkmcnt(0)
	s_barrier
	buffer_gl0_inv
	ds_read2_b64 v[162:165], v1 offset0:10 offset1:11
	s_cmp_lt_i32 s8, 7
	s_cbranch_scc1 .LBB78_107
; %bb.105:
	v_add3_u32 v171, v172, 0, 0x60
	v_mov_b32_e32 v170, 5
	s_mov_b32 s1, 6
	s_inst_prefetch 0x1
	.p2align	6
.LBB78_106:                             ; =>This Inner Loop Header: Depth=1
	s_waitcnt lgkmcnt(0)
	v_cmp_gt_f64_e32 vcc_lo, 0, v[164:165]
	v_cmp_gt_f64_e64 s0, 0, v[162:163]
	ds_read2_b64 v[177:180], v171 offset1:1
	v_xor_b32_e32 v182, 0x80000000, v163
	v_xor_b32_e32 v184, 0x80000000, v165
	v_mov_b32_e32 v181, v162
	v_mov_b32_e32 v183, v164
	v_add_nc_u32_e32 v171, 16, v171
	s_waitcnt lgkmcnt(0)
	v_xor_b32_e32 v186, 0x80000000, v180
	v_cndmask_b32_e64 v182, v163, v182, s0
	v_cndmask_b32_e32 v184, v165, v184, vcc_lo
	v_cmp_gt_f64_e32 vcc_lo, 0, v[179:180]
	v_cmp_gt_f64_e64 s0, 0, v[177:178]
	v_mov_b32_e32 v185, v179
	v_add_f64 v[181:182], v[181:182], v[183:184]
	v_xor_b32_e32 v184, 0x80000000, v178
	v_mov_b32_e32 v183, v177
	v_cndmask_b32_e32 v186, v180, v186, vcc_lo
	v_cndmask_b32_e64 v184, v178, v184, s0
	v_add_f64 v[183:184], v[183:184], v[185:186]
	v_cmp_lt_f64_e32 vcc_lo, v[181:182], v[183:184]
	v_cndmask_b32_e32 v163, v163, v178, vcc_lo
	v_cndmask_b32_e32 v162, v162, v177, vcc_lo
	;; [unrolled: 1-line block ×4, first 2 shown]
	v_cndmask_b32_e64 v170, v170, s1, vcc_lo
	s_add_i32 s1, s1, 1
	s_cmp_lg_u32 s8, s1
	s_cbranch_scc1 .LBB78_106
.LBB78_107:
	s_inst_prefetch 0x2
	s_waitcnt lgkmcnt(0)
	v_cmp_eq_f64_e32 vcc_lo, 0, v[162:163]
	v_cmp_eq_f64_e64 s0, 0, v[164:165]
	s_and_b32 s0, vcc_lo, s0
	s_and_saveexec_b32 s1, s0
	s_xor_b32 s0, exec_lo, s1
; %bb.108:
	v_cmp_ne_u32_e32 vcc_lo, 0, v175
	v_cndmask_b32_e32 v175, 6, v175, vcc_lo
; %bb.109:
	s_andn2_saveexec_b32 s0, s0
	s_cbranch_execz .LBB78_115
; %bb.110:
	v_cmp_ngt_f64_e64 s1, |v[162:163]|, |v[164:165]|
	s_and_saveexec_b32 s7, s1
	s_xor_b32 s1, exec_lo, s7
	s_cbranch_execz .LBB78_112
; %bb.111:
	v_div_scale_f64 v[177:178], null, v[164:165], v[164:165], v[162:163]
	v_div_scale_f64 v[183:184], vcc_lo, v[162:163], v[164:165], v[162:163]
	v_rcp_f64_e32 v[179:180], v[177:178]
	v_fma_f64 v[181:182], -v[177:178], v[179:180], 1.0
	v_fma_f64 v[179:180], v[179:180], v[181:182], v[179:180]
	v_fma_f64 v[181:182], -v[177:178], v[179:180], 1.0
	v_fma_f64 v[179:180], v[179:180], v[181:182], v[179:180]
	v_mul_f64 v[181:182], v[183:184], v[179:180]
	v_fma_f64 v[177:178], -v[177:178], v[181:182], v[183:184]
	v_div_fmas_f64 v[177:178], v[177:178], v[179:180], v[181:182]
	v_div_fixup_f64 v[177:178], v[177:178], v[164:165], v[162:163]
	v_fma_f64 v[162:163], v[162:163], v[177:178], v[164:165]
	v_div_scale_f64 v[164:165], null, v[162:163], v[162:163], 1.0
	v_rcp_f64_e32 v[179:180], v[164:165]
	v_fma_f64 v[181:182], -v[164:165], v[179:180], 1.0
	v_fma_f64 v[179:180], v[179:180], v[181:182], v[179:180]
	v_fma_f64 v[181:182], -v[164:165], v[179:180], 1.0
	v_fma_f64 v[179:180], v[179:180], v[181:182], v[179:180]
	v_div_scale_f64 v[181:182], vcc_lo, 1.0, v[162:163], 1.0
	v_mul_f64 v[183:184], v[181:182], v[179:180]
	v_fma_f64 v[164:165], -v[164:165], v[183:184], v[181:182]
	v_div_fmas_f64 v[164:165], v[164:165], v[179:180], v[183:184]
	v_div_fixup_f64 v[164:165], v[164:165], v[162:163], 1.0
	v_mul_f64 v[162:163], v[177:178], v[164:165]
	v_xor_b32_e32 v165, 0x80000000, v165
.LBB78_112:
	s_andn2_saveexec_b32 s1, s1
	s_cbranch_execz .LBB78_114
; %bb.113:
	v_div_scale_f64 v[177:178], null, v[162:163], v[162:163], v[164:165]
	v_div_scale_f64 v[183:184], vcc_lo, v[164:165], v[162:163], v[164:165]
	v_rcp_f64_e32 v[179:180], v[177:178]
	v_fma_f64 v[181:182], -v[177:178], v[179:180], 1.0
	v_fma_f64 v[179:180], v[179:180], v[181:182], v[179:180]
	v_fma_f64 v[181:182], -v[177:178], v[179:180], 1.0
	v_fma_f64 v[179:180], v[179:180], v[181:182], v[179:180]
	v_mul_f64 v[181:182], v[183:184], v[179:180]
	v_fma_f64 v[177:178], -v[177:178], v[181:182], v[183:184]
	v_div_fmas_f64 v[177:178], v[177:178], v[179:180], v[181:182]
	v_div_fixup_f64 v[177:178], v[177:178], v[162:163], v[164:165]
	v_fma_f64 v[162:163], v[164:165], v[177:178], v[162:163]
	v_div_scale_f64 v[164:165], null, v[162:163], v[162:163], 1.0
	v_rcp_f64_e32 v[179:180], v[164:165]
	v_fma_f64 v[181:182], -v[164:165], v[179:180], 1.0
	v_fma_f64 v[179:180], v[179:180], v[181:182], v[179:180]
	v_fma_f64 v[181:182], -v[164:165], v[179:180], 1.0
	v_fma_f64 v[179:180], v[179:180], v[181:182], v[179:180]
	v_div_scale_f64 v[181:182], vcc_lo, 1.0, v[162:163], 1.0
	v_mul_f64 v[183:184], v[181:182], v[179:180]
	v_fma_f64 v[164:165], -v[164:165], v[183:184], v[181:182]
	v_div_fmas_f64 v[164:165], v[164:165], v[179:180], v[183:184]
	v_div_fixup_f64 v[162:163], v[164:165], v[162:163], 1.0
	v_mul_f64 v[164:165], v[177:178], -v[162:163]
.LBB78_114:
	s_or_b32 exec_lo, exec_lo, s1
.LBB78_115:
	s_or_b32 exec_lo, exec_lo, s0
	s_mov_b32 s0, exec_lo
	v_cmpx_ne_u32_e64 v176, v170
	s_xor_b32 s0, exec_lo, s0
	s_cbranch_execz .LBB78_121
; %bb.116:
	s_mov_b32 s1, exec_lo
	v_cmpx_eq_u32_e32 5, v176
	s_cbranch_execz .LBB78_120
; %bb.117:
	v_cmp_ne_u32_e32 vcc_lo, 5, v170
	s_xor_b32 s7, s16, -1
	s_and_b32 s9, s7, vcc_lo
	s_and_saveexec_b32 s7, s9
	s_cbranch_execz .LBB78_119
; %bb.118:
	v_ashrrev_i32_e32 v171, 31, v170
	v_lshlrev_b64 v[176:177], 2, v[170:171]
	v_add_co_u32 v176, vcc_lo, v168, v176
	v_add_co_ci_u32_e64 v177, null, v169, v177, vcc_lo
	s_clause 0x1
	global_load_dword v0, v[176:177], off
	global_load_dword v171, v[168:169], off offset:20
	s_waitcnt vmcnt(1)
	global_store_dword v[168:169], v0, off offset:20
	s_waitcnt vmcnt(0)
	global_store_dword v[176:177], v171, off
.LBB78_119:
	s_or_b32 exec_lo, exec_lo, s7
	v_mov_b32_e32 v176, v170
	v_mov_b32_e32 v0, v170
.LBB78_120:
	s_or_b32 exec_lo, exec_lo, s1
.LBB78_121:
	s_andn2_saveexec_b32 s0, s0
	s_cbranch_execz .LBB78_123
; %bb.122:
	v_mov_b32_e32 v176, 5
	ds_write2_b64 v1, v[138:139], v[140:141] offset0:12 offset1:13
	ds_write2_b64 v1, v[134:135], v[136:137] offset0:14 offset1:15
	;; [unrolled: 1-line block ×34, first 2 shown]
.LBB78_123:
	s_or_b32 exec_lo, exec_lo, s0
	s_mov_b32 s0, exec_lo
	s_waitcnt lgkmcnt(0)
	s_waitcnt_vscnt null, 0x0
	s_barrier
	buffer_gl0_inv
	v_cmpx_lt_i32_e32 5, v176
	s_cbranch_execz .LBB78_125
; %bb.124:
	v_mul_f64 v[170:171], v[164:165], v[132:133]
	v_mul_f64 v[132:133], v[162:163], v[132:133]
	v_fma_f64 v[170:171], v[162:163], v[130:131], -v[170:171]
	v_fma_f64 v[132:133], v[164:165], v[130:131], v[132:133]
	ds_read2_b64 v[162:165], v1 offset0:12 offset1:13
	s_waitcnt lgkmcnt(0)
	v_mul_f64 v[130:131], v[164:165], v[132:133]
	v_fma_f64 v[130:131], v[162:163], v[170:171], -v[130:131]
	v_mul_f64 v[162:163], v[162:163], v[132:133]
	v_add_f64 v[138:139], v[138:139], -v[130:131]
	v_fma_f64 v[162:163], v[164:165], v[170:171], v[162:163]
	v_add_f64 v[140:141], v[140:141], -v[162:163]
	ds_read2_b64 v[162:165], v1 offset0:14 offset1:15
	s_waitcnt lgkmcnt(0)
	v_mul_f64 v[130:131], v[164:165], v[132:133]
	v_fma_f64 v[130:131], v[162:163], v[170:171], -v[130:131]
	v_mul_f64 v[162:163], v[162:163], v[132:133]
	v_add_f64 v[134:135], v[134:135], -v[130:131]
	v_fma_f64 v[162:163], v[164:165], v[170:171], v[162:163]
	v_add_f64 v[136:137], v[136:137], -v[162:163]
	;; [unrolled: 8-line block ×33, first 2 shown]
	ds_read2_b64 v[162:165], v1 offset0:78 offset1:79
	s_waitcnt lgkmcnt(0)
	v_mul_f64 v[130:131], v[164:165], v[132:133]
	v_fma_f64 v[130:131], v[162:163], v[170:171], -v[130:131]
	v_mul_f64 v[162:163], v[162:163], v[132:133]
	v_add_f64 v[2:3], v[2:3], -v[130:131]
	v_fma_f64 v[162:163], v[164:165], v[170:171], v[162:163]
	v_mov_b32_e32 v130, v170
	v_mov_b32_e32 v131, v171
	v_add_f64 v[4:5], v[4:5], -v[162:163]
.LBB78_125:
	s_or_b32 exec_lo, exec_lo, s0
	v_lshl_add_u32 v162, v176, 4, v1
	s_barrier
	buffer_gl0_inv
	v_mov_b32_e32 v170, 6
	ds_write2_b64 v162, v[138:139], v[140:141] offset1:1
	s_waitcnt lgkmcnt(0)
	s_barrier
	buffer_gl0_inv
	ds_read2_b64 v[162:165], v1 offset0:12 offset1:13
	s_cmp_lt_i32 s8, 8
	s_cbranch_scc1 .LBB78_128
; %bb.126:
	v_add3_u32 v171, v172, 0, 0x70
	v_mov_b32_e32 v170, 6
	s_mov_b32 s1, 7
	s_inst_prefetch 0x1
	.p2align	6
.LBB78_127:                             ; =>This Inner Loop Header: Depth=1
	s_waitcnt lgkmcnt(0)
	v_cmp_gt_f64_e32 vcc_lo, 0, v[164:165]
	v_cmp_gt_f64_e64 s0, 0, v[162:163]
	ds_read2_b64 v[177:180], v171 offset1:1
	v_xor_b32_e32 v182, 0x80000000, v163
	v_xor_b32_e32 v184, 0x80000000, v165
	v_mov_b32_e32 v181, v162
	v_mov_b32_e32 v183, v164
	v_add_nc_u32_e32 v171, 16, v171
	s_waitcnt lgkmcnt(0)
	v_xor_b32_e32 v186, 0x80000000, v180
	v_cndmask_b32_e64 v182, v163, v182, s0
	v_cndmask_b32_e32 v184, v165, v184, vcc_lo
	v_cmp_gt_f64_e32 vcc_lo, 0, v[179:180]
	v_cmp_gt_f64_e64 s0, 0, v[177:178]
	v_mov_b32_e32 v185, v179
	v_add_f64 v[181:182], v[181:182], v[183:184]
	v_xor_b32_e32 v184, 0x80000000, v178
	v_mov_b32_e32 v183, v177
	v_cndmask_b32_e32 v186, v180, v186, vcc_lo
	v_cndmask_b32_e64 v184, v178, v184, s0
	v_add_f64 v[183:184], v[183:184], v[185:186]
	v_cmp_lt_f64_e32 vcc_lo, v[181:182], v[183:184]
	v_cndmask_b32_e32 v163, v163, v178, vcc_lo
	v_cndmask_b32_e32 v162, v162, v177, vcc_lo
	;; [unrolled: 1-line block ×4, first 2 shown]
	v_cndmask_b32_e64 v170, v170, s1, vcc_lo
	s_add_i32 s1, s1, 1
	s_cmp_lg_u32 s8, s1
	s_cbranch_scc1 .LBB78_127
.LBB78_128:
	s_inst_prefetch 0x2
	s_waitcnt lgkmcnt(0)
	v_cmp_eq_f64_e32 vcc_lo, 0, v[162:163]
	v_cmp_eq_f64_e64 s0, 0, v[164:165]
	s_and_b32 s0, vcc_lo, s0
	s_and_saveexec_b32 s1, s0
	s_xor_b32 s0, exec_lo, s1
; %bb.129:
	v_cmp_ne_u32_e32 vcc_lo, 0, v175
	v_cndmask_b32_e32 v175, 7, v175, vcc_lo
; %bb.130:
	s_andn2_saveexec_b32 s0, s0
	s_cbranch_execz .LBB78_136
; %bb.131:
	v_cmp_ngt_f64_e64 s1, |v[162:163]|, |v[164:165]|
	s_and_saveexec_b32 s7, s1
	s_xor_b32 s1, exec_lo, s7
	s_cbranch_execz .LBB78_133
; %bb.132:
	v_div_scale_f64 v[177:178], null, v[164:165], v[164:165], v[162:163]
	v_div_scale_f64 v[183:184], vcc_lo, v[162:163], v[164:165], v[162:163]
	v_rcp_f64_e32 v[179:180], v[177:178]
	v_fma_f64 v[181:182], -v[177:178], v[179:180], 1.0
	v_fma_f64 v[179:180], v[179:180], v[181:182], v[179:180]
	v_fma_f64 v[181:182], -v[177:178], v[179:180], 1.0
	v_fma_f64 v[179:180], v[179:180], v[181:182], v[179:180]
	v_mul_f64 v[181:182], v[183:184], v[179:180]
	v_fma_f64 v[177:178], -v[177:178], v[181:182], v[183:184]
	v_div_fmas_f64 v[177:178], v[177:178], v[179:180], v[181:182]
	v_div_fixup_f64 v[177:178], v[177:178], v[164:165], v[162:163]
	v_fma_f64 v[162:163], v[162:163], v[177:178], v[164:165]
	v_div_scale_f64 v[164:165], null, v[162:163], v[162:163], 1.0
	v_rcp_f64_e32 v[179:180], v[164:165]
	v_fma_f64 v[181:182], -v[164:165], v[179:180], 1.0
	v_fma_f64 v[179:180], v[179:180], v[181:182], v[179:180]
	v_fma_f64 v[181:182], -v[164:165], v[179:180], 1.0
	v_fma_f64 v[179:180], v[179:180], v[181:182], v[179:180]
	v_div_scale_f64 v[181:182], vcc_lo, 1.0, v[162:163], 1.0
	v_mul_f64 v[183:184], v[181:182], v[179:180]
	v_fma_f64 v[164:165], -v[164:165], v[183:184], v[181:182]
	v_div_fmas_f64 v[164:165], v[164:165], v[179:180], v[183:184]
	v_div_fixup_f64 v[164:165], v[164:165], v[162:163], 1.0
	v_mul_f64 v[162:163], v[177:178], v[164:165]
	v_xor_b32_e32 v165, 0x80000000, v165
.LBB78_133:
	s_andn2_saveexec_b32 s1, s1
	s_cbranch_execz .LBB78_135
; %bb.134:
	v_div_scale_f64 v[177:178], null, v[162:163], v[162:163], v[164:165]
	v_div_scale_f64 v[183:184], vcc_lo, v[164:165], v[162:163], v[164:165]
	v_rcp_f64_e32 v[179:180], v[177:178]
	v_fma_f64 v[181:182], -v[177:178], v[179:180], 1.0
	v_fma_f64 v[179:180], v[179:180], v[181:182], v[179:180]
	v_fma_f64 v[181:182], -v[177:178], v[179:180], 1.0
	v_fma_f64 v[179:180], v[179:180], v[181:182], v[179:180]
	v_mul_f64 v[181:182], v[183:184], v[179:180]
	v_fma_f64 v[177:178], -v[177:178], v[181:182], v[183:184]
	v_div_fmas_f64 v[177:178], v[177:178], v[179:180], v[181:182]
	v_div_fixup_f64 v[177:178], v[177:178], v[162:163], v[164:165]
	v_fma_f64 v[162:163], v[164:165], v[177:178], v[162:163]
	v_div_scale_f64 v[164:165], null, v[162:163], v[162:163], 1.0
	v_rcp_f64_e32 v[179:180], v[164:165]
	v_fma_f64 v[181:182], -v[164:165], v[179:180], 1.0
	v_fma_f64 v[179:180], v[179:180], v[181:182], v[179:180]
	v_fma_f64 v[181:182], -v[164:165], v[179:180], 1.0
	v_fma_f64 v[179:180], v[179:180], v[181:182], v[179:180]
	v_div_scale_f64 v[181:182], vcc_lo, 1.0, v[162:163], 1.0
	v_mul_f64 v[183:184], v[181:182], v[179:180]
	v_fma_f64 v[164:165], -v[164:165], v[183:184], v[181:182]
	v_div_fmas_f64 v[164:165], v[164:165], v[179:180], v[183:184]
	v_div_fixup_f64 v[162:163], v[164:165], v[162:163], 1.0
	v_mul_f64 v[164:165], v[177:178], -v[162:163]
.LBB78_135:
	s_or_b32 exec_lo, exec_lo, s1
.LBB78_136:
	s_or_b32 exec_lo, exec_lo, s0
	s_mov_b32 s0, exec_lo
	v_cmpx_ne_u32_e64 v176, v170
	s_xor_b32 s0, exec_lo, s0
	s_cbranch_execz .LBB78_142
; %bb.137:
	s_mov_b32 s1, exec_lo
	v_cmpx_eq_u32_e32 6, v176
	s_cbranch_execz .LBB78_141
; %bb.138:
	v_cmp_ne_u32_e32 vcc_lo, 6, v170
	s_xor_b32 s7, s16, -1
	s_and_b32 s9, s7, vcc_lo
	s_and_saveexec_b32 s7, s9
	s_cbranch_execz .LBB78_140
; %bb.139:
	v_ashrrev_i32_e32 v171, 31, v170
	v_lshlrev_b64 v[176:177], 2, v[170:171]
	v_add_co_u32 v176, vcc_lo, v168, v176
	v_add_co_ci_u32_e64 v177, null, v169, v177, vcc_lo
	s_clause 0x1
	global_load_dword v0, v[176:177], off
	global_load_dword v171, v[168:169], off offset:24
	s_waitcnt vmcnt(1)
	global_store_dword v[168:169], v0, off offset:24
	s_waitcnt vmcnt(0)
	global_store_dword v[176:177], v171, off
.LBB78_140:
	s_or_b32 exec_lo, exec_lo, s7
	v_mov_b32_e32 v176, v170
	v_mov_b32_e32 v0, v170
.LBB78_141:
	s_or_b32 exec_lo, exec_lo, s1
.LBB78_142:
	s_andn2_saveexec_b32 s0, s0
	s_cbranch_execz .LBB78_144
; %bb.143:
	v_mov_b32_e32 v176, 6
	ds_write2_b64 v1, v[134:135], v[136:137] offset0:14 offset1:15
	ds_write2_b64 v1, v[126:127], v[128:129] offset0:16 offset1:17
	;; [unrolled: 1-line block ×33, first 2 shown]
.LBB78_144:
	s_or_b32 exec_lo, exec_lo, s0
	s_mov_b32 s0, exec_lo
	s_waitcnt lgkmcnt(0)
	s_waitcnt_vscnt null, 0x0
	s_barrier
	buffer_gl0_inv
	v_cmpx_lt_i32_e32 6, v176
	s_cbranch_execz .LBB78_146
; %bb.145:
	v_mul_f64 v[170:171], v[164:165], v[140:141]
	v_mul_f64 v[140:141], v[162:163], v[140:141]
	v_fma_f64 v[170:171], v[162:163], v[138:139], -v[170:171]
	v_fma_f64 v[140:141], v[164:165], v[138:139], v[140:141]
	ds_read2_b64 v[162:165], v1 offset0:14 offset1:15
	s_waitcnt lgkmcnt(0)
	v_mul_f64 v[138:139], v[164:165], v[140:141]
	v_fma_f64 v[138:139], v[162:163], v[170:171], -v[138:139]
	v_mul_f64 v[162:163], v[162:163], v[140:141]
	v_add_f64 v[134:135], v[134:135], -v[138:139]
	v_fma_f64 v[162:163], v[164:165], v[170:171], v[162:163]
	v_add_f64 v[136:137], v[136:137], -v[162:163]
	ds_read2_b64 v[162:165], v1 offset0:16 offset1:17
	s_waitcnt lgkmcnt(0)
	v_mul_f64 v[138:139], v[164:165], v[140:141]
	v_fma_f64 v[138:139], v[162:163], v[170:171], -v[138:139]
	v_mul_f64 v[162:163], v[162:163], v[140:141]
	v_add_f64 v[126:127], v[126:127], -v[138:139]
	v_fma_f64 v[162:163], v[164:165], v[170:171], v[162:163]
	v_add_f64 v[128:129], v[128:129], -v[162:163]
	;; [unrolled: 8-line block ×32, first 2 shown]
	ds_read2_b64 v[162:165], v1 offset0:78 offset1:79
	s_waitcnt lgkmcnt(0)
	v_mul_f64 v[138:139], v[164:165], v[140:141]
	v_fma_f64 v[138:139], v[162:163], v[170:171], -v[138:139]
	v_mul_f64 v[162:163], v[162:163], v[140:141]
	v_add_f64 v[2:3], v[2:3], -v[138:139]
	v_fma_f64 v[162:163], v[164:165], v[170:171], v[162:163]
	v_mov_b32_e32 v138, v170
	v_mov_b32_e32 v139, v171
	v_add_f64 v[4:5], v[4:5], -v[162:163]
.LBB78_146:
	s_or_b32 exec_lo, exec_lo, s0
	v_lshl_add_u32 v162, v176, 4, v1
	s_barrier
	buffer_gl0_inv
	v_mov_b32_e32 v170, 7
	ds_write2_b64 v162, v[134:135], v[136:137] offset1:1
	s_waitcnt lgkmcnt(0)
	s_barrier
	buffer_gl0_inv
	ds_read2_b64 v[162:165], v1 offset0:14 offset1:15
	s_cmp_lt_i32 s8, 9
	s_cbranch_scc1 .LBB78_149
; %bb.147:
	v_add3_u32 v171, v172, 0, 0x80
	v_mov_b32_e32 v170, 7
	s_mov_b32 s1, 8
	s_inst_prefetch 0x1
	.p2align	6
.LBB78_148:                             ; =>This Inner Loop Header: Depth=1
	s_waitcnt lgkmcnt(0)
	v_cmp_gt_f64_e32 vcc_lo, 0, v[164:165]
	v_cmp_gt_f64_e64 s0, 0, v[162:163]
	ds_read2_b64 v[177:180], v171 offset1:1
	v_xor_b32_e32 v182, 0x80000000, v163
	v_xor_b32_e32 v184, 0x80000000, v165
	v_mov_b32_e32 v181, v162
	v_mov_b32_e32 v183, v164
	v_add_nc_u32_e32 v171, 16, v171
	s_waitcnt lgkmcnt(0)
	v_xor_b32_e32 v186, 0x80000000, v180
	v_cndmask_b32_e64 v182, v163, v182, s0
	v_cndmask_b32_e32 v184, v165, v184, vcc_lo
	v_cmp_gt_f64_e32 vcc_lo, 0, v[179:180]
	v_cmp_gt_f64_e64 s0, 0, v[177:178]
	v_mov_b32_e32 v185, v179
	v_add_f64 v[181:182], v[181:182], v[183:184]
	v_xor_b32_e32 v184, 0x80000000, v178
	v_mov_b32_e32 v183, v177
	v_cndmask_b32_e32 v186, v180, v186, vcc_lo
	v_cndmask_b32_e64 v184, v178, v184, s0
	v_add_f64 v[183:184], v[183:184], v[185:186]
	v_cmp_lt_f64_e32 vcc_lo, v[181:182], v[183:184]
	v_cndmask_b32_e32 v163, v163, v178, vcc_lo
	v_cndmask_b32_e32 v162, v162, v177, vcc_lo
	;; [unrolled: 1-line block ×4, first 2 shown]
	v_cndmask_b32_e64 v170, v170, s1, vcc_lo
	s_add_i32 s1, s1, 1
	s_cmp_lg_u32 s8, s1
	s_cbranch_scc1 .LBB78_148
.LBB78_149:
	s_inst_prefetch 0x2
	s_waitcnt lgkmcnt(0)
	v_cmp_eq_f64_e32 vcc_lo, 0, v[162:163]
	v_cmp_eq_f64_e64 s0, 0, v[164:165]
	s_and_b32 s0, vcc_lo, s0
	s_and_saveexec_b32 s1, s0
	s_xor_b32 s0, exec_lo, s1
; %bb.150:
	v_cmp_ne_u32_e32 vcc_lo, 0, v175
	v_cndmask_b32_e32 v175, 8, v175, vcc_lo
; %bb.151:
	s_andn2_saveexec_b32 s0, s0
	s_cbranch_execz .LBB78_157
; %bb.152:
	v_cmp_ngt_f64_e64 s1, |v[162:163]|, |v[164:165]|
	s_and_saveexec_b32 s7, s1
	s_xor_b32 s1, exec_lo, s7
	s_cbranch_execz .LBB78_154
; %bb.153:
	v_div_scale_f64 v[177:178], null, v[164:165], v[164:165], v[162:163]
	v_div_scale_f64 v[183:184], vcc_lo, v[162:163], v[164:165], v[162:163]
	v_rcp_f64_e32 v[179:180], v[177:178]
	v_fma_f64 v[181:182], -v[177:178], v[179:180], 1.0
	v_fma_f64 v[179:180], v[179:180], v[181:182], v[179:180]
	v_fma_f64 v[181:182], -v[177:178], v[179:180], 1.0
	v_fma_f64 v[179:180], v[179:180], v[181:182], v[179:180]
	v_mul_f64 v[181:182], v[183:184], v[179:180]
	v_fma_f64 v[177:178], -v[177:178], v[181:182], v[183:184]
	v_div_fmas_f64 v[177:178], v[177:178], v[179:180], v[181:182]
	v_div_fixup_f64 v[177:178], v[177:178], v[164:165], v[162:163]
	v_fma_f64 v[162:163], v[162:163], v[177:178], v[164:165]
	v_div_scale_f64 v[164:165], null, v[162:163], v[162:163], 1.0
	v_rcp_f64_e32 v[179:180], v[164:165]
	v_fma_f64 v[181:182], -v[164:165], v[179:180], 1.0
	v_fma_f64 v[179:180], v[179:180], v[181:182], v[179:180]
	v_fma_f64 v[181:182], -v[164:165], v[179:180], 1.0
	v_fma_f64 v[179:180], v[179:180], v[181:182], v[179:180]
	v_div_scale_f64 v[181:182], vcc_lo, 1.0, v[162:163], 1.0
	v_mul_f64 v[183:184], v[181:182], v[179:180]
	v_fma_f64 v[164:165], -v[164:165], v[183:184], v[181:182]
	v_div_fmas_f64 v[164:165], v[164:165], v[179:180], v[183:184]
	v_div_fixup_f64 v[164:165], v[164:165], v[162:163], 1.0
	v_mul_f64 v[162:163], v[177:178], v[164:165]
	v_xor_b32_e32 v165, 0x80000000, v165
.LBB78_154:
	s_andn2_saveexec_b32 s1, s1
	s_cbranch_execz .LBB78_156
; %bb.155:
	v_div_scale_f64 v[177:178], null, v[162:163], v[162:163], v[164:165]
	v_div_scale_f64 v[183:184], vcc_lo, v[164:165], v[162:163], v[164:165]
	v_rcp_f64_e32 v[179:180], v[177:178]
	v_fma_f64 v[181:182], -v[177:178], v[179:180], 1.0
	v_fma_f64 v[179:180], v[179:180], v[181:182], v[179:180]
	v_fma_f64 v[181:182], -v[177:178], v[179:180], 1.0
	v_fma_f64 v[179:180], v[179:180], v[181:182], v[179:180]
	v_mul_f64 v[181:182], v[183:184], v[179:180]
	v_fma_f64 v[177:178], -v[177:178], v[181:182], v[183:184]
	v_div_fmas_f64 v[177:178], v[177:178], v[179:180], v[181:182]
	v_div_fixup_f64 v[177:178], v[177:178], v[162:163], v[164:165]
	v_fma_f64 v[162:163], v[164:165], v[177:178], v[162:163]
	v_div_scale_f64 v[164:165], null, v[162:163], v[162:163], 1.0
	v_rcp_f64_e32 v[179:180], v[164:165]
	v_fma_f64 v[181:182], -v[164:165], v[179:180], 1.0
	v_fma_f64 v[179:180], v[179:180], v[181:182], v[179:180]
	v_fma_f64 v[181:182], -v[164:165], v[179:180], 1.0
	v_fma_f64 v[179:180], v[179:180], v[181:182], v[179:180]
	v_div_scale_f64 v[181:182], vcc_lo, 1.0, v[162:163], 1.0
	v_mul_f64 v[183:184], v[181:182], v[179:180]
	v_fma_f64 v[164:165], -v[164:165], v[183:184], v[181:182]
	v_div_fmas_f64 v[164:165], v[164:165], v[179:180], v[183:184]
	v_div_fixup_f64 v[162:163], v[164:165], v[162:163], 1.0
	v_mul_f64 v[164:165], v[177:178], -v[162:163]
.LBB78_156:
	s_or_b32 exec_lo, exec_lo, s1
.LBB78_157:
	s_or_b32 exec_lo, exec_lo, s0
	s_mov_b32 s0, exec_lo
	v_cmpx_ne_u32_e64 v176, v170
	s_xor_b32 s0, exec_lo, s0
	s_cbranch_execz .LBB78_163
; %bb.158:
	s_mov_b32 s1, exec_lo
	v_cmpx_eq_u32_e32 7, v176
	s_cbranch_execz .LBB78_162
; %bb.159:
	v_cmp_ne_u32_e32 vcc_lo, 7, v170
	s_xor_b32 s7, s16, -1
	s_and_b32 s9, s7, vcc_lo
	s_and_saveexec_b32 s7, s9
	s_cbranch_execz .LBB78_161
; %bb.160:
	v_ashrrev_i32_e32 v171, 31, v170
	v_lshlrev_b64 v[176:177], 2, v[170:171]
	v_add_co_u32 v176, vcc_lo, v168, v176
	v_add_co_ci_u32_e64 v177, null, v169, v177, vcc_lo
	s_clause 0x1
	global_load_dword v0, v[176:177], off
	global_load_dword v171, v[168:169], off offset:28
	s_waitcnt vmcnt(1)
	global_store_dword v[168:169], v0, off offset:28
	s_waitcnt vmcnt(0)
	global_store_dword v[176:177], v171, off
.LBB78_161:
	s_or_b32 exec_lo, exec_lo, s7
	v_mov_b32_e32 v176, v170
	v_mov_b32_e32 v0, v170
.LBB78_162:
	s_or_b32 exec_lo, exec_lo, s1
.LBB78_163:
	s_andn2_saveexec_b32 s0, s0
	s_cbranch_execz .LBB78_165
; %bb.164:
	v_mov_b32_e32 v176, 7
	ds_write2_b64 v1, v[126:127], v[128:129] offset0:16 offset1:17
	ds_write2_b64 v1, v[122:123], v[124:125] offset0:18 offset1:19
	;; [unrolled: 1-line block ×32, first 2 shown]
.LBB78_165:
	s_or_b32 exec_lo, exec_lo, s0
	s_mov_b32 s0, exec_lo
	s_waitcnt lgkmcnt(0)
	s_waitcnt_vscnt null, 0x0
	s_barrier
	buffer_gl0_inv
	v_cmpx_lt_i32_e32 7, v176
	s_cbranch_execz .LBB78_167
; %bb.166:
	v_mul_f64 v[170:171], v[164:165], v[136:137]
	v_mul_f64 v[136:137], v[162:163], v[136:137]
	v_fma_f64 v[170:171], v[162:163], v[134:135], -v[170:171]
	v_fma_f64 v[136:137], v[164:165], v[134:135], v[136:137]
	ds_read2_b64 v[162:165], v1 offset0:16 offset1:17
	s_waitcnt lgkmcnt(0)
	v_mul_f64 v[134:135], v[164:165], v[136:137]
	v_fma_f64 v[134:135], v[162:163], v[170:171], -v[134:135]
	v_mul_f64 v[162:163], v[162:163], v[136:137]
	v_add_f64 v[126:127], v[126:127], -v[134:135]
	v_fma_f64 v[162:163], v[164:165], v[170:171], v[162:163]
	v_add_f64 v[128:129], v[128:129], -v[162:163]
	ds_read2_b64 v[162:165], v1 offset0:18 offset1:19
	s_waitcnt lgkmcnt(0)
	v_mul_f64 v[134:135], v[164:165], v[136:137]
	v_fma_f64 v[134:135], v[162:163], v[170:171], -v[134:135]
	v_mul_f64 v[162:163], v[162:163], v[136:137]
	v_add_f64 v[122:123], v[122:123], -v[134:135]
	v_fma_f64 v[162:163], v[164:165], v[170:171], v[162:163]
	v_add_f64 v[124:125], v[124:125], -v[162:163]
	;; [unrolled: 8-line block ×31, first 2 shown]
	ds_read2_b64 v[162:165], v1 offset0:78 offset1:79
	s_waitcnt lgkmcnt(0)
	v_mul_f64 v[134:135], v[164:165], v[136:137]
	v_fma_f64 v[134:135], v[162:163], v[170:171], -v[134:135]
	v_mul_f64 v[162:163], v[162:163], v[136:137]
	v_add_f64 v[2:3], v[2:3], -v[134:135]
	v_fma_f64 v[162:163], v[164:165], v[170:171], v[162:163]
	v_mov_b32_e32 v134, v170
	v_mov_b32_e32 v135, v171
	v_add_f64 v[4:5], v[4:5], -v[162:163]
.LBB78_167:
	s_or_b32 exec_lo, exec_lo, s0
	v_lshl_add_u32 v162, v176, 4, v1
	s_barrier
	buffer_gl0_inv
	v_mov_b32_e32 v170, 8
	ds_write2_b64 v162, v[126:127], v[128:129] offset1:1
	s_waitcnt lgkmcnt(0)
	s_barrier
	buffer_gl0_inv
	ds_read2_b64 v[162:165], v1 offset0:16 offset1:17
	s_cmp_lt_i32 s8, 10
	s_cbranch_scc1 .LBB78_170
; %bb.168:
	v_add3_u32 v171, v172, 0, 0x90
	v_mov_b32_e32 v170, 8
	s_mov_b32 s1, 9
	s_inst_prefetch 0x1
	.p2align	6
.LBB78_169:                             ; =>This Inner Loop Header: Depth=1
	s_waitcnt lgkmcnt(0)
	v_cmp_gt_f64_e32 vcc_lo, 0, v[164:165]
	v_cmp_gt_f64_e64 s0, 0, v[162:163]
	ds_read2_b64 v[177:180], v171 offset1:1
	v_xor_b32_e32 v182, 0x80000000, v163
	v_xor_b32_e32 v184, 0x80000000, v165
	v_mov_b32_e32 v181, v162
	v_mov_b32_e32 v183, v164
	v_add_nc_u32_e32 v171, 16, v171
	s_waitcnt lgkmcnt(0)
	v_xor_b32_e32 v186, 0x80000000, v180
	v_cndmask_b32_e64 v182, v163, v182, s0
	v_cndmask_b32_e32 v184, v165, v184, vcc_lo
	v_cmp_gt_f64_e32 vcc_lo, 0, v[179:180]
	v_cmp_gt_f64_e64 s0, 0, v[177:178]
	v_mov_b32_e32 v185, v179
	v_add_f64 v[181:182], v[181:182], v[183:184]
	v_xor_b32_e32 v184, 0x80000000, v178
	v_mov_b32_e32 v183, v177
	v_cndmask_b32_e32 v186, v180, v186, vcc_lo
	v_cndmask_b32_e64 v184, v178, v184, s0
	v_add_f64 v[183:184], v[183:184], v[185:186]
	v_cmp_lt_f64_e32 vcc_lo, v[181:182], v[183:184]
	v_cndmask_b32_e32 v163, v163, v178, vcc_lo
	v_cndmask_b32_e32 v162, v162, v177, vcc_lo
	;; [unrolled: 1-line block ×4, first 2 shown]
	v_cndmask_b32_e64 v170, v170, s1, vcc_lo
	s_add_i32 s1, s1, 1
	s_cmp_lg_u32 s8, s1
	s_cbranch_scc1 .LBB78_169
.LBB78_170:
	s_inst_prefetch 0x2
	s_waitcnt lgkmcnt(0)
	v_cmp_eq_f64_e32 vcc_lo, 0, v[162:163]
	v_cmp_eq_f64_e64 s0, 0, v[164:165]
	s_and_b32 s0, vcc_lo, s0
	s_and_saveexec_b32 s1, s0
	s_xor_b32 s0, exec_lo, s1
; %bb.171:
	v_cmp_ne_u32_e32 vcc_lo, 0, v175
	v_cndmask_b32_e32 v175, 9, v175, vcc_lo
; %bb.172:
	s_andn2_saveexec_b32 s0, s0
	s_cbranch_execz .LBB78_178
; %bb.173:
	v_cmp_ngt_f64_e64 s1, |v[162:163]|, |v[164:165]|
	s_and_saveexec_b32 s7, s1
	s_xor_b32 s1, exec_lo, s7
	s_cbranch_execz .LBB78_175
; %bb.174:
	v_div_scale_f64 v[177:178], null, v[164:165], v[164:165], v[162:163]
	v_div_scale_f64 v[183:184], vcc_lo, v[162:163], v[164:165], v[162:163]
	v_rcp_f64_e32 v[179:180], v[177:178]
	v_fma_f64 v[181:182], -v[177:178], v[179:180], 1.0
	v_fma_f64 v[179:180], v[179:180], v[181:182], v[179:180]
	v_fma_f64 v[181:182], -v[177:178], v[179:180], 1.0
	v_fma_f64 v[179:180], v[179:180], v[181:182], v[179:180]
	v_mul_f64 v[181:182], v[183:184], v[179:180]
	v_fma_f64 v[177:178], -v[177:178], v[181:182], v[183:184]
	v_div_fmas_f64 v[177:178], v[177:178], v[179:180], v[181:182]
	v_div_fixup_f64 v[177:178], v[177:178], v[164:165], v[162:163]
	v_fma_f64 v[162:163], v[162:163], v[177:178], v[164:165]
	v_div_scale_f64 v[164:165], null, v[162:163], v[162:163], 1.0
	v_rcp_f64_e32 v[179:180], v[164:165]
	v_fma_f64 v[181:182], -v[164:165], v[179:180], 1.0
	v_fma_f64 v[179:180], v[179:180], v[181:182], v[179:180]
	v_fma_f64 v[181:182], -v[164:165], v[179:180], 1.0
	v_fma_f64 v[179:180], v[179:180], v[181:182], v[179:180]
	v_div_scale_f64 v[181:182], vcc_lo, 1.0, v[162:163], 1.0
	v_mul_f64 v[183:184], v[181:182], v[179:180]
	v_fma_f64 v[164:165], -v[164:165], v[183:184], v[181:182]
	v_div_fmas_f64 v[164:165], v[164:165], v[179:180], v[183:184]
	v_div_fixup_f64 v[164:165], v[164:165], v[162:163], 1.0
	v_mul_f64 v[162:163], v[177:178], v[164:165]
	v_xor_b32_e32 v165, 0x80000000, v165
.LBB78_175:
	s_andn2_saveexec_b32 s1, s1
	s_cbranch_execz .LBB78_177
; %bb.176:
	v_div_scale_f64 v[177:178], null, v[162:163], v[162:163], v[164:165]
	v_div_scale_f64 v[183:184], vcc_lo, v[164:165], v[162:163], v[164:165]
	v_rcp_f64_e32 v[179:180], v[177:178]
	v_fma_f64 v[181:182], -v[177:178], v[179:180], 1.0
	v_fma_f64 v[179:180], v[179:180], v[181:182], v[179:180]
	v_fma_f64 v[181:182], -v[177:178], v[179:180], 1.0
	v_fma_f64 v[179:180], v[179:180], v[181:182], v[179:180]
	v_mul_f64 v[181:182], v[183:184], v[179:180]
	v_fma_f64 v[177:178], -v[177:178], v[181:182], v[183:184]
	v_div_fmas_f64 v[177:178], v[177:178], v[179:180], v[181:182]
	v_div_fixup_f64 v[177:178], v[177:178], v[162:163], v[164:165]
	v_fma_f64 v[162:163], v[164:165], v[177:178], v[162:163]
	v_div_scale_f64 v[164:165], null, v[162:163], v[162:163], 1.0
	v_rcp_f64_e32 v[179:180], v[164:165]
	v_fma_f64 v[181:182], -v[164:165], v[179:180], 1.0
	v_fma_f64 v[179:180], v[179:180], v[181:182], v[179:180]
	v_fma_f64 v[181:182], -v[164:165], v[179:180], 1.0
	v_fma_f64 v[179:180], v[179:180], v[181:182], v[179:180]
	v_div_scale_f64 v[181:182], vcc_lo, 1.0, v[162:163], 1.0
	v_mul_f64 v[183:184], v[181:182], v[179:180]
	v_fma_f64 v[164:165], -v[164:165], v[183:184], v[181:182]
	v_div_fmas_f64 v[164:165], v[164:165], v[179:180], v[183:184]
	v_div_fixup_f64 v[162:163], v[164:165], v[162:163], 1.0
	v_mul_f64 v[164:165], v[177:178], -v[162:163]
.LBB78_177:
	s_or_b32 exec_lo, exec_lo, s1
.LBB78_178:
	s_or_b32 exec_lo, exec_lo, s0
	s_mov_b32 s0, exec_lo
	v_cmpx_ne_u32_e64 v176, v170
	s_xor_b32 s0, exec_lo, s0
	s_cbranch_execz .LBB78_184
; %bb.179:
	s_mov_b32 s1, exec_lo
	v_cmpx_eq_u32_e32 8, v176
	s_cbranch_execz .LBB78_183
; %bb.180:
	v_cmp_ne_u32_e32 vcc_lo, 8, v170
	s_xor_b32 s7, s16, -1
	s_and_b32 s9, s7, vcc_lo
	s_and_saveexec_b32 s7, s9
	s_cbranch_execz .LBB78_182
; %bb.181:
	v_ashrrev_i32_e32 v171, 31, v170
	v_lshlrev_b64 v[176:177], 2, v[170:171]
	v_add_co_u32 v176, vcc_lo, v168, v176
	v_add_co_ci_u32_e64 v177, null, v169, v177, vcc_lo
	s_clause 0x1
	global_load_dword v0, v[176:177], off
	global_load_dword v171, v[168:169], off offset:32
	s_waitcnt vmcnt(1)
	global_store_dword v[168:169], v0, off offset:32
	s_waitcnt vmcnt(0)
	global_store_dword v[176:177], v171, off
.LBB78_182:
	s_or_b32 exec_lo, exec_lo, s7
	v_mov_b32_e32 v176, v170
	v_mov_b32_e32 v0, v170
.LBB78_183:
	s_or_b32 exec_lo, exec_lo, s1
.LBB78_184:
	s_andn2_saveexec_b32 s0, s0
	s_cbranch_execz .LBB78_186
; %bb.185:
	v_mov_b32_e32 v176, 8
	ds_write2_b64 v1, v[122:123], v[124:125] offset0:18 offset1:19
	ds_write2_b64 v1, v[114:115], v[116:117] offset0:20 offset1:21
	;; [unrolled: 1-line block ×31, first 2 shown]
.LBB78_186:
	s_or_b32 exec_lo, exec_lo, s0
	s_mov_b32 s0, exec_lo
	s_waitcnt lgkmcnt(0)
	s_waitcnt_vscnt null, 0x0
	s_barrier
	buffer_gl0_inv
	v_cmpx_lt_i32_e32 8, v176
	s_cbranch_execz .LBB78_188
; %bb.187:
	v_mul_f64 v[170:171], v[164:165], v[128:129]
	v_mul_f64 v[128:129], v[162:163], v[128:129]
	v_fma_f64 v[170:171], v[162:163], v[126:127], -v[170:171]
	v_fma_f64 v[128:129], v[164:165], v[126:127], v[128:129]
	ds_read2_b64 v[162:165], v1 offset0:18 offset1:19
	s_waitcnt lgkmcnt(0)
	v_mul_f64 v[126:127], v[164:165], v[128:129]
	v_fma_f64 v[126:127], v[162:163], v[170:171], -v[126:127]
	v_mul_f64 v[162:163], v[162:163], v[128:129]
	v_add_f64 v[122:123], v[122:123], -v[126:127]
	v_fma_f64 v[162:163], v[164:165], v[170:171], v[162:163]
	v_add_f64 v[124:125], v[124:125], -v[162:163]
	ds_read2_b64 v[162:165], v1 offset0:20 offset1:21
	s_waitcnt lgkmcnt(0)
	v_mul_f64 v[126:127], v[164:165], v[128:129]
	v_fma_f64 v[126:127], v[162:163], v[170:171], -v[126:127]
	v_mul_f64 v[162:163], v[162:163], v[128:129]
	v_add_f64 v[114:115], v[114:115], -v[126:127]
	v_fma_f64 v[162:163], v[164:165], v[170:171], v[162:163]
	v_add_f64 v[116:117], v[116:117], -v[162:163]
	;; [unrolled: 8-line block ×30, first 2 shown]
	ds_read2_b64 v[162:165], v1 offset0:78 offset1:79
	s_waitcnt lgkmcnt(0)
	v_mul_f64 v[126:127], v[164:165], v[128:129]
	v_fma_f64 v[126:127], v[162:163], v[170:171], -v[126:127]
	v_mul_f64 v[162:163], v[162:163], v[128:129]
	v_add_f64 v[2:3], v[2:3], -v[126:127]
	v_fma_f64 v[162:163], v[164:165], v[170:171], v[162:163]
	v_mov_b32_e32 v126, v170
	v_mov_b32_e32 v127, v171
	v_add_f64 v[4:5], v[4:5], -v[162:163]
.LBB78_188:
	s_or_b32 exec_lo, exec_lo, s0
	v_lshl_add_u32 v162, v176, 4, v1
	s_barrier
	buffer_gl0_inv
	v_mov_b32_e32 v170, 9
	ds_write2_b64 v162, v[122:123], v[124:125] offset1:1
	s_waitcnt lgkmcnt(0)
	s_barrier
	buffer_gl0_inv
	ds_read2_b64 v[162:165], v1 offset0:18 offset1:19
	s_cmp_lt_i32 s8, 11
	s_cbranch_scc1 .LBB78_191
; %bb.189:
	v_add3_u32 v171, v172, 0, 0xa0
	v_mov_b32_e32 v170, 9
	s_mov_b32 s1, 10
	s_inst_prefetch 0x1
	.p2align	6
.LBB78_190:                             ; =>This Inner Loop Header: Depth=1
	s_waitcnt lgkmcnt(0)
	v_cmp_gt_f64_e32 vcc_lo, 0, v[164:165]
	v_cmp_gt_f64_e64 s0, 0, v[162:163]
	ds_read2_b64 v[177:180], v171 offset1:1
	v_xor_b32_e32 v182, 0x80000000, v163
	v_xor_b32_e32 v184, 0x80000000, v165
	v_mov_b32_e32 v181, v162
	v_mov_b32_e32 v183, v164
	v_add_nc_u32_e32 v171, 16, v171
	s_waitcnt lgkmcnt(0)
	v_xor_b32_e32 v186, 0x80000000, v180
	v_cndmask_b32_e64 v182, v163, v182, s0
	v_cndmask_b32_e32 v184, v165, v184, vcc_lo
	v_cmp_gt_f64_e32 vcc_lo, 0, v[179:180]
	v_cmp_gt_f64_e64 s0, 0, v[177:178]
	v_mov_b32_e32 v185, v179
	v_add_f64 v[181:182], v[181:182], v[183:184]
	v_xor_b32_e32 v184, 0x80000000, v178
	v_mov_b32_e32 v183, v177
	v_cndmask_b32_e32 v186, v180, v186, vcc_lo
	v_cndmask_b32_e64 v184, v178, v184, s0
	v_add_f64 v[183:184], v[183:184], v[185:186]
	v_cmp_lt_f64_e32 vcc_lo, v[181:182], v[183:184]
	v_cndmask_b32_e32 v163, v163, v178, vcc_lo
	v_cndmask_b32_e32 v162, v162, v177, vcc_lo
	;; [unrolled: 1-line block ×4, first 2 shown]
	v_cndmask_b32_e64 v170, v170, s1, vcc_lo
	s_add_i32 s1, s1, 1
	s_cmp_lg_u32 s8, s1
	s_cbranch_scc1 .LBB78_190
.LBB78_191:
	s_inst_prefetch 0x2
	s_waitcnt lgkmcnt(0)
	v_cmp_eq_f64_e32 vcc_lo, 0, v[162:163]
	v_cmp_eq_f64_e64 s0, 0, v[164:165]
	s_and_b32 s0, vcc_lo, s0
	s_and_saveexec_b32 s1, s0
	s_xor_b32 s0, exec_lo, s1
; %bb.192:
	v_cmp_ne_u32_e32 vcc_lo, 0, v175
	v_cndmask_b32_e32 v175, 10, v175, vcc_lo
; %bb.193:
	s_andn2_saveexec_b32 s0, s0
	s_cbranch_execz .LBB78_199
; %bb.194:
	v_cmp_ngt_f64_e64 s1, |v[162:163]|, |v[164:165]|
	s_and_saveexec_b32 s7, s1
	s_xor_b32 s1, exec_lo, s7
	s_cbranch_execz .LBB78_196
; %bb.195:
	v_div_scale_f64 v[177:178], null, v[164:165], v[164:165], v[162:163]
	v_div_scale_f64 v[183:184], vcc_lo, v[162:163], v[164:165], v[162:163]
	v_rcp_f64_e32 v[179:180], v[177:178]
	v_fma_f64 v[181:182], -v[177:178], v[179:180], 1.0
	v_fma_f64 v[179:180], v[179:180], v[181:182], v[179:180]
	v_fma_f64 v[181:182], -v[177:178], v[179:180], 1.0
	v_fma_f64 v[179:180], v[179:180], v[181:182], v[179:180]
	v_mul_f64 v[181:182], v[183:184], v[179:180]
	v_fma_f64 v[177:178], -v[177:178], v[181:182], v[183:184]
	v_div_fmas_f64 v[177:178], v[177:178], v[179:180], v[181:182]
	v_div_fixup_f64 v[177:178], v[177:178], v[164:165], v[162:163]
	v_fma_f64 v[162:163], v[162:163], v[177:178], v[164:165]
	v_div_scale_f64 v[164:165], null, v[162:163], v[162:163], 1.0
	v_rcp_f64_e32 v[179:180], v[164:165]
	v_fma_f64 v[181:182], -v[164:165], v[179:180], 1.0
	v_fma_f64 v[179:180], v[179:180], v[181:182], v[179:180]
	v_fma_f64 v[181:182], -v[164:165], v[179:180], 1.0
	v_fma_f64 v[179:180], v[179:180], v[181:182], v[179:180]
	v_div_scale_f64 v[181:182], vcc_lo, 1.0, v[162:163], 1.0
	v_mul_f64 v[183:184], v[181:182], v[179:180]
	v_fma_f64 v[164:165], -v[164:165], v[183:184], v[181:182]
	v_div_fmas_f64 v[164:165], v[164:165], v[179:180], v[183:184]
	v_div_fixup_f64 v[164:165], v[164:165], v[162:163], 1.0
	v_mul_f64 v[162:163], v[177:178], v[164:165]
	v_xor_b32_e32 v165, 0x80000000, v165
.LBB78_196:
	s_andn2_saveexec_b32 s1, s1
	s_cbranch_execz .LBB78_198
; %bb.197:
	v_div_scale_f64 v[177:178], null, v[162:163], v[162:163], v[164:165]
	v_div_scale_f64 v[183:184], vcc_lo, v[164:165], v[162:163], v[164:165]
	v_rcp_f64_e32 v[179:180], v[177:178]
	v_fma_f64 v[181:182], -v[177:178], v[179:180], 1.0
	v_fma_f64 v[179:180], v[179:180], v[181:182], v[179:180]
	v_fma_f64 v[181:182], -v[177:178], v[179:180], 1.0
	v_fma_f64 v[179:180], v[179:180], v[181:182], v[179:180]
	v_mul_f64 v[181:182], v[183:184], v[179:180]
	v_fma_f64 v[177:178], -v[177:178], v[181:182], v[183:184]
	v_div_fmas_f64 v[177:178], v[177:178], v[179:180], v[181:182]
	v_div_fixup_f64 v[177:178], v[177:178], v[162:163], v[164:165]
	v_fma_f64 v[162:163], v[164:165], v[177:178], v[162:163]
	v_div_scale_f64 v[164:165], null, v[162:163], v[162:163], 1.0
	v_rcp_f64_e32 v[179:180], v[164:165]
	v_fma_f64 v[181:182], -v[164:165], v[179:180], 1.0
	v_fma_f64 v[179:180], v[179:180], v[181:182], v[179:180]
	v_fma_f64 v[181:182], -v[164:165], v[179:180], 1.0
	v_fma_f64 v[179:180], v[179:180], v[181:182], v[179:180]
	v_div_scale_f64 v[181:182], vcc_lo, 1.0, v[162:163], 1.0
	v_mul_f64 v[183:184], v[181:182], v[179:180]
	v_fma_f64 v[164:165], -v[164:165], v[183:184], v[181:182]
	v_div_fmas_f64 v[164:165], v[164:165], v[179:180], v[183:184]
	v_div_fixup_f64 v[162:163], v[164:165], v[162:163], 1.0
	v_mul_f64 v[164:165], v[177:178], -v[162:163]
.LBB78_198:
	s_or_b32 exec_lo, exec_lo, s1
.LBB78_199:
	s_or_b32 exec_lo, exec_lo, s0
	s_mov_b32 s0, exec_lo
	v_cmpx_ne_u32_e64 v176, v170
	s_xor_b32 s0, exec_lo, s0
	s_cbranch_execz .LBB78_205
; %bb.200:
	s_mov_b32 s1, exec_lo
	v_cmpx_eq_u32_e32 9, v176
	s_cbranch_execz .LBB78_204
; %bb.201:
	v_cmp_ne_u32_e32 vcc_lo, 9, v170
	s_xor_b32 s7, s16, -1
	s_and_b32 s9, s7, vcc_lo
	s_and_saveexec_b32 s7, s9
	s_cbranch_execz .LBB78_203
; %bb.202:
	v_ashrrev_i32_e32 v171, 31, v170
	v_lshlrev_b64 v[176:177], 2, v[170:171]
	v_add_co_u32 v176, vcc_lo, v168, v176
	v_add_co_ci_u32_e64 v177, null, v169, v177, vcc_lo
	s_clause 0x1
	global_load_dword v0, v[176:177], off
	global_load_dword v171, v[168:169], off offset:36
	s_waitcnt vmcnt(1)
	global_store_dword v[168:169], v0, off offset:36
	s_waitcnt vmcnt(0)
	global_store_dword v[176:177], v171, off
.LBB78_203:
	s_or_b32 exec_lo, exec_lo, s7
	v_mov_b32_e32 v176, v170
	v_mov_b32_e32 v0, v170
.LBB78_204:
	s_or_b32 exec_lo, exec_lo, s1
.LBB78_205:
	s_andn2_saveexec_b32 s0, s0
	s_cbranch_execz .LBB78_207
; %bb.206:
	v_mov_b32_e32 v176, 9
	ds_write2_b64 v1, v[114:115], v[116:117] offset0:20 offset1:21
	ds_write2_b64 v1, v[110:111], v[112:113] offset0:22 offset1:23
	;; [unrolled: 1-line block ×30, first 2 shown]
.LBB78_207:
	s_or_b32 exec_lo, exec_lo, s0
	s_mov_b32 s0, exec_lo
	s_waitcnt lgkmcnt(0)
	s_waitcnt_vscnt null, 0x0
	s_barrier
	buffer_gl0_inv
	v_cmpx_lt_i32_e32 9, v176
	s_cbranch_execz .LBB78_209
; %bb.208:
	v_mul_f64 v[170:171], v[164:165], v[124:125]
	v_mul_f64 v[124:125], v[162:163], v[124:125]
	v_fma_f64 v[170:171], v[162:163], v[122:123], -v[170:171]
	v_fma_f64 v[124:125], v[164:165], v[122:123], v[124:125]
	ds_read2_b64 v[162:165], v1 offset0:20 offset1:21
	s_waitcnt lgkmcnt(0)
	v_mul_f64 v[122:123], v[164:165], v[124:125]
	v_fma_f64 v[122:123], v[162:163], v[170:171], -v[122:123]
	v_mul_f64 v[162:163], v[162:163], v[124:125]
	v_add_f64 v[114:115], v[114:115], -v[122:123]
	v_fma_f64 v[162:163], v[164:165], v[170:171], v[162:163]
	v_add_f64 v[116:117], v[116:117], -v[162:163]
	ds_read2_b64 v[162:165], v1 offset0:22 offset1:23
	s_waitcnt lgkmcnt(0)
	v_mul_f64 v[122:123], v[164:165], v[124:125]
	v_fma_f64 v[122:123], v[162:163], v[170:171], -v[122:123]
	v_mul_f64 v[162:163], v[162:163], v[124:125]
	v_add_f64 v[110:111], v[110:111], -v[122:123]
	v_fma_f64 v[162:163], v[164:165], v[170:171], v[162:163]
	v_add_f64 v[112:113], v[112:113], -v[162:163]
	;; [unrolled: 8-line block ×29, first 2 shown]
	ds_read2_b64 v[162:165], v1 offset0:78 offset1:79
	s_waitcnt lgkmcnt(0)
	v_mul_f64 v[122:123], v[164:165], v[124:125]
	v_fma_f64 v[122:123], v[162:163], v[170:171], -v[122:123]
	v_mul_f64 v[162:163], v[162:163], v[124:125]
	v_add_f64 v[2:3], v[2:3], -v[122:123]
	v_fma_f64 v[162:163], v[164:165], v[170:171], v[162:163]
	v_mov_b32_e32 v122, v170
	v_mov_b32_e32 v123, v171
	v_add_f64 v[4:5], v[4:5], -v[162:163]
.LBB78_209:
	s_or_b32 exec_lo, exec_lo, s0
	v_lshl_add_u32 v162, v176, 4, v1
	s_barrier
	buffer_gl0_inv
	v_mov_b32_e32 v170, 10
	ds_write2_b64 v162, v[114:115], v[116:117] offset1:1
	s_waitcnt lgkmcnt(0)
	s_barrier
	buffer_gl0_inv
	ds_read2_b64 v[162:165], v1 offset0:20 offset1:21
	s_cmp_lt_i32 s8, 12
	s_cbranch_scc1 .LBB78_212
; %bb.210:
	v_add3_u32 v171, v172, 0, 0xb0
	v_mov_b32_e32 v170, 10
	s_mov_b32 s1, 11
	s_inst_prefetch 0x1
	.p2align	6
.LBB78_211:                             ; =>This Inner Loop Header: Depth=1
	s_waitcnt lgkmcnt(0)
	v_cmp_gt_f64_e32 vcc_lo, 0, v[164:165]
	v_cmp_gt_f64_e64 s0, 0, v[162:163]
	ds_read2_b64 v[177:180], v171 offset1:1
	v_xor_b32_e32 v182, 0x80000000, v163
	v_xor_b32_e32 v184, 0x80000000, v165
	v_mov_b32_e32 v181, v162
	v_mov_b32_e32 v183, v164
	v_add_nc_u32_e32 v171, 16, v171
	s_waitcnt lgkmcnt(0)
	v_xor_b32_e32 v186, 0x80000000, v180
	v_cndmask_b32_e64 v182, v163, v182, s0
	v_cndmask_b32_e32 v184, v165, v184, vcc_lo
	v_cmp_gt_f64_e32 vcc_lo, 0, v[179:180]
	v_cmp_gt_f64_e64 s0, 0, v[177:178]
	v_mov_b32_e32 v185, v179
	v_add_f64 v[181:182], v[181:182], v[183:184]
	v_xor_b32_e32 v184, 0x80000000, v178
	v_mov_b32_e32 v183, v177
	v_cndmask_b32_e32 v186, v180, v186, vcc_lo
	v_cndmask_b32_e64 v184, v178, v184, s0
	v_add_f64 v[183:184], v[183:184], v[185:186]
	v_cmp_lt_f64_e32 vcc_lo, v[181:182], v[183:184]
	v_cndmask_b32_e32 v163, v163, v178, vcc_lo
	v_cndmask_b32_e32 v162, v162, v177, vcc_lo
	;; [unrolled: 1-line block ×4, first 2 shown]
	v_cndmask_b32_e64 v170, v170, s1, vcc_lo
	s_add_i32 s1, s1, 1
	s_cmp_lg_u32 s8, s1
	s_cbranch_scc1 .LBB78_211
.LBB78_212:
	s_inst_prefetch 0x2
	s_waitcnt lgkmcnt(0)
	v_cmp_eq_f64_e32 vcc_lo, 0, v[162:163]
	v_cmp_eq_f64_e64 s0, 0, v[164:165]
	s_and_b32 s0, vcc_lo, s0
	s_and_saveexec_b32 s1, s0
	s_xor_b32 s0, exec_lo, s1
; %bb.213:
	v_cmp_ne_u32_e32 vcc_lo, 0, v175
	v_cndmask_b32_e32 v175, 11, v175, vcc_lo
; %bb.214:
	s_andn2_saveexec_b32 s0, s0
	s_cbranch_execz .LBB78_220
; %bb.215:
	v_cmp_ngt_f64_e64 s1, |v[162:163]|, |v[164:165]|
	s_and_saveexec_b32 s7, s1
	s_xor_b32 s1, exec_lo, s7
	s_cbranch_execz .LBB78_217
; %bb.216:
	v_div_scale_f64 v[177:178], null, v[164:165], v[164:165], v[162:163]
	v_div_scale_f64 v[183:184], vcc_lo, v[162:163], v[164:165], v[162:163]
	v_rcp_f64_e32 v[179:180], v[177:178]
	v_fma_f64 v[181:182], -v[177:178], v[179:180], 1.0
	v_fma_f64 v[179:180], v[179:180], v[181:182], v[179:180]
	v_fma_f64 v[181:182], -v[177:178], v[179:180], 1.0
	v_fma_f64 v[179:180], v[179:180], v[181:182], v[179:180]
	v_mul_f64 v[181:182], v[183:184], v[179:180]
	v_fma_f64 v[177:178], -v[177:178], v[181:182], v[183:184]
	v_div_fmas_f64 v[177:178], v[177:178], v[179:180], v[181:182]
	v_div_fixup_f64 v[177:178], v[177:178], v[164:165], v[162:163]
	v_fma_f64 v[162:163], v[162:163], v[177:178], v[164:165]
	v_div_scale_f64 v[164:165], null, v[162:163], v[162:163], 1.0
	v_rcp_f64_e32 v[179:180], v[164:165]
	v_fma_f64 v[181:182], -v[164:165], v[179:180], 1.0
	v_fma_f64 v[179:180], v[179:180], v[181:182], v[179:180]
	v_fma_f64 v[181:182], -v[164:165], v[179:180], 1.0
	v_fma_f64 v[179:180], v[179:180], v[181:182], v[179:180]
	v_div_scale_f64 v[181:182], vcc_lo, 1.0, v[162:163], 1.0
	v_mul_f64 v[183:184], v[181:182], v[179:180]
	v_fma_f64 v[164:165], -v[164:165], v[183:184], v[181:182]
	v_div_fmas_f64 v[164:165], v[164:165], v[179:180], v[183:184]
	v_div_fixup_f64 v[164:165], v[164:165], v[162:163], 1.0
	v_mul_f64 v[162:163], v[177:178], v[164:165]
	v_xor_b32_e32 v165, 0x80000000, v165
.LBB78_217:
	s_andn2_saveexec_b32 s1, s1
	s_cbranch_execz .LBB78_219
; %bb.218:
	v_div_scale_f64 v[177:178], null, v[162:163], v[162:163], v[164:165]
	v_div_scale_f64 v[183:184], vcc_lo, v[164:165], v[162:163], v[164:165]
	v_rcp_f64_e32 v[179:180], v[177:178]
	v_fma_f64 v[181:182], -v[177:178], v[179:180], 1.0
	v_fma_f64 v[179:180], v[179:180], v[181:182], v[179:180]
	v_fma_f64 v[181:182], -v[177:178], v[179:180], 1.0
	v_fma_f64 v[179:180], v[179:180], v[181:182], v[179:180]
	v_mul_f64 v[181:182], v[183:184], v[179:180]
	v_fma_f64 v[177:178], -v[177:178], v[181:182], v[183:184]
	v_div_fmas_f64 v[177:178], v[177:178], v[179:180], v[181:182]
	v_div_fixup_f64 v[177:178], v[177:178], v[162:163], v[164:165]
	v_fma_f64 v[162:163], v[164:165], v[177:178], v[162:163]
	v_div_scale_f64 v[164:165], null, v[162:163], v[162:163], 1.0
	v_rcp_f64_e32 v[179:180], v[164:165]
	v_fma_f64 v[181:182], -v[164:165], v[179:180], 1.0
	v_fma_f64 v[179:180], v[179:180], v[181:182], v[179:180]
	v_fma_f64 v[181:182], -v[164:165], v[179:180], 1.0
	v_fma_f64 v[179:180], v[179:180], v[181:182], v[179:180]
	v_div_scale_f64 v[181:182], vcc_lo, 1.0, v[162:163], 1.0
	v_mul_f64 v[183:184], v[181:182], v[179:180]
	v_fma_f64 v[164:165], -v[164:165], v[183:184], v[181:182]
	v_div_fmas_f64 v[164:165], v[164:165], v[179:180], v[183:184]
	v_div_fixup_f64 v[162:163], v[164:165], v[162:163], 1.0
	v_mul_f64 v[164:165], v[177:178], -v[162:163]
.LBB78_219:
	s_or_b32 exec_lo, exec_lo, s1
.LBB78_220:
	s_or_b32 exec_lo, exec_lo, s0
	s_mov_b32 s0, exec_lo
	v_cmpx_ne_u32_e64 v176, v170
	s_xor_b32 s0, exec_lo, s0
	s_cbranch_execz .LBB78_226
; %bb.221:
	s_mov_b32 s1, exec_lo
	v_cmpx_eq_u32_e32 10, v176
	s_cbranch_execz .LBB78_225
; %bb.222:
	v_cmp_ne_u32_e32 vcc_lo, 10, v170
	s_xor_b32 s7, s16, -1
	s_and_b32 s9, s7, vcc_lo
	s_and_saveexec_b32 s7, s9
	s_cbranch_execz .LBB78_224
; %bb.223:
	v_ashrrev_i32_e32 v171, 31, v170
	v_lshlrev_b64 v[176:177], 2, v[170:171]
	v_add_co_u32 v176, vcc_lo, v168, v176
	v_add_co_ci_u32_e64 v177, null, v169, v177, vcc_lo
	s_clause 0x1
	global_load_dword v0, v[176:177], off
	global_load_dword v171, v[168:169], off offset:40
	s_waitcnt vmcnt(1)
	global_store_dword v[168:169], v0, off offset:40
	s_waitcnt vmcnt(0)
	global_store_dword v[176:177], v171, off
.LBB78_224:
	s_or_b32 exec_lo, exec_lo, s7
	v_mov_b32_e32 v176, v170
	v_mov_b32_e32 v0, v170
.LBB78_225:
	s_or_b32 exec_lo, exec_lo, s1
.LBB78_226:
	s_andn2_saveexec_b32 s0, s0
	s_cbranch_execz .LBB78_228
; %bb.227:
	v_mov_b32_e32 v176, 10
	ds_write2_b64 v1, v[110:111], v[112:113] offset0:22 offset1:23
	ds_write2_b64 v1, v[118:119], v[120:121] offset0:24 offset1:25
	;; [unrolled: 1-line block ×29, first 2 shown]
.LBB78_228:
	s_or_b32 exec_lo, exec_lo, s0
	s_mov_b32 s0, exec_lo
	s_waitcnt lgkmcnt(0)
	s_waitcnt_vscnt null, 0x0
	s_barrier
	buffer_gl0_inv
	v_cmpx_lt_i32_e32 10, v176
	s_cbranch_execz .LBB78_230
; %bb.229:
	v_mul_f64 v[170:171], v[164:165], v[116:117]
	v_mul_f64 v[116:117], v[162:163], v[116:117]
	v_fma_f64 v[170:171], v[162:163], v[114:115], -v[170:171]
	v_fma_f64 v[116:117], v[164:165], v[114:115], v[116:117]
	ds_read2_b64 v[162:165], v1 offset0:22 offset1:23
	s_waitcnt lgkmcnt(0)
	v_mul_f64 v[114:115], v[164:165], v[116:117]
	v_fma_f64 v[114:115], v[162:163], v[170:171], -v[114:115]
	v_mul_f64 v[162:163], v[162:163], v[116:117]
	v_add_f64 v[110:111], v[110:111], -v[114:115]
	v_fma_f64 v[162:163], v[164:165], v[170:171], v[162:163]
	v_add_f64 v[112:113], v[112:113], -v[162:163]
	ds_read2_b64 v[162:165], v1 offset0:24 offset1:25
	s_waitcnt lgkmcnt(0)
	v_mul_f64 v[114:115], v[164:165], v[116:117]
	v_fma_f64 v[114:115], v[162:163], v[170:171], -v[114:115]
	v_mul_f64 v[162:163], v[162:163], v[116:117]
	v_add_f64 v[118:119], v[118:119], -v[114:115]
	v_fma_f64 v[162:163], v[164:165], v[170:171], v[162:163]
	v_add_f64 v[120:121], v[120:121], -v[162:163]
	;; [unrolled: 8-line block ×28, first 2 shown]
	ds_read2_b64 v[162:165], v1 offset0:78 offset1:79
	s_waitcnt lgkmcnt(0)
	v_mul_f64 v[114:115], v[164:165], v[116:117]
	v_fma_f64 v[114:115], v[162:163], v[170:171], -v[114:115]
	v_mul_f64 v[162:163], v[162:163], v[116:117]
	v_add_f64 v[2:3], v[2:3], -v[114:115]
	v_fma_f64 v[162:163], v[164:165], v[170:171], v[162:163]
	v_mov_b32_e32 v114, v170
	v_mov_b32_e32 v115, v171
	v_add_f64 v[4:5], v[4:5], -v[162:163]
.LBB78_230:
	s_or_b32 exec_lo, exec_lo, s0
	v_lshl_add_u32 v162, v176, 4, v1
	s_barrier
	buffer_gl0_inv
	v_mov_b32_e32 v170, 11
	ds_write2_b64 v162, v[110:111], v[112:113] offset1:1
	s_waitcnt lgkmcnt(0)
	s_barrier
	buffer_gl0_inv
	ds_read2_b64 v[162:165], v1 offset0:22 offset1:23
	s_cmp_lt_i32 s8, 13
	s_cbranch_scc1 .LBB78_233
; %bb.231:
	v_add3_u32 v171, v172, 0, 0xc0
	v_mov_b32_e32 v170, 11
	s_mov_b32 s1, 12
	s_inst_prefetch 0x1
	.p2align	6
.LBB78_232:                             ; =>This Inner Loop Header: Depth=1
	s_waitcnt lgkmcnt(0)
	v_cmp_gt_f64_e32 vcc_lo, 0, v[164:165]
	v_cmp_gt_f64_e64 s0, 0, v[162:163]
	ds_read2_b64 v[177:180], v171 offset1:1
	v_xor_b32_e32 v182, 0x80000000, v163
	v_xor_b32_e32 v184, 0x80000000, v165
	v_mov_b32_e32 v181, v162
	v_mov_b32_e32 v183, v164
	v_add_nc_u32_e32 v171, 16, v171
	s_waitcnt lgkmcnt(0)
	v_xor_b32_e32 v186, 0x80000000, v180
	v_cndmask_b32_e64 v182, v163, v182, s0
	v_cndmask_b32_e32 v184, v165, v184, vcc_lo
	v_cmp_gt_f64_e32 vcc_lo, 0, v[179:180]
	v_cmp_gt_f64_e64 s0, 0, v[177:178]
	v_mov_b32_e32 v185, v179
	v_add_f64 v[181:182], v[181:182], v[183:184]
	v_xor_b32_e32 v184, 0x80000000, v178
	v_mov_b32_e32 v183, v177
	v_cndmask_b32_e32 v186, v180, v186, vcc_lo
	v_cndmask_b32_e64 v184, v178, v184, s0
	v_add_f64 v[183:184], v[183:184], v[185:186]
	v_cmp_lt_f64_e32 vcc_lo, v[181:182], v[183:184]
	v_cndmask_b32_e32 v163, v163, v178, vcc_lo
	v_cndmask_b32_e32 v162, v162, v177, vcc_lo
	;; [unrolled: 1-line block ×4, first 2 shown]
	v_cndmask_b32_e64 v170, v170, s1, vcc_lo
	s_add_i32 s1, s1, 1
	s_cmp_lg_u32 s8, s1
	s_cbranch_scc1 .LBB78_232
.LBB78_233:
	s_inst_prefetch 0x2
	s_waitcnt lgkmcnt(0)
	v_cmp_eq_f64_e32 vcc_lo, 0, v[162:163]
	v_cmp_eq_f64_e64 s0, 0, v[164:165]
	s_and_b32 s0, vcc_lo, s0
	s_and_saveexec_b32 s1, s0
	s_xor_b32 s0, exec_lo, s1
; %bb.234:
	v_cmp_ne_u32_e32 vcc_lo, 0, v175
	v_cndmask_b32_e32 v175, 12, v175, vcc_lo
; %bb.235:
	s_andn2_saveexec_b32 s0, s0
	s_cbranch_execz .LBB78_241
; %bb.236:
	v_cmp_ngt_f64_e64 s1, |v[162:163]|, |v[164:165]|
	s_and_saveexec_b32 s7, s1
	s_xor_b32 s1, exec_lo, s7
	s_cbranch_execz .LBB78_238
; %bb.237:
	v_div_scale_f64 v[177:178], null, v[164:165], v[164:165], v[162:163]
	v_div_scale_f64 v[183:184], vcc_lo, v[162:163], v[164:165], v[162:163]
	v_rcp_f64_e32 v[179:180], v[177:178]
	v_fma_f64 v[181:182], -v[177:178], v[179:180], 1.0
	v_fma_f64 v[179:180], v[179:180], v[181:182], v[179:180]
	v_fma_f64 v[181:182], -v[177:178], v[179:180], 1.0
	v_fma_f64 v[179:180], v[179:180], v[181:182], v[179:180]
	v_mul_f64 v[181:182], v[183:184], v[179:180]
	v_fma_f64 v[177:178], -v[177:178], v[181:182], v[183:184]
	v_div_fmas_f64 v[177:178], v[177:178], v[179:180], v[181:182]
	v_div_fixup_f64 v[177:178], v[177:178], v[164:165], v[162:163]
	v_fma_f64 v[162:163], v[162:163], v[177:178], v[164:165]
	v_div_scale_f64 v[164:165], null, v[162:163], v[162:163], 1.0
	v_rcp_f64_e32 v[179:180], v[164:165]
	v_fma_f64 v[181:182], -v[164:165], v[179:180], 1.0
	v_fma_f64 v[179:180], v[179:180], v[181:182], v[179:180]
	v_fma_f64 v[181:182], -v[164:165], v[179:180], 1.0
	v_fma_f64 v[179:180], v[179:180], v[181:182], v[179:180]
	v_div_scale_f64 v[181:182], vcc_lo, 1.0, v[162:163], 1.0
	v_mul_f64 v[183:184], v[181:182], v[179:180]
	v_fma_f64 v[164:165], -v[164:165], v[183:184], v[181:182]
	v_div_fmas_f64 v[164:165], v[164:165], v[179:180], v[183:184]
	v_div_fixup_f64 v[164:165], v[164:165], v[162:163], 1.0
	v_mul_f64 v[162:163], v[177:178], v[164:165]
	v_xor_b32_e32 v165, 0x80000000, v165
.LBB78_238:
	s_andn2_saveexec_b32 s1, s1
	s_cbranch_execz .LBB78_240
; %bb.239:
	v_div_scale_f64 v[177:178], null, v[162:163], v[162:163], v[164:165]
	v_div_scale_f64 v[183:184], vcc_lo, v[164:165], v[162:163], v[164:165]
	v_rcp_f64_e32 v[179:180], v[177:178]
	v_fma_f64 v[181:182], -v[177:178], v[179:180], 1.0
	v_fma_f64 v[179:180], v[179:180], v[181:182], v[179:180]
	v_fma_f64 v[181:182], -v[177:178], v[179:180], 1.0
	v_fma_f64 v[179:180], v[179:180], v[181:182], v[179:180]
	v_mul_f64 v[181:182], v[183:184], v[179:180]
	v_fma_f64 v[177:178], -v[177:178], v[181:182], v[183:184]
	v_div_fmas_f64 v[177:178], v[177:178], v[179:180], v[181:182]
	v_div_fixup_f64 v[177:178], v[177:178], v[162:163], v[164:165]
	v_fma_f64 v[162:163], v[164:165], v[177:178], v[162:163]
	v_div_scale_f64 v[164:165], null, v[162:163], v[162:163], 1.0
	v_rcp_f64_e32 v[179:180], v[164:165]
	v_fma_f64 v[181:182], -v[164:165], v[179:180], 1.0
	v_fma_f64 v[179:180], v[179:180], v[181:182], v[179:180]
	v_fma_f64 v[181:182], -v[164:165], v[179:180], 1.0
	v_fma_f64 v[179:180], v[179:180], v[181:182], v[179:180]
	v_div_scale_f64 v[181:182], vcc_lo, 1.0, v[162:163], 1.0
	v_mul_f64 v[183:184], v[181:182], v[179:180]
	v_fma_f64 v[164:165], -v[164:165], v[183:184], v[181:182]
	v_div_fmas_f64 v[164:165], v[164:165], v[179:180], v[183:184]
	v_div_fixup_f64 v[162:163], v[164:165], v[162:163], 1.0
	v_mul_f64 v[164:165], v[177:178], -v[162:163]
.LBB78_240:
	s_or_b32 exec_lo, exec_lo, s1
.LBB78_241:
	s_or_b32 exec_lo, exec_lo, s0
	s_mov_b32 s0, exec_lo
	v_cmpx_ne_u32_e64 v176, v170
	s_xor_b32 s0, exec_lo, s0
	s_cbranch_execz .LBB78_247
; %bb.242:
	s_mov_b32 s1, exec_lo
	v_cmpx_eq_u32_e32 11, v176
	s_cbranch_execz .LBB78_246
; %bb.243:
	v_cmp_ne_u32_e32 vcc_lo, 11, v170
	s_xor_b32 s7, s16, -1
	s_and_b32 s9, s7, vcc_lo
	s_and_saveexec_b32 s7, s9
	s_cbranch_execz .LBB78_245
; %bb.244:
	v_ashrrev_i32_e32 v171, 31, v170
	v_lshlrev_b64 v[176:177], 2, v[170:171]
	v_add_co_u32 v176, vcc_lo, v168, v176
	v_add_co_ci_u32_e64 v177, null, v169, v177, vcc_lo
	s_clause 0x1
	global_load_dword v0, v[176:177], off
	global_load_dword v171, v[168:169], off offset:44
	s_waitcnt vmcnt(1)
	global_store_dword v[168:169], v0, off offset:44
	s_waitcnt vmcnt(0)
	global_store_dword v[176:177], v171, off
.LBB78_245:
	s_or_b32 exec_lo, exec_lo, s7
	v_mov_b32_e32 v176, v170
	v_mov_b32_e32 v0, v170
.LBB78_246:
	s_or_b32 exec_lo, exec_lo, s1
.LBB78_247:
	s_andn2_saveexec_b32 s0, s0
	s_cbranch_execz .LBB78_249
; %bb.248:
	v_mov_b32_e32 v176, 11
	ds_write2_b64 v1, v[118:119], v[120:121] offset0:24 offset1:25
	ds_write2_b64 v1, v[102:103], v[104:105] offset0:26 offset1:27
	;; [unrolled: 1-line block ×28, first 2 shown]
.LBB78_249:
	s_or_b32 exec_lo, exec_lo, s0
	s_mov_b32 s0, exec_lo
	s_waitcnt lgkmcnt(0)
	s_waitcnt_vscnt null, 0x0
	s_barrier
	buffer_gl0_inv
	v_cmpx_lt_i32_e32 11, v176
	s_cbranch_execz .LBB78_251
; %bb.250:
	v_mul_f64 v[170:171], v[164:165], v[112:113]
	v_mul_f64 v[112:113], v[162:163], v[112:113]
	v_fma_f64 v[170:171], v[162:163], v[110:111], -v[170:171]
	v_fma_f64 v[112:113], v[164:165], v[110:111], v[112:113]
	ds_read2_b64 v[162:165], v1 offset0:24 offset1:25
	s_waitcnt lgkmcnt(0)
	v_mul_f64 v[110:111], v[164:165], v[112:113]
	v_fma_f64 v[110:111], v[162:163], v[170:171], -v[110:111]
	v_mul_f64 v[162:163], v[162:163], v[112:113]
	v_add_f64 v[118:119], v[118:119], -v[110:111]
	v_fma_f64 v[162:163], v[164:165], v[170:171], v[162:163]
	v_add_f64 v[120:121], v[120:121], -v[162:163]
	ds_read2_b64 v[162:165], v1 offset0:26 offset1:27
	s_waitcnt lgkmcnt(0)
	v_mul_f64 v[110:111], v[164:165], v[112:113]
	v_fma_f64 v[110:111], v[162:163], v[170:171], -v[110:111]
	v_mul_f64 v[162:163], v[162:163], v[112:113]
	v_add_f64 v[102:103], v[102:103], -v[110:111]
	v_fma_f64 v[162:163], v[164:165], v[170:171], v[162:163]
	v_add_f64 v[104:105], v[104:105], -v[162:163]
	;; [unrolled: 8-line block ×27, first 2 shown]
	ds_read2_b64 v[162:165], v1 offset0:78 offset1:79
	s_waitcnt lgkmcnt(0)
	v_mul_f64 v[110:111], v[164:165], v[112:113]
	v_fma_f64 v[110:111], v[162:163], v[170:171], -v[110:111]
	v_mul_f64 v[162:163], v[162:163], v[112:113]
	v_add_f64 v[2:3], v[2:3], -v[110:111]
	v_fma_f64 v[162:163], v[164:165], v[170:171], v[162:163]
	v_mov_b32_e32 v110, v170
	v_mov_b32_e32 v111, v171
	v_add_f64 v[4:5], v[4:5], -v[162:163]
.LBB78_251:
	s_or_b32 exec_lo, exec_lo, s0
	v_lshl_add_u32 v162, v176, 4, v1
	s_barrier
	buffer_gl0_inv
	v_mov_b32_e32 v170, 12
	ds_write2_b64 v162, v[118:119], v[120:121] offset1:1
	s_waitcnt lgkmcnt(0)
	s_barrier
	buffer_gl0_inv
	ds_read2_b64 v[162:165], v1 offset0:24 offset1:25
	s_cmp_lt_i32 s8, 14
	s_cbranch_scc1 .LBB78_254
; %bb.252:
	v_add3_u32 v171, v172, 0, 0xd0
	v_mov_b32_e32 v170, 12
	s_mov_b32 s1, 13
	s_inst_prefetch 0x1
	.p2align	6
.LBB78_253:                             ; =>This Inner Loop Header: Depth=1
	s_waitcnt lgkmcnt(0)
	v_cmp_gt_f64_e32 vcc_lo, 0, v[164:165]
	v_cmp_gt_f64_e64 s0, 0, v[162:163]
	ds_read2_b64 v[177:180], v171 offset1:1
	v_xor_b32_e32 v182, 0x80000000, v163
	v_xor_b32_e32 v184, 0x80000000, v165
	v_mov_b32_e32 v181, v162
	v_mov_b32_e32 v183, v164
	v_add_nc_u32_e32 v171, 16, v171
	s_waitcnt lgkmcnt(0)
	v_xor_b32_e32 v186, 0x80000000, v180
	v_cndmask_b32_e64 v182, v163, v182, s0
	v_cndmask_b32_e32 v184, v165, v184, vcc_lo
	v_cmp_gt_f64_e32 vcc_lo, 0, v[179:180]
	v_cmp_gt_f64_e64 s0, 0, v[177:178]
	v_mov_b32_e32 v185, v179
	v_add_f64 v[181:182], v[181:182], v[183:184]
	v_xor_b32_e32 v184, 0x80000000, v178
	v_mov_b32_e32 v183, v177
	v_cndmask_b32_e32 v186, v180, v186, vcc_lo
	v_cndmask_b32_e64 v184, v178, v184, s0
	v_add_f64 v[183:184], v[183:184], v[185:186]
	v_cmp_lt_f64_e32 vcc_lo, v[181:182], v[183:184]
	v_cndmask_b32_e32 v163, v163, v178, vcc_lo
	v_cndmask_b32_e32 v162, v162, v177, vcc_lo
	;; [unrolled: 1-line block ×4, first 2 shown]
	v_cndmask_b32_e64 v170, v170, s1, vcc_lo
	s_add_i32 s1, s1, 1
	s_cmp_lg_u32 s8, s1
	s_cbranch_scc1 .LBB78_253
.LBB78_254:
	s_inst_prefetch 0x2
	s_waitcnt lgkmcnt(0)
	v_cmp_eq_f64_e32 vcc_lo, 0, v[162:163]
	v_cmp_eq_f64_e64 s0, 0, v[164:165]
	s_and_b32 s0, vcc_lo, s0
	s_and_saveexec_b32 s1, s0
	s_xor_b32 s0, exec_lo, s1
; %bb.255:
	v_cmp_ne_u32_e32 vcc_lo, 0, v175
	v_cndmask_b32_e32 v175, 13, v175, vcc_lo
; %bb.256:
	s_andn2_saveexec_b32 s0, s0
	s_cbranch_execz .LBB78_262
; %bb.257:
	v_cmp_ngt_f64_e64 s1, |v[162:163]|, |v[164:165]|
	s_and_saveexec_b32 s7, s1
	s_xor_b32 s1, exec_lo, s7
	s_cbranch_execz .LBB78_259
; %bb.258:
	v_div_scale_f64 v[177:178], null, v[164:165], v[164:165], v[162:163]
	v_div_scale_f64 v[183:184], vcc_lo, v[162:163], v[164:165], v[162:163]
	v_rcp_f64_e32 v[179:180], v[177:178]
	v_fma_f64 v[181:182], -v[177:178], v[179:180], 1.0
	v_fma_f64 v[179:180], v[179:180], v[181:182], v[179:180]
	v_fma_f64 v[181:182], -v[177:178], v[179:180], 1.0
	v_fma_f64 v[179:180], v[179:180], v[181:182], v[179:180]
	v_mul_f64 v[181:182], v[183:184], v[179:180]
	v_fma_f64 v[177:178], -v[177:178], v[181:182], v[183:184]
	v_div_fmas_f64 v[177:178], v[177:178], v[179:180], v[181:182]
	v_div_fixup_f64 v[177:178], v[177:178], v[164:165], v[162:163]
	v_fma_f64 v[162:163], v[162:163], v[177:178], v[164:165]
	v_div_scale_f64 v[164:165], null, v[162:163], v[162:163], 1.0
	v_rcp_f64_e32 v[179:180], v[164:165]
	v_fma_f64 v[181:182], -v[164:165], v[179:180], 1.0
	v_fma_f64 v[179:180], v[179:180], v[181:182], v[179:180]
	v_fma_f64 v[181:182], -v[164:165], v[179:180], 1.0
	v_fma_f64 v[179:180], v[179:180], v[181:182], v[179:180]
	v_div_scale_f64 v[181:182], vcc_lo, 1.0, v[162:163], 1.0
	v_mul_f64 v[183:184], v[181:182], v[179:180]
	v_fma_f64 v[164:165], -v[164:165], v[183:184], v[181:182]
	v_div_fmas_f64 v[164:165], v[164:165], v[179:180], v[183:184]
	v_div_fixup_f64 v[164:165], v[164:165], v[162:163], 1.0
	v_mul_f64 v[162:163], v[177:178], v[164:165]
	v_xor_b32_e32 v165, 0x80000000, v165
.LBB78_259:
	s_andn2_saveexec_b32 s1, s1
	s_cbranch_execz .LBB78_261
; %bb.260:
	v_div_scale_f64 v[177:178], null, v[162:163], v[162:163], v[164:165]
	v_div_scale_f64 v[183:184], vcc_lo, v[164:165], v[162:163], v[164:165]
	v_rcp_f64_e32 v[179:180], v[177:178]
	v_fma_f64 v[181:182], -v[177:178], v[179:180], 1.0
	v_fma_f64 v[179:180], v[179:180], v[181:182], v[179:180]
	v_fma_f64 v[181:182], -v[177:178], v[179:180], 1.0
	v_fma_f64 v[179:180], v[179:180], v[181:182], v[179:180]
	v_mul_f64 v[181:182], v[183:184], v[179:180]
	v_fma_f64 v[177:178], -v[177:178], v[181:182], v[183:184]
	v_div_fmas_f64 v[177:178], v[177:178], v[179:180], v[181:182]
	v_div_fixup_f64 v[177:178], v[177:178], v[162:163], v[164:165]
	v_fma_f64 v[162:163], v[164:165], v[177:178], v[162:163]
	v_div_scale_f64 v[164:165], null, v[162:163], v[162:163], 1.0
	v_rcp_f64_e32 v[179:180], v[164:165]
	v_fma_f64 v[181:182], -v[164:165], v[179:180], 1.0
	v_fma_f64 v[179:180], v[179:180], v[181:182], v[179:180]
	v_fma_f64 v[181:182], -v[164:165], v[179:180], 1.0
	v_fma_f64 v[179:180], v[179:180], v[181:182], v[179:180]
	v_div_scale_f64 v[181:182], vcc_lo, 1.0, v[162:163], 1.0
	v_mul_f64 v[183:184], v[181:182], v[179:180]
	v_fma_f64 v[164:165], -v[164:165], v[183:184], v[181:182]
	v_div_fmas_f64 v[164:165], v[164:165], v[179:180], v[183:184]
	v_div_fixup_f64 v[162:163], v[164:165], v[162:163], 1.0
	v_mul_f64 v[164:165], v[177:178], -v[162:163]
.LBB78_261:
	s_or_b32 exec_lo, exec_lo, s1
.LBB78_262:
	s_or_b32 exec_lo, exec_lo, s0
	s_mov_b32 s0, exec_lo
	v_cmpx_ne_u32_e64 v176, v170
	s_xor_b32 s0, exec_lo, s0
	s_cbranch_execz .LBB78_268
; %bb.263:
	s_mov_b32 s1, exec_lo
	v_cmpx_eq_u32_e32 12, v176
	s_cbranch_execz .LBB78_267
; %bb.264:
	v_cmp_ne_u32_e32 vcc_lo, 12, v170
	s_xor_b32 s7, s16, -1
	s_and_b32 s9, s7, vcc_lo
	s_and_saveexec_b32 s7, s9
	s_cbranch_execz .LBB78_266
; %bb.265:
	v_ashrrev_i32_e32 v171, 31, v170
	v_lshlrev_b64 v[176:177], 2, v[170:171]
	v_add_co_u32 v176, vcc_lo, v168, v176
	v_add_co_ci_u32_e64 v177, null, v169, v177, vcc_lo
	s_clause 0x1
	global_load_dword v0, v[176:177], off
	global_load_dword v171, v[168:169], off offset:48
	s_waitcnt vmcnt(1)
	global_store_dword v[168:169], v0, off offset:48
	s_waitcnt vmcnt(0)
	global_store_dword v[176:177], v171, off
.LBB78_266:
	s_or_b32 exec_lo, exec_lo, s7
	v_mov_b32_e32 v176, v170
	v_mov_b32_e32 v0, v170
.LBB78_267:
	s_or_b32 exec_lo, exec_lo, s1
.LBB78_268:
	s_andn2_saveexec_b32 s0, s0
	s_cbranch_execz .LBB78_270
; %bb.269:
	v_mov_b32_e32 v176, 12
	ds_write2_b64 v1, v[102:103], v[104:105] offset0:26 offset1:27
	ds_write2_b64 v1, v[106:107], v[108:109] offset0:28 offset1:29
	;; [unrolled: 1-line block ×27, first 2 shown]
.LBB78_270:
	s_or_b32 exec_lo, exec_lo, s0
	s_mov_b32 s0, exec_lo
	s_waitcnt lgkmcnt(0)
	s_waitcnt_vscnt null, 0x0
	s_barrier
	buffer_gl0_inv
	v_cmpx_lt_i32_e32 12, v176
	s_cbranch_execz .LBB78_272
; %bb.271:
	v_mul_f64 v[170:171], v[164:165], v[120:121]
	v_mul_f64 v[120:121], v[162:163], v[120:121]
	v_fma_f64 v[170:171], v[162:163], v[118:119], -v[170:171]
	v_fma_f64 v[120:121], v[164:165], v[118:119], v[120:121]
	ds_read2_b64 v[162:165], v1 offset0:26 offset1:27
	s_waitcnt lgkmcnt(0)
	v_mul_f64 v[118:119], v[164:165], v[120:121]
	v_fma_f64 v[118:119], v[162:163], v[170:171], -v[118:119]
	v_mul_f64 v[162:163], v[162:163], v[120:121]
	v_add_f64 v[102:103], v[102:103], -v[118:119]
	v_fma_f64 v[162:163], v[164:165], v[170:171], v[162:163]
	v_add_f64 v[104:105], v[104:105], -v[162:163]
	ds_read2_b64 v[162:165], v1 offset0:28 offset1:29
	s_waitcnt lgkmcnt(0)
	v_mul_f64 v[118:119], v[164:165], v[120:121]
	v_fma_f64 v[118:119], v[162:163], v[170:171], -v[118:119]
	v_mul_f64 v[162:163], v[162:163], v[120:121]
	v_add_f64 v[106:107], v[106:107], -v[118:119]
	v_fma_f64 v[162:163], v[164:165], v[170:171], v[162:163]
	v_add_f64 v[108:109], v[108:109], -v[162:163]
	;; [unrolled: 8-line block ×26, first 2 shown]
	ds_read2_b64 v[162:165], v1 offset0:78 offset1:79
	s_waitcnt lgkmcnt(0)
	v_mul_f64 v[118:119], v[164:165], v[120:121]
	v_fma_f64 v[118:119], v[162:163], v[170:171], -v[118:119]
	v_mul_f64 v[162:163], v[162:163], v[120:121]
	v_add_f64 v[2:3], v[2:3], -v[118:119]
	v_fma_f64 v[162:163], v[164:165], v[170:171], v[162:163]
	v_mov_b32_e32 v118, v170
	v_mov_b32_e32 v119, v171
	v_add_f64 v[4:5], v[4:5], -v[162:163]
.LBB78_272:
	s_or_b32 exec_lo, exec_lo, s0
	v_lshl_add_u32 v162, v176, 4, v1
	s_barrier
	buffer_gl0_inv
	v_mov_b32_e32 v170, 13
	ds_write2_b64 v162, v[102:103], v[104:105] offset1:1
	s_waitcnt lgkmcnt(0)
	s_barrier
	buffer_gl0_inv
	ds_read2_b64 v[162:165], v1 offset0:26 offset1:27
	s_cmp_lt_i32 s8, 15
	s_cbranch_scc1 .LBB78_275
; %bb.273:
	v_add3_u32 v171, v172, 0, 0xe0
	v_mov_b32_e32 v170, 13
	s_mov_b32 s1, 14
	s_inst_prefetch 0x1
	.p2align	6
.LBB78_274:                             ; =>This Inner Loop Header: Depth=1
	s_waitcnt lgkmcnt(0)
	v_cmp_gt_f64_e32 vcc_lo, 0, v[164:165]
	v_cmp_gt_f64_e64 s0, 0, v[162:163]
	ds_read2_b64 v[177:180], v171 offset1:1
	v_xor_b32_e32 v182, 0x80000000, v163
	v_xor_b32_e32 v184, 0x80000000, v165
	v_mov_b32_e32 v181, v162
	v_mov_b32_e32 v183, v164
	v_add_nc_u32_e32 v171, 16, v171
	s_waitcnt lgkmcnt(0)
	v_xor_b32_e32 v186, 0x80000000, v180
	v_cndmask_b32_e64 v182, v163, v182, s0
	v_cndmask_b32_e32 v184, v165, v184, vcc_lo
	v_cmp_gt_f64_e32 vcc_lo, 0, v[179:180]
	v_cmp_gt_f64_e64 s0, 0, v[177:178]
	v_mov_b32_e32 v185, v179
	v_add_f64 v[181:182], v[181:182], v[183:184]
	v_xor_b32_e32 v184, 0x80000000, v178
	v_mov_b32_e32 v183, v177
	v_cndmask_b32_e32 v186, v180, v186, vcc_lo
	v_cndmask_b32_e64 v184, v178, v184, s0
	v_add_f64 v[183:184], v[183:184], v[185:186]
	v_cmp_lt_f64_e32 vcc_lo, v[181:182], v[183:184]
	v_cndmask_b32_e32 v163, v163, v178, vcc_lo
	v_cndmask_b32_e32 v162, v162, v177, vcc_lo
	;; [unrolled: 1-line block ×4, first 2 shown]
	v_cndmask_b32_e64 v170, v170, s1, vcc_lo
	s_add_i32 s1, s1, 1
	s_cmp_lg_u32 s8, s1
	s_cbranch_scc1 .LBB78_274
.LBB78_275:
	s_inst_prefetch 0x2
	s_waitcnt lgkmcnt(0)
	v_cmp_eq_f64_e32 vcc_lo, 0, v[162:163]
	v_cmp_eq_f64_e64 s0, 0, v[164:165]
	s_and_b32 s0, vcc_lo, s0
	s_and_saveexec_b32 s1, s0
	s_xor_b32 s0, exec_lo, s1
; %bb.276:
	v_cmp_ne_u32_e32 vcc_lo, 0, v175
	v_cndmask_b32_e32 v175, 14, v175, vcc_lo
; %bb.277:
	s_andn2_saveexec_b32 s0, s0
	s_cbranch_execz .LBB78_283
; %bb.278:
	v_cmp_ngt_f64_e64 s1, |v[162:163]|, |v[164:165]|
	s_and_saveexec_b32 s7, s1
	s_xor_b32 s1, exec_lo, s7
	s_cbranch_execz .LBB78_280
; %bb.279:
	v_div_scale_f64 v[177:178], null, v[164:165], v[164:165], v[162:163]
	v_div_scale_f64 v[183:184], vcc_lo, v[162:163], v[164:165], v[162:163]
	v_rcp_f64_e32 v[179:180], v[177:178]
	v_fma_f64 v[181:182], -v[177:178], v[179:180], 1.0
	v_fma_f64 v[179:180], v[179:180], v[181:182], v[179:180]
	v_fma_f64 v[181:182], -v[177:178], v[179:180], 1.0
	v_fma_f64 v[179:180], v[179:180], v[181:182], v[179:180]
	v_mul_f64 v[181:182], v[183:184], v[179:180]
	v_fma_f64 v[177:178], -v[177:178], v[181:182], v[183:184]
	v_div_fmas_f64 v[177:178], v[177:178], v[179:180], v[181:182]
	v_div_fixup_f64 v[177:178], v[177:178], v[164:165], v[162:163]
	v_fma_f64 v[162:163], v[162:163], v[177:178], v[164:165]
	v_div_scale_f64 v[164:165], null, v[162:163], v[162:163], 1.0
	v_rcp_f64_e32 v[179:180], v[164:165]
	v_fma_f64 v[181:182], -v[164:165], v[179:180], 1.0
	v_fma_f64 v[179:180], v[179:180], v[181:182], v[179:180]
	v_fma_f64 v[181:182], -v[164:165], v[179:180], 1.0
	v_fma_f64 v[179:180], v[179:180], v[181:182], v[179:180]
	v_div_scale_f64 v[181:182], vcc_lo, 1.0, v[162:163], 1.0
	v_mul_f64 v[183:184], v[181:182], v[179:180]
	v_fma_f64 v[164:165], -v[164:165], v[183:184], v[181:182]
	v_div_fmas_f64 v[164:165], v[164:165], v[179:180], v[183:184]
	v_div_fixup_f64 v[164:165], v[164:165], v[162:163], 1.0
	v_mul_f64 v[162:163], v[177:178], v[164:165]
	v_xor_b32_e32 v165, 0x80000000, v165
.LBB78_280:
	s_andn2_saveexec_b32 s1, s1
	s_cbranch_execz .LBB78_282
; %bb.281:
	v_div_scale_f64 v[177:178], null, v[162:163], v[162:163], v[164:165]
	v_div_scale_f64 v[183:184], vcc_lo, v[164:165], v[162:163], v[164:165]
	v_rcp_f64_e32 v[179:180], v[177:178]
	v_fma_f64 v[181:182], -v[177:178], v[179:180], 1.0
	v_fma_f64 v[179:180], v[179:180], v[181:182], v[179:180]
	v_fma_f64 v[181:182], -v[177:178], v[179:180], 1.0
	v_fma_f64 v[179:180], v[179:180], v[181:182], v[179:180]
	v_mul_f64 v[181:182], v[183:184], v[179:180]
	v_fma_f64 v[177:178], -v[177:178], v[181:182], v[183:184]
	v_div_fmas_f64 v[177:178], v[177:178], v[179:180], v[181:182]
	v_div_fixup_f64 v[177:178], v[177:178], v[162:163], v[164:165]
	v_fma_f64 v[162:163], v[164:165], v[177:178], v[162:163]
	v_div_scale_f64 v[164:165], null, v[162:163], v[162:163], 1.0
	v_rcp_f64_e32 v[179:180], v[164:165]
	v_fma_f64 v[181:182], -v[164:165], v[179:180], 1.0
	v_fma_f64 v[179:180], v[179:180], v[181:182], v[179:180]
	v_fma_f64 v[181:182], -v[164:165], v[179:180], 1.0
	v_fma_f64 v[179:180], v[179:180], v[181:182], v[179:180]
	v_div_scale_f64 v[181:182], vcc_lo, 1.0, v[162:163], 1.0
	v_mul_f64 v[183:184], v[181:182], v[179:180]
	v_fma_f64 v[164:165], -v[164:165], v[183:184], v[181:182]
	v_div_fmas_f64 v[164:165], v[164:165], v[179:180], v[183:184]
	v_div_fixup_f64 v[162:163], v[164:165], v[162:163], 1.0
	v_mul_f64 v[164:165], v[177:178], -v[162:163]
.LBB78_282:
	s_or_b32 exec_lo, exec_lo, s1
.LBB78_283:
	s_or_b32 exec_lo, exec_lo, s0
	s_mov_b32 s0, exec_lo
	v_cmpx_ne_u32_e64 v176, v170
	s_xor_b32 s0, exec_lo, s0
	s_cbranch_execz .LBB78_289
; %bb.284:
	s_mov_b32 s1, exec_lo
	v_cmpx_eq_u32_e32 13, v176
	s_cbranch_execz .LBB78_288
; %bb.285:
	v_cmp_ne_u32_e32 vcc_lo, 13, v170
	s_xor_b32 s7, s16, -1
	s_and_b32 s9, s7, vcc_lo
	s_and_saveexec_b32 s7, s9
	s_cbranch_execz .LBB78_287
; %bb.286:
	v_ashrrev_i32_e32 v171, 31, v170
	v_lshlrev_b64 v[176:177], 2, v[170:171]
	v_add_co_u32 v176, vcc_lo, v168, v176
	v_add_co_ci_u32_e64 v177, null, v169, v177, vcc_lo
	s_clause 0x1
	global_load_dword v0, v[176:177], off
	global_load_dword v171, v[168:169], off offset:52
	s_waitcnt vmcnt(1)
	global_store_dword v[168:169], v0, off offset:52
	s_waitcnt vmcnt(0)
	global_store_dword v[176:177], v171, off
.LBB78_287:
	s_or_b32 exec_lo, exec_lo, s7
	v_mov_b32_e32 v176, v170
	v_mov_b32_e32 v0, v170
.LBB78_288:
	s_or_b32 exec_lo, exec_lo, s1
.LBB78_289:
	s_andn2_saveexec_b32 s0, s0
	s_cbranch_execz .LBB78_291
; %bb.290:
	v_mov_b32_e32 v176, 13
	ds_write2_b64 v1, v[106:107], v[108:109] offset0:28 offset1:29
	ds_write2_b64 v1, v[90:91], v[92:93] offset0:30 offset1:31
	;; [unrolled: 1-line block ×26, first 2 shown]
.LBB78_291:
	s_or_b32 exec_lo, exec_lo, s0
	s_mov_b32 s0, exec_lo
	s_waitcnt lgkmcnt(0)
	s_waitcnt_vscnt null, 0x0
	s_barrier
	buffer_gl0_inv
	v_cmpx_lt_i32_e32 13, v176
	s_cbranch_execz .LBB78_293
; %bb.292:
	v_mul_f64 v[170:171], v[164:165], v[104:105]
	v_mul_f64 v[104:105], v[162:163], v[104:105]
	v_fma_f64 v[170:171], v[162:163], v[102:103], -v[170:171]
	v_fma_f64 v[104:105], v[164:165], v[102:103], v[104:105]
	ds_read2_b64 v[162:165], v1 offset0:28 offset1:29
	s_waitcnt lgkmcnt(0)
	v_mul_f64 v[102:103], v[164:165], v[104:105]
	v_fma_f64 v[102:103], v[162:163], v[170:171], -v[102:103]
	v_mul_f64 v[162:163], v[162:163], v[104:105]
	v_add_f64 v[106:107], v[106:107], -v[102:103]
	v_fma_f64 v[162:163], v[164:165], v[170:171], v[162:163]
	v_add_f64 v[108:109], v[108:109], -v[162:163]
	ds_read2_b64 v[162:165], v1 offset0:30 offset1:31
	s_waitcnt lgkmcnt(0)
	v_mul_f64 v[102:103], v[164:165], v[104:105]
	v_fma_f64 v[102:103], v[162:163], v[170:171], -v[102:103]
	v_mul_f64 v[162:163], v[162:163], v[104:105]
	v_add_f64 v[90:91], v[90:91], -v[102:103]
	v_fma_f64 v[162:163], v[164:165], v[170:171], v[162:163]
	v_add_f64 v[92:93], v[92:93], -v[162:163]
	;; [unrolled: 8-line block ×25, first 2 shown]
	ds_read2_b64 v[162:165], v1 offset0:78 offset1:79
	s_waitcnt lgkmcnt(0)
	v_mul_f64 v[102:103], v[164:165], v[104:105]
	v_fma_f64 v[102:103], v[162:163], v[170:171], -v[102:103]
	v_mul_f64 v[162:163], v[162:163], v[104:105]
	v_add_f64 v[2:3], v[2:3], -v[102:103]
	v_fma_f64 v[162:163], v[164:165], v[170:171], v[162:163]
	v_mov_b32_e32 v102, v170
	v_mov_b32_e32 v103, v171
	v_add_f64 v[4:5], v[4:5], -v[162:163]
.LBB78_293:
	s_or_b32 exec_lo, exec_lo, s0
	v_lshl_add_u32 v162, v176, 4, v1
	s_barrier
	buffer_gl0_inv
	v_mov_b32_e32 v170, 14
	ds_write2_b64 v162, v[106:107], v[108:109] offset1:1
	s_waitcnt lgkmcnt(0)
	s_barrier
	buffer_gl0_inv
	ds_read2_b64 v[162:165], v1 offset0:28 offset1:29
	s_cmp_lt_i32 s8, 16
	s_cbranch_scc1 .LBB78_296
; %bb.294:
	v_add3_u32 v171, v172, 0, 0xf0
	v_mov_b32_e32 v170, 14
	s_mov_b32 s1, 15
	s_inst_prefetch 0x1
	.p2align	6
.LBB78_295:                             ; =>This Inner Loop Header: Depth=1
	s_waitcnt lgkmcnt(0)
	v_cmp_gt_f64_e32 vcc_lo, 0, v[164:165]
	v_cmp_gt_f64_e64 s0, 0, v[162:163]
	ds_read2_b64 v[177:180], v171 offset1:1
	v_xor_b32_e32 v182, 0x80000000, v163
	v_xor_b32_e32 v184, 0x80000000, v165
	v_mov_b32_e32 v181, v162
	v_mov_b32_e32 v183, v164
	v_add_nc_u32_e32 v171, 16, v171
	s_waitcnt lgkmcnt(0)
	v_xor_b32_e32 v186, 0x80000000, v180
	v_cndmask_b32_e64 v182, v163, v182, s0
	v_cndmask_b32_e32 v184, v165, v184, vcc_lo
	v_cmp_gt_f64_e32 vcc_lo, 0, v[179:180]
	v_cmp_gt_f64_e64 s0, 0, v[177:178]
	v_mov_b32_e32 v185, v179
	v_add_f64 v[181:182], v[181:182], v[183:184]
	v_xor_b32_e32 v184, 0x80000000, v178
	v_mov_b32_e32 v183, v177
	v_cndmask_b32_e32 v186, v180, v186, vcc_lo
	v_cndmask_b32_e64 v184, v178, v184, s0
	v_add_f64 v[183:184], v[183:184], v[185:186]
	v_cmp_lt_f64_e32 vcc_lo, v[181:182], v[183:184]
	v_cndmask_b32_e32 v163, v163, v178, vcc_lo
	v_cndmask_b32_e32 v162, v162, v177, vcc_lo
	;; [unrolled: 1-line block ×4, first 2 shown]
	v_cndmask_b32_e64 v170, v170, s1, vcc_lo
	s_add_i32 s1, s1, 1
	s_cmp_lg_u32 s8, s1
	s_cbranch_scc1 .LBB78_295
.LBB78_296:
	s_inst_prefetch 0x2
	s_waitcnt lgkmcnt(0)
	v_cmp_eq_f64_e32 vcc_lo, 0, v[162:163]
	v_cmp_eq_f64_e64 s0, 0, v[164:165]
	s_and_b32 s0, vcc_lo, s0
	s_and_saveexec_b32 s1, s0
	s_xor_b32 s0, exec_lo, s1
; %bb.297:
	v_cmp_ne_u32_e32 vcc_lo, 0, v175
	v_cndmask_b32_e32 v175, 15, v175, vcc_lo
; %bb.298:
	s_andn2_saveexec_b32 s0, s0
	s_cbranch_execz .LBB78_304
; %bb.299:
	v_cmp_ngt_f64_e64 s1, |v[162:163]|, |v[164:165]|
	s_and_saveexec_b32 s7, s1
	s_xor_b32 s1, exec_lo, s7
	s_cbranch_execz .LBB78_301
; %bb.300:
	v_div_scale_f64 v[177:178], null, v[164:165], v[164:165], v[162:163]
	v_div_scale_f64 v[183:184], vcc_lo, v[162:163], v[164:165], v[162:163]
	v_rcp_f64_e32 v[179:180], v[177:178]
	v_fma_f64 v[181:182], -v[177:178], v[179:180], 1.0
	v_fma_f64 v[179:180], v[179:180], v[181:182], v[179:180]
	v_fma_f64 v[181:182], -v[177:178], v[179:180], 1.0
	v_fma_f64 v[179:180], v[179:180], v[181:182], v[179:180]
	v_mul_f64 v[181:182], v[183:184], v[179:180]
	v_fma_f64 v[177:178], -v[177:178], v[181:182], v[183:184]
	v_div_fmas_f64 v[177:178], v[177:178], v[179:180], v[181:182]
	v_div_fixup_f64 v[177:178], v[177:178], v[164:165], v[162:163]
	v_fma_f64 v[162:163], v[162:163], v[177:178], v[164:165]
	v_div_scale_f64 v[164:165], null, v[162:163], v[162:163], 1.0
	v_rcp_f64_e32 v[179:180], v[164:165]
	v_fma_f64 v[181:182], -v[164:165], v[179:180], 1.0
	v_fma_f64 v[179:180], v[179:180], v[181:182], v[179:180]
	v_fma_f64 v[181:182], -v[164:165], v[179:180], 1.0
	v_fma_f64 v[179:180], v[179:180], v[181:182], v[179:180]
	v_div_scale_f64 v[181:182], vcc_lo, 1.0, v[162:163], 1.0
	v_mul_f64 v[183:184], v[181:182], v[179:180]
	v_fma_f64 v[164:165], -v[164:165], v[183:184], v[181:182]
	v_div_fmas_f64 v[164:165], v[164:165], v[179:180], v[183:184]
	v_div_fixup_f64 v[164:165], v[164:165], v[162:163], 1.0
	v_mul_f64 v[162:163], v[177:178], v[164:165]
	v_xor_b32_e32 v165, 0x80000000, v165
.LBB78_301:
	s_andn2_saveexec_b32 s1, s1
	s_cbranch_execz .LBB78_303
; %bb.302:
	v_div_scale_f64 v[177:178], null, v[162:163], v[162:163], v[164:165]
	v_div_scale_f64 v[183:184], vcc_lo, v[164:165], v[162:163], v[164:165]
	v_rcp_f64_e32 v[179:180], v[177:178]
	v_fma_f64 v[181:182], -v[177:178], v[179:180], 1.0
	v_fma_f64 v[179:180], v[179:180], v[181:182], v[179:180]
	v_fma_f64 v[181:182], -v[177:178], v[179:180], 1.0
	v_fma_f64 v[179:180], v[179:180], v[181:182], v[179:180]
	v_mul_f64 v[181:182], v[183:184], v[179:180]
	v_fma_f64 v[177:178], -v[177:178], v[181:182], v[183:184]
	v_div_fmas_f64 v[177:178], v[177:178], v[179:180], v[181:182]
	v_div_fixup_f64 v[177:178], v[177:178], v[162:163], v[164:165]
	v_fma_f64 v[162:163], v[164:165], v[177:178], v[162:163]
	v_div_scale_f64 v[164:165], null, v[162:163], v[162:163], 1.0
	v_rcp_f64_e32 v[179:180], v[164:165]
	v_fma_f64 v[181:182], -v[164:165], v[179:180], 1.0
	v_fma_f64 v[179:180], v[179:180], v[181:182], v[179:180]
	v_fma_f64 v[181:182], -v[164:165], v[179:180], 1.0
	v_fma_f64 v[179:180], v[179:180], v[181:182], v[179:180]
	v_div_scale_f64 v[181:182], vcc_lo, 1.0, v[162:163], 1.0
	v_mul_f64 v[183:184], v[181:182], v[179:180]
	v_fma_f64 v[164:165], -v[164:165], v[183:184], v[181:182]
	v_div_fmas_f64 v[164:165], v[164:165], v[179:180], v[183:184]
	v_div_fixup_f64 v[162:163], v[164:165], v[162:163], 1.0
	v_mul_f64 v[164:165], v[177:178], -v[162:163]
.LBB78_303:
	s_or_b32 exec_lo, exec_lo, s1
.LBB78_304:
	s_or_b32 exec_lo, exec_lo, s0
	s_mov_b32 s0, exec_lo
	v_cmpx_ne_u32_e64 v176, v170
	s_xor_b32 s0, exec_lo, s0
	s_cbranch_execz .LBB78_310
; %bb.305:
	s_mov_b32 s1, exec_lo
	v_cmpx_eq_u32_e32 14, v176
	s_cbranch_execz .LBB78_309
; %bb.306:
	v_cmp_ne_u32_e32 vcc_lo, 14, v170
	s_xor_b32 s7, s16, -1
	s_and_b32 s9, s7, vcc_lo
	s_and_saveexec_b32 s7, s9
	s_cbranch_execz .LBB78_308
; %bb.307:
	v_ashrrev_i32_e32 v171, 31, v170
	v_lshlrev_b64 v[176:177], 2, v[170:171]
	v_add_co_u32 v176, vcc_lo, v168, v176
	v_add_co_ci_u32_e64 v177, null, v169, v177, vcc_lo
	s_clause 0x1
	global_load_dword v0, v[176:177], off
	global_load_dword v171, v[168:169], off offset:56
	s_waitcnt vmcnt(1)
	global_store_dword v[168:169], v0, off offset:56
	s_waitcnt vmcnt(0)
	global_store_dword v[176:177], v171, off
.LBB78_308:
	s_or_b32 exec_lo, exec_lo, s7
	v_mov_b32_e32 v176, v170
	v_mov_b32_e32 v0, v170
.LBB78_309:
	s_or_b32 exec_lo, exec_lo, s1
.LBB78_310:
	s_andn2_saveexec_b32 s0, s0
	s_cbranch_execz .LBB78_312
; %bb.311:
	v_mov_b32_e32 v176, 14
	ds_write2_b64 v1, v[90:91], v[92:93] offset0:30 offset1:31
	ds_write2_b64 v1, v[98:99], v[100:101] offset0:32 offset1:33
	;; [unrolled: 1-line block ×25, first 2 shown]
.LBB78_312:
	s_or_b32 exec_lo, exec_lo, s0
	s_mov_b32 s0, exec_lo
	s_waitcnt lgkmcnt(0)
	s_waitcnt_vscnt null, 0x0
	s_barrier
	buffer_gl0_inv
	v_cmpx_lt_i32_e32 14, v176
	s_cbranch_execz .LBB78_314
; %bb.313:
	v_mul_f64 v[170:171], v[164:165], v[108:109]
	v_mul_f64 v[108:109], v[162:163], v[108:109]
	v_fma_f64 v[170:171], v[162:163], v[106:107], -v[170:171]
	v_fma_f64 v[108:109], v[164:165], v[106:107], v[108:109]
	ds_read2_b64 v[162:165], v1 offset0:30 offset1:31
	s_waitcnt lgkmcnt(0)
	v_mul_f64 v[106:107], v[164:165], v[108:109]
	v_fma_f64 v[106:107], v[162:163], v[170:171], -v[106:107]
	v_mul_f64 v[162:163], v[162:163], v[108:109]
	v_add_f64 v[90:91], v[90:91], -v[106:107]
	v_fma_f64 v[162:163], v[164:165], v[170:171], v[162:163]
	v_add_f64 v[92:93], v[92:93], -v[162:163]
	ds_read2_b64 v[162:165], v1 offset0:32 offset1:33
	s_waitcnt lgkmcnt(0)
	v_mul_f64 v[106:107], v[164:165], v[108:109]
	v_fma_f64 v[106:107], v[162:163], v[170:171], -v[106:107]
	v_mul_f64 v[162:163], v[162:163], v[108:109]
	v_add_f64 v[98:99], v[98:99], -v[106:107]
	v_fma_f64 v[162:163], v[164:165], v[170:171], v[162:163]
	v_add_f64 v[100:101], v[100:101], -v[162:163]
	;; [unrolled: 8-line block ×24, first 2 shown]
	ds_read2_b64 v[162:165], v1 offset0:78 offset1:79
	s_waitcnt lgkmcnt(0)
	v_mul_f64 v[106:107], v[164:165], v[108:109]
	v_fma_f64 v[106:107], v[162:163], v[170:171], -v[106:107]
	v_mul_f64 v[162:163], v[162:163], v[108:109]
	v_add_f64 v[2:3], v[2:3], -v[106:107]
	v_fma_f64 v[162:163], v[164:165], v[170:171], v[162:163]
	v_mov_b32_e32 v106, v170
	v_mov_b32_e32 v107, v171
	v_add_f64 v[4:5], v[4:5], -v[162:163]
.LBB78_314:
	s_or_b32 exec_lo, exec_lo, s0
	v_lshl_add_u32 v162, v176, 4, v1
	s_barrier
	buffer_gl0_inv
	v_mov_b32_e32 v170, 15
	ds_write2_b64 v162, v[90:91], v[92:93] offset1:1
	s_waitcnt lgkmcnt(0)
	s_barrier
	buffer_gl0_inv
	ds_read2_b64 v[162:165], v1 offset0:30 offset1:31
	s_cmp_lt_i32 s8, 17
	s_cbranch_scc1 .LBB78_317
; %bb.315:
	v_add3_u32 v171, v172, 0, 0x100
	v_mov_b32_e32 v170, 15
	s_mov_b32 s1, 16
	s_inst_prefetch 0x1
	.p2align	6
.LBB78_316:                             ; =>This Inner Loop Header: Depth=1
	s_waitcnt lgkmcnt(0)
	v_cmp_gt_f64_e32 vcc_lo, 0, v[164:165]
	v_cmp_gt_f64_e64 s0, 0, v[162:163]
	ds_read2_b64 v[177:180], v171 offset1:1
	v_xor_b32_e32 v182, 0x80000000, v163
	v_xor_b32_e32 v184, 0x80000000, v165
	v_mov_b32_e32 v181, v162
	v_mov_b32_e32 v183, v164
	v_add_nc_u32_e32 v171, 16, v171
	s_waitcnt lgkmcnt(0)
	v_xor_b32_e32 v186, 0x80000000, v180
	v_cndmask_b32_e64 v182, v163, v182, s0
	v_cndmask_b32_e32 v184, v165, v184, vcc_lo
	v_cmp_gt_f64_e32 vcc_lo, 0, v[179:180]
	v_cmp_gt_f64_e64 s0, 0, v[177:178]
	v_mov_b32_e32 v185, v179
	v_add_f64 v[181:182], v[181:182], v[183:184]
	v_xor_b32_e32 v184, 0x80000000, v178
	v_mov_b32_e32 v183, v177
	v_cndmask_b32_e32 v186, v180, v186, vcc_lo
	v_cndmask_b32_e64 v184, v178, v184, s0
	v_add_f64 v[183:184], v[183:184], v[185:186]
	v_cmp_lt_f64_e32 vcc_lo, v[181:182], v[183:184]
	v_cndmask_b32_e32 v163, v163, v178, vcc_lo
	v_cndmask_b32_e32 v162, v162, v177, vcc_lo
	;; [unrolled: 1-line block ×4, first 2 shown]
	v_cndmask_b32_e64 v170, v170, s1, vcc_lo
	s_add_i32 s1, s1, 1
	s_cmp_lg_u32 s8, s1
	s_cbranch_scc1 .LBB78_316
.LBB78_317:
	s_inst_prefetch 0x2
	s_waitcnt lgkmcnt(0)
	v_cmp_eq_f64_e32 vcc_lo, 0, v[162:163]
	v_cmp_eq_f64_e64 s0, 0, v[164:165]
	s_and_b32 s0, vcc_lo, s0
	s_and_saveexec_b32 s1, s0
	s_xor_b32 s0, exec_lo, s1
; %bb.318:
	v_cmp_ne_u32_e32 vcc_lo, 0, v175
	v_cndmask_b32_e32 v175, 16, v175, vcc_lo
; %bb.319:
	s_andn2_saveexec_b32 s0, s0
	s_cbranch_execz .LBB78_325
; %bb.320:
	v_cmp_ngt_f64_e64 s1, |v[162:163]|, |v[164:165]|
	s_and_saveexec_b32 s7, s1
	s_xor_b32 s1, exec_lo, s7
	s_cbranch_execz .LBB78_322
; %bb.321:
	v_div_scale_f64 v[177:178], null, v[164:165], v[164:165], v[162:163]
	v_div_scale_f64 v[183:184], vcc_lo, v[162:163], v[164:165], v[162:163]
	v_rcp_f64_e32 v[179:180], v[177:178]
	v_fma_f64 v[181:182], -v[177:178], v[179:180], 1.0
	v_fma_f64 v[179:180], v[179:180], v[181:182], v[179:180]
	v_fma_f64 v[181:182], -v[177:178], v[179:180], 1.0
	v_fma_f64 v[179:180], v[179:180], v[181:182], v[179:180]
	v_mul_f64 v[181:182], v[183:184], v[179:180]
	v_fma_f64 v[177:178], -v[177:178], v[181:182], v[183:184]
	v_div_fmas_f64 v[177:178], v[177:178], v[179:180], v[181:182]
	v_div_fixup_f64 v[177:178], v[177:178], v[164:165], v[162:163]
	v_fma_f64 v[162:163], v[162:163], v[177:178], v[164:165]
	v_div_scale_f64 v[164:165], null, v[162:163], v[162:163], 1.0
	v_rcp_f64_e32 v[179:180], v[164:165]
	v_fma_f64 v[181:182], -v[164:165], v[179:180], 1.0
	v_fma_f64 v[179:180], v[179:180], v[181:182], v[179:180]
	v_fma_f64 v[181:182], -v[164:165], v[179:180], 1.0
	v_fma_f64 v[179:180], v[179:180], v[181:182], v[179:180]
	v_div_scale_f64 v[181:182], vcc_lo, 1.0, v[162:163], 1.0
	v_mul_f64 v[183:184], v[181:182], v[179:180]
	v_fma_f64 v[164:165], -v[164:165], v[183:184], v[181:182]
	v_div_fmas_f64 v[164:165], v[164:165], v[179:180], v[183:184]
	v_div_fixup_f64 v[164:165], v[164:165], v[162:163], 1.0
	v_mul_f64 v[162:163], v[177:178], v[164:165]
	v_xor_b32_e32 v165, 0x80000000, v165
.LBB78_322:
	s_andn2_saveexec_b32 s1, s1
	s_cbranch_execz .LBB78_324
; %bb.323:
	v_div_scale_f64 v[177:178], null, v[162:163], v[162:163], v[164:165]
	v_div_scale_f64 v[183:184], vcc_lo, v[164:165], v[162:163], v[164:165]
	v_rcp_f64_e32 v[179:180], v[177:178]
	v_fma_f64 v[181:182], -v[177:178], v[179:180], 1.0
	v_fma_f64 v[179:180], v[179:180], v[181:182], v[179:180]
	v_fma_f64 v[181:182], -v[177:178], v[179:180], 1.0
	v_fma_f64 v[179:180], v[179:180], v[181:182], v[179:180]
	v_mul_f64 v[181:182], v[183:184], v[179:180]
	v_fma_f64 v[177:178], -v[177:178], v[181:182], v[183:184]
	v_div_fmas_f64 v[177:178], v[177:178], v[179:180], v[181:182]
	v_div_fixup_f64 v[177:178], v[177:178], v[162:163], v[164:165]
	v_fma_f64 v[162:163], v[164:165], v[177:178], v[162:163]
	v_div_scale_f64 v[164:165], null, v[162:163], v[162:163], 1.0
	v_rcp_f64_e32 v[179:180], v[164:165]
	v_fma_f64 v[181:182], -v[164:165], v[179:180], 1.0
	v_fma_f64 v[179:180], v[179:180], v[181:182], v[179:180]
	v_fma_f64 v[181:182], -v[164:165], v[179:180], 1.0
	v_fma_f64 v[179:180], v[179:180], v[181:182], v[179:180]
	v_div_scale_f64 v[181:182], vcc_lo, 1.0, v[162:163], 1.0
	v_mul_f64 v[183:184], v[181:182], v[179:180]
	v_fma_f64 v[164:165], -v[164:165], v[183:184], v[181:182]
	v_div_fmas_f64 v[164:165], v[164:165], v[179:180], v[183:184]
	v_div_fixup_f64 v[162:163], v[164:165], v[162:163], 1.0
	v_mul_f64 v[164:165], v[177:178], -v[162:163]
.LBB78_324:
	s_or_b32 exec_lo, exec_lo, s1
.LBB78_325:
	s_or_b32 exec_lo, exec_lo, s0
	s_mov_b32 s0, exec_lo
	v_cmpx_ne_u32_e64 v176, v170
	s_xor_b32 s0, exec_lo, s0
	s_cbranch_execz .LBB78_331
; %bb.326:
	s_mov_b32 s1, exec_lo
	v_cmpx_eq_u32_e32 15, v176
	s_cbranch_execz .LBB78_330
; %bb.327:
	v_cmp_ne_u32_e32 vcc_lo, 15, v170
	s_xor_b32 s7, s16, -1
	s_and_b32 s9, s7, vcc_lo
	s_and_saveexec_b32 s7, s9
	s_cbranch_execz .LBB78_329
; %bb.328:
	v_ashrrev_i32_e32 v171, 31, v170
	v_lshlrev_b64 v[176:177], 2, v[170:171]
	v_add_co_u32 v176, vcc_lo, v168, v176
	v_add_co_ci_u32_e64 v177, null, v169, v177, vcc_lo
	s_clause 0x1
	global_load_dword v0, v[176:177], off
	global_load_dword v171, v[168:169], off offset:60
	s_waitcnt vmcnt(1)
	global_store_dword v[168:169], v0, off offset:60
	s_waitcnt vmcnt(0)
	global_store_dword v[176:177], v171, off
.LBB78_329:
	s_or_b32 exec_lo, exec_lo, s7
	v_mov_b32_e32 v176, v170
	v_mov_b32_e32 v0, v170
.LBB78_330:
	s_or_b32 exec_lo, exec_lo, s1
.LBB78_331:
	s_andn2_saveexec_b32 s0, s0
	s_cbranch_execz .LBB78_333
; %bb.332:
	v_mov_b32_e32 v176, 15
	ds_write2_b64 v1, v[98:99], v[100:101] offset0:32 offset1:33
	ds_write2_b64 v1, v[94:95], v[96:97] offset0:34 offset1:35
	;; [unrolled: 1-line block ×24, first 2 shown]
.LBB78_333:
	s_or_b32 exec_lo, exec_lo, s0
	s_mov_b32 s0, exec_lo
	s_waitcnt lgkmcnt(0)
	s_waitcnt_vscnt null, 0x0
	s_barrier
	buffer_gl0_inv
	v_cmpx_lt_i32_e32 15, v176
	s_cbranch_execz .LBB78_335
; %bb.334:
	v_mul_f64 v[170:171], v[164:165], v[92:93]
	v_mul_f64 v[92:93], v[162:163], v[92:93]
	v_fma_f64 v[170:171], v[162:163], v[90:91], -v[170:171]
	v_fma_f64 v[92:93], v[164:165], v[90:91], v[92:93]
	ds_read2_b64 v[162:165], v1 offset0:32 offset1:33
	s_waitcnt lgkmcnt(0)
	v_mul_f64 v[90:91], v[164:165], v[92:93]
	v_fma_f64 v[90:91], v[162:163], v[170:171], -v[90:91]
	v_mul_f64 v[162:163], v[162:163], v[92:93]
	v_add_f64 v[98:99], v[98:99], -v[90:91]
	v_fma_f64 v[162:163], v[164:165], v[170:171], v[162:163]
	v_add_f64 v[100:101], v[100:101], -v[162:163]
	ds_read2_b64 v[162:165], v1 offset0:34 offset1:35
	s_waitcnt lgkmcnt(0)
	v_mul_f64 v[90:91], v[164:165], v[92:93]
	v_fma_f64 v[90:91], v[162:163], v[170:171], -v[90:91]
	v_mul_f64 v[162:163], v[162:163], v[92:93]
	v_add_f64 v[94:95], v[94:95], -v[90:91]
	v_fma_f64 v[162:163], v[164:165], v[170:171], v[162:163]
	v_add_f64 v[96:97], v[96:97], -v[162:163]
	;; [unrolled: 8-line block ×23, first 2 shown]
	ds_read2_b64 v[162:165], v1 offset0:78 offset1:79
	s_waitcnt lgkmcnt(0)
	v_mul_f64 v[90:91], v[164:165], v[92:93]
	v_fma_f64 v[90:91], v[162:163], v[170:171], -v[90:91]
	v_mul_f64 v[162:163], v[162:163], v[92:93]
	v_add_f64 v[2:3], v[2:3], -v[90:91]
	v_fma_f64 v[162:163], v[164:165], v[170:171], v[162:163]
	v_mov_b32_e32 v90, v170
	v_mov_b32_e32 v91, v171
	v_add_f64 v[4:5], v[4:5], -v[162:163]
.LBB78_335:
	s_or_b32 exec_lo, exec_lo, s0
	v_lshl_add_u32 v162, v176, 4, v1
	s_barrier
	buffer_gl0_inv
	v_mov_b32_e32 v170, 16
	ds_write2_b64 v162, v[98:99], v[100:101] offset1:1
	s_waitcnt lgkmcnt(0)
	s_barrier
	buffer_gl0_inv
	ds_read2_b64 v[162:165], v1 offset0:32 offset1:33
	s_cmp_lt_i32 s8, 18
	s_cbranch_scc1 .LBB78_338
; %bb.336:
	v_add3_u32 v171, v172, 0, 0x110
	v_mov_b32_e32 v170, 16
	s_mov_b32 s1, 17
	s_inst_prefetch 0x1
	.p2align	6
.LBB78_337:                             ; =>This Inner Loop Header: Depth=1
	s_waitcnt lgkmcnt(0)
	v_cmp_gt_f64_e32 vcc_lo, 0, v[164:165]
	v_cmp_gt_f64_e64 s0, 0, v[162:163]
	ds_read2_b64 v[177:180], v171 offset1:1
	v_xor_b32_e32 v182, 0x80000000, v163
	v_xor_b32_e32 v184, 0x80000000, v165
	v_mov_b32_e32 v181, v162
	v_mov_b32_e32 v183, v164
	v_add_nc_u32_e32 v171, 16, v171
	s_waitcnt lgkmcnt(0)
	v_xor_b32_e32 v186, 0x80000000, v180
	v_cndmask_b32_e64 v182, v163, v182, s0
	v_cndmask_b32_e32 v184, v165, v184, vcc_lo
	v_cmp_gt_f64_e32 vcc_lo, 0, v[179:180]
	v_cmp_gt_f64_e64 s0, 0, v[177:178]
	v_mov_b32_e32 v185, v179
	v_add_f64 v[181:182], v[181:182], v[183:184]
	v_xor_b32_e32 v184, 0x80000000, v178
	v_mov_b32_e32 v183, v177
	v_cndmask_b32_e32 v186, v180, v186, vcc_lo
	v_cndmask_b32_e64 v184, v178, v184, s0
	v_add_f64 v[183:184], v[183:184], v[185:186]
	v_cmp_lt_f64_e32 vcc_lo, v[181:182], v[183:184]
	v_cndmask_b32_e32 v163, v163, v178, vcc_lo
	v_cndmask_b32_e32 v162, v162, v177, vcc_lo
	;; [unrolled: 1-line block ×4, first 2 shown]
	v_cndmask_b32_e64 v170, v170, s1, vcc_lo
	s_add_i32 s1, s1, 1
	s_cmp_lg_u32 s8, s1
	s_cbranch_scc1 .LBB78_337
.LBB78_338:
	s_inst_prefetch 0x2
	s_waitcnt lgkmcnt(0)
	v_cmp_eq_f64_e32 vcc_lo, 0, v[162:163]
	v_cmp_eq_f64_e64 s0, 0, v[164:165]
	s_and_b32 s0, vcc_lo, s0
	s_and_saveexec_b32 s1, s0
	s_xor_b32 s0, exec_lo, s1
; %bb.339:
	v_cmp_ne_u32_e32 vcc_lo, 0, v175
	v_cndmask_b32_e32 v175, 17, v175, vcc_lo
; %bb.340:
	s_andn2_saveexec_b32 s0, s0
	s_cbranch_execz .LBB78_346
; %bb.341:
	v_cmp_ngt_f64_e64 s1, |v[162:163]|, |v[164:165]|
	s_and_saveexec_b32 s7, s1
	s_xor_b32 s1, exec_lo, s7
	s_cbranch_execz .LBB78_343
; %bb.342:
	v_div_scale_f64 v[177:178], null, v[164:165], v[164:165], v[162:163]
	v_div_scale_f64 v[183:184], vcc_lo, v[162:163], v[164:165], v[162:163]
	v_rcp_f64_e32 v[179:180], v[177:178]
	v_fma_f64 v[181:182], -v[177:178], v[179:180], 1.0
	v_fma_f64 v[179:180], v[179:180], v[181:182], v[179:180]
	v_fma_f64 v[181:182], -v[177:178], v[179:180], 1.0
	v_fma_f64 v[179:180], v[179:180], v[181:182], v[179:180]
	v_mul_f64 v[181:182], v[183:184], v[179:180]
	v_fma_f64 v[177:178], -v[177:178], v[181:182], v[183:184]
	v_div_fmas_f64 v[177:178], v[177:178], v[179:180], v[181:182]
	v_div_fixup_f64 v[177:178], v[177:178], v[164:165], v[162:163]
	v_fma_f64 v[162:163], v[162:163], v[177:178], v[164:165]
	v_div_scale_f64 v[164:165], null, v[162:163], v[162:163], 1.0
	v_rcp_f64_e32 v[179:180], v[164:165]
	v_fma_f64 v[181:182], -v[164:165], v[179:180], 1.0
	v_fma_f64 v[179:180], v[179:180], v[181:182], v[179:180]
	v_fma_f64 v[181:182], -v[164:165], v[179:180], 1.0
	v_fma_f64 v[179:180], v[179:180], v[181:182], v[179:180]
	v_div_scale_f64 v[181:182], vcc_lo, 1.0, v[162:163], 1.0
	v_mul_f64 v[183:184], v[181:182], v[179:180]
	v_fma_f64 v[164:165], -v[164:165], v[183:184], v[181:182]
	v_div_fmas_f64 v[164:165], v[164:165], v[179:180], v[183:184]
	v_div_fixup_f64 v[164:165], v[164:165], v[162:163], 1.0
	v_mul_f64 v[162:163], v[177:178], v[164:165]
	v_xor_b32_e32 v165, 0x80000000, v165
.LBB78_343:
	s_andn2_saveexec_b32 s1, s1
	s_cbranch_execz .LBB78_345
; %bb.344:
	v_div_scale_f64 v[177:178], null, v[162:163], v[162:163], v[164:165]
	v_div_scale_f64 v[183:184], vcc_lo, v[164:165], v[162:163], v[164:165]
	v_rcp_f64_e32 v[179:180], v[177:178]
	v_fma_f64 v[181:182], -v[177:178], v[179:180], 1.0
	v_fma_f64 v[179:180], v[179:180], v[181:182], v[179:180]
	v_fma_f64 v[181:182], -v[177:178], v[179:180], 1.0
	v_fma_f64 v[179:180], v[179:180], v[181:182], v[179:180]
	v_mul_f64 v[181:182], v[183:184], v[179:180]
	v_fma_f64 v[177:178], -v[177:178], v[181:182], v[183:184]
	v_div_fmas_f64 v[177:178], v[177:178], v[179:180], v[181:182]
	v_div_fixup_f64 v[177:178], v[177:178], v[162:163], v[164:165]
	v_fma_f64 v[162:163], v[164:165], v[177:178], v[162:163]
	v_div_scale_f64 v[164:165], null, v[162:163], v[162:163], 1.0
	v_rcp_f64_e32 v[179:180], v[164:165]
	v_fma_f64 v[181:182], -v[164:165], v[179:180], 1.0
	v_fma_f64 v[179:180], v[179:180], v[181:182], v[179:180]
	v_fma_f64 v[181:182], -v[164:165], v[179:180], 1.0
	v_fma_f64 v[179:180], v[179:180], v[181:182], v[179:180]
	v_div_scale_f64 v[181:182], vcc_lo, 1.0, v[162:163], 1.0
	v_mul_f64 v[183:184], v[181:182], v[179:180]
	v_fma_f64 v[164:165], -v[164:165], v[183:184], v[181:182]
	v_div_fmas_f64 v[164:165], v[164:165], v[179:180], v[183:184]
	v_div_fixup_f64 v[162:163], v[164:165], v[162:163], 1.0
	v_mul_f64 v[164:165], v[177:178], -v[162:163]
.LBB78_345:
	s_or_b32 exec_lo, exec_lo, s1
.LBB78_346:
	s_or_b32 exec_lo, exec_lo, s0
	s_mov_b32 s0, exec_lo
	v_cmpx_ne_u32_e64 v176, v170
	s_xor_b32 s0, exec_lo, s0
	s_cbranch_execz .LBB78_352
; %bb.347:
	s_mov_b32 s1, exec_lo
	v_cmpx_eq_u32_e32 16, v176
	s_cbranch_execz .LBB78_351
; %bb.348:
	v_cmp_ne_u32_e32 vcc_lo, 16, v170
	s_xor_b32 s7, s16, -1
	s_and_b32 s9, s7, vcc_lo
	s_and_saveexec_b32 s7, s9
	s_cbranch_execz .LBB78_350
; %bb.349:
	v_ashrrev_i32_e32 v171, 31, v170
	v_lshlrev_b64 v[176:177], 2, v[170:171]
	v_add_co_u32 v176, vcc_lo, v168, v176
	v_add_co_ci_u32_e64 v177, null, v169, v177, vcc_lo
	s_clause 0x1
	global_load_dword v0, v[176:177], off
	global_load_dword v171, v[168:169], off offset:64
	s_waitcnt vmcnt(1)
	global_store_dword v[168:169], v0, off offset:64
	s_waitcnt vmcnt(0)
	global_store_dword v[176:177], v171, off
.LBB78_350:
	s_or_b32 exec_lo, exec_lo, s7
	v_mov_b32_e32 v176, v170
	v_mov_b32_e32 v0, v170
.LBB78_351:
	s_or_b32 exec_lo, exec_lo, s1
.LBB78_352:
	s_andn2_saveexec_b32 s0, s0
	s_cbranch_execz .LBB78_354
; %bb.353:
	v_mov_b32_e32 v176, 16
	ds_write2_b64 v1, v[94:95], v[96:97] offset0:34 offset1:35
	ds_write2_b64 v1, v[86:87], v[88:89] offset0:36 offset1:37
	;; [unrolled: 1-line block ×23, first 2 shown]
.LBB78_354:
	s_or_b32 exec_lo, exec_lo, s0
	s_mov_b32 s0, exec_lo
	s_waitcnt lgkmcnt(0)
	s_waitcnt_vscnt null, 0x0
	s_barrier
	buffer_gl0_inv
	v_cmpx_lt_i32_e32 16, v176
	s_cbranch_execz .LBB78_356
; %bb.355:
	v_mul_f64 v[170:171], v[164:165], v[100:101]
	v_mul_f64 v[100:101], v[162:163], v[100:101]
	v_fma_f64 v[170:171], v[162:163], v[98:99], -v[170:171]
	v_fma_f64 v[100:101], v[164:165], v[98:99], v[100:101]
	ds_read2_b64 v[162:165], v1 offset0:34 offset1:35
	s_waitcnt lgkmcnt(0)
	v_mul_f64 v[98:99], v[164:165], v[100:101]
	v_fma_f64 v[98:99], v[162:163], v[170:171], -v[98:99]
	v_mul_f64 v[162:163], v[162:163], v[100:101]
	v_add_f64 v[94:95], v[94:95], -v[98:99]
	v_fma_f64 v[162:163], v[164:165], v[170:171], v[162:163]
	v_add_f64 v[96:97], v[96:97], -v[162:163]
	ds_read2_b64 v[162:165], v1 offset0:36 offset1:37
	s_waitcnt lgkmcnt(0)
	v_mul_f64 v[98:99], v[164:165], v[100:101]
	v_fma_f64 v[98:99], v[162:163], v[170:171], -v[98:99]
	v_mul_f64 v[162:163], v[162:163], v[100:101]
	v_add_f64 v[86:87], v[86:87], -v[98:99]
	v_fma_f64 v[162:163], v[164:165], v[170:171], v[162:163]
	v_add_f64 v[88:89], v[88:89], -v[162:163]
	;; [unrolled: 8-line block ×22, first 2 shown]
	ds_read2_b64 v[162:165], v1 offset0:78 offset1:79
	s_waitcnt lgkmcnt(0)
	v_mul_f64 v[98:99], v[164:165], v[100:101]
	v_fma_f64 v[98:99], v[162:163], v[170:171], -v[98:99]
	v_mul_f64 v[162:163], v[162:163], v[100:101]
	v_add_f64 v[2:3], v[2:3], -v[98:99]
	v_fma_f64 v[162:163], v[164:165], v[170:171], v[162:163]
	v_mov_b32_e32 v98, v170
	v_mov_b32_e32 v99, v171
	v_add_f64 v[4:5], v[4:5], -v[162:163]
.LBB78_356:
	s_or_b32 exec_lo, exec_lo, s0
	v_lshl_add_u32 v162, v176, 4, v1
	s_barrier
	buffer_gl0_inv
	v_mov_b32_e32 v170, 17
	ds_write2_b64 v162, v[94:95], v[96:97] offset1:1
	s_waitcnt lgkmcnt(0)
	s_barrier
	buffer_gl0_inv
	ds_read2_b64 v[162:165], v1 offset0:34 offset1:35
	s_cmp_lt_i32 s8, 19
	s_cbranch_scc1 .LBB78_359
; %bb.357:
	v_add3_u32 v171, v172, 0, 0x120
	v_mov_b32_e32 v170, 17
	s_mov_b32 s1, 18
	s_inst_prefetch 0x1
	.p2align	6
.LBB78_358:                             ; =>This Inner Loop Header: Depth=1
	s_waitcnt lgkmcnt(0)
	v_cmp_gt_f64_e32 vcc_lo, 0, v[164:165]
	v_cmp_gt_f64_e64 s0, 0, v[162:163]
	ds_read2_b64 v[177:180], v171 offset1:1
	v_xor_b32_e32 v182, 0x80000000, v163
	v_xor_b32_e32 v184, 0x80000000, v165
	v_mov_b32_e32 v181, v162
	v_mov_b32_e32 v183, v164
	v_add_nc_u32_e32 v171, 16, v171
	s_waitcnt lgkmcnt(0)
	v_xor_b32_e32 v186, 0x80000000, v180
	v_cndmask_b32_e64 v182, v163, v182, s0
	v_cndmask_b32_e32 v184, v165, v184, vcc_lo
	v_cmp_gt_f64_e32 vcc_lo, 0, v[179:180]
	v_cmp_gt_f64_e64 s0, 0, v[177:178]
	v_mov_b32_e32 v185, v179
	v_add_f64 v[181:182], v[181:182], v[183:184]
	v_xor_b32_e32 v184, 0x80000000, v178
	v_mov_b32_e32 v183, v177
	v_cndmask_b32_e32 v186, v180, v186, vcc_lo
	v_cndmask_b32_e64 v184, v178, v184, s0
	v_add_f64 v[183:184], v[183:184], v[185:186]
	v_cmp_lt_f64_e32 vcc_lo, v[181:182], v[183:184]
	v_cndmask_b32_e32 v163, v163, v178, vcc_lo
	v_cndmask_b32_e32 v162, v162, v177, vcc_lo
	;; [unrolled: 1-line block ×4, first 2 shown]
	v_cndmask_b32_e64 v170, v170, s1, vcc_lo
	s_add_i32 s1, s1, 1
	s_cmp_lg_u32 s8, s1
	s_cbranch_scc1 .LBB78_358
.LBB78_359:
	s_inst_prefetch 0x2
	s_waitcnt lgkmcnt(0)
	v_cmp_eq_f64_e32 vcc_lo, 0, v[162:163]
	v_cmp_eq_f64_e64 s0, 0, v[164:165]
	s_and_b32 s0, vcc_lo, s0
	s_and_saveexec_b32 s1, s0
	s_xor_b32 s0, exec_lo, s1
; %bb.360:
	v_cmp_ne_u32_e32 vcc_lo, 0, v175
	v_cndmask_b32_e32 v175, 18, v175, vcc_lo
; %bb.361:
	s_andn2_saveexec_b32 s0, s0
	s_cbranch_execz .LBB78_367
; %bb.362:
	v_cmp_ngt_f64_e64 s1, |v[162:163]|, |v[164:165]|
	s_and_saveexec_b32 s7, s1
	s_xor_b32 s1, exec_lo, s7
	s_cbranch_execz .LBB78_364
; %bb.363:
	v_div_scale_f64 v[177:178], null, v[164:165], v[164:165], v[162:163]
	v_div_scale_f64 v[183:184], vcc_lo, v[162:163], v[164:165], v[162:163]
	v_rcp_f64_e32 v[179:180], v[177:178]
	v_fma_f64 v[181:182], -v[177:178], v[179:180], 1.0
	v_fma_f64 v[179:180], v[179:180], v[181:182], v[179:180]
	v_fma_f64 v[181:182], -v[177:178], v[179:180], 1.0
	v_fma_f64 v[179:180], v[179:180], v[181:182], v[179:180]
	v_mul_f64 v[181:182], v[183:184], v[179:180]
	v_fma_f64 v[177:178], -v[177:178], v[181:182], v[183:184]
	v_div_fmas_f64 v[177:178], v[177:178], v[179:180], v[181:182]
	v_div_fixup_f64 v[177:178], v[177:178], v[164:165], v[162:163]
	v_fma_f64 v[162:163], v[162:163], v[177:178], v[164:165]
	v_div_scale_f64 v[164:165], null, v[162:163], v[162:163], 1.0
	v_rcp_f64_e32 v[179:180], v[164:165]
	v_fma_f64 v[181:182], -v[164:165], v[179:180], 1.0
	v_fma_f64 v[179:180], v[179:180], v[181:182], v[179:180]
	v_fma_f64 v[181:182], -v[164:165], v[179:180], 1.0
	v_fma_f64 v[179:180], v[179:180], v[181:182], v[179:180]
	v_div_scale_f64 v[181:182], vcc_lo, 1.0, v[162:163], 1.0
	v_mul_f64 v[183:184], v[181:182], v[179:180]
	v_fma_f64 v[164:165], -v[164:165], v[183:184], v[181:182]
	v_div_fmas_f64 v[164:165], v[164:165], v[179:180], v[183:184]
	v_div_fixup_f64 v[164:165], v[164:165], v[162:163], 1.0
	v_mul_f64 v[162:163], v[177:178], v[164:165]
	v_xor_b32_e32 v165, 0x80000000, v165
.LBB78_364:
	s_andn2_saveexec_b32 s1, s1
	s_cbranch_execz .LBB78_366
; %bb.365:
	v_div_scale_f64 v[177:178], null, v[162:163], v[162:163], v[164:165]
	v_div_scale_f64 v[183:184], vcc_lo, v[164:165], v[162:163], v[164:165]
	v_rcp_f64_e32 v[179:180], v[177:178]
	v_fma_f64 v[181:182], -v[177:178], v[179:180], 1.0
	v_fma_f64 v[179:180], v[179:180], v[181:182], v[179:180]
	v_fma_f64 v[181:182], -v[177:178], v[179:180], 1.0
	v_fma_f64 v[179:180], v[179:180], v[181:182], v[179:180]
	v_mul_f64 v[181:182], v[183:184], v[179:180]
	v_fma_f64 v[177:178], -v[177:178], v[181:182], v[183:184]
	v_div_fmas_f64 v[177:178], v[177:178], v[179:180], v[181:182]
	v_div_fixup_f64 v[177:178], v[177:178], v[162:163], v[164:165]
	v_fma_f64 v[162:163], v[164:165], v[177:178], v[162:163]
	v_div_scale_f64 v[164:165], null, v[162:163], v[162:163], 1.0
	v_rcp_f64_e32 v[179:180], v[164:165]
	v_fma_f64 v[181:182], -v[164:165], v[179:180], 1.0
	v_fma_f64 v[179:180], v[179:180], v[181:182], v[179:180]
	v_fma_f64 v[181:182], -v[164:165], v[179:180], 1.0
	v_fma_f64 v[179:180], v[179:180], v[181:182], v[179:180]
	v_div_scale_f64 v[181:182], vcc_lo, 1.0, v[162:163], 1.0
	v_mul_f64 v[183:184], v[181:182], v[179:180]
	v_fma_f64 v[164:165], -v[164:165], v[183:184], v[181:182]
	v_div_fmas_f64 v[164:165], v[164:165], v[179:180], v[183:184]
	v_div_fixup_f64 v[162:163], v[164:165], v[162:163], 1.0
	v_mul_f64 v[164:165], v[177:178], -v[162:163]
.LBB78_366:
	s_or_b32 exec_lo, exec_lo, s1
.LBB78_367:
	s_or_b32 exec_lo, exec_lo, s0
	s_mov_b32 s0, exec_lo
	v_cmpx_ne_u32_e64 v176, v170
	s_xor_b32 s0, exec_lo, s0
	s_cbranch_execz .LBB78_373
; %bb.368:
	s_mov_b32 s1, exec_lo
	v_cmpx_eq_u32_e32 17, v176
	s_cbranch_execz .LBB78_372
; %bb.369:
	v_cmp_ne_u32_e32 vcc_lo, 17, v170
	s_xor_b32 s7, s16, -1
	s_and_b32 s9, s7, vcc_lo
	s_and_saveexec_b32 s7, s9
	s_cbranch_execz .LBB78_371
; %bb.370:
	v_ashrrev_i32_e32 v171, 31, v170
	v_lshlrev_b64 v[176:177], 2, v[170:171]
	v_add_co_u32 v176, vcc_lo, v168, v176
	v_add_co_ci_u32_e64 v177, null, v169, v177, vcc_lo
	s_clause 0x1
	global_load_dword v0, v[176:177], off
	global_load_dword v171, v[168:169], off offset:68
	s_waitcnt vmcnt(1)
	global_store_dword v[168:169], v0, off offset:68
	s_waitcnt vmcnt(0)
	global_store_dword v[176:177], v171, off
.LBB78_371:
	s_or_b32 exec_lo, exec_lo, s7
	v_mov_b32_e32 v176, v170
	v_mov_b32_e32 v0, v170
.LBB78_372:
	s_or_b32 exec_lo, exec_lo, s1
.LBB78_373:
	s_andn2_saveexec_b32 s0, s0
	s_cbranch_execz .LBB78_375
; %bb.374:
	v_mov_b32_e32 v176, 17
	ds_write2_b64 v1, v[86:87], v[88:89] offset0:36 offset1:37
	ds_write2_b64 v1, v[82:83], v[84:85] offset0:38 offset1:39
	ds_write2_b64 v1, v[74:75], v[76:77] offset0:40 offset1:41
	ds_write2_b64 v1, v[70:71], v[72:73] offset0:42 offset1:43
	ds_write2_b64 v1, v[78:79], v[80:81] offset0:44 offset1:45
	ds_write2_b64 v1, v[62:63], v[64:65] offset0:46 offset1:47
	ds_write2_b64 v1, v[66:67], v[68:69] offset0:48 offset1:49
	ds_write2_b64 v1, v[42:43], v[44:45] offset0:50 offset1:51
	ds_write2_b64 v1, v[50:51], v[52:53] offset0:52 offset1:53
	ds_write2_b64 v1, v[46:47], v[48:49] offset0:54 offset1:55
	ds_write2_b64 v1, v[58:59], v[60:61] offset0:56 offset1:57
	ds_write2_b64 v1, v[54:55], v[56:57] offset0:58 offset1:59
	ds_write2_b64 v1, v[38:39], v[40:41] offset0:60 offset1:61
	ds_write2_b64 v1, v[34:35], v[36:37] offset0:62 offset1:63
	ds_write2_b64 v1, v[30:31], v[32:33] offset0:64 offset1:65
	ds_write2_b64 v1, v[26:27], v[28:29] offset0:66 offset1:67
	ds_write2_b64 v1, v[22:23], v[24:25] offset0:68 offset1:69
	ds_write2_b64 v1, v[18:19], v[20:21] offset0:70 offset1:71
	ds_write2_b64 v1, v[14:15], v[16:17] offset0:72 offset1:73
	ds_write2_b64 v1, v[10:11], v[12:13] offset0:74 offset1:75
	ds_write2_b64 v1, v[6:7], v[8:9] offset0:76 offset1:77
	ds_write2_b64 v1, v[2:3], v[4:5] offset0:78 offset1:79
.LBB78_375:
	s_or_b32 exec_lo, exec_lo, s0
	s_mov_b32 s0, exec_lo
	s_waitcnt lgkmcnt(0)
	s_waitcnt_vscnt null, 0x0
	s_barrier
	buffer_gl0_inv
	v_cmpx_lt_i32_e32 17, v176
	s_cbranch_execz .LBB78_377
; %bb.376:
	v_mul_f64 v[170:171], v[164:165], v[96:97]
	v_mul_f64 v[96:97], v[162:163], v[96:97]
	v_fma_f64 v[170:171], v[162:163], v[94:95], -v[170:171]
	v_fma_f64 v[96:97], v[164:165], v[94:95], v[96:97]
	ds_read2_b64 v[162:165], v1 offset0:36 offset1:37
	s_waitcnt lgkmcnt(0)
	v_mul_f64 v[94:95], v[164:165], v[96:97]
	v_fma_f64 v[94:95], v[162:163], v[170:171], -v[94:95]
	v_mul_f64 v[162:163], v[162:163], v[96:97]
	v_add_f64 v[86:87], v[86:87], -v[94:95]
	v_fma_f64 v[162:163], v[164:165], v[170:171], v[162:163]
	v_add_f64 v[88:89], v[88:89], -v[162:163]
	ds_read2_b64 v[162:165], v1 offset0:38 offset1:39
	s_waitcnt lgkmcnt(0)
	v_mul_f64 v[94:95], v[164:165], v[96:97]
	v_fma_f64 v[94:95], v[162:163], v[170:171], -v[94:95]
	v_mul_f64 v[162:163], v[162:163], v[96:97]
	v_add_f64 v[82:83], v[82:83], -v[94:95]
	v_fma_f64 v[162:163], v[164:165], v[170:171], v[162:163]
	v_add_f64 v[84:85], v[84:85], -v[162:163]
	;; [unrolled: 8-line block ×21, first 2 shown]
	ds_read2_b64 v[162:165], v1 offset0:78 offset1:79
	s_waitcnt lgkmcnt(0)
	v_mul_f64 v[94:95], v[164:165], v[96:97]
	v_fma_f64 v[94:95], v[162:163], v[170:171], -v[94:95]
	v_mul_f64 v[162:163], v[162:163], v[96:97]
	v_add_f64 v[2:3], v[2:3], -v[94:95]
	v_fma_f64 v[162:163], v[164:165], v[170:171], v[162:163]
	v_mov_b32_e32 v94, v170
	v_mov_b32_e32 v95, v171
	v_add_f64 v[4:5], v[4:5], -v[162:163]
.LBB78_377:
	s_or_b32 exec_lo, exec_lo, s0
	v_lshl_add_u32 v162, v176, 4, v1
	s_barrier
	buffer_gl0_inv
	v_mov_b32_e32 v170, 18
	ds_write2_b64 v162, v[86:87], v[88:89] offset1:1
	s_waitcnt lgkmcnt(0)
	s_barrier
	buffer_gl0_inv
	ds_read2_b64 v[162:165], v1 offset0:36 offset1:37
	s_cmp_lt_i32 s8, 20
	s_cbranch_scc1 .LBB78_380
; %bb.378:
	v_add3_u32 v171, v172, 0, 0x130
	v_mov_b32_e32 v170, 18
	s_mov_b32 s1, 19
	s_inst_prefetch 0x1
	.p2align	6
.LBB78_379:                             ; =>This Inner Loop Header: Depth=1
	s_waitcnt lgkmcnt(0)
	v_cmp_gt_f64_e32 vcc_lo, 0, v[164:165]
	v_cmp_gt_f64_e64 s0, 0, v[162:163]
	ds_read2_b64 v[177:180], v171 offset1:1
	v_xor_b32_e32 v182, 0x80000000, v163
	v_xor_b32_e32 v184, 0x80000000, v165
	v_mov_b32_e32 v181, v162
	v_mov_b32_e32 v183, v164
	v_add_nc_u32_e32 v171, 16, v171
	s_waitcnt lgkmcnt(0)
	v_xor_b32_e32 v186, 0x80000000, v180
	v_cndmask_b32_e64 v182, v163, v182, s0
	v_cndmask_b32_e32 v184, v165, v184, vcc_lo
	v_cmp_gt_f64_e32 vcc_lo, 0, v[179:180]
	v_cmp_gt_f64_e64 s0, 0, v[177:178]
	v_mov_b32_e32 v185, v179
	v_add_f64 v[181:182], v[181:182], v[183:184]
	v_xor_b32_e32 v184, 0x80000000, v178
	v_mov_b32_e32 v183, v177
	v_cndmask_b32_e32 v186, v180, v186, vcc_lo
	v_cndmask_b32_e64 v184, v178, v184, s0
	v_add_f64 v[183:184], v[183:184], v[185:186]
	v_cmp_lt_f64_e32 vcc_lo, v[181:182], v[183:184]
	v_cndmask_b32_e32 v163, v163, v178, vcc_lo
	v_cndmask_b32_e32 v162, v162, v177, vcc_lo
	;; [unrolled: 1-line block ×4, first 2 shown]
	v_cndmask_b32_e64 v170, v170, s1, vcc_lo
	s_add_i32 s1, s1, 1
	s_cmp_lg_u32 s8, s1
	s_cbranch_scc1 .LBB78_379
.LBB78_380:
	s_inst_prefetch 0x2
	s_waitcnt lgkmcnt(0)
	v_cmp_eq_f64_e32 vcc_lo, 0, v[162:163]
	v_cmp_eq_f64_e64 s0, 0, v[164:165]
	s_and_b32 s0, vcc_lo, s0
	s_and_saveexec_b32 s1, s0
	s_xor_b32 s0, exec_lo, s1
; %bb.381:
	v_cmp_ne_u32_e32 vcc_lo, 0, v175
	v_cndmask_b32_e32 v175, 19, v175, vcc_lo
; %bb.382:
	s_andn2_saveexec_b32 s0, s0
	s_cbranch_execz .LBB78_388
; %bb.383:
	v_cmp_ngt_f64_e64 s1, |v[162:163]|, |v[164:165]|
	s_and_saveexec_b32 s7, s1
	s_xor_b32 s1, exec_lo, s7
	s_cbranch_execz .LBB78_385
; %bb.384:
	v_div_scale_f64 v[177:178], null, v[164:165], v[164:165], v[162:163]
	v_div_scale_f64 v[183:184], vcc_lo, v[162:163], v[164:165], v[162:163]
	v_rcp_f64_e32 v[179:180], v[177:178]
	v_fma_f64 v[181:182], -v[177:178], v[179:180], 1.0
	v_fma_f64 v[179:180], v[179:180], v[181:182], v[179:180]
	v_fma_f64 v[181:182], -v[177:178], v[179:180], 1.0
	v_fma_f64 v[179:180], v[179:180], v[181:182], v[179:180]
	v_mul_f64 v[181:182], v[183:184], v[179:180]
	v_fma_f64 v[177:178], -v[177:178], v[181:182], v[183:184]
	v_div_fmas_f64 v[177:178], v[177:178], v[179:180], v[181:182]
	v_div_fixup_f64 v[177:178], v[177:178], v[164:165], v[162:163]
	v_fma_f64 v[162:163], v[162:163], v[177:178], v[164:165]
	v_div_scale_f64 v[164:165], null, v[162:163], v[162:163], 1.0
	v_rcp_f64_e32 v[179:180], v[164:165]
	v_fma_f64 v[181:182], -v[164:165], v[179:180], 1.0
	v_fma_f64 v[179:180], v[179:180], v[181:182], v[179:180]
	v_fma_f64 v[181:182], -v[164:165], v[179:180], 1.0
	v_fma_f64 v[179:180], v[179:180], v[181:182], v[179:180]
	v_div_scale_f64 v[181:182], vcc_lo, 1.0, v[162:163], 1.0
	v_mul_f64 v[183:184], v[181:182], v[179:180]
	v_fma_f64 v[164:165], -v[164:165], v[183:184], v[181:182]
	v_div_fmas_f64 v[164:165], v[164:165], v[179:180], v[183:184]
	v_div_fixup_f64 v[164:165], v[164:165], v[162:163], 1.0
	v_mul_f64 v[162:163], v[177:178], v[164:165]
	v_xor_b32_e32 v165, 0x80000000, v165
.LBB78_385:
	s_andn2_saveexec_b32 s1, s1
	s_cbranch_execz .LBB78_387
; %bb.386:
	v_div_scale_f64 v[177:178], null, v[162:163], v[162:163], v[164:165]
	v_div_scale_f64 v[183:184], vcc_lo, v[164:165], v[162:163], v[164:165]
	v_rcp_f64_e32 v[179:180], v[177:178]
	v_fma_f64 v[181:182], -v[177:178], v[179:180], 1.0
	v_fma_f64 v[179:180], v[179:180], v[181:182], v[179:180]
	v_fma_f64 v[181:182], -v[177:178], v[179:180], 1.0
	v_fma_f64 v[179:180], v[179:180], v[181:182], v[179:180]
	v_mul_f64 v[181:182], v[183:184], v[179:180]
	v_fma_f64 v[177:178], -v[177:178], v[181:182], v[183:184]
	v_div_fmas_f64 v[177:178], v[177:178], v[179:180], v[181:182]
	v_div_fixup_f64 v[177:178], v[177:178], v[162:163], v[164:165]
	v_fma_f64 v[162:163], v[164:165], v[177:178], v[162:163]
	v_div_scale_f64 v[164:165], null, v[162:163], v[162:163], 1.0
	v_rcp_f64_e32 v[179:180], v[164:165]
	v_fma_f64 v[181:182], -v[164:165], v[179:180], 1.0
	v_fma_f64 v[179:180], v[179:180], v[181:182], v[179:180]
	v_fma_f64 v[181:182], -v[164:165], v[179:180], 1.0
	v_fma_f64 v[179:180], v[179:180], v[181:182], v[179:180]
	v_div_scale_f64 v[181:182], vcc_lo, 1.0, v[162:163], 1.0
	v_mul_f64 v[183:184], v[181:182], v[179:180]
	v_fma_f64 v[164:165], -v[164:165], v[183:184], v[181:182]
	v_div_fmas_f64 v[164:165], v[164:165], v[179:180], v[183:184]
	v_div_fixup_f64 v[162:163], v[164:165], v[162:163], 1.0
	v_mul_f64 v[164:165], v[177:178], -v[162:163]
.LBB78_387:
	s_or_b32 exec_lo, exec_lo, s1
.LBB78_388:
	s_or_b32 exec_lo, exec_lo, s0
	s_mov_b32 s0, exec_lo
	v_cmpx_ne_u32_e64 v176, v170
	s_xor_b32 s0, exec_lo, s0
	s_cbranch_execz .LBB78_394
; %bb.389:
	s_mov_b32 s1, exec_lo
	v_cmpx_eq_u32_e32 18, v176
	s_cbranch_execz .LBB78_393
; %bb.390:
	v_cmp_ne_u32_e32 vcc_lo, 18, v170
	s_xor_b32 s7, s16, -1
	s_and_b32 s9, s7, vcc_lo
	s_and_saveexec_b32 s7, s9
	s_cbranch_execz .LBB78_392
; %bb.391:
	v_ashrrev_i32_e32 v171, 31, v170
	v_lshlrev_b64 v[176:177], 2, v[170:171]
	v_add_co_u32 v176, vcc_lo, v168, v176
	v_add_co_ci_u32_e64 v177, null, v169, v177, vcc_lo
	s_clause 0x1
	global_load_dword v0, v[176:177], off
	global_load_dword v171, v[168:169], off offset:72
	s_waitcnt vmcnt(1)
	global_store_dword v[168:169], v0, off offset:72
	s_waitcnt vmcnt(0)
	global_store_dword v[176:177], v171, off
.LBB78_392:
	s_or_b32 exec_lo, exec_lo, s7
	v_mov_b32_e32 v176, v170
	v_mov_b32_e32 v0, v170
.LBB78_393:
	s_or_b32 exec_lo, exec_lo, s1
.LBB78_394:
	s_andn2_saveexec_b32 s0, s0
	s_cbranch_execz .LBB78_396
; %bb.395:
	v_mov_b32_e32 v176, 18
	ds_write2_b64 v1, v[82:83], v[84:85] offset0:38 offset1:39
	ds_write2_b64 v1, v[74:75], v[76:77] offset0:40 offset1:41
	;; [unrolled: 1-line block ×21, first 2 shown]
.LBB78_396:
	s_or_b32 exec_lo, exec_lo, s0
	s_mov_b32 s0, exec_lo
	s_waitcnt lgkmcnt(0)
	s_waitcnt_vscnt null, 0x0
	s_barrier
	buffer_gl0_inv
	v_cmpx_lt_i32_e32 18, v176
	s_cbranch_execz .LBB78_398
; %bb.397:
	v_mul_f64 v[170:171], v[164:165], v[88:89]
	v_mul_f64 v[88:89], v[162:163], v[88:89]
	v_fma_f64 v[170:171], v[162:163], v[86:87], -v[170:171]
	v_fma_f64 v[88:89], v[164:165], v[86:87], v[88:89]
	ds_read2_b64 v[162:165], v1 offset0:38 offset1:39
	s_waitcnt lgkmcnt(0)
	v_mul_f64 v[86:87], v[164:165], v[88:89]
	v_fma_f64 v[86:87], v[162:163], v[170:171], -v[86:87]
	v_mul_f64 v[162:163], v[162:163], v[88:89]
	v_add_f64 v[82:83], v[82:83], -v[86:87]
	v_fma_f64 v[162:163], v[164:165], v[170:171], v[162:163]
	v_add_f64 v[84:85], v[84:85], -v[162:163]
	ds_read2_b64 v[162:165], v1 offset0:40 offset1:41
	s_waitcnt lgkmcnt(0)
	v_mul_f64 v[86:87], v[164:165], v[88:89]
	v_fma_f64 v[86:87], v[162:163], v[170:171], -v[86:87]
	v_mul_f64 v[162:163], v[162:163], v[88:89]
	v_add_f64 v[74:75], v[74:75], -v[86:87]
	v_fma_f64 v[162:163], v[164:165], v[170:171], v[162:163]
	v_add_f64 v[76:77], v[76:77], -v[162:163]
	;; [unrolled: 8-line block ×20, first 2 shown]
	ds_read2_b64 v[162:165], v1 offset0:78 offset1:79
	s_waitcnt lgkmcnt(0)
	v_mul_f64 v[86:87], v[164:165], v[88:89]
	v_fma_f64 v[86:87], v[162:163], v[170:171], -v[86:87]
	v_mul_f64 v[162:163], v[162:163], v[88:89]
	v_add_f64 v[2:3], v[2:3], -v[86:87]
	v_fma_f64 v[162:163], v[164:165], v[170:171], v[162:163]
	v_mov_b32_e32 v86, v170
	v_mov_b32_e32 v87, v171
	v_add_f64 v[4:5], v[4:5], -v[162:163]
.LBB78_398:
	s_or_b32 exec_lo, exec_lo, s0
	v_lshl_add_u32 v162, v176, 4, v1
	s_barrier
	buffer_gl0_inv
	v_mov_b32_e32 v170, 19
	ds_write2_b64 v162, v[82:83], v[84:85] offset1:1
	s_waitcnt lgkmcnt(0)
	s_barrier
	buffer_gl0_inv
	ds_read2_b64 v[162:165], v1 offset0:38 offset1:39
	s_cmp_lt_i32 s8, 21
	s_cbranch_scc1 .LBB78_401
; %bb.399:
	v_add3_u32 v171, v172, 0, 0x140
	v_mov_b32_e32 v170, 19
	s_mov_b32 s1, 20
	s_inst_prefetch 0x1
	.p2align	6
.LBB78_400:                             ; =>This Inner Loop Header: Depth=1
	s_waitcnt lgkmcnt(0)
	v_cmp_gt_f64_e32 vcc_lo, 0, v[164:165]
	v_cmp_gt_f64_e64 s0, 0, v[162:163]
	ds_read2_b64 v[177:180], v171 offset1:1
	v_xor_b32_e32 v182, 0x80000000, v163
	v_xor_b32_e32 v184, 0x80000000, v165
	v_mov_b32_e32 v181, v162
	v_mov_b32_e32 v183, v164
	v_add_nc_u32_e32 v171, 16, v171
	s_waitcnt lgkmcnt(0)
	v_xor_b32_e32 v186, 0x80000000, v180
	v_cndmask_b32_e64 v182, v163, v182, s0
	v_cndmask_b32_e32 v184, v165, v184, vcc_lo
	v_cmp_gt_f64_e32 vcc_lo, 0, v[179:180]
	v_cmp_gt_f64_e64 s0, 0, v[177:178]
	v_mov_b32_e32 v185, v179
	v_add_f64 v[181:182], v[181:182], v[183:184]
	v_xor_b32_e32 v184, 0x80000000, v178
	v_mov_b32_e32 v183, v177
	v_cndmask_b32_e32 v186, v180, v186, vcc_lo
	v_cndmask_b32_e64 v184, v178, v184, s0
	v_add_f64 v[183:184], v[183:184], v[185:186]
	v_cmp_lt_f64_e32 vcc_lo, v[181:182], v[183:184]
	v_cndmask_b32_e32 v163, v163, v178, vcc_lo
	v_cndmask_b32_e32 v162, v162, v177, vcc_lo
	;; [unrolled: 1-line block ×4, first 2 shown]
	v_cndmask_b32_e64 v170, v170, s1, vcc_lo
	s_add_i32 s1, s1, 1
	s_cmp_lg_u32 s8, s1
	s_cbranch_scc1 .LBB78_400
.LBB78_401:
	s_inst_prefetch 0x2
	s_waitcnt lgkmcnt(0)
	v_cmp_eq_f64_e32 vcc_lo, 0, v[162:163]
	v_cmp_eq_f64_e64 s0, 0, v[164:165]
	s_and_b32 s0, vcc_lo, s0
	s_and_saveexec_b32 s1, s0
	s_xor_b32 s0, exec_lo, s1
; %bb.402:
	v_cmp_ne_u32_e32 vcc_lo, 0, v175
	v_cndmask_b32_e32 v175, 20, v175, vcc_lo
; %bb.403:
	s_andn2_saveexec_b32 s0, s0
	s_cbranch_execz .LBB78_409
; %bb.404:
	v_cmp_ngt_f64_e64 s1, |v[162:163]|, |v[164:165]|
	s_and_saveexec_b32 s7, s1
	s_xor_b32 s1, exec_lo, s7
	s_cbranch_execz .LBB78_406
; %bb.405:
	v_div_scale_f64 v[177:178], null, v[164:165], v[164:165], v[162:163]
	v_div_scale_f64 v[183:184], vcc_lo, v[162:163], v[164:165], v[162:163]
	v_rcp_f64_e32 v[179:180], v[177:178]
	v_fma_f64 v[181:182], -v[177:178], v[179:180], 1.0
	v_fma_f64 v[179:180], v[179:180], v[181:182], v[179:180]
	v_fma_f64 v[181:182], -v[177:178], v[179:180], 1.0
	v_fma_f64 v[179:180], v[179:180], v[181:182], v[179:180]
	v_mul_f64 v[181:182], v[183:184], v[179:180]
	v_fma_f64 v[177:178], -v[177:178], v[181:182], v[183:184]
	v_div_fmas_f64 v[177:178], v[177:178], v[179:180], v[181:182]
	v_div_fixup_f64 v[177:178], v[177:178], v[164:165], v[162:163]
	v_fma_f64 v[162:163], v[162:163], v[177:178], v[164:165]
	v_div_scale_f64 v[164:165], null, v[162:163], v[162:163], 1.0
	v_rcp_f64_e32 v[179:180], v[164:165]
	v_fma_f64 v[181:182], -v[164:165], v[179:180], 1.0
	v_fma_f64 v[179:180], v[179:180], v[181:182], v[179:180]
	v_fma_f64 v[181:182], -v[164:165], v[179:180], 1.0
	v_fma_f64 v[179:180], v[179:180], v[181:182], v[179:180]
	v_div_scale_f64 v[181:182], vcc_lo, 1.0, v[162:163], 1.0
	v_mul_f64 v[183:184], v[181:182], v[179:180]
	v_fma_f64 v[164:165], -v[164:165], v[183:184], v[181:182]
	v_div_fmas_f64 v[164:165], v[164:165], v[179:180], v[183:184]
	v_div_fixup_f64 v[164:165], v[164:165], v[162:163], 1.0
	v_mul_f64 v[162:163], v[177:178], v[164:165]
	v_xor_b32_e32 v165, 0x80000000, v165
.LBB78_406:
	s_andn2_saveexec_b32 s1, s1
	s_cbranch_execz .LBB78_408
; %bb.407:
	v_div_scale_f64 v[177:178], null, v[162:163], v[162:163], v[164:165]
	v_div_scale_f64 v[183:184], vcc_lo, v[164:165], v[162:163], v[164:165]
	v_rcp_f64_e32 v[179:180], v[177:178]
	v_fma_f64 v[181:182], -v[177:178], v[179:180], 1.0
	v_fma_f64 v[179:180], v[179:180], v[181:182], v[179:180]
	v_fma_f64 v[181:182], -v[177:178], v[179:180], 1.0
	v_fma_f64 v[179:180], v[179:180], v[181:182], v[179:180]
	v_mul_f64 v[181:182], v[183:184], v[179:180]
	v_fma_f64 v[177:178], -v[177:178], v[181:182], v[183:184]
	v_div_fmas_f64 v[177:178], v[177:178], v[179:180], v[181:182]
	v_div_fixup_f64 v[177:178], v[177:178], v[162:163], v[164:165]
	v_fma_f64 v[162:163], v[164:165], v[177:178], v[162:163]
	v_div_scale_f64 v[164:165], null, v[162:163], v[162:163], 1.0
	v_rcp_f64_e32 v[179:180], v[164:165]
	v_fma_f64 v[181:182], -v[164:165], v[179:180], 1.0
	v_fma_f64 v[179:180], v[179:180], v[181:182], v[179:180]
	v_fma_f64 v[181:182], -v[164:165], v[179:180], 1.0
	v_fma_f64 v[179:180], v[179:180], v[181:182], v[179:180]
	v_div_scale_f64 v[181:182], vcc_lo, 1.0, v[162:163], 1.0
	v_mul_f64 v[183:184], v[181:182], v[179:180]
	v_fma_f64 v[164:165], -v[164:165], v[183:184], v[181:182]
	v_div_fmas_f64 v[164:165], v[164:165], v[179:180], v[183:184]
	v_div_fixup_f64 v[162:163], v[164:165], v[162:163], 1.0
	v_mul_f64 v[164:165], v[177:178], -v[162:163]
.LBB78_408:
	s_or_b32 exec_lo, exec_lo, s1
.LBB78_409:
	s_or_b32 exec_lo, exec_lo, s0
	s_mov_b32 s0, exec_lo
	v_cmpx_ne_u32_e64 v176, v170
	s_xor_b32 s0, exec_lo, s0
	s_cbranch_execz .LBB78_415
; %bb.410:
	s_mov_b32 s1, exec_lo
	v_cmpx_eq_u32_e32 19, v176
	s_cbranch_execz .LBB78_414
; %bb.411:
	v_cmp_ne_u32_e32 vcc_lo, 19, v170
	s_xor_b32 s7, s16, -1
	s_and_b32 s9, s7, vcc_lo
	s_and_saveexec_b32 s7, s9
	s_cbranch_execz .LBB78_413
; %bb.412:
	v_ashrrev_i32_e32 v171, 31, v170
	v_lshlrev_b64 v[176:177], 2, v[170:171]
	v_add_co_u32 v176, vcc_lo, v168, v176
	v_add_co_ci_u32_e64 v177, null, v169, v177, vcc_lo
	s_clause 0x1
	global_load_dword v0, v[176:177], off
	global_load_dword v171, v[168:169], off offset:76
	s_waitcnt vmcnt(1)
	global_store_dword v[168:169], v0, off offset:76
	s_waitcnt vmcnt(0)
	global_store_dword v[176:177], v171, off
.LBB78_413:
	s_or_b32 exec_lo, exec_lo, s7
	v_mov_b32_e32 v176, v170
	v_mov_b32_e32 v0, v170
.LBB78_414:
	s_or_b32 exec_lo, exec_lo, s1
.LBB78_415:
	s_andn2_saveexec_b32 s0, s0
	s_cbranch_execz .LBB78_417
; %bb.416:
	v_mov_b32_e32 v176, 19
	ds_write2_b64 v1, v[74:75], v[76:77] offset0:40 offset1:41
	ds_write2_b64 v1, v[70:71], v[72:73] offset0:42 offset1:43
	;; [unrolled: 1-line block ×20, first 2 shown]
.LBB78_417:
	s_or_b32 exec_lo, exec_lo, s0
	s_mov_b32 s0, exec_lo
	s_waitcnt lgkmcnt(0)
	s_waitcnt_vscnt null, 0x0
	s_barrier
	buffer_gl0_inv
	v_cmpx_lt_i32_e32 19, v176
	s_cbranch_execz .LBB78_419
; %bb.418:
	v_mul_f64 v[170:171], v[164:165], v[84:85]
	v_mul_f64 v[84:85], v[162:163], v[84:85]
	v_fma_f64 v[170:171], v[162:163], v[82:83], -v[170:171]
	v_fma_f64 v[84:85], v[164:165], v[82:83], v[84:85]
	ds_read2_b64 v[162:165], v1 offset0:40 offset1:41
	s_waitcnt lgkmcnt(0)
	v_mul_f64 v[82:83], v[164:165], v[84:85]
	v_fma_f64 v[82:83], v[162:163], v[170:171], -v[82:83]
	v_mul_f64 v[162:163], v[162:163], v[84:85]
	v_add_f64 v[74:75], v[74:75], -v[82:83]
	v_fma_f64 v[162:163], v[164:165], v[170:171], v[162:163]
	v_add_f64 v[76:77], v[76:77], -v[162:163]
	ds_read2_b64 v[162:165], v1 offset0:42 offset1:43
	s_waitcnt lgkmcnt(0)
	v_mul_f64 v[82:83], v[164:165], v[84:85]
	v_fma_f64 v[82:83], v[162:163], v[170:171], -v[82:83]
	v_mul_f64 v[162:163], v[162:163], v[84:85]
	v_add_f64 v[70:71], v[70:71], -v[82:83]
	v_fma_f64 v[162:163], v[164:165], v[170:171], v[162:163]
	v_add_f64 v[72:73], v[72:73], -v[162:163]
	;; [unrolled: 8-line block ×19, first 2 shown]
	ds_read2_b64 v[162:165], v1 offset0:78 offset1:79
	s_waitcnt lgkmcnt(0)
	v_mul_f64 v[82:83], v[164:165], v[84:85]
	v_fma_f64 v[82:83], v[162:163], v[170:171], -v[82:83]
	v_mul_f64 v[162:163], v[162:163], v[84:85]
	v_add_f64 v[2:3], v[2:3], -v[82:83]
	v_fma_f64 v[162:163], v[164:165], v[170:171], v[162:163]
	v_mov_b32_e32 v82, v170
	v_mov_b32_e32 v83, v171
	v_add_f64 v[4:5], v[4:5], -v[162:163]
.LBB78_419:
	s_or_b32 exec_lo, exec_lo, s0
	v_lshl_add_u32 v162, v176, 4, v1
	s_barrier
	buffer_gl0_inv
	v_mov_b32_e32 v170, 20
	ds_write2_b64 v162, v[74:75], v[76:77] offset1:1
	s_waitcnt lgkmcnt(0)
	s_barrier
	buffer_gl0_inv
	ds_read2_b64 v[162:165], v1 offset0:40 offset1:41
	s_cmp_lt_i32 s8, 22
	s_cbranch_scc1 .LBB78_422
; %bb.420:
	v_add3_u32 v171, v172, 0, 0x150
	v_mov_b32_e32 v170, 20
	s_mov_b32 s1, 21
	s_inst_prefetch 0x1
	.p2align	6
.LBB78_421:                             ; =>This Inner Loop Header: Depth=1
	s_waitcnt lgkmcnt(0)
	v_cmp_gt_f64_e32 vcc_lo, 0, v[164:165]
	v_cmp_gt_f64_e64 s0, 0, v[162:163]
	ds_read2_b64 v[177:180], v171 offset1:1
	v_xor_b32_e32 v182, 0x80000000, v163
	v_xor_b32_e32 v184, 0x80000000, v165
	v_mov_b32_e32 v181, v162
	v_mov_b32_e32 v183, v164
	v_add_nc_u32_e32 v171, 16, v171
	s_waitcnt lgkmcnt(0)
	v_xor_b32_e32 v186, 0x80000000, v180
	v_cndmask_b32_e64 v182, v163, v182, s0
	v_cndmask_b32_e32 v184, v165, v184, vcc_lo
	v_cmp_gt_f64_e32 vcc_lo, 0, v[179:180]
	v_cmp_gt_f64_e64 s0, 0, v[177:178]
	v_mov_b32_e32 v185, v179
	v_add_f64 v[181:182], v[181:182], v[183:184]
	v_xor_b32_e32 v184, 0x80000000, v178
	v_mov_b32_e32 v183, v177
	v_cndmask_b32_e32 v186, v180, v186, vcc_lo
	v_cndmask_b32_e64 v184, v178, v184, s0
	v_add_f64 v[183:184], v[183:184], v[185:186]
	v_cmp_lt_f64_e32 vcc_lo, v[181:182], v[183:184]
	v_cndmask_b32_e32 v163, v163, v178, vcc_lo
	v_cndmask_b32_e32 v162, v162, v177, vcc_lo
	;; [unrolled: 1-line block ×4, first 2 shown]
	v_cndmask_b32_e64 v170, v170, s1, vcc_lo
	s_add_i32 s1, s1, 1
	s_cmp_lg_u32 s8, s1
	s_cbranch_scc1 .LBB78_421
.LBB78_422:
	s_inst_prefetch 0x2
	s_waitcnt lgkmcnt(0)
	v_cmp_eq_f64_e32 vcc_lo, 0, v[162:163]
	v_cmp_eq_f64_e64 s0, 0, v[164:165]
	s_and_b32 s0, vcc_lo, s0
	s_and_saveexec_b32 s1, s0
	s_xor_b32 s0, exec_lo, s1
; %bb.423:
	v_cmp_ne_u32_e32 vcc_lo, 0, v175
	v_cndmask_b32_e32 v175, 21, v175, vcc_lo
; %bb.424:
	s_andn2_saveexec_b32 s0, s0
	s_cbranch_execz .LBB78_430
; %bb.425:
	v_cmp_ngt_f64_e64 s1, |v[162:163]|, |v[164:165]|
	s_and_saveexec_b32 s7, s1
	s_xor_b32 s1, exec_lo, s7
	s_cbranch_execz .LBB78_427
; %bb.426:
	v_div_scale_f64 v[177:178], null, v[164:165], v[164:165], v[162:163]
	v_div_scale_f64 v[183:184], vcc_lo, v[162:163], v[164:165], v[162:163]
	v_rcp_f64_e32 v[179:180], v[177:178]
	v_fma_f64 v[181:182], -v[177:178], v[179:180], 1.0
	v_fma_f64 v[179:180], v[179:180], v[181:182], v[179:180]
	v_fma_f64 v[181:182], -v[177:178], v[179:180], 1.0
	v_fma_f64 v[179:180], v[179:180], v[181:182], v[179:180]
	v_mul_f64 v[181:182], v[183:184], v[179:180]
	v_fma_f64 v[177:178], -v[177:178], v[181:182], v[183:184]
	v_div_fmas_f64 v[177:178], v[177:178], v[179:180], v[181:182]
	v_div_fixup_f64 v[177:178], v[177:178], v[164:165], v[162:163]
	v_fma_f64 v[162:163], v[162:163], v[177:178], v[164:165]
	v_div_scale_f64 v[164:165], null, v[162:163], v[162:163], 1.0
	v_rcp_f64_e32 v[179:180], v[164:165]
	v_fma_f64 v[181:182], -v[164:165], v[179:180], 1.0
	v_fma_f64 v[179:180], v[179:180], v[181:182], v[179:180]
	v_fma_f64 v[181:182], -v[164:165], v[179:180], 1.0
	v_fma_f64 v[179:180], v[179:180], v[181:182], v[179:180]
	v_div_scale_f64 v[181:182], vcc_lo, 1.0, v[162:163], 1.0
	v_mul_f64 v[183:184], v[181:182], v[179:180]
	v_fma_f64 v[164:165], -v[164:165], v[183:184], v[181:182]
	v_div_fmas_f64 v[164:165], v[164:165], v[179:180], v[183:184]
	v_div_fixup_f64 v[164:165], v[164:165], v[162:163], 1.0
	v_mul_f64 v[162:163], v[177:178], v[164:165]
	v_xor_b32_e32 v165, 0x80000000, v165
.LBB78_427:
	s_andn2_saveexec_b32 s1, s1
	s_cbranch_execz .LBB78_429
; %bb.428:
	v_div_scale_f64 v[177:178], null, v[162:163], v[162:163], v[164:165]
	v_div_scale_f64 v[183:184], vcc_lo, v[164:165], v[162:163], v[164:165]
	v_rcp_f64_e32 v[179:180], v[177:178]
	v_fma_f64 v[181:182], -v[177:178], v[179:180], 1.0
	v_fma_f64 v[179:180], v[179:180], v[181:182], v[179:180]
	v_fma_f64 v[181:182], -v[177:178], v[179:180], 1.0
	v_fma_f64 v[179:180], v[179:180], v[181:182], v[179:180]
	v_mul_f64 v[181:182], v[183:184], v[179:180]
	v_fma_f64 v[177:178], -v[177:178], v[181:182], v[183:184]
	v_div_fmas_f64 v[177:178], v[177:178], v[179:180], v[181:182]
	v_div_fixup_f64 v[177:178], v[177:178], v[162:163], v[164:165]
	v_fma_f64 v[162:163], v[164:165], v[177:178], v[162:163]
	v_div_scale_f64 v[164:165], null, v[162:163], v[162:163], 1.0
	v_rcp_f64_e32 v[179:180], v[164:165]
	v_fma_f64 v[181:182], -v[164:165], v[179:180], 1.0
	v_fma_f64 v[179:180], v[179:180], v[181:182], v[179:180]
	v_fma_f64 v[181:182], -v[164:165], v[179:180], 1.0
	v_fma_f64 v[179:180], v[179:180], v[181:182], v[179:180]
	v_div_scale_f64 v[181:182], vcc_lo, 1.0, v[162:163], 1.0
	v_mul_f64 v[183:184], v[181:182], v[179:180]
	v_fma_f64 v[164:165], -v[164:165], v[183:184], v[181:182]
	v_div_fmas_f64 v[164:165], v[164:165], v[179:180], v[183:184]
	v_div_fixup_f64 v[162:163], v[164:165], v[162:163], 1.0
	v_mul_f64 v[164:165], v[177:178], -v[162:163]
.LBB78_429:
	s_or_b32 exec_lo, exec_lo, s1
.LBB78_430:
	s_or_b32 exec_lo, exec_lo, s0
	s_mov_b32 s0, exec_lo
	v_cmpx_ne_u32_e64 v176, v170
	s_xor_b32 s0, exec_lo, s0
	s_cbranch_execz .LBB78_436
; %bb.431:
	s_mov_b32 s1, exec_lo
	v_cmpx_eq_u32_e32 20, v176
	s_cbranch_execz .LBB78_435
; %bb.432:
	v_cmp_ne_u32_e32 vcc_lo, 20, v170
	s_xor_b32 s7, s16, -1
	s_and_b32 s9, s7, vcc_lo
	s_and_saveexec_b32 s7, s9
	s_cbranch_execz .LBB78_434
; %bb.433:
	v_ashrrev_i32_e32 v171, 31, v170
	v_lshlrev_b64 v[176:177], 2, v[170:171]
	v_add_co_u32 v176, vcc_lo, v168, v176
	v_add_co_ci_u32_e64 v177, null, v169, v177, vcc_lo
	s_clause 0x1
	global_load_dword v0, v[176:177], off
	global_load_dword v171, v[168:169], off offset:80
	s_waitcnt vmcnt(1)
	global_store_dword v[168:169], v0, off offset:80
	s_waitcnt vmcnt(0)
	global_store_dword v[176:177], v171, off
.LBB78_434:
	s_or_b32 exec_lo, exec_lo, s7
	v_mov_b32_e32 v176, v170
	v_mov_b32_e32 v0, v170
.LBB78_435:
	s_or_b32 exec_lo, exec_lo, s1
.LBB78_436:
	s_andn2_saveexec_b32 s0, s0
	s_cbranch_execz .LBB78_438
; %bb.437:
	v_mov_b32_e32 v176, 20
	ds_write2_b64 v1, v[70:71], v[72:73] offset0:42 offset1:43
	ds_write2_b64 v1, v[78:79], v[80:81] offset0:44 offset1:45
	;; [unrolled: 1-line block ×19, first 2 shown]
.LBB78_438:
	s_or_b32 exec_lo, exec_lo, s0
	s_mov_b32 s0, exec_lo
	s_waitcnt lgkmcnt(0)
	s_waitcnt_vscnt null, 0x0
	s_barrier
	buffer_gl0_inv
	v_cmpx_lt_i32_e32 20, v176
	s_cbranch_execz .LBB78_440
; %bb.439:
	v_mul_f64 v[170:171], v[164:165], v[76:77]
	v_mul_f64 v[76:77], v[162:163], v[76:77]
	v_fma_f64 v[170:171], v[162:163], v[74:75], -v[170:171]
	v_fma_f64 v[76:77], v[164:165], v[74:75], v[76:77]
	ds_read2_b64 v[162:165], v1 offset0:42 offset1:43
	s_waitcnt lgkmcnt(0)
	v_mul_f64 v[74:75], v[164:165], v[76:77]
	v_fma_f64 v[74:75], v[162:163], v[170:171], -v[74:75]
	v_mul_f64 v[162:163], v[162:163], v[76:77]
	v_add_f64 v[70:71], v[70:71], -v[74:75]
	v_fma_f64 v[162:163], v[164:165], v[170:171], v[162:163]
	v_add_f64 v[72:73], v[72:73], -v[162:163]
	ds_read2_b64 v[162:165], v1 offset0:44 offset1:45
	s_waitcnt lgkmcnt(0)
	v_mul_f64 v[74:75], v[164:165], v[76:77]
	v_fma_f64 v[74:75], v[162:163], v[170:171], -v[74:75]
	v_mul_f64 v[162:163], v[162:163], v[76:77]
	v_add_f64 v[78:79], v[78:79], -v[74:75]
	v_fma_f64 v[162:163], v[164:165], v[170:171], v[162:163]
	v_add_f64 v[80:81], v[80:81], -v[162:163]
	;; [unrolled: 8-line block ×18, first 2 shown]
	ds_read2_b64 v[162:165], v1 offset0:78 offset1:79
	s_waitcnt lgkmcnt(0)
	v_mul_f64 v[74:75], v[164:165], v[76:77]
	v_fma_f64 v[74:75], v[162:163], v[170:171], -v[74:75]
	v_mul_f64 v[162:163], v[162:163], v[76:77]
	v_add_f64 v[2:3], v[2:3], -v[74:75]
	v_fma_f64 v[162:163], v[164:165], v[170:171], v[162:163]
	v_mov_b32_e32 v74, v170
	v_mov_b32_e32 v75, v171
	v_add_f64 v[4:5], v[4:5], -v[162:163]
.LBB78_440:
	s_or_b32 exec_lo, exec_lo, s0
	v_lshl_add_u32 v162, v176, 4, v1
	s_barrier
	buffer_gl0_inv
	v_mov_b32_e32 v170, 21
	ds_write2_b64 v162, v[70:71], v[72:73] offset1:1
	s_waitcnt lgkmcnt(0)
	s_barrier
	buffer_gl0_inv
	ds_read2_b64 v[162:165], v1 offset0:42 offset1:43
	s_cmp_lt_i32 s8, 23
	s_cbranch_scc1 .LBB78_443
; %bb.441:
	v_add3_u32 v171, v172, 0, 0x160
	v_mov_b32_e32 v170, 21
	s_mov_b32 s1, 22
	s_inst_prefetch 0x1
	.p2align	6
.LBB78_442:                             ; =>This Inner Loop Header: Depth=1
	s_waitcnt lgkmcnt(0)
	v_cmp_gt_f64_e32 vcc_lo, 0, v[164:165]
	v_cmp_gt_f64_e64 s0, 0, v[162:163]
	ds_read2_b64 v[177:180], v171 offset1:1
	v_xor_b32_e32 v182, 0x80000000, v163
	v_xor_b32_e32 v184, 0x80000000, v165
	v_mov_b32_e32 v181, v162
	v_mov_b32_e32 v183, v164
	v_add_nc_u32_e32 v171, 16, v171
	s_waitcnt lgkmcnt(0)
	v_xor_b32_e32 v186, 0x80000000, v180
	v_cndmask_b32_e64 v182, v163, v182, s0
	v_cndmask_b32_e32 v184, v165, v184, vcc_lo
	v_cmp_gt_f64_e32 vcc_lo, 0, v[179:180]
	v_cmp_gt_f64_e64 s0, 0, v[177:178]
	v_mov_b32_e32 v185, v179
	v_add_f64 v[181:182], v[181:182], v[183:184]
	v_xor_b32_e32 v184, 0x80000000, v178
	v_mov_b32_e32 v183, v177
	v_cndmask_b32_e32 v186, v180, v186, vcc_lo
	v_cndmask_b32_e64 v184, v178, v184, s0
	v_add_f64 v[183:184], v[183:184], v[185:186]
	v_cmp_lt_f64_e32 vcc_lo, v[181:182], v[183:184]
	v_cndmask_b32_e32 v163, v163, v178, vcc_lo
	v_cndmask_b32_e32 v162, v162, v177, vcc_lo
	;; [unrolled: 1-line block ×4, first 2 shown]
	v_cndmask_b32_e64 v170, v170, s1, vcc_lo
	s_add_i32 s1, s1, 1
	s_cmp_lg_u32 s8, s1
	s_cbranch_scc1 .LBB78_442
.LBB78_443:
	s_inst_prefetch 0x2
	s_waitcnt lgkmcnt(0)
	v_cmp_eq_f64_e32 vcc_lo, 0, v[162:163]
	v_cmp_eq_f64_e64 s0, 0, v[164:165]
	s_and_b32 s0, vcc_lo, s0
	s_and_saveexec_b32 s1, s0
	s_xor_b32 s0, exec_lo, s1
; %bb.444:
	v_cmp_ne_u32_e32 vcc_lo, 0, v175
	v_cndmask_b32_e32 v175, 22, v175, vcc_lo
; %bb.445:
	s_andn2_saveexec_b32 s0, s0
	s_cbranch_execz .LBB78_451
; %bb.446:
	v_cmp_ngt_f64_e64 s1, |v[162:163]|, |v[164:165]|
	s_and_saveexec_b32 s7, s1
	s_xor_b32 s1, exec_lo, s7
	s_cbranch_execz .LBB78_448
; %bb.447:
	v_div_scale_f64 v[177:178], null, v[164:165], v[164:165], v[162:163]
	v_div_scale_f64 v[183:184], vcc_lo, v[162:163], v[164:165], v[162:163]
	v_rcp_f64_e32 v[179:180], v[177:178]
	v_fma_f64 v[181:182], -v[177:178], v[179:180], 1.0
	v_fma_f64 v[179:180], v[179:180], v[181:182], v[179:180]
	v_fma_f64 v[181:182], -v[177:178], v[179:180], 1.0
	v_fma_f64 v[179:180], v[179:180], v[181:182], v[179:180]
	v_mul_f64 v[181:182], v[183:184], v[179:180]
	v_fma_f64 v[177:178], -v[177:178], v[181:182], v[183:184]
	v_div_fmas_f64 v[177:178], v[177:178], v[179:180], v[181:182]
	v_div_fixup_f64 v[177:178], v[177:178], v[164:165], v[162:163]
	v_fma_f64 v[162:163], v[162:163], v[177:178], v[164:165]
	v_div_scale_f64 v[164:165], null, v[162:163], v[162:163], 1.0
	v_rcp_f64_e32 v[179:180], v[164:165]
	v_fma_f64 v[181:182], -v[164:165], v[179:180], 1.0
	v_fma_f64 v[179:180], v[179:180], v[181:182], v[179:180]
	v_fma_f64 v[181:182], -v[164:165], v[179:180], 1.0
	v_fma_f64 v[179:180], v[179:180], v[181:182], v[179:180]
	v_div_scale_f64 v[181:182], vcc_lo, 1.0, v[162:163], 1.0
	v_mul_f64 v[183:184], v[181:182], v[179:180]
	v_fma_f64 v[164:165], -v[164:165], v[183:184], v[181:182]
	v_div_fmas_f64 v[164:165], v[164:165], v[179:180], v[183:184]
	v_div_fixup_f64 v[164:165], v[164:165], v[162:163], 1.0
	v_mul_f64 v[162:163], v[177:178], v[164:165]
	v_xor_b32_e32 v165, 0x80000000, v165
.LBB78_448:
	s_andn2_saveexec_b32 s1, s1
	s_cbranch_execz .LBB78_450
; %bb.449:
	v_div_scale_f64 v[177:178], null, v[162:163], v[162:163], v[164:165]
	v_div_scale_f64 v[183:184], vcc_lo, v[164:165], v[162:163], v[164:165]
	v_rcp_f64_e32 v[179:180], v[177:178]
	v_fma_f64 v[181:182], -v[177:178], v[179:180], 1.0
	v_fma_f64 v[179:180], v[179:180], v[181:182], v[179:180]
	v_fma_f64 v[181:182], -v[177:178], v[179:180], 1.0
	v_fma_f64 v[179:180], v[179:180], v[181:182], v[179:180]
	v_mul_f64 v[181:182], v[183:184], v[179:180]
	v_fma_f64 v[177:178], -v[177:178], v[181:182], v[183:184]
	v_div_fmas_f64 v[177:178], v[177:178], v[179:180], v[181:182]
	v_div_fixup_f64 v[177:178], v[177:178], v[162:163], v[164:165]
	v_fma_f64 v[162:163], v[164:165], v[177:178], v[162:163]
	v_div_scale_f64 v[164:165], null, v[162:163], v[162:163], 1.0
	v_rcp_f64_e32 v[179:180], v[164:165]
	v_fma_f64 v[181:182], -v[164:165], v[179:180], 1.0
	v_fma_f64 v[179:180], v[179:180], v[181:182], v[179:180]
	v_fma_f64 v[181:182], -v[164:165], v[179:180], 1.0
	v_fma_f64 v[179:180], v[179:180], v[181:182], v[179:180]
	v_div_scale_f64 v[181:182], vcc_lo, 1.0, v[162:163], 1.0
	v_mul_f64 v[183:184], v[181:182], v[179:180]
	v_fma_f64 v[164:165], -v[164:165], v[183:184], v[181:182]
	v_div_fmas_f64 v[164:165], v[164:165], v[179:180], v[183:184]
	v_div_fixup_f64 v[162:163], v[164:165], v[162:163], 1.0
	v_mul_f64 v[164:165], v[177:178], -v[162:163]
.LBB78_450:
	s_or_b32 exec_lo, exec_lo, s1
.LBB78_451:
	s_or_b32 exec_lo, exec_lo, s0
	s_mov_b32 s0, exec_lo
	v_cmpx_ne_u32_e64 v176, v170
	s_xor_b32 s0, exec_lo, s0
	s_cbranch_execz .LBB78_457
; %bb.452:
	s_mov_b32 s1, exec_lo
	v_cmpx_eq_u32_e32 21, v176
	s_cbranch_execz .LBB78_456
; %bb.453:
	v_cmp_ne_u32_e32 vcc_lo, 21, v170
	s_xor_b32 s7, s16, -1
	s_and_b32 s9, s7, vcc_lo
	s_and_saveexec_b32 s7, s9
	s_cbranch_execz .LBB78_455
; %bb.454:
	v_ashrrev_i32_e32 v171, 31, v170
	v_lshlrev_b64 v[176:177], 2, v[170:171]
	v_add_co_u32 v176, vcc_lo, v168, v176
	v_add_co_ci_u32_e64 v177, null, v169, v177, vcc_lo
	s_clause 0x1
	global_load_dword v0, v[176:177], off
	global_load_dword v171, v[168:169], off offset:84
	s_waitcnt vmcnt(1)
	global_store_dword v[168:169], v0, off offset:84
	s_waitcnt vmcnt(0)
	global_store_dword v[176:177], v171, off
.LBB78_455:
	s_or_b32 exec_lo, exec_lo, s7
	v_mov_b32_e32 v176, v170
	v_mov_b32_e32 v0, v170
.LBB78_456:
	s_or_b32 exec_lo, exec_lo, s1
.LBB78_457:
	s_andn2_saveexec_b32 s0, s0
	s_cbranch_execz .LBB78_459
; %bb.458:
	v_mov_b32_e32 v176, 21
	ds_write2_b64 v1, v[78:79], v[80:81] offset0:44 offset1:45
	ds_write2_b64 v1, v[62:63], v[64:65] offset0:46 offset1:47
	ds_write2_b64 v1, v[66:67], v[68:69] offset0:48 offset1:49
	ds_write2_b64 v1, v[42:43], v[44:45] offset0:50 offset1:51
	ds_write2_b64 v1, v[50:51], v[52:53] offset0:52 offset1:53
	ds_write2_b64 v1, v[46:47], v[48:49] offset0:54 offset1:55
	ds_write2_b64 v1, v[58:59], v[60:61] offset0:56 offset1:57
	ds_write2_b64 v1, v[54:55], v[56:57] offset0:58 offset1:59
	ds_write2_b64 v1, v[38:39], v[40:41] offset0:60 offset1:61
	ds_write2_b64 v1, v[34:35], v[36:37] offset0:62 offset1:63
	ds_write2_b64 v1, v[30:31], v[32:33] offset0:64 offset1:65
	ds_write2_b64 v1, v[26:27], v[28:29] offset0:66 offset1:67
	ds_write2_b64 v1, v[22:23], v[24:25] offset0:68 offset1:69
	ds_write2_b64 v1, v[18:19], v[20:21] offset0:70 offset1:71
	ds_write2_b64 v1, v[14:15], v[16:17] offset0:72 offset1:73
	ds_write2_b64 v1, v[10:11], v[12:13] offset0:74 offset1:75
	ds_write2_b64 v1, v[6:7], v[8:9] offset0:76 offset1:77
	ds_write2_b64 v1, v[2:3], v[4:5] offset0:78 offset1:79
.LBB78_459:
	s_or_b32 exec_lo, exec_lo, s0
	s_mov_b32 s0, exec_lo
	s_waitcnt lgkmcnt(0)
	s_waitcnt_vscnt null, 0x0
	s_barrier
	buffer_gl0_inv
	v_cmpx_lt_i32_e32 21, v176
	s_cbranch_execz .LBB78_461
; %bb.460:
	v_mul_f64 v[170:171], v[164:165], v[72:73]
	v_mul_f64 v[72:73], v[162:163], v[72:73]
	v_fma_f64 v[170:171], v[162:163], v[70:71], -v[170:171]
	v_fma_f64 v[72:73], v[164:165], v[70:71], v[72:73]
	ds_read2_b64 v[162:165], v1 offset0:44 offset1:45
	s_waitcnt lgkmcnt(0)
	v_mul_f64 v[70:71], v[164:165], v[72:73]
	v_fma_f64 v[70:71], v[162:163], v[170:171], -v[70:71]
	v_mul_f64 v[162:163], v[162:163], v[72:73]
	v_add_f64 v[78:79], v[78:79], -v[70:71]
	v_fma_f64 v[162:163], v[164:165], v[170:171], v[162:163]
	v_add_f64 v[80:81], v[80:81], -v[162:163]
	ds_read2_b64 v[162:165], v1 offset0:46 offset1:47
	s_waitcnt lgkmcnt(0)
	v_mul_f64 v[70:71], v[164:165], v[72:73]
	v_fma_f64 v[70:71], v[162:163], v[170:171], -v[70:71]
	v_mul_f64 v[162:163], v[162:163], v[72:73]
	v_add_f64 v[62:63], v[62:63], -v[70:71]
	v_fma_f64 v[162:163], v[164:165], v[170:171], v[162:163]
	v_add_f64 v[64:65], v[64:65], -v[162:163]
	;; [unrolled: 8-line block ×17, first 2 shown]
	ds_read2_b64 v[162:165], v1 offset0:78 offset1:79
	s_waitcnt lgkmcnt(0)
	v_mul_f64 v[70:71], v[164:165], v[72:73]
	v_fma_f64 v[70:71], v[162:163], v[170:171], -v[70:71]
	v_mul_f64 v[162:163], v[162:163], v[72:73]
	v_add_f64 v[2:3], v[2:3], -v[70:71]
	v_fma_f64 v[162:163], v[164:165], v[170:171], v[162:163]
	v_mov_b32_e32 v70, v170
	v_mov_b32_e32 v71, v171
	v_add_f64 v[4:5], v[4:5], -v[162:163]
.LBB78_461:
	s_or_b32 exec_lo, exec_lo, s0
	v_lshl_add_u32 v162, v176, 4, v1
	s_barrier
	buffer_gl0_inv
	v_mov_b32_e32 v170, 22
	ds_write2_b64 v162, v[78:79], v[80:81] offset1:1
	s_waitcnt lgkmcnt(0)
	s_barrier
	buffer_gl0_inv
	ds_read2_b64 v[162:165], v1 offset0:44 offset1:45
	s_cmp_lt_i32 s8, 24
	s_cbranch_scc1 .LBB78_464
; %bb.462:
	v_add3_u32 v171, v172, 0, 0x170
	v_mov_b32_e32 v170, 22
	s_mov_b32 s1, 23
	s_inst_prefetch 0x1
	.p2align	6
.LBB78_463:                             ; =>This Inner Loop Header: Depth=1
	s_waitcnt lgkmcnt(0)
	v_cmp_gt_f64_e32 vcc_lo, 0, v[164:165]
	v_cmp_gt_f64_e64 s0, 0, v[162:163]
	ds_read2_b64 v[177:180], v171 offset1:1
	v_xor_b32_e32 v182, 0x80000000, v163
	v_xor_b32_e32 v184, 0x80000000, v165
	v_mov_b32_e32 v181, v162
	v_mov_b32_e32 v183, v164
	v_add_nc_u32_e32 v171, 16, v171
	s_waitcnt lgkmcnt(0)
	v_xor_b32_e32 v186, 0x80000000, v180
	v_cndmask_b32_e64 v182, v163, v182, s0
	v_cndmask_b32_e32 v184, v165, v184, vcc_lo
	v_cmp_gt_f64_e32 vcc_lo, 0, v[179:180]
	v_cmp_gt_f64_e64 s0, 0, v[177:178]
	v_mov_b32_e32 v185, v179
	v_add_f64 v[181:182], v[181:182], v[183:184]
	v_xor_b32_e32 v184, 0x80000000, v178
	v_mov_b32_e32 v183, v177
	v_cndmask_b32_e32 v186, v180, v186, vcc_lo
	v_cndmask_b32_e64 v184, v178, v184, s0
	v_add_f64 v[183:184], v[183:184], v[185:186]
	v_cmp_lt_f64_e32 vcc_lo, v[181:182], v[183:184]
	v_cndmask_b32_e32 v163, v163, v178, vcc_lo
	v_cndmask_b32_e32 v162, v162, v177, vcc_lo
	;; [unrolled: 1-line block ×4, first 2 shown]
	v_cndmask_b32_e64 v170, v170, s1, vcc_lo
	s_add_i32 s1, s1, 1
	s_cmp_lg_u32 s8, s1
	s_cbranch_scc1 .LBB78_463
.LBB78_464:
	s_inst_prefetch 0x2
	s_waitcnt lgkmcnt(0)
	v_cmp_eq_f64_e32 vcc_lo, 0, v[162:163]
	v_cmp_eq_f64_e64 s0, 0, v[164:165]
	s_and_b32 s0, vcc_lo, s0
	s_and_saveexec_b32 s1, s0
	s_xor_b32 s0, exec_lo, s1
; %bb.465:
	v_cmp_ne_u32_e32 vcc_lo, 0, v175
	v_cndmask_b32_e32 v175, 23, v175, vcc_lo
; %bb.466:
	s_andn2_saveexec_b32 s0, s0
	s_cbranch_execz .LBB78_472
; %bb.467:
	v_cmp_ngt_f64_e64 s1, |v[162:163]|, |v[164:165]|
	s_and_saveexec_b32 s7, s1
	s_xor_b32 s1, exec_lo, s7
	s_cbranch_execz .LBB78_469
; %bb.468:
	v_div_scale_f64 v[177:178], null, v[164:165], v[164:165], v[162:163]
	v_div_scale_f64 v[183:184], vcc_lo, v[162:163], v[164:165], v[162:163]
	v_rcp_f64_e32 v[179:180], v[177:178]
	v_fma_f64 v[181:182], -v[177:178], v[179:180], 1.0
	v_fma_f64 v[179:180], v[179:180], v[181:182], v[179:180]
	v_fma_f64 v[181:182], -v[177:178], v[179:180], 1.0
	v_fma_f64 v[179:180], v[179:180], v[181:182], v[179:180]
	v_mul_f64 v[181:182], v[183:184], v[179:180]
	v_fma_f64 v[177:178], -v[177:178], v[181:182], v[183:184]
	v_div_fmas_f64 v[177:178], v[177:178], v[179:180], v[181:182]
	v_div_fixup_f64 v[177:178], v[177:178], v[164:165], v[162:163]
	v_fma_f64 v[162:163], v[162:163], v[177:178], v[164:165]
	v_div_scale_f64 v[164:165], null, v[162:163], v[162:163], 1.0
	v_rcp_f64_e32 v[179:180], v[164:165]
	v_fma_f64 v[181:182], -v[164:165], v[179:180], 1.0
	v_fma_f64 v[179:180], v[179:180], v[181:182], v[179:180]
	v_fma_f64 v[181:182], -v[164:165], v[179:180], 1.0
	v_fma_f64 v[179:180], v[179:180], v[181:182], v[179:180]
	v_div_scale_f64 v[181:182], vcc_lo, 1.0, v[162:163], 1.0
	v_mul_f64 v[183:184], v[181:182], v[179:180]
	v_fma_f64 v[164:165], -v[164:165], v[183:184], v[181:182]
	v_div_fmas_f64 v[164:165], v[164:165], v[179:180], v[183:184]
	v_div_fixup_f64 v[164:165], v[164:165], v[162:163], 1.0
	v_mul_f64 v[162:163], v[177:178], v[164:165]
	v_xor_b32_e32 v165, 0x80000000, v165
.LBB78_469:
	s_andn2_saveexec_b32 s1, s1
	s_cbranch_execz .LBB78_471
; %bb.470:
	v_div_scale_f64 v[177:178], null, v[162:163], v[162:163], v[164:165]
	v_div_scale_f64 v[183:184], vcc_lo, v[164:165], v[162:163], v[164:165]
	v_rcp_f64_e32 v[179:180], v[177:178]
	v_fma_f64 v[181:182], -v[177:178], v[179:180], 1.0
	v_fma_f64 v[179:180], v[179:180], v[181:182], v[179:180]
	v_fma_f64 v[181:182], -v[177:178], v[179:180], 1.0
	v_fma_f64 v[179:180], v[179:180], v[181:182], v[179:180]
	v_mul_f64 v[181:182], v[183:184], v[179:180]
	v_fma_f64 v[177:178], -v[177:178], v[181:182], v[183:184]
	v_div_fmas_f64 v[177:178], v[177:178], v[179:180], v[181:182]
	v_div_fixup_f64 v[177:178], v[177:178], v[162:163], v[164:165]
	v_fma_f64 v[162:163], v[164:165], v[177:178], v[162:163]
	v_div_scale_f64 v[164:165], null, v[162:163], v[162:163], 1.0
	v_rcp_f64_e32 v[179:180], v[164:165]
	v_fma_f64 v[181:182], -v[164:165], v[179:180], 1.0
	v_fma_f64 v[179:180], v[179:180], v[181:182], v[179:180]
	v_fma_f64 v[181:182], -v[164:165], v[179:180], 1.0
	v_fma_f64 v[179:180], v[179:180], v[181:182], v[179:180]
	v_div_scale_f64 v[181:182], vcc_lo, 1.0, v[162:163], 1.0
	v_mul_f64 v[183:184], v[181:182], v[179:180]
	v_fma_f64 v[164:165], -v[164:165], v[183:184], v[181:182]
	v_div_fmas_f64 v[164:165], v[164:165], v[179:180], v[183:184]
	v_div_fixup_f64 v[162:163], v[164:165], v[162:163], 1.0
	v_mul_f64 v[164:165], v[177:178], -v[162:163]
.LBB78_471:
	s_or_b32 exec_lo, exec_lo, s1
.LBB78_472:
	s_or_b32 exec_lo, exec_lo, s0
	s_mov_b32 s0, exec_lo
	v_cmpx_ne_u32_e64 v176, v170
	s_xor_b32 s0, exec_lo, s0
	s_cbranch_execz .LBB78_478
; %bb.473:
	s_mov_b32 s1, exec_lo
	v_cmpx_eq_u32_e32 22, v176
	s_cbranch_execz .LBB78_477
; %bb.474:
	v_cmp_ne_u32_e32 vcc_lo, 22, v170
	s_xor_b32 s7, s16, -1
	s_and_b32 s9, s7, vcc_lo
	s_and_saveexec_b32 s7, s9
	s_cbranch_execz .LBB78_476
; %bb.475:
	v_ashrrev_i32_e32 v171, 31, v170
	v_lshlrev_b64 v[176:177], 2, v[170:171]
	v_add_co_u32 v176, vcc_lo, v168, v176
	v_add_co_ci_u32_e64 v177, null, v169, v177, vcc_lo
	s_clause 0x1
	global_load_dword v0, v[176:177], off
	global_load_dword v171, v[168:169], off offset:88
	s_waitcnt vmcnt(1)
	global_store_dword v[168:169], v0, off offset:88
	s_waitcnt vmcnt(0)
	global_store_dword v[176:177], v171, off
.LBB78_476:
	s_or_b32 exec_lo, exec_lo, s7
	v_mov_b32_e32 v176, v170
	v_mov_b32_e32 v0, v170
.LBB78_477:
	s_or_b32 exec_lo, exec_lo, s1
.LBB78_478:
	s_andn2_saveexec_b32 s0, s0
	s_cbranch_execz .LBB78_480
; %bb.479:
	v_mov_b32_e32 v176, 22
	ds_write2_b64 v1, v[62:63], v[64:65] offset0:46 offset1:47
	ds_write2_b64 v1, v[66:67], v[68:69] offset0:48 offset1:49
	;; [unrolled: 1-line block ×17, first 2 shown]
.LBB78_480:
	s_or_b32 exec_lo, exec_lo, s0
	s_mov_b32 s0, exec_lo
	s_waitcnt lgkmcnt(0)
	s_waitcnt_vscnt null, 0x0
	s_barrier
	buffer_gl0_inv
	v_cmpx_lt_i32_e32 22, v176
	s_cbranch_execz .LBB78_482
; %bb.481:
	v_mul_f64 v[170:171], v[164:165], v[80:81]
	v_mul_f64 v[80:81], v[162:163], v[80:81]
	v_fma_f64 v[170:171], v[162:163], v[78:79], -v[170:171]
	v_fma_f64 v[80:81], v[164:165], v[78:79], v[80:81]
	ds_read2_b64 v[162:165], v1 offset0:46 offset1:47
	s_waitcnt lgkmcnt(0)
	v_mul_f64 v[78:79], v[164:165], v[80:81]
	v_fma_f64 v[78:79], v[162:163], v[170:171], -v[78:79]
	v_mul_f64 v[162:163], v[162:163], v[80:81]
	v_add_f64 v[62:63], v[62:63], -v[78:79]
	v_fma_f64 v[162:163], v[164:165], v[170:171], v[162:163]
	v_add_f64 v[64:65], v[64:65], -v[162:163]
	ds_read2_b64 v[162:165], v1 offset0:48 offset1:49
	s_waitcnt lgkmcnt(0)
	v_mul_f64 v[78:79], v[164:165], v[80:81]
	v_fma_f64 v[78:79], v[162:163], v[170:171], -v[78:79]
	v_mul_f64 v[162:163], v[162:163], v[80:81]
	v_add_f64 v[66:67], v[66:67], -v[78:79]
	v_fma_f64 v[162:163], v[164:165], v[170:171], v[162:163]
	v_add_f64 v[68:69], v[68:69], -v[162:163]
	;; [unrolled: 8-line block ×16, first 2 shown]
	ds_read2_b64 v[162:165], v1 offset0:78 offset1:79
	s_waitcnt lgkmcnt(0)
	v_mul_f64 v[78:79], v[164:165], v[80:81]
	v_fma_f64 v[78:79], v[162:163], v[170:171], -v[78:79]
	v_mul_f64 v[162:163], v[162:163], v[80:81]
	v_add_f64 v[2:3], v[2:3], -v[78:79]
	v_fma_f64 v[162:163], v[164:165], v[170:171], v[162:163]
	v_mov_b32_e32 v78, v170
	v_mov_b32_e32 v79, v171
	v_add_f64 v[4:5], v[4:5], -v[162:163]
.LBB78_482:
	s_or_b32 exec_lo, exec_lo, s0
	v_lshl_add_u32 v162, v176, 4, v1
	s_barrier
	buffer_gl0_inv
	v_mov_b32_e32 v170, 23
	ds_write2_b64 v162, v[62:63], v[64:65] offset1:1
	s_waitcnt lgkmcnt(0)
	s_barrier
	buffer_gl0_inv
	ds_read2_b64 v[162:165], v1 offset0:46 offset1:47
	s_cmp_lt_i32 s8, 25
	s_cbranch_scc1 .LBB78_485
; %bb.483:
	v_add3_u32 v171, v172, 0, 0x180
	v_mov_b32_e32 v170, 23
	s_mov_b32 s1, 24
	s_inst_prefetch 0x1
	.p2align	6
.LBB78_484:                             ; =>This Inner Loop Header: Depth=1
	s_waitcnt lgkmcnt(0)
	v_cmp_gt_f64_e32 vcc_lo, 0, v[164:165]
	v_cmp_gt_f64_e64 s0, 0, v[162:163]
	ds_read2_b64 v[177:180], v171 offset1:1
	v_xor_b32_e32 v182, 0x80000000, v163
	v_xor_b32_e32 v184, 0x80000000, v165
	v_mov_b32_e32 v181, v162
	v_mov_b32_e32 v183, v164
	v_add_nc_u32_e32 v171, 16, v171
	s_waitcnt lgkmcnt(0)
	v_xor_b32_e32 v186, 0x80000000, v180
	v_cndmask_b32_e64 v182, v163, v182, s0
	v_cndmask_b32_e32 v184, v165, v184, vcc_lo
	v_cmp_gt_f64_e32 vcc_lo, 0, v[179:180]
	v_cmp_gt_f64_e64 s0, 0, v[177:178]
	v_mov_b32_e32 v185, v179
	v_add_f64 v[181:182], v[181:182], v[183:184]
	v_xor_b32_e32 v184, 0x80000000, v178
	v_mov_b32_e32 v183, v177
	v_cndmask_b32_e32 v186, v180, v186, vcc_lo
	v_cndmask_b32_e64 v184, v178, v184, s0
	v_add_f64 v[183:184], v[183:184], v[185:186]
	v_cmp_lt_f64_e32 vcc_lo, v[181:182], v[183:184]
	v_cndmask_b32_e32 v163, v163, v178, vcc_lo
	v_cndmask_b32_e32 v162, v162, v177, vcc_lo
	;; [unrolled: 1-line block ×4, first 2 shown]
	v_cndmask_b32_e64 v170, v170, s1, vcc_lo
	s_add_i32 s1, s1, 1
	s_cmp_lg_u32 s8, s1
	s_cbranch_scc1 .LBB78_484
.LBB78_485:
	s_inst_prefetch 0x2
	s_waitcnt lgkmcnt(0)
	v_cmp_eq_f64_e32 vcc_lo, 0, v[162:163]
	v_cmp_eq_f64_e64 s0, 0, v[164:165]
	s_and_b32 s0, vcc_lo, s0
	s_and_saveexec_b32 s1, s0
	s_xor_b32 s0, exec_lo, s1
; %bb.486:
	v_cmp_ne_u32_e32 vcc_lo, 0, v175
	v_cndmask_b32_e32 v175, 24, v175, vcc_lo
; %bb.487:
	s_andn2_saveexec_b32 s0, s0
	s_cbranch_execz .LBB78_493
; %bb.488:
	v_cmp_ngt_f64_e64 s1, |v[162:163]|, |v[164:165]|
	s_and_saveexec_b32 s7, s1
	s_xor_b32 s1, exec_lo, s7
	s_cbranch_execz .LBB78_490
; %bb.489:
	v_div_scale_f64 v[177:178], null, v[164:165], v[164:165], v[162:163]
	v_div_scale_f64 v[183:184], vcc_lo, v[162:163], v[164:165], v[162:163]
	v_rcp_f64_e32 v[179:180], v[177:178]
	v_fma_f64 v[181:182], -v[177:178], v[179:180], 1.0
	v_fma_f64 v[179:180], v[179:180], v[181:182], v[179:180]
	v_fma_f64 v[181:182], -v[177:178], v[179:180], 1.0
	v_fma_f64 v[179:180], v[179:180], v[181:182], v[179:180]
	v_mul_f64 v[181:182], v[183:184], v[179:180]
	v_fma_f64 v[177:178], -v[177:178], v[181:182], v[183:184]
	v_div_fmas_f64 v[177:178], v[177:178], v[179:180], v[181:182]
	v_div_fixup_f64 v[177:178], v[177:178], v[164:165], v[162:163]
	v_fma_f64 v[162:163], v[162:163], v[177:178], v[164:165]
	v_div_scale_f64 v[164:165], null, v[162:163], v[162:163], 1.0
	v_rcp_f64_e32 v[179:180], v[164:165]
	v_fma_f64 v[181:182], -v[164:165], v[179:180], 1.0
	v_fma_f64 v[179:180], v[179:180], v[181:182], v[179:180]
	v_fma_f64 v[181:182], -v[164:165], v[179:180], 1.0
	v_fma_f64 v[179:180], v[179:180], v[181:182], v[179:180]
	v_div_scale_f64 v[181:182], vcc_lo, 1.0, v[162:163], 1.0
	v_mul_f64 v[183:184], v[181:182], v[179:180]
	v_fma_f64 v[164:165], -v[164:165], v[183:184], v[181:182]
	v_div_fmas_f64 v[164:165], v[164:165], v[179:180], v[183:184]
	v_div_fixup_f64 v[164:165], v[164:165], v[162:163], 1.0
	v_mul_f64 v[162:163], v[177:178], v[164:165]
	v_xor_b32_e32 v165, 0x80000000, v165
.LBB78_490:
	s_andn2_saveexec_b32 s1, s1
	s_cbranch_execz .LBB78_492
; %bb.491:
	v_div_scale_f64 v[177:178], null, v[162:163], v[162:163], v[164:165]
	v_div_scale_f64 v[183:184], vcc_lo, v[164:165], v[162:163], v[164:165]
	v_rcp_f64_e32 v[179:180], v[177:178]
	v_fma_f64 v[181:182], -v[177:178], v[179:180], 1.0
	v_fma_f64 v[179:180], v[179:180], v[181:182], v[179:180]
	v_fma_f64 v[181:182], -v[177:178], v[179:180], 1.0
	v_fma_f64 v[179:180], v[179:180], v[181:182], v[179:180]
	v_mul_f64 v[181:182], v[183:184], v[179:180]
	v_fma_f64 v[177:178], -v[177:178], v[181:182], v[183:184]
	v_div_fmas_f64 v[177:178], v[177:178], v[179:180], v[181:182]
	v_div_fixup_f64 v[177:178], v[177:178], v[162:163], v[164:165]
	v_fma_f64 v[162:163], v[164:165], v[177:178], v[162:163]
	v_div_scale_f64 v[164:165], null, v[162:163], v[162:163], 1.0
	v_rcp_f64_e32 v[179:180], v[164:165]
	v_fma_f64 v[181:182], -v[164:165], v[179:180], 1.0
	v_fma_f64 v[179:180], v[179:180], v[181:182], v[179:180]
	v_fma_f64 v[181:182], -v[164:165], v[179:180], 1.0
	v_fma_f64 v[179:180], v[179:180], v[181:182], v[179:180]
	v_div_scale_f64 v[181:182], vcc_lo, 1.0, v[162:163], 1.0
	v_mul_f64 v[183:184], v[181:182], v[179:180]
	v_fma_f64 v[164:165], -v[164:165], v[183:184], v[181:182]
	v_div_fmas_f64 v[164:165], v[164:165], v[179:180], v[183:184]
	v_div_fixup_f64 v[162:163], v[164:165], v[162:163], 1.0
	v_mul_f64 v[164:165], v[177:178], -v[162:163]
.LBB78_492:
	s_or_b32 exec_lo, exec_lo, s1
.LBB78_493:
	s_or_b32 exec_lo, exec_lo, s0
	s_mov_b32 s0, exec_lo
	v_cmpx_ne_u32_e64 v176, v170
	s_xor_b32 s0, exec_lo, s0
	s_cbranch_execz .LBB78_499
; %bb.494:
	s_mov_b32 s1, exec_lo
	v_cmpx_eq_u32_e32 23, v176
	s_cbranch_execz .LBB78_498
; %bb.495:
	v_cmp_ne_u32_e32 vcc_lo, 23, v170
	s_xor_b32 s7, s16, -1
	s_and_b32 s9, s7, vcc_lo
	s_and_saveexec_b32 s7, s9
	s_cbranch_execz .LBB78_497
; %bb.496:
	v_ashrrev_i32_e32 v171, 31, v170
	v_lshlrev_b64 v[176:177], 2, v[170:171]
	v_add_co_u32 v176, vcc_lo, v168, v176
	v_add_co_ci_u32_e64 v177, null, v169, v177, vcc_lo
	s_clause 0x1
	global_load_dword v0, v[176:177], off
	global_load_dword v171, v[168:169], off offset:92
	s_waitcnt vmcnt(1)
	global_store_dword v[168:169], v0, off offset:92
	s_waitcnt vmcnt(0)
	global_store_dword v[176:177], v171, off
.LBB78_497:
	s_or_b32 exec_lo, exec_lo, s7
	v_mov_b32_e32 v176, v170
	v_mov_b32_e32 v0, v170
.LBB78_498:
	s_or_b32 exec_lo, exec_lo, s1
.LBB78_499:
	s_andn2_saveexec_b32 s0, s0
	s_cbranch_execz .LBB78_501
; %bb.500:
	v_mov_b32_e32 v176, 23
	ds_write2_b64 v1, v[66:67], v[68:69] offset0:48 offset1:49
	ds_write2_b64 v1, v[42:43], v[44:45] offset0:50 offset1:51
	;; [unrolled: 1-line block ×16, first 2 shown]
.LBB78_501:
	s_or_b32 exec_lo, exec_lo, s0
	s_mov_b32 s0, exec_lo
	s_waitcnt lgkmcnt(0)
	s_waitcnt_vscnt null, 0x0
	s_barrier
	buffer_gl0_inv
	v_cmpx_lt_i32_e32 23, v176
	s_cbranch_execz .LBB78_503
; %bb.502:
	v_mul_f64 v[170:171], v[162:163], v[64:65]
	v_mul_f64 v[64:65], v[164:165], v[64:65]
	v_fma_f64 v[170:171], v[164:165], v[62:63], v[170:171]
	v_fma_f64 v[62:63], v[162:163], v[62:63], -v[64:65]
	ds_read2_b64 v[162:165], v1 offset0:48 offset1:49
	s_waitcnt lgkmcnt(0)
	v_mul_f64 v[64:65], v[164:165], v[170:171]
	v_fma_f64 v[64:65], v[162:163], v[62:63], -v[64:65]
	v_mul_f64 v[162:163], v[162:163], v[170:171]
	v_add_f64 v[66:67], v[66:67], -v[64:65]
	v_fma_f64 v[162:163], v[164:165], v[62:63], v[162:163]
	v_add_f64 v[68:69], v[68:69], -v[162:163]
	ds_read2_b64 v[162:165], v1 offset0:50 offset1:51
	s_waitcnt lgkmcnt(0)
	v_mul_f64 v[64:65], v[164:165], v[170:171]
	v_fma_f64 v[64:65], v[162:163], v[62:63], -v[64:65]
	v_mul_f64 v[162:163], v[162:163], v[170:171]
	v_add_f64 v[42:43], v[42:43], -v[64:65]
	v_fma_f64 v[162:163], v[164:165], v[62:63], v[162:163]
	v_add_f64 v[44:45], v[44:45], -v[162:163]
	;; [unrolled: 8-line block ×15, first 2 shown]
	ds_read2_b64 v[162:165], v1 offset0:78 offset1:79
	s_waitcnt lgkmcnt(0)
	v_mul_f64 v[64:65], v[164:165], v[170:171]
	v_fma_f64 v[64:65], v[162:163], v[62:63], -v[64:65]
	v_mul_f64 v[162:163], v[162:163], v[170:171]
	v_add_f64 v[2:3], v[2:3], -v[64:65]
	v_fma_f64 v[162:163], v[164:165], v[62:63], v[162:163]
	v_mov_b32_e32 v64, v170
	v_mov_b32_e32 v65, v171
	v_add_f64 v[4:5], v[4:5], -v[162:163]
.LBB78_503:
	s_or_b32 exec_lo, exec_lo, s0
	v_lshl_add_u32 v162, v176, 4, v1
	s_barrier
	buffer_gl0_inv
	v_mov_b32_e32 v170, 24
	ds_write2_b64 v162, v[66:67], v[68:69] offset1:1
	s_waitcnt lgkmcnt(0)
	s_barrier
	buffer_gl0_inv
	ds_read2_b64 v[162:165], v1 offset0:48 offset1:49
	s_cmp_lt_i32 s8, 26
	s_cbranch_scc1 .LBB78_506
; %bb.504:
	v_add3_u32 v171, v172, 0, 0x190
	v_mov_b32_e32 v170, 24
	s_mov_b32 s1, 25
	s_inst_prefetch 0x1
	.p2align	6
.LBB78_505:                             ; =>This Inner Loop Header: Depth=1
	s_waitcnt lgkmcnt(0)
	v_cmp_gt_f64_e32 vcc_lo, 0, v[164:165]
	v_cmp_gt_f64_e64 s0, 0, v[162:163]
	ds_read2_b64 v[177:180], v171 offset1:1
	v_xor_b32_e32 v182, 0x80000000, v163
	v_xor_b32_e32 v184, 0x80000000, v165
	v_mov_b32_e32 v181, v162
	v_mov_b32_e32 v183, v164
	v_add_nc_u32_e32 v171, 16, v171
	s_waitcnt lgkmcnt(0)
	v_xor_b32_e32 v186, 0x80000000, v180
	v_cndmask_b32_e64 v182, v163, v182, s0
	v_cndmask_b32_e32 v184, v165, v184, vcc_lo
	v_cmp_gt_f64_e32 vcc_lo, 0, v[179:180]
	v_cmp_gt_f64_e64 s0, 0, v[177:178]
	v_mov_b32_e32 v185, v179
	v_add_f64 v[181:182], v[181:182], v[183:184]
	v_xor_b32_e32 v184, 0x80000000, v178
	v_mov_b32_e32 v183, v177
	v_cndmask_b32_e32 v186, v180, v186, vcc_lo
	v_cndmask_b32_e64 v184, v178, v184, s0
	v_add_f64 v[183:184], v[183:184], v[185:186]
	v_cmp_lt_f64_e32 vcc_lo, v[181:182], v[183:184]
	v_cndmask_b32_e32 v163, v163, v178, vcc_lo
	v_cndmask_b32_e32 v162, v162, v177, vcc_lo
	;; [unrolled: 1-line block ×4, first 2 shown]
	v_cndmask_b32_e64 v170, v170, s1, vcc_lo
	s_add_i32 s1, s1, 1
	s_cmp_lg_u32 s8, s1
	s_cbranch_scc1 .LBB78_505
.LBB78_506:
	s_inst_prefetch 0x2
	s_waitcnt lgkmcnt(0)
	v_cmp_eq_f64_e32 vcc_lo, 0, v[162:163]
	v_cmp_eq_f64_e64 s0, 0, v[164:165]
	s_and_b32 s0, vcc_lo, s0
	s_and_saveexec_b32 s1, s0
	s_xor_b32 s0, exec_lo, s1
; %bb.507:
	v_cmp_ne_u32_e32 vcc_lo, 0, v175
	v_cndmask_b32_e32 v175, 25, v175, vcc_lo
; %bb.508:
	s_andn2_saveexec_b32 s0, s0
	s_cbranch_execz .LBB78_514
; %bb.509:
	v_cmp_ngt_f64_e64 s1, |v[162:163]|, |v[164:165]|
	s_and_saveexec_b32 s7, s1
	s_xor_b32 s1, exec_lo, s7
	s_cbranch_execz .LBB78_511
; %bb.510:
	v_div_scale_f64 v[177:178], null, v[164:165], v[164:165], v[162:163]
	v_div_scale_f64 v[183:184], vcc_lo, v[162:163], v[164:165], v[162:163]
	v_rcp_f64_e32 v[179:180], v[177:178]
	v_fma_f64 v[181:182], -v[177:178], v[179:180], 1.0
	v_fma_f64 v[179:180], v[179:180], v[181:182], v[179:180]
	v_fma_f64 v[181:182], -v[177:178], v[179:180], 1.0
	v_fma_f64 v[179:180], v[179:180], v[181:182], v[179:180]
	v_mul_f64 v[181:182], v[183:184], v[179:180]
	v_fma_f64 v[177:178], -v[177:178], v[181:182], v[183:184]
	v_div_fmas_f64 v[177:178], v[177:178], v[179:180], v[181:182]
	v_div_fixup_f64 v[177:178], v[177:178], v[164:165], v[162:163]
	v_fma_f64 v[162:163], v[162:163], v[177:178], v[164:165]
	v_div_scale_f64 v[164:165], null, v[162:163], v[162:163], 1.0
	v_rcp_f64_e32 v[179:180], v[164:165]
	v_fma_f64 v[181:182], -v[164:165], v[179:180], 1.0
	v_fma_f64 v[179:180], v[179:180], v[181:182], v[179:180]
	v_fma_f64 v[181:182], -v[164:165], v[179:180], 1.0
	v_fma_f64 v[179:180], v[179:180], v[181:182], v[179:180]
	v_div_scale_f64 v[181:182], vcc_lo, 1.0, v[162:163], 1.0
	v_mul_f64 v[183:184], v[181:182], v[179:180]
	v_fma_f64 v[164:165], -v[164:165], v[183:184], v[181:182]
	v_div_fmas_f64 v[164:165], v[164:165], v[179:180], v[183:184]
	v_div_fixup_f64 v[164:165], v[164:165], v[162:163], 1.0
	v_mul_f64 v[162:163], v[177:178], v[164:165]
	v_xor_b32_e32 v165, 0x80000000, v165
.LBB78_511:
	s_andn2_saveexec_b32 s1, s1
	s_cbranch_execz .LBB78_513
; %bb.512:
	v_div_scale_f64 v[177:178], null, v[162:163], v[162:163], v[164:165]
	v_div_scale_f64 v[183:184], vcc_lo, v[164:165], v[162:163], v[164:165]
	v_rcp_f64_e32 v[179:180], v[177:178]
	v_fma_f64 v[181:182], -v[177:178], v[179:180], 1.0
	v_fma_f64 v[179:180], v[179:180], v[181:182], v[179:180]
	v_fma_f64 v[181:182], -v[177:178], v[179:180], 1.0
	v_fma_f64 v[179:180], v[179:180], v[181:182], v[179:180]
	v_mul_f64 v[181:182], v[183:184], v[179:180]
	v_fma_f64 v[177:178], -v[177:178], v[181:182], v[183:184]
	v_div_fmas_f64 v[177:178], v[177:178], v[179:180], v[181:182]
	v_div_fixup_f64 v[177:178], v[177:178], v[162:163], v[164:165]
	v_fma_f64 v[162:163], v[164:165], v[177:178], v[162:163]
	v_div_scale_f64 v[164:165], null, v[162:163], v[162:163], 1.0
	v_rcp_f64_e32 v[179:180], v[164:165]
	v_fma_f64 v[181:182], -v[164:165], v[179:180], 1.0
	v_fma_f64 v[179:180], v[179:180], v[181:182], v[179:180]
	v_fma_f64 v[181:182], -v[164:165], v[179:180], 1.0
	v_fma_f64 v[179:180], v[179:180], v[181:182], v[179:180]
	v_div_scale_f64 v[181:182], vcc_lo, 1.0, v[162:163], 1.0
	v_mul_f64 v[183:184], v[181:182], v[179:180]
	v_fma_f64 v[164:165], -v[164:165], v[183:184], v[181:182]
	v_div_fmas_f64 v[164:165], v[164:165], v[179:180], v[183:184]
	v_div_fixup_f64 v[162:163], v[164:165], v[162:163], 1.0
	v_mul_f64 v[164:165], v[177:178], -v[162:163]
.LBB78_513:
	s_or_b32 exec_lo, exec_lo, s1
.LBB78_514:
	s_or_b32 exec_lo, exec_lo, s0
	s_mov_b32 s0, exec_lo
	v_cmpx_ne_u32_e64 v176, v170
	s_xor_b32 s0, exec_lo, s0
	s_cbranch_execz .LBB78_520
; %bb.515:
	s_mov_b32 s1, exec_lo
	v_cmpx_eq_u32_e32 24, v176
	s_cbranch_execz .LBB78_519
; %bb.516:
	v_cmp_ne_u32_e32 vcc_lo, 24, v170
	s_xor_b32 s7, s16, -1
	s_and_b32 s9, s7, vcc_lo
	s_and_saveexec_b32 s7, s9
	s_cbranch_execz .LBB78_518
; %bb.517:
	v_ashrrev_i32_e32 v171, 31, v170
	v_lshlrev_b64 v[176:177], 2, v[170:171]
	v_add_co_u32 v176, vcc_lo, v168, v176
	v_add_co_ci_u32_e64 v177, null, v169, v177, vcc_lo
	s_clause 0x1
	global_load_dword v0, v[176:177], off
	global_load_dword v171, v[168:169], off offset:96
	s_waitcnt vmcnt(1)
	global_store_dword v[168:169], v0, off offset:96
	s_waitcnt vmcnt(0)
	global_store_dword v[176:177], v171, off
.LBB78_518:
	s_or_b32 exec_lo, exec_lo, s7
	v_mov_b32_e32 v176, v170
	v_mov_b32_e32 v0, v170
.LBB78_519:
	s_or_b32 exec_lo, exec_lo, s1
.LBB78_520:
	s_andn2_saveexec_b32 s0, s0
	s_cbranch_execz .LBB78_522
; %bb.521:
	v_mov_b32_e32 v176, 24
	ds_write2_b64 v1, v[42:43], v[44:45] offset0:50 offset1:51
	ds_write2_b64 v1, v[50:51], v[52:53] offset0:52 offset1:53
	;; [unrolled: 1-line block ×15, first 2 shown]
.LBB78_522:
	s_or_b32 exec_lo, exec_lo, s0
	s_mov_b32 s0, exec_lo
	s_waitcnt lgkmcnt(0)
	s_waitcnt_vscnt null, 0x0
	s_barrier
	buffer_gl0_inv
	v_cmpx_lt_i32_e32 24, v176
	s_cbranch_execz .LBB78_524
; %bb.523:
	v_mul_f64 v[170:171], v[162:163], v[68:69]
	v_mul_f64 v[68:69], v[164:165], v[68:69]
	v_fma_f64 v[170:171], v[164:165], v[66:67], v[170:171]
	v_fma_f64 v[66:67], v[162:163], v[66:67], -v[68:69]
	ds_read2_b64 v[162:165], v1 offset0:50 offset1:51
	s_waitcnt lgkmcnt(0)
	v_mul_f64 v[68:69], v[164:165], v[170:171]
	v_fma_f64 v[68:69], v[162:163], v[66:67], -v[68:69]
	v_mul_f64 v[162:163], v[162:163], v[170:171]
	v_add_f64 v[42:43], v[42:43], -v[68:69]
	v_fma_f64 v[162:163], v[164:165], v[66:67], v[162:163]
	v_add_f64 v[44:45], v[44:45], -v[162:163]
	ds_read2_b64 v[162:165], v1 offset0:52 offset1:53
	s_waitcnt lgkmcnt(0)
	v_mul_f64 v[68:69], v[164:165], v[170:171]
	v_fma_f64 v[68:69], v[162:163], v[66:67], -v[68:69]
	v_mul_f64 v[162:163], v[162:163], v[170:171]
	v_add_f64 v[50:51], v[50:51], -v[68:69]
	v_fma_f64 v[162:163], v[164:165], v[66:67], v[162:163]
	v_add_f64 v[52:53], v[52:53], -v[162:163]
	;; [unrolled: 8-line block ×14, first 2 shown]
	ds_read2_b64 v[162:165], v1 offset0:78 offset1:79
	s_waitcnt lgkmcnt(0)
	v_mul_f64 v[68:69], v[164:165], v[170:171]
	v_fma_f64 v[68:69], v[162:163], v[66:67], -v[68:69]
	v_mul_f64 v[162:163], v[162:163], v[170:171]
	v_add_f64 v[2:3], v[2:3], -v[68:69]
	v_fma_f64 v[162:163], v[164:165], v[66:67], v[162:163]
	v_mov_b32_e32 v68, v170
	v_mov_b32_e32 v69, v171
	v_add_f64 v[4:5], v[4:5], -v[162:163]
.LBB78_524:
	s_or_b32 exec_lo, exec_lo, s0
	v_lshl_add_u32 v162, v176, 4, v1
	s_barrier
	buffer_gl0_inv
	v_mov_b32_e32 v170, 25
	ds_write2_b64 v162, v[42:43], v[44:45] offset1:1
	s_waitcnt lgkmcnt(0)
	s_barrier
	buffer_gl0_inv
	ds_read2_b64 v[162:165], v1 offset0:50 offset1:51
	s_cmp_lt_i32 s8, 27
	s_cbranch_scc1 .LBB78_527
; %bb.525:
	v_add3_u32 v171, v172, 0, 0x1a0
	v_mov_b32_e32 v170, 25
	s_mov_b32 s1, 26
	s_inst_prefetch 0x1
	.p2align	6
.LBB78_526:                             ; =>This Inner Loop Header: Depth=1
	s_waitcnt lgkmcnt(0)
	v_cmp_gt_f64_e32 vcc_lo, 0, v[164:165]
	v_cmp_gt_f64_e64 s0, 0, v[162:163]
	ds_read2_b64 v[177:180], v171 offset1:1
	v_xor_b32_e32 v182, 0x80000000, v163
	v_xor_b32_e32 v184, 0x80000000, v165
	v_mov_b32_e32 v181, v162
	v_mov_b32_e32 v183, v164
	v_add_nc_u32_e32 v171, 16, v171
	s_waitcnt lgkmcnt(0)
	v_xor_b32_e32 v186, 0x80000000, v180
	v_cndmask_b32_e64 v182, v163, v182, s0
	v_cndmask_b32_e32 v184, v165, v184, vcc_lo
	v_cmp_gt_f64_e32 vcc_lo, 0, v[179:180]
	v_cmp_gt_f64_e64 s0, 0, v[177:178]
	v_mov_b32_e32 v185, v179
	v_add_f64 v[181:182], v[181:182], v[183:184]
	v_xor_b32_e32 v184, 0x80000000, v178
	v_mov_b32_e32 v183, v177
	v_cndmask_b32_e32 v186, v180, v186, vcc_lo
	v_cndmask_b32_e64 v184, v178, v184, s0
	v_add_f64 v[183:184], v[183:184], v[185:186]
	v_cmp_lt_f64_e32 vcc_lo, v[181:182], v[183:184]
	v_cndmask_b32_e32 v163, v163, v178, vcc_lo
	v_cndmask_b32_e32 v162, v162, v177, vcc_lo
	;; [unrolled: 1-line block ×4, first 2 shown]
	v_cndmask_b32_e64 v170, v170, s1, vcc_lo
	s_add_i32 s1, s1, 1
	s_cmp_lg_u32 s8, s1
	s_cbranch_scc1 .LBB78_526
.LBB78_527:
	s_inst_prefetch 0x2
	s_waitcnt lgkmcnt(0)
	v_cmp_eq_f64_e32 vcc_lo, 0, v[162:163]
	v_cmp_eq_f64_e64 s0, 0, v[164:165]
	s_and_b32 s0, vcc_lo, s0
	s_and_saveexec_b32 s1, s0
	s_xor_b32 s0, exec_lo, s1
; %bb.528:
	v_cmp_ne_u32_e32 vcc_lo, 0, v175
	v_cndmask_b32_e32 v175, 26, v175, vcc_lo
; %bb.529:
	s_andn2_saveexec_b32 s0, s0
	s_cbranch_execz .LBB78_535
; %bb.530:
	v_cmp_ngt_f64_e64 s1, |v[162:163]|, |v[164:165]|
	s_and_saveexec_b32 s7, s1
	s_xor_b32 s1, exec_lo, s7
	s_cbranch_execz .LBB78_532
; %bb.531:
	v_div_scale_f64 v[177:178], null, v[164:165], v[164:165], v[162:163]
	v_div_scale_f64 v[183:184], vcc_lo, v[162:163], v[164:165], v[162:163]
	v_rcp_f64_e32 v[179:180], v[177:178]
	v_fma_f64 v[181:182], -v[177:178], v[179:180], 1.0
	v_fma_f64 v[179:180], v[179:180], v[181:182], v[179:180]
	v_fma_f64 v[181:182], -v[177:178], v[179:180], 1.0
	v_fma_f64 v[179:180], v[179:180], v[181:182], v[179:180]
	v_mul_f64 v[181:182], v[183:184], v[179:180]
	v_fma_f64 v[177:178], -v[177:178], v[181:182], v[183:184]
	v_div_fmas_f64 v[177:178], v[177:178], v[179:180], v[181:182]
	v_div_fixup_f64 v[177:178], v[177:178], v[164:165], v[162:163]
	v_fma_f64 v[162:163], v[162:163], v[177:178], v[164:165]
	v_div_scale_f64 v[164:165], null, v[162:163], v[162:163], 1.0
	v_rcp_f64_e32 v[179:180], v[164:165]
	v_fma_f64 v[181:182], -v[164:165], v[179:180], 1.0
	v_fma_f64 v[179:180], v[179:180], v[181:182], v[179:180]
	v_fma_f64 v[181:182], -v[164:165], v[179:180], 1.0
	v_fma_f64 v[179:180], v[179:180], v[181:182], v[179:180]
	v_div_scale_f64 v[181:182], vcc_lo, 1.0, v[162:163], 1.0
	v_mul_f64 v[183:184], v[181:182], v[179:180]
	v_fma_f64 v[164:165], -v[164:165], v[183:184], v[181:182]
	v_div_fmas_f64 v[164:165], v[164:165], v[179:180], v[183:184]
	v_div_fixup_f64 v[164:165], v[164:165], v[162:163], 1.0
	v_mul_f64 v[162:163], v[177:178], v[164:165]
	v_xor_b32_e32 v165, 0x80000000, v165
.LBB78_532:
	s_andn2_saveexec_b32 s1, s1
	s_cbranch_execz .LBB78_534
; %bb.533:
	v_div_scale_f64 v[177:178], null, v[162:163], v[162:163], v[164:165]
	v_div_scale_f64 v[183:184], vcc_lo, v[164:165], v[162:163], v[164:165]
	v_rcp_f64_e32 v[179:180], v[177:178]
	v_fma_f64 v[181:182], -v[177:178], v[179:180], 1.0
	v_fma_f64 v[179:180], v[179:180], v[181:182], v[179:180]
	v_fma_f64 v[181:182], -v[177:178], v[179:180], 1.0
	v_fma_f64 v[179:180], v[179:180], v[181:182], v[179:180]
	v_mul_f64 v[181:182], v[183:184], v[179:180]
	v_fma_f64 v[177:178], -v[177:178], v[181:182], v[183:184]
	v_div_fmas_f64 v[177:178], v[177:178], v[179:180], v[181:182]
	v_div_fixup_f64 v[177:178], v[177:178], v[162:163], v[164:165]
	v_fma_f64 v[162:163], v[164:165], v[177:178], v[162:163]
	v_div_scale_f64 v[164:165], null, v[162:163], v[162:163], 1.0
	v_rcp_f64_e32 v[179:180], v[164:165]
	v_fma_f64 v[181:182], -v[164:165], v[179:180], 1.0
	v_fma_f64 v[179:180], v[179:180], v[181:182], v[179:180]
	v_fma_f64 v[181:182], -v[164:165], v[179:180], 1.0
	v_fma_f64 v[179:180], v[179:180], v[181:182], v[179:180]
	v_div_scale_f64 v[181:182], vcc_lo, 1.0, v[162:163], 1.0
	v_mul_f64 v[183:184], v[181:182], v[179:180]
	v_fma_f64 v[164:165], -v[164:165], v[183:184], v[181:182]
	v_div_fmas_f64 v[164:165], v[164:165], v[179:180], v[183:184]
	v_div_fixup_f64 v[162:163], v[164:165], v[162:163], 1.0
	v_mul_f64 v[164:165], v[177:178], -v[162:163]
.LBB78_534:
	s_or_b32 exec_lo, exec_lo, s1
.LBB78_535:
	s_or_b32 exec_lo, exec_lo, s0
	s_mov_b32 s0, exec_lo
	v_cmpx_ne_u32_e64 v176, v170
	s_xor_b32 s0, exec_lo, s0
	s_cbranch_execz .LBB78_541
; %bb.536:
	s_mov_b32 s1, exec_lo
	v_cmpx_eq_u32_e32 25, v176
	s_cbranch_execz .LBB78_540
; %bb.537:
	v_cmp_ne_u32_e32 vcc_lo, 25, v170
	s_xor_b32 s7, s16, -1
	s_and_b32 s9, s7, vcc_lo
	s_and_saveexec_b32 s7, s9
	s_cbranch_execz .LBB78_539
; %bb.538:
	v_ashrrev_i32_e32 v171, 31, v170
	v_lshlrev_b64 v[176:177], 2, v[170:171]
	v_add_co_u32 v176, vcc_lo, v168, v176
	v_add_co_ci_u32_e64 v177, null, v169, v177, vcc_lo
	s_clause 0x1
	global_load_dword v0, v[176:177], off
	global_load_dword v171, v[168:169], off offset:100
	s_waitcnt vmcnt(1)
	global_store_dword v[168:169], v0, off offset:100
	s_waitcnt vmcnt(0)
	global_store_dword v[176:177], v171, off
.LBB78_539:
	s_or_b32 exec_lo, exec_lo, s7
	v_mov_b32_e32 v176, v170
	v_mov_b32_e32 v0, v170
.LBB78_540:
	s_or_b32 exec_lo, exec_lo, s1
.LBB78_541:
	s_andn2_saveexec_b32 s0, s0
	s_cbranch_execz .LBB78_543
; %bb.542:
	v_mov_b32_e32 v176, 25
	ds_write2_b64 v1, v[50:51], v[52:53] offset0:52 offset1:53
	ds_write2_b64 v1, v[46:47], v[48:49] offset0:54 offset1:55
	;; [unrolled: 1-line block ×14, first 2 shown]
.LBB78_543:
	s_or_b32 exec_lo, exec_lo, s0
	s_mov_b32 s0, exec_lo
	s_waitcnt lgkmcnt(0)
	s_waitcnt_vscnt null, 0x0
	s_barrier
	buffer_gl0_inv
	v_cmpx_lt_i32_e32 25, v176
	s_cbranch_execz .LBB78_545
; %bb.544:
	v_mul_f64 v[170:171], v[162:163], v[44:45]
	v_mul_f64 v[44:45], v[164:165], v[44:45]
	v_fma_f64 v[170:171], v[164:165], v[42:43], v[170:171]
	v_fma_f64 v[42:43], v[162:163], v[42:43], -v[44:45]
	ds_read2_b64 v[162:165], v1 offset0:52 offset1:53
	s_waitcnt lgkmcnt(0)
	v_mul_f64 v[44:45], v[164:165], v[170:171]
	v_fma_f64 v[44:45], v[162:163], v[42:43], -v[44:45]
	v_mul_f64 v[162:163], v[162:163], v[170:171]
	v_add_f64 v[50:51], v[50:51], -v[44:45]
	v_fma_f64 v[162:163], v[164:165], v[42:43], v[162:163]
	v_add_f64 v[52:53], v[52:53], -v[162:163]
	ds_read2_b64 v[162:165], v1 offset0:54 offset1:55
	s_waitcnt lgkmcnt(0)
	v_mul_f64 v[44:45], v[164:165], v[170:171]
	v_fma_f64 v[44:45], v[162:163], v[42:43], -v[44:45]
	v_mul_f64 v[162:163], v[162:163], v[170:171]
	v_add_f64 v[46:47], v[46:47], -v[44:45]
	v_fma_f64 v[162:163], v[164:165], v[42:43], v[162:163]
	v_add_f64 v[48:49], v[48:49], -v[162:163]
	ds_read2_b64 v[162:165], v1 offset0:56 offset1:57
	s_waitcnt lgkmcnt(0)
	v_mul_f64 v[44:45], v[164:165], v[170:171]
	v_fma_f64 v[44:45], v[162:163], v[42:43], -v[44:45]
	v_mul_f64 v[162:163], v[162:163], v[170:171]
	v_add_f64 v[58:59], v[58:59], -v[44:45]
	v_fma_f64 v[162:163], v[164:165], v[42:43], v[162:163]
	v_add_f64 v[60:61], v[60:61], -v[162:163]
	ds_read2_b64 v[162:165], v1 offset0:58 offset1:59
	s_waitcnt lgkmcnt(0)
	v_mul_f64 v[44:45], v[164:165], v[170:171]
	v_fma_f64 v[44:45], v[162:163], v[42:43], -v[44:45]
	v_mul_f64 v[162:163], v[162:163], v[170:171]
	v_add_f64 v[54:55], v[54:55], -v[44:45]
	v_fma_f64 v[162:163], v[164:165], v[42:43], v[162:163]
	v_add_f64 v[56:57], v[56:57], -v[162:163]
	ds_read2_b64 v[162:165], v1 offset0:60 offset1:61
	s_waitcnt lgkmcnt(0)
	v_mul_f64 v[44:45], v[164:165], v[170:171]
	v_fma_f64 v[44:45], v[162:163], v[42:43], -v[44:45]
	v_mul_f64 v[162:163], v[162:163], v[170:171]
	v_add_f64 v[38:39], v[38:39], -v[44:45]
	v_fma_f64 v[162:163], v[164:165], v[42:43], v[162:163]
	v_add_f64 v[40:41], v[40:41], -v[162:163]
	ds_read2_b64 v[162:165], v1 offset0:62 offset1:63
	s_waitcnt lgkmcnt(0)
	v_mul_f64 v[44:45], v[164:165], v[170:171]
	v_fma_f64 v[44:45], v[162:163], v[42:43], -v[44:45]
	v_mul_f64 v[162:163], v[162:163], v[170:171]
	v_add_f64 v[34:35], v[34:35], -v[44:45]
	v_fma_f64 v[162:163], v[164:165], v[42:43], v[162:163]
	v_add_f64 v[36:37], v[36:37], -v[162:163]
	ds_read2_b64 v[162:165], v1 offset0:64 offset1:65
	s_waitcnt lgkmcnt(0)
	v_mul_f64 v[44:45], v[164:165], v[170:171]
	v_fma_f64 v[44:45], v[162:163], v[42:43], -v[44:45]
	v_mul_f64 v[162:163], v[162:163], v[170:171]
	v_add_f64 v[30:31], v[30:31], -v[44:45]
	v_fma_f64 v[162:163], v[164:165], v[42:43], v[162:163]
	v_add_f64 v[32:33], v[32:33], -v[162:163]
	ds_read2_b64 v[162:165], v1 offset0:66 offset1:67
	s_waitcnt lgkmcnt(0)
	v_mul_f64 v[44:45], v[164:165], v[170:171]
	v_fma_f64 v[44:45], v[162:163], v[42:43], -v[44:45]
	v_mul_f64 v[162:163], v[162:163], v[170:171]
	v_add_f64 v[26:27], v[26:27], -v[44:45]
	v_fma_f64 v[162:163], v[164:165], v[42:43], v[162:163]
	v_add_f64 v[28:29], v[28:29], -v[162:163]
	ds_read2_b64 v[162:165], v1 offset0:68 offset1:69
	s_waitcnt lgkmcnt(0)
	v_mul_f64 v[44:45], v[164:165], v[170:171]
	v_fma_f64 v[44:45], v[162:163], v[42:43], -v[44:45]
	v_mul_f64 v[162:163], v[162:163], v[170:171]
	v_add_f64 v[22:23], v[22:23], -v[44:45]
	v_fma_f64 v[162:163], v[164:165], v[42:43], v[162:163]
	v_add_f64 v[24:25], v[24:25], -v[162:163]
	ds_read2_b64 v[162:165], v1 offset0:70 offset1:71
	s_waitcnt lgkmcnt(0)
	v_mul_f64 v[44:45], v[164:165], v[170:171]
	v_fma_f64 v[44:45], v[162:163], v[42:43], -v[44:45]
	v_mul_f64 v[162:163], v[162:163], v[170:171]
	v_add_f64 v[18:19], v[18:19], -v[44:45]
	v_fma_f64 v[162:163], v[164:165], v[42:43], v[162:163]
	v_add_f64 v[20:21], v[20:21], -v[162:163]
	ds_read2_b64 v[162:165], v1 offset0:72 offset1:73
	s_waitcnt lgkmcnt(0)
	v_mul_f64 v[44:45], v[164:165], v[170:171]
	v_fma_f64 v[44:45], v[162:163], v[42:43], -v[44:45]
	v_mul_f64 v[162:163], v[162:163], v[170:171]
	v_add_f64 v[14:15], v[14:15], -v[44:45]
	v_fma_f64 v[162:163], v[164:165], v[42:43], v[162:163]
	v_add_f64 v[16:17], v[16:17], -v[162:163]
	ds_read2_b64 v[162:165], v1 offset0:74 offset1:75
	s_waitcnt lgkmcnt(0)
	v_mul_f64 v[44:45], v[164:165], v[170:171]
	v_fma_f64 v[44:45], v[162:163], v[42:43], -v[44:45]
	v_mul_f64 v[162:163], v[162:163], v[170:171]
	v_add_f64 v[10:11], v[10:11], -v[44:45]
	v_fma_f64 v[162:163], v[164:165], v[42:43], v[162:163]
	v_add_f64 v[12:13], v[12:13], -v[162:163]
	ds_read2_b64 v[162:165], v1 offset0:76 offset1:77
	s_waitcnt lgkmcnt(0)
	v_mul_f64 v[44:45], v[164:165], v[170:171]
	v_fma_f64 v[44:45], v[162:163], v[42:43], -v[44:45]
	v_mul_f64 v[162:163], v[162:163], v[170:171]
	v_add_f64 v[6:7], v[6:7], -v[44:45]
	v_fma_f64 v[162:163], v[164:165], v[42:43], v[162:163]
	v_add_f64 v[8:9], v[8:9], -v[162:163]
	ds_read2_b64 v[162:165], v1 offset0:78 offset1:79
	s_waitcnt lgkmcnt(0)
	v_mul_f64 v[44:45], v[164:165], v[170:171]
	v_fma_f64 v[44:45], v[162:163], v[42:43], -v[44:45]
	v_mul_f64 v[162:163], v[162:163], v[170:171]
	v_add_f64 v[2:3], v[2:3], -v[44:45]
	v_fma_f64 v[162:163], v[164:165], v[42:43], v[162:163]
	v_mov_b32_e32 v44, v170
	v_mov_b32_e32 v45, v171
	v_add_f64 v[4:5], v[4:5], -v[162:163]
.LBB78_545:
	s_or_b32 exec_lo, exec_lo, s0
	v_lshl_add_u32 v162, v176, 4, v1
	s_barrier
	buffer_gl0_inv
	v_mov_b32_e32 v170, 26
	ds_write2_b64 v162, v[50:51], v[52:53] offset1:1
	s_waitcnt lgkmcnt(0)
	s_barrier
	buffer_gl0_inv
	ds_read2_b64 v[162:165], v1 offset0:52 offset1:53
	s_cmp_lt_i32 s8, 28
	s_cbranch_scc1 .LBB78_548
; %bb.546:
	v_add3_u32 v171, v172, 0, 0x1b0
	v_mov_b32_e32 v170, 26
	s_mov_b32 s1, 27
	s_inst_prefetch 0x1
	.p2align	6
.LBB78_547:                             ; =>This Inner Loop Header: Depth=1
	s_waitcnt lgkmcnt(0)
	v_cmp_gt_f64_e32 vcc_lo, 0, v[164:165]
	v_cmp_gt_f64_e64 s0, 0, v[162:163]
	ds_read2_b64 v[177:180], v171 offset1:1
	v_xor_b32_e32 v182, 0x80000000, v163
	v_xor_b32_e32 v184, 0x80000000, v165
	v_mov_b32_e32 v181, v162
	v_mov_b32_e32 v183, v164
	v_add_nc_u32_e32 v171, 16, v171
	s_waitcnt lgkmcnt(0)
	v_xor_b32_e32 v186, 0x80000000, v180
	v_cndmask_b32_e64 v182, v163, v182, s0
	v_cndmask_b32_e32 v184, v165, v184, vcc_lo
	v_cmp_gt_f64_e32 vcc_lo, 0, v[179:180]
	v_cmp_gt_f64_e64 s0, 0, v[177:178]
	v_mov_b32_e32 v185, v179
	v_add_f64 v[181:182], v[181:182], v[183:184]
	v_xor_b32_e32 v184, 0x80000000, v178
	v_mov_b32_e32 v183, v177
	v_cndmask_b32_e32 v186, v180, v186, vcc_lo
	v_cndmask_b32_e64 v184, v178, v184, s0
	v_add_f64 v[183:184], v[183:184], v[185:186]
	v_cmp_lt_f64_e32 vcc_lo, v[181:182], v[183:184]
	v_cndmask_b32_e32 v163, v163, v178, vcc_lo
	v_cndmask_b32_e32 v162, v162, v177, vcc_lo
	;; [unrolled: 1-line block ×4, first 2 shown]
	v_cndmask_b32_e64 v170, v170, s1, vcc_lo
	s_add_i32 s1, s1, 1
	s_cmp_lg_u32 s8, s1
	s_cbranch_scc1 .LBB78_547
.LBB78_548:
	s_inst_prefetch 0x2
	s_waitcnt lgkmcnt(0)
	v_cmp_eq_f64_e32 vcc_lo, 0, v[162:163]
	v_cmp_eq_f64_e64 s0, 0, v[164:165]
	s_and_b32 s0, vcc_lo, s0
	s_and_saveexec_b32 s1, s0
	s_xor_b32 s0, exec_lo, s1
; %bb.549:
	v_cmp_ne_u32_e32 vcc_lo, 0, v175
	v_cndmask_b32_e32 v175, 27, v175, vcc_lo
; %bb.550:
	s_andn2_saveexec_b32 s0, s0
	s_cbranch_execz .LBB78_556
; %bb.551:
	v_cmp_ngt_f64_e64 s1, |v[162:163]|, |v[164:165]|
	s_and_saveexec_b32 s7, s1
	s_xor_b32 s1, exec_lo, s7
	s_cbranch_execz .LBB78_553
; %bb.552:
	v_div_scale_f64 v[177:178], null, v[164:165], v[164:165], v[162:163]
	v_div_scale_f64 v[183:184], vcc_lo, v[162:163], v[164:165], v[162:163]
	v_rcp_f64_e32 v[179:180], v[177:178]
	v_fma_f64 v[181:182], -v[177:178], v[179:180], 1.0
	v_fma_f64 v[179:180], v[179:180], v[181:182], v[179:180]
	v_fma_f64 v[181:182], -v[177:178], v[179:180], 1.0
	v_fma_f64 v[179:180], v[179:180], v[181:182], v[179:180]
	v_mul_f64 v[181:182], v[183:184], v[179:180]
	v_fma_f64 v[177:178], -v[177:178], v[181:182], v[183:184]
	v_div_fmas_f64 v[177:178], v[177:178], v[179:180], v[181:182]
	v_div_fixup_f64 v[177:178], v[177:178], v[164:165], v[162:163]
	v_fma_f64 v[162:163], v[162:163], v[177:178], v[164:165]
	v_div_scale_f64 v[164:165], null, v[162:163], v[162:163], 1.0
	v_rcp_f64_e32 v[179:180], v[164:165]
	v_fma_f64 v[181:182], -v[164:165], v[179:180], 1.0
	v_fma_f64 v[179:180], v[179:180], v[181:182], v[179:180]
	v_fma_f64 v[181:182], -v[164:165], v[179:180], 1.0
	v_fma_f64 v[179:180], v[179:180], v[181:182], v[179:180]
	v_div_scale_f64 v[181:182], vcc_lo, 1.0, v[162:163], 1.0
	v_mul_f64 v[183:184], v[181:182], v[179:180]
	v_fma_f64 v[164:165], -v[164:165], v[183:184], v[181:182]
	v_div_fmas_f64 v[164:165], v[164:165], v[179:180], v[183:184]
	v_div_fixup_f64 v[164:165], v[164:165], v[162:163], 1.0
	v_mul_f64 v[162:163], v[177:178], v[164:165]
	v_xor_b32_e32 v165, 0x80000000, v165
.LBB78_553:
	s_andn2_saveexec_b32 s1, s1
	s_cbranch_execz .LBB78_555
; %bb.554:
	v_div_scale_f64 v[177:178], null, v[162:163], v[162:163], v[164:165]
	v_div_scale_f64 v[183:184], vcc_lo, v[164:165], v[162:163], v[164:165]
	v_rcp_f64_e32 v[179:180], v[177:178]
	v_fma_f64 v[181:182], -v[177:178], v[179:180], 1.0
	v_fma_f64 v[179:180], v[179:180], v[181:182], v[179:180]
	v_fma_f64 v[181:182], -v[177:178], v[179:180], 1.0
	v_fma_f64 v[179:180], v[179:180], v[181:182], v[179:180]
	v_mul_f64 v[181:182], v[183:184], v[179:180]
	v_fma_f64 v[177:178], -v[177:178], v[181:182], v[183:184]
	v_div_fmas_f64 v[177:178], v[177:178], v[179:180], v[181:182]
	v_div_fixup_f64 v[177:178], v[177:178], v[162:163], v[164:165]
	v_fma_f64 v[162:163], v[164:165], v[177:178], v[162:163]
	v_div_scale_f64 v[164:165], null, v[162:163], v[162:163], 1.0
	v_rcp_f64_e32 v[179:180], v[164:165]
	v_fma_f64 v[181:182], -v[164:165], v[179:180], 1.0
	v_fma_f64 v[179:180], v[179:180], v[181:182], v[179:180]
	v_fma_f64 v[181:182], -v[164:165], v[179:180], 1.0
	v_fma_f64 v[179:180], v[179:180], v[181:182], v[179:180]
	v_div_scale_f64 v[181:182], vcc_lo, 1.0, v[162:163], 1.0
	v_mul_f64 v[183:184], v[181:182], v[179:180]
	v_fma_f64 v[164:165], -v[164:165], v[183:184], v[181:182]
	v_div_fmas_f64 v[164:165], v[164:165], v[179:180], v[183:184]
	v_div_fixup_f64 v[162:163], v[164:165], v[162:163], 1.0
	v_mul_f64 v[164:165], v[177:178], -v[162:163]
.LBB78_555:
	s_or_b32 exec_lo, exec_lo, s1
.LBB78_556:
	s_or_b32 exec_lo, exec_lo, s0
	s_mov_b32 s0, exec_lo
	v_cmpx_ne_u32_e64 v176, v170
	s_xor_b32 s0, exec_lo, s0
	s_cbranch_execz .LBB78_562
; %bb.557:
	s_mov_b32 s1, exec_lo
	v_cmpx_eq_u32_e32 26, v176
	s_cbranch_execz .LBB78_561
; %bb.558:
	v_cmp_ne_u32_e32 vcc_lo, 26, v170
	s_xor_b32 s7, s16, -1
	s_and_b32 s9, s7, vcc_lo
	s_and_saveexec_b32 s7, s9
	s_cbranch_execz .LBB78_560
; %bb.559:
	v_ashrrev_i32_e32 v171, 31, v170
	v_lshlrev_b64 v[176:177], 2, v[170:171]
	v_add_co_u32 v176, vcc_lo, v168, v176
	v_add_co_ci_u32_e64 v177, null, v169, v177, vcc_lo
	s_clause 0x1
	global_load_dword v0, v[176:177], off
	global_load_dword v171, v[168:169], off offset:104
	s_waitcnt vmcnt(1)
	global_store_dword v[168:169], v0, off offset:104
	s_waitcnt vmcnt(0)
	global_store_dword v[176:177], v171, off
.LBB78_560:
	s_or_b32 exec_lo, exec_lo, s7
	v_mov_b32_e32 v176, v170
	v_mov_b32_e32 v0, v170
.LBB78_561:
	s_or_b32 exec_lo, exec_lo, s1
.LBB78_562:
	s_andn2_saveexec_b32 s0, s0
	s_cbranch_execz .LBB78_564
; %bb.563:
	v_mov_b32_e32 v176, 26
	ds_write2_b64 v1, v[46:47], v[48:49] offset0:54 offset1:55
	ds_write2_b64 v1, v[58:59], v[60:61] offset0:56 offset1:57
	;; [unrolled: 1-line block ×13, first 2 shown]
.LBB78_564:
	s_or_b32 exec_lo, exec_lo, s0
	s_mov_b32 s0, exec_lo
	s_waitcnt lgkmcnt(0)
	s_waitcnt_vscnt null, 0x0
	s_barrier
	buffer_gl0_inv
	v_cmpx_lt_i32_e32 26, v176
	s_cbranch_execz .LBB78_566
; %bb.565:
	v_mul_f64 v[170:171], v[162:163], v[52:53]
	v_mul_f64 v[52:53], v[164:165], v[52:53]
	v_fma_f64 v[170:171], v[164:165], v[50:51], v[170:171]
	v_fma_f64 v[50:51], v[162:163], v[50:51], -v[52:53]
	ds_read2_b64 v[162:165], v1 offset0:54 offset1:55
	s_waitcnt lgkmcnt(0)
	v_mul_f64 v[52:53], v[164:165], v[170:171]
	v_fma_f64 v[52:53], v[162:163], v[50:51], -v[52:53]
	v_mul_f64 v[162:163], v[162:163], v[170:171]
	v_add_f64 v[46:47], v[46:47], -v[52:53]
	v_fma_f64 v[162:163], v[164:165], v[50:51], v[162:163]
	v_add_f64 v[48:49], v[48:49], -v[162:163]
	ds_read2_b64 v[162:165], v1 offset0:56 offset1:57
	s_waitcnt lgkmcnt(0)
	v_mul_f64 v[52:53], v[164:165], v[170:171]
	v_fma_f64 v[52:53], v[162:163], v[50:51], -v[52:53]
	v_mul_f64 v[162:163], v[162:163], v[170:171]
	v_add_f64 v[58:59], v[58:59], -v[52:53]
	v_fma_f64 v[162:163], v[164:165], v[50:51], v[162:163]
	v_add_f64 v[60:61], v[60:61], -v[162:163]
	;; [unrolled: 8-line block ×12, first 2 shown]
	ds_read2_b64 v[162:165], v1 offset0:78 offset1:79
	s_waitcnt lgkmcnt(0)
	v_mul_f64 v[52:53], v[164:165], v[170:171]
	v_fma_f64 v[52:53], v[162:163], v[50:51], -v[52:53]
	v_mul_f64 v[162:163], v[162:163], v[170:171]
	v_add_f64 v[2:3], v[2:3], -v[52:53]
	v_fma_f64 v[162:163], v[164:165], v[50:51], v[162:163]
	v_mov_b32_e32 v52, v170
	v_mov_b32_e32 v53, v171
	v_add_f64 v[4:5], v[4:5], -v[162:163]
.LBB78_566:
	s_or_b32 exec_lo, exec_lo, s0
	v_lshl_add_u32 v162, v176, 4, v1
	s_barrier
	buffer_gl0_inv
	v_mov_b32_e32 v170, 27
	ds_write2_b64 v162, v[46:47], v[48:49] offset1:1
	s_waitcnt lgkmcnt(0)
	s_barrier
	buffer_gl0_inv
	ds_read2_b64 v[162:165], v1 offset0:54 offset1:55
	s_cmp_lt_i32 s8, 29
	s_cbranch_scc1 .LBB78_569
; %bb.567:
	v_add3_u32 v171, v172, 0, 0x1c0
	v_mov_b32_e32 v170, 27
	s_mov_b32 s1, 28
	s_inst_prefetch 0x1
	.p2align	6
.LBB78_568:                             ; =>This Inner Loop Header: Depth=1
	s_waitcnt lgkmcnt(0)
	v_cmp_gt_f64_e32 vcc_lo, 0, v[164:165]
	v_cmp_gt_f64_e64 s0, 0, v[162:163]
	ds_read2_b64 v[177:180], v171 offset1:1
	v_xor_b32_e32 v182, 0x80000000, v163
	v_xor_b32_e32 v184, 0x80000000, v165
	v_mov_b32_e32 v181, v162
	v_mov_b32_e32 v183, v164
	v_add_nc_u32_e32 v171, 16, v171
	s_waitcnt lgkmcnt(0)
	v_xor_b32_e32 v186, 0x80000000, v180
	v_cndmask_b32_e64 v182, v163, v182, s0
	v_cndmask_b32_e32 v184, v165, v184, vcc_lo
	v_cmp_gt_f64_e32 vcc_lo, 0, v[179:180]
	v_cmp_gt_f64_e64 s0, 0, v[177:178]
	v_mov_b32_e32 v185, v179
	v_add_f64 v[181:182], v[181:182], v[183:184]
	v_xor_b32_e32 v184, 0x80000000, v178
	v_mov_b32_e32 v183, v177
	v_cndmask_b32_e32 v186, v180, v186, vcc_lo
	v_cndmask_b32_e64 v184, v178, v184, s0
	v_add_f64 v[183:184], v[183:184], v[185:186]
	v_cmp_lt_f64_e32 vcc_lo, v[181:182], v[183:184]
	v_cndmask_b32_e32 v163, v163, v178, vcc_lo
	v_cndmask_b32_e32 v162, v162, v177, vcc_lo
	;; [unrolled: 1-line block ×4, first 2 shown]
	v_cndmask_b32_e64 v170, v170, s1, vcc_lo
	s_add_i32 s1, s1, 1
	s_cmp_lg_u32 s8, s1
	s_cbranch_scc1 .LBB78_568
.LBB78_569:
	s_inst_prefetch 0x2
	s_waitcnt lgkmcnt(0)
	v_cmp_eq_f64_e32 vcc_lo, 0, v[162:163]
	v_cmp_eq_f64_e64 s0, 0, v[164:165]
	s_and_b32 s0, vcc_lo, s0
	s_and_saveexec_b32 s1, s0
	s_xor_b32 s0, exec_lo, s1
; %bb.570:
	v_cmp_ne_u32_e32 vcc_lo, 0, v175
	v_cndmask_b32_e32 v175, 28, v175, vcc_lo
; %bb.571:
	s_andn2_saveexec_b32 s0, s0
	s_cbranch_execz .LBB78_577
; %bb.572:
	v_cmp_ngt_f64_e64 s1, |v[162:163]|, |v[164:165]|
	s_and_saveexec_b32 s7, s1
	s_xor_b32 s1, exec_lo, s7
	s_cbranch_execz .LBB78_574
; %bb.573:
	v_div_scale_f64 v[177:178], null, v[164:165], v[164:165], v[162:163]
	v_div_scale_f64 v[183:184], vcc_lo, v[162:163], v[164:165], v[162:163]
	v_rcp_f64_e32 v[179:180], v[177:178]
	v_fma_f64 v[181:182], -v[177:178], v[179:180], 1.0
	v_fma_f64 v[179:180], v[179:180], v[181:182], v[179:180]
	v_fma_f64 v[181:182], -v[177:178], v[179:180], 1.0
	v_fma_f64 v[179:180], v[179:180], v[181:182], v[179:180]
	v_mul_f64 v[181:182], v[183:184], v[179:180]
	v_fma_f64 v[177:178], -v[177:178], v[181:182], v[183:184]
	v_div_fmas_f64 v[177:178], v[177:178], v[179:180], v[181:182]
	v_div_fixup_f64 v[177:178], v[177:178], v[164:165], v[162:163]
	v_fma_f64 v[162:163], v[162:163], v[177:178], v[164:165]
	v_div_scale_f64 v[164:165], null, v[162:163], v[162:163], 1.0
	v_rcp_f64_e32 v[179:180], v[164:165]
	v_fma_f64 v[181:182], -v[164:165], v[179:180], 1.0
	v_fma_f64 v[179:180], v[179:180], v[181:182], v[179:180]
	v_fma_f64 v[181:182], -v[164:165], v[179:180], 1.0
	v_fma_f64 v[179:180], v[179:180], v[181:182], v[179:180]
	v_div_scale_f64 v[181:182], vcc_lo, 1.0, v[162:163], 1.0
	v_mul_f64 v[183:184], v[181:182], v[179:180]
	v_fma_f64 v[164:165], -v[164:165], v[183:184], v[181:182]
	v_div_fmas_f64 v[164:165], v[164:165], v[179:180], v[183:184]
	v_div_fixup_f64 v[164:165], v[164:165], v[162:163], 1.0
	v_mul_f64 v[162:163], v[177:178], v[164:165]
	v_xor_b32_e32 v165, 0x80000000, v165
.LBB78_574:
	s_andn2_saveexec_b32 s1, s1
	s_cbranch_execz .LBB78_576
; %bb.575:
	v_div_scale_f64 v[177:178], null, v[162:163], v[162:163], v[164:165]
	v_div_scale_f64 v[183:184], vcc_lo, v[164:165], v[162:163], v[164:165]
	v_rcp_f64_e32 v[179:180], v[177:178]
	v_fma_f64 v[181:182], -v[177:178], v[179:180], 1.0
	v_fma_f64 v[179:180], v[179:180], v[181:182], v[179:180]
	v_fma_f64 v[181:182], -v[177:178], v[179:180], 1.0
	v_fma_f64 v[179:180], v[179:180], v[181:182], v[179:180]
	v_mul_f64 v[181:182], v[183:184], v[179:180]
	v_fma_f64 v[177:178], -v[177:178], v[181:182], v[183:184]
	v_div_fmas_f64 v[177:178], v[177:178], v[179:180], v[181:182]
	v_div_fixup_f64 v[177:178], v[177:178], v[162:163], v[164:165]
	v_fma_f64 v[162:163], v[164:165], v[177:178], v[162:163]
	v_div_scale_f64 v[164:165], null, v[162:163], v[162:163], 1.0
	v_rcp_f64_e32 v[179:180], v[164:165]
	v_fma_f64 v[181:182], -v[164:165], v[179:180], 1.0
	v_fma_f64 v[179:180], v[179:180], v[181:182], v[179:180]
	v_fma_f64 v[181:182], -v[164:165], v[179:180], 1.0
	v_fma_f64 v[179:180], v[179:180], v[181:182], v[179:180]
	v_div_scale_f64 v[181:182], vcc_lo, 1.0, v[162:163], 1.0
	v_mul_f64 v[183:184], v[181:182], v[179:180]
	v_fma_f64 v[164:165], -v[164:165], v[183:184], v[181:182]
	v_div_fmas_f64 v[164:165], v[164:165], v[179:180], v[183:184]
	v_div_fixup_f64 v[162:163], v[164:165], v[162:163], 1.0
	v_mul_f64 v[164:165], v[177:178], -v[162:163]
.LBB78_576:
	s_or_b32 exec_lo, exec_lo, s1
.LBB78_577:
	s_or_b32 exec_lo, exec_lo, s0
	s_mov_b32 s0, exec_lo
	v_cmpx_ne_u32_e64 v176, v170
	s_xor_b32 s0, exec_lo, s0
	s_cbranch_execz .LBB78_583
; %bb.578:
	s_mov_b32 s1, exec_lo
	v_cmpx_eq_u32_e32 27, v176
	s_cbranch_execz .LBB78_582
; %bb.579:
	v_cmp_ne_u32_e32 vcc_lo, 27, v170
	s_xor_b32 s7, s16, -1
	s_and_b32 s9, s7, vcc_lo
	s_and_saveexec_b32 s7, s9
	s_cbranch_execz .LBB78_581
; %bb.580:
	v_ashrrev_i32_e32 v171, 31, v170
	v_lshlrev_b64 v[176:177], 2, v[170:171]
	v_add_co_u32 v176, vcc_lo, v168, v176
	v_add_co_ci_u32_e64 v177, null, v169, v177, vcc_lo
	s_clause 0x1
	global_load_dword v0, v[176:177], off
	global_load_dword v171, v[168:169], off offset:108
	s_waitcnt vmcnt(1)
	global_store_dword v[168:169], v0, off offset:108
	s_waitcnt vmcnt(0)
	global_store_dword v[176:177], v171, off
.LBB78_581:
	s_or_b32 exec_lo, exec_lo, s7
	v_mov_b32_e32 v176, v170
	v_mov_b32_e32 v0, v170
.LBB78_582:
	s_or_b32 exec_lo, exec_lo, s1
.LBB78_583:
	s_andn2_saveexec_b32 s0, s0
	s_cbranch_execz .LBB78_585
; %bb.584:
	v_mov_b32_e32 v176, 27
	ds_write2_b64 v1, v[58:59], v[60:61] offset0:56 offset1:57
	ds_write2_b64 v1, v[54:55], v[56:57] offset0:58 offset1:59
	;; [unrolled: 1-line block ×12, first 2 shown]
.LBB78_585:
	s_or_b32 exec_lo, exec_lo, s0
	s_mov_b32 s0, exec_lo
	s_waitcnt lgkmcnt(0)
	s_waitcnt_vscnt null, 0x0
	s_barrier
	buffer_gl0_inv
	v_cmpx_lt_i32_e32 27, v176
	s_cbranch_execz .LBB78_587
; %bb.586:
	v_mul_f64 v[170:171], v[162:163], v[48:49]
	v_mul_f64 v[48:49], v[164:165], v[48:49]
	v_fma_f64 v[170:171], v[164:165], v[46:47], v[170:171]
	v_fma_f64 v[46:47], v[162:163], v[46:47], -v[48:49]
	ds_read2_b64 v[162:165], v1 offset0:56 offset1:57
	s_waitcnt lgkmcnt(0)
	v_mul_f64 v[48:49], v[164:165], v[170:171]
	v_fma_f64 v[48:49], v[162:163], v[46:47], -v[48:49]
	v_mul_f64 v[162:163], v[162:163], v[170:171]
	v_add_f64 v[58:59], v[58:59], -v[48:49]
	v_fma_f64 v[162:163], v[164:165], v[46:47], v[162:163]
	v_add_f64 v[60:61], v[60:61], -v[162:163]
	ds_read2_b64 v[162:165], v1 offset0:58 offset1:59
	s_waitcnt lgkmcnt(0)
	v_mul_f64 v[48:49], v[164:165], v[170:171]
	v_fma_f64 v[48:49], v[162:163], v[46:47], -v[48:49]
	v_mul_f64 v[162:163], v[162:163], v[170:171]
	v_add_f64 v[54:55], v[54:55], -v[48:49]
	v_fma_f64 v[162:163], v[164:165], v[46:47], v[162:163]
	v_add_f64 v[56:57], v[56:57], -v[162:163]
	;; [unrolled: 8-line block ×11, first 2 shown]
	ds_read2_b64 v[162:165], v1 offset0:78 offset1:79
	s_waitcnt lgkmcnt(0)
	v_mul_f64 v[48:49], v[164:165], v[170:171]
	v_fma_f64 v[48:49], v[162:163], v[46:47], -v[48:49]
	v_mul_f64 v[162:163], v[162:163], v[170:171]
	v_add_f64 v[2:3], v[2:3], -v[48:49]
	v_fma_f64 v[162:163], v[164:165], v[46:47], v[162:163]
	v_mov_b32_e32 v48, v170
	v_mov_b32_e32 v49, v171
	v_add_f64 v[4:5], v[4:5], -v[162:163]
.LBB78_587:
	s_or_b32 exec_lo, exec_lo, s0
	v_lshl_add_u32 v162, v176, 4, v1
	s_barrier
	buffer_gl0_inv
	v_mov_b32_e32 v170, 28
	ds_write2_b64 v162, v[58:59], v[60:61] offset1:1
	s_waitcnt lgkmcnt(0)
	s_barrier
	buffer_gl0_inv
	ds_read2_b64 v[162:165], v1 offset0:56 offset1:57
	s_cmp_lt_i32 s8, 30
	s_cbranch_scc1 .LBB78_590
; %bb.588:
	v_add3_u32 v171, v172, 0, 0x1d0
	v_mov_b32_e32 v170, 28
	s_mov_b32 s1, 29
	s_inst_prefetch 0x1
	.p2align	6
.LBB78_589:                             ; =>This Inner Loop Header: Depth=1
	s_waitcnt lgkmcnt(0)
	v_cmp_gt_f64_e32 vcc_lo, 0, v[164:165]
	v_cmp_gt_f64_e64 s0, 0, v[162:163]
	ds_read2_b64 v[177:180], v171 offset1:1
	v_xor_b32_e32 v182, 0x80000000, v163
	v_xor_b32_e32 v184, 0x80000000, v165
	v_mov_b32_e32 v181, v162
	v_mov_b32_e32 v183, v164
	v_add_nc_u32_e32 v171, 16, v171
	s_waitcnt lgkmcnt(0)
	v_xor_b32_e32 v186, 0x80000000, v180
	v_cndmask_b32_e64 v182, v163, v182, s0
	v_cndmask_b32_e32 v184, v165, v184, vcc_lo
	v_cmp_gt_f64_e32 vcc_lo, 0, v[179:180]
	v_cmp_gt_f64_e64 s0, 0, v[177:178]
	v_mov_b32_e32 v185, v179
	v_add_f64 v[181:182], v[181:182], v[183:184]
	v_xor_b32_e32 v184, 0x80000000, v178
	v_mov_b32_e32 v183, v177
	v_cndmask_b32_e32 v186, v180, v186, vcc_lo
	v_cndmask_b32_e64 v184, v178, v184, s0
	v_add_f64 v[183:184], v[183:184], v[185:186]
	v_cmp_lt_f64_e32 vcc_lo, v[181:182], v[183:184]
	v_cndmask_b32_e32 v163, v163, v178, vcc_lo
	v_cndmask_b32_e32 v162, v162, v177, vcc_lo
	;; [unrolled: 1-line block ×4, first 2 shown]
	v_cndmask_b32_e64 v170, v170, s1, vcc_lo
	s_add_i32 s1, s1, 1
	s_cmp_lg_u32 s8, s1
	s_cbranch_scc1 .LBB78_589
.LBB78_590:
	s_inst_prefetch 0x2
	s_waitcnt lgkmcnt(0)
	v_cmp_eq_f64_e32 vcc_lo, 0, v[162:163]
	v_cmp_eq_f64_e64 s0, 0, v[164:165]
	s_and_b32 s0, vcc_lo, s0
	s_and_saveexec_b32 s1, s0
	s_xor_b32 s0, exec_lo, s1
; %bb.591:
	v_cmp_ne_u32_e32 vcc_lo, 0, v175
	v_cndmask_b32_e32 v175, 29, v175, vcc_lo
; %bb.592:
	s_andn2_saveexec_b32 s0, s0
	s_cbranch_execz .LBB78_598
; %bb.593:
	v_cmp_ngt_f64_e64 s1, |v[162:163]|, |v[164:165]|
	s_and_saveexec_b32 s7, s1
	s_xor_b32 s1, exec_lo, s7
	s_cbranch_execz .LBB78_595
; %bb.594:
	v_div_scale_f64 v[177:178], null, v[164:165], v[164:165], v[162:163]
	v_div_scale_f64 v[183:184], vcc_lo, v[162:163], v[164:165], v[162:163]
	v_rcp_f64_e32 v[179:180], v[177:178]
	v_fma_f64 v[181:182], -v[177:178], v[179:180], 1.0
	v_fma_f64 v[179:180], v[179:180], v[181:182], v[179:180]
	v_fma_f64 v[181:182], -v[177:178], v[179:180], 1.0
	v_fma_f64 v[179:180], v[179:180], v[181:182], v[179:180]
	v_mul_f64 v[181:182], v[183:184], v[179:180]
	v_fma_f64 v[177:178], -v[177:178], v[181:182], v[183:184]
	v_div_fmas_f64 v[177:178], v[177:178], v[179:180], v[181:182]
	v_div_fixup_f64 v[177:178], v[177:178], v[164:165], v[162:163]
	v_fma_f64 v[162:163], v[162:163], v[177:178], v[164:165]
	v_div_scale_f64 v[164:165], null, v[162:163], v[162:163], 1.0
	v_rcp_f64_e32 v[179:180], v[164:165]
	v_fma_f64 v[181:182], -v[164:165], v[179:180], 1.0
	v_fma_f64 v[179:180], v[179:180], v[181:182], v[179:180]
	v_fma_f64 v[181:182], -v[164:165], v[179:180], 1.0
	v_fma_f64 v[179:180], v[179:180], v[181:182], v[179:180]
	v_div_scale_f64 v[181:182], vcc_lo, 1.0, v[162:163], 1.0
	v_mul_f64 v[183:184], v[181:182], v[179:180]
	v_fma_f64 v[164:165], -v[164:165], v[183:184], v[181:182]
	v_div_fmas_f64 v[164:165], v[164:165], v[179:180], v[183:184]
	v_div_fixup_f64 v[164:165], v[164:165], v[162:163], 1.0
	v_mul_f64 v[162:163], v[177:178], v[164:165]
	v_xor_b32_e32 v165, 0x80000000, v165
.LBB78_595:
	s_andn2_saveexec_b32 s1, s1
	s_cbranch_execz .LBB78_597
; %bb.596:
	v_div_scale_f64 v[177:178], null, v[162:163], v[162:163], v[164:165]
	v_div_scale_f64 v[183:184], vcc_lo, v[164:165], v[162:163], v[164:165]
	v_rcp_f64_e32 v[179:180], v[177:178]
	v_fma_f64 v[181:182], -v[177:178], v[179:180], 1.0
	v_fma_f64 v[179:180], v[179:180], v[181:182], v[179:180]
	v_fma_f64 v[181:182], -v[177:178], v[179:180], 1.0
	v_fma_f64 v[179:180], v[179:180], v[181:182], v[179:180]
	v_mul_f64 v[181:182], v[183:184], v[179:180]
	v_fma_f64 v[177:178], -v[177:178], v[181:182], v[183:184]
	v_div_fmas_f64 v[177:178], v[177:178], v[179:180], v[181:182]
	v_div_fixup_f64 v[177:178], v[177:178], v[162:163], v[164:165]
	v_fma_f64 v[162:163], v[164:165], v[177:178], v[162:163]
	v_div_scale_f64 v[164:165], null, v[162:163], v[162:163], 1.0
	v_rcp_f64_e32 v[179:180], v[164:165]
	v_fma_f64 v[181:182], -v[164:165], v[179:180], 1.0
	v_fma_f64 v[179:180], v[179:180], v[181:182], v[179:180]
	v_fma_f64 v[181:182], -v[164:165], v[179:180], 1.0
	v_fma_f64 v[179:180], v[179:180], v[181:182], v[179:180]
	v_div_scale_f64 v[181:182], vcc_lo, 1.0, v[162:163], 1.0
	v_mul_f64 v[183:184], v[181:182], v[179:180]
	v_fma_f64 v[164:165], -v[164:165], v[183:184], v[181:182]
	v_div_fmas_f64 v[164:165], v[164:165], v[179:180], v[183:184]
	v_div_fixup_f64 v[162:163], v[164:165], v[162:163], 1.0
	v_mul_f64 v[164:165], v[177:178], -v[162:163]
.LBB78_597:
	s_or_b32 exec_lo, exec_lo, s1
.LBB78_598:
	s_or_b32 exec_lo, exec_lo, s0
	s_mov_b32 s0, exec_lo
	v_cmpx_ne_u32_e64 v176, v170
	s_xor_b32 s0, exec_lo, s0
	s_cbranch_execz .LBB78_604
; %bb.599:
	s_mov_b32 s1, exec_lo
	v_cmpx_eq_u32_e32 28, v176
	s_cbranch_execz .LBB78_603
; %bb.600:
	v_cmp_ne_u32_e32 vcc_lo, 28, v170
	s_xor_b32 s7, s16, -1
	s_and_b32 s9, s7, vcc_lo
	s_and_saveexec_b32 s7, s9
	s_cbranch_execz .LBB78_602
; %bb.601:
	v_ashrrev_i32_e32 v171, 31, v170
	v_lshlrev_b64 v[176:177], 2, v[170:171]
	v_add_co_u32 v176, vcc_lo, v168, v176
	v_add_co_ci_u32_e64 v177, null, v169, v177, vcc_lo
	s_clause 0x1
	global_load_dword v0, v[176:177], off
	global_load_dword v171, v[168:169], off offset:112
	s_waitcnt vmcnt(1)
	global_store_dword v[168:169], v0, off offset:112
	s_waitcnt vmcnt(0)
	global_store_dword v[176:177], v171, off
.LBB78_602:
	s_or_b32 exec_lo, exec_lo, s7
	v_mov_b32_e32 v176, v170
	v_mov_b32_e32 v0, v170
.LBB78_603:
	s_or_b32 exec_lo, exec_lo, s1
.LBB78_604:
	s_andn2_saveexec_b32 s0, s0
	s_cbranch_execz .LBB78_606
; %bb.605:
	v_mov_b32_e32 v176, 28
	ds_write2_b64 v1, v[54:55], v[56:57] offset0:58 offset1:59
	ds_write2_b64 v1, v[38:39], v[40:41] offset0:60 offset1:61
	;; [unrolled: 1-line block ×11, first 2 shown]
.LBB78_606:
	s_or_b32 exec_lo, exec_lo, s0
	s_mov_b32 s0, exec_lo
	s_waitcnt lgkmcnt(0)
	s_waitcnt_vscnt null, 0x0
	s_barrier
	buffer_gl0_inv
	v_cmpx_lt_i32_e32 28, v176
	s_cbranch_execz .LBB78_608
; %bb.607:
	v_mul_f64 v[170:171], v[162:163], v[60:61]
	v_mul_f64 v[60:61], v[164:165], v[60:61]
	v_fma_f64 v[170:171], v[164:165], v[58:59], v[170:171]
	v_fma_f64 v[58:59], v[162:163], v[58:59], -v[60:61]
	ds_read2_b64 v[162:165], v1 offset0:58 offset1:59
	s_waitcnt lgkmcnt(0)
	v_mul_f64 v[60:61], v[164:165], v[170:171]
	v_fma_f64 v[60:61], v[162:163], v[58:59], -v[60:61]
	v_mul_f64 v[162:163], v[162:163], v[170:171]
	v_add_f64 v[54:55], v[54:55], -v[60:61]
	v_fma_f64 v[162:163], v[164:165], v[58:59], v[162:163]
	v_add_f64 v[56:57], v[56:57], -v[162:163]
	ds_read2_b64 v[162:165], v1 offset0:60 offset1:61
	s_waitcnt lgkmcnt(0)
	v_mul_f64 v[60:61], v[164:165], v[170:171]
	v_fma_f64 v[60:61], v[162:163], v[58:59], -v[60:61]
	v_mul_f64 v[162:163], v[162:163], v[170:171]
	v_add_f64 v[38:39], v[38:39], -v[60:61]
	v_fma_f64 v[162:163], v[164:165], v[58:59], v[162:163]
	v_add_f64 v[40:41], v[40:41], -v[162:163]
	;; [unrolled: 8-line block ×10, first 2 shown]
	ds_read2_b64 v[162:165], v1 offset0:78 offset1:79
	s_waitcnt lgkmcnt(0)
	v_mul_f64 v[60:61], v[164:165], v[170:171]
	v_fma_f64 v[60:61], v[162:163], v[58:59], -v[60:61]
	v_mul_f64 v[162:163], v[162:163], v[170:171]
	v_add_f64 v[2:3], v[2:3], -v[60:61]
	v_fma_f64 v[162:163], v[164:165], v[58:59], v[162:163]
	v_mov_b32_e32 v60, v170
	v_mov_b32_e32 v61, v171
	v_add_f64 v[4:5], v[4:5], -v[162:163]
.LBB78_608:
	s_or_b32 exec_lo, exec_lo, s0
	v_lshl_add_u32 v162, v176, 4, v1
	s_barrier
	buffer_gl0_inv
	v_mov_b32_e32 v170, 29
	ds_write2_b64 v162, v[54:55], v[56:57] offset1:1
	s_waitcnt lgkmcnt(0)
	s_barrier
	buffer_gl0_inv
	ds_read2_b64 v[162:165], v1 offset0:58 offset1:59
	s_cmp_lt_i32 s8, 31
	s_cbranch_scc1 .LBB78_611
; %bb.609:
	v_add3_u32 v171, v172, 0, 0x1e0
	v_mov_b32_e32 v170, 29
	s_mov_b32 s1, 30
	s_inst_prefetch 0x1
	.p2align	6
.LBB78_610:                             ; =>This Inner Loop Header: Depth=1
	s_waitcnt lgkmcnt(0)
	v_cmp_gt_f64_e32 vcc_lo, 0, v[164:165]
	v_cmp_gt_f64_e64 s0, 0, v[162:163]
	ds_read2_b64 v[177:180], v171 offset1:1
	v_xor_b32_e32 v182, 0x80000000, v163
	v_xor_b32_e32 v184, 0x80000000, v165
	v_mov_b32_e32 v181, v162
	v_mov_b32_e32 v183, v164
	v_add_nc_u32_e32 v171, 16, v171
	s_waitcnt lgkmcnt(0)
	v_xor_b32_e32 v186, 0x80000000, v180
	v_cndmask_b32_e64 v182, v163, v182, s0
	v_cndmask_b32_e32 v184, v165, v184, vcc_lo
	v_cmp_gt_f64_e32 vcc_lo, 0, v[179:180]
	v_cmp_gt_f64_e64 s0, 0, v[177:178]
	v_mov_b32_e32 v185, v179
	v_add_f64 v[181:182], v[181:182], v[183:184]
	v_xor_b32_e32 v184, 0x80000000, v178
	v_mov_b32_e32 v183, v177
	v_cndmask_b32_e32 v186, v180, v186, vcc_lo
	v_cndmask_b32_e64 v184, v178, v184, s0
	v_add_f64 v[183:184], v[183:184], v[185:186]
	v_cmp_lt_f64_e32 vcc_lo, v[181:182], v[183:184]
	v_cndmask_b32_e32 v163, v163, v178, vcc_lo
	v_cndmask_b32_e32 v162, v162, v177, vcc_lo
	v_cndmask_b32_e32 v165, v165, v180, vcc_lo
	v_cndmask_b32_e32 v164, v164, v179, vcc_lo
	v_cndmask_b32_e64 v170, v170, s1, vcc_lo
	s_add_i32 s1, s1, 1
	s_cmp_lg_u32 s8, s1
	s_cbranch_scc1 .LBB78_610
.LBB78_611:
	s_inst_prefetch 0x2
	s_waitcnt lgkmcnt(0)
	v_cmp_eq_f64_e32 vcc_lo, 0, v[162:163]
	v_cmp_eq_f64_e64 s0, 0, v[164:165]
	s_and_b32 s0, vcc_lo, s0
	s_and_saveexec_b32 s1, s0
	s_xor_b32 s0, exec_lo, s1
; %bb.612:
	v_cmp_ne_u32_e32 vcc_lo, 0, v175
	v_cndmask_b32_e32 v175, 30, v175, vcc_lo
; %bb.613:
	s_andn2_saveexec_b32 s0, s0
	s_cbranch_execz .LBB78_619
; %bb.614:
	v_cmp_ngt_f64_e64 s1, |v[162:163]|, |v[164:165]|
	s_and_saveexec_b32 s7, s1
	s_xor_b32 s1, exec_lo, s7
	s_cbranch_execz .LBB78_616
; %bb.615:
	v_div_scale_f64 v[177:178], null, v[164:165], v[164:165], v[162:163]
	v_div_scale_f64 v[183:184], vcc_lo, v[162:163], v[164:165], v[162:163]
	v_rcp_f64_e32 v[179:180], v[177:178]
	v_fma_f64 v[181:182], -v[177:178], v[179:180], 1.0
	v_fma_f64 v[179:180], v[179:180], v[181:182], v[179:180]
	v_fma_f64 v[181:182], -v[177:178], v[179:180], 1.0
	v_fma_f64 v[179:180], v[179:180], v[181:182], v[179:180]
	v_mul_f64 v[181:182], v[183:184], v[179:180]
	v_fma_f64 v[177:178], -v[177:178], v[181:182], v[183:184]
	v_div_fmas_f64 v[177:178], v[177:178], v[179:180], v[181:182]
	v_div_fixup_f64 v[177:178], v[177:178], v[164:165], v[162:163]
	v_fma_f64 v[162:163], v[162:163], v[177:178], v[164:165]
	v_div_scale_f64 v[164:165], null, v[162:163], v[162:163], 1.0
	v_rcp_f64_e32 v[179:180], v[164:165]
	v_fma_f64 v[181:182], -v[164:165], v[179:180], 1.0
	v_fma_f64 v[179:180], v[179:180], v[181:182], v[179:180]
	v_fma_f64 v[181:182], -v[164:165], v[179:180], 1.0
	v_fma_f64 v[179:180], v[179:180], v[181:182], v[179:180]
	v_div_scale_f64 v[181:182], vcc_lo, 1.0, v[162:163], 1.0
	v_mul_f64 v[183:184], v[181:182], v[179:180]
	v_fma_f64 v[164:165], -v[164:165], v[183:184], v[181:182]
	v_div_fmas_f64 v[164:165], v[164:165], v[179:180], v[183:184]
	v_div_fixup_f64 v[164:165], v[164:165], v[162:163], 1.0
	v_mul_f64 v[162:163], v[177:178], v[164:165]
	v_xor_b32_e32 v165, 0x80000000, v165
.LBB78_616:
	s_andn2_saveexec_b32 s1, s1
	s_cbranch_execz .LBB78_618
; %bb.617:
	v_div_scale_f64 v[177:178], null, v[162:163], v[162:163], v[164:165]
	v_div_scale_f64 v[183:184], vcc_lo, v[164:165], v[162:163], v[164:165]
	v_rcp_f64_e32 v[179:180], v[177:178]
	v_fma_f64 v[181:182], -v[177:178], v[179:180], 1.0
	v_fma_f64 v[179:180], v[179:180], v[181:182], v[179:180]
	v_fma_f64 v[181:182], -v[177:178], v[179:180], 1.0
	v_fma_f64 v[179:180], v[179:180], v[181:182], v[179:180]
	v_mul_f64 v[181:182], v[183:184], v[179:180]
	v_fma_f64 v[177:178], -v[177:178], v[181:182], v[183:184]
	v_div_fmas_f64 v[177:178], v[177:178], v[179:180], v[181:182]
	v_div_fixup_f64 v[177:178], v[177:178], v[162:163], v[164:165]
	v_fma_f64 v[162:163], v[164:165], v[177:178], v[162:163]
	v_div_scale_f64 v[164:165], null, v[162:163], v[162:163], 1.0
	v_rcp_f64_e32 v[179:180], v[164:165]
	v_fma_f64 v[181:182], -v[164:165], v[179:180], 1.0
	v_fma_f64 v[179:180], v[179:180], v[181:182], v[179:180]
	v_fma_f64 v[181:182], -v[164:165], v[179:180], 1.0
	v_fma_f64 v[179:180], v[179:180], v[181:182], v[179:180]
	v_div_scale_f64 v[181:182], vcc_lo, 1.0, v[162:163], 1.0
	v_mul_f64 v[183:184], v[181:182], v[179:180]
	v_fma_f64 v[164:165], -v[164:165], v[183:184], v[181:182]
	v_div_fmas_f64 v[164:165], v[164:165], v[179:180], v[183:184]
	v_div_fixup_f64 v[162:163], v[164:165], v[162:163], 1.0
	v_mul_f64 v[164:165], v[177:178], -v[162:163]
.LBB78_618:
	s_or_b32 exec_lo, exec_lo, s1
.LBB78_619:
	s_or_b32 exec_lo, exec_lo, s0
	s_mov_b32 s0, exec_lo
	v_cmpx_ne_u32_e64 v176, v170
	s_xor_b32 s0, exec_lo, s0
	s_cbranch_execz .LBB78_625
; %bb.620:
	s_mov_b32 s1, exec_lo
	v_cmpx_eq_u32_e32 29, v176
	s_cbranch_execz .LBB78_624
; %bb.621:
	v_cmp_ne_u32_e32 vcc_lo, 29, v170
	s_xor_b32 s7, s16, -1
	s_and_b32 s9, s7, vcc_lo
	s_and_saveexec_b32 s7, s9
	s_cbranch_execz .LBB78_623
; %bb.622:
	v_ashrrev_i32_e32 v171, 31, v170
	v_lshlrev_b64 v[176:177], 2, v[170:171]
	v_add_co_u32 v176, vcc_lo, v168, v176
	v_add_co_ci_u32_e64 v177, null, v169, v177, vcc_lo
	s_clause 0x1
	global_load_dword v0, v[176:177], off
	global_load_dword v171, v[168:169], off offset:116
	s_waitcnt vmcnt(1)
	global_store_dword v[168:169], v0, off offset:116
	s_waitcnt vmcnt(0)
	global_store_dword v[176:177], v171, off
.LBB78_623:
	s_or_b32 exec_lo, exec_lo, s7
	v_mov_b32_e32 v176, v170
	v_mov_b32_e32 v0, v170
.LBB78_624:
	s_or_b32 exec_lo, exec_lo, s1
.LBB78_625:
	s_andn2_saveexec_b32 s0, s0
	s_cbranch_execz .LBB78_627
; %bb.626:
	v_mov_b32_e32 v176, 29
	ds_write2_b64 v1, v[38:39], v[40:41] offset0:60 offset1:61
	ds_write2_b64 v1, v[34:35], v[36:37] offset0:62 offset1:63
	ds_write2_b64 v1, v[30:31], v[32:33] offset0:64 offset1:65
	ds_write2_b64 v1, v[26:27], v[28:29] offset0:66 offset1:67
	ds_write2_b64 v1, v[22:23], v[24:25] offset0:68 offset1:69
	ds_write2_b64 v1, v[18:19], v[20:21] offset0:70 offset1:71
	ds_write2_b64 v1, v[14:15], v[16:17] offset0:72 offset1:73
	ds_write2_b64 v1, v[10:11], v[12:13] offset0:74 offset1:75
	ds_write2_b64 v1, v[6:7], v[8:9] offset0:76 offset1:77
	ds_write2_b64 v1, v[2:3], v[4:5] offset0:78 offset1:79
.LBB78_627:
	s_or_b32 exec_lo, exec_lo, s0
	s_mov_b32 s0, exec_lo
	s_waitcnt lgkmcnt(0)
	s_waitcnt_vscnt null, 0x0
	s_barrier
	buffer_gl0_inv
	v_cmpx_lt_i32_e32 29, v176
	s_cbranch_execz .LBB78_629
; %bb.628:
	v_mul_f64 v[170:171], v[162:163], v[56:57]
	v_mul_f64 v[56:57], v[164:165], v[56:57]
	v_fma_f64 v[170:171], v[164:165], v[54:55], v[170:171]
	v_fma_f64 v[54:55], v[162:163], v[54:55], -v[56:57]
	ds_read2_b64 v[162:165], v1 offset0:60 offset1:61
	s_waitcnt lgkmcnt(0)
	v_mul_f64 v[56:57], v[164:165], v[170:171]
	v_fma_f64 v[56:57], v[162:163], v[54:55], -v[56:57]
	v_mul_f64 v[162:163], v[162:163], v[170:171]
	v_add_f64 v[38:39], v[38:39], -v[56:57]
	v_fma_f64 v[162:163], v[164:165], v[54:55], v[162:163]
	v_add_f64 v[40:41], v[40:41], -v[162:163]
	ds_read2_b64 v[162:165], v1 offset0:62 offset1:63
	s_waitcnt lgkmcnt(0)
	v_mul_f64 v[56:57], v[164:165], v[170:171]
	v_fma_f64 v[56:57], v[162:163], v[54:55], -v[56:57]
	v_mul_f64 v[162:163], v[162:163], v[170:171]
	v_add_f64 v[34:35], v[34:35], -v[56:57]
	v_fma_f64 v[162:163], v[164:165], v[54:55], v[162:163]
	v_add_f64 v[36:37], v[36:37], -v[162:163]
	;; [unrolled: 8-line block ×9, first 2 shown]
	ds_read2_b64 v[162:165], v1 offset0:78 offset1:79
	s_waitcnt lgkmcnt(0)
	v_mul_f64 v[56:57], v[164:165], v[170:171]
	v_fma_f64 v[56:57], v[162:163], v[54:55], -v[56:57]
	v_mul_f64 v[162:163], v[162:163], v[170:171]
	v_add_f64 v[2:3], v[2:3], -v[56:57]
	v_fma_f64 v[162:163], v[164:165], v[54:55], v[162:163]
	v_mov_b32_e32 v56, v170
	v_mov_b32_e32 v57, v171
	v_add_f64 v[4:5], v[4:5], -v[162:163]
.LBB78_629:
	s_or_b32 exec_lo, exec_lo, s0
	v_lshl_add_u32 v162, v176, 4, v1
	s_barrier
	buffer_gl0_inv
	v_mov_b32_e32 v170, 30
	ds_write2_b64 v162, v[38:39], v[40:41] offset1:1
	s_waitcnt lgkmcnt(0)
	s_barrier
	buffer_gl0_inv
	ds_read2_b64 v[162:165], v1 offset0:60 offset1:61
	s_cmp_lt_i32 s8, 32
	s_cbranch_scc1 .LBB78_632
; %bb.630:
	v_add3_u32 v171, v172, 0, 0x1f0
	v_mov_b32_e32 v170, 30
	s_mov_b32 s1, 31
	s_inst_prefetch 0x1
	.p2align	6
.LBB78_631:                             ; =>This Inner Loop Header: Depth=1
	s_waitcnt lgkmcnt(0)
	v_cmp_gt_f64_e32 vcc_lo, 0, v[164:165]
	v_cmp_gt_f64_e64 s0, 0, v[162:163]
	ds_read2_b64 v[177:180], v171 offset1:1
	v_xor_b32_e32 v182, 0x80000000, v163
	v_xor_b32_e32 v184, 0x80000000, v165
	v_mov_b32_e32 v181, v162
	v_mov_b32_e32 v183, v164
	v_add_nc_u32_e32 v171, 16, v171
	s_waitcnt lgkmcnt(0)
	v_xor_b32_e32 v186, 0x80000000, v180
	v_cndmask_b32_e64 v182, v163, v182, s0
	v_cndmask_b32_e32 v184, v165, v184, vcc_lo
	v_cmp_gt_f64_e32 vcc_lo, 0, v[179:180]
	v_cmp_gt_f64_e64 s0, 0, v[177:178]
	v_mov_b32_e32 v185, v179
	v_add_f64 v[181:182], v[181:182], v[183:184]
	v_xor_b32_e32 v184, 0x80000000, v178
	v_mov_b32_e32 v183, v177
	v_cndmask_b32_e32 v186, v180, v186, vcc_lo
	v_cndmask_b32_e64 v184, v178, v184, s0
	v_add_f64 v[183:184], v[183:184], v[185:186]
	v_cmp_lt_f64_e32 vcc_lo, v[181:182], v[183:184]
	v_cndmask_b32_e32 v163, v163, v178, vcc_lo
	v_cndmask_b32_e32 v162, v162, v177, vcc_lo
	;; [unrolled: 1-line block ×4, first 2 shown]
	v_cndmask_b32_e64 v170, v170, s1, vcc_lo
	s_add_i32 s1, s1, 1
	s_cmp_lg_u32 s8, s1
	s_cbranch_scc1 .LBB78_631
.LBB78_632:
	s_inst_prefetch 0x2
	s_waitcnt lgkmcnt(0)
	v_cmp_eq_f64_e32 vcc_lo, 0, v[162:163]
	v_cmp_eq_f64_e64 s0, 0, v[164:165]
	s_and_b32 s0, vcc_lo, s0
	s_and_saveexec_b32 s1, s0
	s_xor_b32 s0, exec_lo, s1
; %bb.633:
	v_cmp_ne_u32_e32 vcc_lo, 0, v175
	v_cndmask_b32_e32 v175, 31, v175, vcc_lo
; %bb.634:
	s_andn2_saveexec_b32 s0, s0
	s_cbranch_execz .LBB78_640
; %bb.635:
	v_cmp_ngt_f64_e64 s1, |v[162:163]|, |v[164:165]|
	s_and_saveexec_b32 s7, s1
	s_xor_b32 s1, exec_lo, s7
	s_cbranch_execz .LBB78_637
; %bb.636:
	v_div_scale_f64 v[177:178], null, v[164:165], v[164:165], v[162:163]
	v_div_scale_f64 v[183:184], vcc_lo, v[162:163], v[164:165], v[162:163]
	v_rcp_f64_e32 v[179:180], v[177:178]
	v_fma_f64 v[181:182], -v[177:178], v[179:180], 1.0
	v_fma_f64 v[179:180], v[179:180], v[181:182], v[179:180]
	v_fma_f64 v[181:182], -v[177:178], v[179:180], 1.0
	v_fma_f64 v[179:180], v[179:180], v[181:182], v[179:180]
	v_mul_f64 v[181:182], v[183:184], v[179:180]
	v_fma_f64 v[177:178], -v[177:178], v[181:182], v[183:184]
	v_div_fmas_f64 v[177:178], v[177:178], v[179:180], v[181:182]
	v_div_fixup_f64 v[177:178], v[177:178], v[164:165], v[162:163]
	v_fma_f64 v[162:163], v[162:163], v[177:178], v[164:165]
	v_div_scale_f64 v[164:165], null, v[162:163], v[162:163], 1.0
	v_rcp_f64_e32 v[179:180], v[164:165]
	v_fma_f64 v[181:182], -v[164:165], v[179:180], 1.0
	v_fma_f64 v[179:180], v[179:180], v[181:182], v[179:180]
	v_fma_f64 v[181:182], -v[164:165], v[179:180], 1.0
	v_fma_f64 v[179:180], v[179:180], v[181:182], v[179:180]
	v_div_scale_f64 v[181:182], vcc_lo, 1.0, v[162:163], 1.0
	v_mul_f64 v[183:184], v[181:182], v[179:180]
	v_fma_f64 v[164:165], -v[164:165], v[183:184], v[181:182]
	v_div_fmas_f64 v[164:165], v[164:165], v[179:180], v[183:184]
	v_div_fixup_f64 v[164:165], v[164:165], v[162:163], 1.0
	v_mul_f64 v[162:163], v[177:178], v[164:165]
	v_xor_b32_e32 v165, 0x80000000, v165
.LBB78_637:
	s_andn2_saveexec_b32 s1, s1
	s_cbranch_execz .LBB78_639
; %bb.638:
	v_div_scale_f64 v[177:178], null, v[162:163], v[162:163], v[164:165]
	v_div_scale_f64 v[183:184], vcc_lo, v[164:165], v[162:163], v[164:165]
	v_rcp_f64_e32 v[179:180], v[177:178]
	v_fma_f64 v[181:182], -v[177:178], v[179:180], 1.0
	v_fma_f64 v[179:180], v[179:180], v[181:182], v[179:180]
	v_fma_f64 v[181:182], -v[177:178], v[179:180], 1.0
	v_fma_f64 v[179:180], v[179:180], v[181:182], v[179:180]
	v_mul_f64 v[181:182], v[183:184], v[179:180]
	v_fma_f64 v[177:178], -v[177:178], v[181:182], v[183:184]
	v_div_fmas_f64 v[177:178], v[177:178], v[179:180], v[181:182]
	v_div_fixup_f64 v[177:178], v[177:178], v[162:163], v[164:165]
	v_fma_f64 v[162:163], v[164:165], v[177:178], v[162:163]
	v_div_scale_f64 v[164:165], null, v[162:163], v[162:163], 1.0
	v_rcp_f64_e32 v[179:180], v[164:165]
	v_fma_f64 v[181:182], -v[164:165], v[179:180], 1.0
	v_fma_f64 v[179:180], v[179:180], v[181:182], v[179:180]
	v_fma_f64 v[181:182], -v[164:165], v[179:180], 1.0
	v_fma_f64 v[179:180], v[179:180], v[181:182], v[179:180]
	v_div_scale_f64 v[181:182], vcc_lo, 1.0, v[162:163], 1.0
	v_mul_f64 v[183:184], v[181:182], v[179:180]
	v_fma_f64 v[164:165], -v[164:165], v[183:184], v[181:182]
	v_div_fmas_f64 v[164:165], v[164:165], v[179:180], v[183:184]
	v_div_fixup_f64 v[162:163], v[164:165], v[162:163], 1.0
	v_mul_f64 v[164:165], v[177:178], -v[162:163]
.LBB78_639:
	s_or_b32 exec_lo, exec_lo, s1
.LBB78_640:
	s_or_b32 exec_lo, exec_lo, s0
	s_mov_b32 s0, exec_lo
	v_cmpx_ne_u32_e64 v176, v170
	s_xor_b32 s0, exec_lo, s0
	s_cbranch_execz .LBB78_646
; %bb.641:
	s_mov_b32 s1, exec_lo
	v_cmpx_eq_u32_e32 30, v176
	s_cbranch_execz .LBB78_645
; %bb.642:
	v_cmp_ne_u32_e32 vcc_lo, 30, v170
	s_xor_b32 s7, s16, -1
	s_and_b32 s9, s7, vcc_lo
	s_and_saveexec_b32 s7, s9
	s_cbranch_execz .LBB78_644
; %bb.643:
	v_ashrrev_i32_e32 v171, 31, v170
	v_lshlrev_b64 v[176:177], 2, v[170:171]
	v_add_co_u32 v176, vcc_lo, v168, v176
	v_add_co_ci_u32_e64 v177, null, v169, v177, vcc_lo
	s_clause 0x1
	global_load_dword v0, v[176:177], off
	global_load_dword v171, v[168:169], off offset:120
	s_waitcnt vmcnt(1)
	global_store_dword v[168:169], v0, off offset:120
	s_waitcnt vmcnt(0)
	global_store_dword v[176:177], v171, off
.LBB78_644:
	s_or_b32 exec_lo, exec_lo, s7
	v_mov_b32_e32 v176, v170
	v_mov_b32_e32 v0, v170
.LBB78_645:
	s_or_b32 exec_lo, exec_lo, s1
.LBB78_646:
	s_andn2_saveexec_b32 s0, s0
	s_cbranch_execz .LBB78_648
; %bb.647:
	v_mov_b32_e32 v176, 30
	ds_write2_b64 v1, v[34:35], v[36:37] offset0:62 offset1:63
	ds_write2_b64 v1, v[30:31], v[32:33] offset0:64 offset1:65
	;; [unrolled: 1-line block ×9, first 2 shown]
.LBB78_648:
	s_or_b32 exec_lo, exec_lo, s0
	s_mov_b32 s0, exec_lo
	s_waitcnt lgkmcnt(0)
	s_waitcnt_vscnt null, 0x0
	s_barrier
	buffer_gl0_inv
	v_cmpx_lt_i32_e32 30, v176
	s_cbranch_execz .LBB78_650
; %bb.649:
	v_mul_f64 v[170:171], v[162:163], v[40:41]
	v_mul_f64 v[40:41], v[164:165], v[40:41]
	v_fma_f64 v[170:171], v[164:165], v[38:39], v[170:171]
	v_fma_f64 v[38:39], v[162:163], v[38:39], -v[40:41]
	ds_read2_b64 v[162:165], v1 offset0:62 offset1:63
	s_waitcnt lgkmcnt(0)
	v_mul_f64 v[40:41], v[164:165], v[170:171]
	v_fma_f64 v[40:41], v[162:163], v[38:39], -v[40:41]
	v_mul_f64 v[162:163], v[162:163], v[170:171]
	v_add_f64 v[34:35], v[34:35], -v[40:41]
	v_fma_f64 v[162:163], v[164:165], v[38:39], v[162:163]
	v_add_f64 v[36:37], v[36:37], -v[162:163]
	ds_read2_b64 v[162:165], v1 offset0:64 offset1:65
	s_waitcnt lgkmcnt(0)
	v_mul_f64 v[40:41], v[164:165], v[170:171]
	v_fma_f64 v[40:41], v[162:163], v[38:39], -v[40:41]
	v_mul_f64 v[162:163], v[162:163], v[170:171]
	v_add_f64 v[30:31], v[30:31], -v[40:41]
	v_fma_f64 v[162:163], v[164:165], v[38:39], v[162:163]
	v_add_f64 v[32:33], v[32:33], -v[162:163]
	;; [unrolled: 8-line block ×8, first 2 shown]
	ds_read2_b64 v[162:165], v1 offset0:78 offset1:79
	s_waitcnt lgkmcnt(0)
	v_mul_f64 v[40:41], v[164:165], v[170:171]
	v_fma_f64 v[40:41], v[162:163], v[38:39], -v[40:41]
	v_mul_f64 v[162:163], v[162:163], v[170:171]
	v_add_f64 v[2:3], v[2:3], -v[40:41]
	v_fma_f64 v[162:163], v[164:165], v[38:39], v[162:163]
	v_mov_b32_e32 v40, v170
	v_mov_b32_e32 v41, v171
	v_add_f64 v[4:5], v[4:5], -v[162:163]
.LBB78_650:
	s_or_b32 exec_lo, exec_lo, s0
	v_lshl_add_u32 v162, v176, 4, v1
	s_barrier
	buffer_gl0_inv
	v_mov_b32_e32 v170, 31
	ds_write2_b64 v162, v[34:35], v[36:37] offset1:1
	s_waitcnt lgkmcnt(0)
	s_barrier
	buffer_gl0_inv
	ds_read2_b64 v[162:165], v1 offset0:62 offset1:63
	s_cmp_lt_i32 s8, 33
	s_cbranch_scc1 .LBB78_653
; %bb.651:
	v_add3_u32 v171, v172, 0, 0x200
	v_mov_b32_e32 v170, 31
	s_mov_b32 s1, 32
	s_inst_prefetch 0x1
	.p2align	6
.LBB78_652:                             ; =>This Inner Loop Header: Depth=1
	s_waitcnt lgkmcnt(0)
	v_cmp_gt_f64_e32 vcc_lo, 0, v[164:165]
	v_cmp_gt_f64_e64 s0, 0, v[162:163]
	ds_read2_b64 v[177:180], v171 offset1:1
	v_xor_b32_e32 v182, 0x80000000, v163
	v_xor_b32_e32 v184, 0x80000000, v165
	v_mov_b32_e32 v181, v162
	v_mov_b32_e32 v183, v164
	v_add_nc_u32_e32 v171, 16, v171
	s_waitcnt lgkmcnt(0)
	v_xor_b32_e32 v186, 0x80000000, v180
	v_cndmask_b32_e64 v182, v163, v182, s0
	v_cndmask_b32_e32 v184, v165, v184, vcc_lo
	v_cmp_gt_f64_e32 vcc_lo, 0, v[179:180]
	v_cmp_gt_f64_e64 s0, 0, v[177:178]
	v_mov_b32_e32 v185, v179
	v_add_f64 v[181:182], v[181:182], v[183:184]
	v_xor_b32_e32 v184, 0x80000000, v178
	v_mov_b32_e32 v183, v177
	v_cndmask_b32_e32 v186, v180, v186, vcc_lo
	v_cndmask_b32_e64 v184, v178, v184, s0
	v_add_f64 v[183:184], v[183:184], v[185:186]
	v_cmp_lt_f64_e32 vcc_lo, v[181:182], v[183:184]
	v_cndmask_b32_e32 v163, v163, v178, vcc_lo
	v_cndmask_b32_e32 v162, v162, v177, vcc_lo
	;; [unrolled: 1-line block ×4, first 2 shown]
	v_cndmask_b32_e64 v170, v170, s1, vcc_lo
	s_add_i32 s1, s1, 1
	s_cmp_lg_u32 s8, s1
	s_cbranch_scc1 .LBB78_652
.LBB78_653:
	s_inst_prefetch 0x2
	s_waitcnt lgkmcnt(0)
	v_cmp_eq_f64_e32 vcc_lo, 0, v[162:163]
	v_cmp_eq_f64_e64 s0, 0, v[164:165]
	s_and_b32 s0, vcc_lo, s0
	s_and_saveexec_b32 s1, s0
	s_xor_b32 s0, exec_lo, s1
; %bb.654:
	v_cmp_ne_u32_e32 vcc_lo, 0, v175
	v_cndmask_b32_e32 v175, 32, v175, vcc_lo
; %bb.655:
	s_andn2_saveexec_b32 s0, s0
	s_cbranch_execz .LBB78_661
; %bb.656:
	v_cmp_ngt_f64_e64 s1, |v[162:163]|, |v[164:165]|
	s_and_saveexec_b32 s7, s1
	s_xor_b32 s1, exec_lo, s7
	s_cbranch_execz .LBB78_658
; %bb.657:
	v_div_scale_f64 v[177:178], null, v[164:165], v[164:165], v[162:163]
	v_div_scale_f64 v[183:184], vcc_lo, v[162:163], v[164:165], v[162:163]
	v_rcp_f64_e32 v[179:180], v[177:178]
	v_fma_f64 v[181:182], -v[177:178], v[179:180], 1.0
	v_fma_f64 v[179:180], v[179:180], v[181:182], v[179:180]
	v_fma_f64 v[181:182], -v[177:178], v[179:180], 1.0
	v_fma_f64 v[179:180], v[179:180], v[181:182], v[179:180]
	v_mul_f64 v[181:182], v[183:184], v[179:180]
	v_fma_f64 v[177:178], -v[177:178], v[181:182], v[183:184]
	v_div_fmas_f64 v[177:178], v[177:178], v[179:180], v[181:182]
	v_div_fixup_f64 v[177:178], v[177:178], v[164:165], v[162:163]
	v_fma_f64 v[162:163], v[162:163], v[177:178], v[164:165]
	v_div_scale_f64 v[164:165], null, v[162:163], v[162:163], 1.0
	v_rcp_f64_e32 v[179:180], v[164:165]
	v_fma_f64 v[181:182], -v[164:165], v[179:180], 1.0
	v_fma_f64 v[179:180], v[179:180], v[181:182], v[179:180]
	v_fma_f64 v[181:182], -v[164:165], v[179:180], 1.0
	v_fma_f64 v[179:180], v[179:180], v[181:182], v[179:180]
	v_div_scale_f64 v[181:182], vcc_lo, 1.0, v[162:163], 1.0
	v_mul_f64 v[183:184], v[181:182], v[179:180]
	v_fma_f64 v[164:165], -v[164:165], v[183:184], v[181:182]
	v_div_fmas_f64 v[164:165], v[164:165], v[179:180], v[183:184]
	v_div_fixup_f64 v[164:165], v[164:165], v[162:163], 1.0
	v_mul_f64 v[162:163], v[177:178], v[164:165]
	v_xor_b32_e32 v165, 0x80000000, v165
.LBB78_658:
	s_andn2_saveexec_b32 s1, s1
	s_cbranch_execz .LBB78_660
; %bb.659:
	v_div_scale_f64 v[177:178], null, v[162:163], v[162:163], v[164:165]
	v_div_scale_f64 v[183:184], vcc_lo, v[164:165], v[162:163], v[164:165]
	v_rcp_f64_e32 v[179:180], v[177:178]
	v_fma_f64 v[181:182], -v[177:178], v[179:180], 1.0
	v_fma_f64 v[179:180], v[179:180], v[181:182], v[179:180]
	v_fma_f64 v[181:182], -v[177:178], v[179:180], 1.0
	v_fma_f64 v[179:180], v[179:180], v[181:182], v[179:180]
	v_mul_f64 v[181:182], v[183:184], v[179:180]
	v_fma_f64 v[177:178], -v[177:178], v[181:182], v[183:184]
	v_div_fmas_f64 v[177:178], v[177:178], v[179:180], v[181:182]
	v_div_fixup_f64 v[177:178], v[177:178], v[162:163], v[164:165]
	v_fma_f64 v[162:163], v[164:165], v[177:178], v[162:163]
	v_div_scale_f64 v[164:165], null, v[162:163], v[162:163], 1.0
	v_rcp_f64_e32 v[179:180], v[164:165]
	v_fma_f64 v[181:182], -v[164:165], v[179:180], 1.0
	v_fma_f64 v[179:180], v[179:180], v[181:182], v[179:180]
	v_fma_f64 v[181:182], -v[164:165], v[179:180], 1.0
	v_fma_f64 v[179:180], v[179:180], v[181:182], v[179:180]
	v_div_scale_f64 v[181:182], vcc_lo, 1.0, v[162:163], 1.0
	v_mul_f64 v[183:184], v[181:182], v[179:180]
	v_fma_f64 v[164:165], -v[164:165], v[183:184], v[181:182]
	v_div_fmas_f64 v[164:165], v[164:165], v[179:180], v[183:184]
	v_div_fixup_f64 v[162:163], v[164:165], v[162:163], 1.0
	v_mul_f64 v[164:165], v[177:178], -v[162:163]
.LBB78_660:
	s_or_b32 exec_lo, exec_lo, s1
.LBB78_661:
	s_or_b32 exec_lo, exec_lo, s0
	s_mov_b32 s0, exec_lo
	v_cmpx_ne_u32_e64 v176, v170
	s_xor_b32 s0, exec_lo, s0
	s_cbranch_execz .LBB78_667
; %bb.662:
	s_mov_b32 s1, exec_lo
	v_cmpx_eq_u32_e32 31, v176
	s_cbranch_execz .LBB78_666
; %bb.663:
	v_cmp_ne_u32_e32 vcc_lo, 31, v170
	s_xor_b32 s7, s16, -1
	s_and_b32 s9, s7, vcc_lo
	s_and_saveexec_b32 s7, s9
	s_cbranch_execz .LBB78_665
; %bb.664:
	v_ashrrev_i32_e32 v171, 31, v170
	v_lshlrev_b64 v[176:177], 2, v[170:171]
	v_add_co_u32 v176, vcc_lo, v168, v176
	v_add_co_ci_u32_e64 v177, null, v169, v177, vcc_lo
	s_clause 0x1
	global_load_dword v0, v[176:177], off
	global_load_dword v171, v[168:169], off offset:124
	s_waitcnt vmcnt(1)
	global_store_dword v[168:169], v0, off offset:124
	s_waitcnt vmcnt(0)
	global_store_dword v[176:177], v171, off
.LBB78_665:
	s_or_b32 exec_lo, exec_lo, s7
	v_mov_b32_e32 v176, v170
	v_mov_b32_e32 v0, v170
.LBB78_666:
	s_or_b32 exec_lo, exec_lo, s1
.LBB78_667:
	s_andn2_saveexec_b32 s0, s0
	s_cbranch_execz .LBB78_669
; %bb.668:
	v_mov_b32_e32 v176, 31
	ds_write2_b64 v1, v[30:31], v[32:33] offset0:64 offset1:65
	ds_write2_b64 v1, v[26:27], v[28:29] offset0:66 offset1:67
	;; [unrolled: 1-line block ×8, first 2 shown]
.LBB78_669:
	s_or_b32 exec_lo, exec_lo, s0
	s_mov_b32 s0, exec_lo
	s_waitcnt lgkmcnt(0)
	s_waitcnt_vscnt null, 0x0
	s_barrier
	buffer_gl0_inv
	v_cmpx_lt_i32_e32 31, v176
	s_cbranch_execz .LBB78_671
; %bb.670:
	v_mul_f64 v[170:171], v[162:163], v[36:37]
	v_mul_f64 v[36:37], v[164:165], v[36:37]
	v_fma_f64 v[170:171], v[164:165], v[34:35], v[170:171]
	v_fma_f64 v[34:35], v[162:163], v[34:35], -v[36:37]
	ds_read2_b64 v[162:165], v1 offset0:64 offset1:65
	s_waitcnt lgkmcnt(0)
	v_mul_f64 v[36:37], v[164:165], v[170:171]
	v_fma_f64 v[36:37], v[162:163], v[34:35], -v[36:37]
	v_mul_f64 v[162:163], v[162:163], v[170:171]
	v_add_f64 v[30:31], v[30:31], -v[36:37]
	v_fma_f64 v[162:163], v[164:165], v[34:35], v[162:163]
	v_add_f64 v[32:33], v[32:33], -v[162:163]
	ds_read2_b64 v[162:165], v1 offset0:66 offset1:67
	s_waitcnt lgkmcnt(0)
	v_mul_f64 v[36:37], v[164:165], v[170:171]
	v_fma_f64 v[36:37], v[162:163], v[34:35], -v[36:37]
	v_mul_f64 v[162:163], v[162:163], v[170:171]
	v_add_f64 v[26:27], v[26:27], -v[36:37]
	v_fma_f64 v[162:163], v[164:165], v[34:35], v[162:163]
	v_add_f64 v[28:29], v[28:29], -v[162:163]
	;; [unrolled: 8-line block ×7, first 2 shown]
	ds_read2_b64 v[162:165], v1 offset0:78 offset1:79
	s_waitcnt lgkmcnt(0)
	v_mul_f64 v[36:37], v[164:165], v[170:171]
	v_fma_f64 v[36:37], v[162:163], v[34:35], -v[36:37]
	v_mul_f64 v[162:163], v[162:163], v[170:171]
	v_add_f64 v[2:3], v[2:3], -v[36:37]
	v_fma_f64 v[162:163], v[164:165], v[34:35], v[162:163]
	v_mov_b32_e32 v36, v170
	v_mov_b32_e32 v37, v171
	v_add_f64 v[4:5], v[4:5], -v[162:163]
.LBB78_671:
	s_or_b32 exec_lo, exec_lo, s0
	v_lshl_add_u32 v162, v176, 4, v1
	s_barrier
	buffer_gl0_inv
	v_mov_b32_e32 v170, 32
	ds_write2_b64 v162, v[30:31], v[32:33] offset1:1
	s_waitcnt lgkmcnt(0)
	s_barrier
	buffer_gl0_inv
	ds_read2_b64 v[162:165], v1 offset0:64 offset1:65
	s_cmp_lt_i32 s8, 34
	s_cbranch_scc1 .LBB78_674
; %bb.672:
	v_add3_u32 v171, v172, 0, 0x210
	v_mov_b32_e32 v170, 32
	s_mov_b32 s1, 33
	s_inst_prefetch 0x1
	.p2align	6
.LBB78_673:                             ; =>This Inner Loop Header: Depth=1
	s_waitcnt lgkmcnt(0)
	v_cmp_gt_f64_e32 vcc_lo, 0, v[164:165]
	v_cmp_gt_f64_e64 s0, 0, v[162:163]
	ds_read2_b64 v[177:180], v171 offset1:1
	v_xor_b32_e32 v182, 0x80000000, v163
	v_xor_b32_e32 v184, 0x80000000, v165
	v_mov_b32_e32 v181, v162
	v_mov_b32_e32 v183, v164
	v_add_nc_u32_e32 v171, 16, v171
	s_waitcnt lgkmcnt(0)
	v_xor_b32_e32 v186, 0x80000000, v180
	v_cndmask_b32_e64 v182, v163, v182, s0
	v_cndmask_b32_e32 v184, v165, v184, vcc_lo
	v_cmp_gt_f64_e32 vcc_lo, 0, v[179:180]
	v_cmp_gt_f64_e64 s0, 0, v[177:178]
	v_mov_b32_e32 v185, v179
	v_add_f64 v[181:182], v[181:182], v[183:184]
	v_xor_b32_e32 v184, 0x80000000, v178
	v_mov_b32_e32 v183, v177
	v_cndmask_b32_e32 v186, v180, v186, vcc_lo
	v_cndmask_b32_e64 v184, v178, v184, s0
	v_add_f64 v[183:184], v[183:184], v[185:186]
	v_cmp_lt_f64_e32 vcc_lo, v[181:182], v[183:184]
	v_cndmask_b32_e32 v163, v163, v178, vcc_lo
	v_cndmask_b32_e32 v162, v162, v177, vcc_lo
	;; [unrolled: 1-line block ×4, first 2 shown]
	v_cndmask_b32_e64 v170, v170, s1, vcc_lo
	s_add_i32 s1, s1, 1
	s_cmp_lg_u32 s8, s1
	s_cbranch_scc1 .LBB78_673
.LBB78_674:
	s_inst_prefetch 0x2
	s_waitcnt lgkmcnt(0)
	v_cmp_eq_f64_e32 vcc_lo, 0, v[162:163]
	v_cmp_eq_f64_e64 s0, 0, v[164:165]
	s_and_b32 s0, vcc_lo, s0
	s_and_saveexec_b32 s1, s0
	s_xor_b32 s0, exec_lo, s1
; %bb.675:
	v_cmp_ne_u32_e32 vcc_lo, 0, v175
	v_cndmask_b32_e32 v175, 33, v175, vcc_lo
; %bb.676:
	s_andn2_saveexec_b32 s0, s0
	s_cbranch_execz .LBB78_682
; %bb.677:
	v_cmp_ngt_f64_e64 s1, |v[162:163]|, |v[164:165]|
	s_and_saveexec_b32 s7, s1
	s_xor_b32 s1, exec_lo, s7
	s_cbranch_execz .LBB78_679
; %bb.678:
	v_div_scale_f64 v[177:178], null, v[164:165], v[164:165], v[162:163]
	v_div_scale_f64 v[183:184], vcc_lo, v[162:163], v[164:165], v[162:163]
	v_rcp_f64_e32 v[179:180], v[177:178]
	v_fma_f64 v[181:182], -v[177:178], v[179:180], 1.0
	v_fma_f64 v[179:180], v[179:180], v[181:182], v[179:180]
	v_fma_f64 v[181:182], -v[177:178], v[179:180], 1.0
	v_fma_f64 v[179:180], v[179:180], v[181:182], v[179:180]
	v_mul_f64 v[181:182], v[183:184], v[179:180]
	v_fma_f64 v[177:178], -v[177:178], v[181:182], v[183:184]
	v_div_fmas_f64 v[177:178], v[177:178], v[179:180], v[181:182]
	v_div_fixup_f64 v[177:178], v[177:178], v[164:165], v[162:163]
	v_fma_f64 v[162:163], v[162:163], v[177:178], v[164:165]
	v_div_scale_f64 v[164:165], null, v[162:163], v[162:163], 1.0
	v_rcp_f64_e32 v[179:180], v[164:165]
	v_fma_f64 v[181:182], -v[164:165], v[179:180], 1.0
	v_fma_f64 v[179:180], v[179:180], v[181:182], v[179:180]
	v_fma_f64 v[181:182], -v[164:165], v[179:180], 1.0
	v_fma_f64 v[179:180], v[179:180], v[181:182], v[179:180]
	v_div_scale_f64 v[181:182], vcc_lo, 1.0, v[162:163], 1.0
	v_mul_f64 v[183:184], v[181:182], v[179:180]
	v_fma_f64 v[164:165], -v[164:165], v[183:184], v[181:182]
	v_div_fmas_f64 v[164:165], v[164:165], v[179:180], v[183:184]
	v_div_fixup_f64 v[164:165], v[164:165], v[162:163], 1.0
	v_mul_f64 v[162:163], v[177:178], v[164:165]
	v_xor_b32_e32 v165, 0x80000000, v165
.LBB78_679:
	s_andn2_saveexec_b32 s1, s1
	s_cbranch_execz .LBB78_681
; %bb.680:
	v_div_scale_f64 v[177:178], null, v[162:163], v[162:163], v[164:165]
	v_div_scale_f64 v[183:184], vcc_lo, v[164:165], v[162:163], v[164:165]
	v_rcp_f64_e32 v[179:180], v[177:178]
	v_fma_f64 v[181:182], -v[177:178], v[179:180], 1.0
	v_fma_f64 v[179:180], v[179:180], v[181:182], v[179:180]
	v_fma_f64 v[181:182], -v[177:178], v[179:180], 1.0
	v_fma_f64 v[179:180], v[179:180], v[181:182], v[179:180]
	v_mul_f64 v[181:182], v[183:184], v[179:180]
	v_fma_f64 v[177:178], -v[177:178], v[181:182], v[183:184]
	v_div_fmas_f64 v[177:178], v[177:178], v[179:180], v[181:182]
	v_div_fixup_f64 v[177:178], v[177:178], v[162:163], v[164:165]
	v_fma_f64 v[162:163], v[164:165], v[177:178], v[162:163]
	v_div_scale_f64 v[164:165], null, v[162:163], v[162:163], 1.0
	v_rcp_f64_e32 v[179:180], v[164:165]
	v_fma_f64 v[181:182], -v[164:165], v[179:180], 1.0
	v_fma_f64 v[179:180], v[179:180], v[181:182], v[179:180]
	v_fma_f64 v[181:182], -v[164:165], v[179:180], 1.0
	v_fma_f64 v[179:180], v[179:180], v[181:182], v[179:180]
	v_div_scale_f64 v[181:182], vcc_lo, 1.0, v[162:163], 1.0
	v_mul_f64 v[183:184], v[181:182], v[179:180]
	v_fma_f64 v[164:165], -v[164:165], v[183:184], v[181:182]
	v_div_fmas_f64 v[164:165], v[164:165], v[179:180], v[183:184]
	v_div_fixup_f64 v[162:163], v[164:165], v[162:163], 1.0
	v_mul_f64 v[164:165], v[177:178], -v[162:163]
.LBB78_681:
	s_or_b32 exec_lo, exec_lo, s1
.LBB78_682:
	s_or_b32 exec_lo, exec_lo, s0
	s_mov_b32 s0, exec_lo
	v_cmpx_ne_u32_e64 v176, v170
	s_xor_b32 s0, exec_lo, s0
	s_cbranch_execz .LBB78_688
; %bb.683:
	s_mov_b32 s1, exec_lo
	v_cmpx_eq_u32_e32 32, v176
	s_cbranch_execz .LBB78_687
; %bb.684:
	v_cmp_ne_u32_e32 vcc_lo, 32, v170
	s_xor_b32 s7, s16, -1
	s_and_b32 s9, s7, vcc_lo
	s_and_saveexec_b32 s7, s9
	s_cbranch_execz .LBB78_686
; %bb.685:
	v_ashrrev_i32_e32 v171, 31, v170
	v_lshlrev_b64 v[176:177], 2, v[170:171]
	v_add_co_u32 v176, vcc_lo, v168, v176
	v_add_co_ci_u32_e64 v177, null, v169, v177, vcc_lo
	s_clause 0x1
	global_load_dword v0, v[176:177], off
	global_load_dword v171, v[168:169], off offset:128
	s_waitcnt vmcnt(1)
	global_store_dword v[168:169], v0, off offset:128
	s_waitcnt vmcnt(0)
	global_store_dword v[176:177], v171, off
.LBB78_686:
	s_or_b32 exec_lo, exec_lo, s7
	v_mov_b32_e32 v176, v170
	v_mov_b32_e32 v0, v170
.LBB78_687:
	s_or_b32 exec_lo, exec_lo, s1
.LBB78_688:
	s_andn2_saveexec_b32 s0, s0
	s_cbranch_execz .LBB78_690
; %bb.689:
	v_mov_b32_e32 v176, 32
	ds_write2_b64 v1, v[26:27], v[28:29] offset0:66 offset1:67
	ds_write2_b64 v1, v[22:23], v[24:25] offset0:68 offset1:69
	;; [unrolled: 1-line block ×7, first 2 shown]
.LBB78_690:
	s_or_b32 exec_lo, exec_lo, s0
	s_mov_b32 s0, exec_lo
	s_waitcnt lgkmcnt(0)
	s_waitcnt_vscnt null, 0x0
	s_barrier
	buffer_gl0_inv
	v_cmpx_lt_i32_e32 32, v176
	s_cbranch_execz .LBB78_692
; %bb.691:
	v_mul_f64 v[170:171], v[162:163], v[32:33]
	v_mul_f64 v[32:33], v[164:165], v[32:33]
	v_fma_f64 v[170:171], v[164:165], v[30:31], v[170:171]
	v_fma_f64 v[30:31], v[162:163], v[30:31], -v[32:33]
	ds_read2_b64 v[162:165], v1 offset0:66 offset1:67
	s_waitcnt lgkmcnt(0)
	v_mul_f64 v[32:33], v[164:165], v[170:171]
	v_fma_f64 v[32:33], v[162:163], v[30:31], -v[32:33]
	v_mul_f64 v[162:163], v[162:163], v[170:171]
	v_add_f64 v[26:27], v[26:27], -v[32:33]
	v_fma_f64 v[162:163], v[164:165], v[30:31], v[162:163]
	v_add_f64 v[28:29], v[28:29], -v[162:163]
	ds_read2_b64 v[162:165], v1 offset0:68 offset1:69
	s_waitcnt lgkmcnt(0)
	v_mul_f64 v[32:33], v[164:165], v[170:171]
	v_fma_f64 v[32:33], v[162:163], v[30:31], -v[32:33]
	v_mul_f64 v[162:163], v[162:163], v[170:171]
	v_add_f64 v[22:23], v[22:23], -v[32:33]
	v_fma_f64 v[162:163], v[164:165], v[30:31], v[162:163]
	v_add_f64 v[24:25], v[24:25], -v[162:163]
	;; [unrolled: 8-line block ×6, first 2 shown]
	ds_read2_b64 v[162:165], v1 offset0:78 offset1:79
	s_waitcnt lgkmcnt(0)
	v_mul_f64 v[32:33], v[164:165], v[170:171]
	v_fma_f64 v[32:33], v[162:163], v[30:31], -v[32:33]
	v_mul_f64 v[162:163], v[162:163], v[170:171]
	v_add_f64 v[2:3], v[2:3], -v[32:33]
	v_fma_f64 v[162:163], v[164:165], v[30:31], v[162:163]
	v_mov_b32_e32 v32, v170
	v_mov_b32_e32 v33, v171
	v_add_f64 v[4:5], v[4:5], -v[162:163]
.LBB78_692:
	s_or_b32 exec_lo, exec_lo, s0
	v_lshl_add_u32 v162, v176, 4, v1
	s_barrier
	buffer_gl0_inv
	v_mov_b32_e32 v170, 33
	ds_write2_b64 v162, v[26:27], v[28:29] offset1:1
	s_waitcnt lgkmcnt(0)
	s_barrier
	buffer_gl0_inv
	ds_read2_b64 v[162:165], v1 offset0:66 offset1:67
	s_cmp_lt_i32 s8, 35
	s_cbranch_scc1 .LBB78_695
; %bb.693:
	v_add3_u32 v171, v172, 0, 0x220
	v_mov_b32_e32 v170, 33
	s_mov_b32 s1, 34
	s_inst_prefetch 0x1
	.p2align	6
.LBB78_694:                             ; =>This Inner Loop Header: Depth=1
	s_waitcnt lgkmcnt(0)
	v_cmp_gt_f64_e32 vcc_lo, 0, v[164:165]
	v_cmp_gt_f64_e64 s0, 0, v[162:163]
	ds_read2_b64 v[177:180], v171 offset1:1
	v_xor_b32_e32 v182, 0x80000000, v163
	v_xor_b32_e32 v184, 0x80000000, v165
	v_mov_b32_e32 v181, v162
	v_mov_b32_e32 v183, v164
	v_add_nc_u32_e32 v171, 16, v171
	s_waitcnt lgkmcnt(0)
	v_xor_b32_e32 v186, 0x80000000, v180
	v_cndmask_b32_e64 v182, v163, v182, s0
	v_cndmask_b32_e32 v184, v165, v184, vcc_lo
	v_cmp_gt_f64_e32 vcc_lo, 0, v[179:180]
	v_cmp_gt_f64_e64 s0, 0, v[177:178]
	v_mov_b32_e32 v185, v179
	v_add_f64 v[181:182], v[181:182], v[183:184]
	v_xor_b32_e32 v184, 0x80000000, v178
	v_mov_b32_e32 v183, v177
	v_cndmask_b32_e32 v186, v180, v186, vcc_lo
	v_cndmask_b32_e64 v184, v178, v184, s0
	v_add_f64 v[183:184], v[183:184], v[185:186]
	v_cmp_lt_f64_e32 vcc_lo, v[181:182], v[183:184]
	v_cndmask_b32_e32 v163, v163, v178, vcc_lo
	v_cndmask_b32_e32 v162, v162, v177, vcc_lo
	;; [unrolled: 1-line block ×4, first 2 shown]
	v_cndmask_b32_e64 v170, v170, s1, vcc_lo
	s_add_i32 s1, s1, 1
	s_cmp_lg_u32 s8, s1
	s_cbranch_scc1 .LBB78_694
.LBB78_695:
	s_inst_prefetch 0x2
	s_waitcnt lgkmcnt(0)
	v_cmp_eq_f64_e32 vcc_lo, 0, v[162:163]
	v_cmp_eq_f64_e64 s0, 0, v[164:165]
	s_and_b32 s0, vcc_lo, s0
	s_and_saveexec_b32 s1, s0
	s_xor_b32 s0, exec_lo, s1
; %bb.696:
	v_cmp_ne_u32_e32 vcc_lo, 0, v175
	v_cndmask_b32_e32 v175, 34, v175, vcc_lo
; %bb.697:
	s_andn2_saveexec_b32 s0, s0
	s_cbranch_execz .LBB78_703
; %bb.698:
	v_cmp_ngt_f64_e64 s1, |v[162:163]|, |v[164:165]|
	s_and_saveexec_b32 s7, s1
	s_xor_b32 s1, exec_lo, s7
	s_cbranch_execz .LBB78_700
; %bb.699:
	v_div_scale_f64 v[177:178], null, v[164:165], v[164:165], v[162:163]
	v_div_scale_f64 v[183:184], vcc_lo, v[162:163], v[164:165], v[162:163]
	v_rcp_f64_e32 v[179:180], v[177:178]
	v_fma_f64 v[181:182], -v[177:178], v[179:180], 1.0
	v_fma_f64 v[179:180], v[179:180], v[181:182], v[179:180]
	v_fma_f64 v[181:182], -v[177:178], v[179:180], 1.0
	v_fma_f64 v[179:180], v[179:180], v[181:182], v[179:180]
	v_mul_f64 v[181:182], v[183:184], v[179:180]
	v_fma_f64 v[177:178], -v[177:178], v[181:182], v[183:184]
	v_div_fmas_f64 v[177:178], v[177:178], v[179:180], v[181:182]
	v_div_fixup_f64 v[177:178], v[177:178], v[164:165], v[162:163]
	v_fma_f64 v[162:163], v[162:163], v[177:178], v[164:165]
	v_div_scale_f64 v[164:165], null, v[162:163], v[162:163], 1.0
	v_rcp_f64_e32 v[179:180], v[164:165]
	v_fma_f64 v[181:182], -v[164:165], v[179:180], 1.0
	v_fma_f64 v[179:180], v[179:180], v[181:182], v[179:180]
	v_fma_f64 v[181:182], -v[164:165], v[179:180], 1.0
	v_fma_f64 v[179:180], v[179:180], v[181:182], v[179:180]
	v_div_scale_f64 v[181:182], vcc_lo, 1.0, v[162:163], 1.0
	v_mul_f64 v[183:184], v[181:182], v[179:180]
	v_fma_f64 v[164:165], -v[164:165], v[183:184], v[181:182]
	v_div_fmas_f64 v[164:165], v[164:165], v[179:180], v[183:184]
	v_div_fixup_f64 v[164:165], v[164:165], v[162:163], 1.0
	v_mul_f64 v[162:163], v[177:178], v[164:165]
	v_xor_b32_e32 v165, 0x80000000, v165
.LBB78_700:
	s_andn2_saveexec_b32 s1, s1
	s_cbranch_execz .LBB78_702
; %bb.701:
	v_div_scale_f64 v[177:178], null, v[162:163], v[162:163], v[164:165]
	v_div_scale_f64 v[183:184], vcc_lo, v[164:165], v[162:163], v[164:165]
	v_rcp_f64_e32 v[179:180], v[177:178]
	v_fma_f64 v[181:182], -v[177:178], v[179:180], 1.0
	v_fma_f64 v[179:180], v[179:180], v[181:182], v[179:180]
	v_fma_f64 v[181:182], -v[177:178], v[179:180], 1.0
	v_fma_f64 v[179:180], v[179:180], v[181:182], v[179:180]
	v_mul_f64 v[181:182], v[183:184], v[179:180]
	v_fma_f64 v[177:178], -v[177:178], v[181:182], v[183:184]
	v_div_fmas_f64 v[177:178], v[177:178], v[179:180], v[181:182]
	v_div_fixup_f64 v[177:178], v[177:178], v[162:163], v[164:165]
	v_fma_f64 v[162:163], v[164:165], v[177:178], v[162:163]
	v_div_scale_f64 v[164:165], null, v[162:163], v[162:163], 1.0
	v_rcp_f64_e32 v[179:180], v[164:165]
	v_fma_f64 v[181:182], -v[164:165], v[179:180], 1.0
	v_fma_f64 v[179:180], v[179:180], v[181:182], v[179:180]
	v_fma_f64 v[181:182], -v[164:165], v[179:180], 1.0
	v_fma_f64 v[179:180], v[179:180], v[181:182], v[179:180]
	v_div_scale_f64 v[181:182], vcc_lo, 1.0, v[162:163], 1.0
	v_mul_f64 v[183:184], v[181:182], v[179:180]
	v_fma_f64 v[164:165], -v[164:165], v[183:184], v[181:182]
	v_div_fmas_f64 v[164:165], v[164:165], v[179:180], v[183:184]
	v_div_fixup_f64 v[162:163], v[164:165], v[162:163], 1.0
	v_mul_f64 v[164:165], v[177:178], -v[162:163]
.LBB78_702:
	s_or_b32 exec_lo, exec_lo, s1
.LBB78_703:
	s_or_b32 exec_lo, exec_lo, s0
	s_mov_b32 s0, exec_lo
	v_cmpx_ne_u32_e64 v176, v170
	s_xor_b32 s0, exec_lo, s0
	s_cbranch_execz .LBB78_709
; %bb.704:
	s_mov_b32 s1, exec_lo
	v_cmpx_eq_u32_e32 33, v176
	s_cbranch_execz .LBB78_708
; %bb.705:
	v_cmp_ne_u32_e32 vcc_lo, 33, v170
	s_xor_b32 s7, s16, -1
	s_and_b32 s9, s7, vcc_lo
	s_and_saveexec_b32 s7, s9
	s_cbranch_execz .LBB78_707
; %bb.706:
	v_ashrrev_i32_e32 v171, 31, v170
	v_lshlrev_b64 v[176:177], 2, v[170:171]
	v_add_co_u32 v176, vcc_lo, v168, v176
	v_add_co_ci_u32_e64 v177, null, v169, v177, vcc_lo
	s_clause 0x1
	global_load_dword v0, v[176:177], off
	global_load_dword v171, v[168:169], off offset:132
	s_waitcnt vmcnt(1)
	global_store_dword v[168:169], v0, off offset:132
	s_waitcnt vmcnt(0)
	global_store_dword v[176:177], v171, off
.LBB78_707:
	s_or_b32 exec_lo, exec_lo, s7
	v_mov_b32_e32 v176, v170
	v_mov_b32_e32 v0, v170
.LBB78_708:
	s_or_b32 exec_lo, exec_lo, s1
.LBB78_709:
	s_andn2_saveexec_b32 s0, s0
	s_cbranch_execz .LBB78_711
; %bb.710:
	v_mov_b32_e32 v176, 33
	ds_write2_b64 v1, v[22:23], v[24:25] offset0:68 offset1:69
	ds_write2_b64 v1, v[18:19], v[20:21] offset0:70 offset1:71
	;; [unrolled: 1-line block ×6, first 2 shown]
.LBB78_711:
	s_or_b32 exec_lo, exec_lo, s0
	s_mov_b32 s0, exec_lo
	s_waitcnt lgkmcnt(0)
	s_waitcnt_vscnt null, 0x0
	s_barrier
	buffer_gl0_inv
	v_cmpx_lt_i32_e32 33, v176
	s_cbranch_execz .LBB78_713
; %bb.712:
	v_mul_f64 v[170:171], v[162:163], v[28:29]
	v_mul_f64 v[28:29], v[164:165], v[28:29]
	v_fma_f64 v[170:171], v[164:165], v[26:27], v[170:171]
	v_fma_f64 v[26:27], v[162:163], v[26:27], -v[28:29]
	ds_read2_b64 v[162:165], v1 offset0:68 offset1:69
	s_waitcnt lgkmcnt(0)
	v_mul_f64 v[28:29], v[164:165], v[170:171]
	v_fma_f64 v[28:29], v[162:163], v[26:27], -v[28:29]
	v_mul_f64 v[162:163], v[162:163], v[170:171]
	v_add_f64 v[22:23], v[22:23], -v[28:29]
	v_fma_f64 v[162:163], v[164:165], v[26:27], v[162:163]
	v_add_f64 v[24:25], v[24:25], -v[162:163]
	ds_read2_b64 v[162:165], v1 offset0:70 offset1:71
	s_waitcnt lgkmcnt(0)
	v_mul_f64 v[28:29], v[164:165], v[170:171]
	v_fma_f64 v[28:29], v[162:163], v[26:27], -v[28:29]
	v_mul_f64 v[162:163], v[162:163], v[170:171]
	v_add_f64 v[18:19], v[18:19], -v[28:29]
	v_fma_f64 v[162:163], v[164:165], v[26:27], v[162:163]
	v_add_f64 v[20:21], v[20:21], -v[162:163]
	;; [unrolled: 8-line block ×5, first 2 shown]
	ds_read2_b64 v[162:165], v1 offset0:78 offset1:79
	s_waitcnt lgkmcnt(0)
	v_mul_f64 v[28:29], v[164:165], v[170:171]
	v_fma_f64 v[28:29], v[162:163], v[26:27], -v[28:29]
	v_mul_f64 v[162:163], v[162:163], v[170:171]
	v_add_f64 v[2:3], v[2:3], -v[28:29]
	v_fma_f64 v[162:163], v[164:165], v[26:27], v[162:163]
	v_mov_b32_e32 v28, v170
	v_mov_b32_e32 v29, v171
	v_add_f64 v[4:5], v[4:5], -v[162:163]
.LBB78_713:
	s_or_b32 exec_lo, exec_lo, s0
	v_lshl_add_u32 v162, v176, 4, v1
	s_barrier
	buffer_gl0_inv
	v_mov_b32_e32 v170, 34
	ds_write2_b64 v162, v[22:23], v[24:25] offset1:1
	s_waitcnt lgkmcnt(0)
	s_barrier
	buffer_gl0_inv
	ds_read2_b64 v[162:165], v1 offset0:68 offset1:69
	s_cmp_lt_i32 s8, 36
	s_cbranch_scc1 .LBB78_716
; %bb.714:
	v_add3_u32 v171, v172, 0, 0x230
	v_mov_b32_e32 v170, 34
	s_mov_b32 s1, 35
	s_inst_prefetch 0x1
	.p2align	6
.LBB78_715:                             ; =>This Inner Loop Header: Depth=1
	s_waitcnt lgkmcnt(0)
	v_cmp_gt_f64_e32 vcc_lo, 0, v[164:165]
	v_cmp_gt_f64_e64 s0, 0, v[162:163]
	ds_read2_b64 v[177:180], v171 offset1:1
	v_xor_b32_e32 v182, 0x80000000, v163
	v_xor_b32_e32 v184, 0x80000000, v165
	v_mov_b32_e32 v181, v162
	v_mov_b32_e32 v183, v164
	v_add_nc_u32_e32 v171, 16, v171
	s_waitcnt lgkmcnt(0)
	v_xor_b32_e32 v186, 0x80000000, v180
	v_cndmask_b32_e64 v182, v163, v182, s0
	v_cndmask_b32_e32 v184, v165, v184, vcc_lo
	v_cmp_gt_f64_e32 vcc_lo, 0, v[179:180]
	v_cmp_gt_f64_e64 s0, 0, v[177:178]
	v_mov_b32_e32 v185, v179
	v_add_f64 v[181:182], v[181:182], v[183:184]
	v_xor_b32_e32 v184, 0x80000000, v178
	v_mov_b32_e32 v183, v177
	v_cndmask_b32_e32 v186, v180, v186, vcc_lo
	v_cndmask_b32_e64 v184, v178, v184, s0
	v_add_f64 v[183:184], v[183:184], v[185:186]
	v_cmp_lt_f64_e32 vcc_lo, v[181:182], v[183:184]
	v_cndmask_b32_e32 v163, v163, v178, vcc_lo
	v_cndmask_b32_e32 v162, v162, v177, vcc_lo
	;; [unrolled: 1-line block ×4, first 2 shown]
	v_cndmask_b32_e64 v170, v170, s1, vcc_lo
	s_add_i32 s1, s1, 1
	s_cmp_lg_u32 s8, s1
	s_cbranch_scc1 .LBB78_715
.LBB78_716:
	s_inst_prefetch 0x2
	s_waitcnt lgkmcnt(0)
	v_cmp_eq_f64_e32 vcc_lo, 0, v[162:163]
	v_cmp_eq_f64_e64 s0, 0, v[164:165]
	s_and_b32 s0, vcc_lo, s0
	s_and_saveexec_b32 s1, s0
	s_xor_b32 s0, exec_lo, s1
; %bb.717:
	v_cmp_ne_u32_e32 vcc_lo, 0, v175
	v_cndmask_b32_e32 v175, 35, v175, vcc_lo
; %bb.718:
	s_andn2_saveexec_b32 s0, s0
	s_cbranch_execz .LBB78_724
; %bb.719:
	v_cmp_ngt_f64_e64 s1, |v[162:163]|, |v[164:165]|
	s_and_saveexec_b32 s7, s1
	s_xor_b32 s1, exec_lo, s7
	s_cbranch_execz .LBB78_721
; %bb.720:
	v_div_scale_f64 v[177:178], null, v[164:165], v[164:165], v[162:163]
	v_div_scale_f64 v[183:184], vcc_lo, v[162:163], v[164:165], v[162:163]
	v_rcp_f64_e32 v[179:180], v[177:178]
	v_fma_f64 v[181:182], -v[177:178], v[179:180], 1.0
	v_fma_f64 v[179:180], v[179:180], v[181:182], v[179:180]
	v_fma_f64 v[181:182], -v[177:178], v[179:180], 1.0
	v_fma_f64 v[179:180], v[179:180], v[181:182], v[179:180]
	v_mul_f64 v[181:182], v[183:184], v[179:180]
	v_fma_f64 v[177:178], -v[177:178], v[181:182], v[183:184]
	v_div_fmas_f64 v[177:178], v[177:178], v[179:180], v[181:182]
	v_div_fixup_f64 v[177:178], v[177:178], v[164:165], v[162:163]
	v_fma_f64 v[162:163], v[162:163], v[177:178], v[164:165]
	v_div_scale_f64 v[164:165], null, v[162:163], v[162:163], 1.0
	v_rcp_f64_e32 v[179:180], v[164:165]
	v_fma_f64 v[181:182], -v[164:165], v[179:180], 1.0
	v_fma_f64 v[179:180], v[179:180], v[181:182], v[179:180]
	v_fma_f64 v[181:182], -v[164:165], v[179:180], 1.0
	v_fma_f64 v[179:180], v[179:180], v[181:182], v[179:180]
	v_div_scale_f64 v[181:182], vcc_lo, 1.0, v[162:163], 1.0
	v_mul_f64 v[183:184], v[181:182], v[179:180]
	v_fma_f64 v[164:165], -v[164:165], v[183:184], v[181:182]
	v_div_fmas_f64 v[164:165], v[164:165], v[179:180], v[183:184]
	v_div_fixup_f64 v[164:165], v[164:165], v[162:163], 1.0
	v_mul_f64 v[162:163], v[177:178], v[164:165]
	v_xor_b32_e32 v165, 0x80000000, v165
.LBB78_721:
	s_andn2_saveexec_b32 s1, s1
	s_cbranch_execz .LBB78_723
; %bb.722:
	v_div_scale_f64 v[177:178], null, v[162:163], v[162:163], v[164:165]
	v_div_scale_f64 v[183:184], vcc_lo, v[164:165], v[162:163], v[164:165]
	v_rcp_f64_e32 v[179:180], v[177:178]
	v_fma_f64 v[181:182], -v[177:178], v[179:180], 1.0
	v_fma_f64 v[179:180], v[179:180], v[181:182], v[179:180]
	v_fma_f64 v[181:182], -v[177:178], v[179:180], 1.0
	v_fma_f64 v[179:180], v[179:180], v[181:182], v[179:180]
	v_mul_f64 v[181:182], v[183:184], v[179:180]
	v_fma_f64 v[177:178], -v[177:178], v[181:182], v[183:184]
	v_div_fmas_f64 v[177:178], v[177:178], v[179:180], v[181:182]
	v_div_fixup_f64 v[177:178], v[177:178], v[162:163], v[164:165]
	v_fma_f64 v[162:163], v[164:165], v[177:178], v[162:163]
	v_div_scale_f64 v[164:165], null, v[162:163], v[162:163], 1.0
	v_rcp_f64_e32 v[179:180], v[164:165]
	v_fma_f64 v[181:182], -v[164:165], v[179:180], 1.0
	v_fma_f64 v[179:180], v[179:180], v[181:182], v[179:180]
	v_fma_f64 v[181:182], -v[164:165], v[179:180], 1.0
	v_fma_f64 v[179:180], v[179:180], v[181:182], v[179:180]
	v_div_scale_f64 v[181:182], vcc_lo, 1.0, v[162:163], 1.0
	v_mul_f64 v[183:184], v[181:182], v[179:180]
	v_fma_f64 v[164:165], -v[164:165], v[183:184], v[181:182]
	v_div_fmas_f64 v[164:165], v[164:165], v[179:180], v[183:184]
	v_div_fixup_f64 v[162:163], v[164:165], v[162:163], 1.0
	v_mul_f64 v[164:165], v[177:178], -v[162:163]
.LBB78_723:
	s_or_b32 exec_lo, exec_lo, s1
.LBB78_724:
	s_or_b32 exec_lo, exec_lo, s0
	s_mov_b32 s0, exec_lo
	v_cmpx_ne_u32_e64 v176, v170
	s_xor_b32 s0, exec_lo, s0
	s_cbranch_execz .LBB78_730
; %bb.725:
	s_mov_b32 s1, exec_lo
	v_cmpx_eq_u32_e32 34, v176
	s_cbranch_execz .LBB78_729
; %bb.726:
	v_cmp_ne_u32_e32 vcc_lo, 34, v170
	s_xor_b32 s7, s16, -1
	s_and_b32 s9, s7, vcc_lo
	s_and_saveexec_b32 s7, s9
	s_cbranch_execz .LBB78_728
; %bb.727:
	v_ashrrev_i32_e32 v171, 31, v170
	v_lshlrev_b64 v[176:177], 2, v[170:171]
	v_add_co_u32 v176, vcc_lo, v168, v176
	v_add_co_ci_u32_e64 v177, null, v169, v177, vcc_lo
	s_clause 0x1
	global_load_dword v0, v[176:177], off
	global_load_dword v171, v[168:169], off offset:136
	s_waitcnt vmcnt(1)
	global_store_dword v[168:169], v0, off offset:136
	s_waitcnt vmcnt(0)
	global_store_dword v[176:177], v171, off
.LBB78_728:
	s_or_b32 exec_lo, exec_lo, s7
	v_mov_b32_e32 v176, v170
	v_mov_b32_e32 v0, v170
.LBB78_729:
	s_or_b32 exec_lo, exec_lo, s1
.LBB78_730:
	s_andn2_saveexec_b32 s0, s0
	s_cbranch_execz .LBB78_732
; %bb.731:
	v_mov_b32_e32 v176, 34
	ds_write2_b64 v1, v[18:19], v[20:21] offset0:70 offset1:71
	ds_write2_b64 v1, v[14:15], v[16:17] offset0:72 offset1:73
	;; [unrolled: 1-line block ×5, first 2 shown]
.LBB78_732:
	s_or_b32 exec_lo, exec_lo, s0
	s_mov_b32 s0, exec_lo
	s_waitcnt lgkmcnt(0)
	s_waitcnt_vscnt null, 0x0
	s_barrier
	buffer_gl0_inv
	v_cmpx_lt_i32_e32 34, v176
	s_cbranch_execz .LBB78_734
; %bb.733:
	v_mul_f64 v[170:171], v[162:163], v[24:25]
	v_mul_f64 v[24:25], v[164:165], v[24:25]
	v_fma_f64 v[170:171], v[164:165], v[22:23], v[170:171]
	v_fma_f64 v[22:23], v[162:163], v[22:23], -v[24:25]
	ds_read2_b64 v[162:165], v1 offset0:70 offset1:71
	s_waitcnt lgkmcnt(0)
	v_mul_f64 v[24:25], v[164:165], v[170:171]
	v_fma_f64 v[24:25], v[162:163], v[22:23], -v[24:25]
	v_mul_f64 v[162:163], v[162:163], v[170:171]
	v_add_f64 v[18:19], v[18:19], -v[24:25]
	v_fma_f64 v[162:163], v[164:165], v[22:23], v[162:163]
	v_add_f64 v[20:21], v[20:21], -v[162:163]
	ds_read2_b64 v[162:165], v1 offset0:72 offset1:73
	s_waitcnt lgkmcnt(0)
	v_mul_f64 v[24:25], v[164:165], v[170:171]
	v_fma_f64 v[24:25], v[162:163], v[22:23], -v[24:25]
	v_mul_f64 v[162:163], v[162:163], v[170:171]
	v_add_f64 v[14:15], v[14:15], -v[24:25]
	v_fma_f64 v[162:163], v[164:165], v[22:23], v[162:163]
	v_add_f64 v[16:17], v[16:17], -v[162:163]
	;; [unrolled: 8-line block ×4, first 2 shown]
	ds_read2_b64 v[162:165], v1 offset0:78 offset1:79
	s_waitcnt lgkmcnt(0)
	v_mul_f64 v[24:25], v[164:165], v[170:171]
	v_fma_f64 v[24:25], v[162:163], v[22:23], -v[24:25]
	v_mul_f64 v[162:163], v[162:163], v[170:171]
	v_add_f64 v[2:3], v[2:3], -v[24:25]
	v_fma_f64 v[162:163], v[164:165], v[22:23], v[162:163]
	v_mov_b32_e32 v24, v170
	v_mov_b32_e32 v25, v171
	v_add_f64 v[4:5], v[4:5], -v[162:163]
.LBB78_734:
	s_or_b32 exec_lo, exec_lo, s0
	v_lshl_add_u32 v162, v176, 4, v1
	s_barrier
	buffer_gl0_inv
	v_mov_b32_e32 v170, 35
	ds_write2_b64 v162, v[18:19], v[20:21] offset1:1
	s_waitcnt lgkmcnt(0)
	s_barrier
	buffer_gl0_inv
	ds_read2_b64 v[162:165], v1 offset0:70 offset1:71
	s_cmp_lt_i32 s8, 37
	s_cbranch_scc1 .LBB78_737
; %bb.735:
	v_add3_u32 v171, v172, 0, 0x240
	v_mov_b32_e32 v170, 35
	s_mov_b32 s1, 36
	s_inst_prefetch 0x1
	.p2align	6
.LBB78_736:                             ; =>This Inner Loop Header: Depth=1
	s_waitcnt lgkmcnt(0)
	v_cmp_gt_f64_e32 vcc_lo, 0, v[164:165]
	v_cmp_gt_f64_e64 s0, 0, v[162:163]
	ds_read2_b64 v[177:180], v171 offset1:1
	v_xor_b32_e32 v182, 0x80000000, v163
	v_xor_b32_e32 v184, 0x80000000, v165
	v_mov_b32_e32 v181, v162
	v_mov_b32_e32 v183, v164
	v_add_nc_u32_e32 v171, 16, v171
	s_waitcnt lgkmcnt(0)
	v_xor_b32_e32 v186, 0x80000000, v180
	v_cndmask_b32_e64 v182, v163, v182, s0
	v_cndmask_b32_e32 v184, v165, v184, vcc_lo
	v_cmp_gt_f64_e32 vcc_lo, 0, v[179:180]
	v_cmp_gt_f64_e64 s0, 0, v[177:178]
	v_mov_b32_e32 v185, v179
	v_add_f64 v[181:182], v[181:182], v[183:184]
	v_xor_b32_e32 v184, 0x80000000, v178
	v_mov_b32_e32 v183, v177
	v_cndmask_b32_e32 v186, v180, v186, vcc_lo
	v_cndmask_b32_e64 v184, v178, v184, s0
	v_add_f64 v[183:184], v[183:184], v[185:186]
	v_cmp_lt_f64_e32 vcc_lo, v[181:182], v[183:184]
	v_cndmask_b32_e32 v163, v163, v178, vcc_lo
	v_cndmask_b32_e32 v162, v162, v177, vcc_lo
	;; [unrolled: 1-line block ×4, first 2 shown]
	v_cndmask_b32_e64 v170, v170, s1, vcc_lo
	s_add_i32 s1, s1, 1
	s_cmp_lg_u32 s8, s1
	s_cbranch_scc1 .LBB78_736
.LBB78_737:
	s_inst_prefetch 0x2
	s_waitcnt lgkmcnt(0)
	v_cmp_eq_f64_e32 vcc_lo, 0, v[162:163]
	v_cmp_eq_f64_e64 s0, 0, v[164:165]
	s_and_b32 s0, vcc_lo, s0
	s_and_saveexec_b32 s1, s0
	s_xor_b32 s0, exec_lo, s1
; %bb.738:
	v_cmp_ne_u32_e32 vcc_lo, 0, v175
	v_cndmask_b32_e32 v175, 36, v175, vcc_lo
; %bb.739:
	s_andn2_saveexec_b32 s0, s0
	s_cbranch_execz .LBB78_745
; %bb.740:
	v_cmp_ngt_f64_e64 s1, |v[162:163]|, |v[164:165]|
	s_and_saveexec_b32 s7, s1
	s_xor_b32 s1, exec_lo, s7
	s_cbranch_execz .LBB78_742
; %bb.741:
	v_div_scale_f64 v[177:178], null, v[164:165], v[164:165], v[162:163]
	v_div_scale_f64 v[183:184], vcc_lo, v[162:163], v[164:165], v[162:163]
	v_rcp_f64_e32 v[179:180], v[177:178]
	v_fma_f64 v[181:182], -v[177:178], v[179:180], 1.0
	v_fma_f64 v[179:180], v[179:180], v[181:182], v[179:180]
	v_fma_f64 v[181:182], -v[177:178], v[179:180], 1.0
	v_fma_f64 v[179:180], v[179:180], v[181:182], v[179:180]
	v_mul_f64 v[181:182], v[183:184], v[179:180]
	v_fma_f64 v[177:178], -v[177:178], v[181:182], v[183:184]
	v_div_fmas_f64 v[177:178], v[177:178], v[179:180], v[181:182]
	v_div_fixup_f64 v[177:178], v[177:178], v[164:165], v[162:163]
	v_fma_f64 v[162:163], v[162:163], v[177:178], v[164:165]
	v_div_scale_f64 v[164:165], null, v[162:163], v[162:163], 1.0
	v_rcp_f64_e32 v[179:180], v[164:165]
	v_fma_f64 v[181:182], -v[164:165], v[179:180], 1.0
	v_fma_f64 v[179:180], v[179:180], v[181:182], v[179:180]
	v_fma_f64 v[181:182], -v[164:165], v[179:180], 1.0
	v_fma_f64 v[179:180], v[179:180], v[181:182], v[179:180]
	v_div_scale_f64 v[181:182], vcc_lo, 1.0, v[162:163], 1.0
	v_mul_f64 v[183:184], v[181:182], v[179:180]
	v_fma_f64 v[164:165], -v[164:165], v[183:184], v[181:182]
	v_div_fmas_f64 v[164:165], v[164:165], v[179:180], v[183:184]
	v_div_fixup_f64 v[164:165], v[164:165], v[162:163], 1.0
	v_mul_f64 v[162:163], v[177:178], v[164:165]
	v_xor_b32_e32 v165, 0x80000000, v165
.LBB78_742:
	s_andn2_saveexec_b32 s1, s1
	s_cbranch_execz .LBB78_744
; %bb.743:
	v_div_scale_f64 v[177:178], null, v[162:163], v[162:163], v[164:165]
	v_div_scale_f64 v[183:184], vcc_lo, v[164:165], v[162:163], v[164:165]
	v_rcp_f64_e32 v[179:180], v[177:178]
	v_fma_f64 v[181:182], -v[177:178], v[179:180], 1.0
	v_fma_f64 v[179:180], v[179:180], v[181:182], v[179:180]
	v_fma_f64 v[181:182], -v[177:178], v[179:180], 1.0
	v_fma_f64 v[179:180], v[179:180], v[181:182], v[179:180]
	v_mul_f64 v[181:182], v[183:184], v[179:180]
	v_fma_f64 v[177:178], -v[177:178], v[181:182], v[183:184]
	v_div_fmas_f64 v[177:178], v[177:178], v[179:180], v[181:182]
	v_div_fixup_f64 v[177:178], v[177:178], v[162:163], v[164:165]
	v_fma_f64 v[162:163], v[164:165], v[177:178], v[162:163]
	v_div_scale_f64 v[164:165], null, v[162:163], v[162:163], 1.0
	v_rcp_f64_e32 v[179:180], v[164:165]
	v_fma_f64 v[181:182], -v[164:165], v[179:180], 1.0
	v_fma_f64 v[179:180], v[179:180], v[181:182], v[179:180]
	v_fma_f64 v[181:182], -v[164:165], v[179:180], 1.0
	v_fma_f64 v[179:180], v[179:180], v[181:182], v[179:180]
	v_div_scale_f64 v[181:182], vcc_lo, 1.0, v[162:163], 1.0
	v_mul_f64 v[183:184], v[181:182], v[179:180]
	v_fma_f64 v[164:165], -v[164:165], v[183:184], v[181:182]
	v_div_fmas_f64 v[164:165], v[164:165], v[179:180], v[183:184]
	v_div_fixup_f64 v[162:163], v[164:165], v[162:163], 1.0
	v_mul_f64 v[164:165], v[177:178], -v[162:163]
.LBB78_744:
	s_or_b32 exec_lo, exec_lo, s1
.LBB78_745:
	s_or_b32 exec_lo, exec_lo, s0
	s_mov_b32 s0, exec_lo
	v_cmpx_ne_u32_e64 v176, v170
	s_xor_b32 s0, exec_lo, s0
	s_cbranch_execz .LBB78_751
; %bb.746:
	s_mov_b32 s1, exec_lo
	v_cmpx_eq_u32_e32 35, v176
	s_cbranch_execz .LBB78_750
; %bb.747:
	v_cmp_ne_u32_e32 vcc_lo, 35, v170
	s_xor_b32 s7, s16, -1
	s_and_b32 s9, s7, vcc_lo
	s_and_saveexec_b32 s7, s9
	s_cbranch_execz .LBB78_749
; %bb.748:
	v_ashrrev_i32_e32 v171, 31, v170
	v_lshlrev_b64 v[176:177], 2, v[170:171]
	v_add_co_u32 v176, vcc_lo, v168, v176
	v_add_co_ci_u32_e64 v177, null, v169, v177, vcc_lo
	s_clause 0x1
	global_load_dword v0, v[176:177], off
	global_load_dword v171, v[168:169], off offset:140
	s_waitcnt vmcnt(1)
	global_store_dword v[168:169], v0, off offset:140
	s_waitcnt vmcnt(0)
	global_store_dword v[176:177], v171, off
.LBB78_749:
	s_or_b32 exec_lo, exec_lo, s7
	v_mov_b32_e32 v176, v170
	v_mov_b32_e32 v0, v170
.LBB78_750:
	s_or_b32 exec_lo, exec_lo, s1
.LBB78_751:
	s_andn2_saveexec_b32 s0, s0
	s_cbranch_execz .LBB78_753
; %bb.752:
	v_mov_b32_e32 v176, 35
	ds_write2_b64 v1, v[14:15], v[16:17] offset0:72 offset1:73
	ds_write2_b64 v1, v[10:11], v[12:13] offset0:74 offset1:75
	;; [unrolled: 1-line block ×4, first 2 shown]
.LBB78_753:
	s_or_b32 exec_lo, exec_lo, s0
	s_mov_b32 s0, exec_lo
	s_waitcnt lgkmcnt(0)
	s_waitcnt_vscnt null, 0x0
	s_barrier
	buffer_gl0_inv
	v_cmpx_lt_i32_e32 35, v176
	s_cbranch_execz .LBB78_755
; %bb.754:
	v_mul_f64 v[170:171], v[162:163], v[20:21]
	v_mul_f64 v[20:21], v[164:165], v[20:21]
	v_fma_f64 v[170:171], v[164:165], v[18:19], v[170:171]
	v_fma_f64 v[18:19], v[162:163], v[18:19], -v[20:21]
	ds_read2_b64 v[162:165], v1 offset0:72 offset1:73
	s_waitcnt lgkmcnt(0)
	v_mul_f64 v[20:21], v[164:165], v[170:171]
	v_fma_f64 v[20:21], v[162:163], v[18:19], -v[20:21]
	v_mul_f64 v[162:163], v[162:163], v[170:171]
	v_add_f64 v[14:15], v[14:15], -v[20:21]
	v_fma_f64 v[162:163], v[164:165], v[18:19], v[162:163]
	v_add_f64 v[16:17], v[16:17], -v[162:163]
	ds_read2_b64 v[162:165], v1 offset0:74 offset1:75
	s_waitcnt lgkmcnt(0)
	v_mul_f64 v[20:21], v[164:165], v[170:171]
	v_fma_f64 v[20:21], v[162:163], v[18:19], -v[20:21]
	v_mul_f64 v[162:163], v[162:163], v[170:171]
	v_add_f64 v[10:11], v[10:11], -v[20:21]
	v_fma_f64 v[162:163], v[164:165], v[18:19], v[162:163]
	v_add_f64 v[12:13], v[12:13], -v[162:163]
	;; [unrolled: 8-line block ×3, first 2 shown]
	ds_read2_b64 v[162:165], v1 offset0:78 offset1:79
	s_waitcnt lgkmcnt(0)
	v_mul_f64 v[20:21], v[164:165], v[170:171]
	v_fma_f64 v[20:21], v[162:163], v[18:19], -v[20:21]
	v_mul_f64 v[162:163], v[162:163], v[170:171]
	v_add_f64 v[2:3], v[2:3], -v[20:21]
	v_fma_f64 v[162:163], v[164:165], v[18:19], v[162:163]
	v_mov_b32_e32 v20, v170
	v_mov_b32_e32 v21, v171
	v_add_f64 v[4:5], v[4:5], -v[162:163]
.LBB78_755:
	s_or_b32 exec_lo, exec_lo, s0
	v_lshl_add_u32 v162, v176, 4, v1
	s_barrier
	buffer_gl0_inv
	v_mov_b32_e32 v170, 36
	ds_write2_b64 v162, v[14:15], v[16:17] offset1:1
	s_waitcnt lgkmcnt(0)
	s_barrier
	buffer_gl0_inv
	ds_read2_b64 v[162:165], v1 offset0:72 offset1:73
	s_cmp_lt_i32 s8, 38
	s_cbranch_scc1 .LBB78_758
; %bb.756:
	v_add3_u32 v171, v172, 0, 0x250
	v_mov_b32_e32 v170, 36
	s_mov_b32 s1, 37
	s_inst_prefetch 0x1
	.p2align	6
.LBB78_757:                             ; =>This Inner Loop Header: Depth=1
	s_waitcnt lgkmcnt(0)
	v_cmp_gt_f64_e32 vcc_lo, 0, v[164:165]
	v_cmp_gt_f64_e64 s0, 0, v[162:163]
	ds_read2_b64 v[177:180], v171 offset1:1
	v_xor_b32_e32 v182, 0x80000000, v163
	v_xor_b32_e32 v184, 0x80000000, v165
	v_mov_b32_e32 v181, v162
	v_mov_b32_e32 v183, v164
	v_add_nc_u32_e32 v171, 16, v171
	s_waitcnt lgkmcnt(0)
	v_xor_b32_e32 v186, 0x80000000, v180
	v_cndmask_b32_e64 v182, v163, v182, s0
	v_cndmask_b32_e32 v184, v165, v184, vcc_lo
	v_cmp_gt_f64_e32 vcc_lo, 0, v[179:180]
	v_cmp_gt_f64_e64 s0, 0, v[177:178]
	v_mov_b32_e32 v185, v179
	v_add_f64 v[181:182], v[181:182], v[183:184]
	v_xor_b32_e32 v184, 0x80000000, v178
	v_mov_b32_e32 v183, v177
	v_cndmask_b32_e32 v186, v180, v186, vcc_lo
	v_cndmask_b32_e64 v184, v178, v184, s0
	v_add_f64 v[183:184], v[183:184], v[185:186]
	v_cmp_lt_f64_e32 vcc_lo, v[181:182], v[183:184]
	v_cndmask_b32_e32 v163, v163, v178, vcc_lo
	v_cndmask_b32_e32 v162, v162, v177, vcc_lo
	;; [unrolled: 1-line block ×4, first 2 shown]
	v_cndmask_b32_e64 v170, v170, s1, vcc_lo
	s_add_i32 s1, s1, 1
	s_cmp_lg_u32 s8, s1
	s_cbranch_scc1 .LBB78_757
.LBB78_758:
	s_inst_prefetch 0x2
	s_waitcnt lgkmcnt(0)
	v_cmp_eq_f64_e32 vcc_lo, 0, v[162:163]
	v_cmp_eq_f64_e64 s0, 0, v[164:165]
	s_and_b32 s0, vcc_lo, s0
	s_and_saveexec_b32 s1, s0
	s_xor_b32 s0, exec_lo, s1
; %bb.759:
	v_cmp_ne_u32_e32 vcc_lo, 0, v175
	v_cndmask_b32_e32 v175, 37, v175, vcc_lo
; %bb.760:
	s_andn2_saveexec_b32 s0, s0
	s_cbranch_execz .LBB78_766
; %bb.761:
	v_cmp_ngt_f64_e64 s1, |v[162:163]|, |v[164:165]|
	s_and_saveexec_b32 s7, s1
	s_xor_b32 s1, exec_lo, s7
	s_cbranch_execz .LBB78_763
; %bb.762:
	v_div_scale_f64 v[177:178], null, v[164:165], v[164:165], v[162:163]
	v_div_scale_f64 v[183:184], vcc_lo, v[162:163], v[164:165], v[162:163]
	v_rcp_f64_e32 v[179:180], v[177:178]
	v_fma_f64 v[181:182], -v[177:178], v[179:180], 1.0
	v_fma_f64 v[179:180], v[179:180], v[181:182], v[179:180]
	v_fma_f64 v[181:182], -v[177:178], v[179:180], 1.0
	v_fma_f64 v[179:180], v[179:180], v[181:182], v[179:180]
	v_mul_f64 v[181:182], v[183:184], v[179:180]
	v_fma_f64 v[177:178], -v[177:178], v[181:182], v[183:184]
	v_div_fmas_f64 v[177:178], v[177:178], v[179:180], v[181:182]
	v_div_fixup_f64 v[177:178], v[177:178], v[164:165], v[162:163]
	v_fma_f64 v[162:163], v[162:163], v[177:178], v[164:165]
	v_div_scale_f64 v[164:165], null, v[162:163], v[162:163], 1.0
	v_rcp_f64_e32 v[179:180], v[164:165]
	v_fma_f64 v[181:182], -v[164:165], v[179:180], 1.0
	v_fma_f64 v[179:180], v[179:180], v[181:182], v[179:180]
	v_fma_f64 v[181:182], -v[164:165], v[179:180], 1.0
	v_fma_f64 v[179:180], v[179:180], v[181:182], v[179:180]
	v_div_scale_f64 v[181:182], vcc_lo, 1.0, v[162:163], 1.0
	v_mul_f64 v[183:184], v[181:182], v[179:180]
	v_fma_f64 v[164:165], -v[164:165], v[183:184], v[181:182]
	v_div_fmas_f64 v[164:165], v[164:165], v[179:180], v[183:184]
	v_div_fixup_f64 v[164:165], v[164:165], v[162:163], 1.0
	v_mul_f64 v[162:163], v[177:178], v[164:165]
	v_xor_b32_e32 v165, 0x80000000, v165
.LBB78_763:
	s_andn2_saveexec_b32 s1, s1
	s_cbranch_execz .LBB78_765
; %bb.764:
	v_div_scale_f64 v[177:178], null, v[162:163], v[162:163], v[164:165]
	v_div_scale_f64 v[183:184], vcc_lo, v[164:165], v[162:163], v[164:165]
	v_rcp_f64_e32 v[179:180], v[177:178]
	v_fma_f64 v[181:182], -v[177:178], v[179:180], 1.0
	v_fma_f64 v[179:180], v[179:180], v[181:182], v[179:180]
	v_fma_f64 v[181:182], -v[177:178], v[179:180], 1.0
	v_fma_f64 v[179:180], v[179:180], v[181:182], v[179:180]
	v_mul_f64 v[181:182], v[183:184], v[179:180]
	v_fma_f64 v[177:178], -v[177:178], v[181:182], v[183:184]
	v_div_fmas_f64 v[177:178], v[177:178], v[179:180], v[181:182]
	v_div_fixup_f64 v[177:178], v[177:178], v[162:163], v[164:165]
	v_fma_f64 v[162:163], v[164:165], v[177:178], v[162:163]
	v_div_scale_f64 v[164:165], null, v[162:163], v[162:163], 1.0
	v_rcp_f64_e32 v[179:180], v[164:165]
	v_fma_f64 v[181:182], -v[164:165], v[179:180], 1.0
	v_fma_f64 v[179:180], v[179:180], v[181:182], v[179:180]
	v_fma_f64 v[181:182], -v[164:165], v[179:180], 1.0
	v_fma_f64 v[179:180], v[179:180], v[181:182], v[179:180]
	v_div_scale_f64 v[181:182], vcc_lo, 1.0, v[162:163], 1.0
	v_mul_f64 v[183:184], v[181:182], v[179:180]
	v_fma_f64 v[164:165], -v[164:165], v[183:184], v[181:182]
	v_div_fmas_f64 v[164:165], v[164:165], v[179:180], v[183:184]
	v_div_fixup_f64 v[162:163], v[164:165], v[162:163], 1.0
	v_mul_f64 v[164:165], v[177:178], -v[162:163]
.LBB78_765:
	s_or_b32 exec_lo, exec_lo, s1
.LBB78_766:
	s_or_b32 exec_lo, exec_lo, s0
	s_mov_b32 s0, exec_lo
	v_cmpx_ne_u32_e64 v176, v170
	s_xor_b32 s0, exec_lo, s0
	s_cbranch_execz .LBB78_772
; %bb.767:
	s_mov_b32 s1, exec_lo
	v_cmpx_eq_u32_e32 36, v176
	s_cbranch_execz .LBB78_771
; %bb.768:
	v_cmp_ne_u32_e32 vcc_lo, 36, v170
	s_xor_b32 s7, s16, -1
	s_and_b32 s9, s7, vcc_lo
	s_and_saveexec_b32 s7, s9
	s_cbranch_execz .LBB78_770
; %bb.769:
	v_ashrrev_i32_e32 v171, 31, v170
	v_lshlrev_b64 v[176:177], 2, v[170:171]
	v_add_co_u32 v176, vcc_lo, v168, v176
	v_add_co_ci_u32_e64 v177, null, v169, v177, vcc_lo
	s_clause 0x1
	global_load_dword v0, v[176:177], off
	global_load_dword v171, v[168:169], off offset:144
	s_waitcnt vmcnt(1)
	global_store_dword v[168:169], v0, off offset:144
	s_waitcnt vmcnt(0)
	global_store_dword v[176:177], v171, off
.LBB78_770:
	s_or_b32 exec_lo, exec_lo, s7
	v_mov_b32_e32 v176, v170
	v_mov_b32_e32 v0, v170
.LBB78_771:
	s_or_b32 exec_lo, exec_lo, s1
.LBB78_772:
	s_andn2_saveexec_b32 s0, s0
	s_cbranch_execz .LBB78_774
; %bb.773:
	v_mov_b32_e32 v176, 36
	ds_write2_b64 v1, v[10:11], v[12:13] offset0:74 offset1:75
	ds_write2_b64 v1, v[6:7], v[8:9] offset0:76 offset1:77
	;; [unrolled: 1-line block ×3, first 2 shown]
.LBB78_774:
	s_or_b32 exec_lo, exec_lo, s0
	s_mov_b32 s0, exec_lo
	s_waitcnt lgkmcnt(0)
	s_waitcnt_vscnt null, 0x0
	s_barrier
	buffer_gl0_inv
	v_cmpx_lt_i32_e32 36, v176
	s_cbranch_execz .LBB78_776
; %bb.775:
	v_mul_f64 v[170:171], v[162:163], v[16:17]
	v_mul_f64 v[16:17], v[164:165], v[16:17]
	v_fma_f64 v[170:171], v[164:165], v[14:15], v[170:171]
	v_fma_f64 v[14:15], v[162:163], v[14:15], -v[16:17]
	ds_read2_b64 v[162:165], v1 offset0:74 offset1:75
	s_waitcnt lgkmcnt(0)
	v_mul_f64 v[16:17], v[164:165], v[170:171]
	v_fma_f64 v[16:17], v[162:163], v[14:15], -v[16:17]
	v_mul_f64 v[162:163], v[162:163], v[170:171]
	v_add_f64 v[10:11], v[10:11], -v[16:17]
	v_fma_f64 v[162:163], v[164:165], v[14:15], v[162:163]
	v_add_f64 v[12:13], v[12:13], -v[162:163]
	ds_read2_b64 v[162:165], v1 offset0:76 offset1:77
	s_waitcnt lgkmcnt(0)
	v_mul_f64 v[16:17], v[164:165], v[170:171]
	v_fma_f64 v[16:17], v[162:163], v[14:15], -v[16:17]
	v_mul_f64 v[162:163], v[162:163], v[170:171]
	v_add_f64 v[6:7], v[6:7], -v[16:17]
	v_fma_f64 v[162:163], v[164:165], v[14:15], v[162:163]
	v_add_f64 v[8:9], v[8:9], -v[162:163]
	ds_read2_b64 v[162:165], v1 offset0:78 offset1:79
	s_waitcnt lgkmcnt(0)
	v_mul_f64 v[16:17], v[164:165], v[170:171]
	v_fma_f64 v[16:17], v[162:163], v[14:15], -v[16:17]
	v_mul_f64 v[162:163], v[162:163], v[170:171]
	v_add_f64 v[2:3], v[2:3], -v[16:17]
	v_fma_f64 v[162:163], v[164:165], v[14:15], v[162:163]
	v_mov_b32_e32 v16, v170
	v_mov_b32_e32 v17, v171
	v_add_f64 v[4:5], v[4:5], -v[162:163]
.LBB78_776:
	s_or_b32 exec_lo, exec_lo, s0
	v_lshl_add_u32 v162, v176, 4, v1
	s_barrier
	buffer_gl0_inv
	v_mov_b32_e32 v170, 37
	ds_write2_b64 v162, v[10:11], v[12:13] offset1:1
	s_waitcnt lgkmcnt(0)
	s_barrier
	buffer_gl0_inv
	ds_read2_b64 v[162:165], v1 offset0:74 offset1:75
	s_cmp_lt_i32 s8, 39
	s_cbranch_scc1 .LBB78_779
; %bb.777:
	v_add3_u32 v171, v172, 0, 0x260
	v_mov_b32_e32 v170, 37
	s_mov_b32 s1, 38
	s_inst_prefetch 0x1
	.p2align	6
.LBB78_778:                             ; =>This Inner Loop Header: Depth=1
	s_waitcnt lgkmcnt(0)
	v_cmp_gt_f64_e32 vcc_lo, 0, v[164:165]
	v_cmp_gt_f64_e64 s0, 0, v[162:163]
	ds_read2_b64 v[177:180], v171 offset1:1
	v_xor_b32_e32 v182, 0x80000000, v163
	v_xor_b32_e32 v184, 0x80000000, v165
	v_mov_b32_e32 v181, v162
	v_mov_b32_e32 v183, v164
	v_add_nc_u32_e32 v171, 16, v171
	s_waitcnt lgkmcnt(0)
	v_xor_b32_e32 v186, 0x80000000, v180
	v_cndmask_b32_e64 v182, v163, v182, s0
	v_cndmask_b32_e32 v184, v165, v184, vcc_lo
	v_cmp_gt_f64_e32 vcc_lo, 0, v[179:180]
	v_cmp_gt_f64_e64 s0, 0, v[177:178]
	v_mov_b32_e32 v185, v179
	v_add_f64 v[181:182], v[181:182], v[183:184]
	v_xor_b32_e32 v184, 0x80000000, v178
	v_mov_b32_e32 v183, v177
	v_cndmask_b32_e32 v186, v180, v186, vcc_lo
	v_cndmask_b32_e64 v184, v178, v184, s0
	v_add_f64 v[183:184], v[183:184], v[185:186]
	v_cmp_lt_f64_e32 vcc_lo, v[181:182], v[183:184]
	v_cndmask_b32_e32 v163, v163, v178, vcc_lo
	v_cndmask_b32_e32 v162, v162, v177, vcc_lo
	;; [unrolled: 1-line block ×4, first 2 shown]
	v_cndmask_b32_e64 v170, v170, s1, vcc_lo
	s_add_i32 s1, s1, 1
	s_cmp_lg_u32 s8, s1
	s_cbranch_scc1 .LBB78_778
.LBB78_779:
	s_inst_prefetch 0x2
	s_waitcnt lgkmcnt(0)
	v_cmp_eq_f64_e32 vcc_lo, 0, v[162:163]
	v_cmp_eq_f64_e64 s0, 0, v[164:165]
	s_and_b32 s0, vcc_lo, s0
	s_and_saveexec_b32 s1, s0
	s_xor_b32 s0, exec_lo, s1
; %bb.780:
	v_cmp_ne_u32_e32 vcc_lo, 0, v175
	v_cndmask_b32_e32 v175, 38, v175, vcc_lo
; %bb.781:
	s_andn2_saveexec_b32 s0, s0
	s_cbranch_execz .LBB78_787
; %bb.782:
	v_cmp_ngt_f64_e64 s1, |v[162:163]|, |v[164:165]|
	s_and_saveexec_b32 s7, s1
	s_xor_b32 s1, exec_lo, s7
	s_cbranch_execz .LBB78_784
; %bb.783:
	v_div_scale_f64 v[177:178], null, v[164:165], v[164:165], v[162:163]
	v_div_scale_f64 v[183:184], vcc_lo, v[162:163], v[164:165], v[162:163]
	v_rcp_f64_e32 v[179:180], v[177:178]
	v_fma_f64 v[181:182], -v[177:178], v[179:180], 1.0
	v_fma_f64 v[179:180], v[179:180], v[181:182], v[179:180]
	v_fma_f64 v[181:182], -v[177:178], v[179:180], 1.0
	v_fma_f64 v[179:180], v[179:180], v[181:182], v[179:180]
	v_mul_f64 v[181:182], v[183:184], v[179:180]
	v_fma_f64 v[177:178], -v[177:178], v[181:182], v[183:184]
	v_div_fmas_f64 v[177:178], v[177:178], v[179:180], v[181:182]
	v_div_fixup_f64 v[177:178], v[177:178], v[164:165], v[162:163]
	v_fma_f64 v[162:163], v[162:163], v[177:178], v[164:165]
	v_div_scale_f64 v[164:165], null, v[162:163], v[162:163], 1.0
	v_rcp_f64_e32 v[179:180], v[164:165]
	v_fma_f64 v[181:182], -v[164:165], v[179:180], 1.0
	v_fma_f64 v[179:180], v[179:180], v[181:182], v[179:180]
	v_fma_f64 v[181:182], -v[164:165], v[179:180], 1.0
	v_fma_f64 v[179:180], v[179:180], v[181:182], v[179:180]
	v_div_scale_f64 v[181:182], vcc_lo, 1.0, v[162:163], 1.0
	v_mul_f64 v[183:184], v[181:182], v[179:180]
	v_fma_f64 v[164:165], -v[164:165], v[183:184], v[181:182]
	v_div_fmas_f64 v[164:165], v[164:165], v[179:180], v[183:184]
	v_div_fixup_f64 v[164:165], v[164:165], v[162:163], 1.0
	v_mul_f64 v[162:163], v[177:178], v[164:165]
	v_xor_b32_e32 v165, 0x80000000, v165
.LBB78_784:
	s_andn2_saveexec_b32 s1, s1
	s_cbranch_execz .LBB78_786
; %bb.785:
	v_div_scale_f64 v[177:178], null, v[162:163], v[162:163], v[164:165]
	v_div_scale_f64 v[183:184], vcc_lo, v[164:165], v[162:163], v[164:165]
	v_rcp_f64_e32 v[179:180], v[177:178]
	v_fma_f64 v[181:182], -v[177:178], v[179:180], 1.0
	v_fma_f64 v[179:180], v[179:180], v[181:182], v[179:180]
	v_fma_f64 v[181:182], -v[177:178], v[179:180], 1.0
	v_fma_f64 v[179:180], v[179:180], v[181:182], v[179:180]
	v_mul_f64 v[181:182], v[183:184], v[179:180]
	v_fma_f64 v[177:178], -v[177:178], v[181:182], v[183:184]
	v_div_fmas_f64 v[177:178], v[177:178], v[179:180], v[181:182]
	v_div_fixup_f64 v[177:178], v[177:178], v[162:163], v[164:165]
	v_fma_f64 v[162:163], v[164:165], v[177:178], v[162:163]
	v_div_scale_f64 v[164:165], null, v[162:163], v[162:163], 1.0
	v_rcp_f64_e32 v[179:180], v[164:165]
	v_fma_f64 v[181:182], -v[164:165], v[179:180], 1.0
	v_fma_f64 v[179:180], v[179:180], v[181:182], v[179:180]
	v_fma_f64 v[181:182], -v[164:165], v[179:180], 1.0
	v_fma_f64 v[179:180], v[179:180], v[181:182], v[179:180]
	v_div_scale_f64 v[181:182], vcc_lo, 1.0, v[162:163], 1.0
	v_mul_f64 v[183:184], v[181:182], v[179:180]
	v_fma_f64 v[164:165], -v[164:165], v[183:184], v[181:182]
	v_div_fmas_f64 v[164:165], v[164:165], v[179:180], v[183:184]
	v_div_fixup_f64 v[162:163], v[164:165], v[162:163], 1.0
	v_mul_f64 v[164:165], v[177:178], -v[162:163]
.LBB78_786:
	s_or_b32 exec_lo, exec_lo, s1
.LBB78_787:
	s_or_b32 exec_lo, exec_lo, s0
	s_mov_b32 s0, exec_lo
	v_cmpx_ne_u32_e64 v176, v170
	s_xor_b32 s0, exec_lo, s0
	s_cbranch_execz .LBB78_793
; %bb.788:
	s_mov_b32 s1, exec_lo
	v_cmpx_eq_u32_e32 37, v176
	s_cbranch_execz .LBB78_792
; %bb.789:
	v_cmp_ne_u32_e32 vcc_lo, 37, v170
	s_xor_b32 s7, s16, -1
	s_and_b32 s9, s7, vcc_lo
	s_and_saveexec_b32 s7, s9
	s_cbranch_execz .LBB78_791
; %bb.790:
	v_ashrrev_i32_e32 v171, 31, v170
	v_lshlrev_b64 v[176:177], 2, v[170:171]
	v_add_co_u32 v176, vcc_lo, v168, v176
	v_add_co_ci_u32_e64 v177, null, v169, v177, vcc_lo
	s_clause 0x1
	global_load_dword v0, v[176:177], off
	global_load_dword v171, v[168:169], off offset:148
	s_waitcnt vmcnt(1)
	global_store_dword v[168:169], v0, off offset:148
	s_waitcnt vmcnt(0)
	global_store_dword v[176:177], v171, off
.LBB78_791:
	s_or_b32 exec_lo, exec_lo, s7
	v_mov_b32_e32 v176, v170
	v_mov_b32_e32 v0, v170
.LBB78_792:
	s_or_b32 exec_lo, exec_lo, s1
.LBB78_793:
	s_andn2_saveexec_b32 s0, s0
	s_cbranch_execz .LBB78_795
; %bb.794:
	v_mov_b32_e32 v176, 37
	ds_write2_b64 v1, v[6:7], v[8:9] offset0:76 offset1:77
	ds_write2_b64 v1, v[2:3], v[4:5] offset0:78 offset1:79
.LBB78_795:
	s_or_b32 exec_lo, exec_lo, s0
	s_mov_b32 s0, exec_lo
	s_waitcnt lgkmcnt(0)
	s_waitcnt_vscnt null, 0x0
	s_barrier
	buffer_gl0_inv
	v_cmpx_lt_i32_e32 37, v176
	s_cbranch_execz .LBB78_797
; %bb.796:
	v_mul_f64 v[170:171], v[162:163], v[12:13]
	v_mul_f64 v[12:13], v[164:165], v[12:13]
	ds_read2_b64 v[177:180], v1 offset0:76 offset1:77
	ds_read2_b64 v[181:184], v1 offset0:78 offset1:79
	v_fma_f64 v[164:165], v[164:165], v[10:11], v[170:171]
	v_fma_f64 v[10:11], v[162:163], v[10:11], -v[12:13]
	s_waitcnt lgkmcnt(1)
	v_mul_f64 v[12:13], v[179:180], v[164:165]
	v_mul_f64 v[162:163], v[177:178], v[164:165]
	s_waitcnt lgkmcnt(0)
	v_mul_f64 v[170:171], v[183:184], v[164:165]
	v_mul_f64 v[185:186], v[181:182], v[164:165]
	v_fma_f64 v[12:13], v[177:178], v[10:11], -v[12:13]
	v_fma_f64 v[162:163], v[179:180], v[10:11], v[162:163]
	v_fma_f64 v[170:171], v[181:182], v[10:11], -v[170:171]
	v_fma_f64 v[177:178], v[183:184], v[10:11], v[185:186]
	v_add_f64 v[6:7], v[6:7], -v[12:13]
	v_add_f64 v[8:9], v[8:9], -v[162:163]
	v_add_f64 v[2:3], v[2:3], -v[170:171]
	v_add_f64 v[4:5], v[4:5], -v[177:178]
	v_mov_b32_e32 v12, v164
	v_mov_b32_e32 v13, v165
.LBB78_797:
	s_or_b32 exec_lo, exec_lo, s0
	v_lshl_add_u32 v162, v176, 4, v1
	s_barrier
	buffer_gl0_inv
	v_mov_b32_e32 v170, 38
	ds_write2_b64 v162, v[6:7], v[8:9] offset1:1
	s_waitcnt lgkmcnt(0)
	s_barrier
	buffer_gl0_inv
	ds_read2_b64 v[162:165], v1 offset0:76 offset1:77
	s_cmp_lt_i32 s8, 40
	s_cbranch_scc1 .LBB78_800
; %bb.798:
	v_add3_u32 v171, v172, 0, 0x270
	v_mov_b32_e32 v170, 38
	s_mov_b32 s1, 39
	s_inst_prefetch 0x1
	.p2align	6
.LBB78_799:                             ; =>This Inner Loop Header: Depth=1
	s_waitcnt lgkmcnt(0)
	v_cmp_gt_f64_e32 vcc_lo, 0, v[164:165]
	v_cmp_gt_f64_e64 s0, 0, v[162:163]
	ds_read2_b64 v[177:180], v171 offset1:1
	v_xor_b32_e32 v182, 0x80000000, v163
	v_xor_b32_e32 v184, 0x80000000, v165
	v_mov_b32_e32 v181, v162
	v_mov_b32_e32 v183, v164
	v_add_nc_u32_e32 v171, 16, v171
	s_waitcnt lgkmcnt(0)
	v_xor_b32_e32 v186, 0x80000000, v180
	v_cndmask_b32_e64 v182, v163, v182, s0
	v_cndmask_b32_e32 v184, v165, v184, vcc_lo
	v_cmp_gt_f64_e32 vcc_lo, 0, v[179:180]
	v_cmp_gt_f64_e64 s0, 0, v[177:178]
	v_mov_b32_e32 v185, v179
	v_add_f64 v[181:182], v[181:182], v[183:184]
	v_xor_b32_e32 v184, 0x80000000, v178
	v_mov_b32_e32 v183, v177
	v_cndmask_b32_e32 v186, v180, v186, vcc_lo
	v_cndmask_b32_e64 v184, v178, v184, s0
	v_add_f64 v[183:184], v[183:184], v[185:186]
	v_cmp_lt_f64_e32 vcc_lo, v[181:182], v[183:184]
	v_cndmask_b32_e32 v163, v163, v178, vcc_lo
	v_cndmask_b32_e32 v162, v162, v177, vcc_lo
	;; [unrolled: 1-line block ×4, first 2 shown]
	v_cndmask_b32_e64 v170, v170, s1, vcc_lo
	s_add_i32 s1, s1, 1
	s_cmp_lg_u32 s8, s1
	s_cbranch_scc1 .LBB78_799
.LBB78_800:
	s_inst_prefetch 0x2
	s_waitcnt lgkmcnt(0)
	v_cmp_eq_f64_e32 vcc_lo, 0, v[162:163]
	v_cmp_eq_f64_e64 s0, 0, v[164:165]
	s_and_b32 s0, vcc_lo, s0
	s_and_saveexec_b32 s1, s0
	s_xor_b32 s0, exec_lo, s1
; %bb.801:
	v_cmp_ne_u32_e32 vcc_lo, 0, v175
	v_cndmask_b32_e32 v175, 39, v175, vcc_lo
; %bb.802:
	s_andn2_saveexec_b32 s0, s0
	s_cbranch_execz .LBB78_808
; %bb.803:
	v_cmp_ngt_f64_e64 s1, |v[162:163]|, |v[164:165]|
	s_and_saveexec_b32 s7, s1
	s_xor_b32 s1, exec_lo, s7
	s_cbranch_execz .LBB78_805
; %bb.804:
	v_div_scale_f64 v[177:178], null, v[164:165], v[164:165], v[162:163]
	v_div_scale_f64 v[183:184], vcc_lo, v[162:163], v[164:165], v[162:163]
	v_rcp_f64_e32 v[179:180], v[177:178]
	v_fma_f64 v[181:182], -v[177:178], v[179:180], 1.0
	v_fma_f64 v[179:180], v[179:180], v[181:182], v[179:180]
	v_fma_f64 v[181:182], -v[177:178], v[179:180], 1.0
	v_fma_f64 v[179:180], v[179:180], v[181:182], v[179:180]
	v_mul_f64 v[181:182], v[183:184], v[179:180]
	v_fma_f64 v[177:178], -v[177:178], v[181:182], v[183:184]
	v_div_fmas_f64 v[177:178], v[177:178], v[179:180], v[181:182]
	v_div_fixup_f64 v[177:178], v[177:178], v[164:165], v[162:163]
	v_fma_f64 v[162:163], v[162:163], v[177:178], v[164:165]
	v_div_scale_f64 v[164:165], null, v[162:163], v[162:163], 1.0
	v_rcp_f64_e32 v[179:180], v[164:165]
	v_fma_f64 v[181:182], -v[164:165], v[179:180], 1.0
	v_fma_f64 v[179:180], v[179:180], v[181:182], v[179:180]
	v_fma_f64 v[181:182], -v[164:165], v[179:180], 1.0
	v_fma_f64 v[179:180], v[179:180], v[181:182], v[179:180]
	v_div_scale_f64 v[181:182], vcc_lo, 1.0, v[162:163], 1.0
	v_mul_f64 v[183:184], v[181:182], v[179:180]
	v_fma_f64 v[164:165], -v[164:165], v[183:184], v[181:182]
	v_div_fmas_f64 v[164:165], v[164:165], v[179:180], v[183:184]
	v_div_fixup_f64 v[164:165], v[164:165], v[162:163], 1.0
	v_mul_f64 v[162:163], v[177:178], v[164:165]
	v_xor_b32_e32 v165, 0x80000000, v165
.LBB78_805:
	s_andn2_saveexec_b32 s1, s1
	s_cbranch_execz .LBB78_807
; %bb.806:
	v_div_scale_f64 v[177:178], null, v[162:163], v[162:163], v[164:165]
	v_div_scale_f64 v[183:184], vcc_lo, v[164:165], v[162:163], v[164:165]
	v_rcp_f64_e32 v[179:180], v[177:178]
	v_fma_f64 v[181:182], -v[177:178], v[179:180], 1.0
	v_fma_f64 v[179:180], v[179:180], v[181:182], v[179:180]
	v_fma_f64 v[181:182], -v[177:178], v[179:180], 1.0
	v_fma_f64 v[179:180], v[179:180], v[181:182], v[179:180]
	v_mul_f64 v[181:182], v[183:184], v[179:180]
	v_fma_f64 v[177:178], -v[177:178], v[181:182], v[183:184]
	v_div_fmas_f64 v[177:178], v[177:178], v[179:180], v[181:182]
	v_div_fixup_f64 v[177:178], v[177:178], v[162:163], v[164:165]
	v_fma_f64 v[162:163], v[164:165], v[177:178], v[162:163]
	v_div_scale_f64 v[164:165], null, v[162:163], v[162:163], 1.0
	v_rcp_f64_e32 v[179:180], v[164:165]
	v_fma_f64 v[181:182], -v[164:165], v[179:180], 1.0
	v_fma_f64 v[179:180], v[179:180], v[181:182], v[179:180]
	v_fma_f64 v[181:182], -v[164:165], v[179:180], 1.0
	v_fma_f64 v[179:180], v[179:180], v[181:182], v[179:180]
	v_div_scale_f64 v[181:182], vcc_lo, 1.0, v[162:163], 1.0
	v_mul_f64 v[183:184], v[181:182], v[179:180]
	v_fma_f64 v[164:165], -v[164:165], v[183:184], v[181:182]
	v_div_fmas_f64 v[164:165], v[164:165], v[179:180], v[183:184]
	v_div_fixup_f64 v[162:163], v[164:165], v[162:163], 1.0
	v_mul_f64 v[164:165], v[177:178], -v[162:163]
.LBB78_807:
	s_or_b32 exec_lo, exec_lo, s1
.LBB78_808:
	s_or_b32 exec_lo, exec_lo, s0
	s_mov_b32 s0, exec_lo
	v_cmpx_ne_u32_e64 v176, v170
	s_xor_b32 s0, exec_lo, s0
	s_cbranch_execz .LBB78_814
; %bb.809:
	s_mov_b32 s1, exec_lo
	v_cmpx_eq_u32_e32 38, v176
	s_cbranch_execz .LBB78_813
; %bb.810:
	v_cmp_ne_u32_e32 vcc_lo, 38, v170
	s_xor_b32 s7, s16, -1
	s_and_b32 s9, s7, vcc_lo
	s_and_saveexec_b32 s7, s9
	s_cbranch_execz .LBB78_812
; %bb.811:
	v_ashrrev_i32_e32 v171, 31, v170
	v_lshlrev_b64 v[176:177], 2, v[170:171]
	v_add_co_u32 v176, vcc_lo, v168, v176
	v_add_co_ci_u32_e64 v177, null, v169, v177, vcc_lo
	s_clause 0x1
	global_load_dword v0, v[176:177], off
	global_load_dword v171, v[168:169], off offset:152
	s_waitcnt vmcnt(1)
	global_store_dword v[168:169], v0, off offset:152
	s_waitcnt vmcnt(0)
	global_store_dword v[176:177], v171, off
.LBB78_812:
	s_or_b32 exec_lo, exec_lo, s7
	v_mov_b32_e32 v176, v170
	v_mov_b32_e32 v0, v170
.LBB78_813:
	s_or_b32 exec_lo, exec_lo, s1
.LBB78_814:
	s_andn2_saveexec_b32 s0, s0
; %bb.815:
	v_mov_b32_e32 v176, 38
	ds_write2_b64 v1, v[2:3], v[4:5] offset0:78 offset1:79
; %bb.816:
	s_or_b32 exec_lo, exec_lo, s0
	s_mov_b32 s0, exec_lo
	s_waitcnt lgkmcnt(0)
	s_waitcnt_vscnt null, 0x0
	s_barrier
	buffer_gl0_inv
	v_cmpx_lt_i32_e32 38, v176
	s_cbranch_execz .LBB78_818
; %bb.817:
	v_mul_f64 v[170:171], v[162:163], v[8:9]
	v_mul_f64 v[8:9], v[164:165], v[8:9]
	ds_read2_b64 v[177:180], v1 offset0:78 offset1:79
	v_fma_f64 v[164:165], v[164:165], v[6:7], v[170:171]
	v_fma_f64 v[6:7], v[162:163], v[6:7], -v[8:9]
	s_waitcnt lgkmcnt(0)
	v_mul_f64 v[8:9], v[179:180], v[164:165]
	v_mul_f64 v[162:163], v[177:178], v[164:165]
	v_fma_f64 v[8:9], v[177:178], v[6:7], -v[8:9]
	v_fma_f64 v[162:163], v[179:180], v[6:7], v[162:163]
	v_add_f64 v[2:3], v[2:3], -v[8:9]
	v_add_f64 v[4:5], v[4:5], -v[162:163]
	v_mov_b32_e32 v8, v164
	v_mov_b32_e32 v9, v165
.LBB78_818:
	s_or_b32 exec_lo, exec_lo, s0
	v_lshl_add_u32 v162, v176, 4, v1
	s_barrier
	buffer_gl0_inv
	v_mov_b32_e32 v170, 39
	ds_write2_b64 v162, v[2:3], v[4:5] offset1:1
	s_waitcnt lgkmcnt(0)
	s_barrier
	buffer_gl0_inv
	ds_read2_b64 v[162:165], v1 offset0:78 offset1:79
	s_cmp_lt_i32 s8, 41
	s_cbranch_scc1 .LBB78_821
; %bb.819:
	v_add3_u32 v1, v172, 0, 0x280
	v_mov_b32_e32 v170, 39
	s_mov_b32 s1, 40
	s_inst_prefetch 0x1
	.p2align	6
.LBB78_820:                             ; =>This Inner Loop Header: Depth=1
	s_waitcnt lgkmcnt(0)
	v_cmp_gt_f64_e32 vcc_lo, 0, v[164:165]
	v_cmp_gt_f64_e64 s0, 0, v[162:163]
	ds_read2_b64 v[177:180], v1 offset1:1
	v_xor_b32_e32 v172, 0x80000000, v163
	v_xor_b32_e32 v182, 0x80000000, v165
	v_mov_b32_e32 v171, v162
	v_mov_b32_e32 v181, v164
	v_add_nc_u32_e32 v1, 16, v1
	s_waitcnt lgkmcnt(0)
	v_xor_b32_e32 v184, 0x80000000, v180
	v_cndmask_b32_e64 v172, v163, v172, s0
	v_cndmask_b32_e32 v182, v165, v182, vcc_lo
	v_cmp_gt_f64_e32 vcc_lo, 0, v[179:180]
	v_cmp_gt_f64_e64 s0, 0, v[177:178]
	v_mov_b32_e32 v183, v179
	v_add_f64 v[171:172], v[171:172], v[181:182]
	v_xor_b32_e32 v182, 0x80000000, v178
	v_mov_b32_e32 v181, v177
	v_cndmask_b32_e32 v184, v180, v184, vcc_lo
	v_cndmask_b32_e64 v182, v178, v182, s0
	v_add_f64 v[181:182], v[181:182], v[183:184]
	v_cmp_lt_f64_e32 vcc_lo, v[171:172], v[181:182]
	v_cndmask_b32_e32 v163, v163, v178, vcc_lo
	v_cndmask_b32_e32 v162, v162, v177, vcc_lo
	v_cndmask_b32_e32 v165, v165, v180, vcc_lo
	v_cndmask_b32_e32 v164, v164, v179, vcc_lo
	v_cndmask_b32_e64 v170, v170, s1, vcc_lo
	s_add_i32 s1, s1, 1
	s_cmp_lg_u32 s8, s1
	s_cbranch_scc1 .LBB78_820
.LBB78_821:
	s_inst_prefetch 0x2
	s_waitcnt lgkmcnt(0)
	v_cmp_eq_f64_e32 vcc_lo, 0, v[162:163]
	v_cmp_eq_f64_e64 s0, 0, v[164:165]
	s_and_b32 s0, vcc_lo, s0
	s_and_saveexec_b32 s1, s0
	s_xor_b32 s0, exec_lo, s1
; %bb.822:
	v_cmp_ne_u32_e32 vcc_lo, 0, v175
	v_cndmask_b32_e32 v175, 40, v175, vcc_lo
; %bb.823:
	s_andn2_saveexec_b32 s0, s0
	s_cbranch_execz .LBB78_829
; %bb.824:
	v_cmp_ngt_f64_e64 s1, |v[162:163]|, |v[164:165]|
	s_and_saveexec_b32 s7, s1
	s_xor_b32 s1, exec_lo, s7
	s_cbranch_execz .LBB78_826
; %bb.825:
	v_div_scale_f64 v[171:172], null, v[164:165], v[164:165], v[162:163]
	v_div_scale_f64 v[181:182], vcc_lo, v[162:163], v[164:165], v[162:163]
	v_rcp_f64_e32 v[177:178], v[171:172]
	v_fma_f64 v[179:180], -v[171:172], v[177:178], 1.0
	v_fma_f64 v[177:178], v[177:178], v[179:180], v[177:178]
	v_fma_f64 v[179:180], -v[171:172], v[177:178], 1.0
	v_fma_f64 v[177:178], v[177:178], v[179:180], v[177:178]
	v_mul_f64 v[179:180], v[181:182], v[177:178]
	v_fma_f64 v[171:172], -v[171:172], v[179:180], v[181:182]
	v_div_fmas_f64 v[171:172], v[171:172], v[177:178], v[179:180]
	v_div_fixup_f64 v[171:172], v[171:172], v[164:165], v[162:163]
	v_fma_f64 v[162:163], v[162:163], v[171:172], v[164:165]
	v_div_scale_f64 v[164:165], null, v[162:163], v[162:163], 1.0
	v_rcp_f64_e32 v[177:178], v[164:165]
	v_fma_f64 v[179:180], -v[164:165], v[177:178], 1.0
	v_fma_f64 v[177:178], v[177:178], v[179:180], v[177:178]
	v_fma_f64 v[179:180], -v[164:165], v[177:178], 1.0
	v_fma_f64 v[177:178], v[177:178], v[179:180], v[177:178]
	v_div_scale_f64 v[179:180], vcc_lo, 1.0, v[162:163], 1.0
	v_mul_f64 v[181:182], v[179:180], v[177:178]
	v_fma_f64 v[164:165], -v[164:165], v[181:182], v[179:180]
	v_div_fmas_f64 v[164:165], v[164:165], v[177:178], v[181:182]
	v_div_fixup_f64 v[164:165], v[164:165], v[162:163], 1.0
	v_mul_f64 v[162:163], v[171:172], v[164:165]
	v_xor_b32_e32 v165, 0x80000000, v165
.LBB78_826:
	s_andn2_saveexec_b32 s1, s1
	s_cbranch_execz .LBB78_828
; %bb.827:
	v_div_scale_f64 v[171:172], null, v[162:163], v[162:163], v[164:165]
	v_div_scale_f64 v[181:182], vcc_lo, v[164:165], v[162:163], v[164:165]
	v_rcp_f64_e32 v[177:178], v[171:172]
	v_fma_f64 v[179:180], -v[171:172], v[177:178], 1.0
	v_fma_f64 v[177:178], v[177:178], v[179:180], v[177:178]
	v_fma_f64 v[179:180], -v[171:172], v[177:178], 1.0
	v_fma_f64 v[177:178], v[177:178], v[179:180], v[177:178]
	v_mul_f64 v[179:180], v[181:182], v[177:178]
	v_fma_f64 v[171:172], -v[171:172], v[179:180], v[181:182]
	v_div_fmas_f64 v[171:172], v[171:172], v[177:178], v[179:180]
	v_div_fixup_f64 v[171:172], v[171:172], v[162:163], v[164:165]
	v_fma_f64 v[162:163], v[164:165], v[171:172], v[162:163]
	v_div_scale_f64 v[164:165], null, v[162:163], v[162:163], 1.0
	v_rcp_f64_e32 v[177:178], v[164:165]
	v_fma_f64 v[179:180], -v[164:165], v[177:178], 1.0
	v_fma_f64 v[177:178], v[177:178], v[179:180], v[177:178]
	v_fma_f64 v[179:180], -v[164:165], v[177:178], 1.0
	v_fma_f64 v[177:178], v[177:178], v[179:180], v[177:178]
	v_div_scale_f64 v[179:180], vcc_lo, 1.0, v[162:163], 1.0
	v_mul_f64 v[181:182], v[179:180], v[177:178]
	v_fma_f64 v[164:165], -v[164:165], v[181:182], v[179:180]
	v_div_fmas_f64 v[164:165], v[164:165], v[177:178], v[181:182]
	v_div_fixup_f64 v[162:163], v[164:165], v[162:163], 1.0
	v_mul_f64 v[164:165], v[171:172], -v[162:163]
.LBB78_828:
	s_or_b32 exec_lo, exec_lo, s1
.LBB78_829:
	s_or_b32 exec_lo, exec_lo, s0
	v_mov_b32_e32 v171, 39
	s_mov_b32 s0, exec_lo
	v_cmpx_ne_u32_e64 v176, v170
	s_cbranch_execz .LBB78_835
; %bb.830:
	s_mov_b32 s1, exec_lo
	v_cmpx_eq_u32_e32 39, v176
	s_cbranch_execz .LBB78_834
; %bb.831:
	v_cmp_ne_u32_e32 vcc_lo, 39, v170
	s_xor_b32 s7, s16, -1
	s_and_b32 s8, s7, vcc_lo
	s_and_saveexec_b32 s7, s8
	s_cbranch_execz .LBB78_833
; %bb.832:
	v_ashrrev_i32_e32 v171, 31, v170
	v_lshlrev_b64 v[0:1], 2, v[170:171]
	v_add_co_u32 v0, vcc_lo, v168, v0
	v_add_co_ci_u32_e64 v1, null, v169, v1, vcc_lo
	s_clause 0x1
	global_load_dword v171, v[0:1], off
	global_load_dword v172, v[168:169], off offset:156
	s_waitcnt vmcnt(1)
	global_store_dword v[168:169], v171, off offset:156
	s_waitcnt vmcnt(0)
	global_store_dword v[0:1], v172, off
.LBB78_833:
	s_or_b32 exec_lo, exec_lo, s7
	v_mov_b32_e32 v176, v170
	v_mov_b32_e32 v0, v170
.LBB78_834:
	s_or_b32 exec_lo, exec_lo, s1
	v_mov_b32_e32 v171, v176
.LBB78_835:
	s_or_b32 exec_lo, exec_lo, s0
	s_mov_b32 s0, exec_lo
	s_waitcnt_vscnt null, 0x0
	s_barrier
	buffer_gl0_inv
	v_cmpx_lt_i32_e32 39, v171
	s_cbranch_execz .LBB78_837
; %bb.836:
	v_mul_f64 v[168:169], v[164:165], v[4:5]
	v_mul_f64 v[4:5], v[162:163], v[4:5]
	v_fma_f64 v[162:163], v[162:163], v[2:3], -v[168:169]
	v_fma_f64 v[4:5], v[164:165], v[2:3], v[4:5]
	v_mov_b32_e32 v2, v162
	v_mov_b32_e32 v3, v163
.LBB78_837:
	s_or_b32 exec_lo, exec_lo, s0
	v_ashrrev_i32_e32 v172, 31, v171
	s_mov_b32 s0, exec_lo
	s_barrier
	buffer_gl0_inv
	v_cmpx_gt_i32_e32 40, v171
	s_cbranch_execz .LBB78_839
; %bb.838:
	v_mul_lo_u32 v1, s15, v166
	v_mul_lo_u32 v164, s14, v167
	v_mad_u64_u32 v[162:163], null, s14, v166, 0
	s_lshl_b64 s[8:9], s[12:13], 2
	v_add3_u32 v0, v0, s17, 1
	v_add3_u32 v163, v163, v164, v1
	v_lshlrev_b64 v[162:163], 2, v[162:163]
	v_add_co_u32 v1, vcc_lo, s10, v162
	v_add_co_ci_u32_e64 v164, null, s11, v163, vcc_lo
	v_lshlrev_b64 v[162:163], 2, v[171:172]
	v_add_co_u32 v1, vcc_lo, v1, s8
	v_add_co_ci_u32_e64 v164, null, s9, v164, vcc_lo
	v_add_co_u32 v162, vcc_lo, v1, v162
	v_add_co_ci_u32_e64 v163, null, v164, v163, vcc_lo
	global_store_dword v[162:163], v0, off
.LBB78_839:
	s_or_b32 exec_lo, exec_lo, s0
	s_mov_b32 s1, exec_lo
	v_cmpx_eq_u32_e32 0, v171
	s_cbranch_execz .LBB78_842
; %bb.840:
	v_lshlrev_b64 v[0:1], 2, v[166:167]
	v_cmp_ne_u32_e64 s0, 0, v175
	v_add_co_u32 v0, vcc_lo, s4, v0
	v_add_co_ci_u32_e64 v1, null, s5, v1, vcc_lo
	global_load_dword v162, v[0:1], off
	s_waitcnt vmcnt(0)
	v_cmp_eq_u32_e32 vcc_lo, 0, v162
	s_and_b32 s0, vcc_lo, s0
	s_and_b32 exec_lo, exec_lo, s0
	s_cbranch_execz .LBB78_842
; %bb.841:
	v_add_nc_u32_e32 v162, s17, v175
	global_store_dword v[0:1], v162, off
.LBB78_842:
	s_or_b32 exec_lo, exec_lo, s1
	v_add3_u32 v0, s6, s6, v171
	v_lshlrev_b64 v[162:163], 4, v[171:172]
	v_ashrrev_i32_e32 v1, 31, v0
	v_add_nc_u32_e32 v164, s6, v0
	v_add_co_u32 v162, vcc_lo, v173, v162
	v_add_co_ci_u32_e64 v163, null, v174, v163, vcc_lo
	v_lshlrev_b64 v[0:1], 4, v[0:1]
	v_add_co_u32 v168, vcc_lo, v162, s2
	v_ashrrev_i32_e32 v165, 31, v164
	v_add_co_ci_u32_e64 v169, null, s3, v163, vcc_lo
	v_add_co_u32 v0, vcc_lo, v173, v0
	v_add_nc_u32_e32 v166, s6, v164
	v_add_co_ci_u32_e64 v1, null, v174, v1, vcc_lo
	global_store_dwordx4 v[162:163], v[154:157], off
	v_lshlrev_b64 v[154:155], 4, v[164:165]
	v_ashrrev_i32_e32 v167, 31, v166
	global_store_dwordx4 v[168:169], v[158:161], off
	global_store_dwordx4 v[0:1], v[150:153], off
	v_add_nc_u32_e32 v150, s6, v166
	v_lshlrev_b64 v[0:1], 4, v[166:167]
	v_add_co_u32 v152, vcc_lo, v173, v154
	v_add_nc_u32_e32 v154, s6, v150
	v_ashrrev_i32_e32 v151, 31, v150
	v_add_co_ci_u32_e64 v153, null, v174, v155, vcc_lo
	v_add_co_u32 v0, vcc_lo, v173, v0
	v_add_nc_u32_e32 v156, s6, v154
	v_add_co_ci_u32_e64 v1, null, v174, v1, vcc_lo
	v_ashrrev_i32_e32 v155, 31, v154
	v_lshlrev_b64 v[150:151], 4, v[150:151]
	v_ashrrev_i32_e32 v157, 31, v156
	global_store_dwordx4 v[152:153], v[142:145], off
	global_store_dwordx4 v[0:1], v[146:149], off
	v_add_nc_u32_e32 v146, s6, v156
	v_lshlrev_b64 v[0:1], 4, v[154:155]
	v_add_co_u32 v142, vcc_lo, v173, v150
	v_lshlrev_b64 v[144:145], 4, v[156:157]
	v_add_co_ci_u32_e64 v143, null, v174, v151, vcc_lo
	v_add_nc_u32_e32 v148, s6, v146
	v_add_co_u32 v0, vcc_lo, v173, v0
	v_add_co_ci_u32_e64 v1, null, v174, v1, vcc_lo
	v_ashrrev_i32_e32 v147, 31, v146
	v_add_co_u32 v144, vcc_lo, v173, v144
	global_store_dwordx4 v[142:143], v[130:133], off
	v_add_nc_u32_e32 v132, s6, v148
	v_add_co_ci_u32_e64 v145, null, v174, v145, vcc_lo
	v_ashrrev_i32_e32 v149, 31, v148
	v_lshlrev_b64 v[130:131], 4, v[146:147]
	global_store_dwordx4 v[0:1], v[138:141], off
	global_store_dwordx4 v[144:145], v[134:137], off
	v_add_nc_u32_e32 v134, s6, v132
	v_ashrrev_i32_e32 v133, 31, v132
	v_lshlrev_b64 v[0:1], 4, v[148:149]
	v_add_co_u32 v130, vcc_lo, v173, v130
	v_add_nc_u32_e32 v136, s6, v134
	v_add_co_ci_u32_e64 v131, null, v174, v131, vcc_lo
	v_add_co_u32 v0, vcc_lo, v173, v0
	v_ashrrev_i32_e32 v135, 31, v134
	v_add_co_ci_u32_e64 v1, null, v174, v1, vcc_lo
	v_ashrrev_i32_e32 v137, 31, v136
	v_lshlrev_b64 v[132:133], 4, v[132:133]
	global_store_dwordx4 v[130:131], v[126:129], off
	global_store_dwordx4 v[0:1], v[122:125], off
	v_lshlrev_b64 v[0:1], 4, v[134:135]
	v_add_nc_u32_e32 v126, s6, v136
	v_lshlrev_b64 v[124:125], 4, v[136:137]
	v_add_co_u32 v122, vcc_lo, v173, v132
	v_add_co_ci_u32_e64 v123, null, v174, v133, vcc_lo
	v_add_co_u32 v0, vcc_lo, v173, v0
	v_add_co_ci_u32_e64 v1, null, v174, v1, vcc_lo
	v_ashrrev_i32_e32 v127, 31, v126
	v_add_co_u32 v124, vcc_lo, v173, v124
	v_add_nc_u32_e32 v128, s6, v126
	v_add_co_ci_u32_e64 v125, null, v174, v125, vcc_lo
	global_store_dwordx4 v[122:123], v[114:117], off
	v_lshlrev_b64 v[114:115], 4, v[126:127]
	v_ashrrev_i32_e32 v129, 31, v128
	global_store_dwordx4 v[0:1], v[110:113], off
	global_store_dwordx4 v[124:125], v[118:121], off
	v_add_nc_u32_e32 v110, s6, v128
	v_lshlrev_b64 v[0:1], 4, v[128:129]
	v_add_co_u32 v112, vcc_lo, v173, v114
	v_add_nc_u32_e32 v114, s6, v110
	v_ashrrev_i32_e32 v111, 31, v110
	v_add_co_ci_u32_e64 v113, null, v174, v115, vcc_lo
	v_add_co_u32 v0, vcc_lo, v173, v0
	v_add_nc_u32_e32 v116, s6, v114
	v_add_co_ci_u32_e64 v1, null, v174, v1, vcc_lo
	v_ashrrev_i32_e32 v115, 31, v114
	v_lshlrev_b64 v[110:111], 4, v[110:111]
	v_ashrrev_i32_e32 v117, 31, v116
	global_store_dwordx4 v[112:113], v[102:105], off
	global_store_dwordx4 v[0:1], v[106:109], off
	v_add_nc_u32_e32 v106, s6, v116
	v_lshlrev_b64 v[0:1], 4, v[114:115]
	v_add_co_u32 v102, vcc_lo, v173, v110
	v_lshlrev_b64 v[104:105], 4, v[116:117]
	v_add_co_ci_u32_e64 v103, null, v174, v111, vcc_lo
	v_add_nc_u32_e32 v108, s6, v106
	v_add_co_u32 v0, vcc_lo, v173, v0
	v_add_co_ci_u32_e64 v1, null, v174, v1, vcc_lo
	v_ashrrev_i32_e32 v107, 31, v106
	v_add_co_u32 v104, vcc_lo, v173, v104
	global_store_dwordx4 v[102:103], v[90:93], off
	v_add_nc_u32_e32 v92, s6, v108
	v_add_co_ci_u32_e64 v105, null, v174, v105, vcc_lo
	v_ashrrev_i32_e32 v109, 31, v108
	v_lshlrev_b64 v[90:91], 4, v[106:107]
	global_store_dwordx4 v[0:1], v[98:101], off
	global_store_dwordx4 v[104:105], v[94:97], off
	v_add_nc_u32_e32 v94, s6, v92
	v_ashrrev_i32_e32 v93, 31, v92
	v_lshlrev_b64 v[0:1], 4, v[108:109]
	v_add_co_u32 v90, vcc_lo, v173, v90
	v_add_nc_u32_e32 v96, s6, v94
	v_add_co_ci_u32_e64 v91, null, v174, v91, vcc_lo
	v_add_co_u32 v0, vcc_lo, v173, v0
	v_ashrrev_i32_e32 v95, 31, v94
	v_add_co_ci_u32_e64 v1, null, v174, v1, vcc_lo
	v_ashrrev_i32_e32 v97, 31, v96
	v_lshlrev_b64 v[92:93], 4, v[92:93]
	global_store_dwordx4 v[90:91], v[86:89], off
	global_store_dwordx4 v[0:1], v[82:85], off
	v_lshlrev_b64 v[0:1], 4, v[94:95]
	v_add_nc_u32_e32 v86, s6, v96
	v_lshlrev_b64 v[84:85], 4, v[96:97]
	v_add_co_u32 v82, vcc_lo, v173, v92
	v_add_co_ci_u32_e64 v83, null, v174, v93, vcc_lo
	v_add_co_u32 v0, vcc_lo, v173, v0
	v_add_co_ci_u32_e64 v1, null, v174, v1, vcc_lo
	v_ashrrev_i32_e32 v87, 31, v86
	v_add_co_u32 v84, vcc_lo, v173, v84
	v_add_nc_u32_e32 v88, s6, v86
	v_add_co_ci_u32_e64 v85, null, v174, v85, vcc_lo
	global_store_dwordx4 v[82:83], v[74:77], off
	v_lshlrev_b64 v[74:75], 4, v[86:87]
	v_ashrrev_i32_e32 v89, 31, v88
	global_store_dwordx4 v[0:1], v[70:73], off
	global_store_dwordx4 v[84:85], v[78:81], off
	v_add_nc_u32_e32 v70, s6, v88
	v_lshlrev_b64 v[0:1], 4, v[88:89]
	v_add_co_u32 v72, vcc_lo, v173, v74
	v_add_nc_u32_e32 v74, s6, v70
	v_ashrrev_i32_e32 v71, 31, v70
	v_add_co_ci_u32_e64 v73, null, v174, v75, vcc_lo
	v_add_co_u32 v0, vcc_lo, v173, v0
	v_add_nc_u32_e32 v76, s6, v74
	v_add_co_ci_u32_e64 v1, null, v174, v1, vcc_lo
	v_ashrrev_i32_e32 v75, 31, v74
	v_lshlrev_b64 v[70:71], 4, v[70:71]
	v_ashrrev_i32_e32 v77, 31, v76
	global_store_dwordx4 v[72:73], v[62:65], off
	global_store_dwordx4 v[0:1], v[66:69], off
	v_add_nc_u32_e32 v66, s6, v76
	v_lshlrev_b64 v[0:1], 4, v[74:75]
	v_add_co_u32 v62, vcc_lo, v173, v70
	v_lshlrev_b64 v[64:65], 4, v[76:77]
	v_add_co_ci_u32_e64 v63, null, v174, v71, vcc_lo
	v_add_nc_u32_e32 v68, s6, v66
	v_add_co_u32 v0, vcc_lo, v173, v0
	v_add_co_ci_u32_e64 v1, null, v174, v1, vcc_lo
	v_ashrrev_i32_e32 v67, 31, v66
	v_add_co_u32 v64, vcc_lo, v173, v64
	global_store_dwordx4 v[62:63], v[42:45], off
	v_add_nc_u32_e32 v44, s6, v68
	v_add_co_ci_u32_e64 v65, null, v174, v65, vcc_lo
	v_ashrrev_i32_e32 v69, 31, v68
	v_lshlrev_b64 v[42:43], 4, v[66:67]
	global_store_dwordx4 v[0:1], v[50:53], off
	global_store_dwordx4 v[64:65], v[46:49], off
	v_add_nc_u32_e32 v46, s6, v44
	v_ashrrev_i32_e32 v45, 31, v44
	v_lshlrev_b64 v[0:1], 4, v[68:69]
	v_add_co_u32 v42, vcc_lo, v173, v42
	v_add_nc_u32_e32 v48, s6, v46
	v_add_co_ci_u32_e64 v43, null, v174, v43, vcc_lo
	v_add_co_u32 v0, vcc_lo, v173, v0
	v_lshlrev_b64 v[44:45], 4, v[44:45]
	v_ashrrev_i32_e32 v47, 31, v46
	v_add_co_ci_u32_e64 v1, null, v174, v1, vcc_lo
	v_ashrrev_i32_e32 v49, 31, v48
	global_store_dwordx4 v[42:43], v[58:61], off
	global_store_dwordx4 v[0:1], v[54:57], off
	v_lshlrev_b64 v[0:1], 4, v[46:47]
	v_add_co_u32 v42, vcc_lo, v173, v44
	v_add_nc_u32_e32 v46, s6, v48
	v_add_co_ci_u32_e64 v43, null, v174, v45, vcc_lo
	v_lshlrev_b64 v[44:45], 4, v[48:49]
	v_add_co_u32 v0, vcc_lo, v173, v0
	v_add_nc_u32_e32 v48, s6, v46
	v_add_co_ci_u32_e64 v1, null, v174, v1, vcc_lo
	v_add_co_u32 v44, vcc_lo, v173, v44
	v_ashrrev_i32_e32 v47, 31, v46
	v_add_co_ci_u32_e64 v45, null, v174, v45, vcc_lo
	v_ashrrev_i32_e32 v49, 31, v48
	global_store_dwordx4 v[42:43], v[38:41], off
	v_lshlrev_b64 v[38:39], 4, v[46:47]
	global_store_dwordx4 v[0:1], v[34:37], off
	global_store_dwordx4 v[44:45], v[30:33], off
	v_add_nc_u32_e32 v30, s6, v48
	v_lshlrev_b64 v[0:1], 4, v[48:49]
	v_add_co_u32 v32, vcc_lo, v173, v38
	v_add_nc_u32_e32 v34, s6, v30
	v_add_co_ci_u32_e64 v33, null, v174, v39, vcc_lo
	v_add_co_u32 v0, vcc_lo, v173, v0
	v_add_co_ci_u32_e64 v1, null, v174, v1, vcc_lo
	v_add_nc_u32_e32 v36, s6, v34
	v_ashrrev_i32_e32 v31, 31, v30
	global_store_dwordx4 v[32:33], v[26:29], off
	global_store_dwordx4 v[0:1], v[22:25], off
	v_ashrrev_i32_e32 v35, 31, v34
	v_add_nc_u32_e32 v22, s6, v36
	v_lshlrev_b64 v[26:27], 4, v[30:31]
	v_ashrrev_i32_e32 v37, 31, v36
	v_lshlrev_b64 v[0:1], 4, v[34:35]
	v_add_nc_u32_e32 v28, s6, v22
	v_ashrrev_i32_e32 v23, 31, v22
	v_add_co_u32 v24, vcc_lo, v173, v26
	v_add_co_ci_u32_e64 v25, null, v174, v27, vcc_lo
	v_ashrrev_i32_e32 v29, 31, v28
	v_lshlrev_b64 v[26:27], 4, v[36:37]
	v_lshlrev_b64 v[22:23], 4, v[22:23]
	v_add_co_u32 v0, vcc_lo, v173, v0
	v_lshlrev_b64 v[28:29], 4, v[28:29]
	v_add_co_ci_u32_e64 v1, null, v174, v1, vcc_lo
	v_add_co_u32 v26, vcc_lo, v173, v26
	v_add_co_ci_u32_e64 v27, null, v174, v27, vcc_lo
	v_add_co_u32 v22, vcc_lo, v173, v22
	;; [unrolled: 2-line block ×3, first 2 shown]
	v_add_co_ci_u32_e64 v29, null, v174, v29, vcc_lo
	global_store_dwordx4 v[24:25], v[18:21], off
	global_store_dwordx4 v[0:1], v[14:17], off
	;; [unrolled: 1-line block ×5, first 2 shown]
.LBB78_843:
	s_endpgm
	.section	.rodata,"a",@progbits
	.p2align	6, 0x0
	.amdhsa_kernel _ZN9rocsolver6v33100L18getf2_small_kernelILi40E19rocblas_complex_numIdEiiPS3_EEvT1_T3_lS5_lPS5_llPT2_S5_S5_S7_l
		.amdhsa_group_segment_fixed_size 0
		.amdhsa_private_segment_fixed_size 0
		.amdhsa_kernarg_size 352
		.amdhsa_user_sgpr_count 6
		.amdhsa_user_sgpr_private_segment_buffer 1
		.amdhsa_user_sgpr_dispatch_ptr 0
		.amdhsa_user_sgpr_queue_ptr 0
		.amdhsa_user_sgpr_kernarg_segment_ptr 1
		.amdhsa_user_sgpr_dispatch_id 0
		.amdhsa_user_sgpr_flat_scratch_init 0
		.amdhsa_user_sgpr_private_segment_size 0
		.amdhsa_wavefront_size32 1
		.amdhsa_uses_dynamic_stack 0
		.amdhsa_system_sgpr_private_segment_wavefront_offset 0
		.amdhsa_system_sgpr_workgroup_id_x 1
		.amdhsa_system_sgpr_workgroup_id_y 1
		.amdhsa_system_sgpr_workgroup_id_z 0
		.amdhsa_system_sgpr_workgroup_info 0
		.amdhsa_system_vgpr_workitem_id 1
		.amdhsa_next_free_vgpr 188
		.amdhsa_next_free_sgpr 20
		.amdhsa_reserve_vcc 1
		.amdhsa_reserve_flat_scratch 0
		.amdhsa_float_round_mode_32 0
		.amdhsa_float_round_mode_16_64 0
		.amdhsa_float_denorm_mode_32 3
		.amdhsa_float_denorm_mode_16_64 3
		.amdhsa_dx10_clamp 1
		.amdhsa_ieee_mode 1
		.amdhsa_fp16_overflow 0
		.amdhsa_workgroup_processor_mode 1
		.amdhsa_memory_ordered 1
		.amdhsa_forward_progress 1
		.amdhsa_shared_vgpr_count 0
		.amdhsa_exception_fp_ieee_invalid_op 0
		.amdhsa_exception_fp_denorm_src 0
		.amdhsa_exception_fp_ieee_div_zero 0
		.amdhsa_exception_fp_ieee_overflow 0
		.amdhsa_exception_fp_ieee_underflow 0
		.amdhsa_exception_fp_ieee_inexact 0
		.amdhsa_exception_int_div_zero 0
	.end_amdhsa_kernel
	.section	.text._ZN9rocsolver6v33100L18getf2_small_kernelILi40E19rocblas_complex_numIdEiiPS3_EEvT1_T3_lS5_lPS5_llPT2_S5_S5_S7_l,"axG",@progbits,_ZN9rocsolver6v33100L18getf2_small_kernelILi40E19rocblas_complex_numIdEiiPS3_EEvT1_T3_lS5_lPS5_llPT2_S5_S5_S7_l,comdat
.Lfunc_end78:
	.size	_ZN9rocsolver6v33100L18getf2_small_kernelILi40E19rocblas_complex_numIdEiiPS3_EEvT1_T3_lS5_lPS5_llPT2_S5_S5_S7_l, .Lfunc_end78-_ZN9rocsolver6v33100L18getf2_small_kernelILi40E19rocblas_complex_numIdEiiPS3_EEvT1_T3_lS5_lPS5_llPT2_S5_S5_S7_l
                                        ; -- End function
	.set _ZN9rocsolver6v33100L18getf2_small_kernelILi40E19rocblas_complex_numIdEiiPS3_EEvT1_T3_lS5_lPS5_llPT2_S5_S5_S7_l.num_vgpr, 188
	.set _ZN9rocsolver6v33100L18getf2_small_kernelILi40E19rocblas_complex_numIdEiiPS3_EEvT1_T3_lS5_lPS5_llPT2_S5_S5_S7_l.num_agpr, 0
	.set _ZN9rocsolver6v33100L18getf2_small_kernelILi40E19rocblas_complex_numIdEiiPS3_EEvT1_T3_lS5_lPS5_llPT2_S5_S5_S7_l.numbered_sgpr, 20
	.set _ZN9rocsolver6v33100L18getf2_small_kernelILi40E19rocblas_complex_numIdEiiPS3_EEvT1_T3_lS5_lPS5_llPT2_S5_S5_S7_l.num_named_barrier, 0
	.set _ZN9rocsolver6v33100L18getf2_small_kernelILi40E19rocblas_complex_numIdEiiPS3_EEvT1_T3_lS5_lPS5_llPT2_S5_S5_S7_l.private_seg_size, 0
	.set _ZN9rocsolver6v33100L18getf2_small_kernelILi40E19rocblas_complex_numIdEiiPS3_EEvT1_T3_lS5_lPS5_llPT2_S5_S5_S7_l.uses_vcc, 1
	.set _ZN9rocsolver6v33100L18getf2_small_kernelILi40E19rocblas_complex_numIdEiiPS3_EEvT1_T3_lS5_lPS5_llPT2_S5_S5_S7_l.uses_flat_scratch, 0
	.set _ZN9rocsolver6v33100L18getf2_small_kernelILi40E19rocblas_complex_numIdEiiPS3_EEvT1_T3_lS5_lPS5_llPT2_S5_S5_S7_l.has_dyn_sized_stack, 0
	.set _ZN9rocsolver6v33100L18getf2_small_kernelILi40E19rocblas_complex_numIdEiiPS3_EEvT1_T3_lS5_lPS5_llPT2_S5_S5_S7_l.has_recursion, 0
	.set _ZN9rocsolver6v33100L18getf2_small_kernelILi40E19rocblas_complex_numIdEiiPS3_EEvT1_T3_lS5_lPS5_llPT2_S5_S5_S7_l.has_indirect_call, 0
	.section	.AMDGPU.csdata,"",@progbits
; Kernel info:
; codeLenInByte = 96048
; TotalNumSgprs: 22
; NumVgprs: 188
; ScratchSize: 0
; MemoryBound: 0
; FloatMode: 240
; IeeeMode: 1
; LDSByteSize: 0 bytes/workgroup (compile time only)
; SGPRBlocks: 0
; VGPRBlocks: 23
; NumSGPRsForWavesPerEU: 22
; NumVGPRsForWavesPerEU: 188
; Occupancy: 5
; WaveLimiterHint : 0
; COMPUTE_PGM_RSRC2:SCRATCH_EN: 0
; COMPUTE_PGM_RSRC2:USER_SGPR: 6
; COMPUTE_PGM_RSRC2:TRAP_HANDLER: 0
; COMPUTE_PGM_RSRC2:TGID_X_EN: 1
; COMPUTE_PGM_RSRC2:TGID_Y_EN: 1
; COMPUTE_PGM_RSRC2:TGID_Z_EN: 0
; COMPUTE_PGM_RSRC2:TIDIG_COMP_CNT: 1
	.section	.text._ZN9rocsolver6v33100L23getf2_npvt_small_kernelILi40E19rocblas_complex_numIdEiiPS3_EEvT1_T3_lS5_lPT2_S5_S5_,"axG",@progbits,_ZN9rocsolver6v33100L23getf2_npvt_small_kernelILi40E19rocblas_complex_numIdEiiPS3_EEvT1_T3_lS5_lPT2_S5_S5_,comdat
	.globl	_ZN9rocsolver6v33100L23getf2_npvt_small_kernelILi40E19rocblas_complex_numIdEiiPS3_EEvT1_T3_lS5_lPT2_S5_S5_ ; -- Begin function _ZN9rocsolver6v33100L23getf2_npvt_small_kernelILi40E19rocblas_complex_numIdEiiPS3_EEvT1_T3_lS5_lPT2_S5_S5_
	.p2align	8
	.type	_ZN9rocsolver6v33100L23getf2_npvt_small_kernelILi40E19rocblas_complex_numIdEiiPS3_EEvT1_T3_lS5_lPT2_S5_S5_,@function
_ZN9rocsolver6v33100L23getf2_npvt_small_kernelILi40E19rocblas_complex_numIdEiiPS3_EEvT1_T3_lS5_lPT2_S5_S5_: ; @_ZN9rocsolver6v33100L23getf2_npvt_small_kernelILi40E19rocblas_complex_numIdEiiPS3_EEvT1_T3_lS5_lPT2_S5_S5_
; %bb.0:
	s_mov_b64 s[18:19], s[2:3]
	s_mov_b64 s[16:17], s[0:1]
	s_clause 0x1
	s_load_dword s0, s[4:5], 0x44
	s_load_dwordx2 s[12:13], s[4:5], 0x30
	s_add_u32 s16, s16, s8
	s_addc_u32 s17, s17, 0
	s_waitcnt lgkmcnt(0)
	s_lshr_b32 s14, s0, 16
	s_mov_b32 s0, exec_lo
	v_mad_u64_u32 v[2:3], null, s7, s14, v[1:2]
	v_cmpx_gt_i32_e64 s12, v2
	s_cbranch_execz .LBB79_365
; %bb.1:
	s_clause 0x2
	s_load_dwordx4 s[8:11], s[4:5], 0x20
	s_load_dword s6, s[4:5], 0x18
	s_load_dwordx4 s[0:3], s[4:5], 0x8
	v_ashrrev_i32_e32 v3, 31, v2
	s_mulk_i32 s14, 0x280
	v_mad_u32_u24 v254, 0x280, v1, 0
	s_waitcnt lgkmcnt(0)
	v_mul_lo_u32 v5, s9, v2
	v_mul_lo_u32 v7, s8, v3
	buffer_store_dword v2, off, s[16:19], 0 offset:616 ; 4-byte Folded Spill
	buffer_store_dword v3, off, s[16:19], 0 offset:620 ; 4-byte Folded Spill
	v_add3_u32 v4, s6, s6, v0
	s_lshl_b64 s[2:3], s[2:3], 4
	s_ashr_i32 s7, s6, 31
	v_add_nc_u32_e32 v6, s6, v4
	v_add_nc_u32_e32 v8, s6, v6
	;; [unrolled: 1-line block ×3, first 2 shown]
	v_ashrrev_i32_e32 v9, 31, v8
	v_add_nc_u32_e32 v12, s6, v10
	v_ashrrev_i32_e32 v11, 31, v10
	v_lshlrev_b64 v[8:9], 4, v[8:9]
	v_add_nc_u32_e32 v14, s6, v12
	v_ashrrev_i32_e32 v13, 31, v12
	v_lshlrev_b64 v[10:11], 4, v[10:11]
	v_ashrrev_i32_e32 v15, 31, v14
	v_mad_u64_u32 v[2:3], null, s8, v2, 0
	v_add3_u32 v3, v3, v7, v5
	v_ashrrev_i32_e32 v5, 31, v4
	v_ashrrev_i32_e32 v7, 31, v6
	v_lshlrev_b64 v[2:3], 4, v[2:3]
	v_lshlrev_b64 v[4:5], 4, v[4:5]
	;; [unrolled: 1-line block ×3, first 2 shown]
	v_add_co_u32 v2, vcc_lo, s0, v2
	v_add_co_ci_u32_e64 v3, null, s1, v3, vcc_lo
	s_lshl_b64 s[0:1], s[6:7], 4
	v_add_co_u32 v2, vcc_lo, v2, s2
	v_add_co_ci_u32_e64 v3, null, s3, v3, vcc_lo
	v_add_co_u32 v240, vcc_lo, v2, v4
	v_add_co_ci_u32_e64 v241, null, v3, v5, vcc_lo
	v_add_co_u32 v234, vcc_lo, v2, v6
	v_add_nc_u32_e32 v6, s6, v14
	v_lshlrev_b64 v[4:5], 4, v[12:13]
	v_add_co_ci_u32_e64 v235, null, v3, v7, vcc_lo
	v_add_co_u32 v236, vcc_lo, v2, v8
	v_add_co_ci_u32_e64 v237, null, v3, v9, vcc_lo
	v_add_co_u32 v238, vcc_lo, v2, v10
	v_ashrrev_i32_e32 v7, 31, v6
	v_add_nc_u32_e32 v10, s6, v6
	v_lshlrev_b64 v[8:9], 4, v[14:15]
	v_add_co_ci_u32_e64 v239, null, v3, v11, vcc_lo
	v_add_co_u32 v244, vcc_lo, v2, v4
	v_add_co_ci_u32_e64 v245, null, v3, v5, vcc_lo
	v_lshlrev_b64 v[4:5], 4, v[6:7]
	v_ashrrev_i32_e32 v11, 31, v10
	v_add_nc_u32_e32 v6, s6, v10
	v_add_co_u32 v242, vcc_lo, v2, v8
	v_add_co_ci_u32_e64 v243, null, v3, v9, vcc_lo
	v_lshlrev_b64 v[8:9], 4, v[10:11]
	v_ashrrev_i32_e32 v7, 31, v6
	v_add_nc_u32_e32 v10, s6, v6
	;; [unrolled: 5-line block ×28, first 2 shown]
	v_add_co_u32 v170, vcc_lo, v2, v4
	v_add_co_ci_u32_e64 v171, null, v3, v5, vcc_lo
	v_lshlrev_b64 v[4:5], 4, v[6:7]
	v_add_nc_u32_e32 v6, s6, v10
	v_ashrrev_i32_e32 v11, 31, v10
	v_add_co_u32 v172, vcc_lo, v2, v8
	v_add_co_ci_u32_e64 v173, null, v3, v9, vcc_lo
	v_ashrrev_i32_e32 v7, 31, v6
	v_lshlrev_b64 v[8:9], 4, v[10:11]
	v_add_co_u32 v10, vcc_lo, v2, v4
	v_add_co_ci_u32_e64 v11, null, v3, v5, vcc_lo
	v_lshlrev_b64 v[4:5], 4, v[6:7]
	v_add_nc_u32_e32 v6, s6, v6
	v_add_co_u32 v174, vcc_lo, v2, v8
	v_lshlrev_b32_e32 v8, 4, v0
	v_add_co_ci_u32_e64 v175, null, v3, v9, vcc_lo
	v_add_co_u32 v176, vcc_lo, v2, v4
	v_ashrrev_i32_e32 v7, 31, v6
	v_add_co_ci_u32_e64 v177, null, v3, v5, vcc_lo
	v_add_co_u32 v8, vcc_lo, v2, v8
	v_add_co_ci_u32_e64 v9, null, 0, v3, vcc_lo
	v_lshlrev_b64 v[4:5], 4, v[6:7]
	v_add_co_u32 v6, vcc_lo, v8, s0
	v_add_co_ci_u32_e64 v7, null, s1, v9, vcc_lo
	buffer_store_dword v8, off, s[16:19], 0 offset:224 ; 4-byte Folded Spill
	buffer_store_dword v9, off, s[16:19], 0 offset:228 ; 4-byte Folded Spill
	v_add_co_u32 v2, vcc_lo, v2, v4
	v_add_co_ci_u32_e64 v3, null, v3, v5, vcc_lo
	v_cmp_ne_u32_e64 s1, 0, v0
	v_cmp_eq_u32_e64 s0, 0, v0
	global_load_dwordx4 v[158:161], v[8:9], off
	buffer_store_dword v6, off, s[16:19], 0 offset:216 ; 4-byte Folded Spill
	buffer_store_dword v7, off, s[16:19], 0 offset:220 ; 4-byte Folded Spill
	s_clause 0xb
	global_load_dwordx4 v[154:157], v[6:7], off
	global_load_dwordx4 v[150:153], v[240:241], off
	;; [unrolled: 1-line block ×12, first 2 shown]
	buffer_store_dword v12, off, s[16:19], 0 ; 4-byte Folded Spill
	buffer_store_dword v13, off, s[16:19], 0 offset:4 ; 4-byte Folded Spill
	global_load_dwordx4 v[106:109], v[12:13], off
	buffer_store_dword v14, off, s[16:19], 0 offset:8 ; 4-byte Folded Spill
	buffer_store_dword v15, off, s[16:19], 0 offset:12 ; 4-byte Folded Spill
	global_load_dwordx4 v[102:105], v[14:15], off
	buffer_store_dword v16, off, s[16:19], 0 offset:16 ; 4-byte Folded Spill
	buffer_store_dword v17, off, s[16:19], 0 offset:20 ; 4-byte Folded Spill
	global_load_dwordx4 v[98:101], v[16:17], off
	buffer_store_dword v18, off, s[16:19], 0 offset:24 ; 4-byte Folded Spill
	buffer_store_dword v19, off, s[16:19], 0 offset:28 ; 4-byte Folded Spill
	global_load_dwordx4 v[94:97], v[18:19], off
	buffer_store_dword v20, off, s[16:19], 0 offset:32 ; 4-byte Folded Spill
	buffer_store_dword v21, off, s[16:19], 0 offset:36 ; 4-byte Folded Spill
	global_load_dwordx4 v[90:93], v[20:21], off
	buffer_store_dword v22, off, s[16:19], 0 offset:40 ; 4-byte Folded Spill
	buffer_store_dword v23, off, s[16:19], 0 offset:44 ; 4-byte Folded Spill
	global_load_dwordx4 v[86:89], v[22:23], off
	buffer_store_dword v24, off, s[16:19], 0 offset:48 ; 4-byte Folded Spill
	buffer_store_dword v25, off, s[16:19], 0 offset:52 ; 4-byte Folded Spill
	global_load_dwordx4 v[82:85], v[24:25], off
	buffer_store_dword v26, off, s[16:19], 0 offset:56 ; 4-byte Folded Spill
	buffer_store_dword v27, off, s[16:19], 0 offset:60 ; 4-byte Folded Spill
	global_load_dwordx4 v[78:81], v[26:27], off
	buffer_store_dword v28, off, s[16:19], 0 offset:64 ; 4-byte Folded Spill
	buffer_store_dword v29, off, s[16:19], 0 offset:68 ; 4-byte Folded Spill
	global_load_dwordx4 v[74:77], v[28:29], off
	buffer_store_dword v30, off, s[16:19], 0 offset:72 ; 4-byte Folded Spill
	buffer_store_dword v31, off, s[16:19], 0 offset:76 ; 4-byte Folded Spill
	global_load_dwordx4 v[70:73], v[30:31], off
	buffer_store_dword v32, off, s[16:19], 0 offset:80 ; 4-byte Folded Spill
	buffer_store_dword v33, off, s[16:19], 0 offset:84 ; 4-byte Folded Spill
	global_load_dwordx4 v[66:69], v[32:33], off
	buffer_store_dword v34, off, s[16:19], 0 offset:88 ; 4-byte Folded Spill
	buffer_store_dword v35, off, s[16:19], 0 offset:92 ; 4-byte Folded Spill
	global_load_dwordx4 v[62:65], v[34:35], off
	buffer_store_dword v36, off, s[16:19], 0 offset:96 ; 4-byte Folded Spill
	buffer_store_dword v37, off, s[16:19], 0 offset:100 ; 4-byte Folded Spill
	global_load_dwordx4 v[58:61], v[36:37], off
	buffer_store_dword v38, off, s[16:19], 0 offset:104 ; 4-byte Folded Spill
	buffer_store_dword v39, off, s[16:19], 0 offset:108 ; 4-byte Folded Spill
	global_load_dwordx4 v[54:57], v[38:39], off
	buffer_store_dword v40, off, s[16:19], 0 offset:112 ; 4-byte Folded Spill
	buffer_store_dword v41, off, s[16:19], 0 offset:116 ; 4-byte Folded Spill
	global_load_dwordx4 v[50:53], v[40:41], off
	buffer_store_dword v42, off, s[16:19], 0 offset:120 ; 4-byte Folded Spill
	buffer_store_dword v43, off, s[16:19], 0 offset:124 ; 4-byte Folded Spill
	global_load_dwordx4 v[46:49], v[42:43], off
	buffer_store_dword v44, off, s[16:19], 0 offset:128 ; 4-byte Folded Spill
	buffer_store_dword v45, off, s[16:19], 0 offset:132 ; 4-byte Folded Spill
	global_load_dwordx4 v[42:45], v[44:45], off
	buffer_store_dword v162, off, s[16:19], 0 offset:136 ; 4-byte Folded Spill
	buffer_store_dword v163, off, s[16:19], 0 offset:140 ; 4-byte Folded Spill
	global_load_dwordx4 v[38:41], v[162:163], off
	buffer_store_dword v164, off, s[16:19], 0 offset:144 ; 4-byte Folded Spill
	buffer_store_dword v165, off, s[16:19], 0 offset:148 ; 4-byte Folded Spill
	v_lshlrev_b32_e32 v162, 4, v1
	v_add3_u32 v1, 0, s14, v162
	global_load_dwordx4 v[34:37], v[164:165], off
	buffer_store_dword v166, off, s[16:19], 0 offset:152 ; 4-byte Folded Spill
	buffer_store_dword v167, off, s[16:19], 0 offset:156 ; 4-byte Folded Spill
	global_load_dwordx4 v[30:33], v[166:167], off
	buffer_store_dword v168, off, s[16:19], 0 offset:160 ; 4-byte Folded Spill
	buffer_store_dword v169, off, s[16:19], 0 offset:164 ; 4-byte Folded Spill
	;; [unrolled: 3-line block ×8, first 2 shown]
	global_load_dwordx4 v[2:5], v[2:3], off
	s_and_saveexec_b32 s3, s0
	s_cbranch_execz .LBB79_8
; %bb.2:
	s_waitcnt vmcnt(39)
	ds_write2_b64 v1, v[158:159], v[160:161] offset1:1
	s_waitcnt vmcnt(38)
	ds_write2_b64 v254, v[154:155], v[156:157] offset0:2 offset1:3
	s_waitcnt vmcnt(37)
	ds_write2_b64 v254, v[150:151], v[152:153] offset0:4 offset1:5
	;; [unrolled: 2-line block ×39, first 2 shown]
	ds_read2_b64 v[162:165], v1 offset1:1
	s_waitcnt lgkmcnt(0)
	v_cmp_neq_f64_e32 vcc_lo, 0, v[162:163]
	v_cmp_neq_f64_e64 s2, 0, v[164:165]
	s_or_b32 s2, vcc_lo, s2
	s_and_b32 exec_lo, exec_lo, s2
	s_cbranch_execz .LBB79_8
; %bb.3:
	v_cmp_ngt_f64_e64 s2, |v[162:163]|, |v[164:165]|
                                        ; implicit-def: $vgpr166_vgpr167
	s_and_saveexec_b32 s4, s2
	s_xor_b32 s2, exec_lo, s4
                                        ; implicit-def: $vgpr168_vgpr169
	s_cbranch_execz .LBB79_5
; %bb.4:
	v_div_scale_f64 v[166:167], null, v[164:165], v[164:165], v[162:163]
	v_div_scale_f64 v[172:173], vcc_lo, v[162:163], v[164:165], v[162:163]
	v_rcp_f64_e32 v[168:169], v[166:167]
	v_fma_f64 v[170:171], -v[166:167], v[168:169], 1.0
	v_fma_f64 v[168:169], v[168:169], v[170:171], v[168:169]
	v_fma_f64 v[170:171], -v[166:167], v[168:169], 1.0
	v_fma_f64 v[168:169], v[168:169], v[170:171], v[168:169]
	v_mul_f64 v[170:171], v[172:173], v[168:169]
	v_fma_f64 v[166:167], -v[166:167], v[170:171], v[172:173]
	v_div_fmas_f64 v[166:167], v[166:167], v[168:169], v[170:171]
	v_div_fixup_f64 v[166:167], v[166:167], v[164:165], v[162:163]
	v_fma_f64 v[162:163], v[162:163], v[166:167], v[164:165]
	v_div_scale_f64 v[164:165], null, v[162:163], v[162:163], 1.0
	v_rcp_f64_e32 v[168:169], v[164:165]
	v_fma_f64 v[170:171], -v[164:165], v[168:169], 1.0
	v_fma_f64 v[168:169], v[168:169], v[170:171], v[168:169]
	v_fma_f64 v[170:171], -v[164:165], v[168:169], 1.0
	v_fma_f64 v[168:169], v[168:169], v[170:171], v[168:169]
	v_div_scale_f64 v[170:171], vcc_lo, 1.0, v[162:163], 1.0
	v_mul_f64 v[172:173], v[170:171], v[168:169]
	v_fma_f64 v[164:165], -v[164:165], v[172:173], v[170:171]
	v_div_fmas_f64 v[164:165], v[164:165], v[168:169], v[172:173]
	v_div_fixup_f64 v[168:169], v[164:165], v[162:163], 1.0
                                        ; implicit-def: $vgpr162_vgpr163
	v_mul_f64 v[166:167], v[166:167], v[168:169]
	v_xor_b32_e32 v169, 0x80000000, v169
.LBB79_5:
	s_andn2_saveexec_b32 s2, s2
	s_cbranch_execz .LBB79_7
; %bb.6:
	v_div_scale_f64 v[166:167], null, v[162:163], v[162:163], v[164:165]
	v_div_scale_f64 v[172:173], vcc_lo, v[164:165], v[162:163], v[164:165]
	v_rcp_f64_e32 v[168:169], v[166:167]
	v_fma_f64 v[170:171], -v[166:167], v[168:169], 1.0
	v_fma_f64 v[168:169], v[168:169], v[170:171], v[168:169]
	v_fma_f64 v[170:171], -v[166:167], v[168:169], 1.0
	v_fma_f64 v[168:169], v[168:169], v[170:171], v[168:169]
	v_mul_f64 v[170:171], v[172:173], v[168:169]
	v_fma_f64 v[166:167], -v[166:167], v[170:171], v[172:173]
	v_div_fmas_f64 v[166:167], v[166:167], v[168:169], v[170:171]
	v_div_fixup_f64 v[168:169], v[166:167], v[162:163], v[164:165]
	v_fma_f64 v[162:163], v[164:165], v[168:169], v[162:163]
	v_div_scale_f64 v[164:165], null, v[162:163], v[162:163], 1.0
	v_rcp_f64_e32 v[166:167], v[164:165]
	v_fma_f64 v[170:171], -v[164:165], v[166:167], 1.0
	v_fma_f64 v[166:167], v[166:167], v[170:171], v[166:167]
	v_fma_f64 v[170:171], -v[164:165], v[166:167], 1.0
	v_fma_f64 v[166:167], v[166:167], v[170:171], v[166:167]
	v_div_scale_f64 v[170:171], vcc_lo, 1.0, v[162:163], 1.0
	v_mul_f64 v[172:173], v[170:171], v[166:167]
	v_fma_f64 v[164:165], -v[164:165], v[172:173], v[170:171]
	v_div_fmas_f64 v[164:165], v[164:165], v[166:167], v[172:173]
	v_div_fixup_f64 v[166:167], v[164:165], v[162:163], 1.0
	v_mul_f64 v[168:169], v[168:169], -v[166:167]
.LBB79_7:
	s_or_b32 exec_lo, exec_lo, s2
	ds_write2_b64 v1, v[166:167], v[168:169] offset1:1
.LBB79_8:
	s_or_b32 exec_lo, exec_lo, s3
	s_waitcnt vmcnt(0) lgkmcnt(0)
	s_waitcnt_vscnt null, 0x0
	s_barrier
	buffer_gl0_inv
	ds_read2_b64 v[162:165], v1 offset1:1
	s_waitcnt lgkmcnt(0)
	buffer_store_dword v162, off, s[16:19], 0 offset:232 ; 4-byte Folded Spill
	buffer_store_dword v163, off, s[16:19], 0 offset:236 ; 4-byte Folded Spill
	;; [unrolled: 1-line block ×4, first 2 shown]
	s_and_saveexec_b32 s2, s1
	s_cbranch_execz .LBB79_10
; %bb.9:
	s_clause 0x3
	buffer_load_dword v164, off, s[16:19], 0 offset:232
	buffer_load_dword v165, off, s[16:19], 0 offset:236
	;; [unrolled: 1-line block ×4, first 2 shown]
	s_waitcnt vmcnt(0)
	v_mul_f64 v[162:163], v[166:167], v[160:161]
	v_mul_f64 v[160:161], v[164:165], v[160:161]
	v_fma_f64 v[162:163], v[164:165], v[158:159], -v[162:163]
	v_fma_f64 v[160:161], v[166:167], v[158:159], v[160:161]
	ds_read2_b64 v[164:167], v254 offset0:2 offset1:3
	s_waitcnt lgkmcnt(0)
	v_mul_f64 v[158:159], v[166:167], v[160:161]
	v_fma_f64 v[158:159], v[164:165], v[162:163], -v[158:159]
	v_mul_f64 v[164:165], v[164:165], v[160:161]
	v_add_f64 v[154:155], v[154:155], -v[158:159]
	v_fma_f64 v[164:165], v[166:167], v[162:163], v[164:165]
	v_add_f64 v[156:157], v[156:157], -v[164:165]
	ds_read2_b64 v[164:167], v254 offset0:4 offset1:5
	s_waitcnt lgkmcnt(0)
	v_mul_f64 v[158:159], v[166:167], v[160:161]
	v_fma_f64 v[158:159], v[164:165], v[162:163], -v[158:159]
	v_mul_f64 v[164:165], v[164:165], v[160:161]
	v_add_f64 v[150:151], v[150:151], -v[158:159]
	v_fma_f64 v[164:165], v[166:167], v[162:163], v[164:165]
	v_add_f64 v[152:153], v[152:153], -v[164:165]
	;; [unrolled: 8-line block ×38, first 2 shown]
	ds_read2_b64 v[164:167], v254 offset0:78 offset1:79
	s_waitcnt lgkmcnt(0)
	v_mul_f64 v[158:159], v[166:167], v[160:161]
	v_fma_f64 v[158:159], v[164:165], v[162:163], -v[158:159]
	v_mul_f64 v[164:165], v[164:165], v[160:161]
	v_add_f64 v[2:3], v[2:3], -v[158:159]
	v_fma_f64 v[164:165], v[166:167], v[162:163], v[164:165]
	v_mov_b32_e32 v158, v162
	v_mov_b32_e32 v159, v163
	v_add_f64 v[4:5], v[4:5], -v[164:165]
.LBB79_10:
	s_or_b32 exec_lo, exec_lo, s2
	s_mov_b32 s2, exec_lo
	s_waitcnt_vscnt null, 0x0
	s_barrier
	buffer_gl0_inv
	v_cmpx_eq_u32_e32 1, v0
	s_cbranch_execz .LBB79_17
; %bb.11:
	ds_write2_b64 v1, v[154:155], v[156:157] offset1:1
	ds_write2_b64 v254, v[150:151], v[152:153] offset0:4 offset1:5
	ds_write2_b64 v254, v[146:147], v[148:149] offset0:6 offset1:7
	;; [unrolled: 1-line block ×38, first 2 shown]
	ds_read2_b64 v[162:165], v1 offset1:1
	s_waitcnt lgkmcnt(0)
	v_cmp_neq_f64_e32 vcc_lo, 0, v[162:163]
	v_cmp_neq_f64_e64 s1, 0, v[164:165]
	s_or_b32 s1, vcc_lo, s1
	s_and_b32 exec_lo, exec_lo, s1
	s_cbranch_execz .LBB79_17
; %bb.12:
	v_cmp_ngt_f64_e64 s1, |v[162:163]|, |v[164:165]|
                                        ; implicit-def: $vgpr166_vgpr167
	s_and_saveexec_b32 s3, s1
	s_xor_b32 s1, exec_lo, s3
                                        ; implicit-def: $vgpr168_vgpr169
	s_cbranch_execz .LBB79_14
; %bb.13:
	v_div_scale_f64 v[166:167], null, v[164:165], v[164:165], v[162:163]
	v_div_scale_f64 v[172:173], vcc_lo, v[162:163], v[164:165], v[162:163]
	v_rcp_f64_e32 v[168:169], v[166:167]
	v_fma_f64 v[170:171], -v[166:167], v[168:169], 1.0
	v_fma_f64 v[168:169], v[168:169], v[170:171], v[168:169]
	v_fma_f64 v[170:171], -v[166:167], v[168:169], 1.0
	v_fma_f64 v[168:169], v[168:169], v[170:171], v[168:169]
	v_mul_f64 v[170:171], v[172:173], v[168:169]
	v_fma_f64 v[166:167], -v[166:167], v[170:171], v[172:173]
	v_div_fmas_f64 v[166:167], v[166:167], v[168:169], v[170:171]
	v_div_fixup_f64 v[166:167], v[166:167], v[164:165], v[162:163]
	v_fma_f64 v[162:163], v[162:163], v[166:167], v[164:165]
	v_div_scale_f64 v[164:165], null, v[162:163], v[162:163], 1.0
	v_rcp_f64_e32 v[168:169], v[164:165]
	v_fma_f64 v[170:171], -v[164:165], v[168:169], 1.0
	v_fma_f64 v[168:169], v[168:169], v[170:171], v[168:169]
	v_fma_f64 v[170:171], -v[164:165], v[168:169], 1.0
	v_fma_f64 v[168:169], v[168:169], v[170:171], v[168:169]
	v_div_scale_f64 v[170:171], vcc_lo, 1.0, v[162:163], 1.0
	v_mul_f64 v[172:173], v[170:171], v[168:169]
	v_fma_f64 v[164:165], -v[164:165], v[172:173], v[170:171]
	v_div_fmas_f64 v[164:165], v[164:165], v[168:169], v[172:173]
	v_div_fixup_f64 v[168:169], v[164:165], v[162:163], 1.0
                                        ; implicit-def: $vgpr162_vgpr163
	v_mul_f64 v[166:167], v[166:167], v[168:169]
	v_xor_b32_e32 v169, 0x80000000, v169
.LBB79_14:
	s_andn2_saveexec_b32 s1, s1
	s_cbranch_execz .LBB79_16
; %bb.15:
	v_div_scale_f64 v[166:167], null, v[162:163], v[162:163], v[164:165]
	v_div_scale_f64 v[172:173], vcc_lo, v[164:165], v[162:163], v[164:165]
	v_rcp_f64_e32 v[168:169], v[166:167]
	v_fma_f64 v[170:171], -v[166:167], v[168:169], 1.0
	v_fma_f64 v[168:169], v[168:169], v[170:171], v[168:169]
	v_fma_f64 v[170:171], -v[166:167], v[168:169], 1.0
	v_fma_f64 v[168:169], v[168:169], v[170:171], v[168:169]
	v_mul_f64 v[170:171], v[172:173], v[168:169]
	v_fma_f64 v[166:167], -v[166:167], v[170:171], v[172:173]
	v_div_fmas_f64 v[166:167], v[166:167], v[168:169], v[170:171]
	v_div_fixup_f64 v[168:169], v[166:167], v[162:163], v[164:165]
	v_fma_f64 v[162:163], v[164:165], v[168:169], v[162:163]
	v_div_scale_f64 v[164:165], null, v[162:163], v[162:163], 1.0
	v_rcp_f64_e32 v[166:167], v[164:165]
	v_fma_f64 v[170:171], -v[164:165], v[166:167], 1.0
	v_fma_f64 v[166:167], v[166:167], v[170:171], v[166:167]
	v_fma_f64 v[170:171], -v[164:165], v[166:167], 1.0
	v_fma_f64 v[166:167], v[166:167], v[170:171], v[166:167]
	v_div_scale_f64 v[170:171], vcc_lo, 1.0, v[162:163], 1.0
	v_mul_f64 v[172:173], v[170:171], v[166:167]
	v_fma_f64 v[164:165], -v[164:165], v[172:173], v[170:171]
	v_div_fmas_f64 v[164:165], v[164:165], v[166:167], v[172:173]
	v_div_fixup_f64 v[166:167], v[164:165], v[162:163], 1.0
	v_mul_f64 v[168:169], v[168:169], -v[166:167]
.LBB79_16:
	s_or_b32 exec_lo, exec_lo, s1
	ds_write2_b64 v1, v[166:167], v[168:169] offset1:1
.LBB79_17:
	s_or_b32 exec_lo, exec_lo, s2
	s_waitcnt lgkmcnt(0)
	s_barrier
	buffer_gl0_inv
	ds_read2_b64 v[162:165], v1 offset1:1
	s_mov_b32 s1, exec_lo
	s_waitcnt lgkmcnt(0)
	buffer_store_dword v162, off, s[16:19], 0 offset:248 ; 4-byte Folded Spill
	buffer_store_dword v163, off, s[16:19], 0 offset:252 ; 4-byte Folded Spill
	;; [unrolled: 1-line block ×4, first 2 shown]
	v_cmpx_lt_u32_e32 1, v0
	s_cbranch_execz .LBB79_19
; %bb.18:
	s_clause 0x3
	buffer_load_dword v164, off, s[16:19], 0 offset:248
	buffer_load_dword v165, off, s[16:19], 0 offset:252
	;; [unrolled: 1-line block ×4, first 2 shown]
	s_waitcnt vmcnt(0)
	v_mul_f64 v[162:163], v[166:167], v[156:157]
	v_mul_f64 v[156:157], v[164:165], v[156:157]
	v_fma_f64 v[162:163], v[164:165], v[154:155], -v[162:163]
	v_fma_f64 v[156:157], v[166:167], v[154:155], v[156:157]
	ds_read2_b64 v[164:167], v254 offset0:4 offset1:5
	s_waitcnt lgkmcnt(0)
	v_mul_f64 v[154:155], v[166:167], v[156:157]
	v_fma_f64 v[154:155], v[164:165], v[162:163], -v[154:155]
	v_mul_f64 v[164:165], v[164:165], v[156:157]
	v_add_f64 v[150:151], v[150:151], -v[154:155]
	v_fma_f64 v[164:165], v[166:167], v[162:163], v[164:165]
	v_add_f64 v[152:153], v[152:153], -v[164:165]
	ds_read2_b64 v[164:167], v254 offset0:6 offset1:7
	s_waitcnt lgkmcnt(0)
	v_mul_f64 v[154:155], v[166:167], v[156:157]
	v_fma_f64 v[154:155], v[164:165], v[162:163], -v[154:155]
	v_mul_f64 v[164:165], v[164:165], v[156:157]
	v_add_f64 v[146:147], v[146:147], -v[154:155]
	v_fma_f64 v[164:165], v[166:167], v[162:163], v[164:165]
	v_add_f64 v[148:149], v[148:149], -v[164:165]
	ds_read2_b64 v[164:167], v254 offset0:8 offset1:9
	s_waitcnt lgkmcnt(0)
	v_mul_f64 v[154:155], v[166:167], v[156:157]
	v_fma_f64 v[154:155], v[164:165], v[162:163], -v[154:155]
	v_mul_f64 v[164:165], v[164:165], v[156:157]
	v_add_f64 v[142:143], v[142:143], -v[154:155]
	v_fma_f64 v[164:165], v[166:167], v[162:163], v[164:165]
	v_add_f64 v[144:145], v[144:145], -v[164:165]
	ds_read2_b64 v[164:167], v254 offset0:10 offset1:11
	s_waitcnt lgkmcnt(0)
	v_mul_f64 v[154:155], v[166:167], v[156:157]
	v_fma_f64 v[154:155], v[164:165], v[162:163], -v[154:155]
	v_mul_f64 v[164:165], v[164:165], v[156:157]
	v_add_f64 v[138:139], v[138:139], -v[154:155]
	v_fma_f64 v[164:165], v[166:167], v[162:163], v[164:165]
	v_add_f64 v[140:141], v[140:141], -v[164:165]
	ds_read2_b64 v[164:167], v254 offset0:12 offset1:13
	s_waitcnt lgkmcnt(0)
	v_mul_f64 v[154:155], v[166:167], v[156:157]
	v_fma_f64 v[154:155], v[164:165], v[162:163], -v[154:155]
	v_mul_f64 v[164:165], v[164:165], v[156:157]
	v_add_f64 v[134:135], v[134:135], -v[154:155]
	v_fma_f64 v[164:165], v[166:167], v[162:163], v[164:165]
	v_add_f64 v[136:137], v[136:137], -v[164:165]
	ds_read2_b64 v[164:167], v254 offset0:14 offset1:15
	s_waitcnt lgkmcnt(0)
	v_mul_f64 v[154:155], v[166:167], v[156:157]
	v_fma_f64 v[154:155], v[164:165], v[162:163], -v[154:155]
	v_mul_f64 v[164:165], v[164:165], v[156:157]
	v_add_f64 v[130:131], v[130:131], -v[154:155]
	v_fma_f64 v[164:165], v[166:167], v[162:163], v[164:165]
	v_add_f64 v[132:133], v[132:133], -v[164:165]
	ds_read2_b64 v[164:167], v254 offset0:16 offset1:17
	s_waitcnt lgkmcnt(0)
	v_mul_f64 v[154:155], v[166:167], v[156:157]
	v_fma_f64 v[154:155], v[164:165], v[162:163], -v[154:155]
	v_mul_f64 v[164:165], v[164:165], v[156:157]
	v_add_f64 v[126:127], v[126:127], -v[154:155]
	v_fma_f64 v[164:165], v[166:167], v[162:163], v[164:165]
	v_add_f64 v[128:129], v[128:129], -v[164:165]
	ds_read2_b64 v[164:167], v254 offset0:18 offset1:19
	s_waitcnt lgkmcnt(0)
	v_mul_f64 v[154:155], v[166:167], v[156:157]
	v_fma_f64 v[154:155], v[164:165], v[162:163], -v[154:155]
	v_mul_f64 v[164:165], v[164:165], v[156:157]
	v_add_f64 v[122:123], v[122:123], -v[154:155]
	v_fma_f64 v[164:165], v[166:167], v[162:163], v[164:165]
	v_add_f64 v[124:125], v[124:125], -v[164:165]
	ds_read2_b64 v[164:167], v254 offset0:20 offset1:21
	s_waitcnt lgkmcnt(0)
	v_mul_f64 v[154:155], v[166:167], v[156:157]
	v_fma_f64 v[154:155], v[164:165], v[162:163], -v[154:155]
	v_mul_f64 v[164:165], v[164:165], v[156:157]
	v_add_f64 v[118:119], v[118:119], -v[154:155]
	v_fma_f64 v[164:165], v[166:167], v[162:163], v[164:165]
	v_add_f64 v[120:121], v[120:121], -v[164:165]
	ds_read2_b64 v[164:167], v254 offset0:22 offset1:23
	s_waitcnt lgkmcnt(0)
	v_mul_f64 v[154:155], v[166:167], v[156:157]
	v_fma_f64 v[154:155], v[164:165], v[162:163], -v[154:155]
	v_mul_f64 v[164:165], v[164:165], v[156:157]
	v_add_f64 v[114:115], v[114:115], -v[154:155]
	v_fma_f64 v[164:165], v[166:167], v[162:163], v[164:165]
	v_add_f64 v[116:117], v[116:117], -v[164:165]
	ds_read2_b64 v[164:167], v254 offset0:24 offset1:25
	s_waitcnt lgkmcnt(0)
	v_mul_f64 v[154:155], v[166:167], v[156:157]
	v_fma_f64 v[154:155], v[164:165], v[162:163], -v[154:155]
	v_mul_f64 v[164:165], v[164:165], v[156:157]
	v_add_f64 v[110:111], v[110:111], -v[154:155]
	v_fma_f64 v[164:165], v[166:167], v[162:163], v[164:165]
	v_add_f64 v[112:113], v[112:113], -v[164:165]
	ds_read2_b64 v[164:167], v254 offset0:26 offset1:27
	s_waitcnt lgkmcnt(0)
	v_mul_f64 v[154:155], v[166:167], v[156:157]
	v_fma_f64 v[154:155], v[164:165], v[162:163], -v[154:155]
	v_mul_f64 v[164:165], v[164:165], v[156:157]
	v_add_f64 v[106:107], v[106:107], -v[154:155]
	v_fma_f64 v[164:165], v[166:167], v[162:163], v[164:165]
	v_add_f64 v[108:109], v[108:109], -v[164:165]
	ds_read2_b64 v[164:167], v254 offset0:28 offset1:29
	s_waitcnt lgkmcnt(0)
	v_mul_f64 v[154:155], v[166:167], v[156:157]
	v_fma_f64 v[154:155], v[164:165], v[162:163], -v[154:155]
	v_mul_f64 v[164:165], v[164:165], v[156:157]
	v_add_f64 v[102:103], v[102:103], -v[154:155]
	v_fma_f64 v[164:165], v[166:167], v[162:163], v[164:165]
	v_add_f64 v[104:105], v[104:105], -v[164:165]
	ds_read2_b64 v[164:167], v254 offset0:30 offset1:31
	s_waitcnt lgkmcnt(0)
	v_mul_f64 v[154:155], v[166:167], v[156:157]
	v_fma_f64 v[154:155], v[164:165], v[162:163], -v[154:155]
	v_mul_f64 v[164:165], v[164:165], v[156:157]
	v_add_f64 v[98:99], v[98:99], -v[154:155]
	v_fma_f64 v[164:165], v[166:167], v[162:163], v[164:165]
	v_add_f64 v[100:101], v[100:101], -v[164:165]
	ds_read2_b64 v[164:167], v254 offset0:32 offset1:33
	s_waitcnt lgkmcnt(0)
	v_mul_f64 v[154:155], v[166:167], v[156:157]
	v_fma_f64 v[154:155], v[164:165], v[162:163], -v[154:155]
	v_mul_f64 v[164:165], v[164:165], v[156:157]
	v_add_f64 v[94:95], v[94:95], -v[154:155]
	v_fma_f64 v[164:165], v[166:167], v[162:163], v[164:165]
	v_add_f64 v[96:97], v[96:97], -v[164:165]
	ds_read2_b64 v[164:167], v254 offset0:34 offset1:35
	s_waitcnt lgkmcnt(0)
	v_mul_f64 v[154:155], v[166:167], v[156:157]
	v_fma_f64 v[154:155], v[164:165], v[162:163], -v[154:155]
	v_mul_f64 v[164:165], v[164:165], v[156:157]
	v_add_f64 v[90:91], v[90:91], -v[154:155]
	v_fma_f64 v[164:165], v[166:167], v[162:163], v[164:165]
	v_add_f64 v[92:93], v[92:93], -v[164:165]
	ds_read2_b64 v[164:167], v254 offset0:36 offset1:37
	s_waitcnt lgkmcnt(0)
	v_mul_f64 v[154:155], v[166:167], v[156:157]
	v_fma_f64 v[154:155], v[164:165], v[162:163], -v[154:155]
	v_mul_f64 v[164:165], v[164:165], v[156:157]
	v_add_f64 v[86:87], v[86:87], -v[154:155]
	v_fma_f64 v[164:165], v[166:167], v[162:163], v[164:165]
	v_add_f64 v[88:89], v[88:89], -v[164:165]
	ds_read2_b64 v[164:167], v254 offset0:38 offset1:39
	s_waitcnt lgkmcnt(0)
	v_mul_f64 v[154:155], v[166:167], v[156:157]
	v_fma_f64 v[154:155], v[164:165], v[162:163], -v[154:155]
	v_mul_f64 v[164:165], v[164:165], v[156:157]
	v_add_f64 v[82:83], v[82:83], -v[154:155]
	v_fma_f64 v[164:165], v[166:167], v[162:163], v[164:165]
	v_add_f64 v[84:85], v[84:85], -v[164:165]
	ds_read2_b64 v[164:167], v254 offset0:40 offset1:41
	s_waitcnt lgkmcnt(0)
	v_mul_f64 v[154:155], v[166:167], v[156:157]
	v_fma_f64 v[154:155], v[164:165], v[162:163], -v[154:155]
	v_mul_f64 v[164:165], v[164:165], v[156:157]
	v_add_f64 v[78:79], v[78:79], -v[154:155]
	v_fma_f64 v[164:165], v[166:167], v[162:163], v[164:165]
	v_add_f64 v[80:81], v[80:81], -v[164:165]
	ds_read2_b64 v[164:167], v254 offset0:42 offset1:43
	s_waitcnt lgkmcnt(0)
	v_mul_f64 v[154:155], v[166:167], v[156:157]
	v_fma_f64 v[154:155], v[164:165], v[162:163], -v[154:155]
	v_mul_f64 v[164:165], v[164:165], v[156:157]
	v_add_f64 v[74:75], v[74:75], -v[154:155]
	v_fma_f64 v[164:165], v[166:167], v[162:163], v[164:165]
	v_add_f64 v[76:77], v[76:77], -v[164:165]
	ds_read2_b64 v[164:167], v254 offset0:44 offset1:45
	s_waitcnt lgkmcnt(0)
	v_mul_f64 v[154:155], v[166:167], v[156:157]
	v_fma_f64 v[154:155], v[164:165], v[162:163], -v[154:155]
	v_mul_f64 v[164:165], v[164:165], v[156:157]
	v_add_f64 v[70:71], v[70:71], -v[154:155]
	v_fma_f64 v[164:165], v[166:167], v[162:163], v[164:165]
	v_add_f64 v[72:73], v[72:73], -v[164:165]
	ds_read2_b64 v[164:167], v254 offset0:46 offset1:47
	s_waitcnt lgkmcnt(0)
	v_mul_f64 v[154:155], v[166:167], v[156:157]
	v_fma_f64 v[154:155], v[164:165], v[162:163], -v[154:155]
	v_mul_f64 v[164:165], v[164:165], v[156:157]
	v_add_f64 v[66:67], v[66:67], -v[154:155]
	v_fma_f64 v[164:165], v[166:167], v[162:163], v[164:165]
	v_add_f64 v[68:69], v[68:69], -v[164:165]
	ds_read2_b64 v[164:167], v254 offset0:48 offset1:49
	s_waitcnt lgkmcnt(0)
	v_mul_f64 v[154:155], v[166:167], v[156:157]
	v_fma_f64 v[154:155], v[164:165], v[162:163], -v[154:155]
	v_mul_f64 v[164:165], v[164:165], v[156:157]
	v_add_f64 v[62:63], v[62:63], -v[154:155]
	v_fma_f64 v[164:165], v[166:167], v[162:163], v[164:165]
	v_add_f64 v[64:65], v[64:65], -v[164:165]
	ds_read2_b64 v[164:167], v254 offset0:50 offset1:51
	s_waitcnt lgkmcnt(0)
	v_mul_f64 v[154:155], v[166:167], v[156:157]
	v_fma_f64 v[154:155], v[164:165], v[162:163], -v[154:155]
	v_mul_f64 v[164:165], v[164:165], v[156:157]
	v_add_f64 v[58:59], v[58:59], -v[154:155]
	v_fma_f64 v[164:165], v[166:167], v[162:163], v[164:165]
	v_add_f64 v[60:61], v[60:61], -v[164:165]
	ds_read2_b64 v[164:167], v254 offset0:52 offset1:53
	s_waitcnt lgkmcnt(0)
	v_mul_f64 v[154:155], v[166:167], v[156:157]
	v_fma_f64 v[154:155], v[164:165], v[162:163], -v[154:155]
	v_mul_f64 v[164:165], v[164:165], v[156:157]
	v_add_f64 v[54:55], v[54:55], -v[154:155]
	v_fma_f64 v[164:165], v[166:167], v[162:163], v[164:165]
	v_add_f64 v[56:57], v[56:57], -v[164:165]
	ds_read2_b64 v[164:167], v254 offset0:54 offset1:55
	s_waitcnt lgkmcnt(0)
	v_mul_f64 v[154:155], v[166:167], v[156:157]
	v_fma_f64 v[154:155], v[164:165], v[162:163], -v[154:155]
	v_mul_f64 v[164:165], v[164:165], v[156:157]
	v_add_f64 v[50:51], v[50:51], -v[154:155]
	v_fma_f64 v[164:165], v[166:167], v[162:163], v[164:165]
	v_add_f64 v[52:53], v[52:53], -v[164:165]
	ds_read2_b64 v[164:167], v254 offset0:56 offset1:57
	s_waitcnt lgkmcnt(0)
	v_mul_f64 v[154:155], v[166:167], v[156:157]
	v_fma_f64 v[154:155], v[164:165], v[162:163], -v[154:155]
	v_mul_f64 v[164:165], v[164:165], v[156:157]
	v_add_f64 v[46:47], v[46:47], -v[154:155]
	v_fma_f64 v[164:165], v[166:167], v[162:163], v[164:165]
	v_add_f64 v[48:49], v[48:49], -v[164:165]
	ds_read2_b64 v[164:167], v254 offset0:58 offset1:59
	s_waitcnt lgkmcnt(0)
	v_mul_f64 v[154:155], v[166:167], v[156:157]
	v_fma_f64 v[154:155], v[164:165], v[162:163], -v[154:155]
	v_mul_f64 v[164:165], v[164:165], v[156:157]
	v_add_f64 v[42:43], v[42:43], -v[154:155]
	v_fma_f64 v[164:165], v[166:167], v[162:163], v[164:165]
	v_add_f64 v[44:45], v[44:45], -v[164:165]
	ds_read2_b64 v[164:167], v254 offset0:60 offset1:61
	s_waitcnt lgkmcnt(0)
	v_mul_f64 v[154:155], v[166:167], v[156:157]
	v_fma_f64 v[154:155], v[164:165], v[162:163], -v[154:155]
	v_mul_f64 v[164:165], v[164:165], v[156:157]
	v_add_f64 v[38:39], v[38:39], -v[154:155]
	v_fma_f64 v[164:165], v[166:167], v[162:163], v[164:165]
	v_add_f64 v[40:41], v[40:41], -v[164:165]
	ds_read2_b64 v[164:167], v254 offset0:62 offset1:63
	s_waitcnt lgkmcnt(0)
	v_mul_f64 v[154:155], v[166:167], v[156:157]
	v_fma_f64 v[154:155], v[164:165], v[162:163], -v[154:155]
	v_mul_f64 v[164:165], v[164:165], v[156:157]
	v_add_f64 v[34:35], v[34:35], -v[154:155]
	v_fma_f64 v[164:165], v[166:167], v[162:163], v[164:165]
	v_add_f64 v[36:37], v[36:37], -v[164:165]
	ds_read2_b64 v[164:167], v254 offset0:64 offset1:65
	s_waitcnt lgkmcnt(0)
	v_mul_f64 v[154:155], v[166:167], v[156:157]
	v_fma_f64 v[154:155], v[164:165], v[162:163], -v[154:155]
	v_mul_f64 v[164:165], v[164:165], v[156:157]
	v_add_f64 v[30:31], v[30:31], -v[154:155]
	v_fma_f64 v[164:165], v[166:167], v[162:163], v[164:165]
	v_add_f64 v[32:33], v[32:33], -v[164:165]
	ds_read2_b64 v[164:167], v254 offset0:66 offset1:67
	s_waitcnt lgkmcnt(0)
	v_mul_f64 v[154:155], v[166:167], v[156:157]
	v_fma_f64 v[154:155], v[164:165], v[162:163], -v[154:155]
	v_mul_f64 v[164:165], v[164:165], v[156:157]
	v_add_f64 v[26:27], v[26:27], -v[154:155]
	v_fma_f64 v[164:165], v[166:167], v[162:163], v[164:165]
	v_add_f64 v[28:29], v[28:29], -v[164:165]
	ds_read2_b64 v[164:167], v254 offset0:68 offset1:69
	s_waitcnt lgkmcnt(0)
	v_mul_f64 v[154:155], v[166:167], v[156:157]
	v_fma_f64 v[154:155], v[164:165], v[162:163], -v[154:155]
	v_mul_f64 v[164:165], v[164:165], v[156:157]
	v_add_f64 v[22:23], v[22:23], -v[154:155]
	v_fma_f64 v[164:165], v[166:167], v[162:163], v[164:165]
	v_add_f64 v[24:25], v[24:25], -v[164:165]
	ds_read2_b64 v[164:167], v254 offset0:70 offset1:71
	s_waitcnt lgkmcnt(0)
	v_mul_f64 v[154:155], v[166:167], v[156:157]
	v_fma_f64 v[154:155], v[164:165], v[162:163], -v[154:155]
	v_mul_f64 v[164:165], v[164:165], v[156:157]
	v_add_f64 v[18:19], v[18:19], -v[154:155]
	v_fma_f64 v[164:165], v[166:167], v[162:163], v[164:165]
	v_add_f64 v[20:21], v[20:21], -v[164:165]
	ds_read2_b64 v[164:167], v254 offset0:72 offset1:73
	s_waitcnt lgkmcnt(0)
	v_mul_f64 v[154:155], v[166:167], v[156:157]
	v_fma_f64 v[154:155], v[164:165], v[162:163], -v[154:155]
	v_mul_f64 v[164:165], v[164:165], v[156:157]
	v_add_f64 v[14:15], v[14:15], -v[154:155]
	v_fma_f64 v[164:165], v[166:167], v[162:163], v[164:165]
	v_add_f64 v[16:17], v[16:17], -v[164:165]
	ds_read2_b64 v[164:167], v254 offset0:74 offset1:75
	s_waitcnt lgkmcnt(0)
	v_mul_f64 v[154:155], v[166:167], v[156:157]
	v_fma_f64 v[154:155], v[164:165], v[162:163], -v[154:155]
	v_mul_f64 v[164:165], v[164:165], v[156:157]
	v_add_f64 v[10:11], v[10:11], -v[154:155]
	v_fma_f64 v[164:165], v[166:167], v[162:163], v[164:165]
	v_add_f64 v[12:13], v[12:13], -v[164:165]
	ds_read2_b64 v[164:167], v254 offset0:76 offset1:77
	s_waitcnt lgkmcnt(0)
	v_mul_f64 v[154:155], v[166:167], v[156:157]
	v_fma_f64 v[154:155], v[164:165], v[162:163], -v[154:155]
	v_mul_f64 v[164:165], v[164:165], v[156:157]
	v_add_f64 v[6:7], v[6:7], -v[154:155]
	v_fma_f64 v[164:165], v[166:167], v[162:163], v[164:165]
	v_add_f64 v[8:9], v[8:9], -v[164:165]
	ds_read2_b64 v[164:167], v254 offset0:78 offset1:79
	s_waitcnt lgkmcnt(0)
	v_mul_f64 v[154:155], v[166:167], v[156:157]
	v_fma_f64 v[154:155], v[164:165], v[162:163], -v[154:155]
	v_mul_f64 v[164:165], v[164:165], v[156:157]
	v_add_f64 v[2:3], v[2:3], -v[154:155]
	v_fma_f64 v[164:165], v[166:167], v[162:163], v[164:165]
	v_mov_b32_e32 v154, v162
	v_mov_b32_e32 v155, v163
	v_add_f64 v[4:5], v[4:5], -v[164:165]
.LBB79_19:
	s_or_b32 exec_lo, exec_lo, s1
	s_mov_b32 s2, exec_lo
	s_waitcnt_vscnt null, 0x0
	s_barrier
	buffer_gl0_inv
	v_cmpx_eq_u32_e32 2, v0
	s_cbranch_execz .LBB79_26
; %bb.20:
	ds_write2_b64 v1, v[150:151], v[152:153] offset1:1
	ds_write2_b64 v254, v[146:147], v[148:149] offset0:6 offset1:7
	ds_write2_b64 v254, v[142:143], v[144:145] offset0:8 offset1:9
	;; [unrolled: 1-line block ×37, first 2 shown]
	ds_read2_b64 v[162:165], v1 offset1:1
	s_waitcnt lgkmcnt(0)
	v_cmp_neq_f64_e32 vcc_lo, 0, v[162:163]
	v_cmp_neq_f64_e64 s1, 0, v[164:165]
	s_or_b32 s1, vcc_lo, s1
	s_and_b32 exec_lo, exec_lo, s1
	s_cbranch_execz .LBB79_26
; %bb.21:
	v_cmp_ngt_f64_e64 s1, |v[162:163]|, |v[164:165]|
                                        ; implicit-def: $vgpr166_vgpr167
	s_and_saveexec_b32 s3, s1
	s_xor_b32 s1, exec_lo, s3
                                        ; implicit-def: $vgpr168_vgpr169
	s_cbranch_execz .LBB79_23
; %bb.22:
	v_div_scale_f64 v[166:167], null, v[164:165], v[164:165], v[162:163]
	v_div_scale_f64 v[172:173], vcc_lo, v[162:163], v[164:165], v[162:163]
	v_rcp_f64_e32 v[168:169], v[166:167]
	v_fma_f64 v[170:171], -v[166:167], v[168:169], 1.0
	v_fma_f64 v[168:169], v[168:169], v[170:171], v[168:169]
	v_fma_f64 v[170:171], -v[166:167], v[168:169], 1.0
	v_fma_f64 v[168:169], v[168:169], v[170:171], v[168:169]
	v_mul_f64 v[170:171], v[172:173], v[168:169]
	v_fma_f64 v[166:167], -v[166:167], v[170:171], v[172:173]
	v_div_fmas_f64 v[166:167], v[166:167], v[168:169], v[170:171]
	v_div_fixup_f64 v[166:167], v[166:167], v[164:165], v[162:163]
	v_fma_f64 v[162:163], v[162:163], v[166:167], v[164:165]
	v_div_scale_f64 v[164:165], null, v[162:163], v[162:163], 1.0
	v_rcp_f64_e32 v[168:169], v[164:165]
	v_fma_f64 v[170:171], -v[164:165], v[168:169], 1.0
	v_fma_f64 v[168:169], v[168:169], v[170:171], v[168:169]
	v_fma_f64 v[170:171], -v[164:165], v[168:169], 1.0
	v_fma_f64 v[168:169], v[168:169], v[170:171], v[168:169]
	v_div_scale_f64 v[170:171], vcc_lo, 1.0, v[162:163], 1.0
	v_mul_f64 v[172:173], v[170:171], v[168:169]
	v_fma_f64 v[164:165], -v[164:165], v[172:173], v[170:171]
	v_div_fmas_f64 v[164:165], v[164:165], v[168:169], v[172:173]
	v_div_fixup_f64 v[168:169], v[164:165], v[162:163], 1.0
                                        ; implicit-def: $vgpr162_vgpr163
	v_mul_f64 v[166:167], v[166:167], v[168:169]
	v_xor_b32_e32 v169, 0x80000000, v169
.LBB79_23:
	s_andn2_saveexec_b32 s1, s1
	s_cbranch_execz .LBB79_25
; %bb.24:
	v_div_scale_f64 v[166:167], null, v[162:163], v[162:163], v[164:165]
	v_div_scale_f64 v[172:173], vcc_lo, v[164:165], v[162:163], v[164:165]
	v_rcp_f64_e32 v[168:169], v[166:167]
	v_fma_f64 v[170:171], -v[166:167], v[168:169], 1.0
	v_fma_f64 v[168:169], v[168:169], v[170:171], v[168:169]
	v_fma_f64 v[170:171], -v[166:167], v[168:169], 1.0
	v_fma_f64 v[168:169], v[168:169], v[170:171], v[168:169]
	v_mul_f64 v[170:171], v[172:173], v[168:169]
	v_fma_f64 v[166:167], -v[166:167], v[170:171], v[172:173]
	v_div_fmas_f64 v[166:167], v[166:167], v[168:169], v[170:171]
	v_div_fixup_f64 v[168:169], v[166:167], v[162:163], v[164:165]
	v_fma_f64 v[162:163], v[164:165], v[168:169], v[162:163]
	v_div_scale_f64 v[164:165], null, v[162:163], v[162:163], 1.0
	v_rcp_f64_e32 v[166:167], v[164:165]
	v_fma_f64 v[170:171], -v[164:165], v[166:167], 1.0
	v_fma_f64 v[166:167], v[166:167], v[170:171], v[166:167]
	v_fma_f64 v[170:171], -v[164:165], v[166:167], 1.0
	v_fma_f64 v[166:167], v[166:167], v[170:171], v[166:167]
	v_div_scale_f64 v[170:171], vcc_lo, 1.0, v[162:163], 1.0
	v_mul_f64 v[172:173], v[170:171], v[166:167]
	v_fma_f64 v[164:165], -v[164:165], v[172:173], v[170:171]
	v_div_fmas_f64 v[164:165], v[164:165], v[166:167], v[172:173]
	v_div_fixup_f64 v[166:167], v[164:165], v[162:163], 1.0
	v_mul_f64 v[168:169], v[168:169], -v[166:167]
.LBB79_25:
	s_or_b32 exec_lo, exec_lo, s1
	ds_write2_b64 v1, v[166:167], v[168:169] offset1:1
.LBB79_26:
	s_or_b32 exec_lo, exec_lo, s2
	s_waitcnt lgkmcnt(0)
	s_barrier
	buffer_gl0_inv
	ds_read2_b64 v[162:165], v1 offset1:1
	s_mov_b32 s1, exec_lo
	s_waitcnt lgkmcnt(0)
	buffer_store_dword v162, off, s[16:19], 0 offset:264 ; 4-byte Folded Spill
	buffer_store_dword v163, off, s[16:19], 0 offset:268 ; 4-byte Folded Spill
	;; [unrolled: 1-line block ×4, first 2 shown]
	v_cmpx_lt_u32_e32 2, v0
	s_cbranch_execz .LBB79_28
; %bb.27:
	s_clause 0x3
	buffer_load_dword v164, off, s[16:19], 0 offset:264
	buffer_load_dword v165, off, s[16:19], 0 offset:268
	;; [unrolled: 1-line block ×4, first 2 shown]
	s_waitcnt vmcnt(0)
	v_mul_f64 v[162:163], v[166:167], v[152:153]
	v_mul_f64 v[152:153], v[164:165], v[152:153]
	v_fma_f64 v[162:163], v[164:165], v[150:151], -v[162:163]
	v_fma_f64 v[152:153], v[166:167], v[150:151], v[152:153]
	ds_read2_b64 v[164:167], v254 offset0:6 offset1:7
	s_waitcnt lgkmcnt(0)
	v_mul_f64 v[150:151], v[166:167], v[152:153]
	v_fma_f64 v[150:151], v[164:165], v[162:163], -v[150:151]
	v_mul_f64 v[164:165], v[164:165], v[152:153]
	v_add_f64 v[146:147], v[146:147], -v[150:151]
	v_fma_f64 v[164:165], v[166:167], v[162:163], v[164:165]
	v_add_f64 v[148:149], v[148:149], -v[164:165]
	ds_read2_b64 v[164:167], v254 offset0:8 offset1:9
	s_waitcnt lgkmcnt(0)
	v_mul_f64 v[150:151], v[166:167], v[152:153]
	v_fma_f64 v[150:151], v[164:165], v[162:163], -v[150:151]
	v_mul_f64 v[164:165], v[164:165], v[152:153]
	v_add_f64 v[142:143], v[142:143], -v[150:151]
	v_fma_f64 v[164:165], v[166:167], v[162:163], v[164:165]
	v_add_f64 v[144:145], v[144:145], -v[164:165]
	;; [unrolled: 8-line block ×36, first 2 shown]
	ds_read2_b64 v[164:167], v254 offset0:78 offset1:79
	s_waitcnt lgkmcnt(0)
	v_mul_f64 v[150:151], v[166:167], v[152:153]
	v_fma_f64 v[150:151], v[164:165], v[162:163], -v[150:151]
	v_mul_f64 v[164:165], v[164:165], v[152:153]
	v_add_f64 v[2:3], v[2:3], -v[150:151]
	v_fma_f64 v[164:165], v[166:167], v[162:163], v[164:165]
	v_mov_b32_e32 v150, v162
	v_mov_b32_e32 v151, v163
	v_add_f64 v[4:5], v[4:5], -v[164:165]
.LBB79_28:
	s_or_b32 exec_lo, exec_lo, s1
	s_mov_b32 s2, exec_lo
	s_waitcnt_vscnt null, 0x0
	s_barrier
	buffer_gl0_inv
	v_cmpx_eq_u32_e32 3, v0
	s_cbranch_execz .LBB79_35
; %bb.29:
	ds_write2_b64 v1, v[146:147], v[148:149] offset1:1
	ds_write2_b64 v254, v[142:143], v[144:145] offset0:8 offset1:9
	ds_write2_b64 v254, v[138:139], v[140:141] offset0:10 offset1:11
	;; [unrolled: 1-line block ×36, first 2 shown]
	ds_read2_b64 v[162:165], v1 offset1:1
	s_waitcnt lgkmcnt(0)
	v_cmp_neq_f64_e32 vcc_lo, 0, v[162:163]
	v_cmp_neq_f64_e64 s1, 0, v[164:165]
	s_or_b32 s1, vcc_lo, s1
	s_and_b32 exec_lo, exec_lo, s1
	s_cbranch_execz .LBB79_35
; %bb.30:
	v_cmp_ngt_f64_e64 s1, |v[162:163]|, |v[164:165]|
                                        ; implicit-def: $vgpr166_vgpr167
	s_and_saveexec_b32 s3, s1
	s_xor_b32 s1, exec_lo, s3
                                        ; implicit-def: $vgpr168_vgpr169
	s_cbranch_execz .LBB79_32
; %bb.31:
	v_div_scale_f64 v[166:167], null, v[164:165], v[164:165], v[162:163]
	v_div_scale_f64 v[172:173], vcc_lo, v[162:163], v[164:165], v[162:163]
	v_rcp_f64_e32 v[168:169], v[166:167]
	v_fma_f64 v[170:171], -v[166:167], v[168:169], 1.0
	v_fma_f64 v[168:169], v[168:169], v[170:171], v[168:169]
	v_fma_f64 v[170:171], -v[166:167], v[168:169], 1.0
	v_fma_f64 v[168:169], v[168:169], v[170:171], v[168:169]
	v_mul_f64 v[170:171], v[172:173], v[168:169]
	v_fma_f64 v[166:167], -v[166:167], v[170:171], v[172:173]
	v_div_fmas_f64 v[166:167], v[166:167], v[168:169], v[170:171]
	v_div_fixup_f64 v[166:167], v[166:167], v[164:165], v[162:163]
	v_fma_f64 v[162:163], v[162:163], v[166:167], v[164:165]
	v_div_scale_f64 v[164:165], null, v[162:163], v[162:163], 1.0
	v_rcp_f64_e32 v[168:169], v[164:165]
	v_fma_f64 v[170:171], -v[164:165], v[168:169], 1.0
	v_fma_f64 v[168:169], v[168:169], v[170:171], v[168:169]
	v_fma_f64 v[170:171], -v[164:165], v[168:169], 1.0
	v_fma_f64 v[168:169], v[168:169], v[170:171], v[168:169]
	v_div_scale_f64 v[170:171], vcc_lo, 1.0, v[162:163], 1.0
	v_mul_f64 v[172:173], v[170:171], v[168:169]
	v_fma_f64 v[164:165], -v[164:165], v[172:173], v[170:171]
	v_div_fmas_f64 v[164:165], v[164:165], v[168:169], v[172:173]
	v_div_fixup_f64 v[168:169], v[164:165], v[162:163], 1.0
                                        ; implicit-def: $vgpr162_vgpr163
	v_mul_f64 v[166:167], v[166:167], v[168:169]
	v_xor_b32_e32 v169, 0x80000000, v169
.LBB79_32:
	s_andn2_saveexec_b32 s1, s1
	s_cbranch_execz .LBB79_34
; %bb.33:
	v_div_scale_f64 v[166:167], null, v[162:163], v[162:163], v[164:165]
	v_div_scale_f64 v[172:173], vcc_lo, v[164:165], v[162:163], v[164:165]
	v_rcp_f64_e32 v[168:169], v[166:167]
	v_fma_f64 v[170:171], -v[166:167], v[168:169], 1.0
	v_fma_f64 v[168:169], v[168:169], v[170:171], v[168:169]
	v_fma_f64 v[170:171], -v[166:167], v[168:169], 1.0
	v_fma_f64 v[168:169], v[168:169], v[170:171], v[168:169]
	v_mul_f64 v[170:171], v[172:173], v[168:169]
	v_fma_f64 v[166:167], -v[166:167], v[170:171], v[172:173]
	v_div_fmas_f64 v[166:167], v[166:167], v[168:169], v[170:171]
	v_div_fixup_f64 v[168:169], v[166:167], v[162:163], v[164:165]
	v_fma_f64 v[162:163], v[164:165], v[168:169], v[162:163]
	v_div_scale_f64 v[164:165], null, v[162:163], v[162:163], 1.0
	v_rcp_f64_e32 v[166:167], v[164:165]
	v_fma_f64 v[170:171], -v[164:165], v[166:167], 1.0
	v_fma_f64 v[166:167], v[166:167], v[170:171], v[166:167]
	v_fma_f64 v[170:171], -v[164:165], v[166:167], 1.0
	v_fma_f64 v[166:167], v[166:167], v[170:171], v[166:167]
	v_div_scale_f64 v[170:171], vcc_lo, 1.0, v[162:163], 1.0
	v_mul_f64 v[172:173], v[170:171], v[166:167]
	v_fma_f64 v[164:165], -v[164:165], v[172:173], v[170:171]
	v_div_fmas_f64 v[164:165], v[164:165], v[166:167], v[172:173]
	v_div_fixup_f64 v[166:167], v[164:165], v[162:163], 1.0
	v_mul_f64 v[168:169], v[168:169], -v[166:167]
.LBB79_34:
	s_or_b32 exec_lo, exec_lo, s1
	ds_write2_b64 v1, v[166:167], v[168:169] offset1:1
.LBB79_35:
	s_or_b32 exec_lo, exec_lo, s2
	s_waitcnt lgkmcnt(0)
	s_barrier
	buffer_gl0_inv
	ds_read2_b64 v[162:165], v1 offset1:1
	s_mov_b32 s1, exec_lo
	s_waitcnt lgkmcnt(0)
	buffer_store_dword v162, off, s[16:19], 0 offset:280 ; 4-byte Folded Spill
	buffer_store_dword v163, off, s[16:19], 0 offset:284 ; 4-byte Folded Spill
	;; [unrolled: 1-line block ×4, first 2 shown]
	v_cmpx_lt_u32_e32 3, v0
	s_cbranch_execz .LBB79_37
; %bb.36:
	s_clause 0x3
	buffer_load_dword v164, off, s[16:19], 0 offset:280
	buffer_load_dword v165, off, s[16:19], 0 offset:284
	;; [unrolled: 1-line block ×4, first 2 shown]
	s_waitcnt vmcnt(0)
	v_mul_f64 v[162:163], v[166:167], v[148:149]
	v_mul_f64 v[148:149], v[164:165], v[148:149]
	v_fma_f64 v[162:163], v[164:165], v[146:147], -v[162:163]
	v_fma_f64 v[148:149], v[166:167], v[146:147], v[148:149]
	ds_read2_b64 v[164:167], v254 offset0:8 offset1:9
	s_waitcnt lgkmcnt(0)
	v_mul_f64 v[146:147], v[166:167], v[148:149]
	v_fma_f64 v[146:147], v[164:165], v[162:163], -v[146:147]
	v_mul_f64 v[164:165], v[164:165], v[148:149]
	v_add_f64 v[142:143], v[142:143], -v[146:147]
	v_fma_f64 v[164:165], v[166:167], v[162:163], v[164:165]
	v_add_f64 v[144:145], v[144:145], -v[164:165]
	ds_read2_b64 v[164:167], v254 offset0:10 offset1:11
	s_waitcnt lgkmcnt(0)
	v_mul_f64 v[146:147], v[166:167], v[148:149]
	v_fma_f64 v[146:147], v[164:165], v[162:163], -v[146:147]
	v_mul_f64 v[164:165], v[164:165], v[148:149]
	v_add_f64 v[138:139], v[138:139], -v[146:147]
	v_fma_f64 v[164:165], v[166:167], v[162:163], v[164:165]
	v_add_f64 v[140:141], v[140:141], -v[164:165]
	ds_read2_b64 v[164:167], v254 offset0:12 offset1:13
	s_waitcnt lgkmcnt(0)
	v_mul_f64 v[146:147], v[166:167], v[148:149]
	v_fma_f64 v[146:147], v[164:165], v[162:163], -v[146:147]
	v_mul_f64 v[164:165], v[164:165], v[148:149]
	v_add_f64 v[134:135], v[134:135], -v[146:147]
	v_fma_f64 v[164:165], v[166:167], v[162:163], v[164:165]
	v_add_f64 v[136:137], v[136:137], -v[164:165]
	ds_read2_b64 v[164:167], v254 offset0:14 offset1:15
	s_waitcnt lgkmcnt(0)
	v_mul_f64 v[146:147], v[166:167], v[148:149]
	v_fma_f64 v[146:147], v[164:165], v[162:163], -v[146:147]
	v_mul_f64 v[164:165], v[164:165], v[148:149]
	v_add_f64 v[130:131], v[130:131], -v[146:147]
	v_fma_f64 v[164:165], v[166:167], v[162:163], v[164:165]
	v_add_f64 v[132:133], v[132:133], -v[164:165]
	ds_read2_b64 v[164:167], v254 offset0:16 offset1:17
	s_waitcnt lgkmcnt(0)
	v_mul_f64 v[146:147], v[166:167], v[148:149]
	v_fma_f64 v[146:147], v[164:165], v[162:163], -v[146:147]
	v_mul_f64 v[164:165], v[164:165], v[148:149]
	v_add_f64 v[126:127], v[126:127], -v[146:147]
	v_fma_f64 v[164:165], v[166:167], v[162:163], v[164:165]
	v_add_f64 v[128:129], v[128:129], -v[164:165]
	ds_read2_b64 v[164:167], v254 offset0:18 offset1:19
	s_waitcnt lgkmcnt(0)
	v_mul_f64 v[146:147], v[166:167], v[148:149]
	v_fma_f64 v[146:147], v[164:165], v[162:163], -v[146:147]
	v_mul_f64 v[164:165], v[164:165], v[148:149]
	v_add_f64 v[122:123], v[122:123], -v[146:147]
	v_fma_f64 v[164:165], v[166:167], v[162:163], v[164:165]
	v_add_f64 v[124:125], v[124:125], -v[164:165]
	ds_read2_b64 v[164:167], v254 offset0:20 offset1:21
	s_waitcnt lgkmcnt(0)
	v_mul_f64 v[146:147], v[166:167], v[148:149]
	v_fma_f64 v[146:147], v[164:165], v[162:163], -v[146:147]
	v_mul_f64 v[164:165], v[164:165], v[148:149]
	v_add_f64 v[118:119], v[118:119], -v[146:147]
	v_fma_f64 v[164:165], v[166:167], v[162:163], v[164:165]
	v_add_f64 v[120:121], v[120:121], -v[164:165]
	ds_read2_b64 v[164:167], v254 offset0:22 offset1:23
	s_waitcnt lgkmcnt(0)
	v_mul_f64 v[146:147], v[166:167], v[148:149]
	v_fma_f64 v[146:147], v[164:165], v[162:163], -v[146:147]
	v_mul_f64 v[164:165], v[164:165], v[148:149]
	v_add_f64 v[114:115], v[114:115], -v[146:147]
	v_fma_f64 v[164:165], v[166:167], v[162:163], v[164:165]
	v_add_f64 v[116:117], v[116:117], -v[164:165]
	ds_read2_b64 v[164:167], v254 offset0:24 offset1:25
	s_waitcnt lgkmcnt(0)
	v_mul_f64 v[146:147], v[166:167], v[148:149]
	v_fma_f64 v[146:147], v[164:165], v[162:163], -v[146:147]
	v_mul_f64 v[164:165], v[164:165], v[148:149]
	v_add_f64 v[110:111], v[110:111], -v[146:147]
	v_fma_f64 v[164:165], v[166:167], v[162:163], v[164:165]
	v_add_f64 v[112:113], v[112:113], -v[164:165]
	ds_read2_b64 v[164:167], v254 offset0:26 offset1:27
	s_waitcnt lgkmcnt(0)
	v_mul_f64 v[146:147], v[166:167], v[148:149]
	v_fma_f64 v[146:147], v[164:165], v[162:163], -v[146:147]
	v_mul_f64 v[164:165], v[164:165], v[148:149]
	v_add_f64 v[106:107], v[106:107], -v[146:147]
	v_fma_f64 v[164:165], v[166:167], v[162:163], v[164:165]
	v_add_f64 v[108:109], v[108:109], -v[164:165]
	ds_read2_b64 v[164:167], v254 offset0:28 offset1:29
	s_waitcnt lgkmcnt(0)
	v_mul_f64 v[146:147], v[166:167], v[148:149]
	v_fma_f64 v[146:147], v[164:165], v[162:163], -v[146:147]
	v_mul_f64 v[164:165], v[164:165], v[148:149]
	v_add_f64 v[102:103], v[102:103], -v[146:147]
	v_fma_f64 v[164:165], v[166:167], v[162:163], v[164:165]
	v_add_f64 v[104:105], v[104:105], -v[164:165]
	ds_read2_b64 v[164:167], v254 offset0:30 offset1:31
	s_waitcnt lgkmcnt(0)
	v_mul_f64 v[146:147], v[166:167], v[148:149]
	v_fma_f64 v[146:147], v[164:165], v[162:163], -v[146:147]
	v_mul_f64 v[164:165], v[164:165], v[148:149]
	v_add_f64 v[98:99], v[98:99], -v[146:147]
	v_fma_f64 v[164:165], v[166:167], v[162:163], v[164:165]
	v_add_f64 v[100:101], v[100:101], -v[164:165]
	ds_read2_b64 v[164:167], v254 offset0:32 offset1:33
	s_waitcnt lgkmcnt(0)
	v_mul_f64 v[146:147], v[166:167], v[148:149]
	v_fma_f64 v[146:147], v[164:165], v[162:163], -v[146:147]
	v_mul_f64 v[164:165], v[164:165], v[148:149]
	v_add_f64 v[94:95], v[94:95], -v[146:147]
	v_fma_f64 v[164:165], v[166:167], v[162:163], v[164:165]
	v_add_f64 v[96:97], v[96:97], -v[164:165]
	ds_read2_b64 v[164:167], v254 offset0:34 offset1:35
	s_waitcnt lgkmcnt(0)
	v_mul_f64 v[146:147], v[166:167], v[148:149]
	v_fma_f64 v[146:147], v[164:165], v[162:163], -v[146:147]
	v_mul_f64 v[164:165], v[164:165], v[148:149]
	v_add_f64 v[90:91], v[90:91], -v[146:147]
	v_fma_f64 v[164:165], v[166:167], v[162:163], v[164:165]
	v_add_f64 v[92:93], v[92:93], -v[164:165]
	ds_read2_b64 v[164:167], v254 offset0:36 offset1:37
	s_waitcnt lgkmcnt(0)
	v_mul_f64 v[146:147], v[166:167], v[148:149]
	v_fma_f64 v[146:147], v[164:165], v[162:163], -v[146:147]
	v_mul_f64 v[164:165], v[164:165], v[148:149]
	v_add_f64 v[86:87], v[86:87], -v[146:147]
	v_fma_f64 v[164:165], v[166:167], v[162:163], v[164:165]
	v_add_f64 v[88:89], v[88:89], -v[164:165]
	ds_read2_b64 v[164:167], v254 offset0:38 offset1:39
	s_waitcnt lgkmcnt(0)
	v_mul_f64 v[146:147], v[166:167], v[148:149]
	v_fma_f64 v[146:147], v[164:165], v[162:163], -v[146:147]
	v_mul_f64 v[164:165], v[164:165], v[148:149]
	v_add_f64 v[82:83], v[82:83], -v[146:147]
	v_fma_f64 v[164:165], v[166:167], v[162:163], v[164:165]
	v_add_f64 v[84:85], v[84:85], -v[164:165]
	ds_read2_b64 v[164:167], v254 offset0:40 offset1:41
	s_waitcnt lgkmcnt(0)
	v_mul_f64 v[146:147], v[166:167], v[148:149]
	v_fma_f64 v[146:147], v[164:165], v[162:163], -v[146:147]
	v_mul_f64 v[164:165], v[164:165], v[148:149]
	v_add_f64 v[78:79], v[78:79], -v[146:147]
	v_fma_f64 v[164:165], v[166:167], v[162:163], v[164:165]
	v_add_f64 v[80:81], v[80:81], -v[164:165]
	ds_read2_b64 v[164:167], v254 offset0:42 offset1:43
	s_waitcnt lgkmcnt(0)
	v_mul_f64 v[146:147], v[166:167], v[148:149]
	v_fma_f64 v[146:147], v[164:165], v[162:163], -v[146:147]
	v_mul_f64 v[164:165], v[164:165], v[148:149]
	v_add_f64 v[74:75], v[74:75], -v[146:147]
	v_fma_f64 v[164:165], v[166:167], v[162:163], v[164:165]
	v_add_f64 v[76:77], v[76:77], -v[164:165]
	ds_read2_b64 v[164:167], v254 offset0:44 offset1:45
	s_waitcnt lgkmcnt(0)
	v_mul_f64 v[146:147], v[166:167], v[148:149]
	v_fma_f64 v[146:147], v[164:165], v[162:163], -v[146:147]
	v_mul_f64 v[164:165], v[164:165], v[148:149]
	v_add_f64 v[70:71], v[70:71], -v[146:147]
	v_fma_f64 v[164:165], v[166:167], v[162:163], v[164:165]
	v_add_f64 v[72:73], v[72:73], -v[164:165]
	ds_read2_b64 v[164:167], v254 offset0:46 offset1:47
	s_waitcnt lgkmcnt(0)
	v_mul_f64 v[146:147], v[166:167], v[148:149]
	v_fma_f64 v[146:147], v[164:165], v[162:163], -v[146:147]
	v_mul_f64 v[164:165], v[164:165], v[148:149]
	v_add_f64 v[66:67], v[66:67], -v[146:147]
	v_fma_f64 v[164:165], v[166:167], v[162:163], v[164:165]
	v_add_f64 v[68:69], v[68:69], -v[164:165]
	ds_read2_b64 v[164:167], v254 offset0:48 offset1:49
	s_waitcnt lgkmcnt(0)
	v_mul_f64 v[146:147], v[166:167], v[148:149]
	v_fma_f64 v[146:147], v[164:165], v[162:163], -v[146:147]
	v_mul_f64 v[164:165], v[164:165], v[148:149]
	v_add_f64 v[62:63], v[62:63], -v[146:147]
	v_fma_f64 v[164:165], v[166:167], v[162:163], v[164:165]
	v_add_f64 v[64:65], v[64:65], -v[164:165]
	ds_read2_b64 v[164:167], v254 offset0:50 offset1:51
	s_waitcnt lgkmcnt(0)
	v_mul_f64 v[146:147], v[166:167], v[148:149]
	v_fma_f64 v[146:147], v[164:165], v[162:163], -v[146:147]
	v_mul_f64 v[164:165], v[164:165], v[148:149]
	v_add_f64 v[58:59], v[58:59], -v[146:147]
	v_fma_f64 v[164:165], v[166:167], v[162:163], v[164:165]
	v_add_f64 v[60:61], v[60:61], -v[164:165]
	ds_read2_b64 v[164:167], v254 offset0:52 offset1:53
	s_waitcnt lgkmcnt(0)
	v_mul_f64 v[146:147], v[166:167], v[148:149]
	v_fma_f64 v[146:147], v[164:165], v[162:163], -v[146:147]
	v_mul_f64 v[164:165], v[164:165], v[148:149]
	v_add_f64 v[54:55], v[54:55], -v[146:147]
	v_fma_f64 v[164:165], v[166:167], v[162:163], v[164:165]
	v_add_f64 v[56:57], v[56:57], -v[164:165]
	ds_read2_b64 v[164:167], v254 offset0:54 offset1:55
	s_waitcnt lgkmcnt(0)
	v_mul_f64 v[146:147], v[166:167], v[148:149]
	v_fma_f64 v[146:147], v[164:165], v[162:163], -v[146:147]
	v_mul_f64 v[164:165], v[164:165], v[148:149]
	v_add_f64 v[50:51], v[50:51], -v[146:147]
	v_fma_f64 v[164:165], v[166:167], v[162:163], v[164:165]
	v_add_f64 v[52:53], v[52:53], -v[164:165]
	ds_read2_b64 v[164:167], v254 offset0:56 offset1:57
	s_waitcnt lgkmcnt(0)
	v_mul_f64 v[146:147], v[166:167], v[148:149]
	v_fma_f64 v[146:147], v[164:165], v[162:163], -v[146:147]
	v_mul_f64 v[164:165], v[164:165], v[148:149]
	v_add_f64 v[46:47], v[46:47], -v[146:147]
	v_fma_f64 v[164:165], v[166:167], v[162:163], v[164:165]
	v_add_f64 v[48:49], v[48:49], -v[164:165]
	ds_read2_b64 v[164:167], v254 offset0:58 offset1:59
	s_waitcnt lgkmcnt(0)
	v_mul_f64 v[146:147], v[166:167], v[148:149]
	v_fma_f64 v[146:147], v[164:165], v[162:163], -v[146:147]
	v_mul_f64 v[164:165], v[164:165], v[148:149]
	v_add_f64 v[42:43], v[42:43], -v[146:147]
	v_fma_f64 v[164:165], v[166:167], v[162:163], v[164:165]
	v_add_f64 v[44:45], v[44:45], -v[164:165]
	ds_read2_b64 v[164:167], v254 offset0:60 offset1:61
	s_waitcnt lgkmcnt(0)
	v_mul_f64 v[146:147], v[166:167], v[148:149]
	v_fma_f64 v[146:147], v[164:165], v[162:163], -v[146:147]
	v_mul_f64 v[164:165], v[164:165], v[148:149]
	v_add_f64 v[38:39], v[38:39], -v[146:147]
	v_fma_f64 v[164:165], v[166:167], v[162:163], v[164:165]
	v_add_f64 v[40:41], v[40:41], -v[164:165]
	ds_read2_b64 v[164:167], v254 offset0:62 offset1:63
	s_waitcnt lgkmcnt(0)
	v_mul_f64 v[146:147], v[166:167], v[148:149]
	v_fma_f64 v[146:147], v[164:165], v[162:163], -v[146:147]
	v_mul_f64 v[164:165], v[164:165], v[148:149]
	v_add_f64 v[34:35], v[34:35], -v[146:147]
	v_fma_f64 v[164:165], v[166:167], v[162:163], v[164:165]
	v_add_f64 v[36:37], v[36:37], -v[164:165]
	ds_read2_b64 v[164:167], v254 offset0:64 offset1:65
	s_waitcnt lgkmcnt(0)
	v_mul_f64 v[146:147], v[166:167], v[148:149]
	v_fma_f64 v[146:147], v[164:165], v[162:163], -v[146:147]
	v_mul_f64 v[164:165], v[164:165], v[148:149]
	v_add_f64 v[30:31], v[30:31], -v[146:147]
	v_fma_f64 v[164:165], v[166:167], v[162:163], v[164:165]
	v_add_f64 v[32:33], v[32:33], -v[164:165]
	ds_read2_b64 v[164:167], v254 offset0:66 offset1:67
	s_waitcnt lgkmcnt(0)
	v_mul_f64 v[146:147], v[166:167], v[148:149]
	v_fma_f64 v[146:147], v[164:165], v[162:163], -v[146:147]
	v_mul_f64 v[164:165], v[164:165], v[148:149]
	v_add_f64 v[26:27], v[26:27], -v[146:147]
	v_fma_f64 v[164:165], v[166:167], v[162:163], v[164:165]
	v_add_f64 v[28:29], v[28:29], -v[164:165]
	ds_read2_b64 v[164:167], v254 offset0:68 offset1:69
	s_waitcnt lgkmcnt(0)
	v_mul_f64 v[146:147], v[166:167], v[148:149]
	v_fma_f64 v[146:147], v[164:165], v[162:163], -v[146:147]
	v_mul_f64 v[164:165], v[164:165], v[148:149]
	v_add_f64 v[22:23], v[22:23], -v[146:147]
	v_fma_f64 v[164:165], v[166:167], v[162:163], v[164:165]
	v_add_f64 v[24:25], v[24:25], -v[164:165]
	ds_read2_b64 v[164:167], v254 offset0:70 offset1:71
	s_waitcnt lgkmcnt(0)
	v_mul_f64 v[146:147], v[166:167], v[148:149]
	v_fma_f64 v[146:147], v[164:165], v[162:163], -v[146:147]
	v_mul_f64 v[164:165], v[164:165], v[148:149]
	v_add_f64 v[18:19], v[18:19], -v[146:147]
	v_fma_f64 v[164:165], v[166:167], v[162:163], v[164:165]
	v_add_f64 v[20:21], v[20:21], -v[164:165]
	ds_read2_b64 v[164:167], v254 offset0:72 offset1:73
	s_waitcnt lgkmcnt(0)
	v_mul_f64 v[146:147], v[166:167], v[148:149]
	v_fma_f64 v[146:147], v[164:165], v[162:163], -v[146:147]
	v_mul_f64 v[164:165], v[164:165], v[148:149]
	v_add_f64 v[14:15], v[14:15], -v[146:147]
	v_fma_f64 v[164:165], v[166:167], v[162:163], v[164:165]
	v_add_f64 v[16:17], v[16:17], -v[164:165]
	ds_read2_b64 v[164:167], v254 offset0:74 offset1:75
	s_waitcnt lgkmcnt(0)
	v_mul_f64 v[146:147], v[166:167], v[148:149]
	v_fma_f64 v[146:147], v[164:165], v[162:163], -v[146:147]
	v_mul_f64 v[164:165], v[164:165], v[148:149]
	v_add_f64 v[10:11], v[10:11], -v[146:147]
	v_fma_f64 v[164:165], v[166:167], v[162:163], v[164:165]
	v_add_f64 v[12:13], v[12:13], -v[164:165]
	ds_read2_b64 v[164:167], v254 offset0:76 offset1:77
	s_waitcnt lgkmcnt(0)
	v_mul_f64 v[146:147], v[166:167], v[148:149]
	v_fma_f64 v[146:147], v[164:165], v[162:163], -v[146:147]
	v_mul_f64 v[164:165], v[164:165], v[148:149]
	v_add_f64 v[6:7], v[6:7], -v[146:147]
	v_fma_f64 v[164:165], v[166:167], v[162:163], v[164:165]
	v_add_f64 v[8:9], v[8:9], -v[164:165]
	ds_read2_b64 v[164:167], v254 offset0:78 offset1:79
	s_waitcnt lgkmcnt(0)
	v_mul_f64 v[146:147], v[166:167], v[148:149]
	v_fma_f64 v[146:147], v[164:165], v[162:163], -v[146:147]
	v_mul_f64 v[164:165], v[164:165], v[148:149]
	v_add_f64 v[2:3], v[2:3], -v[146:147]
	v_fma_f64 v[164:165], v[166:167], v[162:163], v[164:165]
	v_mov_b32_e32 v146, v162
	v_mov_b32_e32 v147, v163
	v_add_f64 v[4:5], v[4:5], -v[164:165]
.LBB79_37:
	s_or_b32 exec_lo, exec_lo, s1
	s_mov_b32 s2, exec_lo
	s_waitcnt_vscnt null, 0x0
	s_barrier
	buffer_gl0_inv
	v_cmpx_eq_u32_e32 4, v0
	s_cbranch_execz .LBB79_44
; %bb.38:
	ds_write2_b64 v1, v[142:143], v[144:145] offset1:1
	ds_write2_b64 v254, v[138:139], v[140:141] offset0:10 offset1:11
	ds_write2_b64 v254, v[134:135], v[136:137] offset0:12 offset1:13
	;; [unrolled: 1-line block ×35, first 2 shown]
	ds_read2_b64 v[162:165], v1 offset1:1
	s_waitcnt lgkmcnt(0)
	v_cmp_neq_f64_e32 vcc_lo, 0, v[162:163]
	v_cmp_neq_f64_e64 s1, 0, v[164:165]
	s_or_b32 s1, vcc_lo, s1
	s_and_b32 exec_lo, exec_lo, s1
	s_cbranch_execz .LBB79_44
; %bb.39:
	v_cmp_ngt_f64_e64 s1, |v[162:163]|, |v[164:165]|
                                        ; implicit-def: $vgpr166_vgpr167
	s_and_saveexec_b32 s3, s1
	s_xor_b32 s1, exec_lo, s3
                                        ; implicit-def: $vgpr168_vgpr169
	s_cbranch_execz .LBB79_41
; %bb.40:
	v_div_scale_f64 v[166:167], null, v[164:165], v[164:165], v[162:163]
	v_div_scale_f64 v[172:173], vcc_lo, v[162:163], v[164:165], v[162:163]
	v_rcp_f64_e32 v[168:169], v[166:167]
	v_fma_f64 v[170:171], -v[166:167], v[168:169], 1.0
	v_fma_f64 v[168:169], v[168:169], v[170:171], v[168:169]
	v_fma_f64 v[170:171], -v[166:167], v[168:169], 1.0
	v_fma_f64 v[168:169], v[168:169], v[170:171], v[168:169]
	v_mul_f64 v[170:171], v[172:173], v[168:169]
	v_fma_f64 v[166:167], -v[166:167], v[170:171], v[172:173]
	v_div_fmas_f64 v[166:167], v[166:167], v[168:169], v[170:171]
	v_div_fixup_f64 v[166:167], v[166:167], v[164:165], v[162:163]
	v_fma_f64 v[162:163], v[162:163], v[166:167], v[164:165]
	v_div_scale_f64 v[164:165], null, v[162:163], v[162:163], 1.0
	v_rcp_f64_e32 v[168:169], v[164:165]
	v_fma_f64 v[170:171], -v[164:165], v[168:169], 1.0
	v_fma_f64 v[168:169], v[168:169], v[170:171], v[168:169]
	v_fma_f64 v[170:171], -v[164:165], v[168:169], 1.0
	v_fma_f64 v[168:169], v[168:169], v[170:171], v[168:169]
	v_div_scale_f64 v[170:171], vcc_lo, 1.0, v[162:163], 1.0
	v_mul_f64 v[172:173], v[170:171], v[168:169]
	v_fma_f64 v[164:165], -v[164:165], v[172:173], v[170:171]
	v_div_fmas_f64 v[164:165], v[164:165], v[168:169], v[172:173]
	v_div_fixup_f64 v[168:169], v[164:165], v[162:163], 1.0
                                        ; implicit-def: $vgpr162_vgpr163
	v_mul_f64 v[166:167], v[166:167], v[168:169]
	v_xor_b32_e32 v169, 0x80000000, v169
.LBB79_41:
	s_andn2_saveexec_b32 s1, s1
	s_cbranch_execz .LBB79_43
; %bb.42:
	v_div_scale_f64 v[166:167], null, v[162:163], v[162:163], v[164:165]
	v_div_scale_f64 v[172:173], vcc_lo, v[164:165], v[162:163], v[164:165]
	v_rcp_f64_e32 v[168:169], v[166:167]
	v_fma_f64 v[170:171], -v[166:167], v[168:169], 1.0
	v_fma_f64 v[168:169], v[168:169], v[170:171], v[168:169]
	v_fma_f64 v[170:171], -v[166:167], v[168:169], 1.0
	v_fma_f64 v[168:169], v[168:169], v[170:171], v[168:169]
	v_mul_f64 v[170:171], v[172:173], v[168:169]
	v_fma_f64 v[166:167], -v[166:167], v[170:171], v[172:173]
	v_div_fmas_f64 v[166:167], v[166:167], v[168:169], v[170:171]
	v_div_fixup_f64 v[168:169], v[166:167], v[162:163], v[164:165]
	v_fma_f64 v[162:163], v[164:165], v[168:169], v[162:163]
	v_div_scale_f64 v[164:165], null, v[162:163], v[162:163], 1.0
	v_rcp_f64_e32 v[166:167], v[164:165]
	v_fma_f64 v[170:171], -v[164:165], v[166:167], 1.0
	v_fma_f64 v[166:167], v[166:167], v[170:171], v[166:167]
	v_fma_f64 v[170:171], -v[164:165], v[166:167], 1.0
	v_fma_f64 v[166:167], v[166:167], v[170:171], v[166:167]
	v_div_scale_f64 v[170:171], vcc_lo, 1.0, v[162:163], 1.0
	v_mul_f64 v[172:173], v[170:171], v[166:167]
	v_fma_f64 v[164:165], -v[164:165], v[172:173], v[170:171]
	v_div_fmas_f64 v[164:165], v[164:165], v[166:167], v[172:173]
	v_div_fixup_f64 v[166:167], v[164:165], v[162:163], 1.0
	v_mul_f64 v[168:169], v[168:169], -v[166:167]
.LBB79_43:
	s_or_b32 exec_lo, exec_lo, s1
	ds_write2_b64 v1, v[166:167], v[168:169] offset1:1
.LBB79_44:
	s_or_b32 exec_lo, exec_lo, s2
	s_waitcnt lgkmcnt(0)
	s_barrier
	buffer_gl0_inv
	ds_read2_b64 v[162:165], v1 offset1:1
	s_mov_b32 s1, exec_lo
	s_waitcnt lgkmcnt(0)
	buffer_store_dword v162, off, s[16:19], 0 offset:296 ; 4-byte Folded Spill
	buffer_store_dword v163, off, s[16:19], 0 offset:300 ; 4-byte Folded Spill
	;; [unrolled: 1-line block ×4, first 2 shown]
	v_cmpx_lt_u32_e32 4, v0
	s_cbranch_execz .LBB79_46
; %bb.45:
	s_clause 0x3
	buffer_load_dword v164, off, s[16:19], 0 offset:296
	buffer_load_dword v165, off, s[16:19], 0 offset:300
	;; [unrolled: 1-line block ×4, first 2 shown]
	s_waitcnt vmcnt(0)
	v_mul_f64 v[162:163], v[166:167], v[144:145]
	v_mul_f64 v[144:145], v[164:165], v[144:145]
	v_fma_f64 v[162:163], v[164:165], v[142:143], -v[162:163]
	v_fma_f64 v[144:145], v[166:167], v[142:143], v[144:145]
	ds_read2_b64 v[164:167], v254 offset0:10 offset1:11
	s_waitcnt lgkmcnt(0)
	v_mul_f64 v[142:143], v[166:167], v[144:145]
	v_fma_f64 v[142:143], v[164:165], v[162:163], -v[142:143]
	v_mul_f64 v[164:165], v[164:165], v[144:145]
	v_add_f64 v[138:139], v[138:139], -v[142:143]
	v_fma_f64 v[164:165], v[166:167], v[162:163], v[164:165]
	v_add_f64 v[140:141], v[140:141], -v[164:165]
	ds_read2_b64 v[164:167], v254 offset0:12 offset1:13
	s_waitcnt lgkmcnt(0)
	v_mul_f64 v[142:143], v[166:167], v[144:145]
	v_fma_f64 v[142:143], v[164:165], v[162:163], -v[142:143]
	v_mul_f64 v[164:165], v[164:165], v[144:145]
	v_add_f64 v[134:135], v[134:135], -v[142:143]
	v_fma_f64 v[164:165], v[166:167], v[162:163], v[164:165]
	v_add_f64 v[136:137], v[136:137], -v[164:165]
	;; [unrolled: 8-line block ×34, first 2 shown]
	ds_read2_b64 v[164:167], v254 offset0:78 offset1:79
	s_waitcnt lgkmcnt(0)
	v_mul_f64 v[142:143], v[166:167], v[144:145]
	v_fma_f64 v[142:143], v[164:165], v[162:163], -v[142:143]
	v_mul_f64 v[164:165], v[164:165], v[144:145]
	v_add_f64 v[2:3], v[2:3], -v[142:143]
	v_fma_f64 v[164:165], v[166:167], v[162:163], v[164:165]
	v_mov_b32_e32 v142, v162
	v_mov_b32_e32 v143, v163
	v_add_f64 v[4:5], v[4:5], -v[164:165]
.LBB79_46:
	s_or_b32 exec_lo, exec_lo, s1
	s_mov_b32 s2, exec_lo
	s_waitcnt_vscnt null, 0x0
	s_barrier
	buffer_gl0_inv
	v_cmpx_eq_u32_e32 5, v0
	s_cbranch_execz .LBB79_53
; %bb.47:
	ds_write2_b64 v1, v[138:139], v[140:141] offset1:1
	ds_write2_b64 v254, v[134:135], v[136:137] offset0:12 offset1:13
	ds_write2_b64 v254, v[130:131], v[132:133] offset0:14 offset1:15
	;; [unrolled: 1-line block ×34, first 2 shown]
	ds_read2_b64 v[162:165], v1 offset1:1
	s_waitcnt lgkmcnt(0)
	v_cmp_neq_f64_e32 vcc_lo, 0, v[162:163]
	v_cmp_neq_f64_e64 s1, 0, v[164:165]
	s_or_b32 s1, vcc_lo, s1
	s_and_b32 exec_lo, exec_lo, s1
	s_cbranch_execz .LBB79_53
; %bb.48:
	v_cmp_ngt_f64_e64 s1, |v[162:163]|, |v[164:165]|
                                        ; implicit-def: $vgpr166_vgpr167
	s_and_saveexec_b32 s3, s1
	s_xor_b32 s1, exec_lo, s3
                                        ; implicit-def: $vgpr168_vgpr169
	s_cbranch_execz .LBB79_50
; %bb.49:
	v_div_scale_f64 v[166:167], null, v[164:165], v[164:165], v[162:163]
	v_div_scale_f64 v[172:173], vcc_lo, v[162:163], v[164:165], v[162:163]
	v_rcp_f64_e32 v[168:169], v[166:167]
	v_fma_f64 v[170:171], -v[166:167], v[168:169], 1.0
	v_fma_f64 v[168:169], v[168:169], v[170:171], v[168:169]
	v_fma_f64 v[170:171], -v[166:167], v[168:169], 1.0
	v_fma_f64 v[168:169], v[168:169], v[170:171], v[168:169]
	v_mul_f64 v[170:171], v[172:173], v[168:169]
	v_fma_f64 v[166:167], -v[166:167], v[170:171], v[172:173]
	v_div_fmas_f64 v[166:167], v[166:167], v[168:169], v[170:171]
	v_div_fixup_f64 v[166:167], v[166:167], v[164:165], v[162:163]
	v_fma_f64 v[162:163], v[162:163], v[166:167], v[164:165]
	v_div_scale_f64 v[164:165], null, v[162:163], v[162:163], 1.0
	v_rcp_f64_e32 v[168:169], v[164:165]
	v_fma_f64 v[170:171], -v[164:165], v[168:169], 1.0
	v_fma_f64 v[168:169], v[168:169], v[170:171], v[168:169]
	v_fma_f64 v[170:171], -v[164:165], v[168:169], 1.0
	v_fma_f64 v[168:169], v[168:169], v[170:171], v[168:169]
	v_div_scale_f64 v[170:171], vcc_lo, 1.0, v[162:163], 1.0
	v_mul_f64 v[172:173], v[170:171], v[168:169]
	v_fma_f64 v[164:165], -v[164:165], v[172:173], v[170:171]
	v_div_fmas_f64 v[164:165], v[164:165], v[168:169], v[172:173]
	v_div_fixup_f64 v[168:169], v[164:165], v[162:163], 1.0
                                        ; implicit-def: $vgpr162_vgpr163
	v_mul_f64 v[166:167], v[166:167], v[168:169]
	v_xor_b32_e32 v169, 0x80000000, v169
.LBB79_50:
	s_andn2_saveexec_b32 s1, s1
	s_cbranch_execz .LBB79_52
; %bb.51:
	v_div_scale_f64 v[166:167], null, v[162:163], v[162:163], v[164:165]
	v_div_scale_f64 v[172:173], vcc_lo, v[164:165], v[162:163], v[164:165]
	v_rcp_f64_e32 v[168:169], v[166:167]
	v_fma_f64 v[170:171], -v[166:167], v[168:169], 1.0
	v_fma_f64 v[168:169], v[168:169], v[170:171], v[168:169]
	v_fma_f64 v[170:171], -v[166:167], v[168:169], 1.0
	v_fma_f64 v[168:169], v[168:169], v[170:171], v[168:169]
	v_mul_f64 v[170:171], v[172:173], v[168:169]
	v_fma_f64 v[166:167], -v[166:167], v[170:171], v[172:173]
	v_div_fmas_f64 v[166:167], v[166:167], v[168:169], v[170:171]
	v_div_fixup_f64 v[168:169], v[166:167], v[162:163], v[164:165]
	v_fma_f64 v[162:163], v[164:165], v[168:169], v[162:163]
	v_div_scale_f64 v[164:165], null, v[162:163], v[162:163], 1.0
	v_rcp_f64_e32 v[166:167], v[164:165]
	v_fma_f64 v[170:171], -v[164:165], v[166:167], 1.0
	v_fma_f64 v[166:167], v[166:167], v[170:171], v[166:167]
	v_fma_f64 v[170:171], -v[164:165], v[166:167], 1.0
	v_fma_f64 v[166:167], v[166:167], v[170:171], v[166:167]
	v_div_scale_f64 v[170:171], vcc_lo, 1.0, v[162:163], 1.0
	v_mul_f64 v[172:173], v[170:171], v[166:167]
	v_fma_f64 v[164:165], -v[164:165], v[172:173], v[170:171]
	v_div_fmas_f64 v[164:165], v[164:165], v[166:167], v[172:173]
	v_div_fixup_f64 v[166:167], v[164:165], v[162:163], 1.0
	v_mul_f64 v[168:169], v[168:169], -v[166:167]
.LBB79_52:
	s_or_b32 exec_lo, exec_lo, s1
	ds_write2_b64 v1, v[166:167], v[168:169] offset1:1
.LBB79_53:
	s_or_b32 exec_lo, exec_lo, s2
	s_waitcnt lgkmcnt(0)
	s_barrier
	buffer_gl0_inv
	ds_read2_b64 v[162:165], v1 offset1:1
	s_mov_b32 s1, exec_lo
	s_waitcnt lgkmcnt(0)
	buffer_store_dword v162, off, s[16:19], 0 offset:312 ; 4-byte Folded Spill
	buffer_store_dword v163, off, s[16:19], 0 offset:316 ; 4-byte Folded Spill
	;; [unrolled: 1-line block ×4, first 2 shown]
	v_cmpx_lt_u32_e32 5, v0
	s_cbranch_execz .LBB79_55
; %bb.54:
	s_clause 0x3
	buffer_load_dword v164, off, s[16:19], 0 offset:312
	buffer_load_dword v165, off, s[16:19], 0 offset:316
	;; [unrolled: 1-line block ×4, first 2 shown]
	s_waitcnt vmcnt(0)
	v_mul_f64 v[162:163], v[166:167], v[140:141]
	v_mul_f64 v[140:141], v[164:165], v[140:141]
	v_fma_f64 v[162:163], v[164:165], v[138:139], -v[162:163]
	v_fma_f64 v[140:141], v[166:167], v[138:139], v[140:141]
	ds_read2_b64 v[164:167], v254 offset0:12 offset1:13
	s_waitcnt lgkmcnt(0)
	v_mul_f64 v[138:139], v[166:167], v[140:141]
	v_fma_f64 v[138:139], v[164:165], v[162:163], -v[138:139]
	v_mul_f64 v[164:165], v[164:165], v[140:141]
	v_add_f64 v[134:135], v[134:135], -v[138:139]
	v_fma_f64 v[164:165], v[166:167], v[162:163], v[164:165]
	v_add_f64 v[136:137], v[136:137], -v[164:165]
	ds_read2_b64 v[164:167], v254 offset0:14 offset1:15
	s_waitcnt lgkmcnt(0)
	v_mul_f64 v[138:139], v[166:167], v[140:141]
	v_fma_f64 v[138:139], v[164:165], v[162:163], -v[138:139]
	v_mul_f64 v[164:165], v[164:165], v[140:141]
	v_add_f64 v[130:131], v[130:131], -v[138:139]
	v_fma_f64 v[164:165], v[166:167], v[162:163], v[164:165]
	v_add_f64 v[132:133], v[132:133], -v[164:165]
	;; [unrolled: 8-line block ×33, first 2 shown]
	ds_read2_b64 v[164:167], v254 offset0:78 offset1:79
	s_waitcnt lgkmcnt(0)
	v_mul_f64 v[138:139], v[166:167], v[140:141]
	v_fma_f64 v[138:139], v[164:165], v[162:163], -v[138:139]
	v_mul_f64 v[164:165], v[164:165], v[140:141]
	v_add_f64 v[2:3], v[2:3], -v[138:139]
	v_fma_f64 v[164:165], v[166:167], v[162:163], v[164:165]
	v_mov_b32_e32 v138, v162
	v_mov_b32_e32 v139, v163
	v_add_f64 v[4:5], v[4:5], -v[164:165]
.LBB79_55:
	s_or_b32 exec_lo, exec_lo, s1
	s_mov_b32 s2, exec_lo
	s_waitcnt_vscnt null, 0x0
	s_barrier
	buffer_gl0_inv
	v_cmpx_eq_u32_e32 6, v0
	s_cbranch_execz .LBB79_62
; %bb.56:
	ds_write2_b64 v1, v[134:135], v[136:137] offset1:1
	ds_write2_b64 v254, v[130:131], v[132:133] offset0:14 offset1:15
	ds_write2_b64 v254, v[126:127], v[128:129] offset0:16 offset1:17
	;; [unrolled: 1-line block ×33, first 2 shown]
	ds_read2_b64 v[162:165], v1 offset1:1
	s_waitcnt lgkmcnt(0)
	v_cmp_neq_f64_e32 vcc_lo, 0, v[162:163]
	v_cmp_neq_f64_e64 s1, 0, v[164:165]
	s_or_b32 s1, vcc_lo, s1
	s_and_b32 exec_lo, exec_lo, s1
	s_cbranch_execz .LBB79_62
; %bb.57:
	v_cmp_ngt_f64_e64 s1, |v[162:163]|, |v[164:165]|
                                        ; implicit-def: $vgpr166_vgpr167
	s_and_saveexec_b32 s3, s1
	s_xor_b32 s1, exec_lo, s3
                                        ; implicit-def: $vgpr168_vgpr169
	s_cbranch_execz .LBB79_59
; %bb.58:
	v_div_scale_f64 v[166:167], null, v[164:165], v[164:165], v[162:163]
	v_div_scale_f64 v[172:173], vcc_lo, v[162:163], v[164:165], v[162:163]
	v_rcp_f64_e32 v[168:169], v[166:167]
	v_fma_f64 v[170:171], -v[166:167], v[168:169], 1.0
	v_fma_f64 v[168:169], v[168:169], v[170:171], v[168:169]
	v_fma_f64 v[170:171], -v[166:167], v[168:169], 1.0
	v_fma_f64 v[168:169], v[168:169], v[170:171], v[168:169]
	v_mul_f64 v[170:171], v[172:173], v[168:169]
	v_fma_f64 v[166:167], -v[166:167], v[170:171], v[172:173]
	v_div_fmas_f64 v[166:167], v[166:167], v[168:169], v[170:171]
	v_div_fixup_f64 v[166:167], v[166:167], v[164:165], v[162:163]
	v_fma_f64 v[162:163], v[162:163], v[166:167], v[164:165]
	v_div_scale_f64 v[164:165], null, v[162:163], v[162:163], 1.0
	v_rcp_f64_e32 v[168:169], v[164:165]
	v_fma_f64 v[170:171], -v[164:165], v[168:169], 1.0
	v_fma_f64 v[168:169], v[168:169], v[170:171], v[168:169]
	v_fma_f64 v[170:171], -v[164:165], v[168:169], 1.0
	v_fma_f64 v[168:169], v[168:169], v[170:171], v[168:169]
	v_div_scale_f64 v[170:171], vcc_lo, 1.0, v[162:163], 1.0
	v_mul_f64 v[172:173], v[170:171], v[168:169]
	v_fma_f64 v[164:165], -v[164:165], v[172:173], v[170:171]
	v_div_fmas_f64 v[164:165], v[164:165], v[168:169], v[172:173]
	v_div_fixup_f64 v[168:169], v[164:165], v[162:163], 1.0
                                        ; implicit-def: $vgpr162_vgpr163
	v_mul_f64 v[166:167], v[166:167], v[168:169]
	v_xor_b32_e32 v169, 0x80000000, v169
.LBB79_59:
	s_andn2_saveexec_b32 s1, s1
	s_cbranch_execz .LBB79_61
; %bb.60:
	v_div_scale_f64 v[166:167], null, v[162:163], v[162:163], v[164:165]
	v_div_scale_f64 v[172:173], vcc_lo, v[164:165], v[162:163], v[164:165]
	v_rcp_f64_e32 v[168:169], v[166:167]
	v_fma_f64 v[170:171], -v[166:167], v[168:169], 1.0
	v_fma_f64 v[168:169], v[168:169], v[170:171], v[168:169]
	v_fma_f64 v[170:171], -v[166:167], v[168:169], 1.0
	v_fma_f64 v[168:169], v[168:169], v[170:171], v[168:169]
	v_mul_f64 v[170:171], v[172:173], v[168:169]
	v_fma_f64 v[166:167], -v[166:167], v[170:171], v[172:173]
	v_div_fmas_f64 v[166:167], v[166:167], v[168:169], v[170:171]
	v_div_fixup_f64 v[168:169], v[166:167], v[162:163], v[164:165]
	v_fma_f64 v[162:163], v[164:165], v[168:169], v[162:163]
	v_div_scale_f64 v[164:165], null, v[162:163], v[162:163], 1.0
	v_rcp_f64_e32 v[166:167], v[164:165]
	v_fma_f64 v[170:171], -v[164:165], v[166:167], 1.0
	v_fma_f64 v[166:167], v[166:167], v[170:171], v[166:167]
	v_fma_f64 v[170:171], -v[164:165], v[166:167], 1.0
	v_fma_f64 v[166:167], v[166:167], v[170:171], v[166:167]
	v_div_scale_f64 v[170:171], vcc_lo, 1.0, v[162:163], 1.0
	v_mul_f64 v[172:173], v[170:171], v[166:167]
	v_fma_f64 v[164:165], -v[164:165], v[172:173], v[170:171]
	v_div_fmas_f64 v[164:165], v[164:165], v[166:167], v[172:173]
	v_div_fixup_f64 v[166:167], v[164:165], v[162:163], 1.0
	v_mul_f64 v[168:169], v[168:169], -v[166:167]
.LBB79_61:
	s_or_b32 exec_lo, exec_lo, s1
	ds_write2_b64 v1, v[166:167], v[168:169] offset1:1
.LBB79_62:
	s_or_b32 exec_lo, exec_lo, s2
	s_waitcnt lgkmcnt(0)
	s_barrier
	buffer_gl0_inv
	ds_read2_b64 v[162:165], v1 offset1:1
	s_mov_b32 s1, exec_lo
	s_waitcnt lgkmcnt(0)
	buffer_store_dword v162, off, s[16:19], 0 offset:328 ; 4-byte Folded Spill
	buffer_store_dword v163, off, s[16:19], 0 offset:332 ; 4-byte Folded Spill
	;; [unrolled: 1-line block ×4, first 2 shown]
	v_cmpx_lt_u32_e32 6, v0
	s_cbranch_execz .LBB79_64
; %bb.63:
	s_clause 0x3
	buffer_load_dword v164, off, s[16:19], 0 offset:328
	buffer_load_dword v165, off, s[16:19], 0 offset:332
	;; [unrolled: 1-line block ×4, first 2 shown]
	s_waitcnt vmcnt(0)
	v_mul_f64 v[162:163], v[166:167], v[136:137]
	v_mul_f64 v[136:137], v[164:165], v[136:137]
	v_fma_f64 v[162:163], v[164:165], v[134:135], -v[162:163]
	v_fma_f64 v[136:137], v[166:167], v[134:135], v[136:137]
	ds_read2_b64 v[164:167], v254 offset0:14 offset1:15
	s_waitcnt lgkmcnt(0)
	v_mul_f64 v[134:135], v[166:167], v[136:137]
	v_fma_f64 v[134:135], v[164:165], v[162:163], -v[134:135]
	v_mul_f64 v[164:165], v[164:165], v[136:137]
	v_add_f64 v[130:131], v[130:131], -v[134:135]
	v_fma_f64 v[164:165], v[166:167], v[162:163], v[164:165]
	v_add_f64 v[132:133], v[132:133], -v[164:165]
	ds_read2_b64 v[164:167], v254 offset0:16 offset1:17
	s_waitcnt lgkmcnt(0)
	v_mul_f64 v[134:135], v[166:167], v[136:137]
	v_fma_f64 v[134:135], v[164:165], v[162:163], -v[134:135]
	v_mul_f64 v[164:165], v[164:165], v[136:137]
	v_add_f64 v[126:127], v[126:127], -v[134:135]
	v_fma_f64 v[164:165], v[166:167], v[162:163], v[164:165]
	v_add_f64 v[128:129], v[128:129], -v[164:165]
	;; [unrolled: 8-line block ×32, first 2 shown]
	ds_read2_b64 v[164:167], v254 offset0:78 offset1:79
	s_waitcnt lgkmcnt(0)
	v_mul_f64 v[134:135], v[166:167], v[136:137]
	v_fma_f64 v[134:135], v[164:165], v[162:163], -v[134:135]
	v_mul_f64 v[164:165], v[164:165], v[136:137]
	v_add_f64 v[2:3], v[2:3], -v[134:135]
	v_fma_f64 v[164:165], v[166:167], v[162:163], v[164:165]
	v_mov_b32_e32 v134, v162
	v_mov_b32_e32 v135, v163
	v_add_f64 v[4:5], v[4:5], -v[164:165]
.LBB79_64:
	s_or_b32 exec_lo, exec_lo, s1
	s_mov_b32 s2, exec_lo
	s_waitcnt_vscnt null, 0x0
	s_barrier
	buffer_gl0_inv
	v_cmpx_eq_u32_e32 7, v0
	s_cbranch_execz .LBB79_71
; %bb.65:
	ds_write2_b64 v1, v[130:131], v[132:133] offset1:1
	ds_write2_b64 v254, v[126:127], v[128:129] offset0:16 offset1:17
	ds_write2_b64 v254, v[122:123], v[124:125] offset0:18 offset1:19
	;; [unrolled: 1-line block ×32, first 2 shown]
	ds_read2_b64 v[162:165], v1 offset1:1
	s_waitcnt lgkmcnt(0)
	v_cmp_neq_f64_e32 vcc_lo, 0, v[162:163]
	v_cmp_neq_f64_e64 s1, 0, v[164:165]
	s_or_b32 s1, vcc_lo, s1
	s_and_b32 exec_lo, exec_lo, s1
	s_cbranch_execz .LBB79_71
; %bb.66:
	v_cmp_ngt_f64_e64 s1, |v[162:163]|, |v[164:165]|
                                        ; implicit-def: $vgpr166_vgpr167
	s_and_saveexec_b32 s3, s1
	s_xor_b32 s1, exec_lo, s3
                                        ; implicit-def: $vgpr168_vgpr169
	s_cbranch_execz .LBB79_68
; %bb.67:
	v_div_scale_f64 v[166:167], null, v[164:165], v[164:165], v[162:163]
	v_div_scale_f64 v[172:173], vcc_lo, v[162:163], v[164:165], v[162:163]
	v_rcp_f64_e32 v[168:169], v[166:167]
	v_fma_f64 v[170:171], -v[166:167], v[168:169], 1.0
	v_fma_f64 v[168:169], v[168:169], v[170:171], v[168:169]
	v_fma_f64 v[170:171], -v[166:167], v[168:169], 1.0
	v_fma_f64 v[168:169], v[168:169], v[170:171], v[168:169]
	v_mul_f64 v[170:171], v[172:173], v[168:169]
	v_fma_f64 v[166:167], -v[166:167], v[170:171], v[172:173]
	v_div_fmas_f64 v[166:167], v[166:167], v[168:169], v[170:171]
	v_div_fixup_f64 v[166:167], v[166:167], v[164:165], v[162:163]
	v_fma_f64 v[162:163], v[162:163], v[166:167], v[164:165]
	v_div_scale_f64 v[164:165], null, v[162:163], v[162:163], 1.0
	v_rcp_f64_e32 v[168:169], v[164:165]
	v_fma_f64 v[170:171], -v[164:165], v[168:169], 1.0
	v_fma_f64 v[168:169], v[168:169], v[170:171], v[168:169]
	v_fma_f64 v[170:171], -v[164:165], v[168:169], 1.0
	v_fma_f64 v[168:169], v[168:169], v[170:171], v[168:169]
	v_div_scale_f64 v[170:171], vcc_lo, 1.0, v[162:163], 1.0
	v_mul_f64 v[172:173], v[170:171], v[168:169]
	v_fma_f64 v[164:165], -v[164:165], v[172:173], v[170:171]
	v_div_fmas_f64 v[164:165], v[164:165], v[168:169], v[172:173]
	v_div_fixup_f64 v[168:169], v[164:165], v[162:163], 1.0
                                        ; implicit-def: $vgpr162_vgpr163
	v_mul_f64 v[166:167], v[166:167], v[168:169]
	v_xor_b32_e32 v169, 0x80000000, v169
.LBB79_68:
	s_andn2_saveexec_b32 s1, s1
	s_cbranch_execz .LBB79_70
; %bb.69:
	v_div_scale_f64 v[166:167], null, v[162:163], v[162:163], v[164:165]
	v_div_scale_f64 v[172:173], vcc_lo, v[164:165], v[162:163], v[164:165]
	v_rcp_f64_e32 v[168:169], v[166:167]
	v_fma_f64 v[170:171], -v[166:167], v[168:169], 1.0
	v_fma_f64 v[168:169], v[168:169], v[170:171], v[168:169]
	v_fma_f64 v[170:171], -v[166:167], v[168:169], 1.0
	v_fma_f64 v[168:169], v[168:169], v[170:171], v[168:169]
	v_mul_f64 v[170:171], v[172:173], v[168:169]
	v_fma_f64 v[166:167], -v[166:167], v[170:171], v[172:173]
	v_div_fmas_f64 v[166:167], v[166:167], v[168:169], v[170:171]
	v_div_fixup_f64 v[168:169], v[166:167], v[162:163], v[164:165]
	v_fma_f64 v[162:163], v[164:165], v[168:169], v[162:163]
	v_div_scale_f64 v[164:165], null, v[162:163], v[162:163], 1.0
	v_rcp_f64_e32 v[166:167], v[164:165]
	v_fma_f64 v[170:171], -v[164:165], v[166:167], 1.0
	v_fma_f64 v[166:167], v[166:167], v[170:171], v[166:167]
	v_fma_f64 v[170:171], -v[164:165], v[166:167], 1.0
	v_fma_f64 v[166:167], v[166:167], v[170:171], v[166:167]
	v_div_scale_f64 v[170:171], vcc_lo, 1.0, v[162:163], 1.0
	v_mul_f64 v[172:173], v[170:171], v[166:167]
	v_fma_f64 v[164:165], -v[164:165], v[172:173], v[170:171]
	v_div_fmas_f64 v[164:165], v[164:165], v[166:167], v[172:173]
	v_div_fixup_f64 v[166:167], v[164:165], v[162:163], 1.0
	v_mul_f64 v[168:169], v[168:169], -v[166:167]
.LBB79_70:
	s_or_b32 exec_lo, exec_lo, s1
	ds_write2_b64 v1, v[166:167], v[168:169] offset1:1
.LBB79_71:
	s_or_b32 exec_lo, exec_lo, s2
	s_waitcnt lgkmcnt(0)
	s_barrier
	buffer_gl0_inv
	ds_read2_b64 v[162:165], v1 offset1:1
	s_mov_b32 s1, exec_lo
	s_waitcnt lgkmcnt(0)
	buffer_store_dword v162, off, s[16:19], 0 offset:344 ; 4-byte Folded Spill
	buffer_store_dword v163, off, s[16:19], 0 offset:348 ; 4-byte Folded Spill
	;; [unrolled: 1-line block ×4, first 2 shown]
	v_cmpx_lt_u32_e32 7, v0
	s_cbranch_execz .LBB79_73
; %bb.72:
	s_clause 0x3
	buffer_load_dword v164, off, s[16:19], 0 offset:344
	buffer_load_dword v165, off, s[16:19], 0 offset:348
	;; [unrolled: 1-line block ×4, first 2 shown]
	s_waitcnt vmcnt(0)
	v_mul_f64 v[162:163], v[166:167], v[132:133]
	v_mul_f64 v[132:133], v[164:165], v[132:133]
	v_fma_f64 v[162:163], v[164:165], v[130:131], -v[162:163]
	v_fma_f64 v[132:133], v[166:167], v[130:131], v[132:133]
	ds_read2_b64 v[164:167], v254 offset0:16 offset1:17
	s_waitcnt lgkmcnt(0)
	v_mul_f64 v[130:131], v[166:167], v[132:133]
	v_fma_f64 v[130:131], v[164:165], v[162:163], -v[130:131]
	v_mul_f64 v[164:165], v[164:165], v[132:133]
	v_add_f64 v[126:127], v[126:127], -v[130:131]
	v_fma_f64 v[164:165], v[166:167], v[162:163], v[164:165]
	v_add_f64 v[128:129], v[128:129], -v[164:165]
	ds_read2_b64 v[164:167], v254 offset0:18 offset1:19
	s_waitcnt lgkmcnt(0)
	v_mul_f64 v[130:131], v[166:167], v[132:133]
	v_fma_f64 v[130:131], v[164:165], v[162:163], -v[130:131]
	v_mul_f64 v[164:165], v[164:165], v[132:133]
	v_add_f64 v[122:123], v[122:123], -v[130:131]
	v_fma_f64 v[164:165], v[166:167], v[162:163], v[164:165]
	v_add_f64 v[124:125], v[124:125], -v[164:165]
	;; [unrolled: 8-line block ×31, first 2 shown]
	ds_read2_b64 v[164:167], v254 offset0:78 offset1:79
	s_waitcnt lgkmcnt(0)
	v_mul_f64 v[130:131], v[166:167], v[132:133]
	v_fma_f64 v[130:131], v[164:165], v[162:163], -v[130:131]
	v_mul_f64 v[164:165], v[164:165], v[132:133]
	v_add_f64 v[2:3], v[2:3], -v[130:131]
	v_fma_f64 v[164:165], v[166:167], v[162:163], v[164:165]
	v_mov_b32_e32 v130, v162
	v_mov_b32_e32 v131, v163
	v_add_f64 v[4:5], v[4:5], -v[164:165]
.LBB79_73:
	s_or_b32 exec_lo, exec_lo, s1
	s_mov_b32 s2, exec_lo
	s_waitcnt_vscnt null, 0x0
	s_barrier
	buffer_gl0_inv
	v_cmpx_eq_u32_e32 8, v0
	s_cbranch_execz .LBB79_80
; %bb.74:
	ds_write2_b64 v1, v[126:127], v[128:129] offset1:1
	ds_write2_b64 v254, v[122:123], v[124:125] offset0:18 offset1:19
	ds_write2_b64 v254, v[118:119], v[120:121] offset0:20 offset1:21
	ds_write2_b64 v254, v[114:115], v[116:117] offset0:22 offset1:23
	ds_write2_b64 v254, v[110:111], v[112:113] offset0:24 offset1:25
	ds_write2_b64 v254, v[106:107], v[108:109] offset0:26 offset1:27
	ds_write2_b64 v254, v[102:103], v[104:105] offset0:28 offset1:29
	ds_write2_b64 v254, v[98:99], v[100:101] offset0:30 offset1:31
	ds_write2_b64 v254, v[94:95], v[96:97] offset0:32 offset1:33
	ds_write2_b64 v254, v[90:91], v[92:93] offset0:34 offset1:35
	ds_write2_b64 v254, v[86:87], v[88:89] offset0:36 offset1:37
	ds_write2_b64 v254, v[82:83], v[84:85] offset0:38 offset1:39
	ds_write2_b64 v254, v[78:79], v[80:81] offset0:40 offset1:41
	ds_write2_b64 v254, v[74:75], v[76:77] offset0:42 offset1:43
	ds_write2_b64 v254, v[70:71], v[72:73] offset0:44 offset1:45
	ds_write2_b64 v254, v[66:67], v[68:69] offset0:46 offset1:47
	ds_write2_b64 v254, v[62:63], v[64:65] offset0:48 offset1:49
	ds_write2_b64 v254, v[58:59], v[60:61] offset0:50 offset1:51
	ds_write2_b64 v254, v[54:55], v[56:57] offset0:52 offset1:53
	ds_write2_b64 v254, v[50:51], v[52:53] offset0:54 offset1:55
	ds_write2_b64 v254, v[46:47], v[48:49] offset0:56 offset1:57
	ds_write2_b64 v254, v[42:43], v[44:45] offset0:58 offset1:59
	ds_write2_b64 v254, v[38:39], v[40:41] offset0:60 offset1:61
	ds_write2_b64 v254, v[34:35], v[36:37] offset0:62 offset1:63
	ds_write2_b64 v254, v[30:31], v[32:33] offset0:64 offset1:65
	ds_write2_b64 v254, v[26:27], v[28:29] offset0:66 offset1:67
	ds_write2_b64 v254, v[22:23], v[24:25] offset0:68 offset1:69
	ds_write2_b64 v254, v[18:19], v[20:21] offset0:70 offset1:71
	ds_write2_b64 v254, v[14:15], v[16:17] offset0:72 offset1:73
	ds_write2_b64 v254, v[10:11], v[12:13] offset0:74 offset1:75
	ds_write2_b64 v254, v[6:7], v[8:9] offset0:76 offset1:77
	ds_write2_b64 v254, v[2:3], v[4:5] offset0:78 offset1:79
	ds_read2_b64 v[162:165], v1 offset1:1
	s_waitcnt lgkmcnt(0)
	v_cmp_neq_f64_e32 vcc_lo, 0, v[162:163]
	v_cmp_neq_f64_e64 s1, 0, v[164:165]
	s_or_b32 s1, vcc_lo, s1
	s_and_b32 exec_lo, exec_lo, s1
	s_cbranch_execz .LBB79_80
; %bb.75:
	v_cmp_ngt_f64_e64 s1, |v[162:163]|, |v[164:165]|
                                        ; implicit-def: $vgpr166_vgpr167
	s_and_saveexec_b32 s3, s1
	s_xor_b32 s1, exec_lo, s3
                                        ; implicit-def: $vgpr168_vgpr169
	s_cbranch_execz .LBB79_77
; %bb.76:
	v_div_scale_f64 v[166:167], null, v[164:165], v[164:165], v[162:163]
	v_div_scale_f64 v[172:173], vcc_lo, v[162:163], v[164:165], v[162:163]
	v_rcp_f64_e32 v[168:169], v[166:167]
	v_fma_f64 v[170:171], -v[166:167], v[168:169], 1.0
	v_fma_f64 v[168:169], v[168:169], v[170:171], v[168:169]
	v_fma_f64 v[170:171], -v[166:167], v[168:169], 1.0
	v_fma_f64 v[168:169], v[168:169], v[170:171], v[168:169]
	v_mul_f64 v[170:171], v[172:173], v[168:169]
	v_fma_f64 v[166:167], -v[166:167], v[170:171], v[172:173]
	v_div_fmas_f64 v[166:167], v[166:167], v[168:169], v[170:171]
	v_div_fixup_f64 v[166:167], v[166:167], v[164:165], v[162:163]
	v_fma_f64 v[162:163], v[162:163], v[166:167], v[164:165]
	v_div_scale_f64 v[164:165], null, v[162:163], v[162:163], 1.0
	v_rcp_f64_e32 v[168:169], v[164:165]
	v_fma_f64 v[170:171], -v[164:165], v[168:169], 1.0
	v_fma_f64 v[168:169], v[168:169], v[170:171], v[168:169]
	v_fma_f64 v[170:171], -v[164:165], v[168:169], 1.0
	v_fma_f64 v[168:169], v[168:169], v[170:171], v[168:169]
	v_div_scale_f64 v[170:171], vcc_lo, 1.0, v[162:163], 1.0
	v_mul_f64 v[172:173], v[170:171], v[168:169]
	v_fma_f64 v[164:165], -v[164:165], v[172:173], v[170:171]
	v_div_fmas_f64 v[164:165], v[164:165], v[168:169], v[172:173]
	v_div_fixup_f64 v[168:169], v[164:165], v[162:163], 1.0
                                        ; implicit-def: $vgpr162_vgpr163
	v_mul_f64 v[166:167], v[166:167], v[168:169]
	v_xor_b32_e32 v169, 0x80000000, v169
.LBB79_77:
	s_andn2_saveexec_b32 s1, s1
	s_cbranch_execz .LBB79_79
; %bb.78:
	v_div_scale_f64 v[166:167], null, v[162:163], v[162:163], v[164:165]
	v_div_scale_f64 v[172:173], vcc_lo, v[164:165], v[162:163], v[164:165]
	v_rcp_f64_e32 v[168:169], v[166:167]
	v_fma_f64 v[170:171], -v[166:167], v[168:169], 1.0
	v_fma_f64 v[168:169], v[168:169], v[170:171], v[168:169]
	v_fma_f64 v[170:171], -v[166:167], v[168:169], 1.0
	v_fma_f64 v[168:169], v[168:169], v[170:171], v[168:169]
	v_mul_f64 v[170:171], v[172:173], v[168:169]
	v_fma_f64 v[166:167], -v[166:167], v[170:171], v[172:173]
	v_div_fmas_f64 v[166:167], v[166:167], v[168:169], v[170:171]
	v_div_fixup_f64 v[168:169], v[166:167], v[162:163], v[164:165]
	v_fma_f64 v[162:163], v[164:165], v[168:169], v[162:163]
	v_div_scale_f64 v[164:165], null, v[162:163], v[162:163], 1.0
	v_rcp_f64_e32 v[166:167], v[164:165]
	v_fma_f64 v[170:171], -v[164:165], v[166:167], 1.0
	v_fma_f64 v[166:167], v[166:167], v[170:171], v[166:167]
	v_fma_f64 v[170:171], -v[164:165], v[166:167], 1.0
	v_fma_f64 v[166:167], v[166:167], v[170:171], v[166:167]
	v_div_scale_f64 v[170:171], vcc_lo, 1.0, v[162:163], 1.0
	v_mul_f64 v[172:173], v[170:171], v[166:167]
	v_fma_f64 v[164:165], -v[164:165], v[172:173], v[170:171]
	v_div_fmas_f64 v[164:165], v[164:165], v[166:167], v[172:173]
	v_div_fixup_f64 v[166:167], v[164:165], v[162:163], 1.0
	v_mul_f64 v[168:169], v[168:169], -v[166:167]
.LBB79_79:
	s_or_b32 exec_lo, exec_lo, s1
	ds_write2_b64 v1, v[166:167], v[168:169] offset1:1
.LBB79_80:
	s_or_b32 exec_lo, exec_lo, s2
	s_waitcnt lgkmcnt(0)
	s_barrier
	buffer_gl0_inv
	ds_read2_b64 v[162:165], v1 offset1:1
	s_mov_b32 s1, exec_lo
	s_waitcnt lgkmcnt(0)
	buffer_store_dword v162, off, s[16:19], 0 offset:360 ; 4-byte Folded Spill
	buffer_store_dword v163, off, s[16:19], 0 offset:364 ; 4-byte Folded Spill
	;; [unrolled: 1-line block ×4, first 2 shown]
	v_cmpx_lt_u32_e32 8, v0
	s_cbranch_execz .LBB79_82
; %bb.81:
	s_clause 0x3
	buffer_load_dword v164, off, s[16:19], 0 offset:360
	buffer_load_dword v165, off, s[16:19], 0 offset:364
	;; [unrolled: 1-line block ×4, first 2 shown]
	s_waitcnt vmcnt(0)
	v_mul_f64 v[162:163], v[166:167], v[128:129]
	v_mul_f64 v[128:129], v[164:165], v[128:129]
	v_fma_f64 v[162:163], v[164:165], v[126:127], -v[162:163]
	v_fma_f64 v[128:129], v[166:167], v[126:127], v[128:129]
	ds_read2_b64 v[164:167], v254 offset0:18 offset1:19
	s_waitcnt lgkmcnt(0)
	v_mul_f64 v[126:127], v[166:167], v[128:129]
	v_fma_f64 v[126:127], v[164:165], v[162:163], -v[126:127]
	v_mul_f64 v[164:165], v[164:165], v[128:129]
	v_add_f64 v[122:123], v[122:123], -v[126:127]
	v_fma_f64 v[164:165], v[166:167], v[162:163], v[164:165]
	v_add_f64 v[124:125], v[124:125], -v[164:165]
	ds_read2_b64 v[164:167], v254 offset0:20 offset1:21
	s_waitcnt lgkmcnt(0)
	v_mul_f64 v[126:127], v[166:167], v[128:129]
	v_fma_f64 v[126:127], v[164:165], v[162:163], -v[126:127]
	v_mul_f64 v[164:165], v[164:165], v[128:129]
	v_add_f64 v[118:119], v[118:119], -v[126:127]
	v_fma_f64 v[164:165], v[166:167], v[162:163], v[164:165]
	v_add_f64 v[120:121], v[120:121], -v[164:165]
	;; [unrolled: 8-line block ×30, first 2 shown]
	ds_read2_b64 v[164:167], v254 offset0:78 offset1:79
	s_waitcnt lgkmcnt(0)
	v_mul_f64 v[126:127], v[166:167], v[128:129]
	v_fma_f64 v[126:127], v[164:165], v[162:163], -v[126:127]
	v_mul_f64 v[164:165], v[164:165], v[128:129]
	v_add_f64 v[2:3], v[2:3], -v[126:127]
	v_fma_f64 v[164:165], v[166:167], v[162:163], v[164:165]
	v_mov_b32_e32 v126, v162
	v_mov_b32_e32 v127, v163
	v_add_f64 v[4:5], v[4:5], -v[164:165]
.LBB79_82:
	s_or_b32 exec_lo, exec_lo, s1
	s_mov_b32 s2, exec_lo
	s_waitcnt_vscnt null, 0x0
	s_barrier
	buffer_gl0_inv
	v_cmpx_eq_u32_e32 9, v0
	s_cbranch_execz .LBB79_89
; %bb.83:
	ds_write2_b64 v1, v[122:123], v[124:125] offset1:1
	ds_write2_b64 v254, v[118:119], v[120:121] offset0:20 offset1:21
	ds_write2_b64 v254, v[114:115], v[116:117] offset0:22 offset1:23
	;; [unrolled: 1-line block ×30, first 2 shown]
	ds_read2_b64 v[162:165], v1 offset1:1
	s_waitcnt lgkmcnt(0)
	v_cmp_neq_f64_e32 vcc_lo, 0, v[162:163]
	v_cmp_neq_f64_e64 s1, 0, v[164:165]
	s_or_b32 s1, vcc_lo, s1
	s_and_b32 exec_lo, exec_lo, s1
	s_cbranch_execz .LBB79_89
; %bb.84:
	v_cmp_ngt_f64_e64 s1, |v[162:163]|, |v[164:165]|
                                        ; implicit-def: $vgpr166_vgpr167
	s_and_saveexec_b32 s3, s1
	s_xor_b32 s1, exec_lo, s3
                                        ; implicit-def: $vgpr168_vgpr169
	s_cbranch_execz .LBB79_86
; %bb.85:
	v_div_scale_f64 v[166:167], null, v[164:165], v[164:165], v[162:163]
	v_div_scale_f64 v[172:173], vcc_lo, v[162:163], v[164:165], v[162:163]
	v_rcp_f64_e32 v[168:169], v[166:167]
	v_fma_f64 v[170:171], -v[166:167], v[168:169], 1.0
	v_fma_f64 v[168:169], v[168:169], v[170:171], v[168:169]
	v_fma_f64 v[170:171], -v[166:167], v[168:169], 1.0
	v_fma_f64 v[168:169], v[168:169], v[170:171], v[168:169]
	v_mul_f64 v[170:171], v[172:173], v[168:169]
	v_fma_f64 v[166:167], -v[166:167], v[170:171], v[172:173]
	v_div_fmas_f64 v[166:167], v[166:167], v[168:169], v[170:171]
	v_div_fixup_f64 v[166:167], v[166:167], v[164:165], v[162:163]
	v_fma_f64 v[162:163], v[162:163], v[166:167], v[164:165]
	v_div_scale_f64 v[164:165], null, v[162:163], v[162:163], 1.0
	v_rcp_f64_e32 v[168:169], v[164:165]
	v_fma_f64 v[170:171], -v[164:165], v[168:169], 1.0
	v_fma_f64 v[168:169], v[168:169], v[170:171], v[168:169]
	v_fma_f64 v[170:171], -v[164:165], v[168:169], 1.0
	v_fma_f64 v[168:169], v[168:169], v[170:171], v[168:169]
	v_div_scale_f64 v[170:171], vcc_lo, 1.0, v[162:163], 1.0
	v_mul_f64 v[172:173], v[170:171], v[168:169]
	v_fma_f64 v[164:165], -v[164:165], v[172:173], v[170:171]
	v_div_fmas_f64 v[164:165], v[164:165], v[168:169], v[172:173]
	v_div_fixup_f64 v[168:169], v[164:165], v[162:163], 1.0
                                        ; implicit-def: $vgpr162_vgpr163
	v_mul_f64 v[166:167], v[166:167], v[168:169]
	v_xor_b32_e32 v169, 0x80000000, v169
.LBB79_86:
	s_andn2_saveexec_b32 s1, s1
	s_cbranch_execz .LBB79_88
; %bb.87:
	v_div_scale_f64 v[166:167], null, v[162:163], v[162:163], v[164:165]
	v_div_scale_f64 v[172:173], vcc_lo, v[164:165], v[162:163], v[164:165]
	v_rcp_f64_e32 v[168:169], v[166:167]
	v_fma_f64 v[170:171], -v[166:167], v[168:169], 1.0
	v_fma_f64 v[168:169], v[168:169], v[170:171], v[168:169]
	v_fma_f64 v[170:171], -v[166:167], v[168:169], 1.0
	v_fma_f64 v[168:169], v[168:169], v[170:171], v[168:169]
	v_mul_f64 v[170:171], v[172:173], v[168:169]
	v_fma_f64 v[166:167], -v[166:167], v[170:171], v[172:173]
	v_div_fmas_f64 v[166:167], v[166:167], v[168:169], v[170:171]
	v_div_fixup_f64 v[168:169], v[166:167], v[162:163], v[164:165]
	v_fma_f64 v[162:163], v[164:165], v[168:169], v[162:163]
	v_div_scale_f64 v[164:165], null, v[162:163], v[162:163], 1.0
	v_rcp_f64_e32 v[166:167], v[164:165]
	v_fma_f64 v[170:171], -v[164:165], v[166:167], 1.0
	v_fma_f64 v[166:167], v[166:167], v[170:171], v[166:167]
	v_fma_f64 v[170:171], -v[164:165], v[166:167], 1.0
	v_fma_f64 v[166:167], v[166:167], v[170:171], v[166:167]
	v_div_scale_f64 v[170:171], vcc_lo, 1.0, v[162:163], 1.0
	v_mul_f64 v[172:173], v[170:171], v[166:167]
	v_fma_f64 v[164:165], -v[164:165], v[172:173], v[170:171]
	v_div_fmas_f64 v[164:165], v[164:165], v[166:167], v[172:173]
	v_div_fixup_f64 v[166:167], v[164:165], v[162:163], 1.0
	v_mul_f64 v[168:169], v[168:169], -v[166:167]
.LBB79_88:
	s_or_b32 exec_lo, exec_lo, s1
	ds_write2_b64 v1, v[166:167], v[168:169] offset1:1
.LBB79_89:
	s_or_b32 exec_lo, exec_lo, s2
	s_waitcnt lgkmcnt(0)
	s_barrier
	buffer_gl0_inv
	ds_read2_b64 v[162:165], v1 offset1:1
	s_mov_b32 s1, exec_lo
	s_waitcnt lgkmcnt(0)
	buffer_store_dword v162, off, s[16:19], 0 offset:376 ; 4-byte Folded Spill
	buffer_store_dword v163, off, s[16:19], 0 offset:380 ; 4-byte Folded Spill
	;; [unrolled: 1-line block ×4, first 2 shown]
	v_cmpx_lt_u32_e32 9, v0
	s_cbranch_execz .LBB79_91
; %bb.90:
	s_clause 0x3
	buffer_load_dword v164, off, s[16:19], 0 offset:376
	buffer_load_dword v165, off, s[16:19], 0 offset:380
	;; [unrolled: 1-line block ×4, first 2 shown]
	s_waitcnt vmcnt(0)
	v_mul_f64 v[162:163], v[166:167], v[124:125]
	v_mul_f64 v[124:125], v[164:165], v[124:125]
	v_fma_f64 v[162:163], v[164:165], v[122:123], -v[162:163]
	v_fma_f64 v[124:125], v[166:167], v[122:123], v[124:125]
	ds_read2_b64 v[164:167], v254 offset0:20 offset1:21
	s_waitcnt lgkmcnt(0)
	v_mul_f64 v[122:123], v[166:167], v[124:125]
	v_fma_f64 v[122:123], v[164:165], v[162:163], -v[122:123]
	v_mul_f64 v[164:165], v[164:165], v[124:125]
	v_add_f64 v[118:119], v[118:119], -v[122:123]
	v_fma_f64 v[164:165], v[166:167], v[162:163], v[164:165]
	v_add_f64 v[120:121], v[120:121], -v[164:165]
	ds_read2_b64 v[164:167], v254 offset0:22 offset1:23
	s_waitcnt lgkmcnt(0)
	v_mul_f64 v[122:123], v[166:167], v[124:125]
	v_fma_f64 v[122:123], v[164:165], v[162:163], -v[122:123]
	v_mul_f64 v[164:165], v[164:165], v[124:125]
	v_add_f64 v[114:115], v[114:115], -v[122:123]
	v_fma_f64 v[164:165], v[166:167], v[162:163], v[164:165]
	v_add_f64 v[116:117], v[116:117], -v[164:165]
	;; [unrolled: 8-line block ×29, first 2 shown]
	ds_read2_b64 v[164:167], v254 offset0:78 offset1:79
	s_waitcnt lgkmcnt(0)
	v_mul_f64 v[122:123], v[166:167], v[124:125]
	v_fma_f64 v[122:123], v[164:165], v[162:163], -v[122:123]
	v_mul_f64 v[164:165], v[164:165], v[124:125]
	v_add_f64 v[2:3], v[2:3], -v[122:123]
	v_fma_f64 v[164:165], v[166:167], v[162:163], v[164:165]
	v_mov_b32_e32 v122, v162
	v_mov_b32_e32 v123, v163
	v_add_f64 v[4:5], v[4:5], -v[164:165]
.LBB79_91:
	s_or_b32 exec_lo, exec_lo, s1
	s_mov_b32 s2, exec_lo
	s_waitcnt_vscnt null, 0x0
	s_barrier
	buffer_gl0_inv
	v_cmpx_eq_u32_e32 10, v0
	s_cbranch_execz .LBB79_98
; %bb.92:
	ds_write2_b64 v1, v[118:119], v[120:121] offset1:1
	ds_write2_b64 v254, v[114:115], v[116:117] offset0:22 offset1:23
	ds_write2_b64 v254, v[110:111], v[112:113] offset0:24 offset1:25
	;; [unrolled: 1-line block ×29, first 2 shown]
	ds_read2_b64 v[162:165], v1 offset1:1
	s_waitcnt lgkmcnt(0)
	v_cmp_neq_f64_e32 vcc_lo, 0, v[162:163]
	v_cmp_neq_f64_e64 s1, 0, v[164:165]
	s_or_b32 s1, vcc_lo, s1
	s_and_b32 exec_lo, exec_lo, s1
	s_cbranch_execz .LBB79_98
; %bb.93:
	v_cmp_ngt_f64_e64 s1, |v[162:163]|, |v[164:165]|
                                        ; implicit-def: $vgpr166_vgpr167
	s_and_saveexec_b32 s3, s1
	s_xor_b32 s1, exec_lo, s3
                                        ; implicit-def: $vgpr168_vgpr169
	s_cbranch_execz .LBB79_95
; %bb.94:
	v_div_scale_f64 v[166:167], null, v[164:165], v[164:165], v[162:163]
	v_div_scale_f64 v[172:173], vcc_lo, v[162:163], v[164:165], v[162:163]
	v_rcp_f64_e32 v[168:169], v[166:167]
	v_fma_f64 v[170:171], -v[166:167], v[168:169], 1.0
	v_fma_f64 v[168:169], v[168:169], v[170:171], v[168:169]
	v_fma_f64 v[170:171], -v[166:167], v[168:169], 1.0
	v_fma_f64 v[168:169], v[168:169], v[170:171], v[168:169]
	v_mul_f64 v[170:171], v[172:173], v[168:169]
	v_fma_f64 v[166:167], -v[166:167], v[170:171], v[172:173]
	v_div_fmas_f64 v[166:167], v[166:167], v[168:169], v[170:171]
	v_div_fixup_f64 v[166:167], v[166:167], v[164:165], v[162:163]
	v_fma_f64 v[162:163], v[162:163], v[166:167], v[164:165]
	v_div_scale_f64 v[164:165], null, v[162:163], v[162:163], 1.0
	v_rcp_f64_e32 v[168:169], v[164:165]
	v_fma_f64 v[170:171], -v[164:165], v[168:169], 1.0
	v_fma_f64 v[168:169], v[168:169], v[170:171], v[168:169]
	v_fma_f64 v[170:171], -v[164:165], v[168:169], 1.0
	v_fma_f64 v[168:169], v[168:169], v[170:171], v[168:169]
	v_div_scale_f64 v[170:171], vcc_lo, 1.0, v[162:163], 1.0
	v_mul_f64 v[172:173], v[170:171], v[168:169]
	v_fma_f64 v[164:165], -v[164:165], v[172:173], v[170:171]
	v_div_fmas_f64 v[164:165], v[164:165], v[168:169], v[172:173]
	v_div_fixup_f64 v[168:169], v[164:165], v[162:163], 1.0
                                        ; implicit-def: $vgpr162_vgpr163
	v_mul_f64 v[166:167], v[166:167], v[168:169]
	v_xor_b32_e32 v169, 0x80000000, v169
.LBB79_95:
	s_andn2_saveexec_b32 s1, s1
	s_cbranch_execz .LBB79_97
; %bb.96:
	v_div_scale_f64 v[166:167], null, v[162:163], v[162:163], v[164:165]
	v_div_scale_f64 v[172:173], vcc_lo, v[164:165], v[162:163], v[164:165]
	v_rcp_f64_e32 v[168:169], v[166:167]
	v_fma_f64 v[170:171], -v[166:167], v[168:169], 1.0
	v_fma_f64 v[168:169], v[168:169], v[170:171], v[168:169]
	v_fma_f64 v[170:171], -v[166:167], v[168:169], 1.0
	v_fma_f64 v[168:169], v[168:169], v[170:171], v[168:169]
	v_mul_f64 v[170:171], v[172:173], v[168:169]
	v_fma_f64 v[166:167], -v[166:167], v[170:171], v[172:173]
	v_div_fmas_f64 v[166:167], v[166:167], v[168:169], v[170:171]
	v_div_fixup_f64 v[168:169], v[166:167], v[162:163], v[164:165]
	v_fma_f64 v[162:163], v[164:165], v[168:169], v[162:163]
	v_div_scale_f64 v[164:165], null, v[162:163], v[162:163], 1.0
	v_rcp_f64_e32 v[166:167], v[164:165]
	v_fma_f64 v[170:171], -v[164:165], v[166:167], 1.0
	v_fma_f64 v[166:167], v[166:167], v[170:171], v[166:167]
	v_fma_f64 v[170:171], -v[164:165], v[166:167], 1.0
	v_fma_f64 v[166:167], v[166:167], v[170:171], v[166:167]
	v_div_scale_f64 v[170:171], vcc_lo, 1.0, v[162:163], 1.0
	v_mul_f64 v[172:173], v[170:171], v[166:167]
	v_fma_f64 v[164:165], -v[164:165], v[172:173], v[170:171]
	v_div_fmas_f64 v[164:165], v[164:165], v[166:167], v[172:173]
	v_div_fixup_f64 v[166:167], v[164:165], v[162:163], 1.0
	v_mul_f64 v[168:169], v[168:169], -v[166:167]
.LBB79_97:
	s_or_b32 exec_lo, exec_lo, s1
	ds_write2_b64 v1, v[166:167], v[168:169] offset1:1
.LBB79_98:
	s_or_b32 exec_lo, exec_lo, s2
	s_waitcnt lgkmcnt(0)
	s_barrier
	buffer_gl0_inv
	ds_read2_b64 v[162:165], v1 offset1:1
	s_mov_b32 s1, exec_lo
	s_waitcnt lgkmcnt(0)
	buffer_store_dword v162, off, s[16:19], 0 offset:392 ; 4-byte Folded Spill
	buffer_store_dword v163, off, s[16:19], 0 offset:396 ; 4-byte Folded Spill
	;; [unrolled: 1-line block ×4, first 2 shown]
	v_cmpx_lt_u32_e32 10, v0
	s_cbranch_execz .LBB79_100
; %bb.99:
	s_clause 0x3
	buffer_load_dword v164, off, s[16:19], 0 offset:392
	buffer_load_dword v165, off, s[16:19], 0 offset:396
	buffer_load_dword v166, off, s[16:19], 0 offset:400
	buffer_load_dword v167, off, s[16:19], 0 offset:404
	s_waitcnt vmcnt(0)
	v_mul_f64 v[162:163], v[166:167], v[120:121]
	v_mul_f64 v[120:121], v[164:165], v[120:121]
	v_fma_f64 v[162:163], v[164:165], v[118:119], -v[162:163]
	v_fma_f64 v[120:121], v[166:167], v[118:119], v[120:121]
	ds_read2_b64 v[164:167], v254 offset0:22 offset1:23
	s_waitcnt lgkmcnt(0)
	v_mul_f64 v[118:119], v[166:167], v[120:121]
	v_fma_f64 v[118:119], v[164:165], v[162:163], -v[118:119]
	v_mul_f64 v[164:165], v[164:165], v[120:121]
	v_add_f64 v[114:115], v[114:115], -v[118:119]
	v_fma_f64 v[164:165], v[166:167], v[162:163], v[164:165]
	v_add_f64 v[116:117], v[116:117], -v[164:165]
	ds_read2_b64 v[164:167], v254 offset0:24 offset1:25
	s_waitcnt lgkmcnt(0)
	v_mul_f64 v[118:119], v[166:167], v[120:121]
	v_fma_f64 v[118:119], v[164:165], v[162:163], -v[118:119]
	v_mul_f64 v[164:165], v[164:165], v[120:121]
	v_add_f64 v[110:111], v[110:111], -v[118:119]
	v_fma_f64 v[164:165], v[166:167], v[162:163], v[164:165]
	v_add_f64 v[112:113], v[112:113], -v[164:165]
	;; [unrolled: 8-line block ×28, first 2 shown]
	ds_read2_b64 v[164:167], v254 offset0:78 offset1:79
	s_waitcnt lgkmcnt(0)
	v_mul_f64 v[118:119], v[166:167], v[120:121]
	v_fma_f64 v[118:119], v[164:165], v[162:163], -v[118:119]
	v_mul_f64 v[164:165], v[164:165], v[120:121]
	v_add_f64 v[2:3], v[2:3], -v[118:119]
	v_fma_f64 v[164:165], v[166:167], v[162:163], v[164:165]
	v_mov_b32_e32 v118, v162
	v_mov_b32_e32 v119, v163
	v_add_f64 v[4:5], v[4:5], -v[164:165]
.LBB79_100:
	s_or_b32 exec_lo, exec_lo, s1
	s_mov_b32 s2, exec_lo
	s_waitcnt_vscnt null, 0x0
	s_barrier
	buffer_gl0_inv
	v_cmpx_eq_u32_e32 11, v0
	s_cbranch_execz .LBB79_107
; %bb.101:
	ds_write2_b64 v1, v[114:115], v[116:117] offset1:1
	ds_write2_b64 v254, v[110:111], v[112:113] offset0:24 offset1:25
	ds_write2_b64 v254, v[106:107], v[108:109] offset0:26 offset1:27
	;; [unrolled: 1-line block ×28, first 2 shown]
	ds_read2_b64 v[162:165], v1 offset1:1
	s_waitcnt lgkmcnt(0)
	v_cmp_neq_f64_e32 vcc_lo, 0, v[162:163]
	v_cmp_neq_f64_e64 s1, 0, v[164:165]
	s_or_b32 s1, vcc_lo, s1
	s_and_b32 exec_lo, exec_lo, s1
	s_cbranch_execz .LBB79_107
; %bb.102:
	v_cmp_ngt_f64_e64 s1, |v[162:163]|, |v[164:165]|
                                        ; implicit-def: $vgpr166_vgpr167
	s_and_saveexec_b32 s3, s1
	s_xor_b32 s1, exec_lo, s3
                                        ; implicit-def: $vgpr168_vgpr169
	s_cbranch_execz .LBB79_104
; %bb.103:
	v_div_scale_f64 v[166:167], null, v[164:165], v[164:165], v[162:163]
	v_div_scale_f64 v[172:173], vcc_lo, v[162:163], v[164:165], v[162:163]
	v_rcp_f64_e32 v[168:169], v[166:167]
	v_fma_f64 v[170:171], -v[166:167], v[168:169], 1.0
	v_fma_f64 v[168:169], v[168:169], v[170:171], v[168:169]
	v_fma_f64 v[170:171], -v[166:167], v[168:169], 1.0
	v_fma_f64 v[168:169], v[168:169], v[170:171], v[168:169]
	v_mul_f64 v[170:171], v[172:173], v[168:169]
	v_fma_f64 v[166:167], -v[166:167], v[170:171], v[172:173]
	v_div_fmas_f64 v[166:167], v[166:167], v[168:169], v[170:171]
	v_div_fixup_f64 v[166:167], v[166:167], v[164:165], v[162:163]
	v_fma_f64 v[162:163], v[162:163], v[166:167], v[164:165]
	v_div_scale_f64 v[164:165], null, v[162:163], v[162:163], 1.0
	v_rcp_f64_e32 v[168:169], v[164:165]
	v_fma_f64 v[170:171], -v[164:165], v[168:169], 1.0
	v_fma_f64 v[168:169], v[168:169], v[170:171], v[168:169]
	v_fma_f64 v[170:171], -v[164:165], v[168:169], 1.0
	v_fma_f64 v[168:169], v[168:169], v[170:171], v[168:169]
	v_div_scale_f64 v[170:171], vcc_lo, 1.0, v[162:163], 1.0
	v_mul_f64 v[172:173], v[170:171], v[168:169]
	v_fma_f64 v[164:165], -v[164:165], v[172:173], v[170:171]
	v_div_fmas_f64 v[164:165], v[164:165], v[168:169], v[172:173]
	v_div_fixup_f64 v[168:169], v[164:165], v[162:163], 1.0
                                        ; implicit-def: $vgpr162_vgpr163
	v_mul_f64 v[166:167], v[166:167], v[168:169]
	v_xor_b32_e32 v169, 0x80000000, v169
.LBB79_104:
	s_andn2_saveexec_b32 s1, s1
	s_cbranch_execz .LBB79_106
; %bb.105:
	v_div_scale_f64 v[166:167], null, v[162:163], v[162:163], v[164:165]
	v_div_scale_f64 v[172:173], vcc_lo, v[164:165], v[162:163], v[164:165]
	v_rcp_f64_e32 v[168:169], v[166:167]
	v_fma_f64 v[170:171], -v[166:167], v[168:169], 1.0
	v_fma_f64 v[168:169], v[168:169], v[170:171], v[168:169]
	v_fma_f64 v[170:171], -v[166:167], v[168:169], 1.0
	v_fma_f64 v[168:169], v[168:169], v[170:171], v[168:169]
	v_mul_f64 v[170:171], v[172:173], v[168:169]
	v_fma_f64 v[166:167], -v[166:167], v[170:171], v[172:173]
	v_div_fmas_f64 v[166:167], v[166:167], v[168:169], v[170:171]
	v_div_fixup_f64 v[168:169], v[166:167], v[162:163], v[164:165]
	v_fma_f64 v[162:163], v[164:165], v[168:169], v[162:163]
	v_div_scale_f64 v[164:165], null, v[162:163], v[162:163], 1.0
	v_rcp_f64_e32 v[166:167], v[164:165]
	v_fma_f64 v[170:171], -v[164:165], v[166:167], 1.0
	v_fma_f64 v[166:167], v[166:167], v[170:171], v[166:167]
	v_fma_f64 v[170:171], -v[164:165], v[166:167], 1.0
	v_fma_f64 v[166:167], v[166:167], v[170:171], v[166:167]
	v_div_scale_f64 v[170:171], vcc_lo, 1.0, v[162:163], 1.0
	v_mul_f64 v[172:173], v[170:171], v[166:167]
	v_fma_f64 v[164:165], -v[164:165], v[172:173], v[170:171]
	v_div_fmas_f64 v[164:165], v[164:165], v[166:167], v[172:173]
	v_div_fixup_f64 v[166:167], v[164:165], v[162:163], 1.0
	v_mul_f64 v[168:169], v[168:169], -v[166:167]
.LBB79_106:
	s_or_b32 exec_lo, exec_lo, s1
	ds_write2_b64 v1, v[166:167], v[168:169] offset1:1
.LBB79_107:
	s_or_b32 exec_lo, exec_lo, s2
	s_waitcnt lgkmcnt(0)
	s_barrier
	buffer_gl0_inv
	ds_read2_b64 v[162:165], v1 offset1:1
	s_mov_b32 s1, exec_lo
	s_waitcnt lgkmcnt(0)
	buffer_store_dword v162, off, s[16:19], 0 offset:408 ; 4-byte Folded Spill
	buffer_store_dword v163, off, s[16:19], 0 offset:412 ; 4-byte Folded Spill
	buffer_store_dword v164, off, s[16:19], 0 offset:416 ; 4-byte Folded Spill
	buffer_store_dword v165, off, s[16:19], 0 offset:420 ; 4-byte Folded Spill
	v_cmpx_lt_u32_e32 11, v0
	s_cbranch_execz .LBB79_109
; %bb.108:
	s_clause 0x3
	buffer_load_dword v164, off, s[16:19], 0 offset:408
	buffer_load_dword v165, off, s[16:19], 0 offset:412
	;; [unrolled: 1-line block ×4, first 2 shown]
	s_waitcnt vmcnt(0)
	v_mul_f64 v[162:163], v[166:167], v[116:117]
	v_mul_f64 v[116:117], v[164:165], v[116:117]
	v_fma_f64 v[162:163], v[164:165], v[114:115], -v[162:163]
	v_fma_f64 v[116:117], v[166:167], v[114:115], v[116:117]
	ds_read2_b64 v[164:167], v254 offset0:24 offset1:25
	s_waitcnt lgkmcnt(0)
	v_mul_f64 v[114:115], v[166:167], v[116:117]
	v_fma_f64 v[114:115], v[164:165], v[162:163], -v[114:115]
	v_mul_f64 v[164:165], v[164:165], v[116:117]
	v_add_f64 v[110:111], v[110:111], -v[114:115]
	v_fma_f64 v[164:165], v[166:167], v[162:163], v[164:165]
	v_add_f64 v[112:113], v[112:113], -v[164:165]
	ds_read2_b64 v[164:167], v254 offset0:26 offset1:27
	s_waitcnt lgkmcnt(0)
	v_mul_f64 v[114:115], v[166:167], v[116:117]
	v_fma_f64 v[114:115], v[164:165], v[162:163], -v[114:115]
	v_mul_f64 v[164:165], v[164:165], v[116:117]
	v_add_f64 v[106:107], v[106:107], -v[114:115]
	v_fma_f64 v[164:165], v[166:167], v[162:163], v[164:165]
	v_add_f64 v[108:109], v[108:109], -v[164:165]
	;; [unrolled: 8-line block ×27, first 2 shown]
	ds_read2_b64 v[164:167], v254 offset0:78 offset1:79
	s_waitcnt lgkmcnt(0)
	v_mul_f64 v[114:115], v[166:167], v[116:117]
	v_fma_f64 v[114:115], v[164:165], v[162:163], -v[114:115]
	v_mul_f64 v[164:165], v[164:165], v[116:117]
	v_add_f64 v[2:3], v[2:3], -v[114:115]
	v_fma_f64 v[164:165], v[166:167], v[162:163], v[164:165]
	v_mov_b32_e32 v114, v162
	v_mov_b32_e32 v115, v163
	v_add_f64 v[4:5], v[4:5], -v[164:165]
.LBB79_109:
	s_or_b32 exec_lo, exec_lo, s1
	s_mov_b32 s2, exec_lo
	s_waitcnt_vscnt null, 0x0
	s_barrier
	buffer_gl0_inv
	v_cmpx_eq_u32_e32 12, v0
	s_cbranch_execz .LBB79_116
; %bb.110:
	ds_write2_b64 v1, v[110:111], v[112:113] offset1:1
	ds_write2_b64 v254, v[106:107], v[108:109] offset0:26 offset1:27
	ds_write2_b64 v254, v[102:103], v[104:105] offset0:28 offset1:29
	;; [unrolled: 1-line block ×27, first 2 shown]
	ds_read2_b64 v[162:165], v1 offset1:1
	s_waitcnt lgkmcnt(0)
	v_cmp_neq_f64_e32 vcc_lo, 0, v[162:163]
	v_cmp_neq_f64_e64 s1, 0, v[164:165]
	s_or_b32 s1, vcc_lo, s1
	s_and_b32 exec_lo, exec_lo, s1
	s_cbranch_execz .LBB79_116
; %bb.111:
	v_cmp_ngt_f64_e64 s1, |v[162:163]|, |v[164:165]|
                                        ; implicit-def: $vgpr166_vgpr167
	s_and_saveexec_b32 s3, s1
	s_xor_b32 s1, exec_lo, s3
                                        ; implicit-def: $vgpr168_vgpr169
	s_cbranch_execz .LBB79_113
; %bb.112:
	v_div_scale_f64 v[166:167], null, v[164:165], v[164:165], v[162:163]
	v_div_scale_f64 v[172:173], vcc_lo, v[162:163], v[164:165], v[162:163]
	v_rcp_f64_e32 v[168:169], v[166:167]
	v_fma_f64 v[170:171], -v[166:167], v[168:169], 1.0
	v_fma_f64 v[168:169], v[168:169], v[170:171], v[168:169]
	v_fma_f64 v[170:171], -v[166:167], v[168:169], 1.0
	v_fma_f64 v[168:169], v[168:169], v[170:171], v[168:169]
	v_mul_f64 v[170:171], v[172:173], v[168:169]
	v_fma_f64 v[166:167], -v[166:167], v[170:171], v[172:173]
	v_div_fmas_f64 v[166:167], v[166:167], v[168:169], v[170:171]
	v_div_fixup_f64 v[166:167], v[166:167], v[164:165], v[162:163]
	v_fma_f64 v[162:163], v[162:163], v[166:167], v[164:165]
	v_div_scale_f64 v[164:165], null, v[162:163], v[162:163], 1.0
	v_rcp_f64_e32 v[168:169], v[164:165]
	v_fma_f64 v[170:171], -v[164:165], v[168:169], 1.0
	v_fma_f64 v[168:169], v[168:169], v[170:171], v[168:169]
	v_fma_f64 v[170:171], -v[164:165], v[168:169], 1.0
	v_fma_f64 v[168:169], v[168:169], v[170:171], v[168:169]
	v_div_scale_f64 v[170:171], vcc_lo, 1.0, v[162:163], 1.0
	v_mul_f64 v[172:173], v[170:171], v[168:169]
	v_fma_f64 v[164:165], -v[164:165], v[172:173], v[170:171]
	v_div_fmas_f64 v[164:165], v[164:165], v[168:169], v[172:173]
	v_div_fixup_f64 v[168:169], v[164:165], v[162:163], 1.0
                                        ; implicit-def: $vgpr162_vgpr163
	v_mul_f64 v[166:167], v[166:167], v[168:169]
	v_xor_b32_e32 v169, 0x80000000, v169
.LBB79_113:
	s_andn2_saveexec_b32 s1, s1
	s_cbranch_execz .LBB79_115
; %bb.114:
	v_div_scale_f64 v[166:167], null, v[162:163], v[162:163], v[164:165]
	v_div_scale_f64 v[172:173], vcc_lo, v[164:165], v[162:163], v[164:165]
	v_rcp_f64_e32 v[168:169], v[166:167]
	v_fma_f64 v[170:171], -v[166:167], v[168:169], 1.0
	v_fma_f64 v[168:169], v[168:169], v[170:171], v[168:169]
	v_fma_f64 v[170:171], -v[166:167], v[168:169], 1.0
	v_fma_f64 v[168:169], v[168:169], v[170:171], v[168:169]
	v_mul_f64 v[170:171], v[172:173], v[168:169]
	v_fma_f64 v[166:167], -v[166:167], v[170:171], v[172:173]
	v_div_fmas_f64 v[166:167], v[166:167], v[168:169], v[170:171]
	v_div_fixup_f64 v[168:169], v[166:167], v[162:163], v[164:165]
	v_fma_f64 v[162:163], v[164:165], v[168:169], v[162:163]
	v_div_scale_f64 v[164:165], null, v[162:163], v[162:163], 1.0
	v_rcp_f64_e32 v[166:167], v[164:165]
	v_fma_f64 v[170:171], -v[164:165], v[166:167], 1.0
	v_fma_f64 v[166:167], v[166:167], v[170:171], v[166:167]
	v_fma_f64 v[170:171], -v[164:165], v[166:167], 1.0
	v_fma_f64 v[166:167], v[166:167], v[170:171], v[166:167]
	v_div_scale_f64 v[170:171], vcc_lo, 1.0, v[162:163], 1.0
	v_mul_f64 v[172:173], v[170:171], v[166:167]
	v_fma_f64 v[164:165], -v[164:165], v[172:173], v[170:171]
	v_div_fmas_f64 v[164:165], v[164:165], v[166:167], v[172:173]
	v_div_fixup_f64 v[166:167], v[164:165], v[162:163], 1.0
	v_mul_f64 v[168:169], v[168:169], -v[166:167]
.LBB79_115:
	s_or_b32 exec_lo, exec_lo, s1
	ds_write2_b64 v1, v[166:167], v[168:169] offset1:1
.LBB79_116:
	s_or_b32 exec_lo, exec_lo, s2
	s_waitcnt lgkmcnt(0)
	s_barrier
	buffer_gl0_inv
	ds_read2_b64 v[162:165], v1 offset1:1
	s_mov_b32 s1, exec_lo
	s_waitcnt lgkmcnt(0)
	buffer_store_dword v162, off, s[16:19], 0 offset:424 ; 4-byte Folded Spill
	buffer_store_dword v163, off, s[16:19], 0 offset:428 ; 4-byte Folded Spill
	;; [unrolled: 1-line block ×4, first 2 shown]
	v_cmpx_lt_u32_e32 12, v0
	s_cbranch_execz .LBB79_118
; %bb.117:
	s_clause 0x3
	buffer_load_dword v164, off, s[16:19], 0 offset:424
	buffer_load_dword v165, off, s[16:19], 0 offset:428
	buffer_load_dword v166, off, s[16:19], 0 offset:432
	buffer_load_dword v167, off, s[16:19], 0 offset:436
	s_waitcnt vmcnt(0)
	v_mul_f64 v[162:163], v[166:167], v[112:113]
	v_mul_f64 v[112:113], v[164:165], v[112:113]
	v_fma_f64 v[162:163], v[164:165], v[110:111], -v[162:163]
	v_fma_f64 v[112:113], v[166:167], v[110:111], v[112:113]
	ds_read2_b64 v[164:167], v254 offset0:26 offset1:27
	s_waitcnt lgkmcnt(0)
	v_mul_f64 v[110:111], v[166:167], v[112:113]
	v_fma_f64 v[110:111], v[164:165], v[162:163], -v[110:111]
	v_mul_f64 v[164:165], v[164:165], v[112:113]
	v_add_f64 v[106:107], v[106:107], -v[110:111]
	v_fma_f64 v[164:165], v[166:167], v[162:163], v[164:165]
	v_add_f64 v[108:109], v[108:109], -v[164:165]
	ds_read2_b64 v[164:167], v254 offset0:28 offset1:29
	s_waitcnt lgkmcnt(0)
	v_mul_f64 v[110:111], v[166:167], v[112:113]
	v_fma_f64 v[110:111], v[164:165], v[162:163], -v[110:111]
	v_mul_f64 v[164:165], v[164:165], v[112:113]
	v_add_f64 v[102:103], v[102:103], -v[110:111]
	v_fma_f64 v[164:165], v[166:167], v[162:163], v[164:165]
	v_add_f64 v[104:105], v[104:105], -v[164:165]
	;; [unrolled: 8-line block ×26, first 2 shown]
	ds_read2_b64 v[164:167], v254 offset0:78 offset1:79
	s_waitcnt lgkmcnt(0)
	v_mul_f64 v[110:111], v[166:167], v[112:113]
	v_fma_f64 v[110:111], v[164:165], v[162:163], -v[110:111]
	v_mul_f64 v[164:165], v[164:165], v[112:113]
	v_add_f64 v[2:3], v[2:3], -v[110:111]
	v_fma_f64 v[164:165], v[166:167], v[162:163], v[164:165]
	v_mov_b32_e32 v110, v162
	v_mov_b32_e32 v111, v163
	v_add_f64 v[4:5], v[4:5], -v[164:165]
.LBB79_118:
	s_or_b32 exec_lo, exec_lo, s1
	s_mov_b32 s2, exec_lo
	s_waitcnt_vscnt null, 0x0
	s_barrier
	buffer_gl0_inv
	v_cmpx_eq_u32_e32 13, v0
	s_cbranch_execz .LBB79_125
; %bb.119:
	ds_write2_b64 v1, v[106:107], v[108:109] offset1:1
	ds_write2_b64 v254, v[102:103], v[104:105] offset0:28 offset1:29
	ds_write2_b64 v254, v[98:99], v[100:101] offset0:30 offset1:31
	ds_write2_b64 v254, v[94:95], v[96:97] offset0:32 offset1:33
	ds_write2_b64 v254, v[90:91], v[92:93] offset0:34 offset1:35
	ds_write2_b64 v254, v[86:87], v[88:89] offset0:36 offset1:37
	ds_write2_b64 v254, v[82:83], v[84:85] offset0:38 offset1:39
	ds_write2_b64 v254, v[78:79], v[80:81] offset0:40 offset1:41
	ds_write2_b64 v254, v[74:75], v[76:77] offset0:42 offset1:43
	ds_write2_b64 v254, v[70:71], v[72:73] offset0:44 offset1:45
	ds_write2_b64 v254, v[66:67], v[68:69] offset0:46 offset1:47
	ds_write2_b64 v254, v[62:63], v[64:65] offset0:48 offset1:49
	ds_write2_b64 v254, v[58:59], v[60:61] offset0:50 offset1:51
	ds_write2_b64 v254, v[54:55], v[56:57] offset0:52 offset1:53
	ds_write2_b64 v254, v[50:51], v[52:53] offset0:54 offset1:55
	ds_write2_b64 v254, v[46:47], v[48:49] offset0:56 offset1:57
	ds_write2_b64 v254, v[42:43], v[44:45] offset0:58 offset1:59
	ds_write2_b64 v254, v[38:39], v[40:41] offset0:60 offset1:61
	ds_write2_b64 v254, v[34:35], v[36:37] offset0:62 offset1:63
	ds_write2_b64 v254, v[30:31], v[32:33] offset0:64 offset1:65
	ds_write2_b64 v254, v[26:27], v[28:29] offset0:66 offset1:67
	ds_write2_b64 v254, v[22:23], v[24:25] offset0:68 offset1:69
	ds_write2_b64 v254, v[18:19], v[20:21] offset0:70 offset1:71
	ds_write2_b64 v254, v[14:15], v[16:17] offset0:72 offset1:73
	ds_write2_b64 v254, v[10:11], v[12:13] offset0:74 offset1:75
	ds_write2_b64 v254, v[6:7], v[8:9] offset0:76 offset1:77
	ds_write2_b64 v254, v[2:3], v[4:5] offset0:78 offset1:79
	ds_read2_b64 v[162:165], v1 offset1:1
	s_waitcnt lgkmcnt(0)
	v_cmp_neq_f64_e32 vcc_lo, 0, v[162:163]
	v_cmp_neq_f64_e64 s1, 0, v[164:165]
	s_or_b32 s1, vcc_lo, s1
	s_and_b32 exec_lo, exec_lo, s1
	s_cbranch_execz .LBB79_125
; %bb.120:
	v_cmp_ngt_f64_e64 s1, |v[162:163]|, |v[164:165]|
                                        ; implicit-def: $vgpr166_vgpr167
	s_and_saveexec_b32 s3, s1
	s_xor_b32 s1, exec_lo, s3
                                        ; implicit-def: $vgpr168_vgpr169
	s_cbranch_execz .LBB79_122
; %bb.121:
	v_div_scale_f64 v[166:167], null, v[164:165], v[164:165], v[162:163]
	v_div_scale_f64 v[172:173], vcc_lo, v[162:163], v[164:165], v[162:163]
	v_rcp_f64_e32 v[168:169], v[166:167]
	v_fma_f64 v[170:171], -v[166:167], v[168:169], 1.0
	v_fma_f64 v[168:169], v[168:169], v[170:171], v[168:169]
	v_fma_f64 v[170:171], -v[166:167], v[168:169], 1.0
	v_fma_f64 v[168:169], v[168:169], v[170:171], v[168:169]
	v_mul_f64 v[170:171], v[172:173], v[168:169]
	v_fma_f64 v[166:167], -v[166:167], v[170:171], v[172:173]
	v_div_fmas_f64 v[166:167], v[166:167], v[168:169], v[170:171]
	v_div_fixup_f64 v[166:167], v[166:167], v[164:165], v[162:163]
	v_fma_f64 v[162:163], v[162:163], v[166:167], v[164:165]
	v_div_scale_f64 v[164:165], null, v[162:163], v[162:163], 1.0
	v_rcp_f64_e32 v[168:169], v[164:165]
	v_fma_f64 v[170:171], -v[164:165], v[168:169], 1.0
	v_fma_f64 v[168:169], v[168:169], v[170:171], v[168:169]
	v_fma_f64 v[170:171], -v[164:165], v[168:169], 1.0
	v_fma_f64 v[168:169], v[168:169], v[170:171], v[168:169]
	v_div_scale_f64 v[170:171], vcc_lo, 1.0, v[162:163], 1.0
	v_mul_f64 v[172:173], v[170:171], v[168:169]
	v_fma_f64 v[164:165], -v[164:165], v[172:173], v[170:171]
	v_div_fmas_f64 v[164:165], v[164:165], v[168:169], v[172:173]
	v_div_fixup_f64 v[168:169], v[164:165], v[162:163], 1.0
                                        ; implicit-def: $vgpr162_vgpr163
	v_mul_f64 v[166:167], v[166:167], v[168:169]
	v_xor_b32_e32 v169, 0x80000000, v169
.LBB79_122:
	s_andn2_saveexec_b32 s1, s1
	s_cbranch_execz .LBB79_124
; %bb.123:
	v_div_scale_f64 v[166:167], null, v[162:163], v[162:163], v[164:165]
	v_div_scale_f64 v[172:173], vcc_lo, v[164:165], v[162:163], v[164:165]
	v_rcp_f64_e32 v[168:169], v[166:167]
	v_fma_f64 v[170:171], -v[166:167], v[168:169], 1.0
	v_fma_f64 v[168:169], v[168:169], v[170:171], v[168:169]
	v_fma_f64 v[170:171], -v[166:167], v[168:169], 1.0
	v_fma_f64 v[168:169], v[168:169], v[170:171], v[168:169]
	v_mul_f64 v[170:171], v[172:173], v[168:169]
	v_fma_f64 v[166:167], -v[166:167], v[170:171], v[172:173]
	v_div_fmas_f64 v[166:167], v[166:167], v[168:169], v[170:171]
	v_div_fixup_f64 v[168:169], v[166:167], v[162:163], v[164:165]
	v_fma_f64 v[162:163], v[164:165], v[168:169], v[162:163]
	v_div_scale_f64 v[164:165], null, v[162:163], v[162:163], 1.0
	v_rcp_f64_e32 v[166:167], v[164:165]
	v_fma_f64 v[170:171], -v[164:165], v[166:167], 1.0
	v_fma_f64 v[166:167], v[166:167], v[170:171], v[166:167]
	v_fma_f64 v[170:171], -v[164:165], v[166:167], 1.0
	v_fma_f64 v[166:167], v[166:167], v[170:171], v[166:167]
	v_div_scale_f64 v[170:171], vcc_lo, 1.0, v[162:163], 1.0
	v_mul_f64 v[172:173], v[170:171], v[166:167]
	v_fma_f64 v[164:165], -v[164:165], v[172:173], v[170:171]
	v_div_fmas_f64 v[164:165], v[164:165], v[166:167], v[172:173]
	v_div_fixup_f64 v[166:167], v[164:165], v[162:163], 1.0
	v_mul_f64 v[168:169], v[168:169], -v[166:167]
.LBB79_124:
	s_or_b32 exec_lo, exec_lo, s1
	ds_write2_b64 v1, v[166:167], v[168:169] offset1:1
.LBB79_125:
	s_or_b32 exec_lo, exec_lo, s2
	s_waitcnt lgkmcnt(0)
	s_barrier
	buffer_gl0_inv
	ds_read2_b64 v[162:165], v1 offset1:1
	s_mov_b32 s1, exec_lo
	s_waitcnt lgkmcnt(0)
	buffer_store_dword v162, off, s[16:19], 0 offset:440 ; 4-byte Folded Spill
	buffer_store_dword v163, off, s[16:19], 0 offset:444 ; 4-byte Folded Spill
	;; [unrolled: 1-line block ×4, first 2 shown]
	v_cmpx_lt_u32_e32 13, v0
	s_cbranch_execz .LBB79_127
; %bb.126:
	s_clause 0x3
	buffer_load_dword v164, off, s[16:19], 0 offset:440
	buffer_load_dword v165, off, s[16:19], 0 offset:444
	;; [unrolled: 1-line block ×4, first 2 shown]
	s_waitcnt vmcnt(0)
	v_mul_f64 v[162:163], v[166:167], v[108:109]
	v_mul_f64 v[108:109], v[164:165], v[108:109]
	v_fma_f64 v[162:163], v[164:165], v[106:107], -v[162:163]
	v_fma_f64 v[108:109], v[166:167], v[106:107], v[108:109]
	ds_read2_b64 v[164:167], v254 offset0:28 offset1:29
	s_waitcnt lgkmcnt(0)
	v_mul_f64 v[106:107], v[166:167], v[108:109]
	v_fma_f64 v[106:107], v[164:165], v[162:163], -v[106:107]
	v_mul_f64 v[164:165], v[164:165], v[108:109]
	v_add_f64 v[102:103], v[102:103], -v[106:107]
	v_fma_f64 v[164:165], v[166:167], v[162:163], v[164:165]
	v_add_f64 v[104:105], v[104:105], -v[164:165]
	ds_read2_b64 v[164:167], v254 offset0:30 offset1:31
	s_waitcnt lgkmcnt(0)
	v_mul_f64 v[106:107], v[166:167], v[108:109]
	v_fma_f64 v[106:107], v[164:165], v[162:163], -v[106:107]
	v_mul_f64 v[164:165], v[164:165], v[108:109]
	v_add_f64 v[98:99], v[98:99], -v[106:107]
	v_fma_f64 v[164:165], v[166:167], v[162:163], v[164:165]
	v_add_f64 v[100:101], v[100:101], -v[164:165]
	;; [unrolled: 8-line block ×25, first 2 shown]
	ds_read2_b64 v[164:167], v254 offset0:78 offset1:79
	s_waitcnt lgkmcnt(0)
	v_mul_f64 v[106:107], v[166:167], v[108:109]
	v_fma_f64 v[106:107], v[164:165], v[162:163], -v[106:107]
	v_mul_f64 v[164:165], v[164:165], v[108:109]
	v_add_f64 v[2:3], v[2:3], -v[106:107]
	v_fma_f64 v[164:165], v[166:167], v[162:163], v[164:165]
	v_mov_b32_e32 v106, v162
	v_mov_b32_e32 v107, v163
	v_add_f64 v[4:5], v[4:5], -v[164:165]
.LBB79_127:
	s_or_b32 exec_lo, exec_lo, s1
	s_mov_b32 s2, exec_lo
	s_waitcnt_vscnt null, 0x0
	s_barrier
	buffer_gl0_inv
	v_cmpx_eq_u32_e32 14, v0
	s_cbranch_execz .LBB79_134
; %bb.128:
	ds_write2_b64 v1, v[102:103], v[104:105] offset1:1
	ds_write2_b64 v254, v[98:99], v[100:101] offset0:30 offset1:31
	ds_write2_b64 v254, v[94:95], v[96:97] offset0:32 offset1:33
	ds_write2_b64 v254, v[90:91], v[92:93] offset0:34 offset1:35
	ds_write2_b64 v254, v[86:87], v[88:89] offset0:36 offset1:37
	ds_write2_b64 v254, v[82:83], v[84:85] offset0:38 offset1:39
	ds_write2_b64 v254, v[78:79], v[80:81] offset0:40 offset1:41
	ds_write2_b64 v254, v[74:75], v[76:77] offset0:42 offset1:43
	ds_write2_b64 v254, v[70:71], v[72:73] offset0:44 offset1:45
	ds_write2_b64 v254, v[66:67], v[68:69] offset0:46 offset1:47
	ds_write2_b64 v254, v[62:63], v[64:65] offset0:48 offset1:49
	ds_write2_b64 v254, v[58:59], v[60:61] offset0:50 offset1:51
	ds_write2_b64 v254, v[54:55], v[56:57] offset0:52 offset1:53
	ds_write2_b64 v254, v[50:51], v[52:53] offset0:54 offset1:55
	ds_write2_b64 v254, v[46:47], v[48:49] offset0:56 offset1:57
	ds_write2_b64 v254, v[42:43], v[44:45] offset0:58 offset1:59
	ds_write2_b64 v254, v[38:39], v[40:41] offset0:60 offset1:61
	ds_write2_b64 v254, v[34:35], v[36:37] offset0:62 offset1:63
	ds_write2_b64 v254, v[30:31], v[32:33] offset0:64 offset1:65
	ds_write2_b64 v254, v[26:27], v[28:29] offset0:66 offset1:67
	ds_write2_b64 v254, v[22:23], v[24:25] offset0:68 offset1:69
	ds_write2_b64 v254, v[18:19], v[20:21] offset0:70 offset1:71
	ds_write2_b64 v254, v[14:15], v[16:17] offset0:72 offset1:73
	ds_write2_b64 v254, v[10:11], v[12:13] offset0:74 offset1:75
	ds_write2_b64 v254, v[6:7], v[8:9] offset0:76 offset1:77
	ds_write2_b64 v254, v[2:3], v[4:5] offset0:78 offset1:79
	ds_read2_b64 v[162:165], v1 offset1:1
	s_waitcnt lgkmcnt(0)
	v_cmp_neq_f64_e32 vcc_lo, 0, v[162:163]
	v_cmp_neq_f64_e64 s1, 0, v[164:165]
	s_or_b32 s1, vcc_lo, s1
	s_and_b32 exec_lo, exec_lo, s1
	s_cbranch_execz .LBB79_134
; %bb.129:
	v_cmp_ngt_f64_e64 s1, |v[162:163]|, |v[164:165]|
                                        ; implicit-def: $vgpr166_vgpr167
	s_and_saveexec_b32 s3, s1
	s_xor_b32 s1, exec_lo, s3
                                        ; implicit-def: $vgpr168_vgpr169
	s_cbranch_execz .LBB79_131
; %bb.130:
	v_div_scale_f64 v[166:167], null, v[164:165], v[164:165], v[162:163]
	v_div_scale_f64 v[172:173], vcc_lo, v[162:163], v[164:165], v[162:163]
	v_rcp_f64_e32 v[168:169], v[166:167]
	v_fma_f64 v[170:171], -v[166:167], v[168:169], 1.0
	v_fma_f64 v[168:169], v[168:169], v[170:171], v[168:169]
	v_fma_f64 v[170:171], -v[166:167], v[168:169], 1.0
	v_fma_f64 v[168:169], v[168:169], v[170:171], v[168:169]
	v_mul_f64 v[170:171], v[172:173], v[168:169]
	v_fma_f64 v[166:167], -v[166:167], v[170:171], v[172:173]
	v_div_fmas_f64 v[166:167], v[166:167], v[168:169], v[170:171]
	v_div_fixup_f64 v[166:167], v[166:167], v[164:165], v[162:163]
	v_fma_f64 v[162:163], v[162:163], v[166:167], v[164:165]
	v_div_scale_f64 v[164:165], null, v[162:163], v[162:163], 1.0
	v_rcp_f64_e32 v[168:169], v[164:165]
	v_fma_f64 v[170:171], -v[164:165], v[168:169], 1.0
	v_fma_f64 v[168:169], v[168:169], v[170:171], v[168:169]
	v_fma_f64 v[170:171], -v[164:165], v[168:169], 1.0
	v_fma_f64 v[168:169], v[168:169], v[170:171], v[168:169]
	v_div_scale_f64 v[170:171], vcc_lo, 1.0, v[162:163], 1.0
	v_mul_f64 v[172:173], v[170:171], v[168:169]
	v_fma_f64 v[164:165], -v[164:165], v[172:173], v[170:171]
	v_div_fmas_f64 v[164:165], v[164:165], v[168:169], v[172:173]
	v_div_fixup_f64 v[168:169], v[164:165], v[162:163], 1.0
                                        ; implicit-def: $vgpr162_vgpr163
	v_mul_f64 v[166:167], v[166:167], v[168:169]
	v_xor_b32_e32 v169, 0x80000000, v169
.LBB79_131:
	s_andn2_saveexec_b32 s1, s1
	s_cbranch_execz .LBB79_133
; %bb.132:
	v_div_scale_f64 v[166:167], null, v[162:163], v[162:163], v[164:165]
	v_div_scale_f64 v[172:173], vcc_lo, v[164:165], v[162:163], v[164:165]
	v_rcp_f64_e32 v[168:169], v[166:167]
	v_fma_f64 v[170:171], -v[166:167], v[168:169], 1.0
	v_fma_f64 v[168:169], v[168:169], v[170:171], v[168:169]
	v_fma_f64 v[170:171], -v[166:167], v[168:169], 1.0
	v_fma_f64 v[168:169], v[168:169], v[170:171], v[168:169]
	v_mul_f64 v[170:171], v[172:173], v[168:169]
	v_fma_f64 v[166:167], -v[166:167], v[170:171], v[172:173]
	v_div_fmas_f64 v[166:167], v[166:167], v[168:169], v[170:171]
	v_div_fixup_f64 v[168:169], v[166:167], v[162:163], v[164:165]
	v_fma_f64 v[162:163], v[164:165], v[168:169], v[162:163]
	v_div_scale_f64 v[164:165], null, v[162:163], v[162:163], 1.0
	v_rcp_f64_e32 v[166:167], v[164:165]
	v_fma_f64 v[170:171], -v[164:165], v[166:167], 1.0
	v_fma_f64 v[166:167], v[166:167], v[170:171], v[166:167]
	v_fma_f64 v[170:171], -v[164:165], v[166:167], 1.0
	v_fma_f64 v[166:167], v[166:167], v[170:171], v[166:167]
	v_div_scale_f64 v[170:171], vcc_lo, 1.0, v[162:163], 1.0
	v_mul_f64 v[172:173], v[170:171], v[166:167]
	v_fma_f64 v[164:165], -v[164:165], v[172:173], v[170:171]
	v_div_fmas_f64 v[164:165], v[164:165], v[166:167], v[172:173]
	v_div_fixup_f64 v[166:167], v[164:165], v[162:163], 1.0
	v_mul_f64 v[168:169], v[168:169], -v[166:167]
.LBB79_133:
	s_or_b32 exec_lo, exec_lo, s1
	ds_write2_b64 v1, v[166:167], v[168:169] offset1:1
.LBB79_134:
	s_or_b32 exec_lo, exec_lo, s2
	s_waitcnt lgkmcnt(0)
	s_barrier
	buffer_gl0_inv
	ds_read2_b64 v[162:165], v1 offset1:1
	s_mov_b32 s1, exec_lo
	s_waitcnt lgkmcnt(0)
	buffer_store_dword v162, off, s[16:19], 0 offset:456 ; 4-byte Folded Spill
	buffer_store_dword v163, off, s[16:19], 0 offset:460 ; 4-byte Folded Spill
	;; [unrolled: 1-line block ×4, first 2 shown]
	v_cmpx_lt_u32_e32 14, v0
	s_cbranch_execz .LBB79_136
; %bb.135:
	s_clause 0x3
	buffer_load_dword v164, off, s[16:19], 0 offset:456
	buffer_load_dword v165, off, s[16:19], 0 offset:460
	;; [unrolled: 1-line block ×4, first 2 shown]
	s_waitcnt vmcnt(0)
	v_mul_f64 v[162:163], v[166:167], v[104:105]
	v_mul_f64 v[104:105], v[164:165], v[104:105]
	v_fma_f64 v[162:163], v[164:165], v[102:103], -v[162:163]
	v_fma_f64 v[104:105], v[166:167], v[102:103], v[104:105]
	ds_read2_b64 v[164:167], v254 offset0:30 offset1:31
	s_waitcnt lgkmcnt(0)
	v_mul_f64 v[102:103], v[166:167], v[104:105]
	v_fma_f64 v[102:103], v[164:165], v[162:163], -v[102:103]
	v_mul_f64 v[164:165], v[164:165], v[104:105]
	v_add_f64 v[98:99], v[98:99], -v[102:103]
	v_fma_f64 v[164:165], v[166:167], v[162:163], v[164:165]
	v_add_f64 v[100:101], v[100:101], -v[164:165]
	ds_read2_b64 v[164:167], v254 offset0:32 offset1:33
	s_waitcnt lgkmcnt(0)
	v_mul_f64 v[102:103], v[166:167], v[104:105]
	v_fma_f64 v[102:103], v[164:165], v[162:163], -v[102:103]
	v_mul_f64 v[164:165], v[164:165], v[104:105]
	v_add_f64 v[94:95], v[94:95], -v[102:103]
	v_fma_f64 v[164:165], v[166:167], v[162:163], v[164:165]
	v_add_f64 v[96:97], v[96:97], -v[164:165]
	;; [unrolled: 8-line block ×24, first 2 shown]
	ds_read2_b64 v[164:167], v254 offset0:78 offset1:79
	s_waitcnt lgkmcnt(0)
	v_mul_f64 v[102:103], v[166:167], v[104:105]
	v_fma_f64 v[102:103], v[164:165], v[162:163], -v[102:103]
	v_mul_f64 v[164:165], v[164:165], v[104:105]
	v_add_f64 v[2:3], v[2:3], -v[102:103]
	v_fma_f64 v[164:165], v[166:167], v[162:163], v[164:165]
	v_mov_b32_e32 v102, v162
	v_mov_b32_e32 v103, v163
	v_add_f64 v[4:5], v[4:5], -v[164:165]
.LBB79_136:
	s_or_b32 exec_lo, exec_lo, s1
	s_mov_b32 s2, exec_lo
	s_waitcnt_vscnt null, 0x0
	s_barrier
	buffer_gl0_inv
	v_cmpx_eq_u32_e32 15, v0
	s_cbranch_execz .LBB79_143
; %bb.137:
	ds_write2_b64 v1, v[98:99], v[100:101] offset1:1
	ds_write2_b64 v254, v[94:95], v[96:97] offset0:32 offset1:33
	ds_write2_b64 v254, v[90:91], v[92:93] offset0:34 offset1:35
	;; [unrolled: 1-line block ×24, first 2 shown]
	ds_read2_b64 v[162:165], v1 offset1:1
	s_waitcnt lgkmcnt(0)
	v_cmp_neq_f64_e32 vcc_lo, 0, v[162:163]
	v_cmp_neq_f64_e64 s1, 0, v[164:165]
	s_or_b32 s1, vcc_lo, s1
	s_and_b32 exec_lo, exec_lo, s1
	s_cbranch_execz .LBB79_143
; %bb.138:
	v_cmp_ngt_f64_e64 s1, |v[162:163]|, |v[164:165]|
                                        ; implicit-def: $vgpr166_vgpr167
	s_and_saveexec_b32 s3, s1
	s_xor_b32 s1, exec_lo, s3
                                        ; implicit-def: $vgpr168_vgpr169
	s_cbranch_execz .LBB79_140
; %bb.139:
	v_div_scale_f64 v[166:167], null, v[164:165], v[164:165], v[162:163]
	v_div_scale_f64 v[172:173], vcc_lo, v[162:163], v[164:165], v[162:163]
	v_rcp_f64_e32 v[168:169], v[166:167]
	v_fma_f64 v[170:171], -v[166:167], v[168:169], 1.0
	v_fma_f64 v[168:169], v[168:169], v[170:171], v[168:169]
	v_fma_f64 v[170:171], -v[166:167], v[168:169], 1.0
	v_fma_f64 v[168:169], v[168:169], v[170:171], v[168:169]
	v_mul_f64 v[170:171], v[172:173], v[168:169]
	v_fma_f64 v[166:167], -v[166:167], v[170:171], v[172:173]
	v_div_fmas_f64 v[166:167], v[166:167], v[168:169], v[170:171]
	v_div_fixup_f64 v[166:167], v[166:167], v[164:165], v[162:163]
	v_fma_f64 v[162:163], v[162:163], v[166:167], v[164:165]
	v_div_scale_f64 v[164:165], null, v[162:163], v[162:163], 1.0
	v_rcp_f64_e32 v[168:169], v[164:165]
	v_fma_f64 v[170:171], -v[164:165], v[168:169], 1.0
	v_fma_f64 v[168:169], v[168:169], v[170:171], v[168:169]
	v_fma_f64 v[170:171], -v[164:165], v[168:169], 1.0
	v_fma_f64 v[168:169], v[168:169], v[170:171], v[168:169]
	v_div_scale_f64 v[170:171], vcc_lo, 1.0, v[162:163], 1.0
	v_mul_f64 v[172:173], v[170:171], v[168:169]
	v_fma_f64 v[164:165], -v[164:165], v[172:173], v[170:171]
	v_div_fmas_f64 v[164:165], v[164:165], v[168:169], v[172:173]
	v_div_fixup_f64 v[168:169], v[164:165], v[162:163], 1.0
                                        ; implicit-def: $vgpr162_vgpr163
	v_mul_f64 v[166:167], v[166:167], v[168:169]
	v_xor_b32_e32 v169, 0x80000000, v169
.LBB79_140:
	s_andn2_saveexec_b32 s1, s1
	s_cbranch_execz .LBB79_142
; %bb.141:
	v_div_scale_f64 v[166:167], null, v[162:163], v[162:163], v[164:165]
	v_div_scale_f64 v[172:173], vcc_lo, v[164:165], v[162:163], v[164:165]
	v_rcp_f64_e32 v[168:169], v[166:167]
	v_fma_f64 v[170:171], -v[166:167], v[168:169], 1.0
	v_fma_f64 v[168:169], v[168:169], v[170:171], v[168:169]
	v_fma_f64 v[170:171], -v[166:167], v[168:169], 1.0
	v_fma_f64 v[168:169], v[168:169], v[170:171], v[168:169]
	v_mul_f64 v[170:171], v[172:173], v[168:169]
	v_fma_f64 v[166:167], -v[166:167], v[170:171], v[172:173]
	v_div_fmas_f64 v[166:167], v[166:167], v[168:169], v[170:171]
	v_div_fixup_f64 v[168:169], v[166:167], v[162:163], v[164:165]
	v_fma_f64 v[162:163], v[164:165], v[168:169], v[162:163]
	v_div_scale_f64 v[164:165], null, v[162:163], v[162:163], 1.0
	v_rcp_f64_e32 v[166:167], v[164:165]
	v_fma_f64 v[170:171], -v[164:165], v[166:167], 1.0
	v_fma_f64 v[166:167], v[166:167], v[170:171], v[166:167]
	v_fma_f64 v[170:171], -v[164:165], v[166:167], 1.0
	v_fma_f64 v[166:167], v[166:167], v[170:171], v[166:167]
	v_div_scale_f64 v[170:171], vcc_lo, 1.0, v[162:163], 1.0
	v_mul_f64 v[172:173], v[170:171], v[166:167]
	v_fma_f64 v[164:165], -v[164:165], v[172:173], v[170:171]
	v_div_fmas_f64 v[164:165], v[164:165], v[166:167], v[172:173]
	v_div_fixup_f64 v[166:167], v[164:165], v[162:163], 1.0
	v_mul_f64 v[168:169], v[168:169], -v[166:167]
.LBB79_142:
	s_or_b32 exec_lo, exec_lo, s1
	ds_write2_b64 v1, v[166:167], v[168:169] offset1:1
.LBB79_143:
	s_or_b32 exec_lo, exec_lo, s2
	s_waitcnt lgkmcnt(0)
	s_barrier
	buffer_gl0_inv
	ds_read2_b64 v[162:165], v1 offset1:1
	s_mov_b32 s1, exec_lo
	s_waitcnt lgkmcnt(0)
	buffer_store_dword v162, off, s[16:19], 0 offset:472 ; 4-byte Folded Spill
	buffer_store_dword v163, off, s[16:19], 0 offset:476 ; 4-byte Folded Spill
	;; [unrolled: 1-line block ×4, first 2 shown]
	v_cmpx_lt_u32_e32 15, v0
	s_cbranch_execz .LBB79_145
; %bb.144:
	s_clause 0x3
	buffer_load_dword v164, off, s[16:19], 0 offset:472
	buffer_load_dword v165, off, s[16:19], 0 offset:476
	;; [unrolled: 1-line block ×4, first 2 shown]
	s_waitcnt vmcnt(0)
	v_mul_f64 v[162:163], v[166:167], v[100:101]
	v_mul_f64 v[100:101], v[164:165], v[100:101]
	v_fma_f64 v[162:163], v[164:165], v[98:99], -v[162:163]
	v_fma_f64 v[100:101], v[166:167], v[98:99], v[100:101]
	ds_read2_b64 v[164:167], v254 offset0:32 offset1:33
	s_waitcnt lgkmcnt(0)
	v_mul_f64 v[98:99], v[166:167], v[100:101]
	v_fma_f64 v[98:99], v[164:165], v[162:163], -v[98:99]
	v_mul_f64 v[164:165], v[164:165], v[100:101]
	v_add_f64 v[94:95], v[94:95], -v[98:99]
	v_fma_f64 v[164:165], v[166:167], v[162:163], v[164:165]
	v_add_f64 v[96:97], v[96:97], -v[164:165]
	ds_read2_b64 v[164:167], v254 offset0:34 offset1:35
	s_waitcnt lgkmcnt(0)
	v_mul_f64 v[98:99], v[166:167], v[100:101]
	v_fma_f64 v[98:99], v[164:165], v[162:163], -v[98:99]
	v_mul_f64 v[164:165], v[164:165], v[100:101]
	v_add_f64 v[90:91], v[90:91], -v[98:99]
	v_fma_f64 v[164:165], v[166:167], v[162:163], v[164:165]
	v_add_f64 v[92:93], v[92:93], -v[164:165]
	;; [unrolled: 8-line block ×23, first 2 shown]
	ds_read2_b64 v[164:167], v254 offset0:78 offset1:79
	s_waitcnt lgkmcnt(0)
	v_mul_f64 v[98:99], v[166:167], v[100:101]
	v_fma_f64 v[98:99], v[164:165], v[162:163], -v[98:99]
	v_mul_f64 v[164:165], v[164:165], v[100:101]
	v_add_f64 v[2:3], v[2:3], -v[98:99]
	v_fma_f64 v[164:165], v[166:167], v[162:163], v[164:165]
	v_mov_b32_e32 v98, v162
	v_mov_b32_e32 v99, v163
	v_add_f64 v[4:5], v[4:5], -v[164:165]
.LBB79_145:
	s_or_b32 exec_lo, exec_lo, s1
	s_mov_b32 s2, exec_lo
	s_waitcnt_vscnt null, 0x0
	s_barrier
	buffer_gl0_inv
	v_cmpx_eq_u32_e32 16, v0
	s_cbranch_execz .LBB79_152
; %bb.146:
	ds_write2_b64 v1, v[94:95], v[96:97] offset1:1
	ds_write2_b64 v254, v[90:91], v[92:93] offset0:34 offset1:35
	ds_write2_b64 v254, v[86:87], v[88:89] offset0:36 offset1:37
	;; [unrolled: 1-line block ×23, first 2 shown]
	ds_read2_b64 v[162:165], v1 offset1:1
	s_waitcnt lgkmcnt(0)
	v_cmp_neq_f64_e32 vcc_lo, 0, v[162:163]
	v_cmp_neq_f64_e64 s1, 0, v[164:165]
	s_or_b32 s1, vcc_lo, s1
	s_and_b32 exec_lo, exec_lo, s1
	s_cbranch_execz .LBB79_152
; %bb.147:
	v_cmp_ngt_f64_e64 s1, |v[162:163]|, |v[164:165]|
                                        ; implicit-def: $vgpr166_vgpr167
	s_and_saveexec_b32 s3, s1
	s_xor_b32 s1, exec_lo, s3
                                        ; implicit-def: $vgpr168_vgpr169
	s_cbranch_execz .LBB79_149
; %bb.148:
	v_div_scale_f64 v[166:167], null, v[164:165], v[164:165], v[162:163]
	v_div_scale_f64 v[172:173], vcc_lo, v[162:163], v[164:165], v[162:163]
	v_rcp_f64_e32 v[168:169], v[166:167]
	v_fma_f64 v[170:171], -v[166:167], v[168:169], 1.0
	v_fma_f64 v[168:169], v[168:169], v[170:171], v[168:169]
	v_fma_f64 v[170:171], -v[166:167], v[168:169], 1.0
	v_fma_f64 v[168:169], v[168:169], v[170:171], v[168:169]
	v_mul_f64 v[170:171], v[172:173], v[168:169]
	v_fma_f64 v[166:167], -v[166:167], v[170:171], v[172:173]
	v_div_fmas_f64 v[166:167], v[166:167], v[168:169], v[170:171]
	v_div_fixup_f64 v[166:167], v[166:167], v[164:165], v[162:163]
	v_fma_f64 v[162:163], v[162:163], v[166:167], v[164:165]
	v_div_scale_f64 v[164:165], null, v[162:163], v[162:163], 1.0
	v_rcp_f64_e32 v[168:169], v[164:165]
	v_fma_f64 v[170:171], -v[164:165], v[168:169], 1.0
	v_fma_f64 v[168:169], v[168:169], v[170:171], v[168:169]
	v_fma_f64 v[170:171], -v[164:165], v[168:169], 1.0
	v_fma_f64 v[168:169], v[168:169], v[170:171], v[168:169]
	v_div_scale_f64 v[170:171], vcc_lo, 1.0, v[162:163], 1.0
	v_mul_f64 v[172:173], v[170:171], v[168:169]
	v_fma_f64 v[164:165], -v[164:165], v[172:173], v[170:171]
	v_div_fmas_f64 v[164:165], v[164:165], v[168:169], v[172:173]
	v_div_fixup_f64 v[168:169], v[164:165], v[162:163], 1.0
                                        ; implicit-def: $vgpr162_vgpr163
	v_mul_f64 v[166:167], v[166:167], v[168:169]
	v_xor_b32_e32 v169, 0x80000000, v169
.LBB79_149:
	s_andn2_saveexec_b32 s1, s1
	s_cbranch_execz .LBB79_151
; %bb.150:
	v_div_scale_f64 v[166:167], null, v[162:163], v[162:163], v[164:165]
	v_div_scale_f64 v[172:173], vcc_lo, v[164:165], v[162:163], v[164:165]
	v_rcp_f64_e32 v[168:169], v[166:167]
	v_fma_f64 v[170:171], -v[166:167], v[168:169], 1.0
	v_fma_f64 v[168:169], v[168:169], v[170:171], v[168:169]
	v_fma_f64 v[170:171], -v[166:167], v[168:169], 1.0
	v_fma_f64 v[168:169], v[168:169], v[170:171], v[168:169]
	v_mul_f64 v[170:171], v[172:173], v[168:169]
	v_fma_f64 v[166:167], -v[166:167], v[170:171], v[172:173]
	v_div_fmas_f64 v[166:167], v[166:167], v[168:169], v[170:171]
	v_div_fixup_f64 v[168:169], v[166:167], v[162:163], v[164:165]
	v_fma_f64 v[162:163], v[164:165], v[168:169], v[162:163]
	v_div_scale_f64 v[164:165], null, v[162:163], v[162:163], 1.0
	v_rcp_f64_e32 v[166:167], v[164:165]
	v_fma_f64 v[170:171], -v[164:165], v[166:167], 1.0
	v_fma_f64 v[166:167], v[166:167], v[170:171], v[166:167]
	v_fma_f64 v[170:171], -v[164:165], v[166:167], 1.0
	v_fma_f64 v[166:167], v[166:167], v[170:171], v[166:167]
	v_div_scale_f64 v[170:171], vcc_lo, 1.0, v[162:163], 1.0
	v_mul_f64 v[172:173], v[170:171], v[166:167]
	v_fma_f64 v[164:165], -v[164:165], v[172:173], v[170:171]
	v_div_fmas_f64 v[164:165], v[164:165], v[166:167], v[172:173]
	v_div_fixup_f64 v[166:167], v[164:165], v[162:163], 1.0
	v_mul_f64 v[168:169], v[168:169], -v[166:167]
.LBB79_151:
	s_or_b32 exec_lo, exec_lo, s1
	ds_write2_b64 v1, v[166:167], v[168:169] offset1:1
.LBB79_152:
	s_or_b32 exec_lo, exec_lo, s2
	s_waitcnt lgkmcnt(0)
	s_barrier
	buffer_gl0_inv
	ds_read2_b64 v[162:165], v1 offset1:1
	s_mov_b32 s1, exec_lo
	s_waitcnt lgkmcnt(0)
	buffer_store_dword v162, off, s[16:19], 0 offset:488 ; 4-byte Folded Spill
	buffer_store_dword v163, off, s[16:19], 0 offset:492 ; 4-byte Folded Spill
	;; [unrolled: 1-line block ×4, first 2 shown]
	v_cmpx_lt_u32_e32 16, v0
	s_cbranch_execz .LBB79_154
; %bb.153:
	s_clause 0x3
	buffer_load_dword v164, off, s[16:19], 0 offset:488
	buffer_load_dword v165, off, s[16:19], 0 offset:492
	;; [unrolled: 1-line block ×4, first 2 shown]
	s_waitcnt vmcnt(0)
	v_mul_f64 v[162:163], v[166:167], v[96:97]
	v_mul_f64 v[96:97], v[164:165], v[96:97]
	v_fma_f64 v[162:163], v[164:165], v[94:95], -v[162:163]
	v_fma_f64 v[96:97], v[166:167], v[94:95], v[96:97]
	ds_read2_b64 v[164:167], v254 offset0:34 offset1:35
	s_waitcnt lgkmcnt(0)
	v_mul_f64 v[94:95], v[166:167], v[96:97]
	v_fma_f64 v[94:95], v[164:165], v[162:163], -v[94:95]
	v_mul_f64 v[164:165], v[164:165], v[96:97]
	v_add_f64 v[90:91], v[90:91], -v[94:95]
	v_fma_f64 v[164:165], v[166:167], v[162:163], v[164:165]
	v_add_f64 v[92:93], v[92:93], -v[164:165]
	ds_read2_b64 v[164:167], v254 offset0:36 offset1:37
	s_waitcnt lgkmcnt(0)
	v_mul_f64 v[94:95], v[166:167], v[96:97]
	v_fma_f64 v[94:95], v[164:165], v[162:163], -v[94:95]
	v_mul_f64 v[164:165], v[164:165], v[96:97]
	v_add_f64 v[86:87], v[86:87], -v[94:95]
	v_fma_f64 v[164:165], v[166:167], v[162:163], v[164:165]
	v_add_f64 v[88:89], v[88:89], -v[164:165]
	;; [unrolled: 8-line block ×22, first 2 shown]
	ds_read2_b64 v[164:167], v254 offset0:78 offset1:79
	s_waitcnt lgkmcnt(0)
	v_mul_f64 v[94:95], v[166:167], v[96:97]
	v_fma_f64 v[94:95], v[164:165], v[162:163], -v[94:95]
	v_mul_f64 v[164:165], v[164:165], v[96:97]
	v_add_f64 v[2:3], v[2:3], -v[94:95]
	v_fma_f64 v[164:165], v[166:167], v[162:163], v[164:165]
	v_mov_b32_e32 v94, v162
	v_mov_b32_e32 v95, v163
	v_add_f64 v[4:5], v[4:5], -v[164:165]
.LBB79_154:
	s_or_b32 exec_lo, exec_lo, s1
	s_mov_b32 s2, exec_lo
	s_waitcnt_vscnt null, 0x0
	s_barrier
	buffer_gl0_inv
	v_cmpx_eq_u32_e32 17, v0
	s_cbranch_execz .LBB79_161
; %bb.155:
	ds_write2_b64 v1, v[90:91], v[92:93] offset1:1
	ds_write2_b64 v254, v[86:87], v[88:89] offset0:36 offset1:37
	ds_write2_b64 v254, v[82:83], v[84:85] offset0:38 offset1:39
	;; [unrolled: 1-line block ×22, first 2 shown]
	ds_read2_b64 v[162:165], v1 offset1:1
	s_waitcnt lgkmcnt(0)
	v_cmp_neq_f64_e32 vcc_lo, 0, v[162:163]
	v_cmp_neq_f64_e64 s1, 0, v[164:165]
	s_or_b32 s1, vcc_lo, s1
	s_and_b32 exec_lo, exec_lo, s1
	s_cbranch_execz .LBB79_161
; %bb.156:
	v_cmp_ngt_f64_e64 s1, |v[162:163]|, |v[164:165]|
                                        ; implicit-def: $vgpr166_vgpr167
	s_and_saveexec_b32 s3, s1
	s_xor_b32 s1, exec_lo, s3
                                        ; implicit-def: $vgpr168_vgpr169
	s_cbranch_execz .LBB79_158
; %bb.157:
	v_div_scale_f64 v[166:167], null, v[164:165], v[164:165], v[162:163]
	v_div_scale_f64 v[172:173], vcc_lo, v[162:163], v[164:165], v[162:163]
	v_rcp_f64_e32 v[168:169], v[166:167]
	v_fma_f64 v[170:171], -v[166:167], v[168:169], 1.0
	v_fma_f64 v[168:169], v[168:169], v[170:171], v[168:169]
	v_fma_f64 v[170:171], -v[166:167], v[168:169], 1.0
	v_fma_f64 v[168:169], v[168:169], v[170:171], v[168:169]
	v_mul_f64 v[170:171], v[172:173], v[168:169]
	v_fma_f64 v[166:167], -v[166:167], v[170:171], v[172:173]
	v_div_fmas_f64 v[166:167], v[166:167], v[168:169], v[170:171]
	v_div_fixup_f64 v[166:167], v[166:167], v[164:165], v[162:163]
	v_fma_f64 v[162:163], v[162:163], v[166:167], v[164:165]
	v_div_scale_f64 v[164:165], null, v[162:163], v[162:163], 1.0
	v_rcp_f64_e32 v[168:169], v[164:165]
	v_fma_f64 v[170:171], -v[164:165], v[168:169], 1.0
	v_fma_f64 v[168:169], v[168:169], v[170:171], v[168:169]
	v_fma_f64 v[170:171], -v[164:165], v[168:169], 1.0
	v_fma_f64 v[168:169], v[168:169], v[170:171], v[168:169]
	v_div_scale_f64 v[170:171], vcc_lo, 1.0, v[162:163], 1.0
	v_mul_f64 v[172:173], v[170:171], v[168:169]
	v_fma_f64 v[164:165], -v[164:165], v[172:173], v[170:171]
	v_div_fmas_f64 v[164:165], v[164:165], v[168:169], v[172:173]
	v_div_fixup_f64 v[168:169], v[164:165], v[162:163], 1.0
                                        ; implicit-def: $vgpr162_vgpr163
	v_mul_f64 v[166:167], v[166:167], v[168:169]
	v_xor_b32_e32 v169, 0x80000000, v169
.LBB79_158:
	s_andn2_saveexec_b32 s1, s1
	s_cbranch_execz .LBB79_160
; %bb.159:
	v_div_scale_f64 v[166:167], null, v[162:163], v[162:163], v[164:165]
	v_div_scale_f64 v[172:173], vcc_lo, v[164:165], v[162:163], v[164:165]
	v_rcp_f64_e32 v[168:169], v[166:167]
	v_fma_f64 v[170:171], -v[166:167], v[168:169], 1.0
	v_fma_f64 v[168:169], v[168:169], v[170:171], v[168:169]
	v_fma_f64 v[170:171], -v[166:167], v[168:169], 1.0
	v_fma_f64 v[168:169], v[168:169], v[170:171], v[168:169]
	v_mul_f64 v[170:171], v[172:173], v[168:169]
	v_fma_f64 v[166:167], -v[166:167], v[170:171], v[172:173]
	v_div_fmas_f64 v[166:167], v[166:167], v[168:169], v[170:171]
	v_div_fixup_f64 v[168:169], v[166:167], v[162:163], v[164:165]
	v_fma_f64 v[162:163], v[164:165], v[168:169], v[162:163]
	v_div_scale_f64 v[164:165], null, v[162:163], v[162:163], 1.0
	v_rcp_f64_e32 v[166:167], v[164:165]
	v_fma_f64 v[170:171], -v[164:165], v[166:167], 1.0
	v_fma_f64 v[166:167], v[166:167], v[170:171], v[166:167]
	v_fma_f64 v[170:171], -v[164:165], v[166:167], 1.0
	v_fma_f64 v[166:167], v[166:167], v[170:171], v[166:167]
	v_div_scale_f64 v[170:171], vcc_lo, 1.0, v[162:163], 1.0
	v_mul_f64 v[172:173], v[170:171], v[166:167]
	v_fma_f64 v[164:165], -v[164:165], v[172:173], v[170:171]
	v_div_fmas_f64 v[164:165], v[164:165], v[166:167], v[172:173]
	v_div_fixup_f64 v[166:167], v[164:165], v[162:163], 1.0
	v_mul_f64 v[168:169], v[168:169], -v[166:167]
.LBB79_160:
	s_or_b32 exec_lo, exec_lo, s1
	ds_write2_b64 v1, v[166:167], v[168:169] offset1:1
.LBB79_161:
	s_or_b32 exec_lo, exec_lo, s2
	s_waitcnt lgkmcnt(0)
	s_barrier
	buffer_gl0_inv
	ds_read2_b64 v[162:165], v1 offset1:1
	s_mov_b32 s1, exec_lo
	s_waitcnt lgkmcnt(0)
	buffer_store_dword v162, off, s[16:19], 0 offset:504 ; 4-byte Folded Spill
	buffer_store_dword v163, off, s[16:19], 0 offset:508 ; 4-byte Folded Spill
	;; [unrolled: 1-line block ×4, first 2 shown]
	v_cmpx_lt_u32_e32 17, v0
	s_cbranch_execz .LBB79_163
; %bb.162:
	s_clause 0x3
	buffer_load_dword v164, off, s[16:19], 0 offset:504
	buffer_load_dword v165, off, s[16:19], 0 offset:508
	buffer_load_dword v166, off, s[16:19], 0 offset:512
	buffer_load_dword v167, off, s[16:19], 0 offset:516
	s_waitcnt vmcnt(0)
	v_mul_f64 v[162:163], v[166:167], v[92:93]
	v_mul_f64 v[92:93], v[164:165], v[92:93]
	v_fma_f64 v[162:163], v[164:165], v[90:91], -v[162:163]
	v_fma_f64 v[92:93], v[166:167], v[90:91], v[92:93]
	ds_read2_b64 v[164:167], v254 offset0:36 offset1:37
	s_waitcnt lgkmcnt(0)
	v_mul_f64 v[90:91], v[166:167], v[92:93]
	v_fma_f64 v[90:91], v[164:165], v[162:163], -v[90:91]
	v_mul_f64 v[164:165], v[164:165], v[92:93]
	v_add_f64 v[86:87], v[86:87], -v[90:91]
	v_fma_f64 v[164:165], v[166:167], v[162:163], v[164:165]
	v_add_f64 v[88:89], v[88:89], -v[164:165]
	ds_read2_b64 v[164:167], v254 offset0:38 offset1:39
	s_waitcnt lgkmcnt(0)
	v_mul_f64 v[90:91], v[166:167], v[92:93]
	v_fma_f64 v[90:91], v[164:165], v[162:163], -v[90:91]
	v_mul_f64 v[164:165], v[164:165], v[92:93]
	v_add_f64 v[82:83], v[82:83], -v[90:91]
	v_fma_f64 v[164:165], v[166:167], v[162:163], v[164:165]
	v_add_f64 v[84:85], v[84:85], -v[164:165]
	;; [unrolled: 8-line block ×21, first 2 shown]
	ds_read2_b64 v[164:167], v254 offset0:78 offset1:79
	s_waitcnt lgkmcnt(0)
	v_mul_f64 v[90:91], v[166:167], v[92:93]
	v_fma_f64 v[90:91], v[164:165], v[162:163], -v[90:91]
	v_mul_f64 v[164:165], v[164:165], v[92:93]
	v_add_f64 v[2:3], v[2:3], -v[90:91]
	v_fma_f64 v[164:165], v[166:167], v[162:163], v[164:165]
	v_mov_b32_e32 v90, v162
	v_mov_b32_e32 v91, v163
	v_add_f64 v[4:5], v[4:5], -v[164:165]
.LBB79_163:
	s_or_b32 exec_lo, exec_lo, s1
	s_mov_b32 s2, exec_lo
	s_waitcnt_vscnt null, 0x0
	s_barrier
	buffer_gl0_inv
	v_cmpx_eq_u32_e32 18, v0
	s_cbranch_execz .LBB79_170
; %bb.164:
	ds_write2_b64 v1, v[86:87], v[88:89] offset1:1
	ds_write2_b64 v254, v[82:83], v[84:85] offset0:38 offset1:39
	ds_write2_b64 v254, v[78:79], v[80:81] offset0:40 offset1:41
	;; [unrolled: 1-line block ×21, first 2 shown]
	ds_read2_b64 v[162:165], v1 offset1:1
	s_waitcnt lgkmcnt(0)
	v_cmp_neq_f64_e32 vcc_lo, 0, v[162:163]
	v_cmp_neq_f64_e64 s1, 0, v[164:165]
	s_or_b32 s1, vcc_lo, s1
	s_and_b32 exec_lo, exec_lo, s1
	s_cbranch_execz .LBB79_170
; %bb.165:
	v_cmp_ngt_f64_e64 s1, |v[162:163]|, |v[164:165]|
                                        ; implicit-def: $vgpr166_vgpr167
	s_and_saveexec_b32 s3, s1
	s_xor_b32 s1, exec_lo, s3
                                        ; implicit-def: $vgpr168_vgpr169
	s_cbranch_execz .LBB79_167
; %bb.166:
	v_div_scale_f64 v[166:167], null, v[164:165], v[164:165], v[162:163]
	v_div_scale_f64 v[172:173], vcc_lo, v[162:163], v[164:165], v[162:163]
	v_rcp_f64_e32 v[168:169], v[166:167]
	v_fma_f64 v[170:171], -v[166:167], v[168:169], 1.0
	v_fma_f64 v[168:169], v[168:169], v[170:171], v[168:169]
	v_fma_f64 v[170:171], -v[166:167], v[168:169], 1.0
	v_fma_f64 v[168:169], v[168:169], v[170:171], v[168:169]
	v_mul_f64 v[170:171], v[172:173], v[168:169]
	v_fma_f64 v[166:167], -v[166:167], v[170:171], v[172:173]
	v_div_fmas_f64 v[166:167], v[166:167], v[168:169], v[170:171]
	v_div_fixup_f64 v[166:167], v[166:167], v[164:165], v[162:163]
	v_fma_f64 v[162:163], v[162:163], v[166:167], v[164:165]
	v_div_scale_f64 v[164:165], null, v[162:163], v[162:163], 1.0
	v_rcp_f64_e32 v[168:169], v[164:165]
	v_fma_f64 v[170:171], -v[164:165], v[168:169], 1.0
	v_fma_f64 v[168:169], v[168:169], v[170:171], v[168:169]
	v_fma_f64 v[170:171], -v[164:165], v[168:169], 1.0
	v_fma_f64 v[168:169], v[168:169], v[170:171], v[168:169]
	v_div_scale_f64 v[170:171], vcc_lo, 1.0, v[162:163], 1.0
	v_mul_f64 v[172:173], v[170:171], v[168:169]
	v_fma_f64 v[164:165], -v[164:165], v[172:173], v[170:171]
	v_div_fmas_f64 v[164:165], v[164:165], v[168:169], v[172:173]
	v_div_fixup_f64 v[168:169], v[164:165], v[162:163], 1.0
                                        ; implicit-def: $vgpr162_vgpr163
	v_mul_f64 v[166:167], v[166:167], v[168:169]
	v_xor_b32_e32 v169, 0x80000000, v169
.LBB79_167:
	s_andn2_saveexec_b32 s1, s1
	s_cbranch_execz .LBB79_169
; %bb.168:
	v_div_scale_f64 v[166:167], null, v[162:163], v[162:163], v[164:165]
	v_div_scale_f64 v[172:173], vcc_lo, v[164:165], v[162:163], v[164:165]
	v_rcp_f64_e32 v[168:169], v[166:167]
	v_fma_f64 v[170:171], -v[166:167], v[168:169], 1.0
	v_fma_f64 v[168:169], v[168:169], v[170:171], v[168:169]
	v_fma_f64 v[170:171], -v[166:167], v[168:169], 1.0
	v_fma_f64 v[168:169], v[168:169], v[170:171], v[168:169]
	v_mul_f64 v[170:171], v[172:173], v[168:169]
	v_fma_f64 v[166:167], -v[166:167], v[170:171], v[172:173]
	v_div_fmas_f64 v[166:167], v[166:167], v[168:169], v[170:171]
	v_div_fixup_f64 v[168:169], v[166:167], v[162:163], v[164:165]
	v_fma_f64 v[162:163], v[164:165], v[168:169], v[162:163]
	v_div_scale_f64 v[164:165], null, v[162:163], v[162:163], 1.0
	v_rcp_f64_e32 v[166:167], v[164:165]
	v_fma_f64 v[170:171], -v[164:165], v[166:167], 1.0
	v_fma_f64 v[166:167], v[166:167], v[170:171], v[166:167]
	v_fma_f64 v[170:171], -v[164:165], v[166:167], 1.0
	v_fma_f64 v[166:167], v[166:167], v[170:171], v[166:167]
	v_div_scale_f64 v[170:171], vcc_lo, 1.0, v[162:163], 1.0
	v_mul_f64 v[172:173], v[170:171], v[166:167]
	v_fma_f64 v[164:165], -v[164:165], v[172:173], v[170:171]
	v_div_fmas_f64 v[164:165], v[164:165], v[166:167], v[172:173]
	v_div_fixup_f64 v[166:167], v[164:165], v[162:163], 1.0
	v_mul_f64 v[168:169], v[168:169], -v[166:167]
.LBB79_169:
	s_or_b32 exec_lo, exec_lo, s1
	ds_write2_b64 v1, v[166:167], v[168:169] offset1:1
.LBB79_170:
	s_or_b32 exec_lo, exec_lo, s2
	s_waitcnt lgkmcnt(0)
	s_barrier
	buffer_gl0_inv
	ds_read2_b64 v[162:165], v1 offset1:1
	s_mov_b32 s1, exec_lo
	s_waitcnt lgkmcnt(0)
	buffer_store_dword v162, off, s[16:19], 0 offset:520 ; 4-byte Folded Spill
	buffer_store_dword v163, off, s[16:19], 0 offset:524 ; 4-byte Folded Spill
	;; [unrolled: 1-line block ×4, first 2 shown]
	v_cmpx_lt_u32_e32 18, v0
	s_cbranch_execz .LBB79_172
; %bb.171:
	s_clause 0x3
	buffer_load_dword v164, off, s[16:19], 0 offset:520
	buffer_load_dword v165, off, s[16:19], 0 offset:524
	;; [unrolled: 1-line block ×4, first 2 shown]
	s_waitcnt vmcnt(0)
	v_mul_f64 v[162:163], v[166:167], v[88:89]
	v_mul_f64 v[88:89], v[164:165], v[88:89]
	v_fma_f64 v[162:163], v[164:165], v[86:87], -v[162:163]
	v_fma_f64 v[88:89], v[166:167], v[86:87], v[88:89]
	ds_read2_b64 v[164:167], v254 offset0:38 offset1:39
	s_waitcnt lgkmcnt(0)
	v_mul_f64 v[86:87], v[166:167], v[88:89]
	v_fma_f64 v[86:87], v[164:165], v[162:163], -v[86:87]
	v_mul_f64 v[164:165], v[164:165], v[88:89]
	v_add_f64 v[82:83], v[82:83], -v[86:87]
	v_fma_f64 v[164:165], v[166:167], v[162:163], v[164:165]
	v_add_f64 v[84:85], v[84:85], -v[164:165]
	ds_read2_b64 v[164:167], v254 offset0:40 offset1:41
	s_waitcnt lgkmcnt(0)
	v_mul_f64 v[86:87], v[166:167], v[88:89]
	v_fma_f64 v[86:87], v[164:165], v[162:163], -v[86:87]
	v_mul_f64 v[164:165], v[164:165], v[88:89]
	v_add_f64 v[78:79], v[78:79], -v[86:87]
	v_fma_f64 v[164:165], v[166:167], v[162:163], v[164:165]
	v_add_f64 v[80:81], v[80:81], -v[164:165]
	;; [unrolled: 8-line block ×20, first 2 shown]
	ds_read2_b64 v[164:167], v254 offset0:78 offset1:79
	s_waitcnt lgkmcnt(0)
	v_mul_f64 v[86:87], v[166:167], v[88:89]
	v_fma_f64 v[86:87], v[164:165], v[162:163], -v[86:87]
	v_mul_f64 v[164:165], v[164:165], v[88:89]
	v_add_f64 v[2:3], v[2:3], -v[86:87]
	v_fma_f64 v[164:165], v[166:167], v[162:163], v[164:165]
	v_mov_b32_e32 v86, v162
	v_mov_b32_e32 v87, v163
	v_add_f64 v[4:5], v[4:5], -v[164:165]
.LBB79_172:
	s_or_b32 exec_lo, exec_lo, s1
	s_mov_b32 s2, exec_lo
	s_waitcnt_vscnt null, 0x0
	s_barrier
	buffer_gl0_inv
	v_cmpx_eq_u32_e32 19, v0
	s_cbranch_execz .LBB79_179
; %bb.173:
	ds_write2_b64 v1, v[82:83], v[84:85] offset1:1
	ds_write2_b64 v254, v[78:79], v[80:81] offset0:40 offset1:41
	ds_write2_b64 v254, v[74:75], v[76:77] offset0:42 offset1:43
	;; [unrolled: 1-line block ×20, first 2 shown]
	ds_read2_b64 v[162:165], v1 offset1:1
	s_waitcnt lgkmcnt(0)
	v_cmp_neq_f64_e32 vcc_lo, 0, v[162:163]
	v_cmp_neq_f64_e64 s1, 0, v[164:165]
	s_or_b32 s1, vcc_lo, s1
	s_and_b32 exec_lo, exec_lo, s1
	s_cbranch_execz .LBB79_179
; %bb.174:
	v_cmp_ngt_f64_e64 s1, |v[162:163]|, |v[164:165]|
                                        ; implicit-def: $vgpr166_vgpr167
	s_and_saveexec_b32 s3, s1
	s_xor_b32 s1, exec_lo, s3
                                        ; implicit-def: $vgpr168_vgpr169
	s_cbranch_execz .LBB79_176
; %bb.175:
	v_div_scale_f64 v[166:167], null, v[164:165], v[164:165], v[162:163]
	v_div_scale_f64 v[172:173], vcc_lo, v[162:163], v[164:165], v[162:163]
	v_rcp_f64_e32 v[168:169], v[166:167]
	v_fma_f64 v[170:171], -v[166:167], v[168:169], 1.0
	v_fma_f64 v[168:169], v[168:169], v[170:171], v[168:169]
	v_fma_f64 v[170:171], -v[166:167], v[168:169], 1.0
	v_fma_f64 v[168:169], v[168:169], v[170:171], v[168:169]
	v_mul_f64 v[170:171], v[172:173], v[168:169]
	v_fma_f64 v[166:167], -v[166:167], v[170:171], v[172:173]
	v_div_fmas_f64 v[166:167], v[166:167], v[168:169], v[170:171]
	v_div_fixup_f64 v[166:167], v[166:167], v[164:165], v[162:163]
	v_fma_f64 v[162:163], v[162:163], v[166:167], v[164:165]
	v_div_scale_f64 v[164:165], null, v[162:163], v[162:163], 1.0
	v_rcp_f64_e32 v[168:169], v[164:165]
	v_fma_f64 v[170:171], -v[164:165], v[168:169], 1.0
	v_fma_f64 v[168:169], v[168:169], v[170:171], v[168:169]
	v_fma_f64 v[170:171], -v[164:165], v[168:169], 1.0
	v_fma_f64 v[168:169], v[168:169], v[170:171], v[168:169]
	v_div_scale_f64 v[170:171], vcc_lo, 1.0, v[162:163], 1.0
	v_mul_f64 v[172:173], v[170:171], v[168:169]
	v_fma_f64 v[164:165], -v[164:165], v[172:173], v[170:171]
	v_div_fmas_f64 v[164:165], v[164:165], v[168:169], v[172:173]
	v_div_fixup_f64 v[168:169], v[164:165], v[162:163], 1.0
                                        ; implicit-def: $vgpr162_vgpr163
	v_mul_f64 v[166:167], v[166:167], v[168:169]
	v_xor_b32_e32 v169, 0x80000000, v169
.LBB79_176:
	s_andn2_saveexec_b32 s1, s1
	s_cbranch_execz .LBB79_178
; %bb.177:
	v_div_scale_f64 v[166:167], null, v[162:163], v[162:163], v[164:165]
	v_div_scale_f64 v[172:173], vcc_lo, v[164:165], v[162:163], v[164:165]
	v_rcp_f64_e32 v[168:169], v[166:167]
	v_fma_f64 v[170:171], -v[166:167], v[168:169], 1.0
	v_fma_f64 v[168:169], v[168:169], v[170:171], v[168:169]
	v_fma_f64 v[170:171], -v[166:167], v[168:169], 1.0
	v_fma_f64 v[168:169], v[168:169], v[170:171], v[168:169]
	v_mul_f64 v[170:171], v[172:173], v[168:169]
	v_fma_f64 v[166:167], -v[166:167], v[170:171], v[172:173]
	v_div_fmas_f64 v[166:167], v[166:167], v[168:169], v[170:171]
	v_div_fixup_f64 v[168:169], v[166:167], v[162:163], v[164:165]
	v_fma_f64 v[162:163], v[164:165], v[168:169], v[162:163]
	v_div_scale_f64 v[164:165], null, v[162:163], v[162:163], 1.0
	v_rcp_f64_e32 v[166:167], v[164:165]
	v_fma_f64 v[170:171], -v[164:165], v[166:167], 1.0
	v_fma_f64 v[166:167], v[166:167], v[170:171], v[166:167]
	v_fma_f64 v[170:171], -v[164:165], v[166:167], 1.0
	v_fma_f64 v[166:167], v[166:167], v[170:171], v[166:167]
	v_div_scale_f64 v[170:171], vcc_lo, 1.0, v[162:163], 1.0
	v_mul_f64 v[172:173], v[170:171], v[166:167]
	v_fma_f64 v[164:165], -v[164:165], v[172:173], v[170:171]
	v_div_fmas_f64 v[164:165], v[164:165], v[166:167], v[172:173]
	v_div_fixup_f64 v[166:167], v[164:165], v[162:163], 1.0
	v_mul_f64 v[168:169], v[168:169], -v[166:167]
.LBB79_178:
	s_or_b32 exec_lo, exec_lo, s1
	ds_write2_b64 v1, v[166:167], v[168:169] offset1:1
.LBB79_179:
	s_or_b32 exec_lo, exec_lo, s2
	s_waitcnt lgkmcnt(0)
	s_barrier
	buffer_gl0_inv
	ds_read2_b64 v[162:165], v1 offset1:1
	s_mov_b32 s1, exec_lo
	s_waitcnt lgkmcnt(0)
	buffer_store_dword v162, off, s[16:19], 0 offset:536 ; 4-byte Folded Spill
	buffer_store_dword v163, off, s[16:19], 0 offset:540 ; 4-byte Folded Spill
	;; [unrolled: 1-line block ×4, first 2 shown]
	v_cmpx_lt_u32_e32 19, v0
	s_cbranch_execz .LBB79_181
; %bb.180:
	s_clause 0x3
	buffer_load_dword v164, off, s[16:19], 0 offset:536
	buffer_load_dword v165, off, s[16:19], 0 offset:540
	;; [unrolled: 1-line block ×4, first 2 shown]
	s_waitcnt vmcnt(0)
	v_mul_f64 v[162:163], v[166:167], v[84:85]
	v_mul_f64 v[84:85], v[164:165], v[84:85]
	v_fma_f64 v[162:163], v[164:165], v[82:83], -v[162:163]
	v_fma_f64 v[84:85], v[166:167], v[82:83], v[84:85]
	ds_read2_b64 v[164:167], v254 offset0:40 offset1:41
	s_waitcnt lgkmcnt(0)
	v_mul_f64 v[82:83], v[166:167], v[84:85]
	v_fma_f64 v[82:83], v[164:165], v[162:163], -v[82:83]
	v_mul_f64 v[164:165], v[164:165], v[84:85]
	v_add_f64 v[78:79], v[78:79], -v[82:83]
	v_fma_f64 v[164:165], v[166:167], v[162:163], v[164:165]
	v_add_f64 v[80:81], v[80:81], -v[164:165]
	ds_read2_b64 v[164:167], v254 offset0:42 offset1:43
	s_waitcnt lgkmcnt(0)
	v_mul_f64 v[82:83], v[166:167], v[84:85]
	v_fma_f64 v[82:83], v[164:165], v[162:163], -v[82:83]
	v_mul_f64 v[164:165], v[164:165], v[84:85]
	v_add_f64 v[74:75], v[74:75], -v[82:83]
	v_fma_f64 v[164:165], v[166:167], v[162:163], v[164:165]
	v_add_f64 v[76:77], v[76:77], -v[164:165]
	;; [unrolled: 8-line block ×19, first 2 shown]
	ds_read2_b64 v[164:167], v254 offset0:78 offset1:79
	s_waitcnt lgkmcnt(0)
	v_mul_f64 v[82:83], v[166:167], v[84:85]
	v_fma_f64 v[82:83], v[164:165], v[162:163], -v[82:83]
	v_mul_f64 v[164:165], v[164:165], v[84:85]
	v_add_f64 v[2:3], v[2:3], -v[82:83]
	v_fma_f64 v[164:165], v[166:167], v[162:163], v[164:165]
	v_mov_b32_e32 v82, v162
	v_mov_b32_e32 v83, v163
	v_add_f64 v[4:5], v[4:5], -v[164:165]
.LBB79_181:
	s_or_b32 exec_lo, exec_lo, s1
	s_mov_b32 s2, exec_lo
	s_waitcnt_vscnt null, 0x0
	s_barrier
	buffer_gl0_inv
	v_cmpx_eq_u32_e32 20, v0
	s_cbranch_execz .LBB79_188
; %bb.182:
	ds_write2_b64 v1, v[78:79], v[80:81] offset1:1
	ds_write2_b64 v254, v[74:75], v[76:77] offset0:42 offset1:43
	ds_write2_b64 v254, v[70:71], v[72:73] offset0:44 offset1:45
	;; [unrolled: 1-line block ×19, first 2 shown]
	ds_read2_b64 v[162:165], v1 offset1:1
	s_waitcnt lgkmcnt(0)
	v_cmp_neq_f64_e32 vcc_lo, 0, v[162:163]
	v_cmp_neq_f64_e64 s1, 0, v[164:165]
	s_or_b32 s1, vcc_lo, s1
	s_and_b32 exec_lo, exec_lo, s1
	s_cbranch_execz .LBB79_188
; %bb.183:
	v_cmp_ngt_f64_e64 s1, |v[162:163]|, |v[164:165]|
                                        ; implicit-def: $vgpr166_vgpr167
	s_and_saveexec_b32 s3, s1
	s_xor_b32 s1, exec_lo, s3
                                        ; implicit-def: $vgpr168_vgpr169
	s_cbranch_execz .LBB79_185
; %bb.184:
	v_div_scale_f64 v[166:167], null, v[164:165], v[164:165], v[162:163]
	v_div_scale_f64 v[172:173], vcc_lo, v[162:163], v[164:165], v[162:163]
	v_rcp_f64_e32 v[168:169], v[166:167]
	v_fma_f64 v[170:171], -v[166:167], v[168:169], 1.0
	v_fma_f64 v[168:169], v[168:169], v[170:171], v[168:169]
	v_fma_f64 v[170:171], -v[166:167], v[168:169], 1.0
	v_fma_f64 v[168:169], v[168:169], v[170:171], v[168:169]
	v_mul_f64 v[170:171], v[172:173], v[168:169]
	v_fma_f64 v[166:167], -v[166:167], v[170:171], v[172:173]
	v_div_fmas_f64 v[166:167], v[166:167], v[168:169], v[170:171]
	v_div_fixup_f64 v[166:167], v[166:167], v[164:165], v[162:163]
	v_fma_f64 v[162:163], v[162:163], v[166:167], v[164:165]
	v_div_scale_f64 v[164:165], null, v[162:163], v[162:163], 1.0
	v_rcp_f64_e32 v[168:169], v[164:165]
	v_fma_f64 v[170:171], -v[164:165], v[168:169], 1.0
	v_fma_f64 v[168:169], v[168:169], v[170:171], v[168:169]
	v_fma_f64 v[170:171], -v[164:165], v[168:169], 1.0
	v_fma_f64 v[168:169], v[168:169], v[170:171], v[168:169]
	v_div_scale_f64 v[170:171], vcc_lo, 1.0, v[162:163], 1.0
	v_mul_f64 v[172:173], v[170:171], v[168:169]
	v_fma_f64 v[164:165], -v[164:165], v[172:173], v[170:171]
	v_div_fmas_f64 v[164:165], v[164:165], v[168:169], v[172:173]
	v_div_fixup_f64 v[168:169], v[164:165], v[162:163], 1.0
                                        ; implicit-def: $vgpr162_vgpr163
	v_mul_f64 v[166:167], v[166:167], v[168:169]
	v_xor_b32_e32 v169, 0x80000000, v169
.LBB79_185:
	s_andn2_saveexec_b32 s1, s1
	s_cbranch_execz .LBB79_187
; %bb.186:
	v_div_scale_f64 v[166:167], null, v[162:163], v[162:163], v[164:165]
	v_div_scale_f64 v[172:173], vcc_lo, v[164:165], v[162:163], v[164:165]
	v_rcp_f64_e32 v[168:169], v[166:167]
	v_fma_f64 v[170:171], -v[166:167], v[168:169], 1.0
	v_fma_f64 v[168:169], v[168:169], v[170:171], v[168:169]
	v_fma_f64 v[170:171], -v[166:167], v[168:169], 1.0
	v_fma_f64 v[168:169], v[168:169], v[170:171], v[168:169]
	v_mul_f64 v[170:171], v[172:173], v[168:169]
	v_fma_f64 v[166:167], -v[166:167], v[170:171], v[172:173]
	v_div_fmas_f64 v[166:167], v[166:167], v[168:169], v[170:171]
	v_div_fixup_f64 v[168:169], v[166:167], v[162:163], v[164:165]
	v_fma_f64 v[162:163], v[164:165], v[168:169], v[162:163]
	v_div_scale_f64 v[164:165], null, v[162:163], v[162:163], 1.0
	v_rcp_f64_e32 v[166:167], v[164:165]
	v_fma_f64 v[170:171], -v[164:165], v[166:167], 1.0
	v_fma_f64 v[166:167], v[166:167], v[170:171], v[166:167]
	v_fma_f64 v[170:171], -v[164:165], v[166:167], 1.0
	v_fma_f64 v[166:167], v[166:167], v[170:171], v[166:167]
	v_div_scale_f64 v[170:171], vcc_lo, 1.0, v[162:163], 1.0
	v_mul_f64 v[172:173], v[170:171], v[166:167]
	v_fma_f64 v[164:165], -v[164:165], v[172:173], v[170:171]
	v_div_fmas_f64 v[164:165], v[164:165], v[166:167], v[172:173]
	v_div_fixup_f64 v[166:167], v[164:165], v[162:163], 1.0
	v_mul_f64 v[168:169], v[168:169], -v[166:167]
.LBB79_187:
	s_or_b32 exec_lo, exec_lo, s1
	ds_write2_b64 v1, v[166:167], v[168:169] offset1:1
.LBB79_188:
	s_or_b32 exec_lo, exec_lo, s2
	s_waitcnt lgkmcnt(0)
	s_barrier
	buffer_gl0_inv
	ds_read2_b64 v[162:165], v1 offset1:1
	s_mov_b32 s1, exec_lo
	s_waitcnt lgkmcnt(0)
	buffer_store_dword v162, off, s[16:19], 0 offset:552 ; 4-byte Folded Spill
	buffer_store_dword v163, off, s[16:19], 0 offset:556 ; 4-byte Folded Spill
	;; [unrolled: 1-line block ×4, first 2 shown]
	v_cmpx_lt_u32_e32 20, v0
	s_cbranch_execz .LBB79_190
; %bb.189:
	s_clause 0x3
	buffer_load_dword v164, off, s[16:19], 0 offset:552
	buffer_load_dword v165, off, s[16:19], 0 offset:556
	;; [unrolled: 1-line block ×4, first 2 shown]
	s_waitcnt vmcnt(0)
	v_mul_f64 v[162:163], v[166:167], v[80:81]
	v_mul_f64 v[80:81], v[164:165], v[80:81]
	v_fma_f64 v[162:163], v[164:165], v[78:79], -v[162:163]
	v_fma_f64 v[80:81], v[166:167], v[78:79], v[80:81]
	ds_read2_b64 v[164:167], v254 offset0:42 offset1:43
	s_waitcnt lgkmcnt(0)
	v_mul_f64 v[78:79], v[166:167], v[80:81]
	v_fma_f64 v[78:79], v[164:165], v[162:163], -v[78:79]
	v_mul_f64 v[164:165], v[164:165], v[80:81]
	v_add_f64 v[74:75], v[74:75], -v[78:79]
	v_fma_f64 v[164:165], v[166:167], v[162:163], v[164:165]
	v_add_f64 v[76:77], v[76:77], -v[164:165]
	ds_read2_b64 v[164:167], v254 offset0:44 offset1:45
	s_waitcnt lgkmcnt(0)
	v_mul_f64 v[78:79], v[166:167], v[80:81]
	v_fma_f64 v[78:79], v[164:165], v[162:163], -v[78:79]
	v_mul_f64 v[164:165], v[164:165], v[80:81]
	v_add_f64 v[70:71], v[70:71], -v[78:79]
	v_fma_f64 v[164:165], v[166:167], v[162:163], v[164:165]
	v_add_f64 v[72:73], v[72:73], -v[164:165]
	ds_read2_b64 v[164:167], v254 offset0:46 offset1:47
	s_waitcnt lgkmcnt(0)
	v_mul_f64 v[78:79], v[166:167], v[80:81]
	v_fma_f64 v[78:79], v[164:165], v[162:163], -v[78:79]
	v_mul_f64 v[164:165], v[164:165], v[80:81]
	v_add_f64 v[66:67], v[66:67], -v[78:79]
	v_fma_f64 v[164:165], v[166:167], v[162:163], v[164:165]
	v_add_f64 v[68:69], v[68:69], -v[164:165]
	ds_read2_b64 v[164:167], v254 offset0:48 offset1:49
	s_waitcnt lgkmcnt(0)
	v_mul_f64 v[78:79], v[166:167], v[80:81]
	v_fma_f64 v[78:79], v[164:165], v[162:163], -v[78:79]
	v_mul_f64 v[164:165], v[164:165], v[80:81]
	v_add_f64 v[62:63], v[62:63], -v[78:79]
	v_fma_f64 v[164:165], v[166:167], v[162:163], v[164:165]
	v_add_f64 v[64:65], v[64:65], -v[164:165]
	ds_read2_b64 v[164:167], v254 offset0:50 offset1:51
	s_waitcnt lgkmcnt(0)
	v_mul_f64 v[78:79], v[166:167], v[80:81]
	v_fma_f64 v[78:79], v[164:165], v[162:163], -v[78:79]
	v_mul_f64 v[164:165], v[164:165], v[80:81]
	v_add_f64 v[58:59], v[58:59], -v[78:79]
	v_fma_f64 v[164:165], v[166:167], v[162:163], v[164:165]
	v_add_f64 v[60:61], v[60:61], -v[164:165]
	ds_read2_b64 v[164:167], v254 offset0:52 offset1:53
	s_waitcnt lgkmcnt(0)
	v_mul_f64 v[78:79], v[166:167], v[80:81]
	v_fma_f64 v[78:79], v[164:165], v[162:163], -v[78:79]
	v_mul_f64 v[164:165], v[164:165], v[80:81]
	v_add_f64 v[54:55], v[54:55], -v[78:79]
	v_fma_f64 v[164:165], v[166:167], v[162:163], v[164:165]
	v_add_f64 v[56:57], v[56:57], -v[164:165]
	ds_read2_b64 v[164:167], v254 offset0:54 offset1:55
	s_waitcnt lgkmcnt(0)
	v_mul_f64 v[78:79], v[166:167], v[80:81]
	v_fma_f64 v[78:79], v[164:165], v[162:163], -v[78:79]
	v_mul_f64 v[164:165], v[164:165], v[80:81]
	v_add_f64 v[50:51], v[50:51], -v[78:79]
	v_fma_f64 v[164:165], v[166:167], v[162:163], v[164:165]
	v_add_f64 v[52:53], v[52:53], -v[164:165]
	ds_read2_b64 v[164:167], v254 offset0:56 offset1:57
	s_waitcnt lgkmcnt(0)
	v_mul_f64 v[78:79], v[166:167], v[80:81]
	v_fma_f64 v[78:79], v[164:165], v[162:163], -v[78:79]
	v_mul_f64 v[164:165], v[164:165], v[80:81]
	v_add_f64 v[46:47], v[46:47], -v[78:79]
	v_fma_f64 v[164:165], v[166:167], v[162:163], v[164:165]
	v_add_f64 v[48:49], v[48:49], -v[164:165]
	ds_read2_b64 v[164:167], v254 offset0:58 offset1:59
	s_waitcnt lgkmcnt(0)
	v_mul_f64 v[78:79], v[166:167], v[80:81]
	v_fma_f64 v[78:79], v[164:165], v[162:163], -v[78:79]
	v_mul_f64 v[164:165], v[164:165], v[80:81]
	v_add_f64 v[42:43], v[42:43], -v[78:79]
	v_fma_f64 v[164:165], v[166:167], v[162:163], v[164:165]
	v_add_f64 v[44:45], v[44:45], -v[164:165]
	ds_read2_b64 v[164:167], v254 offset0:60 offset1:61
	s_waitcnt lgkmcnt(0)
	v_mul_f64 v[78:79], v[166:167], v[80:81]
	v_fma_f64 v[78:79], v[164:165], v[162:163], -v[78:79]
	v_mul_f64 v[164:165], v[164:165], v[80:81]
	v_add_f64 v[38:39], v[38:39], -v[78:79]
	v_fma_f64 v[164:165], v[166:167], v[162:163], v[164:165]
	v_add_f64 v[40:41], v[40:41], -v[164:165]
	ds_read2_b64 v[164:167], v254 offset0:62 offset1:63
	s_waitcnt lgkmcnt(0)
	v_mul_f64 v[78:79], v[166:167], v[80:81]
	v_fma_f64 v[78:79], v[164:165], v[162:163], -v[78:79]
	v_mul_f64 v[164:165], v[164:165], v[80:81]
	v_add_f64 v[34:35], v[34:35], -v[78:79]
	v_fma_f64 v[164:165], v[166:167], v[162:163], v[164:165]
	v_add_f64 v[36:37], v[36:37], -v[164:165]
	ds_read2_b64 v[164:167], v254 offset0:64 offset1:65
	s_waitcnt lgkmcnt(0)
	v_mul_f64 v[78:79], v[166:167], v[80:81]
	v_fma_f64 v[78:79], v[164:165], v[162:163], -v[78:79]
	v_mul_f64 v[164:165], v[164:165], v[80:81]
	v_add_f64 v[30:31], v[30:31], -v[78:79]
	v_fma_f64 v[164:165], v[166:167], v[162:163], v[164:165]
	v_add_f64 v[32:33], v[32:33], -v[164:165]
	ds_read2_b64 v[164:167], v254 offset0:66 offset1:67
	s_waitcnt lgkmcnt(0)
	v_mul_f64 v[78:79], v[166:167], v[80:81]
	v_fma_f64 v[78:79], v[164:165], v[162:163], -v[78:79]
	v_mul_f64 v[164:165], v[164:165], v[80:81]
	v_add_f64 v[26:27], v[26:27], -v[78:79]
	v_fma_f64 v[164:165], v[166:167], v[162:163], v[164:165]
	v_add_f64 v[28:29], v[28:29], -v[164:165]
	ds_read2_b64 v[164:167], v254 offset0:68 offset1:69
	s_waitcnt lgkmcnt(0)
	v_mul_f64 v[78:79], v[166:167], v[80:81]
	v_fma_f64 v[78:79], v[164:165], v[162:163], -v[78:79]
	v_mul_f64 v[164:165], v[164:165], v[80:81]
	v_add_f64 v[22:23], v[22:23], -v[78:79]
	v_fma_f64 v[164:165], v[166:167], v[162:163], v[164:165]
	v_add_f64 v[24:25], v[24:25], -v[164:165]
	ds_read2_b64 v[164:167], v254 offset0:70 offset1:71
	s_waitcnt lgkmcnt(0)
	v_mul_f64 v[78:79], v[166:167], v[80:81]
	v_fma_f64 v[78:79], v[164:165], v[162:163], -v[78:79]
	v_mul_f64 v[164:165], v[164:165], v[80:81]
	v_add_f64 v[18:19], v[18:19], -v[78:79]
	v_fma_f64 v[164:165], v[166:167], v[162:163], v[164:165]
	v_add_f64 v[20:21], v[20:21], -v[164:165]
	ds_read2_b64 v[164:167], v254 offset0:72 offset1:73
	s_waitcnt lgkmcnt(0)
	v_mul_f64 v[78:79], v[166:167], v[80:81]
	v_fma_f64 v[78:79], v[164:165], v[162:163], -v[78:79]
	v_mul_f64 v[164:165], v[164:165], v[80:81]
	v_add_f64 v[14:15], v[14:15], -v[78:79]
	v_fma_f64 v[164:165], v[166:167], v[162:163], v[164:165]
	v_add_f64 v[16:17], v[16:17], -v[164:165]
	ds_read2_b64 v[164:167], v254 offset0:74 offset1:75
	s_waitcnt lgkmcnt(0)
	v_mul_f64 v[78:79], v[166:167], v[80:81]
	v_fma_f64 v[78:79], v[164:165], v[162:163], -v[78:79]
	v_mul_f64 v[164:165], v[164:165], v[80:81]
	v_add_f64 v[10:11], v[10:11], -v[78:79]
	v_fma_f64 v[164:165], v[166:167], v[162:163], v[164:165]
	v_add_f64 v[12:13], v[12:13], -v[164:165]
	ds_read2_b64 v[164:167], v254 offset0:76 offset1:77
	s_waitcnt lgkmcnt(0)
	v_mul_f64 v[78:79], v[166:167], v[80:81]
	v_fma_f64 v[78:79], v[164:165], v[162:163], -v[78:79]
	v_mul_f64 v[164:165], v[164:165], v[80:81]
	v_add_f64 v[6:7], v[6:7], -v[78:79]
	v_fma_f64 v[164:165], v[166:167], v[162:163], v[164:165]
	v_add_f64 v[8:9], v[8:9], -v[164:165]
	ds_read2_b64 v[164:167], v254 offset0:78 offset1:79
	s_waitcnt lgkmcnt(0)
	v_mul_f64 v[78:79], v[166:167], v[80:81]
	v_fma_f64 v[78:79], v[164:165], v[162:163], -v[78:79]
	v_mul_f64 v[164:165], v[164:165], v[80:81]
	v_add_f64 v[2:3], v[2:3], -v[78:79]
	v_fma_f64 v[164:165], v[166:167], v[162:163], v[164:165]
	v_mov_b32_e32 v78, v162
	v_mov_b32_e32 v79, v163
	v_add_f64 v[4:5], v[4:5], -v[164:165]
.LBB79_190:
	s_or_b32 exec_lo, exec_lo, s1
	s_mov_b32 s2, exec_lo
	s_waitcnt_vscnt null, 0x0
	s_barrier
	buffer_gl0_inv
	v_cmpx_eq_u32_e32 21, v0
	s_cbranch_execz .LBB79_197
; %bb.191:
	ds_write2_b64 v1, v[74:75], v[76:77] offset1:1
	ds_write2_b64 v254, v[70:71], v[72:73] offset0:44 offset1:45
	ds_write2_b64 v254, v[66:67], v[68:69] offset0:46 offset1:47
	;; [unrolled: 1-line block ×18, first 2 shown]
	ds_read2_b64 v[162:165], v1 offset1:1
	s_waitcnt lgkmcnt(0)
	v_cmp_neq_f64_e32 vcc_lo, 0, v[162:163]
	v_cmp_neq_f64_e64 s1, 0, v[164:165]
	s_or_b32 s1, vcc_lo, s1
	s_and_b32 exec_lo, exec_lo, s1
	s_cbranch_execz .LBB79_197
; %bb.192:
	v_cmp_ngt_f64_e64 s1, |v[162:163]|, |v[164:165]|
                                        ; implicit-def: $vgpr166_vgpr167
	s_and_saveexec_b32 s3, s1
	s_xor_b32 s1, exec_lo, s3
                                        ; implicit-def: $vgpr168_vgpr169
	s_cbranch_execz .LBB79_194
; %bb.193:
	v_div_scale_f64 v[166:167], null, v[164:165], v[164:165], v[162:163]
	v_div_scale_f64 v[172:173], vcc_lo, v[162:163], v[164:165], v[162:163]
	v_rcp_f64_e32 v[168:169], v[166:167]
	v_fma_f64 v[170:171], -v[166:167], v[168:169], 1.0
	v_fma_f64 v[168:169], v[168:169], v[170:171], v[168:169]
	v_fma_f64 v[170:171], -v[166:167], v[168:169], 1.0
	v_fma_f64 v[168:169], v[168:169], v[170:171], v[168:169]
	v_mul_f64 v[170:171], v[172:173], v[168:169]
	v_fma_f64 v[166:167], -v[166:167], v[170:171], v[172:173]
	v_div_fmas_f64 v[166:167], v[166:167], v[168:169], v[170:171]
	v_div_fixup_f64 v[166:167], v[166:167], v[164:165], v[162:163]
	v_fma_f64 v[162:163], v[162:163], v[166:167], v[164:165]
	v_div_scale_f64 v[164:165], null, v[162:163], v[162:163], 1.0
	v_rcp_f64_e32 v[168:169], v[164:165]
	v_fma_f64 v[170:171], -v[164:165], v[168:169], 1.0
	v_fma_f64 v[168:169], v[168:169], v[170:171], v[168:169]
	v_fma_f64 v[170:171], -v[164:165], v[168:169], 1.0
	v_fma_f64 v[168:169], v[168:169], v[170:171], v[168:169]
	v_div_scale_f64 v[170:171], vcc_lo, 1.0, v[162:163], 1.0
	v_mul_f64 v[172:173], v[170:171], v[168:169]
	v_fma_f64 v[164:165], -v[164:165], v[172:173], v[170:171]
	v_div_fmas_f64 v[164:165], v[164:165], v[168:169], v[172:173]
	v_div_fixup_f64 v[168:169], v[164:165], v[162:163], 1.0
                                        ; implicit-def: $vgpr162_vgpr163
	v_mul_f64 v[166:167], v[166:167], v[168:169]
	v_xor_b32_e32 v169, 0x80000000, v169
.LBB79_194:
	s_andn2_saveexec_b32 s1, s1
	s_cbranch_execz .LBB79_196
; %bb.195:
	v_div_scale_f64 v[166:167], null, v[162:163], v[162:163], v[164:165]
	v_div_scale_f64 v[172:173], vcc_lo, v[164:165], v[162:163], v[164:165]
	v_rcp_f64_e32 v[168:169], v[166:167]
	v_fma_f64 v[170:171], -v[166:167], v[168:169], 1.0
	v_fma_f64 v[168:169], v[168:169], v[170:171], v[168:169]
	v_fma_f64 v[170:171], -v[166:167], v[168:169], 1.0
	v_fma_f64 v[168:169], v[168:169], v[170:171], v[168:169]
	v_mul_f64 v[170:171], v[172:173], v[168:169]
	v_fma_f64 v[166:167], -v[166:167], v[170:171], v[172:173]
	v_div_fmas_f64 v[166:167], v[166:167], v[168:169], v[170:171]
	v_div_fixup_f64 v[168:169], v[166:167], v[162:163], v[164:165]
	v_fma_f64 v[162:163], v[164:165], v[168:169], v[162:163]
	v_div_scale_f64 v[164:165], null, v[162:163], v[162:163], 1.0
	v_rcp_f64_e32 v[166:167], v[164:165]
	v_fma_f64 v[170:171], -v[164:165], v[166:167], 1.0
	v_fma_f64 v[166:167], v[166:167], v[170:171], v[166:167]
	v_fma_f64 v[170:171], -v[164:165], v[166:167], 1.0
	v_fma_f64 v[166:167], v[166:167], v[170:171], v[166:167]
	v_div_scale_f64 v[170:171], vcc_lo, 1.0, v[162:163], 1.0
	v_mul_f64 v[172:173], v[170:171], v[166:167]
	v_fma_f64 v[164:165], -v[164:165], v[172:173], v[170:171]
	v_div_fmas_f64 v[164:165], v[164:165], v[166:167], v[172:173]
	v_div_fixup_f64 v[166:167], v[164:165], v[162:163], 1.0
	v_mul_f64 v[168:169], v[168:169], -v[166:167]
.LBB79_196:
	s_or_b32 exec_lo, exec_lo, s1
	ds_write2_b64 v1, v[166:167], v[168:169] offset1:1
.LBB79_197:
	s_or_b32 exec_lo, exec_lo, s2
	s_waitcnt lgkmcnt(0)
	s_barrier
	buffer_gl0_inv
	ds_read2_b64 v[162:165], v1 offset1:1
	s_mov_b32 s1, exec_lo
	s_waitcnt lgkmcnt(0)
	buffer_store_dword v162, off, s[16:19], 0 offset:568 ; 4-byte Folded Spill
	buffer_store_dword v163, off, s[16:19], 0 offset:572 ; 4-byte Folded Spill
	buffer_store_dword v164, off, s[16:19], 0 offset:576 ; 4-byte Folded Spill
	buffer_store_dword v165, off, s[16:19], 0 offset:580 ; 4-byte Folded Spill
	v_cmpx_lt_u32_e32 21, v0
	s_cbranch_execz .LBB79_199
; %bb.198:
	s_clause 0x3
	buffer_load_dword v164, off, s[16:19], 0 offset:568
	buffer_load_dword v165, off, s[16:19], 0 offset:572
	;; [unrolled: 1-line block ×4, first 2 shown]
	s_waitcnt vmcnt(0)
	v_mul_f64 v[162:163], v[166:167], v[76:77]
	v_mul_f64 v[76:77], v[164:165], v[76:77]
	v_fma_f64 v[162:163], v[164:165], v[74:75], -v[162:163]
	v_fma_f64 v[76:77], v[166:167], v[74:75], v[76:77]
	ds_read2_b64 v[164:167], v254 offset0:44 offset1:45
	s_waitcnt lgkmcnt(0)
	v_mul_f64 v[74:75], v[166:167], v[76:77]
	v_fma_f64 v[74:75], v[164:165], v[162:163], -v[74:75]
	v_mul_f64 v[164:165], v[164:165], v[76:77]
	v_add_f64 v[70:71], v[70:71], -v[74:75]
	v_fma_f64 v[164:165], v[166:167], v[162:163], v[164:165]
	v_add_f64 v[72:73], v[72:73], -v[164:165]
	ds_read2_b64 v[164:167], v254 offset0:46 offset1:47
	s_waitcnt lgkmcnt(0)
	v_mul_f64 v[74:75], v[166:167], v[76:77]
	v_fma_f64 v[74:75], v[164:165], v[162:163], -v[74:75]
	v_mul_f64 v[164:165], v[164:165], v[76:77]
	v_add_f64 v[66:67], v[66:67], -v[74:75]
	v_fma_f64 v[164:165], v[166:167], v[162:163], v[164:165]
	v_add_f64 v[68:69], v[68:69], -v[164:165]
	;; [unrolled: 8-line block ×17, first 2 shown]
	ds_read2_b64 v[164:167], v254 offset0:78 offset1:79
	s_waitcnt lgkmcnt(0)
	v_mul_f64 v[74:75], v[166:167], v[76:77]
	v_fma_f64 v[74:75], v[164:165], v[162:163], -v[74:75]
	v_mul_f64 v[164:165], v[164:165], v[76:77]
	v_add_f64 v[2:3], v[2:3], -v[74:75]
	v_fma_f64 v[164:165], v[166:167], v[162:163], v[164:165]
	v_mov_b32_e32 v74, v162
	v_mov_b32_e32 v75, v163
	v_add_f64 v[4:5], v[4:5], -v[164:165]
.LBB79_199:
	s_or_b32 exec_lo, exec_lo, s1
	s_mov_b32 s2, exec_lo
	s_waitcnt_vscnt null, 0x0
	s_barrier
	buffer_gl0_inv
	v_cmpx_eq_u32_e32 22, v0
	s_cbranch_execz .LBB79_206
; %bb.200:
	ds_write2_b64 v1, v[70:71], v[72:73] offset1:1
	ds_write2_b64 v254, v[66:67], v[68:69] offset0:46 offset1:47
	ds_write2_b64 v254, v[62:63], v[64:65] offset0:48 offset1:49
	;; [unrolled: 1-line block ×17, first 2 shown]
	ds_read2_b64 v[162:165], v1 offset1:1
	s_waitcnt lgkmcnt(0)
	v_cmp_neq_f64_e32 vcc_lo, 0, v[162:163]
	v_cmp_neq_f64_e64 s1, 0, v[164:165]
	s_or_b32 s1, vcc_lo, s1
	s_and_b32 exec_lo, exec_lo, s1
	s_cbranch_execz .LBB79_206
; %bb.201:
	v_cmp_ngt_f64_e64 s1, |v[162:163]|, |v[164:165]|
                                        ; implicit-def: $vgpr166_vgpr167
	s_and_saveexec_b32 s3, s1
	s_xor_b32 s1, exec_lo, s3
                                        ; implicit-def: $vgpr168_vgpr169
	s_cbranch_execz .LBB79_203
; %bb.202:
	v_div_scale_f64 v[166:167], null, v[164:165], v[164:165], v[162:163]
	v_div_scale_f64 v[172:173], vcc_lo, v[162:163], v[164:165], v[162:163]
	v_rcp_f64_e32 v[168:169], v[166:167]
	v_fma_f64 v[170:171], -v[166:167], v[168:169], 1.0
	v_fma_f64 v[168:169], v[168:169], v[170:171], v[168:169]
	v_fma_f64 v[170:171], -v[166:167], v[168:169], 1.0
	v_fma_f64 v[168:169], v[168:169], v[170:171], v[168:169]
	v_mul_f64 v[170:171], v[172:173], v[168:169]
	v_fma_f64 v[166:167], -v[166:167], v[170:171], v[172:173]
	v_div_fmas_f64 v[166:167], v[166:167], v[168:169], v[170:171]
	v_div_fixup_f64 v[166:167], v[166:167], v[164:165], v[162:163]
	v_fma_f64 v[162:163], v[162:163], v[166:167], v[164:165]
	v_div_scale_f64 v[164:165], null, v[162:163], v[162:163], 1.0
	v_rcp_f64_e32 v[168:169], v[164:165]
	v_fma_f64 v[170:171], -v[164:165], v[168:169], 1.0
	v_fma_f64 v[168:169], v[168:169], v[170:171], v[168:169]
	v_fma_f64 v[170:171], -v[164:165], v[168:169], 1.0
	v_fma_f64 v[168:169], v[168:169], v[170:171], v[168:169]
	v_div_scale_f64 v[170:171], vcc_lo, 1.0, v[162:163], 1.0
	v_mul_f64 v[172:173], v[170:171], v[168:169]
	v_fma_f64 v[164:165], -v[164:165], v[172:173], v[170:171]
	v_div_fmas_f64 v[164:165], v[164:165], v[168:169], v[172:173]
	v_div_fixup_f64 v[168:169], v[164:165], v[162:163], 1.0
                                        ; implicit-def: $vgpr162_vgpr163
	v_mul_f64 v[166:167], v[166:167], v[168:169]
	v_xor_b32_e32 v169, 0x80000000, v169
.LBB79_203:
	s_andn2_saveexec_b32 s1, s1
	s_cbranch_execz .LBB79_205
; %bb.204:
	v_div_scale_f64 v[166:167], null, v[162:163], v[162:163], v[164:165]
	v_div_scale_f64 v[172:173], vcc_lo, v[164:165], v[162:163], v[164:165]
	v_rcp_f64_e32 v[168:169], v[166:167]
	v_fma_f64 v[170:171], -v[166:167], v[168:169], 1.0
	v_fma_f64 v[168:169], v[168:169], v[170:171], v[168:169]
	v_fma_f64 v[170:171], -v[166:167], v[168:169], 1.0
	v_fma_f64 v[168:169], v[168:169], v[170:171], v[168:169]
	v_mul_f64 v[170:171], v[172:173], v[168:169]
	v_fma_f64 v[166:167], -v[166:167], v[170:171], v[172:173]
	v_div_fmas_f64 v[166:167], v[166:167], v[168:169], v[170:171]
	v_div_fixup_f64 v[168:169], v[166:167], v[162:163], v[164:165]
	v_fma_f64 v[162:163], v[164:165], v[168:169], v[162:163]
	v_div_scale_f64 v[164:165], null, v[162:163], v[162:163], 1.0
	v_rcp_f64_e32 v[166:167], v[164:165]
	v_fma_f64 v[170:171], -v[164:165], v[166:167], 1.0
	v_fma_f64 v[166:167], v[166:167], v[170:171], v[166:167]
	v_fma_f64 v[170:171], -v[164:165], v[166:167], 1.0
	v_fma_f64 v[166:167], v[166:167], v[170:171], v[166:167]
	v_div_scale_f64 v[170:171], vcc_lo, 1.0, v[162:163], 1.0
	v_mul_f64 v[172:173], v[170:171], v[166:167]
	v_fma_f64 v[164:165], -v[164:165], v[172:173], v[170:171]
	v_div_fmas_f64 v[164:165], v[164:165], v[166:167], v[172:173]
	v_div_fixup_f64 v[166:167], v[164:165], v[162:163], 1.0
	v_mul_f64 v[168:169], v[168:169], -v[166:167]
.LBB79_205:
	s_or_b32 exec_lo, exec_lo, s1
	ds_write2_b64 v1, v[166:167], v[168:169] offset1:1
.LBB79_206:
	s_or_b32 exec_lo, exec_lo, s2
	s_waitcnt lgkmcnt(0)
	s_barrier
	buffer_gl0_inv
	ds_read2_b64 v[162:165], v1 offset1:1
	s_mov_b32 s1, exec_lo
	s_waitcnt lgkmcnt(0)
	buffer_store_dword v162, off, s[16:19], 0 offset:584 ; 4-byte Folded Spill
	buffer_store_dword v163, off, s[16:19], 0 offset:588 ; 4-byte Folded Spill
	buffer_store_dword v164, off, s[16:19], 0 offset:592 ; 4-byte Folded Spill
	buffer_store_dword v165, off, s[16:19], 0 offset:596 ; 4-byte Folded Spill
	v_cmpx_lt_u32_e32 22, v0
	s_cbranch_execz .LBB79_208
; %bb.207:
	s_clause 0x3
	buffer_load_dword v164, off, s[16:19], 0 offset:584
	buffer_load_dword v165, off, s[16:19], 0 offset:588
	;; [unrolled: 1-line block ×4, first 2 shown]
	s_waitcnt vmcnt(0)
	v_mul_f64 v[162:163], v[166:167], v[72:73]
	v_mul_f64 v[72:73], v[164:165], v[72:73]
	v_fma_f64 v[162:163], v[164:165], v[70:71], -v[162:163]
	v_fma_f64 v[72:73], v[166:167], v[70:71], v[72:73]
	ds_read2_b64 v[164:167], v254 offset0:46 offset1:47
	s_waitcnt lgkmcnt(0)
	v_mul_f64 v[70:71], v[166:167], v[72:73]
	v_fma_f64 v[70:71], v[164:165], v[162:163], -v[70:71]
	v_mul_f64 v[164:165], v[164:165], v[72:73]
	v_add_f64 v[66:67], v[66:67], -v[70:71]
	v_fma_f64 v[164:165], v[166:167], v[162:163], v[164:165]
	v_add_f64 v[68:69], v[68:69], -v[164:165]
	ds_read2_b64 v[164:167], v254 offset0:48 offset1:49
	s_waitcnt lgkmcnt(0)
	v_mul_f64 v[70:71], v[166:167], v[72:73]
	v_fma_f64 v[70:71], v[164:165], v[162:163], -v[70:71]
	v_mul_f64 v[164:165], v[164:165], v[72:73]
	v_add_f64 v[62:63], v[62:63], -v[70:71]
	v_fma_f64 v[164:165], v[166:167], v[162:163], v[164:165]
	v_add_f64 v[64:65], v[64:65], -v[164:165]
	;; [unrolled: 8-line block ×16, first 2 shown]
	ds_read2_b64 v[164:167], v254 offset0:78 offset1:79
	s_waitcnt lgkmcnt(0)
	v_mul_f64 v[70:71], v[166:167], v[72:73]
	v_fma_f64 v[70:71], v[164:165], v[162:163], -v[70:71]
	v_mul_f64 v[164:165], v[164:165], v[72:73]
	v_add_f64 v[2:3], v[2:3], -v[70:71]
	v_fma_f64 v[164:165], v[166:167], v[162:163], v[164:165]
	v_mov_b32_e32 v70, v162
	v_mov_b32_e32 v71, v163
	v_add_f64 v[4:5], v[4:5], -v[164:165]
.LBB79_208:
	s_or_b32 exec_lo, exec_lo, s1
	s_mov_b32 s2, exec_lo
	s_waitcnt_vscnt null, 0x0
	s_barrier
	buffer_gl0_inv
	v_cmpx_eq_u32_e32 23, v0
	s_cbranch_execz .LBB79_215
; %bb.209:
	ds_write2_b64 v1, v[66:67], v[68:69] offset1:1
	ds_write2_b64 v254, v[62:63], v[64:65] offset0:48 offset1:49
	ds_write2_b64 v254, v[58:59], v[60:61] offset0:50 offset1:51
	;; [unrolled: 1-line block ×16, first 2 shown]
	ds_read2_b64 v[162:165], v1 offset1:1
	s_waitcnt lgkmcnt(0)
	v_cmp_neq_f64_e32 vcc_lo, 0, v[162:163]
	v_cmp_neq_f64_e64 s1, 0, v[164:165]
	s_or_b32 s1, vcc_lo, s1
	s_and_b32 exec_lo, exec_lo, s1
	s_cbranch_execz .LBB79_215
; %bb.210:
	v_cmp_ngt_f64_e64 s1, |v[162:163]|, |v[164:165]|
                                        ; implicit-def: $vgpr166_vgpr167
	s_and_saveexec_b32 s3, s1
	s_xor_b32 s1, exec_lo, s3
                                        ; implicit-def: $vgpr168_vgpr169
	s_cbranch_execz .LBB79_212
; %bb.211:
	v_div_scale_f64 v[166:167], null, v[164:165], v[164:165], v[162:163]
	v_div_scale_f64 v[172:173], vcc_lo, v[162:163], v[164:165], v[162:163]
	v_rcp_f64_e32 v[168:169], v[166:167]
	v_fma_f64 v[170:171], -v[166:167], v[168:169], 1.0
	v_fma_f64 v[168:169], v[168:169], v[170:171], v[168:169]
	v_fma_f64 v[170:171], -v[166:167], v[168:169], 1.0
	v_fma_f64 v[168:169], v[168:169], v[170:171], v[168:169]
	v_mul_f64 v[170:171], v[172:173], v[168:169]
	v_fma_f64 v[166:167], -v[166:167], v[170:171], v[172:173]
	v_div_fmas_f64 v[166:167], v[166:167], v[168:169], v[170:171]
	v_div_fixup_f64 v[166:167], v[166:167], v[164:165], v[162:163]
	v_fma_f64 v[162:163], v[162:163], v[166:167], v[164:165]
	v_div_scale_f64 v[164:165], null, v[162:163], v[162:163], 1.0
	v_rcp_f64_e32 v[168:169], v[164:165]
	v_fma_f64 v[170:171], -v[164:165], v[168:169], 1.0
	v_fma_f64 v[168:169], v[168:169], v[170:171], v[168:169]
	v_fma_f64 v[170:171], -v[164:165], v[168:169], 1.0
	v_fma_f64 v[168:169], v[168:169], v[170:171], v[168:169]
	v_div_scale_f64 v[170:171], vcc_lo, 1.0, v[162:163], 1.0
	v_mul_f64 v[172:173], v[170:171], v[168:169]
	v_fma_f64 v[164:165], -v[164:165], v[172:173], v[170:171]
	v_div_fmas_f64 v[164:165], v[164:165], v[168:169], v[172:173]
	v_div_fixup_f64 v[168:169], v[164:165], v[162:163], 1.0
                                        ; implicit-def: $vgpr162_vgpr163
	v_mul_f64 v[166:167], v[166:167], v[168:169]
	v_xor_b32_e32 v169, 0x80000000, v169
.LBB79_212:
	s_andn2_saveexec_b32 s1, s1
	s_cbranch_execz .LBB79_214
; %bb.213:
	v_div_scale_f64 v[166:167], null, v[162:163], v[162:163], v[164:165]
	v_div_scale_f64 v[172:173], vcc_lo, v[164:165], v[162:163], v[164:165]
	v_rcp_f64_e32 v[168:169], v[166:167]
	v_fma_f64 v[170:171], -v[166:167], v[168:169], 1.0
	v_fma_f64 v[168:169], v[168:169], v[170:171], v[168:169]
	v_fma_f64 v[170:171], -v[166:167], v[168:169], 1.0
	v_fma_f64 v[168:169], v[168:169], v[170:171], v[168:169]
	v_mul_f64 v[170:171], v[172:173], v[168:169]
	v_fma_f64 v[166:167], -v[166:167], v[170:171], v[172:173]
	v_div_fmas_f64 v[166:167], v[166:167], v[168:169], v[170:171]
	v_div_fixup_f64 v[168:169], v[166:167], v[162:163], v[164:165]
	v_fma_f64 v[162:163], v[164:165], v[168:169], v[162:163]
	v_div_scale_f64 v[164:165], null, v[162:163], v[162:163], 1.0
	v_rcp_f64_e32 v[166:167], v[164:165]
	v_fma_f64 v[170:171], -v[164:165], v[166:167], 1.0
	v_fma_f64 v[166:167], v[166:167], v[170:171], v[166:167]
	v_fma_f64 v[170:171], -v[164:165], v[166:167], 1.0
	v_fma_f64 v[166:167], v[166:167], v[170:171], v[166:167]
	v_div_scale_f64 v[170:171], vcc_lo, 1.0, v[162:163], 1.0
	v_mul_f64 v[172:173], v[170:171], v[166:167]
	v_fma_f64 v[164:165], -v[164:165], v[172:173], v[170:171]
	v_div_fmas_f64 v[164:165], v[164:165], v[166:167], v[172:173]
	v_div_fixup_f64 v[166:167], v[164:165], v[162:163], 1.0
	v_mul_f64 v[168:169], v[168:169], -v[166:167]
.LBB79_214:
	s_or_b32 exec_lo, exec_lo, s1
	ds_write2_b64 v1, v[166:167], v[168:169] offset1:1
.LBB79_215:
	s_or_b32 exec_lo, exec_lo, s2
	s_waitcnt lgkmcnt(0)
	s_barrier
	buffer_gl0_inv
	ds_read2_b64 v[162:165], v1 offset1:1
	s_mov_b32 s1, exec_lo
	s_waitcnt lgkmcnt(0)
	buffer_store_dword v162, off, s[16:19], 0 offset:600 ; 4-byte Folded Spill
	buffer_store_dword v163, off, s[16:19], 0 offset:604 ; 4-byte Folded Spill
	;; [unrolled: 1-line block ×4, first 2 shown]
	v_cmpx_lt_u32_e32 23, v0
	s_cbranch_execz .LBB79_217
; %bb.216:
	s_clause 0x3
	buffer_load_dword v162, off, s[16:19], 0 offset:600
	buffer_load_dword v163, off, s[16:19], 0 offset:604
	;; [unrolled: 1-line block ×4, first 2 shown]
	ds_read2_b64 v[168:171], v254 offset0:48 offset1:49
	s_waitcnt vmcnt(2)
	v_mul_f64 v[166:167], v[162:163], v[68:69]
	s_waitcnt vmcnt(0)
	v_mul_f64 v[68:69], v[164:165], v[68:69]
	v_fma_f64 v[166:167], v[164:165], v[66:67], v[166:167]
	v_fma_f64 v[66:67], v[162:163], v[66:67], -v[68:69]
	s_waitcnt lgkmcnt(0)
	v_mul_f64 v[68:69], v[170:171], v[166:167]
	v_fma_f64 v[68:69], v[168:169], v[66:67], -v[68:69]
	v_mul_f64 v[168:169], v[168:169], v[166:167]
	v_add_f64 v[62:63], v[62:63], -v[68:69]
	v_fma_f64 v[168:169], v[170:171], v[66:67], v[168:169]
	v_add_f64 v[64:65], v[64:65], -v[168:169]
	ds_read2_b64 v[168:171], v254 offset0:50 offset1:51
	s_waitcnt lgkmcnt(0)
	v_mul_f64 v[68:69], v[170:171], v[166:167]
	v_fma_f64 v[68:69], v[168:169], v[66:67], -v[68:69]
	v_mul_f64 v[168:169], v[168:169], v[166:167]
	v_add_f64 v[58:59], v[58:59], -v[68:69]
	v_fma_f64 v[168:169], v[170:171], v[66:67], v[168:169]
	v_add_f64 v[60:61], v[60:61], -v[168:169]
	ds_read2_b64 v[168:171], v254 offset0:52 offset1:53
	;; [unrolled: 8-line block ×15, first 2 shown]
	s_waitcnt lgkmcnt(0)
	v_mul_f64 v[68:69], v[170:171], v[166:167]
	v_fma_f64 v[68:69], v[168:169], v[66:67], -v[68:69]
	v_mul_f64 v[168:169], v[168:169], v[166:167]
	v_add_f64 v[2:3], v[2:3], -v[68:69]
	v_fma_f64 v[168:169], v[170:171], v[66:67], v[168:169]
	v_mov_b32_e32 v68, v166
	v_mov_b32_e32 v69, v167
	v_add_f64 v[4:5], v[4:5], -v[168:169]
.LBB79_217:
	s_or_b32 exec_lo, exec_lo, s1
	s_mov_b32 s2, exec_lo
	s_waitcnt_vscnt null, 0x0
	s_barrier
	buffer_gl0_inv
	v_cmpx_eq_u32_e32 24, v0
	s_cbranch_execz .LBB79_224
; %bb.218:
	ds_write2_b64 v1, v[62:63], v[64:65] offset1:1
	ds_write2_b64 v254, v[58:59], v[60:61] offset0:50 offset1:51
	ds_write2_b64 v254, v[54:55], v[56:57] offset0:52 offset1:53
	;; [unrolled: 1-line block ×15, first 2 shown]
	ds_read2_b64 v[166:169], v1 offset1:1
	s_waitcnt lgkmcnt(0)
	v_cmp_neq_f64_e32 vcc_lo, 0, v[166:167]
	v_cmp_neq_f64_e64 s1, 0, v[168:169]
	s_or_b32 s1, vcc_lo, s1
	s_and_b32 exec_lo, exec_lo, s1
	s_cbranch_execz .LBB79_224
; %bb.219:
	v_cmp_ngt_f64_e64 s1, |v[166:167]|, |v[168:169]|
                                        ; implicit-def: $vgpr170_vgpr171
	s_and_saveexec_b32 s3, s1
	s_xor_b32 s1, exec_lo, s3
                                        ; implicit-def: $vgpr172_vgpr173
	s_cbranch_execz .LBB79_221
; %bb.220:
	v_div_scale_f64 v[170:171], null, v[168:169], v[168:169], v[166:167]
	v_div_scale_f64 v[176:177], vcc_lo, v[166:167], v[168:169], v[166:167]
	v_rcp_f64_e32 v[172:173], v[170:171]
	v_fma_f64 v[174:175], -v[170:171], v[172:173], 1.0
	v_fma_f64 v[172:173], v[172:173], v[174:175], v[172:173]
	v_fma_f64 v[174:175], -v[170:171], v[172:173], 1.0
	v_fma_f64 v[172:173], v[172:173], v[174:175], v[172:173]
	v_mul_f64 v[174:175], v[176:177], v[172:173]
	v_fma_f64 v[170:171], -v[170:171], v[174:175], v[176:177]
	v_div_fmas_f64 v[170:171], v[170:171], v[172:173], v[174:175]
	v_div_fixup_f64 v[170:171], v[170:171], v[168:169], v[166:167]
	v_fma_f64 v[166:167], v[166:167], v[170:171], v[168:169]
	v_div_scale_f64 v[168:169], null, v[166:167], v[166:167], 1.0
	v_rcp_f64_e32 v[172:173], v[168:169]
	v_fma_f64 v[174:175], -v[168:169], v[172:173], 1.0
	v_fma_f64 v[172:173], v[172:173], v[174:175], v[172:173]
	v_fma_f64 v[174:175], -v[168:169], v[172:173], 1.0
	v_fma_f64 v[172:173], v[172:173], v[174:175], v[172:173]
	v_div_scale_f64 v[174:175], vcc_lo, 1.0, v[166:167], 1.0
	v_mul_f64 v[176:177], v[174:175], v[172:173]
	v_fma_f64 v[168:169], -v[168:169], v[176:177], v[174:175]
	v_div_fmas_f64 v[168:169], v[168:169], v[172:173], v[176:177]
	v_div_fixup_f64 v[172:173], v[168:169], v[166:167], 1.0
                                        ; implicit-def: $vgpr166_vgpr167
	v_mul_f64 v[170:171], v[170:171], v[172:173]
	v_xor_b32_e32 v173, 0x80000000, v173
.LBB79_221:
	s_andn2_saveexec_b32 s1, s1
	s_cbranch_execz .LBB79_223
; %bb.222:
	v_div_scale_f64 v[170:171], null, v[166:167], v[166:167], v[168:169]
	v_div_scale_f64 v[176:177], vcc_lo, v[168:169], v[166:167], v[168:169]
	v_rcp_f64_e32 v[172:173], v[170:171]
	v_fma_f64 v[174:175], -v[170:171], v[172:173], 1.0
	v_fma_f64 v[172:173], v[172:173], v[174:175], v[172:173]
	v_fma_f64 v[174:175], -v[170:171], v[172:173], 1.0
	v_fma_f64 v[172:173], v[172:173], v[174:175], v[172:173]
	v_mul_f64 v[174:175], v[176:177], v[172:173]
	v_fma_f64 v[170:171], -v[170:171], v[174:175], v[176:177]
	v_div_fmas_f64 v[170:171], v[170:171], v[172:173], v[174:175]
	v_div_fixup_f64 v[172:173], v[170:171], v[166:167], v[168:169]
	v_fma_f64 v[166:167], v[168:169], v[172:173], v[166:167]
	v_div_scale_f64 v[168:169], null, v[166:167], v[166:167], 1.0
	v_rcp_f64_e32 v[170:171], v[168:169]
	v_fma_f64 v[174:175], -v[168:169], v[170:171], 1.0
	v_fma_f64 v[170:171], v[170:171], v[174:175], v[170:171]
	v_fma_f64 v[174:175], -v[168:169], v[170:171], 1.0
	v_fma_f64 v[170:171], v[170:171], v[174:175], v[170:171]
	v_div_scale_f64 v[174:175], vcc_lo, 1.0, v[166:167], 1.0
	v_mul_f64 v[176:177], v[174:175], v[170:171]
	v_fma_f64 v[168:169], -v[168:169], v[176:177], v[174:175]
	v_div_fmas_f64 v[168:169], v[168:169], v[170:171], v[176:177]
	v_div_fixup_f64 v[170:171], v[168:169], v[166:167], 1.0
	v_mul_f64 v[172:173], v[172:173], -v[170:171]
.LBB79_223:
	s_or_b32 exec_lo, exec_lo, s1
	ds_write2_b64 v1, v[170:171], v[172:173] offset1:1
.LBB79_224:
	s_or_b32 exec_lo, exec_lo, s2
	s_waitcnt lgkmcnt(0)
	s_barrier
	buffer_gl0_inv
	ds_read2_b64 v[166:169], v1 offset1:1
	s_mov_b32 s1, exec_lo
	v_cmpx_lt_u32_e32 24, v0
	s_cbranch_execz .LBB79_226
; %bb.225:
	s_waitcnt lgkmcnt(0)
	v_mul_f64 v[170:171], v[166:167], v[64:65]
	v_mul_f64 v[64:65], v[168:169], v[64:65]
	ds_read2_b64 v[172:175], v254 offset0:50 offset1:51
	v_fma_f64 v[170:171], v[168:169], v[62:63], v[170:171]
	v_fma_f64 v[62:63], v[166:167], v[62:63], -v[64:65]
	s_waitcnt lgkmcnt(0)
	v_mul_f64 v[64:65], v[174:175], v[170:171]
	v_fma_f64 v[64:65], v[172:173], v[62:63], -v[64:65]
	v_mul_f64 v[172:173], v[172:173], v[170:171]
	v_add_f64 v[58:59], v[58:59], -v[64:65]
	v_fma_f64 v[172:173], v[174:175], v[62:63], v[172:173]
	v_add_f64 v[60:61], v[60:61], -v[172:173]
	ds_read2_b64 v[172:175], v254 offset0:52 offset1:53
	s_waitcnt lgkmcnt(0)
	v_mul_f64 v[64:65], v[174:175], v[170:171]
	v_fma_f64 v[64:65], v[172:173], v[62:63], -v[64:65]
	v_mul_f64 v[172:173], v[172:173], v[170:171]
	v_add_f64 v[54:55], v[54:55], -v[64:65]
	v_fma_f64 v[172:173], v[174:175], v[62:63], v[172:173]
	v_add_f64 v[56:57], v[56:57], -v[172:173]
	ds_read2_b64 v[172:175], v254 offset0:54 offset1:55
	;; [unrolled: 8-line block ×14, first 2 shown]
	s_waitcnt lgkmcnt(0)
	v_mul_f64 v[64:65], v[174:175], v[170:171]
	v_fma_f64 v[64:65], v[172:173], v[62:63], -v[64:65]
	v_mul_f64 v[172:173], v[172:173], v[170:171]
	v_add_f64 v[2:3], v[2:3], -v[64:65]
	v_fma_f64 v[172:173], v[174:175], v[62:63], v[172:173]
	v_mov_b32_e32 v64, v170
	v_mov_b32_e32 v65, v171
	v_add_f64 v[4:5], v[4:5], -v[172:173]
.LBB79_226:
	s_or_b32 exec_lo, exec_lo, s1
	s_mov_b32 s2, exec_lo
	s_waitcnt lgkmcnt(0)
	s_barrier
	buffer_gl0_inv
	v_cmpx_eq_u32_e32 25, v0
	s_cbranch_execz .LBB79_233
; %bb.227:
	ds_write2_b64 v1, v[58:59], v[60:61] offset1:1
	ds_write2_b64 v254, v[54:55], v[56:57] offset0:52 offset1:53
	ds_write2_b64 v254, v[50:51], v[52:53] offset0:54 offset1:55
	ds_write2_b64 v254, v[46:47], v[48:49] offset0:56 offset1:57
	ds_write2_b64 v254, v[42:43], v[44:45] offset0:58 offset1:59
	ds_write2_b64 v254, v[38:39], v[40:41] offset0:60 offset1:61
	ds_write2_b64 v254, v[34:35], v[36:37] offset0:62 offset1:63
	ds_write2_b64 v254, v[30:31], v[32:33] offset0:64 offset1:65
	ds_write2_b64 v254, v[26:27], v[28:29] offset0:66 offset1:67
	ds_write2_b64 v254, v[22:23], v[24:25] offset0:68 offset1:69
	ds_write2_b64 v254, v[18:19], v[20:21] offset0:70 offset1:71
	ds_write2_b64 v254, v[14:15], v[16:17] offset0:72 offset1:73
	ds_write2_b64 v254, v[10:11], v[12:13] offset0:74 offset1:75
	ds_write2_b64 v254, v[6:7], v[8:9] offset0:76 offset1:77
	ds_write2_b64 v254, v[2:3], v[4:5] offset0:78 offset1:79
	ds_read2_b64 v[170:173], v1 offset1:1
	s_waitcnt lgkmcnt(0)
	v_cmp_neq_f64_e32 vcc_lo, 0, v[170:171]
	v_cmp_neq_f64_e64 s1, 0, v[172:173]
	s_or_b32 s1, vcc_lo, s1
	s_and_b32 exec_lo, exec_lo, s1
	s_cbranch_execz .LBB79_233
; %bb.228:
	v_cmp_ngt_f64_e64 s1, |v[170:171]|, |v[172:173]|
                                        ; implicit-def: $vgpr174_vgpr175
	s_and_saveexec_b32 s3, s1
	s_xor_b32 s1, exec_lo, s3
                                        ; implicit-def: $vgpr176_vgpr177
	s_cbranch_execz .LBB79_230
; %bb.229:
	v_div_scale_f64 v[174:175], null, v[172:173], v[172:173], v[170:171]
	v_div_scale_f64 v[180:181], vcc_lo, v[170:171], v[172:173], v[170:171]
	v_rcp_f64_e32 v[176:177], v[174:175]
	v_fma_f64 v[178:179], -v[174:175], v[176:177], 1.0
	v_fma_f64 v[176:177], v[176:177], v[178:179], v[176:177]
	v_fma_f64 v[178:179], -v[174:175], v[176:177], 1.0
	v_fma_f64 v[176:177], v[176:177], v[178:179], v[176:177]
	v_mul_f64 v[178:179], v[180:181], v[176:177]
	v_fma_f64 v[174:175], -v[174:175], v[178:179], v[180:181]
	v_div_fmas_f64 v[174:175], v[174:175], v[176:177], v[178:179]
	v_div_fixup_f64 v[174:175], v[174:175], v[172:173], v[170:171]
	v_fma_f64 v[170:171], v[170:171], v[174:175], v[172:173]
	v_div_scale_f64 v[172:173], null, v[170:171], v[170:171], 1.0
	v_rcp_f64_e32 v[176:177], v[172:173]
	v_fma_f64 v[178:179], -v[172:173], v[176:177], 1.0
	v_fma_f64 v[176:177], v[176:177], v[178:179], v[176:177]
	v_fma_f64 v[178:179], -v[172:173], v[176:177], 1.0
	v_fma_f64 v[176:177], v[176:177], v[178:179], v[176:177]
	v_div_scale_f64 v[178:179], vcc_lo, 1.0, v[170:171], 1.0
	v_mul_f64 v[180:181], v[178:179], v[176:177]
	v_fma_f64 v[172:173], -v[172:173], v[180:181], v[178:179]
	v_div_fmas_f64 v[172:173], v[172:173], v[176:177], v[180:181]
	v_div_fixup_f64 v[176:177], v[172:173], v[170:171], 1.0
                                        ; implicit-def: $vgpr170_vgpr171
	v_mul_f64 v[174:175], v[174:175], v[176:177]
	v_xor_b32_e32 v177, 0x80000000, v177
.LBB79_230:
	s_andn2_saveexec_b32 s1, s1
	s_cbranch_execz .LBB79_232
; %bb.231:
	v_div_scale_f64 v[174:175], null, v[170:171], v[170:171], v[172:173]
	v_div_scale_f64 v[180:181], vcc_lo, v[172:173], v[170:171], v[172:173]
	v_rcp_f64_e32 v[176:177], v[174:175]
	v_fma_f64 v[178:179], -v[174:175], v[176:177], 1.0
	v_fma_f64 v[176:177], v[176:177], v[178:179], v[176:177]
	v_fma_f64 v[178:179], -v[174:175], v[176:177], 1.0
	v_fma_f64 v[176:177], v[176:177], v[178:179], v[176:177]
	v_mul_f64 v[178:179], v[180:181], v[176:177]
	v_fma_f64 v[174:175], -v[174:175], v[178:179], v[180:181]
	v_div_fmas_f64 v[174:175], v[174:175], v[176:177], v[178:179]
	v_div_fixup_f64 v[176:177], v[174:175], v[170:171], v[172:173]
	v_fma_f64 v[170:171], v[172:173], v[176:177], v[170:171]
	v_div_scale_f64 v[172:173], null, v[170:171], v[170:171], 1.0
	v_rcp_f64_e32 v[174:175], v[172:173]
	v_fma_f64 v[178:179], -v[172:173], v[174:175], 1.0
	v_fma_f64 v[174:175], v[174:175], v[178:179], v[174:175]
	v_fma_f64 v[178:179], -v[172:173], v[174:175], 1.0
	v_fma_f64 v[174:175], v[174:175], v[178:179], v[174:175]
	v_div_scale_f64 v[178:179], vcc_lo, 1.0, v[170:171], 1.0
	v_mul_f64 v[180:181], v[178:179], v[174:175]
	v_fma_f64 v[172:173], -v[172:173], v[180:181], v[178:179]
	v_div_fmas_f64 v[172:173], v[172:173], v[174:175], v[180:181]
	v_div_fixup_f64 v[174:175], v[172:173], v[170:171], 1.0
	v_mul_f64 v[176:177], v[176:177], -v[174:175]
.LBB79_232:
	s_or_b32 exec_lo, exec_lo, s1
	ds_write2_b64 v1, v[174:175], v[176:177] offset1:1
.LBB79_233:
	s_or_b32 exec_lo, exec_lo, s2
	s_waitcnt lgkmcnt(0)
	s_barrier
	buffer_gl0_inv
	ds_read2_b64 v[170:173], v1 offset1:1
	s_mov_b32 s1, exec_lo
	v_cmpx_lt_u32_e32 25, v0
	s_cbranch_execz .LBB79_235
; %bb.234:
	s_waitcnt lgkmcnt(0)
	v_mul_f64 v[174:175], v[170:171], v[60:61]
	v_mul_f64 v[60:61], v[172:173], v[60:61]
	ds_read2_b64 v[176:179], v254 offset0:52 offset1:53
	v_fma_f64 v[174:175], v[172:173], v[58:59], v[174:175]
	v_fma_f64 v[58:59], v[170:171], v[58:59], -v[60:61]
	s_waitcnt lgkmcnt(0)
	v_mul_f64 v[60:61], v[178:179], v[174:175]
	v_fma_f64 v[60:61], v[176:177], v[58:59], -v[60:61]
	v_mul_f64 v[176:177], v[176:177], v[174:175]
	v_add_f64 v[54:55], v[54:55], -v[60:61]
	v_fma_f64 v[176:177], v[178:179], v[58:59], v[176:177]
	v_add_f64 v[56:57], v[56:57], -v[176:177]
	ds_read2_b64 v[176:179], v254 offset0:54 offset1:55
	s_waitcnt lgkmcnt(0)
	v_mul_f64 v[60:61], v[178:179], v[174:175]
	v_fma_f64 v[60:61], v[176:177], v[58:59], -v[60:61]
	v_mul_f64 v[176:177], v[176:177], v[174:175]
	v_add_f64 v[50:51], v[50:51], -v[60:61]
	v_fma_f64 v[176:177], v[178:179], v[58:59], v[176:177]
	v_add_f64 v[52:53], v[52:53], -v[176:177]
	ds_read2_b64 v[176:179], v254 offset0:56 offset1:57
	;; [unrolled: 8-line block ×13, first 2 shown]
	s_waitcnt lgkmcnt(0)
	v_mul_f64 v[60:61], v[178:179], v[174:175]
	v_fma_f64 v[60:61], v[176:177], v[58:59], -v[60:61]
	v_mul_f64 v[176:177], v[176:177], v[174:175]
	v_add_f64 v[2:3], v[2:3], -v[60:61]
	v_fma_f64 v[176:177], v[178:179], v[58:59], v[176:177]
	v_mov_b32_e32 v60, v174
	v_mov_b32_e32 v61, v175
	v_add_f64 v[4:5], v[4:5], -v[176:177]
.LBB79_235:
	s_or_b32 exec_lo, exec_lo, s1
	s_mov_b32 s2, exec_lo
	s_waitcnt lgkmcnt(0)
	s_barrier
	buffer_gl0_inv
	v_cmpx_eq_u32_e32 26, v0
	s_cbranch_execz .LBB79_242
; %bb.236:
	ds_write2_b64 v1, v[54:55], v[56:57] offset1:1
	ds_write2_b64 v254, v[50:51], v[52:53] offset0:54 offset1:55
	ds_write2_b64 v254, v[46:47], v[48:49] offset0:56 offset1:57
	;; [unrolled: 1-line block ×13, first 2 shown]
	ds_read2_b64 v[174:177], v1 offset1:1
	s_waitcnt lgkmcnt(0)
	v_cmp_neq_f64_e32 vcc_lo, 0, v[174:175]
	v_cmp_neq_f64_e64 s1, 0, v[176:177]
	s_or_b32 s1, vcc_lo, s1
	s_and_b32 exec_lo, exec_lo, s1
	s_cbranch_execz .LBB79_242
; %bb.237:
	v_cmp_ngt_f64_e64 s1, |v[174:175]|, |v[176:177]|
                                        ; implicit-def: $vgpr178_vgpr179
	s_and_saveexec_b32 s3, s1
	s_xor_b32 s1, exec_lo, s3
                                        ; implicit-def: $vgpr180_vgpr181
	s_cbranch_execz .LBB79_239
; %bb.238:
	v_div_scale_f64 v[178:179], null, v[176:177], v[176:177], v[174:175]
	v_div_scale_f64 v[184:185], vcc_lo, v[174:175], v[176:177], v[174:175]
	v_rcp_f64_e32 v[180:181], v[178:179]
	v_fma_f64 v[182:183], -v[178:179], v[180:181], 1.0
	v_fma_f64 v[180:181], v[180:181], v[182:183], v[180:181]
	v_fma_f64 v[182:183], -v[178:179], v[180:181], 1.0
	v_fma_f64 v[180:181], v[180:181], v[182:183], v[180:181]
	v_mul_f64 v[182:183], v[184:185], v[180:181]
	v_fma_f64 v[178:179], -v[178:179], v[182:183], v[184:185]
	v_div_fmas_f64 v[178:179], v[178:179], v[180:181], v[182:183]
	v_div_fixup_f64 v[178:179], v[178:179], v[176:177], v[174:175]
	v_fma_f64 v[174:175], v[174:175], v[178:179], v[176:177]
	v_div_scale_f64 v[176:177], null, v[174:175], v[174:175], 1.0
	v_rcp_f64_e32 v[180:181], v[176:177]
	v_fma_f64 v[182:183], -v[176:177], v[180:181], 1.0
	v_fma_f64 v[180:181], v[180:181], v[182:183], v[180:181]
	v_fma_f64 v[182:183], -v[176:177], v[180:181], 1.0
	v_fma_f64 v[180:181], v[180:181], v[182:183], v[180:181]
	v_div_scale_f64 v[182:183], vcc_lo, 1.0, v[174:175], 1.0
	v_mul_f64 v[184:185], v[182:183], v[180:181]
	v_fma_f64 v[176:177], -v[176:177], v[184:185], v[182:183]
	v_div_fmas_f64 v[176:177], v[176:177], v[180:181], v[184:185]
	v_div_fixup_f64 v[180:181], v[176:177], v[174:175], 1.0
                                        ; implicit-def: $vgpr174_vgpr175
	v_mul_f64 v[178:179], v[178:179], v[180:181]
	v_xor_b32_e32 v181, 0x80000000, v181
.LBB79_239:
	s_andn2_saveexec_b32 s1, s1
	s_cbranch_execz .LBB79_241
; %bb.240:
	v_div_scale_f64 v[178:179], null, v[174:175], v[174:175], v[176:177]
	v_div_scale_f64 v[184:185], vcc_lo, v[176:177], v[174:175], v[176:177]
	v_rcp_f64_e32 v[180:181], v[178:179]
	v_fma_f64 v[182:183], -v[178:179], v[180:181], 1.0
	v_fma_f64 v[180:181], v[180:181], v[182:183], v[180:181]
	v_fma_f64 v[182:183], -v[178:179], v[180:181], 1.0
	v_fma_f64 v[180:181], v[180:181], v[182:183], v[180:181]
	v_mul_f64 v[182:183], v[184:185], v[180:181]
	v_fma_f64 v[178:179], -v[178:179], v[182:183], v[184:185]
	v_div_fmas_f64 v[178:179], v[178:179], v[180:181], v[182:183]
	v_div_fixup_f64 v[180:181], v[178:179], v[174:175], v[176:177]
	v_fma_f64 v[174:175], v[176:177], v[180:181], v[174:175]
	v_div_scale_f64 v[176:177], null, v[174:175], v[174:175], 1.0
	v_rcp_f64_e32 v[178:179], v[176:177]
	v_fma_f64 v[182:183], -v[176:177], v[178:179], 1.0
	v_fma_f64 v[178:179], v[178:179], v[182:183], v[178:179]
	v_fma_f64 v[182:183], -v[176:177], v[178:179], 1.0
	v_fma_f64 v[178:179], v[178:179], v[182:183], v[178:179]
	v_div_scale_f64 v[182:183], vcc_lo, 1.0, v[174:175], 1.0
	v_mul_f64 v[184:185], v[182:183], v[178:179]
	v_fma_f64 v[176:177], -v[176:177], v[184:185], v[182:183]
	v_div_fmas_f64 v[176:177], v[176:177], v[178:179], v[184:185]
	v_div_fixup_f64 v[178:179], v[176:177], v[174:175], 1.0
	v_mul_f64 v[180:181], v[180:181], -v[178:179]
.LBB79_241:
	s_or_b32 exec_lo, exec_lo, s1
	ds_write2_b64 v1, v[178:179], v[180:181] offset1:1
.LBB79_242:
	s_or_b32 exec_lo, exec_lo, s2
	s_waitcnt lgkmcnt(0)
	s_barrier
	buffer_gl0_inv
	ds_read2_b64 v[174:177], v1 offset1:1
	s_mov_b32 s1, exec_lo
	v_cmpx_lt_u32_e32 26, v0
	s_cbranch_execz .LBB79_244
; %bb.243:
	s_waitcnt lgkmcnt(0)
	v_mul_f64 v[178:179], v[174:175], v[56:57]
	v_mul_f64 v[56:57], v[176:177], v[56:57]
	ds_read2_b64 v[180:183], v254 offset0:54 offset1:55
	v_fma_f64 v[178:179], v[176:177], v[54:55], v[178:179]
	v_fma_f64 v[54:55], v[174:175], v[54:55], -v[56:57]
	s_waitcnt lgkmcnt(0)
	v_mul_f64 v[56:57], v[182:183], v[178:179]
	v_fma_f64 v[56:57], v[180:181], v[54:55], -v[56:57]
	v_mul_f64 v[180:181], v[180:181], v[178:179]
	v_add_f64 v[50:51], v[50:51], -v[56:57]
	v_fma_f64 v[180:181], v[182:183], v[54:55], v[180:181]
	v_add_f64 v[52:53], v[52:53], -v[180:181]
	ds_read2_b64 v[180:183], v254 offset0:56 offset1:57
	s_waitcnt lgkmcnt(0)
	v_mul_f64 v[56:57], v[182:183], v[178:179]
	v_fma_f64 v[56:57], v[180:181], v[54:55], -v[56:57]
	v_mul_f64 v[180:181], v[180:181], v[178:179]
	v_add_f64 v[46:47], v[46:47], -v[56:57]
	v_fma_f64 v[180:181], v[182:183], v[54:55], v[180:181]
	v_add_f64 v[48:49], v[48:49], -v[180:181]
	ds_read2_b64 v[180:183], v254 offset0:58 offset1:59
	;; [unrolled: 8-line block ×12, first 2 shown]
	s_waitcnt lgkmcnt(0)
	v_mul_f64 v[56:57], v[182:183], v[178:179]
	v_fma_f64 v[56:57], v[180:181], v[54:55], -v[56:57]
	v_mul_f64 v[180:181], v[180:181], v[178:179]
	v_add_f64 v[2:3], v[2:3], -v[56:57]
	v_fma_f64 v[180:181], v[182:183], v[54:55], v[180:181]
	v_mov_b32_e32 v56, v178
	v_mov_b32_e32 v57, v179
	v_add_f64 v[4:5], v[4:5], -v[180:181]
.LBB79_244:
	s_or_b32 exec_lo, exec_lo, s1
	s_mov_b32 s2, exec_lo
	s_waitcnt lgkmcnt(0)
	s_barrier
	buffer_gl0_inv
	v_cmpx_eq_u32_e32 27, v0
	s_cbranch_execz .LBB79_251
; %bb.245:
	ds_write2_b64 v1, v[50:51], v[52:53] offset1:1
	ds_write2_b64 v254, v[46:47], v[48:49] offset0:56 offset1:57
	ds_write2_b64 v254, v[42:43], v[44:45] offset0:58 offset1:59
	;; [unrolled: 1-line block ×12, first 2 shown]
	ds_read2_b64 v[178:181], v1 offset1:1
	s_waitcnt lgkmcnt(0)
	v_cmp_neq_f64_e32 vcc_lo, 0, v[178:179]
	v_cmp_neq_f64_e64 s1, 0, v[180:181]
	s_or_b32 s1, vcc_lo, s1
	s_and_b32 exec_lo, exec_lo, s1
	s_cbranch_execz .LBB79_251
; %bb.246:
	v_cmp_ngt_f64_e64 s1, |v[178:179]|, |v[180:181]|
                                        ; implicit-def: $vgpr182_vgpr183
	s_and_saveexec_b32 s3, s1
	s_xor_b32 s1, exec_lo, s3
                                        ; implicit-def: $vgpr184_vgpr185
	s_cbranch_execz .LBB79_248
; %bb.247:
	v_div_scale_f64 v[182:183], null, v[180:181], v[180:181], v[178:179]
	v_div_scale_f64 v[188:189], vcc_lo, v[178:179], v[180:181], v[178:179]
	v_rcp_f64_e32 v[184:185], v[182:183]
	v_fma_f64 v[186:187], -v[182:183], v[184:185], 1.0
	v_fma_f64 v[184:185], v[184:185], v[186:187], v[184:185]
	v_fma_f64 v[186:187], -v[182:183], v[184:185], 1.0
	v_fma_f64 v[184:185], v[184:185], v[186:187], v[184:185]
	v_mul_f64 v[186:187], v[188:189], v[184:185]
	v_fma_f64 v[182:183], -v[182:183], v[186:187], v[188:189]
	v_div_fmas_f64 v[182:183], v[182:183], v[184:185], v[186:187]
	v_div_fixup_f64 v[182:183], v[182:183], v[180:181], v[178:179]
	v_fma_f64 v[178:179], v[178:179], v[182:183], v[180:181]
	v_div_scale_f64 v[180:181], null, v[178:179], v[178:179], 1.0
	v_rcp_f64_e32 v[184:185], v[180:181]
	v_fma_f64 v[186:187], -v[180:181], v[184:185], 1.0
	v_fma_f64 v[184:185], v[184:185], v[186:187], v[184:185]
	v_fma_f64 v[186:187], -v[180:181], v[184:185], 1.0
	v_fma_f64 v[184:185], v[184:185], v[186:187], v[184:185]
	v_div_scale_f64 v[186:187], vcc_lo, 1.0, v[178:179], 1.0
	v_mul_f64 v[188:189], v[186:187], v[184:185]
	v_fma_f64 v[180:181], -v[180:181], v[188:189], v[186:187]
	v_div_fmas_f64 v[180:181], v[180:181], v[184:185], v[188:189]
	v_div_fixup_f64 v[184:185], v[180:181], v[178:179], 1.0
                                        ; implicit-def: $vgpr178_vgpr179
	v_mul_f64 v[182:183], v[182:183], v[184:185]
	v_xor_b32_e32 v185, 0x80000000, v185
.LBB79_248:
	s_andn2_saveexec_b32 s1, s1
	s_cbranch_execz .LBB79_250
; %bb.249:
	v_div_scale_f64 v[182:183], null, v[178:179], v[178:179], v[180:181]
	v_div_scale_f64 v[188:189], vcc_lo, v[180:181], v[178:179], v[180:181]
	v_rcp_f64_e32 v[184:185], v[182:183]
	v_fma_f64 v[186:187], -v[182:183], v[184:185], 1.0
	v_fma_f64 v[184:185], v[184:185], v[186:187], v[184:185]
	v_fma_f64 v[186:187], -v[182:183], v[184:185], 1.0
	v_fma_f64 v[184:185], v[184:185], v[186:187], v[184:185]
	v_mul_f64 v[186:187], v[188:189], v[184:185]
	v_fma_f64 v[182:183], -v[182:183], v[186:187], v[188:189]
	v_div_fmas_f64 v[182:183], v[182:183], v[184:185], v[186:187]
	v_div_fixup_f64 v[184:185], v[182:183], v[178:179], v[180:181]
	v_fma_f64 v[178:179], v[180:181], v[184:185], v[178:179]
	v_div_scale_f64 v[180:181], null, v[178:179], v[178:179], 1.0
	v_rcp_f64_e32 v[182:183], v[180:181]
	v_fma_f64 v[186:187], -v[180:181], v[182:183], 1.0
	v_fma_f64 v[182:183], v[182:183], v[186:187], v[182:183]
	v_fma_f64 v[186:187], -v[180:181], v[182:183], 1.0
	v_fma_f64 v[182:183], v[182:183], v[186:187], v[182:183]
	v_div_scale_f64 v[186:187], vcc_lo, 1.0, v[178:179], 1.0
	v_mul_f64 v[188:189], v[186:187], v[182:183]
	v_fma_f64 v[180:181], -v[180:181], v[188:189], v[186:187]
	v_div_fmas_f64 v[180:181], v[180:181], v[182:183], v[188:189]
	v_div_fixup_f64 v[182:183], v[180:181], v[178:179], 1.0
	v_mul_f64 v[184:185], v[184:185], -v[182:183]
.LBB79_250:
	s_or_b32 exec_lo, exec_lo, s1
	ds_write2_b64 v1, v[182:183], v[184:185] offset1:1
.LBB79_251:
	s_or_b32 exec_lo, exec_lo, s2
	s_waitcnt lgkmcnt(0)
	s_barrier
	buffer_gl0_inv
	ds_read2_b64 v[178:181], v1 offset1:1
	s_mov_b32 s1, exec_lo
	v_cmpx_lt_u32_e32 27, v0
	s_cbranch_execz .LBB79_253
; %bb.252:
	s_waitcnt lgkmcnt(0)
	v_mul_f64 v[182:183], v[178:179], v[52:53]
	v_mul_f64 v[52:53], v[180:181], v[52:53]
	ds_read2_b64 v[184:187], v254 offset0:56 offset1:57
	v_fma_f64 v[182:183], v[180:181], v[50:51], v[182:183]
	v_fma_f64 v[50:51], v[178:179], v[50:51], -v[52:53]
	s_waitcnt lgkmcnt(0)
	v_mul_f64 v[52:53], v[186:187], v[182:183]
	v_fma_f64 v[52:53], v[184:185], v[50:51], -v[52:53]
	v_mul_f64 v[184:185], v[184:185], v[182:183]
	v_add_f64 v[46:47], v[46:47], -v[52:53]
	v_fma_f64 v[184:185], v[186:187], v[50:51], v[184:185]
	v_add_f64 v[48:49], v[48:49], -v[184:185]
	ds_read2_b64 v[184:187], v254 offset0:58 offset1:59
	s_waitcnt lgkmcnt(0)
	v_mul_f64 v[52:53], v[186:187], v[182:183]
	v_fma_f64 v[52:53], v[184:185], v[50:51], -v[52:53]
	v_mul_f64 v[184:185], v[184:185], v[182:183]
	v_add_f64 v[42:43], v[42:43], -v[52:53]
	v_fma_f64 v[184:185], v[186:187], v[50:51], v[184:185]
	v_add_f64 v[44:45], v[44:45], -v[184:185]
	ds_read2_b64 v[184:187], v254 offset0:60 offset1:61
	;; [unrolled: 8-line block ×11, first 2 shown]
	s_waitcnt lgkmcnt(0)
	v_mul_f64 v[52:53], v[186:187], v[182:183]
	v_fma_f64 v[52:53], v[184:185], v[50:51], -v[52:53]
	v_mul_f64 v[184:185], v[184:185], v[182:183]
	v_add_f64 v[2:3], v[2:3], -v[52:53]
	v_fma_f64 v[184:185], v[186:187], v[50:51], v[184:185]
	v_mov_b32_e32 v52, v182
	v_mov_b32_e32 v53, v183
	v_add_f64 v[4:5], v[4:5], -v[184:185]
.LBB79_253:
	s_or_b32 exec_lo, exec_lo, s1
	s_mov_b32 s2, exec_lo
	s_waitcnt lgkmcnt(0)
	s_barrier
	buffer_gl0_inv
	v_cmpx_eq_u32_e32 28, v0
	s_cbranch_execz .LBB79_260
; %bb.254:
	ds_write2_b64 v1, v[46:47], v[48:49] offset1:1
	ds_write2_b64 v254, v[42:43], v[44:45] offset0:58 offset1:59
	ds_write2_b64 v254, v[38:39], v[40:41] offset0:60 offset1:61
	;; [unrolled: 1-line block ×11, first 2 shown]
	ds_read2_b64 v[182:185], v1 offset1:1
	s_waitcnt lgkmcnt(0)
	v_cmp_neq_f64_e32 vcc_lo, 0, v[182:183]
	v_cmp_neq_f64_e64 s1, 0, v[184:185]
	s_or_b32 s1, vcc_lo, s1
	s_and_b32 exec_lo, exec_lo, s1
	s_cbranch_execz .LBB79_260
; %bb.255:
	v_cmp_ngt_f64_e64 s1, |v[182:183]|, |v[184:185]|
                                        ; implicit-def: $vgpr186_vgpr187
	s_and_saveexec_b32 s3, s1
	s_xor_b32 s1, exec_lo, s3
                                        ; implicit-def: $vgpr188_vgpr189
	s_cbranch_execz .LBB79_257
; %bb.256:
	v_div_scale_f64 v[186:187], null, v[184:185], v[184:185], v[182:183]
	v_div_scale_f64 v[192:193], vcc_lo, v[182:183], v[184:185], v[182:183]
	v_rcp_f64_e32 v[188:189], v[186:187]
	v_fma_f64 v[190:191], -v[186:187], v[188:189], 1.0
	v_fma_f64 v[188:189], v[188:189], v[190:191], v[188:189]
	v_fma_f64 v[190:191], -v[186:187], v[188:189], 1.0
	v_fma_f64 v[188:189], v[188:189], v[190:191], v[188:189]
	v_mul_f64 v[190:191], v[192:193], v[188:189]
	v_fma_f64 v[186:187], -v[186:187], v[190:191], v[192:193]
	v_div_fmas_f64 v[186:187], v[186:187], v[188:189], v[190:191]
	v_div_fixup_f64 v[186:187], v[186:187], v[184:185], v[182:183]
	v_fma_f64 v[182:183], v[182:183], v[186:187], v[184:185]
	v_div_scale_f64 v[184:185], null, v[182:183], v[182:183], 1.0
	v_rcp_f64_e32 v[188:189], v[184:185]
	v_fma_f64 v[190:191], -v[184:185], v[188:189], 1.0
	v_fma_f64 v[188:189], v[188:189], v[190:191], v[188:189]
	v_fma_f64 v[190:191], -v[184:185], v[188:189], 1.0
	v_fma_f64 v[188:189], v[188:189], v[190:191], v[188:189]
	v_div_scale_f64 v[190:191], vcc_lo, 1.0, v[182:183], 1.0
	v_mul_f64 v[192:193], v[190:191], v[188:189]
	v_fma_f64 v[184:185], -v[184:185], v[192:193], v[190:191]
	v_div_fmas_f64 v[184:185], v[184:185], v[188:189], v[192:193]
	v_div_fixup_f64 v[188:189], v[184:185], v[182:183], 1.0
                                        ; implicit-def: $vgpr182_vgpr183
	v_mul_f64 v[186:187], v[186:187], v[188:189]
	v_xor_b32_e32 v189, 0x80000000, v189
.LBB79_257:
	s_andn2_saveexec_b32 s1, s1
	s_cbranch_execz .LBB79_259
; %bb.258:
	v_div_scale_f64 v[186:187], null, v[182:183], v[182:183], v[184:185]
	v_div_scale_f64 v[192:193], vcc_lo, v[184:185], v[182:183], v[184:185]
	v_rcp_f64_e32 v[188:189], v[186:187]
	v_fma_f64 v[190:191], -v[186:187], v[188:189], 1.0
	v_fma_f64 v[188:189], v[188:189], v[190:191], v[188:189]
	v_fma_f64 v[190:191], -v[186:187], v[188:189], 1.0
	v_fma_f64 v[188:189], v[188:189], v[190:191], v[188:189]
	v_mul_f64 v[190:191], v[192:193], v[188:189]
	v_fma_f64 v[186:187], -v[186:187], v[190:191], v[192:193]
	v_div_fmas_f64 v[186:187], v[186:187], v[188:189], v[190:191]
	v_div_fixup_f64 v[188:189], v[186:187], v[182:183], v[184:185]
	v_fma_f64 v[182:183], v[184:185], v[188:189], v[182:183]
	v_div_scale_f64 v[184:185], null, v[182:183], v[182:183], 1.0
	v_rcp_f64_e32 v[186:187], v[184:185]
	v_fma_f64 v[190:191], -v[184:185], v[186:187], 1.0
	v_fma_f64 v[186:187], v[186:187], v[190:191], v[186:187]
	v_fma_f64 v[190:191], -v[184:185], v[186:187], 1.0
	v_fma_f64 v[186:187], v[186:187], v[190:191], v[186:187]
	v_div_scale_f64 v[190:191], vcc_lo, 1.0, v[182:183], 1.0
	v_mul_f64 v[192:193], v[190:191], v[186:187]
	v_fma_f64 v[184:185], -v[184:185], v[192:193], v[190:191]
	v_div_fmas_f64 v[184:185], v[184:185], v[186:187], v[192:193]
	v_div_fixup_f64 v[186:187], v[184:185], v[182:183], 1.0
	v_mul_f64 v[188:189], v[188:189], -v[186:187]
.LBB79_259:
	s_or_b32 exec_lo, exec_lo, s1
	ds_write2_b64 v1, v[186:187], v[188:189] offset1:1
.LBB79_260:
	s_or_b32 exec_lo, exec_lo, s2
	s_waitcnt lgkmcnt(0)
	s_barrier
	buffer_gl0_inv
	ds_read2_b64 v[182:185], v1 offset1:1
	s_mov_b32 s1, exec_lo
	v_cmpx_lt_u32_e32 28, v0
	s_cbranch_execz .LBB79_262
; %bb.261:
	s_waitcnt lgkmcnt(0)
	v_mul_f64 v[186:187], v[182:183], v[48:49]
	v_mul_f64 v[48:49], v[184:185], v[48:49]
	ds_read2_b64 v[188:191], v254 offset0:58 offset1:59
	v_fma_f64 v[186:187], v[184:185], v[46:47], v[186:187]
	v_fma_f64 v[46:47], v[182:183], v[46:47], -v[48:49]
	s_waitcnt lgkmcnt(0)
	v_mul_f64 v[48:49], v[190:191], v[186:187]
	v_fma_f64 v[48:49], v[188:189], v[46:47], -v[48:49]
	v_mul_f64 v[188:189], v[188:189], v[186:187]
	v_add_f64 v[42:43], v[42:43], -v[48:49]
	v_fma_f64 v[188:189], v[190:191], v[46:47], v[188:189]
	v_add_f64 v[44:45], v[44:45], -v[188:189]
	ds_read2_b64 v[188:191], v254 offset0:60 offset1:61
	s_waitcnt lgkmcnt(0)
	v_mul_f64 v[48:49], v[190:191], v[186:187]
	v_fma_f64 v[48:49], v[188:189], v[46:47], -v[48:49]
	v_mul_f64 v[188:189], v[188:189], v[186:187]
	v_add_f64 v[38:39], v[38:39], -v[48:49]
	v_fma_f64 v[188:189], v[190:191], v[46:47], v[188:189]
	v_add_f64 v[40:41], v[40:41], -v[188:189]
	ds_read2_b64 v[188:191], v254 offset0:62 offset1:63
	;; [unrolled: 8-line block ×10, first 2 shown]
	s_waitcnt lgkmcnt(0)
	v_mul_f64 v[48:49], v[190:191], v[186:187]
	v_fma_f64 v[48:49], v[188:189], v[46:47], -v[48:49]
	v_mul_f64 v[188:189], v[188:189], v[186:187]
	v_add_f64 v[2:3], v[2:3], -v[48:49]
	v_fma_f64 v[188:189], v[190:191], v[46:47], v[188:189]
	v_mov_b32_e32 v48, v186
	v_mov_b32_e32 v49, v187
	v_add_f64 v[4:5], v[4:5], -v[188:189]
.LBB79_262:
	s_or_b32 exec_lo, exec_lo, s1
	s_mov_b32 s2, exec_lo
	s_waitcnt lgkmcnt(0)
	s_barrier
	buffer_gl0_inv
	v_cmpx_eq_u32_e32 29, v0
	s_cbranch_execz .LBB79_269
; %bb.263:
	ds_write2_b64 v1, v[42:43], v[44:45] offset1:1
	ds_write2_b64 v254, v[38:39], v[40:41] offset0:60 offset1:61
	ds_write2_b64 v254, v[34:35], v[36:37] offset0:62 offset1:63
	ds_write2_b64 v254, v[30:31], v[32:33] offset0:64 offset1:65
	ds_write2_b64 v254, v[26:27], v[28:29] offset0:66 offset1:67
	ds_write2_b64 v254, v[22:23], v[24:25] offset0:68 offset1:69
	ds_write2_b64 v254, v[18:19], v[20:21] offset0:70 offset1:71
	ds_write2_b64 v254, v[14:15], v[16:17] offset0:72 offset1:73
	ds_write2_b64 v254, v[10:11], v[12:13] offset0:74 offset1:75
	ds_write2_b64 v254, v[6:7], v[8:9] offset0:76 offset1:77
	ds_write2_b64 v254, v[2:3], v[4:5] offset0:78 offset1:79
	ds_read2_b64 v[186:189], v1 offset1:1
	s_waitcnt lgkmcnt(0)
	v_cmp_neq_f64_e32 vcc_lo, 0, v[186:187]
	v_cmp_neq_f64_e64 s1, 0, v[188:189]
	s_or_b32 s1, vcc_lo, s1
	s_and_b32 exec_lo, exec_lo, s1
	s_cbranch_execz .LBB79_269
; %bb.264:
	v_cmp_ngt_f64_e64 s1, |v[186:187]|, |v[188:189]|
                                        ; implicit-def: $vgpr190_vgpr191
	s_and_saveexec_b32 s3, s1
	s_xor_b32 s1, exec_lo, s3
                                        ; implicit-def: $vgpr192_vgpr193
	s_cbranch_execz .LBB79_266
; %bb.265:
	v_div_scale_f64 v[190:191], null, v[188:189], v[188:189], v[186:187]
	v_div_scale_f64 v[196:197], vcc_lo, v[186:187], v[188:189], v[186:187]
	v_rcp_f64_e32 v[192:193], v[190:191]
	v_fma_f64 v[194:195], -v[190:191], v[192:193], 1.0
	v_fma_f64 v[192:193], v[192:193], v[194:195], v[192:193]
	v_fma_f64 v[194:195], -v[190:191], v[192:193], 1.0
	v_fma_f64 v[192:193], v[192:193], v[194:195], v[192:193]
	v_mul_f64 v[194:195], v[196:197], v[192:193]
	v_fma_f64 v[190:191], -v[190:191], v[194:195], v[196:197]
	v_div_fmas_f64 v[190:191], v[190:191], v[192:193], v[194:195]
	v_div_fixup_f64 v[190:191], v[190:191], v[188:189], v[186:187]
	v_fma_f64 v[186:187], v[186:187], v[190:191], v[188:189]
	v_div_scale_f64 v[188:189], null, v[186:187], v[186:187], 1.0
	v_rcp_f64_e32 v[192:193], v[188:189]
	v_fma_f64 v[194:195], -v[188:189], v[192:193], 1.0
	v_fma_f64 v[192:193], v[192:193], v[194:195], v[192:193]
	v_fma_f64 v[194:195], -v[188:189], v[192:193], 1.0
	v_fma_f64 v[192:193], v[192:193], v[194:195], v[192:193]
	v_div_scale_f64 v[194:195], vcc_lo, 1.0, v[186:187], 1.0
	v_mul_f64 v[196:197], v[194:195], v[192:193]
	v_fma_f64 v[188:189], -v[188:189], v[196:197], v[194:195]
	v_div_fmas_f64 v[188:189], v[188:189], v[192:193], v[196:197]
	v_div_fixup_f64 v[192:193], v[188:189], v[186:187], 1.0
                                        ; implicit-def: $vgpr186_vgpr187
	v_mul_f64 v[190:191], v[190:191], v[192:193]
	v_xor_b32_e32 v193, 0x80000000, v193
.LBB79_266:
	s_andn2_saveexec_b32 s1, s1
	s_cbranch_execz .LBB79_268
; %bb.267:
	v_div_scale_f64 v[190:191], null, v[186:187], v[186:187], v[188:189]
	v_div_scale_f64 v[196:197], vcc_lo, v[188:189], v[186:187], v[188:189]
	v_rcp_f64_e32 v[192:193], v[190:191]
	v_fma_f64 v[194:195], -v[190:191], v[192:193], 1.0
	v_fma_f64 v[192:193], v[192:193], v[194:195], v[192:193]
	v_fma_f64 v[194:195], -v[190:191], v[192:193], 1.0
	v_fma_f64 v[192:193], v[192:193], v[194:195], v[192:193]
	v_mul_f64 v[194:195], v[196:197], v[192:193]
	v_fma_f64 v[190:191], -v[190:191], v[194:195], v[196:197]
	v_div_fmas_f64 v[190:191], v[190:191], v[192:193], v[194:195]
	v_div_fixup_f64 v[192:193], v[190:191], v[186:187], v[188:189]
	v_fma_f64 v[186:187], v[188:189], v[192:193], v[186:187]
	v_div_scale_f64 v[188:189], null, v[186:187], v[186:187], 1.0
	v_rcp_f64_e32 v[190:191], v[188:189]
	v_fma_f64 v[194:195], -v[188:189], v[190:191], 1.0
	v_fma_f64 v[190:191], v[190:191], v[194:195], v[190:191]
	v_fma_f64 v[194:195], -v[188:189], v[190:191], 1.0
	v_fma_f64 v[190:191], v[190:191], v[194:195], v[190:191]
	v_div_scale_f64 v[194:195], vcc_lo, 1.0, v[186:187], 1.0
	v_mul_f64 v[196:197], v[194:195], v[190:191]
	v_fma_f64 v[188:189], -v[188:189], v[196:197], v[194:195]
	v_div_fmas_f64 v[188:189], v[188:189], v[190:191], v[196:197]
	v_div_fixup_f64 v[190:191], v[188:189], v[186:187], 1.0
	v_mul_f64 v[192:193], v[192:193], -v[190:191]
.LBB79_268:
	s_or_b32 exec_lo, exec_lo, s1
	ds_write2_b64 v1, v[190:191], v[192:193] offset1:1
.LBB79_269:
	s_or_b32 exec_lo, exec_lo, s2
	s_waitcnt lgkmcnt(0)
	s_barrier
	buffer_gl0_inv
	ds_read2_b64 v[186:189], v1 offset1:1
	s_mov_b32 s1, exec_lo
	v_cmpx_lt_u32_e32 29, v0
	s_cbranch_execz .LBB79_271
; %bb.270:
	s_waitcnt lgkmcnt(0)
	v_mul_f64 v[190:191], v[186:187], v[44:45]
	v_mul_f64 v[44:45], v[188:189], v[44:45]
	v_fma_f64 v[194:195], v[188:189], v[42:43], v[190:191]
	ds_read2_b64 v[190:193], v254 offset0:60 offset1:61
	v_fma_f64 v[42:43], v[186:187], v[42:43], -v[44:45]
	s_waitcnt lgkmcnt(0)
	v_mul_f64 v[44:45], v[192:193], v[194:195]
	v_fma_f64 v[44:45], v[190:191], v[42:43], -v[44:45]
	v_mul_f64 v[190:191], v[190:191], v[194:195]
	v_add_f64 v[38:39], v[38:39], -v[44:45]
	v_fma_f64 v[190:191], v[192:193], v[42:43], v[190:191]
	v_add_f64 v[40:41], v[40:41], -v[190:191]
	ds_read2_b64 v[190:193], v254 offset0:62 offset1:63
	s_waitcnt lgkmcnt(0)
	v_mul_f64 v[44:45], v[192:193], v[194:195]
	v_fma_f64 v[44:45], v[190:191], v[42:43], -v[44:45]
	v_mul_f64 v[190:191], v[190:191], v[194:195]
	v_add_f64 v[34:35], v[34:35], -v[44:45]
	v_fma_f64 v[190:191], v[192:193], v[42:43], v[190:191]
	v_add_f64 v[36:37], v[36:37], -v[190:191]
	ds_read2_b64 v[190:193], v254 offset0:64 offset1:65
	;; [unrolled: 8-line block ×9, first 2 shown]
	s_waitcnt lgkmcnt(0)
	v_mul_f64 v[44:45], v[192:193], v[194:195]
	v_fma_f64 v[44:45], v[190:191], v[42:43], -v[44:45]
	v_mul_f64 v[190:191], v[190:191], v[194:195]
	v_add_f64 v[2:3], v[2:3], -v[44:45]
	v_fma_f64 v[190:191], v[192:193], v[42:43], v[190:191]
	v_mov_b32_e32 v44, v194
	v_mov_b32_e32 v45, v195
	v_add_f64 v[4:5], v[4:5], -v[190:191]
.LBB79_271:
	s_or_b32 exec_lo, exec_lo, s1
	s_mov_b32 s2, exec_lo
	s_waitcnt lgkmcnt(0)
	s_barrier
	buffer_gl0_inv
	v_cmpx_eq_u32_e32 30, v0
	s_cbranch_execz .LBB79_278
; %bb.272:
	ds_write2_b64 v1, v[38:39], v[40:41] offset1:1
	ds_write2_b64 v254, v[34:35], v[36:37] offset0:62 offset1:63
	ds_write2_b64 v254, v[30:31], v[32:33] offset0:64 offset1:65
	;; [unrolled: 1-line block ×9, first 2 shown]
	ds_read2_b64 v[190:193], v1 offset1:1
	s_waitcnt lgkmcnt(0)
	v_cmp_neq_f64_e32 vcc_lo, 0, v[190:191]
	v_cmp_neq_f64_e64 s1, 0, v[192:193]
	s_or_b32 s1, vcc_lo, s1
	s_and_b32 exec_lo, exec_lo, s1
	s_cbranch_execz .LBB79_278
; %bb.273:
	v_cmp_ngt_f64_e64 s1, |v[190:191]|, |v[192:193]|
                                        ; implicit-def: $vgpr194_vgpr195
	s_and_saveexec_b32 s3, s1
	s_xor_b32 s1, exec_lo, s3
                                        ; implicit-def: $vgpr196_vgpr197
	s_cbranch_execz .LBB79_275
; %bb.274:
	v_div_scale_f64 v[194:195], null, v[192:193], v[192:193], v[190:191]
	v_div_scale_f64 v[200:201], vcc_lo, v[190:191], v[192:193], v[190:191]
	v_rcp_f64_e32 v[196:197], v[194:195]
	v_fma_f64 v[198:199], -v[194:195], v[196:197], 1.0
	v_fma_f64 v[196:197], v[196:197], v[198:199], v[196:197]
	v_fma_f64 v[198:199], -v[194:195], v[196:197], 1.0
	v_fma_f64 v[196:197], v[196:197], v[198:199], v[196:197]
	v_mul_f64 v[198:199], v[200:201], v[196:197]
	v_fma_f64 v[194:195], -v[194:195], v[198:199], v[200:201]
	v_div_fmas_f64 v[194:195], v[194:195], v[196:197], v[198:199]
	v_div_fixup_f64 v[194:195], v[194:195], v[192:193], v[190:191]
	v_fma_f64 v[190:191], v[190:191], v[194:195], v[192:193]
	v_div_scale_f64 v[192:193], null, v[190:191], v[190:191], 1.0
	v_rcp_f64_e32 v[196:197], v[192:193]
	v_fma_f64 v[198:199], -v[192:193], v[196:197], 1.0
	v_fma_f64 v[196:197], v[196:197], v[198:199], v[196:197]
	v_fma_f64 v[198:199], -v[192:193], v[196:197], 1.0
	v_fma_f64 v[196:197], v[196:197], v[198:199], v[196:197]
	v_div_scale_f64 v[198:199], vcc_lo, 1.0, v[190:191], 1.0
	v_mul_f64 v[200:201], v[198:199], v[196:197]
	v_fma_f64 v[192:193], -v[192:193], v[200:201], v[198:199]
	v_div_fmas_f64 v[192:193], v[192:193], v[196:197], v[200:201]
	v_div_fixup_f64 v[196:197], v[192:193], v[190:191], 1.0
                                        ; implicit-def: $vgpr190_vgpr191
	v_mul_f64 v[194:195], v[194:195], v[196:197]
	v_xor_b32_e32 v197, 0x80000000, v197
.LBB79_275:
	s_andn2_saveexec_b32 s1, s1
	s_cbranch_execz .LBB79_277
; %bb.276:
	v_div_scale_f64 v[194:195], null, v[190:191], v[190:191], v[192:193]
	v_div_scale_f64 v[200:201], vcc_lo, v[192:193], v[190:191], v[192:193]
	v_rcp_f64_e32 v[196:197], v[194:195]
	v_fma_f64 v[198:199], -v[194:195], v[196:197], 1.0
	v_fma_f64 v[196:197], v[196:197], v[198:199], v[196:197]
	v_fma_f64 v[198:199], -v[194:195], v[196:197], 1.0
	v_fma_f64 v[196:197], v[196:197], v[198:199], v[196:197]
	v_mul_f64 v[198:199], v[200:201], v[196:197]
	v_fma_f64 v[194:195], -v[194:195], v[198:199], v[200:201]
	v_div_fmas_f64 v[194:195], v[194:195], v[196:197], v[198:199]
	v_div_fixup_f64 v[196:197], v[194:195], v[190:191], v[192:193]
	v_fma_f64 v[190:191], v[192:193], v[196:197], v[190:191]
	v_div_scale_f64 v[192:193], null, v[190:191], v[190:191], 1.0
	v_rcp_f64_e32 v[194:195], v[192:193]
	v_fma_f64 v[198:199], -v[192:193], v[194:195], 1.0
	v_fma_f64 v[194:195], v[194:195], v[198:199], v[194:195]
	v_fma_f64 v[198:199], -v[192:193], v[194:195], 1.0
	v_fma_f64 v[194:195], v[194:195], v[198:199], v[194:195]
	v_div_scale_f64 v[198:199], vcc_lo, 1.0, v[190:191], 1.0
	v_mul_f64 v[200:201], v[198:199], v[194:195]
	v_fma_f64 v[192:193], -v[192:193], v[200:201], v[198:199]
	v_div_fmas_f64 v[192:193], v[192:193], v[194:195], v[200:201]
	v_div_fixup_f64 v[194:195], v[192:193], v[190:191], 1.0
	v_mul_f64 v[196:197], v[196:197], -v[194:195]
.LBB79_277:
	s_or_b32 exec_lo, exec_lo, s1
	ds_write2_b64 v1, v[194:195], v[196:197] offset1:1
.LBB79_278:
	s_or_b32 exec_lo, exec_lo, s2
	s_waitcnt lgkmcnt(0)
	s_barrier
	buffer_gl0_inv
	ds_read2_b64 v[190:193], v1 offset1:1
	s_mov_b32 s1, exec_lo
	v_cmpx_lt_u32_e32 30, v0
	s_cbranch_execz .LBB79_280
; %bb.279:
	s_waitcnt lgkmcnt(0)
	v_mul_f64 v[194:195], v[190:191], v[40:41]
	v_mul_f64 v[40:41], v[192:193], v[40:41]
	v_fma_f64 v[198:199], v[192:193], v[38:39], v[194:195]
	ds_read2_b64 v[194:197], v254 offset0:62 offset1:63
	v_fma_f64 v[38:39], v[190:191], v[38:39], -v[40:41]
	s_waitcnt lgkmcnt(0)
	v_mul_f64 v[40:41], v[196:197], v[198:199]
	v_fma_f64 v[40:41], v[194:195], v[38:39], -v[40:41]
	v_mul_f64 v[194:195], v[194:195], v[198:199]
	v_add_f64 v[34:35], v[34:35], -v[40:41]
	v_fma_f64 v[194:195], v[196:197], v[38:39], v[194:195]
	v_add_f64 v[36:37], v[36:37], -v[194:195]
	ds_read2_b64 v[194:197], v254 offset0:64 offset1:65
	s_waitcnt lgkmcnt(0)
	v_mul_f64 v[40:41], v[196:197], v[198:199]
	v_fma_f64 v[40:41], v[194:195], v[38:39], -v[40:41]
	v_mul_f64 v[194:195], v[194:195], v[198:199]
	v_add_f64 v[30:31], v[30:31], -v[40:41]
	v_fma_f64 v[194:195], v[196:197], v[38:39], v[194:195]
	v_add_f64 v[32:33], v[32:33], -v[194:195]
	ds_read2_b64 v[194:197], v254 offset0:66 offset1:67
	;; [unrolled: 8-line block ×8, first 2 shown]
	s_waitcnt lgkmcnt(0)
	v_mul_f64 v[40:41], v[196:197], v[198:199]
	v_fma_f64 v[40:41], v[194:195], v[38:39], -v[40:41]
	v_mul_f64 v[194:195], v[194:195], v[198:199]
	v_add_f64 v[2:3], v[2:3], -v[40:41]
	v_fma_f64 v[194:195], v[196:197], v[38:39], v[194:195]
	v_mov_b32_e32 v40, v198
	v_mov_b32_e32 v41, v199
	v_add_f64 v[4:5], v[4:5], -v[194:195]
.LBB79_280:
	s_or_b32 exec_lo, exec_lo, s1
	s_mov_b32 s2, exec_lo
	s_waitcnt lgkmcnt(0)
	s_barrier
	buffer_gl0_inv
	v_cmpx_eq_u32_e32 31, v0
	s_cbranch_execz .LBB79_287
; %bb.281:
	ds_write2_b64 v1, v[34:35], v[36:37] offset1:1
	ds_write2_b64 v254, v[30:31], v[32:33] offset0:64 offset1:65
	ds_write2_b64 v254, v[26:27], v[28:29] offset0:66 offset1:67
	;; [unrolled: 1-line block ×8, first 2 shown]
	ds_read2_b64 v[194:197], v1 offset1:1
	s_waitcnt lgkmcnt(0)
	v_cmp_neq_f64_e32 vcc_lo, 0, v[194:195]
	v_cmp_neq_f64_e64 s1, 0, v[196:197]
	s_or_b32 s1, vcc_lo, s1
	s_and_b32 exec_lo, exec_lo, s1
	s_cbranch_execz .LBB79_287
; %bb.282:
	v_cmp_ngt_f64_e64 s1, |v[194:195]|, |v[196:197]|
                                        ; implicit-def: $vgpr198_vgpr199
	s_and_saveexec_b32 s3, s1
	s_xor_b32 s1, exec_lo, s3
                                        ; implicit-def: $vgpr200_vgpr201
	s_cbranch_execz .LBB79_284
; %bb.283:
	v_div_scale_f64 v[198:199], null, v[196:197], v[196:197], v[194:195]
	v_div_scale_f64 v[204:205], vcc_lo, v[194:195], v[196:197], v[194:195]
	v_rcp_f64_e32 v[200:201], v[198:199]
	v_fma_f64 v[202:203], -v[198:199], v[200:201], 1.0
	v_fma_f64 v[200:201], v[200:201], v[202:203], v[200:201]
	v_fma_f64 v[202:203], -v[198:199], v[200:201], 1.0
	v_fma_f64 v[200:201], v[200:201], v[202:203], v[200:201]
	v_mul_f64 v[202:203], v[204:205], v[200:201]
	v_fma_f64 v[198:199], -v[198:199], v[202:203], v[204:205]
	v_div_fmas_f64 v[198:199], v[198:199], v[200:201], v[202:203]
	v_div_fixup_f64 v[198:199], v[198:199], v[196:197], v[194:195]
	v_fma_f64 v[194:195], v[194:195], v[198:199], v[196:197]
	v_div_scale_f64 v[196:197], null, v[194:195], v[194:195], 1.0
	v_rcp_f64_e32 v[200:201], v[196:197]
	v_fma_f64 v[202:203], -v[196:197], v[200:201], 1.0
	v_fma_f64 v[200:201], v[200:201], v[202:203], v[200:201]
	v_fma_f64 v[202:203], -v[196:197], v[200:201], 1.0
	v_fma_f64 v[200:201], v[200:201], v[202:203], v[200:201]
	v_div_scale_f64 v[202:203], vcc_lo, 1.0, v[194:195], 1.0
	v_mul_f64 v[204:205], v[202:203], v[200:201]
	v_fma_f64 v[196:197], -v[196:197], v[204:205], v[202:203]
	v_div_fmas_f64 v[196:197], v[196:197], v[200:201], v[204:205]
	v_div_fixup_f64 v[200:201], v[196:197], v[194:195], 1.0
                                        ; implicit-def: $vgpr194_vgpr195
	v_mul_f64 v[198:199], v[198:199], v[200:201]
	v_xor_b32_e32 v201, 0x80000000, v201
.LBB79_284:
	s_andn2_saveexec_b32 s1, s1
	s_cbranch_execz .LBB79_286
; %bb.285:
	v_div_scale_f64 v[198:199], null, v[194:195], v[194:195], v[196:197]
	v_div_scale_f64 v[204:205], vcc_lo, v[196:197], v[194:195], v[196:197]
	v_rcp_f64_e32 v[200:201], v[198:199]
	v_fma_f64 v[202:203], -v[198:199], v[200:201], 1.0
	v_fma_f64 v[200:201], v[200:201], v[202:203], v[200:201]
	v_fma_f64 v[202:203], -v[198:199], v[200:201], 1.0
	v_fma_f64 v[200:201], v[200:201], v[202:203], v[200:201]
	v_mul_f64 v[202:203], v[204:205], v[200:201]
	v_fma_f64 v[198:199], -v[198:199], v[202:203], v[204:205]
	v_div_fmas_f64 v[198:199], v[198:199], v[200:201], v[202:203]
	v_div_fixup_f64 v[200:201], v[198:199], v[194:195], v[196:197]
	v_fma_f64 v[194:195], v[196:197], v[200:201], v[194:195]
	v_div_scale_f64 v[196:197], null, v[194:195], v[194:195], 1.0
	v_rcp_f64_e32 v[198:199], v[196:197]
	v_fma_f64 v[202:203], -v[196:197], v[198:199], 1.0
	v_fma_f64 v[198:199], v[198:199], v[202:203], v[198:199]
	v_fma_f64 v[202:203], -v[196:197], v[198:199], 1.0
	v_fma_f64 v[198:199], v[198:199], v[202:203], v[198:199]
	v_div_scale_f64 v[202:203], vcc_lo, 1.0, v[194:195], 1.0
	v_mul_f64 v[204:205], v[202:203], v[198:199]
	v_fma_f64 v[196:197], -v[196:197], v[204:205], v[202:203]
	v_div_fmas_f64 v[196:197], v[196:197], v[198:199], v[204:205]
	v_div_fixup_f64 v[198:199], v[196:197], v[194:195], 1.0
	v_mul_f64 v[200:201], v[200:201], -v[198:199]
.LBB79_286:
	s_or_b32 exec_lo, exec_lo, s1
	ds_write2_b64 v1, v[198:199], v[200:201] offset1:1
.LBB79_287:
	s_or_b32 exec_lo, exec_lo, s2
	s_waitcnt lgkmcnt(0)
	s_barrier
	buffer_gl0_inv
	ds_read2_b64 v[194:197], v1 offset1:1
	s_mov_b32 s1, exec_lo
	v_cmpx_lt_u32_e32 31, v0
	s_cbranch_execz .LBB79_289
; %bb.288:
	s_waitcnt lgkmcnt(0)
	v_mul_f64 v[198:199], v[194:195], v[36:37]
	v_mul_f64 v[36:37], v[196:197], v[36:37]
	v_fma_f64 v[202:203], v[196:197], v[34:35], v[198:199]
	ds_read2_b64 v[198:201], v254 offset0:64 offset1:65
	v_fma_f64 v[34:35], v[194:195], v[34:35], -v[36:37]
	s_waitcnt lgkmcnt(0)
	v_mul_f64 v[36:37], v[200:201], v[202:203]
	v_fma_f64 v[36:37], v[198:199], v[34:35], -v[36:37]
	v_mul_f64 v[198:199], v[198:199], v[202:203]
	v_add_f64 v[30:31], v[30:31], -v[36:37]
	v_fma_f64 v[198:199], v[200:201], v[34:35], v[198:199]
	v_add_f64 v[32:33], v[32:33], -v[198:199]
	ds_read2_b64 v[198:201], v254 offset0:66 offset1:67
	s_waitcnt lgkmcnt(0)
	v_mul_f64 v[36:37], v[200:201], v[202:203]
	v_fma_f64 v[36:37], v[198:199], v[34:35], -v[36:37]
	v_mul_f64 v[198:199], v[198:199], v[202:203]
	v_add_f64 v[26:27], v[26:27], -v[36:37]
	v_fma_f64 v[198:199], v[200:201], v[34:35], v[198:199]
	v_add_f64 v[28:29], v[28:29], -v[198:199]
	ds_read2_b64 v[198:201], v254 offset0:68 offset1:69
	;; [unrolled: 8-line block ×7, first 2 shown]
	s_waitcnt lgkmcnt(0)
	v_mul_f64 v[36:37], v[200:201], v[202:203]
	v_fma_f64 v[36:37], v[198:199], v[34:35], -v[36:37]
	v_mul_f64 v[198:199], v[198:199], v[202:203]
	v_add_f64 v[2:3], v[2:3], -v[36:37]
	v_fma_f64 v[198:199], v[200:201], v[34:35], v[198:199]
	v_mov_b32_e32 v36, v202
	v_mov_b32_e32 v37, v203
	v_add_f64 v[4:5], v[4:5], -v[198:199]
.LBB79_289:
	s_or_b32 exec_lo, exec_lo, s1
	s_mov_b32 s2, exec_lo
	s_waitcnt lgkmcnt(0)
	s_barrier
	buffer_gl0_inv
	v_cmpx_eq_u32_e32 32, v0
	s_cbranch_execz .LBB79_296
; %bb.290:
	ds_write2_b64 v1, v[30:31], v[32:33] offset1:1
	ds_write2_b64 v254, v[26:27], v[28:29] offset0:66 offset1:67
	ds_write2_b64 v254, v[22:23], v[24:25] offset0:68 offset1:69
	;; [unrolled: 1-line block ×7, first 2 shown]
	ds_read2_b64 v[198:201], v1 offset1:1
	s_waitcnt lgkmcnt(0)
	v_cmp_neq_f64_e32 vcc_lo, 0, v[198:199]
	v_cmp_neq_f64_e64 s1, 0, v[200:201]
	s_or_b32 s1, vcc_lo, s1
	s_and_b32 exec_lo, exec_lo, s1
	s_cbranch_execz .LBB79_296
; %bb.291:
	v_cmp_ngt_f64_e64 s1, |v[198:199]|, |v[200:201]|
                                        ; implicit-def: $vgpr202_vgpr203
	s_and_saveexec_b32 s3, s1
	s_xor_b32 s1, exec_lo, s3
                                        ; implicit-def: $vgpr204_vgpr205
	s_cbranch_execz .LBB79_293
; %bb.292:
	v_div_scale_f64 v[202:203], null, v[200:201], v[200:201], v[198:199]
	v_div_scale_f64 v[208:209], vcc_lo, v[198:199], v[200:201], v[198:199]
	v_rcp_f64_e32 v[204:205], v[202:203]
	v_fma_f64 v[206:207], -v[202:203], v[204:205], 1.0
	v_fma_f64 v[204:205], v[204:205], v[206:207], v[204:205]
	v_fma_f64 v[206:207], -v[202:203], v[204:205], 1.0
	v_fma_f64 v[204:205], v[204:205], v[206:207], v[204:205]
	v_mul_f64 v[206:207], v[208:209], v[204:205]
	v_fma_f64 v[202:203], -v[202:203], v[206:207], v[208:209]
	v_div_fmas_f64 v[202:203], v[202:203], v[204:205], v[206:207]
	v_div_fixup_f64 v[202:203], v[202:203], v[200:201], v[198:199]
	v_fma_f64 v[198:199], v[198:199], v[202:203], v[200:201]
	v_div_scale_f64 v[200:201], null, v[198:199], v[198:199], 1.0
	v_rcp_f64_e32 v[204:205], v[200:201]
	v_fma_f64 v[206:207], -v[200:201], v[204:205], 1.0
	v_fma_f64 v[204:205], v[204:205], v[206:207], v[204:205]
	v_fma_f64 v[206:207], -v[200:201], v[204:205], 1.0
	v_fma_f64 v[204:205], v[204:205], v[206:207], v[204:205]
	v_div_scale_f64 v[206:207], vcc_lo, 1.0, v[198:199], 1.0
	v_mul_f64 v[208:209], v[206:207], v[204:205]
	v_fma_f64 v[200:201], -v[200:201], v[208:209], v[206:207]
	v_div_fmas_f64 v[200:201], v[200:201], v[204:205], v[208:209]
	v_div_fixup_f64 v[204:205], v[200:201], v[198:199], 1.0
                                        ; implicit-def: $vgpr198_vgpr199
	v_mul_f64 v[202:203], v[202:203], v[204:205]
	v_xor_b32_e32 v205, 0x80000000, v205
.LBB79_293:
	s_andn2_saveexec_b32 s1, s1
	s_cbranch_execz .LBB79_295
; %bb.294:
	v_div_scale_f64 v[202:203], null, v[198:199], v[198:199], v[200:201]
	v_div_scale_f64 v[208:209], vcc_lo, v[200:201], v[198:199], v[200:201]
	v_rcp_f64_e32 v[204:205], v[202:203]
	v_fma_f64 v[206:207], -v[202:203], v[204:205], 1.0
	v_fma_f64 v[204:205], v[204:205], v[206:207], v[204:205]
	v_fma_f64 v[206:207], -v[202:203], v[204:205], 1.0
	v_fma_f64 v[204:205], v[204:205], v[206:207], v[204:205]
	v_mul_f64 v[206:207], v[208:209], v[204:205]
	v_fma_f64 v[202:203], -v[202:203], v[206:207], v[208:209]
	v_div_fmas_f64 v[202:203], v[202:203], v[204:205], v[206:207]
	v_div_fixup_f64 v[204:205], v[202:203], v[198:199], v[200:201]
	v_fma_f64 v[198:199], v[200:201], v[204:205], v[198:199]
	v_div_scale_f64 v[200:201], null, v[198:199], v[198:199], 1.0
	v_rcp_f64_e32 v[202:203], v[200:201]
	v_fma_f64 v[206:207], -v[200:201], v[202:203], 1.0
	v_fma_f64 v[202:203], v[202:203], v[206:207], v[202:203]
	v_fma_f64 v[206:207], -v[200:201], v[202:203], 1.0
	v_fma_f64 v[202:203], v[202:203], v[206:207], v[202:203]
	v_div_scale_f64 v[206:207], vcc_lo, 1.0, v[198:199], 1.0
	v_mul_f64 v[208:209], v[206:207], v[202:203]
	v_fma_f64 v[200:201], -v[200:201], v[208:209], v[206:207]
	v_div_fmas_f64 v[200:201], v[200:201], v[202:203], v[208:209]
	v_div_fixup_f64 v[202:203], v[200:201], v[198:199], 1.0
	v_mul_f64 v[204:205], v[204:205], -v[202:203]
.LBB79_295:
	s_or_b32 exec_lo, exec_lo, s1
	ds_write2_b64 v1, v[202:203], v[204:205] offset1:1
.LBB79_296:
	s_or_b32 exec_lo, exec_lo, s2
	s_waitcnt lgkmcnt(0)
	s_barrier
	buffer_gl0_inv
	ds_read2_b64 v[198:201], v1 offset1:1
	s_mov_b32 s1, exec_lo
	v_cmpx_lt_u32_e32 32, v0
	s_cbranch_execz .LBB79_298
; %bb.297:
	s_waitcnt lgkmcnt(0)
	v_mul_f64 v[202:203], v[198:199], v[32:33]
	v_mul_f64 v[32:33], v[200:201], v[32:33]
	v_fma_f64 v[206:207], v[200:201], v[30:31], v[202:203]
	ds_read2_b64 v[202:205], v254 offset0:66 offset1:67
	v_fma_f64 v[30:31], v[198:199], v[30:31], -v[32:33]
	s_waitcnt lgkmcnt(0)
	v_mul_f64 v[32:33], v[204:205], v[206:207]
	v_fma_f64 v[32:33], v[202:203], v[30:31], -v[32:33]
	v_mul_f64 v[202:203], v[202:203], v[206:207]
	v_add_f64 v[26:27], v[26:27], -v[32:33]
	v_fma_f64 v[202:203], v[204:205], v[30:31], v[202:203]
	v_add_f64 v[28:29], v[28:29], -v[202:203]
	ds_read2_b64 v[202:205], v254 offset0:68 offset1:69
	s_waitcnt lgkmcnt(0)
	v_mul_f64 v[32:33], v[204:205], v[206:207]
	v_fma_f64 v[32:33], v[202:203], v[30:31], -v[32:33]
	v_mul_f64 v[202:203], v[202:203], v[206:207]
	v_add_f64 v[22:23], v[22:23], -v[32:33]
	v_fma_f64 v[202:203], v[204:205], v[30:31], v[202:203]
	v_add_f64 v[24:25], v[24:25], -v[202:203]
	ds_read2_b64 v[202:205], v254 offset0:70 offset1:71
	;; [unrolled: 8-line block ×6, first 2 shown]
	s_waitcnt lgkmcnt(0)
	v_mul_f64 v[32:33], v[204:205], v[206:207]
	v_fma_f64 v[32:33], v[202:203], v[30:31], -v[32:33]
	v_mul_f64 v[202:203], v[202:203], v[206:207]
	v_add_f64 v[2:3], v[2:3], -v[32:33]
	v_fma_f64 v[202:203], v[204:205], v[30:31], v[202:203]
	v_mov_b32_e32 v32, v206
	v_mov_b32_e32 v33, v207
	v_add_f64 v[4:5], v[4:5], -v[202:203]
.LBB79_298:
	s_or_b32 exec_lo, exec_lo, s1
	s_mov_b32 s2, exec_lo
	s_waitcnt lgkmcnt(0)
	s_barrier
	buffer_gl0_inv
	v_cmpx_eq_u32_e32 33, v0
	s_cbranch_execz .LBB79_305
; %bb.299:
	ds_write2_b64 v1, v[26:27], v[28:29] offset1:1
	ds_write2_b64 v254, v[22:23], v[24:25] offset0:68 offset1:69
	ds_write2_b64 v254, v[18:19], v[20:21] offset0:70 offset1:71
	;; [unrolled: 1-line block ×6, first 2 shown]
	ds_read2_b64 v[202:205], v1 offset1:1
	s_waitcnt lgkmcnt(0)
	v_cmp_neq_f64_e32 vcc_lo, 0, v[202:203]
	v_cmp_neq_f64_e64 s1, 0, v[204:205]
	s_or_b32 s1, vcc_lo, s1
	s_and_b32 exec_lo, exec_lo, s1
	s_cbranch_execz .LBB79_305
; %bb.300:
	v_cmp_ngt_f64_e64 s1, |v[202:203]|, |v[204:205]|
                                        ; implicit-def: $vgpr206_vgpr207
	s_and_saveexec_b32 s3, s1
	s_xor_b32 s1, exec_lo, s3
                                        ; implicit-def: $vgpr208_vgpr209
	s_cbranch_execz .LBB79_302
; %bb.301:
	v_div_scale_f64 v[206:207], null, v[204:205], v[204:205], v[202:203]
	v_div_scale_f64 v[212:213], vcc_lo, v[202:203], v[204:205], v[202:203]
	v_rcp_f64_e32 v[208:209], v[206:207]
	v_fma_f64 v[210:211], -v[206:207], v[208:209], 1.0
	v_fma_f64 v[208:209], v[208:209], v[210:211], v[208:209]
	v_fma_f64 v[210:211], -v[206:207], v[208:209], 1.0
	v_fma_f64 v[208:209], v[208:209], v[210:211], v[208:209]
	v_mul_f64 v[210:211], v[212:213], v[208:209]
	v_fma_f64 v[206:207], -v[206:207], v[210:211], v[212:213]
	v_div_fmas_f64 v[206:207], v[206:207], v[208:209], v[210:211]
	v_div_fixup_f64 v[206:207], v[206:207], v[204:205], v[202:203]
	v_fma_f64 v[202:203], v[202:203], v[206:207], v[204:205]
	v_div_scale_f64 v[204:205], null, v[202:203], v[202:203], 1.0
	v_rcp_f64_e32 v[208:209], v[204:205]
	v_fma_f64 v[210:211], -v[204:205], v[208:209], 1.0
	v_fma_f64 v[208:209], v[208:209], v[210:211], v[208:209]
	v_fma_f64 v[210:211], -v[204:205], v[208:209], 1.0
	v_fma_f64 v[208:209], v[208:209], v[210:211], v[208:209]
	v_div_scale_f64 v[210:211], vcc_lo, 1.0, v[202:203], 1.0
	v_mul_f64 v[212:213], v[210:211], v[208:209]
	v_fma_f64 v[204:205], -v[204:205], v[212:213], v[210:211]
	v_div_fmas_f64 v[204:205], v[204:205], v[208:209], v[212:213]
	v_div_fixup_f64 v[208:209], v[204:205], v[202:203], 1.0
                                        ; implicit-def: $vgpr202_vgpr203
	v_mul_f64 v[206:207], v[206:207], v[208:209]
	v_xor_b32_e32 v209, 0x80000000, v209
.LBB79_302:
	s_andn2_saveexec_b32 s1, s1
	s_cbranch_execz .LBB79_304
; %bb.303:
	v_div_scale_f64 v[206:207], null, v[202:203], v[202:203], v[204:205]
	v_div_scale_f64 v[212:213], vcc_lo, v[204:205], v[202:203], v[204:205]
	v_rcp_f64_e32 v[208:209], v[206:207]
	v_fma_f64 v[210:211], -v[206:207], v[208:209], 1.0
	v_fma_f64 v[208:209], v[208:209], v[210:211], v[208:209]
	v_fma_f64 v[210:211], -v[206:207], v[208:209], 1.0
	v_fma_f64 v[208:209], v[208:209], v[210:211], v[208:209]
	v_mul_f64 v[210:211], v[212:213], v[208:209]
	v_fma_f64 v[206:207], -v[206:207], v[210:211], v[212:213]
	v_div_fmas_f64 v[206:207], v[206:207], v[208:209], v[210:211]
	v_div_fixup_f64 v[208:209], v[206:207], v[202:203], v[204:205]
	v_fma_f64 v[202:203], v[204:205], v[208:209], v[202:203]
	v_div_scale_f64 v[204:205], null, v[202:203], v[202:203], 1.0
	v_rcp_f64_e32 v[206:207], v[204:205]
	v_fma_f64 v[210:211], -v[204:205], v[206:207], 1.0
	v_fma_f64 v[206:207], v[206:207], v[210:211], v[206:207]
	v_fma_f64 v[210:211], -v[204:205], v[206:207], 1.0
	v_fma_f64 v[206:207], v[206:207], v[210:211], v[206:207]
	v_div_scale_f64 v[210:211], vcc_lo, 1.0, v[202:203], 1.0
	v_mul_f64 v[212:213], v[210:211], v[206:207]
	v_fma_f64 v[204:205], -v[204:205], v[212:213], v[210:211]
	v_div_fmas_f64 v[204:205], v[204:205], v[206:207], v[212:213]
	v_div_fixup_f64 v[206:207], v[204:205], v[202:203], 1.0
	v_mul_f64 v[208:209], v[208:209], -v[206:207]
.LBB79_304:
	s_or_b32 exec_lo, exec_lo, s1
	ds_write2_b64 v1, v[206:207], v[208:209] offset1:1
.LBB79_305:
	s_or_b32 exec_lo, exec_lo, s2
	s_waitcnt lgkmcnt(0)
	s_barrier
	buffer_gl0_inv
	ds_read2_b64 v[202:205], v1 offset1:1
	s_mov_b32 s1, exec_lo
	v_cmpx_lt_u32_e32 33, v0
	s_cbranch_execz .LBB79_307
; %bb.306:
	s_waitcnt lgkmcnt(0)
	v_mul_f64 v[206:207], v[202:203], v[28:29]
	v_mul_f64 v[28:29], v[204:205], v[28:29]
	v_fma_f64 v[210:211], v[204:205], v[26:27], v[206:207]
	ds_read2_b64 v[206:209], v254 offset0:68 offset1:69
	v_fma_f64 v[26:27], v[202:203], v[26:27], -v[28:29]
	s_waitcnt lgkmcnt(0)
	v_mul_f64 v[28:29], v[208:209], v[210:211]
	v_fma_f64 v[28:29], v[206:207], v[26:27], -v[28:29]
	v_mul_f64 v[206:207], v[206:207], v[210:211]
	v_add_f64 v[22:23], v[22:23], -v[28:29]
	v_fma_f64 v[206:207], v[208:209], v[26:27], v[206:207]
	v_add_f64 v[24:25], v[24:25], -v[206:207]
	ds_read2_b64 v[206:209], v254 offset0:70 offset1:71
	s_waitcnt lgkmcnt(0)
	v_mul_f64 v[28:29], v[208:209], v[210:211]
	v_fma_f64 v[28:29], v[206:207], v[26:27], -v[28:29]
	v_mul_f64 v[206:207], v[206:207], v[210:211]
	v_add_f64 v[18:19], v[18:19], -v[28:29]
	v_fma_f64 v[206:207], v[208:209], v[26:27], v[206:207]
	v_add_f64 v[20:21], v[20:21], -v[206:207]
	ds_read2_b64 v[206:209], v254 offset0:72 offset1:73
	;; [unrolled: 8-line block ×5, first 2 shown]
	s_waitcnt lgkmcnt(0)
	v_mul_f64 v[28:29], v[208:209], v[210:211]
	v_fma_f64 v[28:29], v[206:207], v[26:27], -v[28:29]
	v_mul_f64 v[206:207], v[206:207], v[210:211]
	v_add_f64 v[2:3], v[2:3], -v[28:29]
	v_fma_f64 v[206:207], v[208:209], v[26:27], v[206:207]
	v_mov_b32_e32 v28, v210
	v_mov_b32_e32 v29, v211
	v_add_f64 v[4:5], v[4:5], -v[206:207]
.LBB79_307:
	s_or_b32 exec_lo, exec_lo, s1
	s_mov_b32 s2, exec_lo
	s_waitcnt lgkmcnt(0)
	s_barrier
	buffer_gl0_inv
	v_cmpx_eq_u32_e32 34, v0
	s_cbranch_execz .LBB79_314
; %bb.308:
	ds_write2_b64 v1, v[22:23], v[24:25] offset1:1
	ds_write2_b64 v254, v[18:19], v[20:21] offset0:70 offset1:71
	ds_write2_b64 v254, v[14:15], v[16:17] offset0:72 offset1:73
	;; [unrolled: 1-line block ×5, first 2 shown]
	ds_read2_b64 v[206:209], v1 offset1:1
	s_waitcnt lgkmcnt(0)
	v_cmp_neq_f64_e32 vcc_lo, 0, v[206:207]
	v_cmp_neq_f64_e64 s1, 0, v[208:209]
	s_or_b32 s1, vcc_lo, s1
	s_and_b32 exec_lo, exec_lo, s1
	s_cbranch_execz .LBB79_314
; %bb.309:
	v_cmp_ngt_f64_e64 s1, |v[206:207]|, |v[208:209]|
                                        ; implicit-def: $vgpr210_vgpr211
	s_and_saveexec_b32 s3, s1
	s_xor_b32 s1, exec_lo, s3
                                        ; implicit-def: $vgpr212_vgpr213
	s_cbranch_execz .LBB79_311
; %bb.310:
	v_div_scale_f64 v[210:211], null, v[208:209], v[208:209], v[206:207]
	v_div_scale_f64 v[216:217], vcc_lo, v[206:207], v[208:209], v[206:207]
	v_rcp_f64_e32 v[212:213], v[210:211]
	v_fma_f64 v[214:215], -v[210:211], v[212:213], 1.0
	v_fma_f64 v[212:213], v[212:213], v[214:215], v[212:213]
	v_fma_f64 v[214:215], -v[210:211], v[212:213], 1.0
	v_fma_f64 v[212:213], v[212:213], v[214:215], v[212:213]
	v_mul_f64 v[214:215], v[216:217], v[212:213]
	v_fma_f64 v[210:211], -v[210:211], v[214:215], v[216:217]
	v_div_fmas_f64 v[210:211], v[210:211], v[212:213], v[214:215]
	v_div_fixup_f64 v[210:211], v[210:211], v[208:209], v[206:207]
	v_fma_f64 v[206:207], v[206:207], v[210:211], v[208:209]
	v_div_scale_f64 v[208:209], null, v[206:207], v[206:207], 1.0
	v_rcp_f64_e32 v[212:213], v[208:209]
	v_fma_f64 v[214:215], -v[208:209], v[212:213], 1.0
	v_fma_f64 v[212:213], v[212:213], v[214:215], v[212:213]
	v_fma_f64 v[214:215], -v[208:209], v[212:213], 1.0
	v_fma_f64 v[212:213], v[212:213], v[214:215], v[212:213]
	v_div_scale_f64 v[214:215], vcc_lo, 1.0, v[206:207], 1.0
	v_mul_f64 v[216:217], v[214:215], v[212:213]
	v_fma_f64 v[208:209], -v[208:209], v[216:217], v[214:215]
	v_div_fmas_f64 v[208:209], v[208:209], v[212:213], v[216:217]
	v_div_fixup_f64 v[212:213], v[208:209], v[206:207], 1.0
                                        ; implicit-def: $vgpr206_vgpr207
	v_mul_f64 v[210:211], v[210:211], v[212:213]
	v_xor_b32_e32 v213, 0x80000000, v213
.LBB79_311:
	s_andn2_saveexec_b32 s1, s1
	s_cbranch_execz .LBB79_313
; %bb.312:
	v_div_scale_f64 v[210:211], null, v[206:207], v[206:207], v[208:209]
	v_div_scale_f64 v[216:217], vcc_lo, v[208:209], v[206:207], v[208:209]
	v_rcp_f64_e32 v[212:213], v[210:211]
	v_fma_f64 v[214:215], -v[210:211], v[212:213], 1.0
	v_fma_f64 v[212:213], v[212:213], v[214:215], v[212:213]
	v_fma_f64 v[214:215], -v[210:211], v[212:213], 1.0
	v_fma_f64 v[212:213], v[212:213], v[214:215], v[212:213]
	v_mul_f64 v[214:215], v[216:217], v[212:213]
	v_fma_f64 v[210:211], -v[210:211], v[214:215], v[216:217]
	v_div_fmas_f64 v[210:211], v[210:211], v[212:213], v[214:215]
	v_div_fixup_f64 v[212:213], v[210:211], v[206:207], v[208:209]
	v_fma_f64 v[206:207], v[208:209], v[212:213], v[206:207]
	v_div_scale_f64 v[208:209], null, v[206:207], v[206:207], 1.0
	v_rcp_f64_e32 v[210:211], v[208:209]
	v_fma_f64 v[214:215], -v[208:209], v[210:211], 1.0
	v_fma_f64 v[210:211], v[210:211], v[214:215], v[210:211]
	v_fma_f64 v[214:215], -v[208:209], v[210:211], 1.0
	v_fma_f64 v[210:211], v[210:211], v[214:215], v[210:211]
	v_div_scale_f64 v[214:215], vcc_lo, 1.0, v[206:207], 1.0
	v_mul_f64 v[216:217], v[214:215], v[210:211]
	v_fma_f64 v[208:209], -v[208:209], v[216:217], v[214:215]
	v_div_fmas_f64 v[208:209], v[208:209], v[210:211], v[216:217]
	v_div_fixup_f64 v[210:211], v[208:209], v[206:207], 1.0
	v_mul_f64 v[212:213], v[212:213], -v[210:211]
.LBB79_313:
	s_or_b32 exec_lo, exec_lo, s1
	ds_write2_b64 v1, v[210:211], v[212:213] offset1:1
.LBB79_314:
	s_or_b32 exec_lo, exec_lo, s2
	s_waitcnt lgkmcnt(0)
	s_barrier
	buffer_gl0_inv
	ds_read2_b64 v[206:209], v1 offset1:1
	s_mov_b32 s1, exec_lo
	v_cmpx_lt_u32_e32 34, v0
	s_cbranch_execz .LBB79_316
; %bb.315:
	s_waitcnt lgkmcnt(0)
	v_mul_f64 v[210:211], v[206:207], v[24:25]
	v_mul_f64 v[24:25], v[208:209], v[24:25]
	v_fma_f64 v[214:215], v[208:209], v[22:23], v[210:211]
	ds_read2_b64 v[210:213], v254 offset0:70 offset1:71
	v_fma_f64 v[22:23], v[206:207], v[22:23], -v[24:25]
	s_waitcnt lgkmcnt(0)
	v_mul_f64 v[24:25], v[212:213], v[214:215]
	v_fma_f64 v[24:25], v[210:211], v[22:23], -v[24:25]
	v_mul_f64 v[210:211], v[210:211], v[214:215]
	v_add_f64 v[18:19], v[18:19], -v[24:25]
	v_fma_f64 v[210:211], v[212:213], v[22:23], v[210:211]
	v_add_f64 v[20:21], v[20:21], -v[210:211]
	ds_read2_b64 v[210:213], v254 offset0:72 offset1:73
	s_waitcnt lgkmcnt(0)
	v_mul_f64 v[24:25], v[212:213], v[214:215]
	v_fma_f64 v[24:25], v[210:211], v[22:23], -v[24:25]
	v_mul_f64 v[210:211], v[210:211], v[214:215]
	v_add_f64 v[14:15], v[14:15], -v[24:25]
	v_fma_f64 v[210:211], v[212:213], v[22:23], v[210:211]
	v_add_f64 v[16:17], v[16:17], -v[210:211]
	ds_read2_b64 v[210:213], v254 offset0:74 offset1:75
	;; [unrolled: 8-line block ×4, first 2 shown]
	s_waitcnt lgkmcnt(0)
	v_mul_f64 v[24:25], v[212:213], v[214:215]
	v_fma_f64 v[24:25], v[210:211], v[22:23], -v[24:25]
	v_mul_f64 v[210:211], v[210:211], v[214:215]
	v_add_f64 v[2:3], v[2:3], -v[24:25]
	v_fma_f64 v[210:211], v[212:213], v[22:23], v[210:211]
	v_mov_b32_e32 v24, v214
	v_mov_b32_e32 v25, v215
	v_add_f64 v[4:5], v[4:5], -v[210:211]
.LBB79_316:
	s_or_b32 exec_lo, exec_lo, s1
	s_mov_b32 s2, exec_lo
	s_waitcnt lgkmcnt(0)
	s_barrier
	buffer_gl0_inv
	v_cmpx_eq_u32_e32 35, v0
	s_cbranch_execz .LBB79_323
; %bb.317:
	ds_write2_b64 v1, v[18:19], v[20:21] offset1:1
	ds_write2_b64 v254, v[14:15], v[16:17] offset0:72 offset1:73
	ds_write2_b64 v254, v[10:11], v[12:13] offset0:74 offset1:75
	ds_write2_b64 v254, v[6:7], v[8:9] offset0:76 offset1:77
	ds_write2_b64 v254, v[2:3], v[4:5] offset0:78 offset1:79
	ds_read2_b64 v[210:213], v1 offset1:1
	s_waitcnt lgkmcnt(0)
	v_cmp_neq_f64_e32 vcc_lo, 0, v[210:211]
	v_cmp_neq_f64_e64 s1, 0, v[212:213]
	s_or_b32 s1, vcc_lo, s1
	s_and_b32 exec_lo, exec_lo, s1
	s_cbranch_execz .LBB79_323
; %bb.318:
	v_cmp_ngt_f64_e64 s1, |v[210:211]|, |v[212:213]|
                                        ; implicit-def: $vgpr214_vgpr215
	s_and_saveexec_b32 s3, s1
	s_xor_b32 s1, exec_lo, s3
                                        ; implicit-def: $vgpr216_vgpr217
	s_cbranch_execz .LBB79_320
; %bb.319:
	v_div_scale_f64 v[214:215], null, v[212:213], v[212:213], v[210:211]
	v_div_scale_f64 v[220:221], vcc_lo, v[210:211], v[212:213], v[210:211]
	v_rcp_f64_e32 v[216:217], v[214:215]
	v_fma_f64 v[218:219], -v[214:215], v[216:217], 1.0
	v_fma_f64 v[216:217], v[216:217], v[218:219], v[216:217]
	v_fma_f64 v[218:219], -v[214:215], v[216:217], 1.0
	v_fma_f64 v[216:217], v[216:217], v[218:219], v[216:217]
	v_mul_f64 v[218:219], v[220:221], v[216:217]
	v_fma_f64 v[214:215], -v[214:215], v[218:219], v[220:221]
	v_div_fmas_f64 v[214:215], v[214:215], v[216:217], v[218:219]
	v_div_fixup_f64 v[214:215], v[214:215], v[212:213], v[210:211]
	v_fma_f64 v[210:211], v[210:211], v[214:215], v[212:213]
	v_div_scale_f64 v[212:213], null, v[210:211], v[210:211], 1.0
	v_rcp_f64_e32 v[216:217], v[212:213]
	v_fma_f64 v[218:219], -v[212:213], v[216:217], 1.0
	v_fma_f64 v[216:217], v[216:217], v[218:219], v[216:217]
	v_fma_f64 v[218:219], -v[212:213], v[216:217], 1.0
	v_fma_f64 v[216:217], v[216:217], v[218:219], v[216:217]
	v_div_scale_f64 v[218:219], vcc_lo, 1.0, v[210:211], 1.0
	v_mul_f64 v[220:221], v[218:219], v[216:217]
	v_fma_f64 v[212:213], -v[212:213], v[220:221], v[218:219]
	v_div_fmas_f64 v[212:213], v[212:213], v[216:217], v[220:221]
	v_div_fixup_f64 v[216:217], v[212:213], v[210:211], 1.0
                                        ; implicit-def: $vgpr210_vgpr211
	v_mul_f64 v[214:215], v[214:215], v[216:217]
	v_xor_b32_e32 v217, 0x80000000, v217
.LBB79_320:
	s_andn2_saveexec_b32 s1, s1
	s_cbranch_execz .LBB79_322
; %bb.321:
	v_div_scale_f64 v[214:215], null, v[210:211], v[210:211], v[212:213]
	v_div_scale_f64 v[220:221], vcc_lo, v[212:213], v[210:211], v[212:213]
	v_rcp_f64_e32 v[216:217], v[214:215]
	v_fma_f64 v[218:219], -v[214:215], v[216:217], 1.0
	v_fma_f64 v[216:217], v[216:217], v[218:219], v[216:217]
	v_fma_f64 v[218:219], -v[214:215], v[216:217], 1.0
	v_fma_f64 v[216:217], v[216:217], v[218:219], v[216:217]
	v_mul_f64 v[218:219], v[220:221], v[216:217]
	v_fma_f64 v[214:215], -v[214:215], v[218:219], v[220:221]
	v_div_fmas_f64 v[214:215], v[214:215], v[216:217], v[218:219]
	v_div_fixup_f64 v[216:217], v[214:215], v[210:211], v[212:213]
	v_fma_f64 v[210:211], v[212:213], v[216:217], v[210:211]
	v_div_scale_f64 v[212:213], null, v[210:211], v[210:211], 1.0
	v_rcp_f64_e32 v[214:215], v[212:213]
	v_fma_f64 v[218:219], -v[212:213], v[214:215], 1.0
	v_fma_f64 v[214:215], v[214:215], v[218:219], v[214:215]
	v_fma_f64 v[218:219], -v[212:213], v[214:215], 1.0
	v_fma_f64 v[214:215], v[214:215], v[218:219], v[214:215]
	v_div_scale_f64 v[218:219], vcc_lo, 1.0, v[210:211], 1.0
	v_mul_f64 v[220:221], v[218:219], v[214:215]
	v_fma_f64 v[212:213], -v[212:213], v[220:221], v[218:219]
	v_div_fmas_f64 v[212:213], v[212:213], v[214:215], v[220:221]
	v_div_fixup_f64 v[214:215], v[212:213], v[210:211], 1.0
	v_mul_f64 v[216:217], v[216:217], -v[214:215]
.LBB79_322:
	s_or_b32 exec_lo, exec_lo, s1
	ds_write2_b64 v1, v[214:215], v[216:217] offset1:1
.LBB79_323:
	s_or_b32 exec_lo, exec_lo, s2
	s_waitcnt lgkmcnt(0)
	s_barrier
	buffer_gl0_inv
	ds_read2_b64 v[210:213], v1 offset1:1
	s_mov_b32 s1, exec_lo
	v_cmpx_lt_u32_e32 35, v0
	s_cbranch_execz .LBB79_325
; %bb.324:
	s_waitcnt lgkmcnt(0)
	v_mul_f64 v[214:215], v[210:211], v[20:21]
	v_mul_f64 v[20:21], v[212:213], v[20:21]
	v_fma_f64 v[218:219], v[212:213], v[18:19], v[214:215]
	ds_read2_b64 v[214:217], v254 offset0:72 offset1:73
	v_fma_f64 v[18:19], v[210:211], v[18:19], -v[20:21]
	s_waitcnt lgkmcnt(0)
	v_mul_f64 v[20:21], v[216:217], v[218:219]
	v_fma_f64 v[20:21], v[214:215], v[18:19], -v[20:21]
	v_mul_f64 v[214:215], v[214:215], v[218:219]
	v_add_f64 v[14:15], v[14:15], -v[20:21]
	v_fma_f64 v[214:215], v[216:217], v[18:19], v[214:215]
	v_add_f64 v[16:17], v[16:17], -v[214:215]
	ds_read2_b64 v[214:217], v254 offset0:74 offset1:75
	s_waitcnt lgkmcnt(0)
	v_mul_f64 v[20:21], v[216:217], v[218:219]
	v_fma_f64 v[20:21], v[214:215], v[18:19], -v[20:21]
	v_mul_f64 v[214:215], v[214:215], v[218:219]
	v_add_f64 v[10:11], v[10:11], -v[20:21]
	v_fma_f64 v[214:215], v[216:217], v[18:19], v[214:215]
	v_add_f64 v[12:13], v[12:13], -v[214:215]
	ds_read2_b64 v[214:217], v254 offset0:76 offset1:77
	;; [unrolled: 8-line block ×3, first 2 shown]
	s_waitcnt lgkmcnt(0)
	v_mul_f64 v[20:21], v[216:217], v[218:219]
	v_fma_f64 v[20:21], v[214:215], v[18:19], -v[20:21]
	v_mul_f64 v[214:215], v[214:215], v[218:219]
	v_add_f64 v[2:3], v[2:3], -v[20:21]
	v_fma_f64 v[214:215], v[216:217], v[18:19], v[214:215]
	v_mov_b32_e32 v20, v218
	v_mov_b32_e32 v21, v219
	v_add_f64 v[4:5], v[4:5], -v[214:215]
.LBB79_325:
	s_or_b32 exec_lo, exec_lo, s1
	s_mov_b32 s2, exec_lo
	s_waitcnt lgkmcnt(0)
	s_barrier
	buffer_gl0_inv
	v_cmpx_eq_u32_e32 36, v0
	s_cbranch_execz .LBB79_332
; %bb.326:
	ds_write2_b64 v1, v[14:15], v[16:17] offset1:1
	ds_write2_b64 v254, v[10:11], v[12:13] offset0:74 offset1:75
	ds_write2_b64 v254, v[6:7], v[8:9] offset0:76 offset1:77
	ds_write2_b64 v254, v[2:3], v[4:5] offset0:78 offset1:79
	ds_read2_b64 v[214:217], v1 offset1:1
	s_waitcnt lgkmcnt(0)
	v_cmp_neq_f64_e32 vcc_lo, 0, v[214:215]
	v_cmp_neq_f64_e64 s1, 0, v[216:217]
	s_or_b32 s1, vcc_lo, s1
	s_and_b32 exec_lo, exec_lo, s1
	s_cbranch_execz .LBB79_332
; %bb.327:
	v_cmp_ngt_f64_e64 s1, |v[214:215]|, |v[216:217]|
                                        ; implicit-def: $vgpr218_vgpr219
	s_and_saveexec_b32 s3, s1
	s_xor_b32 s1, exec_lo, s3
                                        ; implicit-def: $vgpr220_vgpr221
	s_cbranch_execz .LBB79_329
; %bb.328:
	v_div_scale_f64 v[218:219], null, v[216:217], v[216:217], v[214:215]
	v_div_scale_f64 v[224:225], vcc_lo, v[214:215], v[216:217], v[214:215]
	v_rcp_f64_e32 v[220:221], v[218:219]
	v_fma_f64 v[222:223], -v[218:219], v[220:221], 1.0
	v_fma_f64 v[220:221], v[220:221], v[222:223], v[220:221]
	v_fma_f64 v[222:223], -v[218:219], v[220:221], 1.0
	v_fma_f64 v[220:221], v[220:221], v[222:223], v[220:221]
	v_mul_f64 v[222:223], v[224:225], v[220:221]
	v_fma_f64 v[218:219], -v[218:219], v[222:223], v[224:225]
	v_div_fmas_f64 v[218:219], v[218:219], v[220:221], v[222:223]
	v_div_fixup_f64 v[218:219], v[218:219], v[216:217], v[214:215]
	v_fma_f64 v[214:215], v[214:215], v[218:219], v[216:217]
	v_div_scale_f64 v[216:217], null, v[214:215], v[214:215], 1.0
	v_rcp_f64_e32 v[220:221], v[216:217]
	v_fma_f64 v[222:223], -v[216:217], v[220:221], 1.0
	v_fma_f64 v[220:221], v[220:221], v[222:223], v[220:221]
	v_fma_f64 v[222:223], -v[216:217], v[220:221], 1.0
	v_fma_f64 v[220:221], v[220:221], v[222:223], v[220:221]
	v_div_scale_f64 v[222:223], vcc_lo, 1.0, v[214:215], 1.0
	v_mul_f64 v[224:225], v[222:223], v[220:221]
	v_fma_f64 v[216:217], -v[216:217], v[224:225], v[222:223]
	v_div_fmas_f64 v[216:217], v[216:217], v[220:221], v[224:225]
	v_div_fixup_f64 v[220:221], v[216:217], v[214:215], 1.0
                                        ; implicit-def: $vgpr214_vgpr215
	v_mul_f64 v[218:219], v[218:219], v[220:221]
	v_xor_b32_e32 v221, 0x80000000, v221
.LBB79_329:
	s_andn2_saveexec_b32 s1, s1
	s_cbranch_execz .LBB79_331
; %bb.330:
	v_div_scale_f64 v[218:219], null, v[214:215], v[214:215], v[216:217]
	v_div_scale_f64 v[224:225], vcc_lo, v[216:217], v[214:215], v[216:217]
	v_rcp_f64_e32 v[220:221], v[218:219]
	v_fma_f64 v[222:223], -v[218:219], v[220:221], 1.0
	v_fma_f64 v[220:221], v[220:221], v[222:223], v[220:221]
	v_fma_f64 v[222:223], -v[218:219], v[220:221], 1.0
	v_fma_f64 v[220:221], v[220:221], v[222:223], v[220:221]
	v_mul_f64 v[222:223], v[224:225], v[220:221]
	v_fma_f64 v[218:219], -v[218:219], v[222:223], v[224:225]
	v_div_fmas_f64 v[218:219], v[218:219], v[220:221], v[222:223]
	v_div_fixup_f64 v[220:221], v[218:219], v[214:215], v[216:217]
	v_fma_f64 v[214:215], v[216:217], v[220:221], v[214:215]
	v_div_scale_f64 v[216:217], null, v[214:215], v[214:215], 1.0
	v_rcp_f64_e32 v[218:219], v[216:217]
	v_fma_f64 v[222:223], -v[216:217], v[218:219], 1.0
	v_fma_f64 v[218:219], v[218:219], v[222:223], v[218:219]
	v_fma_f64 v[222:223], -v[216:217], v[218:219], 1.0
	v_fma_f64 v[218:219], v[218:219], v[222:223], v[218:219]
	v_div_scale_f64 v[222:223], vcc_lo, 1.0, v[214:215], 1.0
	v_mul_f64 v[224:225], v[222:223], v[218:219]
	v_fma_f64 v[216:217], -v[216:217], v[224:225], v[222:223]
	v_div_fmas_f64 v[216:217], v[216:217], v[218:219], v[224:225]
	v_div_fixup_f64 v[218:219], v[216:217], v[214:215], 1.0
	v_mul_f64 v[220:221], v[220:221], -v[218:219]
.LBB79_331:
	s_or_b32 exec_lo, exec_lo, s1
	ds_write2_b64 v1, v[218:219], v[220:221] offset1:1
.LBB79_332:
	s_or_b32 exec_lo, exec_lo, s2
	s_waitcnt lgkmcnt(0)
	s_barrier
	buffer_gl0_inv
	ds_read2_b64 v[214:217], v1 offset1:1
	s_mov_b32 s1, exec_lo
	v_cmpx_lt_u32_e32 36, v0
	s_cbranch_execz .LBB79_334
; %bb.333:
	s_waitcnt lgkmcnt(0)
	v_mul_f64 v[218:219], v[214:215], v[16:17]
	v_mul_f64 v[16:17], v[216:217], v[16:17]
	v_fma_f64 v[222:223], v[216:217], v[14:15], v[218:219]
	ds_read2_b64 v[218:221], v254 offset0:74 offset1:75
	v_fma_f64 v[14:15], v[214:215], v[14:15], -v[16:17]
	s_waitcnt lgkmcnt(0)
	v_mul_f64 v[16:17], v[220:221], v[222:223]
	v_fma_f64 v[16:17], v[218:219], v[14:15], -v[16:17]
	v_mul_f64 v[218:219], v[218:219], v[222:223]
	v_add_f64 v[10:11], v[10:11], -v[16:17]
	v_fma_f64 v[218:219], v[220:221], v[14:15], v[218:219]
	v_add_f64 v[12:13], v[12:13], -v[218:219]
	ds_read2_b64 v[218:221], v254 offset0:76 offset1:77
	s_waitcnt lgkmcnt(0)
	v_mul_f64 v[16:17], v[220:221], v[222:223]
	v_fma_f64 v[16:17], v[218:219], v[14:15], -v[16:17]
	v_mul_f64 v[218:219], v[218:219], v[222:223]
	v_add_f64 v[6:7], v[6:7], -v[16:17]
	v_fma_f64 v[218:219], v[220:221], v[14:15], v[218:219]
	v_add_f64 v[8:9], v[8:9], -v[218:219]
	ds_read2_b64 v[218:221], v254 offset0:78 offset1:79
	s_waitcnt lgkmcnt(0)
	v_mul_f64 v[16:17], v[220:221], v[222:223]
	v_fma_f64 v[16:17], v[218:219], v[14:15], -v[16:17]
	v_mul_f64 v[218:219], v[218:219], v[222:223]
	v_add_f64 v[2:3], v[2:3], -v[16:17]
	v_fma_f64 v[218:219], v[220:221], v[14:15], v[218:219]
	v_mov_b32_e32 v16, v222
	v_mov_b32_e32 v17, v223
	v_add_f64 v[4:5], v[4:5], -v[218:219]
.LBB79_334:
	s_or_b32 exec_lo, exec_lo, s1
	s_mov_b32 s2, exec_lo
	s_waitcnt lgkmcnt(0)
	s_barrier
	buffer_gl0_inv
	v_cmpx_eq_u32_e32 37, v0
	s_cbranch_execz .LBB79_341
; %bb.335:
	ds_write2_b64 v1, v[10:11], v[12:13] offset1:1
	ds_write2_b64 v254, v[6:7], v[8:9] offset0:76 offset1:77
	ds_write2_b64 v254, v[2:3], v[4:5] offset0:78 offset1:79
	ds_read2_b64 v[218:221], v1 offset1:1
	s_waitcnt lgkmcnt(0)
	v_cmp_neq_f64_e32 vcc_lo, 0, v[218:219]
	v_cmp_neq_f64_e64 s1, 0, v[220:221]
	s_or_b32 s1, vcc_lo, s1
	s_and_b32 exec_lo, exec_lo, s1
	s_cbranch_execz .LBB79_341
; %bb.336:
	v_cmp_ngt_f64_e64 s1, |v[218:219]|, |v[220:221]|
                                        ; implicit-def: $vgpr222_vgpr223
	s_and_saveexec_b32 s3, s1
	s_xor_b32 s1, exec_lo, s3
                                        ; implicit-def: $vgpr224_vgpr225
	s_cbranch_execz .LBB79_338
; %bb.337:
	v_div_scale_f64 v[222:223], null, v[220:221], v[220:221], v[218:219]
	v_div_scale_f64 v[228:229], vcc_lo, v[218:219], v[220:221], v[218:219]
	v_rcp_f64_e32 v[224:225], v[222:223]
	v_fma_f64 v[226:227], -v[222:223], v[224:225], 1.0
	v_fma_f64 v[224:225], v[224:225], v[226:227], v[224:225]
	v_fma_f64 v[226:227], -v[222:223], v[224:225], 1.0
	v_fma_f64 v[224:225], v[224:225], v[226:227], v[224:225]
	v_mul_f64 v[226:227], v[228:229], v[224:225]
	v_fma_f64 v[222:223], -v[222:223], v[226:227], v[228:229]
	v_div_fmas_f64 v[222:223], v[222:223], v[224:225], v[226:227]
	v_div_fixup_f64 v[222:223], v[222:223], v[220:221], v[218:219]
	v_fma_f64 v[218:219], v[218:219], v[222:223], v[220:221]
	v_div_scale_f64 v[220:221], null, v[218:219], v[218:219], 1.0
	v_rcp_f64_e32 v[224:225], v[220:221]
	v_fma_f64 v[226:227], -v[220:221], v[224:225], 1.0
	v_fma_f64 v[224:225], v[224:225], v[226:227], v[224:225]
	v_fma_f64 v[226:227], -v[220:221], v[224:225], 1.0
	v_fma_f64 v[224:225], v[224:225], v[226:227], v[224:225]
	v_div_scale_f64 v[226:227], vcc_lo, 1.0, v[218:219], 1.0
	v_mul_f64 v[228:229], v[226:227], v[224:225]
	v_fma_f64 v[220:221], -v[220:221], v[228:229], v[226:227]
	v_div_fmas_f64 v[220:221], v[220:221], v[224:225], v[228:229]
	v_div_fixup_f64 v[224:225], v[220:221], v[218:219], 1.0
                                        ; implicit-def: $vgpr218_vgpr219
	v_mul_f64 v[222:223], v[222:223], v[224:225]
	v_xor_b32_e32 v225, 0x80000000, v225
.LBB79_338:
	s_andn2_saveexec_b32 s1, s1
	s_cbranch_execz .LBB79_340
; %bb.339:
	v_div_scale_f64 v[222:223], null, v[218:219], v[218:219], v[220:221]
	v_div_scale_f64 v[228:229], vcc_lo, v[220:221], v[218:219], v[220:221]
	v_rcp_f64_e32 v[224:225], v[222:223]
	v_fma_f64 v[226:227], -v[222:223], v[224:225], 1.0
	v_fma_f64 v[224:225], v[224:225], v[226:227], v[224:225]
	v_fma_f64 v[226:227], -v[222:223], v[224:225], 1.0
	v_fma_f64 v[224:225], v[224:225], v[226:227], v[224:225]
	v_mul_f64 v[226:227], v[228:229], v[224:225]
	v_fma_f64 v[222:223], -v[222:223], v[226:227], v[228:229]
	v_div_fmas_f64 v[222:223], v[222:223], v[224:225], v[226:227]
	v_div_fixup_f64 v[224:225], v[222:223], v[218:219], v[220:221]
	v_fma_f64 v[218:219], v[220:221], v[224:225], v[218:219]
	v_div_scale_f64 v[220:221], null, v[218:219], v[218:219], 1.0
	v_rcp_f64_e32 v[222:223], v[220:221]
	v_fma_f64 v[226:227], -v[220:221], v[222:223], 1.0
	v_fma_f64 v[222:223], v[222:223], v[226:227], v[222:223]
	v_fma_f64 v[226:227], -v[220:221], v[222:223], 1.0
	v_fma_f64 v[222:223], v[222:223], v[226:227], v[222:223]
	v_div_scale_f64 v[226:227], vcc_lo, 1.0, v[218:219], 1.0
	v_mul_f64 v[228:229], v[226:227], v[222:223]
	v_fma_f64 v[220:221], -v[220:221], v[228:229], v[226:227]
	v_div_fmas_f64 v[220:221], v[220:221], v[222:223], v[228:229]
	v_div_fixup_f64 v[222:223], v[220:221], v[218:219], 1.0
	v_mul_f64 v[224:225], v[224:225], -v[222:223]
.LBB79_340:
	s_or_b32 exec_lo, exec_lo, s1
	ds_write2_b64 v1, v[222:223], v[224:225] offset1:1
.LBB79_341:
	s_or_b32 exec_lo, exec_lo, s2
	s_waitcnt lgkmcnt(0)
	s_barrier
	buffer_gl0_inv
	ds_read2_b64 v[218:221], v1 offset1:1
	s_mov_b32 s1, exec_lo
	v_cmpx_lt_u32_e32 37, v0
	s_cbranch_execz .LBB79_343
; %bb.342:
	s_waitcnt lgkmcnt(0)
	v_mul_f64 v[222:223], v[218:219], v[12:13]
	v_mul_f64 v[12:13], v[220:221], v[12:13]
	v_fma_f64 v[226:227], v[220:221], v[10:11], v[222:223]
	ds_read2_b64 v[222:225], v254 offset0:76 offset1:77
	v_fma_f64 v[10:11], v[218:219], v[10:11], -v[12:13]
	s_waitcnt lgkmcnt(0)
	v_mul_f64 v[12:13], v[224:225], v[226:227]
	v_fma_f64 v[12:13], v[222:223], v[10:11], -v[12:13]
	v_mul_f64 v[222:223], v[222:223], v[226:227]
	v_add_f64 v[6:7], v[6:7], -v[12:13]
	v_fma_f64 v[222:223], v[224:225], v[10:11], v[222:223]
	v_add_f64 v[8:9], v[8:9], -v[222:223]
	ds_read2_b64 v[222:225], v254 offset0:78 offset1:79
	s_waitcnt lgkmcnt(0)
	v_mul_f64 v[12:13], v[224:225], v[226:227]
	v_fma_f64 v[12:13], v[222:223], v[10:11], -v[12:13]
	v_mul_f64 v[222:223], v[222:223], v[226:227]
	v_add_f64 v[2:3], v[2:3], -v[12:13]
	v_fma_f64 v[222:223], v[224:225], v[10:11], v[222:223]
	v_mov_b32_e32 v12, v226
	v_mov_b32_e32 v13, v227
	v_add_f64 v[4:5], v[4:5], -v[222:223]
.LBB79_343:
	s_or_b32 exec_lo, exec_lo, s1
	s_mov_b32 s2, exec_lo
	s_waitcnt lgkmcnt(0)
	s_barrier
	buffer_gl0_inv
	v_cmpx_eq_u32_e32 38, v0
	s_cbranch_execz .LBB79_350
; %bb.344:
	ds_write2_b64 v1, v[6:7], v[8:9] offset1:1
	ds_write2_b64 v254, v[2:3], v[4:5] offset0:78 offset1:79
	ds_read2_b64 v[222:225], v1 offset1:1
	s_waitcnt lgkmcnt(0)
	v_cmp_neq_f64_e32 vcc_lo, 0, v[222:223]
	v_cmp_neq_f64_e64 s1, 0, v[224:225]
	s_or_b32 s1, vcc_lo, s1
	s_and_b32 exec_lo, exec_lo, s1
	s_cbranch_execz .LBB79_350
; %bb.345:
	v_cmp_ngt_f64_e64 s1, |v[222:223]|, |v[224:225]|
                                        ; implicit-def: $vgpr226_vgpr227
	s_and_saveexec_b32 s3, s1
	s_xor_b32 s1, exec_lo, s3
                                        ; implicit-def: $vgpr228_vgpr229
	s_cbranch_execz .LBB79_347
; %bb.346:
	v_div_scale_f64 v[226:227], null, v[224:225], v[224:225], v[222:223]
	v_mov_b32_e32 v162, v232
	v_mov_b32_e32 v163, v233
	v_div_scale_f64 v[232:233], vcc_lo, v[222:223], v[224:225], v[222:223]
	v_rcp_f64_e32 v[228:229], v[226:227]
	v_fma_f64 v[230:231], -v[226:227], v[228:229], 1.0
	v_fma_f64 v[228:229], v[228:229], v[230:231], v[228:229]
	v_fma_f64 v[230:231], -v[226:227], v[228:229], 1.0
	v_fma_f64 v[228:229], v[228:229], v[230:231], v[228:229]
	v_mul_f64 v[230:231], v[232:233], v[228:229]
	v_fma_f64 v[226:227], -v[226:227], v[230:231], v[232:233]
	v_div_fmas_f64 v[226:227], v[226:227], v[228:229], v[230:231]
	v_div_fixup_f64 v[226:227], v[226:227], v[224:225], v[222:223]
	v_fma_f64 v[222:223], v[222:223], v[226:227], v[224:225]
	v_div_scale_f64 v[224:225], null, v[222:223], v[222:223], 1.0
	v_rcp_f64_e32 v[228:229], v[224:225]
	v_fma_f64 v[230:231], -v[224:225], v[228:229], 1.0
	v_fma_f64 v[228:229], v[228:229], v[230:231], v[228:229]
	v_fma_f64 v[230:231], -v[224:225], v[228:229], 1.0
	v_fma_f64 v[228:229], v[228:229], v[230:231], v[228:229]
	v_div_scale_f64 v[230:231], vcc_lo, 1.0, v[222:223], 1.0
	v_mul_f64 v[232:233], v[230:231], v[228:229]
	v_fma_f64 v[224:225], -v[224:225], v[232:233], v[230:231]
	v_div_fmas_f64 v[224:225], v[224:225], v[228:229], v[232:233]
	v_mov_b32_e32 v233, v163
	v_mov_b32_e32 v232, v162
	v_div_fixup_f64 v[228:229], v[224:225], v[222:223], 1.0
                                        ; implicit-def: $vgpr222_vgpr223
	v_mul_f64 v[226:227], v[226:227], v[228:229]
	v_xor_b32_e32 v229, 0x80000000, v229
.LBB79_347:
	s_andn2_saveexec_b32 s1, s1
	s_cbranch_execz .LBB79_349
; %bb.348:
	v_div_scale_f64 v[226:227], null, v[222:223], v[222:223], v[224:225]
	v_mov_b32_e32 v162, v232
	v_mov_b32_e32 v163, v233
	v_div_scale_f64 v[232:233], vcc_lo, v[224:225], v[222:223], v[224:225]
	v_rcp_f64_e32 v[228:229], v[226:227]
	v_fma_f64 v[230:231], -v[226:227], v[228:229], 1.0
	v_fma_f64 v[228:229], v[228:229], v[230:231], v[228:229]
	v_fma_f64 v[230:231], -v[226:227], v[228:229], 1.0
	v_fma_f64 v[228:229], v[228:229], v[230:231], v[228:229]
	v_mul_f64 v[230:231], v[232:233], v[228:229]
	v_fma_f64 v[226:227], -v[226:227], v[230:231], v[232:233]
	v_div_fmas_f64 v[226:227], v[226:227], v[228:229], v[230:231]
	v_div_fixup_f64 v[228:229], v[226:227], v[222:223], v[224:225]
	v_fma_f64 v[222:223], v[224:225], v[228:229], v[222:223]
	v_div_scale_f64 v[224:225], null, v[222:223], v[222:223], 1.0
	v_rcp_f64_e32 v[226:227], v[224:225]
	v_fma_f64 v[230:231], -v[224:225], v[226:227], 1.0
	v_fma_f64 v[226:227], v[226:227], v[230:231], v[226:227]
	v_fma_f64 v[230:231], -v[224:225], v[226:227], 1.0
	v_fma_f64 v[226:227], v[226:227], v[230:231], v[226:227]
	v_div_scale_f64 v[230:231], vcc_lo, 1.0, v[222:223], 1.0
	v_mul_f64 v[232:233], v[230:231], v[226:227]
	v_fma_f64 v[224:225], -v[224:225], v[232:233], v[230:231]
	v_div_fmas_f64 v[224:225], v[224:225], v[226:227], v[232:233]
	v_mov_b32_e32 v233, v163
	v_mov_b32_e32 v232, v162
	v_div_fixup_f64 v[226:227], v[224:225], v[222:223], 1.0
	v_mul_f64 v[228:229], v[228:229], -v[226:227]
.LBB79_349:
	s_or_b32 exec_lo, exec_lo, s1
	ds_write2_b64 v1, v[226:227], v[228:229] offset1:1
.LBB79_350:
	s_or_b32 exec_lo, exec_lo, s2
	s_waitcnt lgkmcnt(0)
	s_barrier
	buffer_gl0_inv
	ds_read2_b64 v[222:225], v1 offset1:1
	s_mov_b32 s1, exec_lo
	v_cmpx_lt_u32_e32 38, v0
	s_cbranch_execz .LBB79_352
; %bb.351:
	s_waitcnt lgkmcnt(0)
	v_mul_f64 v[226:227], v[222:223], v[8:9]
	v_mul_f64 v[8:9], v[224:225], v[8:9]
	v_fma_f64 v[230:231], v[224:225], v[6:7], v[226:227]
	ds_read2_b64 v[226:229], v254 offset0:78 offset1:79
	v_fma_f64 v[6:7], v[222:223], v[6:7], -v[8:9]
	s_waitcnt lgkmcnt(0)
	v_mul_f64 v[8:9], v[228:229], v[230:231]
	v_fma_f64 v[8:9], v[226:227], v[6:7], -v[8:9]
	v_mul_f64 v[226:227], v[226:227], v[230:231]
	v_add_f64 v[2:3], v[2:3], -v[8:9]
	v_fma_f64 v[226:227], v[228:229], v[6:7], v[226:227]
	v_mov_b32_e32 v8, v230
	v_mov_b32_e32 v9, v231
	v_add_f64 v[4:5], v[4:5], -v[226:227]
.LBB79_352:
	s_or_b32 exec_lo, exec_lo, s1
	s_mov_b32 s2, exec_lo
	s_waitcnt lgkmcnt(0)
	s_barrier
	buffer_gl0_inv
	v_cmpx_eq_u32_e32 39, v0
	s_cbranch_execz .LBB79_359
; %bb.353:
	v_cmp_neq_f64_e32 vcc_lo, 0, v[2:3]
	v_cmp_neq_f64_e64 s1, 0, v[4:5]
	ds_write2_b64 v1, v[2:3], v[4:5] offset1:1
	s_or_b32 s1, vcc_lo, s1
	s_and_b32 exec_lo, exec_lo, s1
	s_cbranch_execz .LBB79_359
; %bb.354:
	v_cmp_ngt_f64_e64 s1, |v[2:3]|, |v[4:5]|
                                        ; implicit-def: $vgpr226_vgpr227
	s_and_saveexec_b32 s3, s1
	s_xor_b32 s1, exec_lo, s3
                                        ; implicit-def: $vgpr228_vgpr229
	s_cbranch_execz .LBB79_356
; %bb.355:
	v_div_scale_f64 v[226:227], null, v[4:5], v[4:5], v[2:3]
	v_mov_b32_e32 v164, v232
	v_mov_b32_e32 v165, v233
	v_div_scale_f64 v[232:233], vcc_lo, v[2:3], v[4:5], v[2:3]
	v_mov_b32_e32 v162, v252
	v_mov_b32_e32 v163, v253
	;; [unrolled: 1-line block ×16, first 2 shown]
	v_rcp_f64_e32 v[228:229], v[226:227]
	v_mov_b32_e32 v239, v235
	v_mov_b32_e32 v238, v234
	v_fma_f64 v[230:231], -v[226:227], v[228:229], 1.0
	v_fma_f64 v[228:229], v[228:229], v[230:231], v[228:229]
	v_fma_f64 v[230:231], -v[226:227], v[228:229], 1.0
	v_fma_f64 v[228:229], v[228:229], v[230:231], v[228:229]
	v_mul_f64 v[230:231], v[232:233], v[228:229]
	v_fma_f64 v[226:227], -v[226:227], v[230:231], v[232:233]
	v_div_fmas_f64 v[226:227], v[226:227], v[228:229], v[230:231]
	v_div_fixup_f64 v[226:227], v[226:227], v[4:5], v[2:3]
	v_fma_f64 v[228:229], v[2:3], v[226:227], v[4:5]
	v_div_scale_f64 v[230:231], null, v[228:229], v[228:229], 1.0
	v_rcp_f64_e32 v[232:233], v[230:231]
	v_fma_f64 v[254:255], -v[230:231], v[232:233], 1.0
	v_fma_f64 v[232:233], v[232:233], v[254:255], v[232:233]
	v_fma_f64 v[254:255], -v[230:231], v[232:233], 1.0
	v_fma_f64 v[232:233], v[232:233], v[254:255], v[232:233]
	v_div_scale_f64 v[254:255], vcc_lo, 1.0, v[228:229], 1.0
	v_mul_f64 v[234:235], v[254:255], v[232:233]
	v_fma_f64 v[230:231], -v[230:231], v[234:235], v[254:255]
	v_div_fmas_f64 v[230:231], v[230:231], v[232:233], v[234:235]
	v_mov_b32_e32 v234, v238
	v_mov_b32_e32 v235, v239
	;; [unrolled: 1-line block ×20, first 2 shown]
	v_div_fixup_f64 v[228:229], v[230:231], v[228:229], 1.0
	v_mul_f64 v[226:227], v[226:227], v[228:229]
	v_xor_b32_e32 v229, 0x80000000, v229
.LBB79_356:
	s_andn2_saveexec_b32 s1, s1
	s_cbranch_execz .LBB79_358
; %bb.357:
	v_div_scale_f64 v[226:227], null, v[2:3], v[2:3], v[4:5]
	v_mov_b32_e32 v164, v232
	v_mov_b32_e32 v165, v233
	v_div_scale_f64 v[232:233], vcc_lo, v[4:5], v[2:3], v[4:5]
	v_mov_b32_e32 v162, v252
	v_mov_b32_e32 v163, v253
	v_mov_b32_e32 v253, v251
	v_mov_b32_e32 v252, v250
	v_mov_b32_e32 v251, v249
	v_mov_b32_e32 v250, v248
	v_mov_b32_e32 v249, v247
	v_mov_b32_e32 v248, v246
	v_mov_b32_e32 v247, v245
	v_mov_b32_e32 v246, v244
	v_mov_b32_e32 v245, v243
	v_mov_b32_e32 v244, v242
	v_mov_b32_e32 v243, v241
	v_mov_b32_e32 v242, v240
	v_mov_b32_e32 v241, v239
	v_mov_b32_e32 v240, v238
	v_rcp_f64_e32 v[228:229], v[226:227]
	v_mov_b32_e32 v239, v235
	v_mov_b32_e32 v238, v234
	;; [unrolled: 1-line block ×4, first 2 shown]
	v_fma_f64 v[230:231], -v[226:227], v[228:229], 1.0
	v_fma_f64 v[228:229], v[228:229], v[230:231], v[228:229]
	v_fma_f64 v[230:231], -v[226:227], v[228:229], 1.0
	v_fma_f64 v[228:229], v[228:229], v[230:231], v[228:229]
	v_mul_f64 v[230:231], v[232:233], v[228:229]
	v_fma_f64 v[226:227], -v[226:227], v[230:231], v[232:233]
	v_div_fmas_f64 v[226:227], v[226:227], v[228:229], v[230:231]
	v_div_fixup_f64 v[228:229], v[226:227], v[2:3], v[4:5]
	v_fma_f64 v[226:227], v[4:5], v[228:229], v[2:3]
	v_div_scale_f64 v[230:231], null, v[226:227], v[226:227], 1.0
	v_rcp_f64_e32 v[232:233], v[230:231]
	v_fma_f64 v[234:235], -v[230:231], v[232:233], 1.0
	v_fma_f64 v[232:233], v[232:233], v[234:235], v[232:233]
	v_fma_f64 v[234:235], -v[230:231], v[232:233], 1.0
	v_fma_f64 v[232:233], v[232:233], v[234:235], v[232:233]
	v_div_scale_f64 v[234:235], vcc_lo, 1.0, v[226:227], 1.0
	v_mul_f64 v[236:237], v[234:235], v[232:233]
	v_fma_f64 v[230:231], -v[230:231], v[236:237], v[234:235]
	v_mov_b32_e32 v234, v238
	v_mov_b32_e32 v235, v239
	;; [unrolled: 1-line block ×18, first 2 shown]
	v_div_fmas_f64 v[230:231], v[230:231], v[232:233], v[236:237]
	v_mov_b32_e32 v233, v165
	v_mov_b32_e32 v236, v254
	;; [unrolled: 1-line block ×4, first 2 shown]
	v_div_fixup_f64 v[226:227], v[230:231], v[226:227], 1.0
	v_mul_f64 v[228:229], v[228:229], -v[226:227]
.LBB79_358:
	s_or_b32 exec_lo, exec_lo, s1
	ds_write2_b64 v1, v[226:227], v[228:229] offset1:1
.LBB79_359:
	s_or_b32 exec_lo, exec_lo, s2
	s_waitcnt lgkmcnt(0)
	s_barrier
	buffer_gl0_inv
	ds_read2_b64 v[226:229], v1 offset1:1
	s_mov_b32 s1, exec_lo
	v_cmpx_lt_u32_e32 39, v0
	s_cbranch_execz .LBB79_361
; %bb.360:
	s_waitcnt lgkmcnt(0)
	v_mul_f64 v[0:1], v[228:229], v[4:5]
	v_mul_f64 v[4:5], v[226:227], v[4:5]
	v_fma_f64 v[0:1], v[226:227], v[2:3], -v[0:1]
	v_fma_f64 v[4:5], v[228:229], v[2:3], v[4:5]
	v_mov_b32_e32 v3, v1
	v_mov_b32_e32 v2, v0
.LBB79_361:
	s_or_b32 exec_lo, exec_lo, s1
	s_waitcnt lgkmcnt(0)
	s_barrier
	buffer_gl0_inv
	s_and_saveexec_b32 s7, s0
	s_cbranch_execz .LBB79_364
; %bb.362:
	s_clause 0x3
	buffer_load_dword v162, off, s[16:19], 0 offset:232
	buffer_load_dword v163, off, s[16:19], 0 offset:236
	;; [unrolled: 1-line block ×4, first 2 shown]
	s_waitcnt vmcnt(2)
	v_cmp_eq_f64_e32 vcc_lo, 0, v[162:163]
	s_waitcnt vmcnt(0)
	v_cmp_eq_f64_e64 s0, 0, v[164:165]
	s_clause 0x3
	buffer_load_dword v162, off, s[16:19], 0 offset:248
	buffer_load_dword v163, off, s[16:19], 0 offset:252
	;; [unrolled: 1-line block ×4, first 2 shown]
	s_and_b32 s0, vcc_lo, s0
	v_cndmask_b32_e64 v0, 0, 1, s0
	s_waitcnt vmcnt(2)
	v_cmp_neq_f64_e64 s1, 0, v[162:163]
	s_waitcnt vmcnt(0)
	v_cmp_neq_f64_e64 s2, 0, v[164:165]
	s_clause 0x3
	buffer_load_dword v162, off, s[16:19], 0 offset:264
	buffer_load_dword v163, off, s[16:19], 0 offset:268
	;; [unrolled: 1-line block ×4, first 2 shown]
	s_or_b32 s1, s1, s2
	s_or_b32 s0, s1, s0
	v_cndmask_b32_e64 v0, 2, v0, s0
	v_cmp_eq_u32_e64 s0, 0, v0
	s_waitcnt vmcnt(2)
	v_cmp_eq_f64_e64 s3, 0, v[162:163]
	s_waitcnt vmcnt(0)
	v_cmp_eq_f64_e64 s4, 0, v[164:165]
	s_clause 0x3
	buffer_load_dword v162, off, s[16:19], 0 offset:280
	buffer_load_dword v163, off, s[16:19], 0 offset:284
	;; [unrolled: 1-line block ×4, first 2 shown]
	s_and_b32 s3, s3, s4
	s_and_b32 s0, s3, s0
	v_cndmask_b32_e64 v0, v0, 3, s0
	v_cmp_eq_u32_e64 s0, 0, v0
	s_waitcnt vmcnt(2)
	v_cmp_eq_f64_e64 s5, 0, v[162:163]
	s_waitcnt vmcnt(0)
	v_cmp_eq_f64_e32 vcc_lo, 0, v[164:165]
	s_clause 0x3
	buffer_load_dword v162, off, s[16:19], 0 offset:296
	buffer_load_dword v163, off, s[16:19], 0 offset:300
	;; [unrolled: 1-line block ×4, first 2 shown]
	s_and_b32 s5, s5, vcc_lo
	s_and_b32 s0, s5, s0
	v_cndmask_b32_e64 v0, v0, 4, s0
	v_cmp_eq_u32_e32 vcc_lo, 0, v0
	s_waitcnt vmcnt(2)
	v_cmp_eq_f64_e64 s1, 0, v[162:163]
	s_waitcnt vmcnt(0)
	v_cmp_eq_f64_e64 s2, 0, v[164:165]
	s_clause 0x3
	buffer_load_dword v162, off, s[16:19], 0 offset:312
	buffer_load_dword v163, off, s[16:19], 0 offset:316
	buffer_load_dword v164, off, s[16:19], 0 offset:320
	buffer_load_dword v165, off, s[16:19], 0 offset:324
	s_and_b32 s1, s1, s2
	s_and_b32 s1, s1, vcc_lo
	v_cndmask_b32_e64 v0, v0, 5, s1
	v_cmp_eq_u32_e32 vcc_lo, 0, v0
	s_waitcnt vmcnt(2)
	v_cmp_eq_f64_e64 s3, 0, v[162:163]
	s_waitcnt vmcnt(0)
	v_cmp_eq_f64_e64 s4, 0, v[164:165]
	s_clause 0x3
	buffer_load_dword v162, off, s[16:19], 0 offset:328
	buffer_load_dword v163, off, s[16:19], 0 offset:332
	buffer_load_dword v164, off, s[16:19], 0 offset:336
	buffer_load_dword v165, off, s[16:19], 0 offset:340
	s_and_b32 s3, s3, s4
	s_and_b32 s3, s3, vcc_lo
	;; [unrolled: 13-line block ×5, first 2 shown]
	v_cndmask_b32_e64 v0, v0, 9, s0
	v_cmp_eq_u32_e64 s3, 0, v0
	s_waitcnt vmcnt(2)
	v_cmp_eq_f64_e64 s5, 0, v[162:163]
	s_waitcnt vmcnt(0)
	v_cmp_eq_f64_e64 s6, 0, v[164:165]
	s_clause 0x3
	buffer_load_dword v162, off, s[16:19], 0 offset:392
	buffer_load_dword v163, off, s[16:19], 0 offset:396
	;; [unrolled: 1-line block ×4, first 2 shown]
	s_and_b32 s4, s5, s6
	s_and_b32 s3, s4, s3
	v_cndmask_b32_e64 v230, v0, 10, s3
	s_waitcnt vmcnt(2)
	v_cmp_eq_f64_e64 s1, 0, v[162:163]
	s_waitcnt vmcnt(0)
	v_cmp_eq_f64_e64 s2, 0, v[164:165]
	s_clause 0x5
	buffer_load_dword v162, off, s[16:19], 0 offset:408
	buffer_load_dword v163, off, s[16:19], 0 offset:412
	;; [unrolled: 1-line block ×6, first 2 shown]
	s_and_b32 s5, s1, s2
	v_cmp_eq_u32_e64 s1, 0, v230
	s_and_b32 s1, s5, s1
	v_cndmask_b32_e64 v230, v230, 11, s1
	v_cmp_eq_u32_e64 s1, 0, v230
	s_waitcnt vmcnt(4)
	v_cmp_eq_f64_e32 vcc_lo, 0, v[162:163]
	s_waitcnt vmcnt(2)
	v_cmp_eq_f64_e64 s0, 0, v[164:165]
	s_clause 0x3
	buffer_load_dword v162, off, s[16:19], 0 offset:424
	buffer_load_dword v163, off, s[16:19], 0 offset:428
	;; [unrolled: 1-line block ×4, first 2 shown]
	s_waitcnt vmcnt(4)
	v_lshlrev_b64 v[0:1], 2, v[0:1]
	v_add_co_u32 v0, s2, s10, v0
	v_add_co_ci_u32_e64 v1, null, s11, v1, s2
	global_load_dword v231, v[0:1], off
	s_and_b32 s0, vcc_lo, s0
	s_and_b32 s0, s0, s1
	v_cndmask_b32_e64 v230, v230, 12, s0
	v_cmp_eq_u32_e32 vcc_lo, 0, v230
	s_waitcnt vmcnt(3)
	v_cmp_eq_f64_e64 s3, 0, v[162:163]
	s_waitcnt vmcnt(1)
	v_cmp_eq_f64_e64 s4, 0, v[164:165]
	s_clause 0x3
	buffer_load_dword v162, off, s[16:19], 0 offset:440
	buffer_load_dword v163, off, s[16:19], 0 offset:444
	buffer_load_dword v164, off, s[16:19], 0 offset:448
	buffer_load_dword v165, off, s[16:19], 0 offset:452
	s_and_b32 s3, s3, s4
	s_and_b32 s3, s3, vcc_lo
	v_cndmask_b32_e64 v230, v230, 13, s3
	v_cmp_eq_u32_e32 vcc_lo, 0, v230
	s_waitcnt vmcnt(2)
	v_cmp_eq_f64_e64 s2, 0, v[162:163]
	s_waitcnt vmcnt(0)
	v_cmp_eq_f64_e64 s5, 0, v[164:165]
	s_clause 0x3
	buffer_load_dword v162, off, s[16:19], 0 offset:456
	buffer_load_dword v163, off, s[16:19], 0 offset:460
	buffer_load_dword v164, off, s[16:19], 0 offset:464
	buffer_load_dword v165, off, s[16:19], 0 offset:468
	s_and_b32 s2, s2, s5
	s_and_b32 s2, s2, vcc_lo
	;; [unrolled: 13-line block ×9, first 2 shown]
	v_cndmask_b32_e64 v230, v230, 21, s0
	v_cmp_eq_u32_e32 vcc_lo, 0, v230
	s_waitcnt vmcnt(2)
	v_cmp_eq_f64_e64 s3, 0, v[162:163]
	s_waitcnt vmcnt(0)
	v_cmp_eq_f64_e64 s4, 0, v[164:165]
	s_clause 0x3
	buffer_load_dword v162, off, s[16:19], 0 offset:584
	buffer_load_dword v163, off, s[16:19], 0 offset:588
	;; [unrolled: 1-line block ×4, first 2 shown]
	s_and_b32 s3, s3, s4
	v_cmp_eq_f64_e64 s4, 0, v[168:169]
	s_and_b32 s3, s3, vcc_lo
	s_waitcnt vmcnt(2)
	v_cmp_eq_f64_e64 s2, 0, v[162:163]
	s_waitcnt vmcnt(0)
	v_cmp_eq_f64_e64 s5, 0, v[164:165]
	s_clause 0x3
	buffer_load_dword v162, off, s[16:19], 0 offset:600
	buffer_load_dword v163, off, s[16:19], 0 offset:604
	;; [unrolled: 1-line block ×4, first 2 shown]
	s_and_b32 s2, s2, s5
	v_cmp_eq_f64_e64 s5, 0, v[172:173]
	s_waitcnt vmcnt(2)
	v_cmp_eq_f64_e64 s0, 0, v[162:163]
	v_cndmask_b32_e64 v162, v230, 22, s3
	s_waitcnt vmcnt(0)
	v_cmp_eq_f64_e64 s1, 0, v[164:165]
	v_cmp_eq_f64_e64 s3, 0, v[166:167]
	v_cmp_eq_u32_e32 vcc_lo, 0, v162
	s_and_b32 s2, s2, vcc_lo
	v_cndmask_b32_e64 v162, v162, 23, s2
	v_cmp_eq_f64_e64 s2, 0, v[170:171]
	v_cmp_eq_u32_e32 vcc_lo, 0, v162
	s_and_b32 s0, s0, s1
	s_and_b32 s3, s3, s4
	s_and_b32 s0, s0, vcc_lo
	v_cmp_eq_f64_e64 s1, 0, v[176:177]
	v_cndmask_b32_e64 v162, v162, 24, s0
	v_cmp_eq_f64_e64 s0, 0, v[174:175]
	v_cmp_eq_f64_e64 s4, 0, v[180:181]
	v_cmp_eq_u32_e32 vcc_lo, 0, v162
	s_and_b32 s2, s2, s5
	v_cmp_eq_f64_e64 s5, 0, v[184:185]
	s_and_b32 s3, s3, vcc_lo
	v_cndmask_b32_e64 v162, v162, 25, s3
	v_cmp_eq_f64_e64 s3, 0, v[178:179]
	v_cmp_eq_u32_e32 vcc_lo, 0, v162
	s_and_b32 s2, s2, vcc_lo
	s_and_b32 s0, s0, s1
	v_cndmask_b32_e64 v162, v162, 26, s2
	v_cmp_eq_f64_e64 s2, 0, v[182:183]
	v_cmp_eq_f64_e64 s1, 0, v[188:189]
	v_cmp_eq_u32_e32 vcc_lo, 0, v162
	s_and_b32 s0, s0, vcc_lo
	s_and_b32 s3, s3, s4
	v_cndmask_b32_e64 v162, v162, 27, s0
	v_cmp_eq_f64_e64 s0, 0, v[186:187]
	;; [unrolled: 6-line block ×12, first 2 shown]
	v_cmp_eq_u32_e32 vcc_lo, 0, v162
	s_and_b32 s2, s2, vcc_lo
	s_and_b32 s0, s0, s1
	v_cndmask_b32_e64 v162, v162, 38, s2
	v_cmp_eq_u32_e32 vcc_lo, 0, v162
	s_and_b32 s0, s0, vcc_lo
	v_cndmask_b32_e64 v162, v162, 39, s0
	s_and_b32 s0, s3, s4
	v_cmp_eq_u32_e32 vcc_lo, 0, v162
	s_and_b32 s0, s0, vcc_lo
	v_cmp_eq_u32_e32 vcc_lo, 0, v231
	v_cndmask_b32_e64 v162, v162, 40, s0
	v_cmp_ne_u32_e64 s0, 0, v162
	s_and_b32 s0, vcc_lo, s0
	s_and_b32 exec_lo, exec_lo, s0
	s_cbranch_execz .LBB79_364
; %bb.363:
	v_add_nc_u32_e32 v162, s13, v162
	global_store_dword v[0:1], v162, off
.LBB79_364:
	s_or_b32 exec_lo, exec_lo, s7
	s_clause 0x1
	buffer_load_dword v0, off, s[16:19], 0 offset:224
	buffer_load_dword v1, off, s[16:19], 0 offset:228
	s_waitcnt vmcnt(0)
	global_store_dwordx4 v[0:1], v[158:161], off
	s_clause 0x1
	buffer_load_dword v0, off, s[16:19], 0 offset:216
	buffer_load_dword v1, off, s[16:19], 0 offset:220
	s_waitcnt vmcnt(0)
	global_store_dwordx4 v[0:1], v[154:157], off
	global_store_dwordx4 v[240:241], v[150:153], off
	;; [unrolled: 1-line block ×12, first 2 shown]
	s_clause 0x1
	buffer_load_dword v0, off, s[16:19], 0
	buffer_load_dword v1, off, s[16:19], 0 offset:4
	s_waitcnt vmcnt(0)
	global_store_dwordx4 v[0:1], v[106:109], off
	s_clause 0x1
	buffer_load_dword v0, off, s[16:19], 0 offset:8
	buffer_load_dword v1, off, s[16:19], 0 offset:12
	s_waitcnt vmcnt(0)
	global_store_dwordx4 v[0:1], v[102:105], off
	s_clause 0x1
	buffer_load_dword v0, off, s[16:19], 0 offset:16
	;; [unrolled: 5-line block ×26, first 2 shown]
	buffer_load_dword v1, off, s[16:19], 0 offset:212
	s_waitcnt vmcnt(0)
	global_store_dwordx4 v[0:1], v[2:5], off
.LBB79_365:
	s_endpgm
	.section	.rodata,"a",@progbits
	.p2align	6, 0x0
	.amdhsa_kernel _ZN9rocsolver6v33100L23getf2_npvt_small_kernelILi40E19rocblas_complex_numIdEiiPS3_EEvT1_T3_lS5_lPT2_S5_S5_
		.amdhsa_group_segment_fixed_size 0
		.amdhsa_private_segment_fixed_size 628
		.amdhsa_kernarg_size 312
		.amdhsa_user_sgpr_count 6
		.amdhsa_user_sgpr_private_segment_buffer 1
		.amdhsa_user_sgpr_dispatch_ptr 0
		.amdhsa_user_sgpr_queue_ptr 0
		.amdhsa_user_sgpr_kernarg_segment_ptr 1
		.amdhsa_user_sgpr_dispatch_id 0
		.amdhsa_user_sgpr_flat_scratch_init 0
		.amdhsa_user_sgpr_private_segment_size 0
		.amdhsa_wavefront_size32 1
		.amdhsa_uses_dynamic_stack 0
		.amdhsa_system_sgpr_private_segment_wavefront_offset 1
		.amdhsa_system_sgpr_workgroup_id_x 1
		.amdhsa_system_sgpr_workgroup_id_y 1
		.amdhsa_system_sgpr_workgroup_id_z 0
		.amdhsa_system_sgpr_workgroup_info 0
		.amdhsa_system_vgpr_workitem_id 1
		.amdhsa_next_free_vgpr 256
		.amdhsa_next_free_sgpr 20
		.amdhsa_reserve_vcc 1
		.amdhsa_reserve_flat_scratch 0
		.amdhsa_float_round_mode_32 0
		.amdhsa_float_round_mode_16_64 0
		.amdhsa_float_denorm_mode_32 3
		.amdhsa_float_denorm_mode_16_64 3
		.amdhsa_dx10_clamp 1
		.amdhsa_ieee_mode 1
		.amdhsa_fp16_overflow 0
		.amdhsa_workgroup_processor_mode 1
		.amdhsa_memory_ordered 1
		.amdhsa_forward_progress 1
		.amdhsa_shared_vgpr_count 0
		.amdhsa_exception_fp_ieee_invalid_op 0
		.amdhsa_exception_fp_denorm_src 0
		.amdhsa_exception_fp_ieee_div_zero 0
		.amdhsa_exception_fp_ieee_overflow 0
		.amdhsa_exception_fp_ieee_underflow 0
		.amdhsa_exception_fp_ieee_inexact 0
		.amdhsa_exception_int_div_zero 0
	.end_amdhsa_kernel
	.section	.text._ZN9rocsolver6v33100L23getf2_npvt_small_kernelILi40E19rocblas_complex_numIdEiiPS3_EEvT1_T3_lS5_lPT2_S5_S5_,"axG",@progbits,_ZN9rocsolver6v33100L23getf2_npvt_small_kernelILi40E19rocblas_complex_numIdEiiPS3_EEvT1_T3_lS5_lPT2_S5_S5_,comdat
.Lfunc_end79:
	.size	_ZN9rocsolver6v33100L23getf2_npvt_small_kernelILi40E19rocblas_complex_numIdEiiPS3_EEvT1_T3_lS5_lPT2_S5_S5_, .Lfunc_end79-_ZN9rocsolver6v33100L23getf2_npvt_small_kernelILi40E19rocblas_complex_numIdEiiPS3_EEvT1_T3_lS5_lPT2_S5_S5_
                                        ; -- End function
	.set _ZN9rocsolver6v33100L23getf2_npvt_small_kernelILi40E19rocblas_complex_numIdEiiPS3_EEvT1_T3_lS5_lPT2_S5_S5_.num_vgpr, 256
	.set _ZN9rocsolver6v33100L23getf2_npvt_small_kernelILi40E19rocblas_complex_numIdEiiPS3_EEvT1_T3_lS5_lPT2_S5_S5_.num_agpr, 0
	.set _ZN9rocsolver6v33100L23getf2_npvt_small_kernelILi40E19rocblas_complex_numIdEiiPS3_EEvT1_T3_lS5_lPT2_S5_S5_.numbered_sgpr, 20
	.set _ZN9rocsolver6v33100L23getf2_npvt_small_kernelILi40E19rocblas_complex_numIdEiiPS3_EEvT1_T3_lS5_lPT2_S5_S5_.num_named_barrier, 0
	.set _ZN9rocsolver6v33100L23getf2_npvt_small_kernelILi40E19rocblas_complex_numIdEiiPS3_EEvT1_T3_lS5_lPT2_S5_S5_.private_seg_size, 628
	.set _ZN9rocsolver6v33100L23getf2_npvt_small_kernelILi40E19rocblas_complex_numIdEiiPS3_EEvT1_T3_lS5_lPT2_S5_S5_.uses_vcc, 1
	.set _ZN9rocsolver6v33100L23getf2_npvt_small_kernelILi40E19rocblas_complex_numIdEiiPS3_EEvT1_T3_lS5_lPT2_S5_S5_.uses_flat_scratch, 0
	.set _ZN9rocsolver6v33100L23getf2_npvt_small_kernelILi40E19rocblas_complex_numIdEiiPS3_EEvT1_T3_lS5_lPT2_S5_S5_.has_dyn_sized_stack, 0
	.set _ZN9rocsolver6v33100L23getf2_npvt_small_kernelILi40E19rocblas_complex_numIdEiiPS3_EEvT1_T3_lS5_lPT2_S5_S5_.has_recursion, 0
	.set _ZN9rocsolver6v33100L23getf2_npvt_small_kernelILi40E19rocblas_complex_numIdEiiPS3_EEvT1_T3_lS5_lPT2_S5_S5_.has_indirect_call, 0
	.section	.AMDGPU.csdata,"",@progbits
; Kernel info:
; codeLenInByte = 84228
; TotalNumSgprs: 22
; NumVgprs: 256
; ScratchSize: 628
; MemoryBound: 1
; FloatMode: 240
; IeeeMode: 1
; LDSByteSize: 0 bytes/workgroup (compile time only)
; SGPRBlocks: 0
; VGPRBlocks: 31
; NumSGPRsForWavesPerEU: 22
; NumVGPRsForWavesPerEU: 256
; Occupancy: 4
; WaveLimiterHint : 0
; COMPUTE_PGM_RSRC2:SCRATCH_EN: 1
; COMPUTE_PGM_RSRC2:USER_SGPR: 6
; COMPUTE_PGM_RSRC2:TRAP_HANDLER: 0
; COMPUTE_PGM_RSRC2:TGID_X_EN: 1
; COMPUTE_PGM_RSRC2:TGID_Y_EN: 1
; COMPUTE_PGM_RSRC2:TGID_Z_EN: 0
; COMPUTE_PGM_RSRC2:TIDIG_COMP_CNT: 1
	.section	.text._ZN9rocsolver6v33100L18getf2_small_kernelILi41E19rocblas_complex_numIdEiiPS3_EEvT1_T3_lS5_lPS5_llPT2_S5_S5_S7_l,"axG",@progbits,_ZN9rocsolver6v33100L18getf2_small_kernelILi41E19rocblas_complex_numIdEiiPS3_EEvT1_T3_lS5_lPS5_llPT2_S5_S5_S7_l,comdat
	.globl	_ZN9rocsolver6v33100L18getf2_small_kernelILi41E19rocblas_complex_numIdEiiPS3_EEvT1_T3_lS5_lPS5_llPT2_S5_S5_S7_l ; -- Begin function _ZN9rocsolver6v33100L18getf2_small_kernelILi41E19rocblas_complex_numIdEiiPS3_EEvT1_T3_lS5_lPS5_llPT2_S5_S5_S7_l
	.p2align	8
	.type	_ZN9rocsolver6v33100L18getf2_small_kernelILi41E19rocblas_complex_numIdEiiPS3_EEvT1_T3_lS5_lPS5_llPT2_S5_S5_S7_l,@function
_ZN9rocsolver6v33100L18getf2_small_kernelILi41E19rocblas_complex_numIdEiiPS3_EEvT1_T3_lS5_lPS5_llPT2_S5_S5_S7_l: ; @_ZN9rocsolver6v33100L18getf2_small_kernelILi41E19rocblas_complex_numIdEiiPS3_EEvT1_T3_lS5_lPS5_llPT2_S5_S5_S7_l
; %bb.0:
	s_clause 0x1
	s_load_dword s0, s[4:5], 0x6c
	s_load_dwordx2 s[16:17], s[4:5], 0x48
	s_waitcnt lgkmcnt(0)
	s_lshr_b32 s0, s0, 16
	v_mad_u64_u32 v[170:171], null, s7, s0, v[1:2]
	s_mov_b32 s0, exec_lo
	v_cmpx_gt_i32_e64 s16, v170
	s_cbranch_execz .LBB80_864
; %bb.1:
	s_load_dwordx4 s[0:3], s[4:5], 0x50
	v_mov_b32_e32 v172, 0
	v_ashrrev_i32_e32 v171, 31, v170
	v_mov_b32_e32 v173, 0
	s_waitcnt lgkmcnt(0)
	s_cmp_eq_u64 s[0:1], 0
	s_cselect_b32 s16, -1, 0
	s_and_b32 vcc_lo, exec_lo, s16
	s_cbranch_vccnz .LBB80_3
; %bb.2:
	v_mul_lo_u32 v4, s3, v170
	v_mul_lo_u32 v5, s2, v171
	v_mad_u64_u32 v[2:3], null, s2, v170, 0
	v_add3_u32 v3, v3, v5, v4
	v_lshlrev_b64 v[2:3], 2, v[2:3]
	v_add_co_u32 v172, vcc_lo, s0, v2
	v_add_co_ci_u32_e64 v173, null, s1, v3, vcc_lo
.LBB80_3:
	s_clause 0x2
	s_load_dwordx8 s[8:15], s[4:5], 0x20
	s_load_dword s6, s[4:5], 0x18
	s_load_dwordx4 s[0:3], s[4:5], 0x8
	v_lshlrev_b32_e32 v176, 4, v0
	s_clause 0x1
	s_load_dword s18, s[4:5], 0x0
	s_load_dwordx2 s[4:5], s[4:5], 0x40
	s_waitcnt lgkmcnt(0)
	v_mul_lo_u32 v5, s9, v170
	v_mul_lo_u32 v7, s8, v171
	v_mad_u64_u32 v[2:3], null, s8, v170, 0
	v_add3_u32 v4, s6, s6, v0
	s_lshl_b64 s[2:3], s[2:3], 4
	s_ashr_i32 s7, s6, 31
	s_lshl_b64 s[8:9], s[6:7], 4
	v_add_nc_u32_e32 v6, s6, v4
	v_add3_u32 v3, v3, v7, v5
	v_ashrrev_i32_e32 v5, 31, v4
	v_add_nc_u32_e32 v8, s6, v6
	v_lshlrev_b64 v[2:3], 4, v[2:3]
	v_ashrrev_i32_e32 v7, 31, v6
	v_lshlrev_b64 v[4:5], 4, v[4:5]
	v_ashrrev_i32_e32 v9, 31, v8
	v_add_nc_u32_e32 v10, s6, v8
	v_add_co_u32 v12, vcc_lo, s0, v2
	v_add_co_ci_u32_e64 v13, null, s1, v3, vcc_lo
	v_lshlrev_b64 v[2:3], 4, v[8:9]
	v_add_nc_u32_e32 v8, s6, v10
	v_add_co_u32 v177, vcc_lo, v12, s2
	v_ashrrev_i32_e32 v11, 31, v10
	v_lshlrev_b64 v[6:7], 4, v[6:7]
	v_add_nc_u32_e32 v12, s6, v8
	v_add_co_ci_u32_e64 v178, null, s3, v13, vcc_lo
	v_ashrrev_i32_e32 v9, 31, v8
	v_lshlrev_b64 v[10:11], 4, v[10:11]
	v_add_nc_u32_e32 v14, s6, v12
	v_ashrrev_i32_e32 v13, 31, v12
	v_add_co_u32 v4, vcc_lo, v177, v4
	v_add_co_ci_u32_e64 v5, null, v178, v5, vcc_lo
	v_add_nc_u32_e32 v16, s6, v14
	v_ashrrev_i32_e32 v15, 31, v14
	v_add_co_u32 v6, vcc_lo, v177, v6
	v_lshlrev_b64 v[8:9], 4, v[8:9]
	v_add_nc_u32_e32 v18, s6, v16
	v_ashrrev_i32_e32 v17, 31, v16
	v_add_co_ci_u32_e64 v7, null, v178, v7, vcc_lo
	v_add_co_u32 v2, vcc_lo, v177, v2
	v_add_nc_u32_e32 v20, s6, v18
	v_lshlrev_b64 v[12:13], 4, v[12:13]
	v_ashrrev_i32_e32 v19, 31, v18
	v_add_co_ci_u32_e64 v3, null, v178, v3, vcc_lo
	v_add_nc_u32_e32 v22, s6, v20
	v_add_co_u32 v10, vcc_lo, v177, v10
	v_lshlrev_b64 v[14:15], 4, v[14:15]
	v_ashrrev_i32_e32 v21, 31, v20
	v_add_nc_u32_e32 v24, s6, v22
	v_add_co_ci_u32_e64 v11, null, v178, v11, vcc_lo
	v_add_co_u32 v8, vcc_lo, v177, v8
	v_add_nc_u32_e32 v26, s6, v24
	v_lshlrev_b64 v[16:17], 4, v[16:17]
	v_ashrrev_i32_e32 v23, 31, v22
	v_add_co_ci_u32_e64 v9, null, v178, v9, vcc_lo
	v_add_nc_u32_e32 v28, s6, v26
	v_add_co_u32 v12, vcc_lo, v177, v12
	v_lshlrev_b64 v[18:19], 4, v[18:19]
	v_ashrrev_i32_e32 v25, 31, v24
	v_add_nc_u32_e32 v30, s6, v28
	;; [unrolled: 11-line block ×5, first 2 shown]
	v_add_co_ci_u32_e64 v25, null, v178, v25, vcc_lo
	v_add_co_u32 v26, vcc_lo, v177, v26
	v_lshlrev_b64 v[32:33], 4, v[32:33]
	v_add_nc_u32_e32 v50, s6, v48
	v_ashrrev_i32_e32 v39, 31, v38
	v_add_co_ci_u32_e64 v27, null, v178, v27, vcc_lo
	v_add_co_u32 v28, vcc_lo, v177, v28
	v_lshlrev_b64 v[34:35], 4, v[34:35]
	v_ashrrev_i32_e32 v41, 31, v40
	v_add_co_ci_u32_e64 v29, null, v178, v29, vcc_lo
	v_add_co_u32 v30, vcc_lo, v177, v30
	v_lshlrev_b64 v[36:37], 4, v[36:37]
	v_ashrrev_i32_e32 v43, 31, v42
	v_add_nc_u32_e32 v52, s6, v50
	v_add_co_ci_u32_e64 v31, null, v178, v31, vcc_lo
	v_add_co_u32 v32, vcc_lo, v177, v32
	v_lshlrev_b64 v[38:39], 4, v[38:39]
	v_ashrrev_i32_e32 v45, 31, v44
	v_add_co_ci_u32_e64 v33, null, v178, v33, vcc_lo
	v_add_co_u32 v34, vcc_lo, v177, v34
	v_lshlrev_b64 v[40:41], 4, v[40:41]
	v_ashrrev_i32_e32 v47, 31, v46
	v_add_co_ci_u32_e64 v35, null, v178, v35, vcc_lo
	v_add_co_u32 v36, vcc_lo, v177, v36
	v_lshlrev_b64 v[42:43], 4, v[42:43]
	v_add_nc_u32_e32 v54, s6, v52
	v_ashrrev_i32_e32 v49, 31, v48
	v_add_co_ci_u32_e64 v37, null, v178, v37, vcc_lo
	v_add_co_u32 v38, vcc_lo, v177, v38
	v_lshlrev_b64 v[44:45], 4, v[44:45]
	v_ashrrev_i32_e32 v51, 31, v50
	v_add_co_ci_u32_e64 v39, null, v178, v39, vcc_lo
	v_add_co_u32 v40, vcc_lo, v177, v40
	v_lshlrev_b64 v[46:47], 4, v[46:47]
	v_ashrrev_i32_e32 v53, 31, v52
	v_add_nc_u32_e32 v56, s6, v54
	v_add_co_ci_u32_e64 v41, null, v178, v41, vcc_lo
	v_add_co_u32 v42, vcc_lo, v177, v42
	v_lshlrev_b64 v[48:49], 4, v[48:49]
	v_ashrrev_i32_e32 v55, 31, v54
	v_add_co_ci_u32_e64 v43, null, v178, v43, vcc_lo
	v_add_co_u32 v44, vcc_lo, v177, v44
	v_lshlrev_b64 v[50:51], 4, v[50:51]
	v_add_co_ci_u32_e64 v45, null, v178, v45, vcc_lo
	v_add_co_u32 v46, vcc_lo, v177, v46
	v_lshlrev_b64 v[52:53], 4, v[52:53]
	v_add_nc_u32_e32 v58, s6, v56
	v_add_co_ci_u32_e64 v47, null, v178, v47, vcc_lo
	v_add_co_u32 v48, vcc_lo, v177, v48
	v_lshlrev_b64 v[54:55], 4, v[54:55]
	v_ashrrev_i32_e32 v57, 31, v56
	v_add_co_ci_u32_e64 v49, null, v178, v49, vcc_lo
	v_add_co_u32 v50, vcc_lo, v177, v50
	v_ashrrev_i32_e32 v59, 31, v58
	v_add_nc_u32_e32 v60, s6, v58
	v_add_co_ci_u32_e64 v51, null, v178, v51, vcc_lo
	v_add_co_u32 v52, vcc_lo, v177, v52
	v_lshlrev_b64 v[56:57], 4, v[56:57]
	v_add_co_ci_u32_e64 v53, null, v178, v53, vcc_lo
	v_add_co_u32 v166, vcc_lo, v177, v54
	v_add_co_ci_u32_e64 v167, null, v178, v55, vcc_lo
	v_lshlrev_b64 v[54:55], 4, v[58:59]
	v_ashrrev_i32_e32 v61, 31, v60
	v_add_nc_u32_e32 v58, s6, v60
	v_add_co_u32 v168, vcc_lo, v177, v56
	v_add_co_ci_u32_e64 v169, null, v178, v57, vcc_lo
	v_lshlrev_b64 v[56:57], 4, v[60:61]
	v_ashrrev_i32_e32 v59, 31, v58
	v_add_nc_u32_e32 v60, s6, v58
	;; [unrolled: 5-line block ×7, first 2 shown]
	v_add_co_u32 v187, vcc_lo, v177, v56
	v_add_co_ci_u32_e64 v188, null, v178, v57, vcc_lo
	v_lshlrev_b64 v[56:57], 4, v[60:61]
	v_add_nc_u32_e32 v60, s6, v58
	v_ashrrev_i32_e32 v59, 31, v58
	v_add_co_u32 v189, vcc_lo, v177, v54
	v_add_co_ci_u32_e64 v190, null, v178, v55, vcc_lo
	v_ashrrev_i32_e32 v61, 31, v60
	v_lshlrev_b64 v[54:55], 4, v[58:59]
	v_add_co_u32 v191, vcc_lo, v177, v56
	v_add_co_ci_u32_e64 v192, null, v178, v57, vcc_lo
	v_lshlrev_b64 v[56:57], 4, v[60:61]
	v_add_nc_u32_e32 v58, s6, v60
	v_add_co_u32 v193, vcc_lo, v177, v54
	v_add_co_ci_u32_e64 v194, null, v178, v55, vcc_lo
	v_ashrrev_i32_e32 v59, 31, v58
	v_add_co_u32 v195, vcc_lo, v177, v56
	v_add_co_ci_u32_e64 v196, null, v178, v57, vcc_lo
	v_add_co_u32 v56, vcc_lo, v177, v176
	v_add_co_ci_u32_e64 v57, null, 0, v178, vcc_lo
	v_lshlrev_b64 v[54:55], 4, v[58:59]
	v_add_co_u32 v58, vcc_lo, v56, s8
	v_add_co_ci_u32_e64 v59, null, s9, v57, vcc_lo
	s_max_i32 s0, s18, 41
	v_add_co_u32 v197, vcc_lo, v177, v54
	v_add_co_ci_u32_e64 v198, null, v178, v55, vcc_lo
	s_clause 0x28
	global_load_dwordx4 v[162:165], v[56:57], off
	global_load_dwordx4 v[150:153], v[58:59], off
	;; [unrolled: 1-line block ×41, first 2 shown]
	v_mul_lo_u32 v174, s0, v1
	s_cmp_lt_i32 s18, 2
	v_lshl_add_u32 v1, v174, 4, 0
	v_add_nc_u32_e32 v166, v1, v176
	v_lshlrev_b32_e32 v176, 4, v174
	v_mov_b32_e32 v174, 0
	s_waitcnt vmcnt(40)
	ds_write2_b64 v166, v[162:163], v[164:165] offset1:1
	s_waitcnt vmcnt(0) lgkmcnt(0)
	s_barrier
	buffer_gl0_inv
	ds_read2_b64 v[166:169], v1 offset1:1
	s_cbranch_scc1 .LBB80_6
; %bb.4:
	v_add3_u32 v175, v176, 0, 16
	v_mov_b32_e32 v174, 0
	s_mov_b32 s1, 1
	s_inst_prefetch 0x1
	.p2align	6
.LBB80_5:                               ; =>This Inner Loop Header: Depth=1
	s_waitcnt lgkmcnt(0)
	v_cmp_gt_f64_e32 vcc_lo, 0, v[168:169]
	v_cmp_gt_f64_e64 s0, 0, v[166:167]
	ds_read2_b64 v[179:182], v175 offset1:1
	v_xor_b32_e32 v184, 0x80000000, v167
	v_xor_b32_e32 v186, 0x80000000, v169
	v_mov_b32_e32 v183, v166
	v_mov_b32_e32 v185, v168
	v_add_nc_u32_e32 v175, 16, v175
	s_waitcnt lgkmcnt(0)
	v_xor_b32_e32 v188, 0x80000000, v182
	v_cndmask_b32_e64 v184, v167, v184, s0
	v_cndmask_b32_e32 v186, v169, v186, vcc_lo
	v_cmp_gt_f64_e32 vcc_lo, 0, v[181:182]
	v_cmp_gt_f64_e64 s0, 0, v[179:180]
	v_mov_b32_e32 v187, v181
	v_add_f64 v[183:184], v[183:184], v[185:186]
	v_xor_b32_e32 v186, 0x80000000, v180
	v_mov_b32_e32 v185, v179
	v_cndmask_b32_e32 v188, v182, v188, vcc_lo
	v_cndmask_b32_e64 v186, v180, v186, s0
	v_add_f64 v[185:186], v[185:186], v[187:188]
	v_cmp_lt_f64_e32 vcc_lo, v[183:184], v[185:186]
	v_cndmask_b32_e32 v167, v167, v180, vcc_lo
	v_cndmask_b32_e32 v166, v166, v179, vcc_lo
	;; [unrolled: 1-line block ×4, first 2 shown]
	v_cndmask_b32_e64 v174, v174, s1, vcc_lo
	s_add_i32 s1, s1, 1
	s_cmp_eq_u32 s18, s1
	s_cbranch_scc0 .LBB80_5
.LBB80_6:
	s_inst_prefetch 0x2
	s_waitcnt lgkmcnt(0)
	v_cmp_neq_f64_e32 vcc_lo, 0, v[166:167]
	v_cmp_neq_f64_e64 s0, 0, v[168:169]
	v_mov_b32_e32 v179, 1
	v_mov_b32_e32 v181, 1
	s_or_b32 s1, vcc_lo, s0
	s_and_saveexec_b32 s0, s1
	s_cbranch_execz .LBB80_12
; %bb.7:
	v_cmp_ngt_f64_e64 s1, |v[166:167]|, |v[168:169]|
	s_and_saveexec_b32 s2, s1
	s_xor_b32 s1, exec_lo, s2
	s_cbranch_execz .LBB80_9
; %bb.8:
	v_div_scale_f64 v[179:180], null, v[168:169], v[168:169], v[166:167]
	v_div_scale_f64 v[185:186], vcc_lo, v[166:167], v[168:169], v[166:167]
	v_rcp_f64_e32 v[181:182], v[179:180]
	v_fma_f64 v[183:184], -v[179:180], v[181:182], 1.0
	v_fma_f64 v[181:182], v[181:182], v[183:184], v[181:182]
	v_fma_f64 v[183:184], -v[179:180], v[181:182], 1.0
	v_fma_f64 v[181:182], v[181:182], v[183:184], v[181:182]
	v_mul_f64 v[183:184], v[185:186], v[181:182]
	v_fma_f64 v[179:180], -v[179:180], v[183:184], v[185:186]
	v_div_fmas_f64 v[179:180], v[179:180], v[181:182], v[183:184]
	v_div_fixup_f64 v[179:180], v[179:180], v[168:169], v[166:167]
	v_fma_f64 v[166:167], v[166:167], v[179:180], v[168:169]
	v_div_scale_f64 v[168:169], null, v[166:167], v[166:167], 1.0
	v_rcp_f64_e32 v[181:182], v[168:169]
	v_fma_f64 v[183:184], -v[168:169], v[181:182], 1.0
	v_fma_f64 v[181:182], v[181:182], v[183:184], v[181:182]
	v_fma_f64 v[183:184], -v[168:169], v[181:182], 1.0
	v_fma_f64 v[181:182], v[181:182], v[183:184], v[181:182]
	v_div_scale_f64 v[183:184], vcc_lo, 1.0, v[166:167], 1.0
	v_mul_f64 v[185:186], v[183:184], v[181:182]
	v_fma_f64 v[168:169], -v[168:169], v[185:186], v[183:184]
	v_div_fmas_f64 v[168:169], v[168:169], v[181:182], v[185:186]
	v_div_fixup_f64 v[168:169], v[168:169], v[166:167], 1.0
	v_mul_f64 v[166:167], v[179:180], v[168:169]
	v_xor_b32_e32 v169, 0x80000000, v169
.LBB80_9:
	s_andn2_saveexec_b32 s1, s1
	s_cbranch_execz .LBB80_11
; %bb.10:
	v_div_scale_f64 v[179:180], null, v[166:167], v[166:167], v[168:169]
	v_div_scale_f64 v[185:186], vcc_lo, v[168:169], v[166:167], v[168:169]
	v_rcp_f64_e32 v[181:182], v[179:180]
	v_fma_f64 v[183:184], -v[179:180], v[181:182], 1.0
	v_fma_f64 v[181:182], v[181:182], v[183:184], v[181:182]
	v_fma_f64 v[183:184], -v[179:180], v[181:182], 1.0
	v_fma_f64 v[181:182], v[181:182], v[183:184], v[181:182]
	v_mul_f64 v[183:184], v[185:186], v[181:182]
	v_fma_f64 v[179:180], -v[179:180], v[183:184], v[185:186]
	v_div_fmas_f64 v[179:180], v[179:180], v[181:182], v[183:184]
	v_div_fixup_f64 v[179:180], v[179:180], v[166:167], v[168:169]
	v_fma_f64 v[166:167], v[168:169], v[179:180], v[166:167]
	v_div_scale_f64 v[168:169], null, v[166:167], v[166:167], 1.0
	v_rcp_f64_e32 v[181:182], v[168:169]
	v_fma_f64 v[183:184], -v[168:169], v[181:182], 1.0
	v_fma_f64 v[181:182], v[181:182], v[183:184], v[181:182]
	v_fma_f64 v[183:184], -v[168:169], v[181:182], 1.0
	v_fma_f64 v[181:182], v[181:182], v[183:184], v[181:182]
	v_div_scale_f64 v[183:184], vcc_lo, 1.0, v[166:167], 1.0
	v_mul_f64 v[185:186], v[183:184], v[181:182]
	v_fma_f64 v[168:169], -v[168:169], v[185:186], v[183:184]
	v_div_fmas_f64 v[168:169], v[168:169], v[181:182], v[185:186]
	v_div_fixup_f64 v[166:167], v[168:169], v[166:167], 1.0
	v_mul_f64 v[168:169], v[179:180], -v[166:167]
.LBB80_11:
	s_or_b32 exec_lo, exec_lo, s1
	v_mov_b32_e32 v181, 0
	v_mov_b32_e32 v179, 2
.LBB80_12:
	s_or_b32 exec_lo, exec_lo, s0
	s_mov_b32 s0, exec_lo
	v_cmpx_ne_u32_e64 v0, v174
	s_xor_b32 s0, exec_lo, s0
	s_cbranch_execz .LBB80_18
; %bb.13:
	s_mov_b32 s1, exec_lo
	v_cmpx_eq_u32_e32 0, v0
	s_cbranch_execz .LBB80_17
; %bb.14:
	v_cmp_ne_u32_e32 vcc_lo, 0, v174
	s_xor_b32 s2, s16, -1
	s_and_b32 s3, s2, vcc_lo
	s_and_saveexec_b32 s2, s3
	s_cbranch_execz .LBB80_16
; %bb.15:
	v_ashrrev_i32_e32 v175, 31, v174
	v_lshlrev_b64 v[182:183], 2, v[174:175]
	v_add_co_u32 v182, vcc_lo, v172, v182
	v_add_co_ci_u32_e64 v183, null, v173, v183, vcc_lo
	s_clause 0x1
	global_load_dword v0, v[182:183], off
	global_load_dword v175, v[172:173], off
	s_waitcnt vmcnt(1)
	global_store_dword v[172:173], v0, off
	s_waitcnt vmcnt(0)
	global_store_dword v[182:183], v175, off
.LBB80_16:
	s_or_b32 exec_lo, exec_lo, s2
	v_mov_b32_e32 v0, v174
.LBB80_17:
	s_or_b32 exec_lo, exec_lo, s1
.LBB80_18:
	s_or_saveexec_b32 s0, s0
	v_mov_b32_e32 v180, v0
	s_xor_b32 exec_lo, exec_lo, s0
	s_cbranch_execz .LBB80_20
; %bb.19:
	v_mov_b32_e32 v180, 0
	ds_write2_b64 v1, v[150:151], v[152:153] offset0:2 offset1:3
	ds_write2_b64 v1, v[158:159], v[160:161] offset0:4 offset1:5
	;; [unrolled: 1-line block ×40, first 2 shown]
.LBB80_20:
	s_or_b32 exec_lo, exec_lo, s0
	s_mov_b32 s0, exec_lo
	s_waitcnt lgkmcnt(0)
	s_waitcnt_vscnt null, 0x0
	s_barrier
	buffer_gl0_inv
	v_cmpx_lt_i32_e32 0, v180
	s_cbranch_execz .LBB80_22
; %bb.21:
	v_mul_f64 v[174:175], v[168:169], v[164:165]
	v_mul_f64 v[164:165], v[166:167], v[164:165]
	v_fma_f64 v[174:175], v[166:167], v[162:163], -v[174:175]
	v_fma_f64 v[164:165], v[168:169], v[162:163], v[164:165]
	ds_read2_b64 v[166:169], v1 offset0:2 offset1:3
	s_waitcnt lgkmcnt(0)
	v_mul_f64 v[162:163], v[168:169], v[164:165]
	v_fma_f64 v[162:163], v[166:167], v[174:175], -v[162:163]
	v_mul_f64 v[166:167], v[166:167], v[164:165]
	v_add_f64 v[150:151], v[150:151], -v[162:163]
	v_fma_f64 v[166:167], v[168:169], v[174:175], v[166:167]
	v_add_f64 v[152:153], v[152:153], -v[166:167]
	ds_read2_b64 v[166:169], v1 offset0:4 offset1:5
	s_waitcnt lgkmcnt(0)
	v_mul_f64 v[162:163], v[168:169], v[164:165]
	v_fma_f64 v[162:163], v[166:167], v[174:175], -v[162:163]
	v_mul_f64 v[166:167], v[166:167], v[164:165]
	v_add_f64 v[158:159], v[158:159], -v[162:163]
	v_fma_f64 v[166:167], v[168:169], v[174:175], v[166:167]
	v_add_f64 v[160:161], v[160:161], -v[166:167]
	;; [unrolled: 8-line block ×39, first 2 shown]
	ds_read2_b64 v[166:169], v1 offset0:80 offset1:81
	s_waitcnt lgkmcnt(0)
	v_mul_f64 v[162:163], v[168:169], v[164:165]
	v_fma_f64 v[162:163], v[166:167], v[174:175], -v[162:163]
	v_mul_f64 v[166:167], v[166:167], v[164:165]
	v_add_f64 v[2:3], v[2:3], -v[162:163]
	v_fma_f64 v[166:167], v[168:169], v[174:175], v[166:167]
	v_mov_b32_e32 v162, v174
	v_mov_b32_e32 v163, v175
	v_add_f64 v[4:5], v[4:5], -v[166:167]
.LBB80_22:
	s_or_b32 exec_lo, exec_lo, s0
	v_lshl_add_u32 v166, v180, 4, v1
	s_barrier
	buffer_gl0_inv
	v_mov_b32_e32 v174, 1
	ds_write2_b64 v166, v[150:151], v[152:153] offset1:1
	s_waitcnt lgkmcnt(0)
	s_barrier
	buffer_gl0_inv
	ds_read2_b64 v[166:169], v1 offset0:2 offset1:3
	s_cmp_lt_i32 s18, 3
	s_cbranch_scc1 .LBB80_25
; %bb.23:
	v_add3_u32 v175, v176, 0, 32
	v_mov_b32_e32 v174, 1
	s_mov_b32 s3, 2
	s_inst_prefetch 0x1
	.p2align	6
.LBB80_24:                              ; =>This Inner Loop Header: Depth=1
	ds_read2_b64 v[182:185], v175 offset1:1
	s_waitcnt lgkmcnt(1)
	v_cmp_gt_f64_e32 vcc_lo, 0, v[166:167]
	v_cmp_gt_f64_e64 s0, 0, v[168:169]
	v_xor_b32_e32 v187, 0x80000000, v167
	v_xor_b32_e32 v189, 0x80000000, v169
	v_mov_b32_e32 v186, v166
	v_mov_b32_e32 v188, v168
	v_add_nc_u32_e32 v175, 16, v175
	s_waitcnt lgkmcnt(0)
	v_cmp_gt_f64_e64 s1, 0, v[182:183]
	v_cmp_gt_f64_e64 s2, 0, v[184:185]
	v_xor_b32_e32 v191, 0x80000000, v183
	v_xor_b32_e32 v193, 0x80000000, v185
	v_mov_b32_e32 v190, v182
	v_mov_b32_e32 v192, v184
	v_cndmask_b32_e32 v187, v167, v187, vcc_lo
	v_cndmask_b32_e64 v189, v169, v189, s0
	v_add_f64 v[186:187], v[186:187], v[188:189]
	v_cndmask_b32_e64 v191, v183, v191, s1
	v_cndmask_b32_e64 v193, v185, v193, s2
	v_add_f64 v[188:189], v[190:191], v[192:193]
	v_cmp_lt_f64_e32 vcc_lo, v[186:187], v[188:189]
	v_cndmask_b32_e32 v167, v167, v183, vcc_lo
	v_cndmask_b32_e32 v166, v166, v182, vcc_lo
	;; [unrolled: 1-line block ×4, first 2 shown]
	v_cndmask_b32_e64 v174, v174, s3, vcc_lo
	s_add_i32 s3, s3, 1
	s_cmp_lg_u32 s18, s3
	s_cbranch_scc1 .LBB80_24
.LBB80_25:
	s_inst_prefetch 0x2
	s_waitcnt lgkmcnt(0)
	v_cmp_neq_f64_e32 vcc_lo, 0, v[166:167]
	v_cmp_neq_f64_e64 s0, 0, v[168:169]
	s_or_b32 s1, vcc_lo, s0
	s_and_saveexec_b32 s0, s1
	s_cbranch_execz .LBB80_31
; %bb.26:
	v_cmp_ngt_f64_e64 s1, |v[166:167]|, |v[168:169]|
	s_and_saveexec_b32 s2, s1
	s_xor_b32 s1, exec_lo, s2
	s_cbranch_execz .LBB80_28
; %bb.27:
	v_div_scale_f64 v[182:183], null, v[168:169], v[168:169], v[166:167]
	v_div_scale_f64 v[188:189], vcc_lo, v[166:167], v[168:169], v[166:167]
	v_rcp_f64_e32 v[184:185], v[182:183]
	v_fma_f64 v[186:187], -v[182:183], v[184:185], 1.0
	v_fma_f64 v[184:185], v[184:185], v[186:187], v[184:185]
	v_fma_f64 v[186:187], -v[182:183], v[184:185], 1.0
	v_fma_f64 v[184:185], v[184:185], v[186:187], v[184:185]
	v_mul_f64 v[186:187], v[188:189], v[184:185]
	v_fma_f64 v[182:183], -v[182:183], v[186:187], v[188:189]
	v_div_fmas_f64 v[182:183], v[182:183], v[184:185], v[186:187]
	v_div_fixup_f64 v[182:183], v[182:183], v[168:169], v[166:167]
	v_fma_f64 v[166:167], v[166:167], v[182:183], v[168:169]
	v_div_scale_f64 v[168:169], null, v[166:167], v[166:167], 1.0
	v_rcp_f64_e32 v[184:185], v[168:169]
	v_fma_f64 v[186:187], -v[168:169], v[184:185], 1.0
	v_fma_f64 v[184:185], v[184:185], v[186:187], v[184:185]
	v_fma_f64 v[186:187], -v[168:169], v[184:185], 1.0
	v_fma_f64 v[184:185], v[184:185], v[186:187], v[184:185]
	v_div_scale_f64 v[186:187], vcc_lo, 1.0, v[166:167], 1.0
	v_mul_f64 v[188:189], v[186:187], v[184:185]
	v_fma_f64 v[168:169], -v[168:169], v[188:189], v[186:187]
	v_div_fmas_f64 v[168:169], v[168:169], v[184:185], v[188:189]
	v_div_fixup_f64 v[168:169], v[168:169], v[166:167], 1.0
	v_mul_f64 v[166:167], v[182:183], v[168:169]
	v_xor_b32_e32 v169, 0x80000000, v169
.LBB80_28:
	s_andn2_saveexec_b32 s1, s1
	s_cbranch_execz .LBB80_30
; %bb.29:
	v_div_scale_f64 v[182:183], null, v[166:167], v[166:167], v[168:169]
	v_div_scale_f64 v[188:189], vcc_lo, v[168:169], v[166:167], v[168:169]
	v_rcp_f64_e32 v[184:185], v[182:183]
	v_fma_f64 v[186:187], -v[182:183], v[184:185], 1.0
	v_fma_f64 v[184:185], v[184:185], v[186:187], v[184:185]
	v_fma_f64 v[186:187], -v[182:183], v[184:185], 1.0
	v_fma_f64 v[184:185], v[184:185], v[186:187], v[184:185]
	v_mul_f64 v[186:187], v[188:189], v[184:185]
	v_fma_f64 v[182:183], -v[182:183], v[186:187], v[188:189]
	v_div_fmas_f64 v[182:183], v[182:183], v[184:185], v[186:187]
	v_div_fixup_f64 v[182:183], v[182:183], v[166:167], v[168:169]
	v_fma_f64 v[166:167], v[168:169], v[182:183], v[166:167]
	v_div_scale_f64 v[168:169], null, v[166:167], v[166:167], 1.0
	v_rcp_f64_e32 v[184:185], v[168:169]
	v_fma_f64 v[186:187], -v[168:169], v[184:185], 1.0
	v_fma_f64 v[184:185], v[184:185], v[186:187], v[184:185]
	v_fma_f64 v[186:187], -v[168:169], v[184:185], 1.0
	v_fma_f64 v[184:185], v[184:185], v[186:187], v[184:185]
	v_div_scale_f64 v[186:187], vcc_lo, 1.0, v[166:167], 1.0
	v_mul_f64 v[188:189], v[186:187], v[184:185]
	v_fma_f64 v[168:169], -v[168:169], v[188:189], v[186:187]
	v_div_fmas_f64 v[168:169], v[168:169], v[184:185], v[188:189]
	v_div_fixup_f64 v[166:167], v[168:169], v[166:167], 1.0
	v_mul_f64 v[168:169], v[182:183], -v[166:167]
.LBB80_30:
	s_or_b32 exec_lo, exec_lo, s1
	v_mov_b32_e32 v179, v181
.LBB80_31:
	s_or_b32 exec_lo, exec_lo, s0
	s_mov_b32 s0, exec_lo
	v_cmpx_ne_u32_e64 v180, v174
	s_xor_b32 s0, exec_lo, s0
	s_cbranch_execz .LBB80_37
; %bb.32:
	s_mov_b32 s1, exec_lo
	v_cmpx_eq_u32_e32 1, v180
	s_cbranch_execz .LBB80_36
; %bb.33:
	v_cmp_ne_u32_e32 vcc_lo, 1, v174
	s_xor_b32 s2, s16, -1
	s_and_b32 s3, s2, vcc_lo
	s_and_saveexec_b32 s2, s3
	s_cbranch_execz .LBB80_35
; %bb.34:
	v_ashrrev_i32_e32 v175, 31, v174
	v_lshlrev_b64 v[180:181], 2, v[174:175]
	v_add_co_u32 v180, vcc_lo, v172, v180
	v_add_co_ci_u32_e64 v181, null, v173, v181, vcc_lo
	s_clause 0x1
	global_load_dword v0, v[180:181], off
	global_load_dword v175, v[172:173], off offset:4
	s_waitcnt vmcnt(1)
	global_store_dword v[172:173], v0, off offset:4
	s_waitcnt vmcnt(0)
	global_store_dword v[180:181], v175, off
.LBB80_35:
	s_or_b32 exec_lo, exec_lo, s2
	v_mov_b32_e32 v180, v174
	v_mov_b32_e32 v0, v174
.LBB80_36:
	s_or_b32 exec_lo, exec_lo, s1
.LBB80_37:
	s_andn2_saveexec_b32 s0, s0
	s_cbranch_execz .LBB80_39
; %bb.38:
	v_mov_b32_e32 v180, 1
	ds_write2_b64 v1, v[158:159], v[160:161] offset0:4 offset1:5
	ds_write2_b64 v1, v[154:155], v[156:157] offset0:6 offset1:7
	;; [unrolled: 1-line block ×39, first 2 shown]
.LBB80_39:
	s_or_b32 exec_lo, exec_lo, s0
	s_mov_b32 s0, exec_lo
	s_waitcnt lgkmcnt(0)
	s_waitcnt_vscnt null, 0x0
	s_barrier
	buffer_gl0_inv
	v_cmpx_lt_i32_e32 1, v180
	s_cbranch_execz .LBB80_41
; %bb.40:
	v_mul_f64 v[174:175], v[168:169], v[152:153]
	v_mul_f64 v[152:153], v[166:167], v[152:153]
	v_fma_f64 v[174:175], v[166:167], v[150:151], -v[174:175]
	v_fma_f64 v[152:153], v[168:169], v[150:151], v[152:153]
	ds_read2_b64 v[166:169], v1 offset0:4 offset1:5
	s_waitcnt lgkmcnt(0)
	v_mul_f64 v[150:151], v[168:169], v[152:153]
	v_fma_f64 v[150:151], v[166:167], v[174:175], -v[150:151]
	v_mul_f64 v[166:167], v[166:167], v[152:153]
	v_add_f64 v[158:159], v[158:159], -v[150:151]
	v_fma_f64 v[166:167], v[168:169], v[174:175], v[166:167]
	v_add_f64 v[160:161], v[160:161], -v[166:167]
	ds_read2_b64 v[166:169], v1 offset0:6 offset1:7
	s_waitcnt lgkmcnt(0)
	v_mul_f64 v[150:151], v[168:169], v[152:153]
	v_fma_f64 v[150:151], v[166:167], v[174:175], -v[150:151]
	v_mul_f64 v[166:167], v[166:167], v[152:153]
	v_add_f64 v[154:155], v[154:155], -v[150:151]
	v_fma_f64 v[166:167], v[168:169], v[174:175], v[166:167]
	v_add_f64 v[156:157], v[156:157], -v[166:167]
	ds_read2_b64 v[166:169], v1 offset0:8 offset1:9
	s_waitcnt lgkmcnt(0)
	v_mul_f64 v[150:151], v[168:169], v[152:153]
	v_fma_f64 v[150:151], v[166:167], v[174:175], -v[150:151]
	v_mul_f64 v[166:167], v[166:167], v[152:153]
	v_add_f64 v[146:147], v[146:147], -v[150:151]
	v_fma_f64 v[166:167], v[168:169], v[174:175], v[166:167]
	v_add_f64 v[148:149], v[148:149], -v[166:167]
	ds_read2_b64 v[166:169], v1 offset0:10 offset1:11
	s_waitcnt lgkmcnt(0)
	v_mul_f64 v[150:151], v[168:169], v[152:153]
	v_fma_f64 v[150:151], v[166:167], v[174:175], -v[150:151]
	v_mul_f64 v[166:167], v[166:167], v[152:153]
	v_add_f64 v[142:143], v[142:143], -v[150:151]
	v_fma_f64 v[166:167], v[168:169], v[174:175], v[166:167]
	v_add_f64 v[144:145], v[144:145], -v[166:167]
	ds_read2_b64 v[166:169], v1 offset0:12 offset1:13
	s_waitcnt lgkmcnt(0)
	v_mul_f64 v[150:151], v[168:169], v[152:153]
	v_fma_f64 v[150:151], v[166:167], v[174:175], -v[150:151]
	v_mul_f64 v[166:167], v[166:167], v[152:153]
	v_add_f64 v[138:139], v[138:139], -v[150:151]
	v_fma_f64 v[166:167], v[168:169], v[174:175], v[166:167]
	v_add_f64 v[140:141], v[140:141], -v[166:167]
	ds_read2_b64 v[166:169], v1 offset0:14 offset1:15
	s_waitcnt lgkmcnt(0)
	v_mul_f64 v[150:151], v[168:169], v[152:153]
	v_fma_f64 v[150:151], v[166:167], v[174:175], -v[150:151]
	v_mul_f64 v[166:167], v[166:167], v[152:153]
	v_add_f64 v[134:135], v[134:135], -v[150:151]
	v_fma_f64 v[166:167], v[168:169], v[174:175], v[166:167]
	v_add_f64 v[136:137], v[136:137], -v[166:167]
	ds_read2_b64 v[166:169], v1 offset0:16 offset1:17
	s_waitcnt lgkmcnt(0)
	v_mul_f64 v[150:151], v[168:169], v[152:153]
	v_fma_f64 v[150:151], v[166:167], v[174:175], -v[150:151]
	v_mul_f64 v[166:167], v[166:167], v[152:153]
	v_add_f64 v[130:131], v[130:131], -v[150:151]
	v_fma_f64 v[166:167], v[168:169], v[174:175], v[166:167]
	v_add_f64 v[132:133], v[132:133], -v[166:167]
	ds_read2_b64 v[166:169], v1 offset0:18 offset1:19
	s_waitcnt lgkmcnt(0)
	v_mul_f64 v[150:151], v[168:169], v[152:153]
	v_fma_f64 v[150:151], v[166:167], v[174:175], -v[150:151]
	v_mul_f64 v[166:167], v[166:167], v[152:153]
	v_add_f64 v[126:127], v[126:127], -v[150:151]
	v_fma_f64 v[166:167], v[168:169], v[174:175], v[166:167]
	v_add_f64 v[128:129], v[128:129], -v[166:167]
	ds_read2_b64 v[166:169], v1 offset0:20 offset1:21
	s_waitcnt lgkmcnt(0)
	v_mul_f64 v[150:151], v[168:169], v[152:153]
	v_fma_f64 v[150:151], v[166:167], v[174:175], -v[150:151]
	v_mul_f64 v[166:167], v[166:167], v[152:153]
	v_add_f64 v[122:123], v[122:123], -v[150:151]
	v_fma_f64 v[166:167], v[168:169], v[174:175], v[166:167]
	v_add_f64 v[124:125], v[124:125], -v[166:167]
	ds_read2_b64 v[166:169], v1 offset0:22 offset1:23
	s_waitcnt lgkmcnt(0)
	v_mul_f64 v[150:151], v[168:169], v[152:153]
	v_fma_f64 v[150:151], v[166:167], v[174:175], -v[150:151]
	v_mul_f64 v[166:167], v[166:167], v[152:153]
	v_add_f64 v[118:119], v[118:119], -v[150:151]
	v_fma_f64 v[166:167], v[168:169], v[174:175], v[166:167]
	v_add_f64 v[120:121], v[120:121], -v[166:167]
	ds_read2_b64 v[166:169], v1 offset0:24 offset1:25
	s_waitcnt lgkmcnt(0)
	v_mul_f64 v[150:151], v[168:169], v[152:153]
	v_fma_f64 v[150:151], v[166:167], v[174:175], -v[150:151]
	v_mul_f64 v[166:167], v[166:167], v[152:153]
	v_add_f64 v[114:115], v[114:115], -v[150:151]
	v_fma_f64 v[166:167], v[168:169], v[174:175], v[166:167]
	v_add_f64 v[116:117], v[116:117], -v[166:167]
	ds_read2_b64 v[166:169], v1 offset0:26 offset1:27
	s_waitcnt lgkmcnt(0)
	v_mul_f64 v[150:151], v[168:169], v[152:153]
	v_fma_f64 v[150:151], v[166:167], v[174:175], -v[150:151]
	v_mul_f64 v[166:167], v[166:167], v[152:153]
	v_add_f64 v[110:111], v[110:111], -v[150:151]
	v_fma_f64 v[166:167], v[168:169], v[174:175], v[166:167]
	v_add_f64 v[112:113], v[112:113], -v[166:167]
	ds_read2_b64 v[166:169], v1 offset0:28 offset1:29
	s_waitcnt lgkmcnt(0)
	v_mul_f64 v[150:151], v[168:169], v[152:153]
	v_fma_f64 v[150:151], v[166:167], v[174:175], -v[150:151]
	v_mul_f64 v[166:167], v[166:167], v[152:153]
	v_add_f64 v[106:107], v[106:107], -v[150:151]
	v_fma_f64 v[166:167], v[168:169], v[174:175], v[166:167]
	v_add_f64 v[108:109], v[108:109], -v[166:167]
	ds_read2_b64 v[166:169], v1 offset0:30 offset1:31
	s_waitcnt lgkmcnt(0)
	v_mul_f64 v[150:151], v[168:169], v[152:153]
	v_fma_f64 v[150:151], v[166:167], v[174:175], -v[150:151]
	v_mul_f64 v[166:167], v[166:167], v[152:153]
	v_add_f64 v[102:103], v[102:103], -v[150:151]
	v_fma_f64 v[166:167], v[168:169], v[174:175], v[166:167]
	v_add_f64 v[104:105], v[104:105], -v[166:167]
	ds_read2_b64 v[166:169], v1 offset0:32 offset1:33
	s_waitcnt lgkmcnt(0)
	v_mul_f64 v[150:151], v[168:169], v[152:153]
	v_fma_f64 v[150:151], v[166:167], v[174:175], -v[150:151]
	v_mul_f64 v[166:167], v[166:167], v[152:153]
	v_add_f64 v[98:99], v[98:99], -v[150:151]
	v_fma_f64 v[166:167], v[168:169], v[174:175], v[166:167]
	v_add_f64 v[100:101], v[100:101], -v[166:167]
	ds_read2_b64 v[166:169], v1 offset0:34 offset1:35
	s_waitcnt lgkmcnt(0)
	v_mul_f64 v[150:151], v[168:169], v[152:153]
	v_fma_f64 v[150:151], v[166:167], v[174:175], -v[150:151]
	v_mul_f64 v[166:167], v[166:167], v[152:153]
	v_add_f64 v[94:95], v[94:95], -v[150:151]
	v_fma_f64 v[166:167], v[168:169], v[174:175], v[166:167]
	v_add_f64 v[96:97], v[96:97], -v[166:167]
	ds_read2_b64 v[166:169], v1 offset0:36 offset1:37
	s_waitcnt lgkmcnt(0)
	v_mul_f64 v[150:151], v[168:169], v[152:153]
	v_fma_f64 v[150:151], v[166:167], v[174:175], -v[150:151]
	v_mul_f64 v[166:167], v[166:167], v[152:153]
	v_add_f64 v[90:91], v[90:91], -v[150:151]
	v_fma_f64 v[166:167], v[168:169], v[174:175], v[166:167]
	v_add_f64 v[92:93], v[92:93], -v[166:167]
	ds_read2_b64 v[166:169], v1 offset0:38 offset1:39
	s_waitcnt lgkmcnt(0)
	v_mul_f64 v[150:151], v[168:169], v[152:153]
	v_fma_f64 v[150:151], v[166:167], v[174:175], -v[150:151]
	v_mul_f64 v[166:167], v[166:167], v[152:153]
	v_add_f64 v[86:87], v[86:87], -v[150:151]
	v_fma_f64 v[166:167], v[168:169], v[174:175], v[166:167]
	v_add_f64 v[88:89], v[88:89], -v[166:167]
	ds_read2_b64 v[166:169], v1 offset0:40 offset1:41
	s_waitcnt lgkmcnt(0)
	v_mul_f64 v[150:151], v[168:169], v[152:153]
	v_fma_f64 v[150:151], v[166:167], v[174:175], -v[150:151]
	v_mul_f64 v[166:167], v[166:167], v[152:153]
	v_add_f64 v[82:83], v[82:83], -v[150:151]
	v_fma_f64 v[166:167], v[168:169], v[174:175], v[166:167]
	v_add_f64 v[84:85], v[84:85], -v[166:167]
	ds_read2_b64 v[166:169], v1 offset0:42 offset1:43
	s_waitcnt lgkmcnt(0)
	v_mul_f64 v[150:151], v[168:169], v[152:153]
	v_fma_f64 v[150:151], v[166:167], v[174:175], -v[150:151]
	v_mul_f64 v[166:167], v[166:167], v[152:153]
	v_add_f64 v[78:79], v[78:79], -v[150:151]
	v_fma_f64 v[166:167], v[168:169], v[174:175], v[166:167]
	v_add_f64 v[80:81], v[80:81], -v[166:167]
	ds_read2_b64 v[166:169], v1 offset0:44 offset1:45
	s_waitcnt lgkmcnt(0)
	v_mul_f64 v[150:151], v[168:169], v[152:153]
	v_fma_f64 v[150:151], v[166:167], v[174:175], -v[150:151]
	v_mul_f64 v[166:167], v[166:167], v[152:153]
	v_add_f64 v[74:75], v[74:75], -v[150:151]
	v_fma_f64 v[166:167], v[168:169], v[174:175], v[166:167]
	v_add_f64 v[76:77], v[76:77], -v[166:167]
	ds_read2_b64 v[166:169], v1 offset0:46 offset1:47
	s_waitcnt lgkmcnt(0)
	v_mul_f64 v[150:151], v[168:169], v[152:153]
	v_fma_f64 v[150:151], v[166:167], v[174:175], -v[150:151]
	v_mul_f64 v[166:167], v[166:167], v[152:153]
	v_add_f64 v[70:71], v[70:71], -v[150:151]
	v_fma_f64 v[166:167], v[168:169], v[174:175], v[166:167]
	v_add_f64 v[72:73], v[72:73], -v[166:167]
	ds_read2_b64 v[166:169], v1 offset0:48 offset1:49
	s_waitcnt lgkmcnt(0)
	v_mul_f64 v[150:151], v[168:169], v[152:153]
	v_fma_f64 v[150:151], v[166:167], v[174:175], -v[150:151]
	v_mul_f64 v[166:167], v[166:167], v[152:153]
	v_add_f64 v[66:67], v[66:67], -v[150:151]
	v_fma_f64 v[166:167], v[168:169], v[174:175], v[166:167]
	v_add_f64 v[68:69], v[68:69], -v[166:167]
	ds_read2_b64 v[166:169], v1 offset0:50 offset1:51
	s_waitcnt lgkmcnt(0)
	v_mul_f64 v[150:151], v[168:169], v[152:153]
	v_fma_f64 v[150:151], v[166:167], v[174:175], -v[150:151]
	v_mul_f64 v[166:167], v[166:167], v[152:153]
	v_add_f64 v[62:63], v[62:63], -v[150:151]
	v_fma_f64 v[166:167], v[168:169], v[174:175], v[166:167]
	v_add_f64 v[64:65], v[64:65], -v[166:167]
	ds_read2_b64 v[166:169], v1 offset0:52 offset1:53
	s_waitcnt lgkmcnt(0)
	v_mul_f64 v[150:151], v[168:169], v[152:153]
	v_fma_f64 v[150:151], v[166:167], v[174:175], -v[150:151]
	v_mul_f64 v[166:167], v[166:167], v[152:153]
	v_add_f64 v[58:59], v[58:59], -v[150:151]
	v_fma_f64 v[166:167], v[168:169], v[174:175], v[166:167]
	v_add_f64 v[60:61], v[60:61], -v[166:167]
	ds_read2_b64 v[166:169], v1 offset0:54 offset1:55
	s_waitcnt lgkmcnt(0)
	v_mul_f64 v[150:151], v[168:169], v[152:153]
	v_fma_f64 v[150:151], v[166:167], v[174:175], -v[150:151]
	v_mul_f64 v[166:167], v[166:167], v[152:153]
	v_add_f64 v[54:55], v[54:55], -v[150:151]
	v_fma_f64 v[166:167], v[168:169], v[174:175], v[166:167]
	v_add_f64 v[56:57], v[56:57], -v[166:167]
	ds_read2_b64 v[166:169], v1 offset0:56 offset1:57
	s_waitcnt lgkmcnt(0)
	v_mul_f64 v[150:151], v[168:169], v[152:153]
	v_fma_f64 v[150:151], v[166:167], v[174:175], -v[150:151]
	v_mul_f64 v[166:167], v[166:167], v[152:153]
	v_add_f64 v[50:51], v[50:51], -v[150:151]
	v_fma_f64 v[166:167], v[168:169], v[174:175], v[166:167]
	v_add_f64 v[52:53], v[52:53], -v[166:167]
	ds_read2_b64 v[166:169], v1 offset0:58 offset1:59
	s_waitcnt lgkmcnt(0)
	v_mul_f64 v[150:151], v[168:169], v[152:153]
	v_fma_f64 v[150:151], v[166:167], v[174:175], -v[150:151]
	v_mul_f64 v[166:167], v[166:167], v[152:153]
	v_add_f64 v[46:47], v[46:47], -v[150:151]
	v_fma_f64 v[166:167], v[168:169], v[174:175], v[166:167]
	v_add_f64 v[48:49], v[48:49], -v[166:167]
	ds_read2_b64 v[166:169], v1 offset0:60 offset1:61
	s_waitcnt lgkmcnt(0)
	v_mul_f64 v[150:151], v[168:169], v[152:153]
	v_fma_f64 v[150:151], v[166:167], v[174:175], -v[150:151]
	v_mul_f64 v[166:167], v[166:167], v[152:153]
	v_add_f64 v[42:43], v[42:43], -v[150:151]
	v_fma_f64 v[166:167], v[168:169], v[174:175], v[166:167]
	v_add_f64 v[44:45], v[44:45], -v[166:167]
	ds_read2_b64 v[166:169], v1 offset0:62 offset1:63
	s_waitcnt lgkmcnt(0)
	v_mul_f64 v[150:151], v[168:169], v[152:153]
	v_fma_f64 v[150:151], v[166:167], v[174:175], -v[150:151]
	v_mul_f64 v[166:167], v[166:167], v[152:153]
	v_add_f64 v[38:39], v[38:39], -v[150:151]
	v_fma_f64 v[166:167], v[168:169], v[174:175], v[166:167]
	v_add_f64 v[40:41], v[40:41], -v[166:167]
	ds_read2_b64 v[166:169], v1 offset0:64 offset1:65
	s_waitcnt lgkmcnt(0)
	v_mul_f64 v[150:151], v[168:169], v[152:153]
	v_fma_f64 v[150:151], v[166:167], v[174:175], -v[150:151]
	v_mul_f64 v[166:167], v[166:167], v[152:153]
	v_add_f64 v[34:35], v[34:35], -v[150:151]
	v_fma_f64 v[166:167], v[168:169], v[174:175], v[166:167]
	v_add_f64 v[36:37], v[36:37], -v[166:167]
	ds_read2_b64 v[166:169], v1 offset0:66 offset1:67
	s_waitcnt lgkmcnt(0)
	v_mul_f64 v[150:151], v[168:169], v[152:153]
	v_fma_f64 v[150:151], v[166:167], v[174:175], -v[150:151]
	v_mul_f64 v[166:167], v[166:167], v[152:153]
	v_add_f64 v[30:31], v[30:31], -v[150:151]
	v_fma_f64 v[166:167], v[168:169], v[174:175], v[166:167]
	v_add_f64 v[32:33], v[32:33], -v[166:167]
	ds_read2_b64 v[166:169], v1 offset0:68 offset1:69
	s_waitcnt lgkmcnt(0)
	v_mul_f64 v[150:151], v[168:169], v[152:153]
	v_fma_f64 v[150:151], v[166:167], v[174:175], -v[150:151]
	v_mul_f64 v[166:167], v[166:167], v[152:153]
	v_add_f64 v[26:27], v[26:27], -v[150:151]
	v_fma_f64 v[166:167], v[168:169], v[174:175], v[166:167]
	v_add_f64 v[28:29], v[28:29], -v[166:167]
	ds_read2_b64 v[166:169], v1 offset0:70 offset1:71
	s_waitcnt lgkmcnt(0)
	v_mul_f64 v[150:151], v[168:169], v[152:153]
	v_fma_f64 v[150:151], v[166:167], v[174:175], -v[150:151]
	v_mul_f64 v[166:167], v[166:167], v[152:153]
	v_add_f64 v[22:23], v[22:23], -v[150:151]
	v_fma_f64 v[166:167], v[168:169], v[174:175], v[166:167]
	v_add_f64 v[24:25], v[24:25], -v[166:167]
	ds_read2_b64 v[166:169], v1 offset0:72 offset1:73
	s_waitcnt lgkmcnt(0)
	v_mul_f64 v[150:151], v[168:169], v[152:153]
	v_fma_f64 v[150:151], v[166:167], v[174:175], -v[150:151]
	v_mul_f64 v[166:167], v[166:167], v[152:153]
	v_add_f64 v[18:19], v[18:19], -v[150:151]
	v_fma_f64 v[166:167], v[168:169], v[174:175], v[166:167]
	v_add_f64 v[20:21], v[20:21], -v[166:167]
	ds_read2_b64 v[166:169], v1 offset0:74 offset1:75
	s_waitcnt lgkmcnt(0)
	v_mul_f64 v[150:151], v[168:169], v[152:153]
	v_fma_f64 v[150:151], v[166:167], v[174:175], -v[150:151]
	v_mul_f64 v[166:167], v[166:167], v[152:153]
	v_add_f64 v[14:15], v[14:15], -v[150:151]
	v_fma_f64 v[166:167], v[168:169], v[174:175], v[166:167]
	v_add_f64 v[16:17], v[16:17], -v[166:167]
	ds_read2_b64 v[166:169], v1 offset0:76 offset1:77
	s_waitcnt lgkmcnt(0)
	v_mul_f64 v[150:151], v[168:169], v[152:153]
	v_fma_f64 v[150:151], v[166:167], v[174:175], -v[150:151]
	v_mul_f64 v[166:167], v[166:167], v[152:153]
	v_add_f64 v[10:11], v[10:11], -v[150:151]
	v_fma_f64 v[166:167], v[168:169], v[174:175], v[166:167]
	v_add_f64 v[12:13], v[12:13], -v[166:167]
	ds_read2_b64 v[166:169], v1 offset0:78 offset1:79
	s_waitcnt lgkmcnt(0)
	v_mul_f64 v[150:151], v[168:169], v[152:153]
	v_fma_f64 v[150:151], v[166:167], v[174:175], -v[150:151]
	v_mul_f64 v[166:167], v[166:167], v[152:153]
	v_add_f64 v[6:7], v[6:7], -v[150:151]
	v_fma_f64 v[166:167], v[168:169], v[174:175], v[166:167]
	v_add_f64 v[8:9], v[8:9], -v[166:167]
	ds_read2_b64 v[166:169], v1 offset0:80 offset1:81
	s_waitcnt lgkmcnt(0)
	v_mul_f64 v[150:151], v[168:169], v[152:153]
	v_fma_f64 v[150:151], v[166:167], v[174:175], -v[150:151]
	v_mul_f64 v[166:167], v[166:167], v[152:153]
	v_add_f64 v[2:3], v[2:3], -v[150:151]
	v_fma_f64 v[166:167], v[168:169], v[174:175], v[166:167]
	v_mov_b32_e32 v150, v174
	v_mov_b32_e32 v151, v175
	v_add_f64 v[4:5], v[4:5], -v[166:167]
.LBB80_41:
	s_or_b32 exec_lo, exec_lo, s0
	v_lshl_add_u32 v166, v180, 4, v1
	s_barrier
	buffer_gl0_inv
	v_mov_b32_e32 v174, 2
	ds_write2_b64 v166, v[158:159], v[160:161] offset1:1
	s_waitcnt lgkmcnt(0)
	s_barrier
	buffer_gl0_inv
	ds_read2_b64 v[166:169], v1 offset0:4 offset1:5
	s_cmp_lt_i32 s18, 4
	s_cbranch_scc1 .LBB80_44
; %bb.42:
	v_add3_u32 v175, v176, 0, 48
	v_mov_b32_e32 v174, 2
	s_mov_b32 s1, 3
	s_inst_prefetch 0x1
	.p2align	6
.LBB80_43:                              ; =>This Inner Loop Header: Depth=1
	s_waitcnt lgkmcnt(0)
	v_cmp_gt_f64_e32 vcc_lo, 0, v[168:169]
	v_cmp_gt_f64_e64 s0, 0, v[166:167]
	ds_read2_b64 v[181:184], v175 offset1:1
	v_xor_b32_e32 v186, 0x80000000, v167
	v_xor_b32_e32 v188, 0x80000000, v169
	v_mov_b32_e32 v185, v166
	v_mov_b32_e32 v187, v168
	v_add_nc_u32_e32 v175, 16, v175
	s_waitcnt lgkmcnt(0)
	v_xor_b32_e32 v190, 0x80000000, v184
	v_cndmask_b32_e64 v186, v167, v186, s0
	v_cndmask_b32_e32 v188, v169, v188, vcc_lo
	v_cmp_gt_f64_e32 vcc_lo, 0, v[183:184]
	v_cmp_gt_f64_e64 s0, 0, v[181:182]
	v_mov_b32_e32 v189, v183
	v_add_f64 v[185:186], v[185:186], v[187:188]
	v_xor_b32_e32 v188, 0x80000000, v182
	v_mov_b32_e32 v187, v181
	v_cndmask_b32_e32 v190, v184, v190, vcc_lo
	v_cndmask_b32_e64 v188, v182, v188, s0
	v_add_f64 v[187:188], v[187:188], v[189:190]
	v_cmp_lt_f64_e32 vcc_lo, v[185:186], v[187:188]
	v_cndmask_b32_e32 v167, v167, v182, vcc_lo
	v_cndmask_b32_e32 v166, v166, v181, vcc_lo
	;; [unrolled: 1-line block ×4, first 2 shown]
	v_cndmask_b32_e64 v174, v174, s1, vcc_lo
	s_add_i32 s1, s1, 1
	s_cmp_lg_u32 s18, s1
	s_cbranch_scc1 .LBB80_43
.LBB80_44:
	s_inst_prefetch 0x2
	s_waitcnt lgkmcnt(0)
	v_cmp_eq_f64_e32 vcc_lo, 0, v[166:167]
	v_cmp_eq_f64_e64 s0, 0, v[168:169]
	s_and_b32 s0, vcc_lo, s0
	s_and_saveexec_b32 s1, s0
	s_xor_b32 s0, exec_lo, s1
; %bb.45:
	v_cmp_ne_u32_e32 vcc_lo, 0, v179
	v_cndmask_b32_e32 v179, 3, v179, vcc_lo
; %bb.46:
	s_andn2_saveexec_b32 s0, s0
	s_cbranch_execz .LBB80_52
; %bb.47:
	v_cmp_ngt_f64_e64 s1, |v[166:167]|, |v[168:169]|
	s_and_saveexec_b32 s2, s1
	s_xor_b32 s1, exec_lo, s2
	s_cbranch_execz .LBB80_49
; %bb.48:
	v_div_scale_f64 v[181:182], null, v[168:169], v[168:169], v[166:167]
	v_div_scale_f64 v[187:188], vcc_lo, v[166:167], v[168:169], v[166:167]
	v_rcp_f64_e32 v[183:184], v[181:182]
	v_fma_f64 v[185:186], -v[181:182], v[183:184], 1.0
	v_fma_f64 v[183:184], v[183:184], v[185:186], v[183:184]
	v_fma_f64 v[185:186], -v[181:182], v[183:184], 1.0
	v_fma_f64 v[183:184], v[183:184], v[185:186], v[183:184]
	v_mul_f64 v[185:186], v[187:188], v[183:184]
	v_fma_f64 v[181:182], -v[181:182], v[185:186], v[187:188]
	v_div_fmas_f64 v[181:182], v[181:182], v[183:184], v[185:186]
	v_div_fixup_f64 v[181:182], v[181:182], v[168:169], v[166:167]
	v_fma_f64 v[166:167], v[166:167], v[181:182], v[168:169]
	v_div_scale_f64 v[168:169], null, v[166:167], v[166:167], 1.0
	v_rcp_f64_e32 v[183:184], v[168:169]
	v_fma_f64 v[185:186], -v[168:169], v[183:184], 1.0
	v_fma_f64 v[183:184], v[183:184], v[185:186], v[183:184]
	v_fma_f64 v[185:186], -v[168:169], v[183:184], 1.0
	v_fma_f64 v[183:184], v[183:184], v[185:186], v[183:184]
	v_div_scale_f64 v[185:186], vcc_lo, 1.0, v[166:167], 1.0
	v_mul_f64 v[187:188], v[185:186], v[183:184]
	v_fma_f64 v[168:169], -v[168:169], v[187:188], v[185:186]
	v_div_fmas_f64 v[168:169], v[168:169], v[183:184], v[187:188]
	v_div_fixup_f64 v[168:169], v[168:169], v[166:167], 1.0
	v_mul_f64 v[166:167], v[181:182], v[168:169]
	v_xor_b32_e32 v169, 0x80000000, v169
.LBB80_49:
	s_andn2_saveexec_b32 s1, s1
	s_cbranch_execz .LBB80_51
; %bb.50:
	v_div_scale_f64 v[181:182], null, v[166:167], v[166:167], v[168:169]
	v_div_scale_f64 v[187:188], vcc_lo, v[168:169], v[166:167], v[168:169]
	v_rcp_f64_e32 v[183:184], v[181:182]
	v_fma_f64 v[185:186], -v[181:182], v[183:184], 1.0
	v_fma_f64 v[183:184], v[183:184], v[185:186], v[183:184]
	v_fma_f64 v[185:186], -v[181:182], v[183:184], 1.0
	v_fma_f64 v[183:184], v[183:184], v[185:186], v[183:184]
	v_mul_f64 v[185:186], v[187:188], v[183:184]
	v_fma_f64 v[181:182], -v[181:182], v[185:186], v[187:188]
	v_div_fmas_f64 v[181:182], v[181:182], v[183:184], v[185:186]
	v_div_fixup_f64 v[181:182], v[181:182], v[166:167], v[168:169]
	v_fma_f64 v[166:167], v[168:169], v[181:182], v[166:167]
	v_div_scale_f64 v[168:169], null, v[166:167], v[166:167], 1.0
	v_rcp_f64_e32 v[183:184], v[168:169]
	v_fma_f64 v[185:186], -v[168:169], v[183:184], 1.0
	v_fma_f64 v[183:184], v[183:184], v[185:186], v[183:184]
	v_fma_f64 v[185:186], -v[168:169], v[183:184], 1.0
	v_fma_f64 v[183:184], v[183:184], v[185:186], v[183:184]
	v_div_scale_f64 v[185:186], vcc_lo, 1.0, v[166:167], 1.0
	v_mul_f64 v[187:188], v[185:186], v[183:184]
	v_fma_f64 v[168:169], -v[168:169], v[187:188], v[185:186]
	v_div_fmas_f64 v[168:169], v[168:169], v[183:184], v[187:188]
	v_div_fixup_f64 v[166:167], v[168:169], v[166:167], 1.0
	v_mul_f64 v[168:169], v[181:182], -v[166:167]
.LBB80_51:
	s_or_b32 exec_lo, exec_lo, s1
.LBB80_52:
	s_or_b32 exec_lo, exec_lo, s0
	s_mov_b32 s0, exec_lo
	v_cmpx_ne_u32_e64 v180, v174
	s_xor_b32 s0, exec_lo, s0
	s_cbranch_execz .LBB80_58
; %bb.53:
	s_mov_b32 s1, exec_lo
	v_cmpx_eq_u32_e32 2, v180
	s_cbranch_execz .LBB80_57
; %bb.54:
	v_cmp_ne_u32_e32 vcc_lo, 2, v174
	s_xor_b32 s2, s16, -1
	s_and_b32 s3, s2, vcc_lo
	s_and_saveexec_b32 s2, s3
	s_cbranch_execz .LBB80_56
; %bb.55:
	v_ashrrev_i32_e32 v175, 31, v174
	v_lshlrev_b64 v[180:181], 2, v[174:175]
	v_add_co_u32 v180, vcc_lo, v172, v180
	v_add_co_ci_u32_e64 v181, null, v173, v181, vcc_lo
	s_clause 0x1
	global_load_dword v0, v[180:181], off
	global_load_dword v175, v[172:173], off offset:8
	s_waitcnt vmcnt(1)
	global_store_dword v[172:173], v0, off offset:8
	s_waitcnt vmcnt(0)
	global_store_dword v[180:181], v175, off
.LBB80_56:
	s_or_b32 exec_lo, exec_lo, s2
	v_mov_b32_e32 v180, v174
	v_mov_b32_e32 v0, v174
.LBB80_57:
	s_or_b32 exec_lo, exec_lo, s1
.LBB80_58:
	s_andn2_saveexec_b32 s0, s0
	s_cbranch_execz .LBB80_60
; %bb.59:
	v_mov_b32_e32 v180, 2
	ds_write2_b64 v1, v[154:155], v[156:157] offset0:6 offset1:7
	ds_write2_b64 v1, v[146:147], v[148:149] offset0:8 offset1:9
	;; [unrolled: 1-line block ×38, first 2 shown]
.LBB80_60:
	s_or_b32 exec_lo, exec_lo, s0
	s_mov_b32 s0, exec_lo
	s_waitcnt lgkmcnt(0)
	s_waitcnt_vscnt null, 0x0
	s_barrier
	buffer_gl0_inv
	v_cmpx_lt_i32_e32 2, v180
	s_cbranch_execz .LBB80_62
; %bb.61:
	v_mul_f64 v[174:175], v[168:169], v[160:161]
	v_mul_f64 v[160:161], v[166:167], v[160:161]
	v_fma_f64 v[174:175], v[166:167], v[158:159], -v[174:175]
	v_fma_f64 v[160:161], v[168:169], v[158:159], v[160:161]
	ds_read2_b64 v[166:169], v1 offset0:6 offset1:7
	s_waitcnt lgkmcnt(0)
	v_mul_f64 v[158:159], v[168:169], v[160:161]
	v_fma_f64 v[158:159], v[166:167], v[174:175], -v[158:159]
	v_mul_f64 v[166:167], v[166:167], v[160:161]
	v_add_f64 v[154:155], v[154:155], -v[158:159]
	v_fma_f64 v[166:167], v[168:169], v[174:175], v[166:167]
	v_add_f64 v[156:157], v[156:157], -v[166:167]
	ds_read2_b64 v[166:169], v1 offset0:8 offset1:9
	s_waitcnt lgkmcnt(0)
	v_mul_f64 v[158:159], v[168:169], v[160:161]
	v_fma_f64 v[158:159], v[166:167], v[174:175], -v[158:159]
	v_mul_f64 v[166:167], v[166:167], v[160:161]
	v_add_f64 v[146:147], v[146:147], -v[158:159]
	v_fma_f64 v[166:167], v[168:169], v[174:175], v[166:167]
	v_add_f64 v[148:149], v[148:149], -v[166:167]
	ds_read2_b64 v[166:169], v1 offset0:10 offset1:11
	s_waitcnt lgkmcnt(0)
	v_mul_f64 v[158:159], v[168:169], v[160:161]
	v_fma_f64 v[158:159], v[166:167], v[174:175], -v[158:159]
	v_mul_f64 v[166:167], v[166:167], v[160:161]
	v_add_f64 v[142:143], v[142:143], -v[158:159]
	v_fma_f64 v[166:167], v[168:169], v[174:175], v[166:167]
	v_add_f64 v[144:145], v[144:145], -v[166:167]
	ds_read2_b64 v[166:169], v1 offset0:12 offset1:13
	s_waitcnt lgkmcnt(0)
	v_mul_f64 v[158:159], v[168:169], v[160:161]
	v_fma_f64 v[158:159], v[166:167], v[174:175], -v[158:159]
	v_mul_f64 v[166:167], v[166:167], v[160:161]
	v_add_f64 v[138:139], v[138:139], -v[158:159]
	v_fma_f64 v[166:167], v[168:169], v[174:175], v[166:167]
	v_add_f64 v[140:141], v[140:141], -v[166:167]
	ds_read2_b64 v[166:169], v1 offset0:14 offset1:15
	s_waitcnt lgkmcnt(0)
	v_mul_f64 v[158:159], v[168:169], v[160:161]
	v_fma_f64 v[158:159], v[166:167], v[174:175], -v[158:159]
	v_mul_f64 v[166:167], v[166:167], v[160:161]
	v_add_f64 v[134:135], v[134:135], -v[158:159]
	v_fma_f64 v[166:167], v[168:169], v[174:175], v[166:167]
	v_add_f64 v[136:137], v[136:137], -v[166:167]
	ds_read2_b64 v[166:169], v1 offset0:16 offset1:17
	s_waitcnt lgkmcnt(0)
	v_mul_f64 v[158:159], v[168:169], v[160:161]
	v_fma_f64 v[158:159], v[166:167], v[174:175], -v[158:159]
	v_mul_f64 v[166:167], v[166:167], v[160:161]
	v_add_f64 v[130:131], v[130:131], -v[158:159]
	v_fma_f64 v[166:167], v[168:169], v[174:175], v[166:167]
	v_add_f64 v[132:133], v[132:133], -v[166:167]
	ds_read2_b64 v[166:169], v1 offset0:18 offset1:19
	s_waitcnt lgkmcnt(0)
	v_mul_f64 v[158:159], v[168:169], v[160:161]
	v_fma_f64 v[158:159], v[166:167], v[174:175], -v[158:159]
	v_mul_f64 v[166:167], v[166:167], v[160:161]
	v_add_f64 v[126:127], v[126:127], -v[158:159]
	v_fma_f64 v[166:167], v[168:169], v[174:175], v[166:167]
	v_add_f64 v[128:129], v[128:129], -v[166:167]
	ds_read2_b64 v[166:169], v1 offset0:20 offset1:21
	s_waitcnt lgkmcnt(0)
	v_mul_f64 v[158:159], v[168:169], v[160:161]
	v_fma_f64 v[158:159], v[166:167], v[174:175], -v[158:159]
	v_mul_f64 v[166:167], v[166:167], v[160:161]
	v_add_f64 v[122:123], v[122:123], -v[158:159]
	v_fma_f64 v[166:167], v[168:169], v[174:175], v[166:167]
	v_add_f64 v[124:125], v[124:125], -v[166:167]
	ds_read2_b64 v[166:169], v1 offset0:22 offset1:23
	s_waitcnt lgkmcnt(0)
	v_mul_f64 v[158:159], v[168:169], v[160:161]
	v_fma_f64 v[158:159], v[166:167], v[174:175], -v[158:159]
	v_mul_f64 v[166:167], v[166:167], v[160:161]
	v_add_f64 v[118:119], v[118:119], -v[158:159]
	v_fma_f64 v[166:167], v[168:169], v[174:175], v[166:167]
	v_add_f64 v[120:121], v[120:121], -v[166:167]
	ds_read2_b64 v[166:169], v1 offset0:24 offset1:25
	s_waitcnt lgkmcnt(0)
	v_mul_f64 v[158:159], v[168:169], v[160:161]
	v_fma_f64 v[158:159], v[166:167], v[174:175], -v[158:159]
	v_mul_f64 v[166:167], v[166:167], v[160:161]
	v_add_f64 v[114:115], v[114:115], -v[158:159]
	v_fma_f64 v[166:167], v[168:169], v[174:175], v[166:167]
	v_add_f64 v[116:117], v[116:117], -v[166:167]
	ds_read2_b64 v[166:169], v1 offset0:26 offset1:27
	s_waitcnt lgkmcnt(0)
	v_mul_f64 v[158:159], v[168:169], v[160:161]
	v_fma_f64 v[158:159], v[166:167], v[174:175], -v[158:159]
	v_mul_f64 v[166:167], v[166:167], v[160:161]
	v_add_f64 v[110:111], v[110:111], -v[158:159]
	v_fma_f64 v[166:167], v[168:169], v[174:175], v[166:167]
	v_add_f64 v[112:113], v[112:113], -v[166:167]
	ds_read2_b64 v[166:169], v1 offset0:28 offset1:29
	s_waitcnt lgkmcnt(0)
	v_mul_f64 v[158:159], v[168:169], v[160:161]
	v_fma_f64 v[158:159], v[166:167], v[174:175], -v[158:159]
	v_mul_f64 v[166:167], v[166:167], v[160:161]
	v_add_f64 v[106:107], v[106:107], -v[158:159]
	v_fma_f64 v[166:167], v[168:169], v[174:175], v[166:167]
	v_add_f64 v[108:109], v[108:109], -v[166:167]
	ds_read2_b64 v[166:169], v1 offset0:30 offset1:31
	s_waitcnt lgkmcnt(0)
	v_mul_f64 v[158:159], v[168:169], v[160:161]
	v_fma_f64 v[158:159], v[166:167], v[174:175], -v[158:159]
	v_mul_f64 v[166:167], v[166:167], v[160:161]
	v_add_f64 v[102:103], v[102:103], -v[158:159]
	v_fma_f64 v[166:167], v[168:169], v[174:175], v[166:167]
	v_add_f64 v[104:105], v[104:105], -v[166:167]
	ds_read2_b64 v[166:169], v1 offset0:32 offset1:33
	s_waitcnt lgkmcnt(0)
	v_mul_f64 v[158:159], v[168:169], v[160:161]
	v_fma_f64 v[158:159], v[166:167], v[174:175], -v[158:159]
	v_mul_f64 v[166:167], v[166:167], v[160:161]
	v_add_f64 v[98:99], v[98:99], -v[158:159]
	v_fma_f64 v[166:167], v[168:169], v[174:175], v[166:167]
	v_add_f64 v[100:101], v[100:101], -v[166:167]
	ds_read2_b64 v[166:169], v1 offset0:34 offset1:35
	s_waitcnt lgkmcnt(0)
	v_mul_f64 v[158:159], v[168:169], v[160:161]
	v_fma_f64 v[158:159], v[166:167], v[174:175], -v[158:159]
	v_mul_f64 v[166:167], v[166:167], v[160:161]
	v_add_f64 v[94:95], v[94:95], -v[158:159]
	v_fma_f64 v[166:167], v[168:169], v[174:175], v[166:167]
	v_add_f64 v[96:97], v[96:97], -v[166:167]
	ds_read2_b64 v[166:169], v1 offset0:36 offset1:37
	s_waitcnt lgkmcnt(0)
	v_mul_f64 v[158:159], v[168:169], v[160:161]
	v_fma_f64 v[158:159], v[166:167], v[174:175], -v[158:159]
	v_mul_f64 v[166:167], v[166:167], v[160:161]
	v_add_f64 v[90:91], v[90:91], -v[158:159]
	v_fma_f64 v[166:167], v[168:169], v[174:175], v[166:167]
	v_add_f64 v[92:93], v[92:93], -v[166:167]
	ds_read2_b64 v[166:169], v1 offset0:38 offset1:39
	s_waitcnt lgkmcnt(0)
	v_mul_f64 v[158:159], v[168:169], v[160:161]
	v_fma_f64 v[158:159], v[166:167], v[174:175], -v[158:159]
	v_mul_f64 v[166:167], v[166:167], v[160:161]
	v_add_f64 v[86:87], v[86:87], -v[158:159]
	v_fma_f64 v[166:167], v[168:169], v[174:175], v[166:167]
	v_add_f64 v[88:89], v[88:89], -v[166:167]
	ds_read2_b64 v[166:169], v1 offset0:40 offset1:41
	s_waitcnt lgkmcnt(0)
	v_mul_f64 v[158:159], v[168:169], v[160:161]
	v_fma_f64 v[158:159], v[166:167], v[174:175], -v[158:159]
	v_mul_f64 v[166:167], v[166:167], v[160:161]
	v_add_f64 v[82:83], v[82:83], -v[158:159]
	v_fma_f64 v[166:167], v[168:169], v[174:175], v[166:167]
	v_add_f64 v[84:85], v[84:85], -v[166:167]
	ds_read2_b64 v[166:169], v1 offset0:42 offset1:43
	s_waitcnt lgkmcnt(0)
	v_mul_f64 v[158:159], v[168:169], v[160:161]
	v_fma_f64 v[158:159], v[166:167], v[174:175], -v[158:159]
	v_mul_f64 v[166:167], v[166:167], v[160:161]
	v_add_f64 v[78:79], v[78:79], -v[158:159]
	v_fma_f64 v[166:167], v[168:169], v[174:175], v[166:167]
	v_add_f64 v[80:81], v[80:81], -v[166:167]
	ds_read2_b64 v[166:169], v1 offset0:44 offset1:45
	s_waitcnt lgkmcnt(0)
	v_mul_f64 v[158:159], v[168:169], v[160:161]
	v_fma_f64 v[158:159], v[166:167], v[174:175], -v[158:159]
	v_mul_f64 v[166:167], v[166:167], v[160:161]
	v_add_f64 v[74:75], v[74:75], -v[158:159]
	v_fma_f64 v[166:167], v[168:169], v[174:175], v[166:167]
	v_add_f64 v[76:77], v[76:77], -v[166:167]
	ds_read2_b64 v[166:169], v1 offset0:46 offset1:47
	s_waitcnt lgkmcnt(0)
	v_mul_f64 v[158:159], v[168:169], v[160:161]
	v_fma_f64 v[158:159], v[166:167], v[174:175], -v[158:159]
	v_mul_f64 v[166:167], v[166:167], v[160:161]
	v_add_f64 v[70:71], v[70:71], -v[158:159]
	v_fma_f64 v[166:167], v[168:169], v[174:175], v[166:167]
	v_add_f64 v[72:73], v[72:73], -v[166:167]
	ds_read2_b64 v[166:169], v1 offset0:48 offset1:49
	s_waitcnt lgkmcnt(0)
	v_mul_f64 v[158:159], v[168:169], v[160:161]
	v_fma_f64 v[158:159], v[166:167], v[174:175], -v[158:159]
	v_mul_f64 v[166:167], v[166:167], v[160:161]
	v_add_f64 v[66:67], v[66:67], -v[158:159]
	v_fma_f64 v[166:167], v[168:169], v[174:175], v[166:167]
	v_add_f64 v[68:69], v[68:69], -v[166:167]
	ds_read2_b64 v[166:169], v1 offset0:50 offset1:51
	s_waitcnt lgkmcnt(0)
	v_mul_f64 v[158:159], v[168:169], v[160:161]
	v_fma_f64 v[158:159], v[166:167], v[174:175], -v[158:159]
	v_mul_f64 v[166:167], v[166:167], v[160:161]
	v_add_f64 v[62:63], v[62:63], -v[158:159]
	v_fma_f64 v[166:167], v[168:169], v[174:175], v[166:167]
	v_add_f64 v[64:65], v[64:65], -v[166:167]
	ds_read2_b64 v[166:169], v1 offset0:52 offset1:53
	s_waitcnt lgkmcnt(0)
	v_mul_f64 v[158:159], v[168:169], v[160:161]
	v_fma_f64 v[158:159], v[166:167], v[174:175], -v[158:159]
	v_mul_f64 v[166:167], v[166:167], v[160:161]
	v_add_f64 v[58:59], v[58:59], -v[158:159]
	v_fma_f64 v[166:167], v[168:169], v[174:175], v[166:167]
	v_add_f64 v[60:61], v[60:61], -v[166:167]
	ds_read2_b64 v[166:169], v1 offset0:54 offset1:55
	s_waitcnt lgkmcnt(0)
	v_mul_f64 v[158:159], v[168:169], v[160:161]
	v_fma_f64 v[158:159], v[166:167], v[174:175], -v[158:159]
	v_mul_f64 v[166:167], v[166:167], v[160:161]
	v_add_f64 v[54:55], v[54:55], -v[158:159]
	v_fma_f64 v[166:167], v[168:169], v[174:175], v[166:167]
	v_add_f64 v[56:57], v[56:57], -v[166:167]
	ds_read2_b64 v[166:169], v1 offset0:56 offset1:57
	s_waitcnt lgkmcnt(0)
	v_mul_f64 v[158:159], v[168:169], v[160:161]
	v_fma_f64 v[158:159], v[166:167], v[174:175], -v[158:159]
	v_mul_f64 v[166:167], v[166:167], v[160:161]
	v_add_f64 v[50:51], v[50:51], -v[158:159]
	v_fma_f64 v[166:167], v[168:169], v[174:175], v[166:167]
	v_add_f64 v[52:53], v[52:53], -v[166:167]
	ds_read2_b64 v[166:169], v1 offset0:58 offset1:59
	s_waitcnt lgkmcnt(0)
	v_mul_f64 v[158:159], v[168:169], v[160:161]
	v_fma_f64 v[158:159], v[166:167], v[174:175], -v[158:159]
	v_mul_f64 v[166:167], v[166:167], v[160:161]
	v_add_f64 v[46:47], v[46:47], -v[158:159]
	v_fma_f64 v[166:167], v[168:169], v[174:175], v[166:167]
	v_add_f64 v[48:49], v[48:49], -v[166:167]
	ds_read2_b64 v[166:169], v1 offset0:60 offset1:61
	s_waitcnt lgkmcnt(0)
	v_mul_f64 v[158:159], v[168:169], v[160:161]
	v_fma_f64 v[158:159], v[166:167], v[174:175], -v[158:159]
	v_mul_f64 v[166:167], v[166:167], v[160:161]
	v_add_f64 v[42:43], v[42:43], -v[158:159]
	v_fma_f64 v[166:167], v[168:169], v[174:175], v[166:167]
	v_add_f64 v[44:45], v[44:45], -v[166:167]
	ds_read2_b64 v[166:169], v1 offset0:62 offset1:63
	s_waitcnt lgkmcnt(0)
	v_mul_f64 v[158:159], v[168:169], v[160:161]
	v_fma_f64 v[158:159], v[166:167], v[174:175], -v[158:159]
	v_mul_f64 v[166:167], v[166:167], v[160:161]
	v_add_f64 v[38:39], v[38:39], -v[158:159]
	v_fma_f64 v[166:167], v[168:169], v[174:175], v[166:167]
	v_add_f64 v[40:41], v[40:41], -v[166:167]
	ds_read2_b64 v[166:169], v1 offset0:64 offset1:65
	s_waitcnt lgkmcnt(0)
	v_mul_f64 v[158:159], v[168:169], v[160:161]
	v_fma_f64 v[158:159], v[166:167], v[174:175], -v[158:159]
	v_mul_f64 v[166:167], v[166:167], v[160:161]
	v_add_f64 v[34:35], v[34:35], -v[158:159]
	v_fma_f64 v[166:167], v[168:169], v[174:175], v[166:167]
	v_add_f64 v[36:37], v[36:37], -v[166:167]
	ds_read2_b64 v[166:169], v1 offset0:66 offset1:67
	s_waitcnt lgkmcnt(0)
	v_mul_f64 v[158:159], v[168:169], v[160:161]
	v_fma_f64 v[158:159], v[166:167], v[174:175], -v[158:159]
	v_mul_f64 v[166:167], v[166:167], v[160:161]
	v_add_f64 v[30:31], v[30:31], -v[158:159]
	v_fma_f64 v[166:167], v[168:169], v[174:175], v[166:167]
	v_add_f64 v[32:33], v[32:33], -v[166:167]
	ds_read2_b64 v[166:169], v1 offset0:68 offset1:69
	s_waitcnt lgkmcnt(0)
	v_mul_f64 v[158:159], v[168:169], v[160:161]
	v_fma_f64 v[158:159], v[166:167], v[174:175], -v[158:159]
	v_mul_f64 v[166:167], v[166:167], v[160:161]
	v_add_f64 v[26:27], v[26:27], -v[158:159]
	v_fma_f64 v[166:167], v[168:169], v[174:175], v[166:167]
	v_add_f64 v[28:29], v[28:29], -v[166:167]
	ds_read2_b64 v[166:169], v1 offset0:70 offset1:71
	s_waitcnt lgkmcnt(0)
	v_mul_f64 v[158:159], v[168:169], v[160:161]
	v_fma_f64 v[158:159], v[166:167], v[174:175], -v[158:159]
	v_mul_f64 v[166:167], v[166:167], v[160:161]
	v_add_f64 v[22:23], v[22:23], -v[158:159]
	v_fma_f64 v[166:167], v[168:169], v[174:175], v[166:167]
	v_add_f64 v[24:25], v[24:25], -v[166:167]
	ds_read2_b64 v[166:169], v1 offset0:72 offset1:73
	s_waitcnt lgkmcnt(0)
	v_mul_f64 v[158:159], v[168:169], v[160:161]
	v_fma_f64 v[158:159], v[166:167], v[174:175], -v[158:159]
	v_mul_f64 v[166:167], v[166:167], v[160:161]
	v_add_f64 v[18:19], v[18:19], -v[158:159]
	v_fma_f64 v[166:167], v[168:169], v[174:175], v[166:167]
	v_add_f64 v[20:21], v[20:21], -v[166:167]
	ds_read2_b64 v[166:169], v1 offset0:74 offset1:75
	s_waitcnt lgkmcnt(0)
	v_mul_f64 v[158:159], v[168:169], v[160:161]
	v_fma_f64 v[158:159], v[166:167], v[174:175], -v[158:159]
	v_mul_f64 v[166:167], v[166:167], v[160:161]
	v_add_f64 v[14:15], v[14:15], -v[158:159]
	v_fma_f64 v[166:167], v[168:169], v[174:175], v[166:167]
	v_add_f64 v[16:17], v[16:17], -v[166:167]
	ds_read2_b64 v[166:169], v1 offset0:76 offset1:77
	s_waitcnt lgkmcnt(0)
	v_mul_f64 v[158:159], v[168:169], v[160:161]
	v_fma_f64 v[158:159], v[166:167], v[174:175], -v[158:159]
	v_mul_f64 v[166:167], v[166:167], v[160:161]
	v_add_f64 v[10:11], v[10:11], -v[158:159]
	v_fma_f64 v[166:167], v[168:169], v[174:175], v[166:167]
	v_add_f64 v[12:13], v[12:13], -v[166:167]
	ds_read2_b64 v[166:169], v1 offset0:78 offset1:79
	s_waitcnt lgkmcnt(0)
	v_mul_f64 v[158:159], v[168:169], v[160:161]
	v_fma_f64 v[158:159], v[166:167], v[174:175], -v[158:159]
	v_mul_f64 v[166:167], v[166:167], v[160:161]
	v_add_f64 v[6:7], v[6:7], -v[158:159]
	v_fma_f64 v[166:167], v[168:169], v[174:175], v[166:167]
	v_add_f64 v[8:9], v[8:9], -v[166:167]
	ds_read2_b64 v[166:169], v1 offset0:80 offset1:81
	s_waitcnt lgkmcnt(0)
	v_mul_f64 v[158:159], v[168:169], v[160:161]
	v_fma_f64 v[158:159], v[166:167], v[174:175], -v[158:159]
	v_mul_f64 v[166:167], v[166:167], v[160:161]
	v_add_f64 v[2:3], v[2:3], -v[158:159]
	v_fma_f64 v[166:167], v[168:169], v[174:175], v[166:167]
	v_mov_b32_e32 v158, v174
	v_mov_b32_e32 v159, v175
	v_add_f64 v[4:5], v[4:5], -v[166:167]
.LBB80_62:
	s_or_b32 exec_lo, exec_lo, s0
	v_lshl_add_u32 v166, v180, 4, v1
	s_barrier
	buffer_gl0_inv
	v_mov_b32_e32 v174, 3
	ds_write2_b64 v166, v[154:155], v[156:157] offset1:1
	s_waitcnt lgkmcnt(0)
	s_barrier
	buffer_gl0_inv
	ds_read2_b64 v[166:169], v1 offset0:6 offset1:7
	s_cmp_lt_i32 s18, 5
	s_mov_b32 s1, 4
	s_cbranch_scc1 .LBB80_65
; %bb.63:
	v_add3_u32 v175, v176, 0, 64
	v_mov_b32_e32 v174, 3
	s_inst_prefetch 0x1
	.p2align	6
.LBB80_64:                              ; =>This Inner Loop Header: Depth=1
	s_waitcnt lgkmcnt(0)
	v_cmp_gt_f64_e32 vcc_lo, 0, v[168:169]
	v_cmp_gt_f64_e64 s0, 0, v[166:167]
	ds_read2_b64 v[181:184], v175 offset1:1
	v_xor_b32_e32 v186, 0x80000000, v167
	v_xor_b32_e32 v188, 0x80000000, v169
	v_mov_b32_e32 v185, v166
	v_mov_b32_e32 v187, v168
	v_add_nc_u32_e32 v175, 16, v175
	s_waitcnt lgkmcnt(0)
	v_xor_b32_e32 v190, 0x80000000, v184
	v_cndmask_b32_e64 v186, v167, v186, s0
	v_cndmask_b32_e32 v188, v169, v188, vcc_lo
	v_cmp_gt_f64_e32 vcc_lo, 0, v[183:184]
	v_cmp_gt_f64_e64 s0, 0, v[181:182]
	v_mov_b32_e32 v189, v183
	v_add_f64 v[185:186], v[185:186], v[187:188]
	v_xor_b32_e32 v188, 0x80000000, v182
	v_mov_b32_e32 v187, v181
	v_cndmask_b32_e32 v190, v184, v190, vcc_lo
	v_cndmask_b32_e64 v188, v182, v188, s0
	v_add_f64 v[187:188], v[187:188], v[189:190]
	v_cmp_lt_f64_e32 vcc_lo, v[185:186], v[187:188]
	v_cndmask_b32_e32 v167, v167, v182, vcc_lo
	v_cndmask_b32_e32 v166, v166, v181, vcc_lo
	;; [unrolled: 1-line block ×4, first 2 shown]
	v_cndmask_b32_e64 v174, v174, s1, vcc_lo
	s_add_i32 s1, s1, 1
	s_cmp_lg_u32 s18, s1
	s_cbranch_scc1 .LBB80_64
.LBB80_65:
	s_inst_prefetch 0x2
	s_waitcnt lgkmcnt(0)
	v_cmp_eq_f64_e32 vcc_lo, 0, v[166:167]
	v_cmp_eq_f64_e64 s0, 0, v[168:169]
	s_and_b32 s0, vcc_lo, s0
	s_and_saveexec_b32 s1, s0
	s_xor_b32 s0, exec_lo, s1
; %bb.66:
	v_cmp_ne_u32_e32 vcc_lo, 0, v179
	v_cndmask_b32_e32 v179, 4, v179, vcc_lo
; %bb.67:
	s_andn2_saveexec_b32 s0, s0
	s_cbranch_execz .LBB80_73
; %bb.68:
	v_cmp_ngt_f64_e64 s1, |v[166:167]|, |v[168:169]|
	s_and_saveexec_b32 s2, s1
	s_xor_b32 s1, exec_lo, s2
	s_cbranch_execz .LBB80_70
; %bb.69:
	v_div_scale_f64 v[181:182], null, v[168:169], v[168:169], v[166:167]
	v_div_scale_f64 v[187:188], vcc_lo, v[166:167], v[168:169], v[166:167]
	v_rcp_f64_e32 v[183:184], v[181:182]
	v_fma_f64 v[185:186], -v[181:182], v[183:184], 1.0
	v_fma_f64 v[183:184], v[183:184], v[185:186], v[183:184]
	v_fma_f64 v[185:186], -v[181:182], v[183:184], 1.0
	v_fma_f64 v[183:184], v[183:184], v[185:186], v[183:184]
	v_mul_f64 v[185:186], v[187:188], v[183:184]
	v_fma_f64 v[181:182], -v[181:182], v[185:186], v[187:188]
	v_div_fmas_f64 v[181:182], v[181:182], v[183:184], v[185:186]
	v_div_fixup_f64 v[181:182], v[181:182], v[168:169], v[166:167]
	v_fma_f64 v[166:167], v[166:167], v[181:182], v[168:169]
	v_div_scale_f64 v[168:169], null, v[166:167], v[166:167], 1.0
	v_rcp_f64_e32 v[183:184], v[168:169]
	v_fma_f64 v[185:186], -v[168:169], v[183:184], 1.0
	v_fma_f64 v[183:184], v[183:184], v[185:186], v[183:184]
	v_fma_f64 v[185:186], -v[168:169], v[183:184], 1.0
	v_fma_f64 v[183:184], v[183:184], v[185:186], v[183:184]
	v_div_scale_f64 v[185:186], vcc_lo, 1.0, v[166:167], 1.0
	v_mul_f64 v[187:188], v[185:186], v[183:184]
	v_fma_f64 v[168:169], -v[168:169], v[187:188], v[185:186]
	v_div_fmas_f64 v[168:169], v[168:169], v[183:184], v[187:188]
	v_div_fixup_f64 v[168:169], v[168:169], v[166:167], 1.0
	v_mul_f64 v[166:167], v[181:182], v[168:169]
	v_xor_b32_e32 v169, 0x80000000, v169
.LBB80_70:
	s_andn2_saveexec_b32 s1, s1
	s_cbranch_execz .LBB80_72
; %bb.71:
	v_div_scale_f64 v[181:182], null, v[166:167], v[166:167], v[168:169]
	v_div_scale_f64 v[187:188], vcc_lo, v[168:169], v[166:167], v[168:169]
	v_rcp_f64_e32 v[183:184], v[181:182]
	v_fma_f64 v[185:186], -v[181:182], v[183:184], 1.0
	v_fma_f64 v[183:184], v[183:184], v[185:186], v[183:184]
	v_fma_f64 v[185:186], -v[181:182], v[183:184], 1.0
	v_fma_f64 v[183:184], v[183:184], v[185:186], v[183:184]
	v_mul_f64 v[185:186], v[187:188], v[183:184]
	v_fma_f64 v[181:182], -v[181:182], v[185:186], v[187:188]
	v_div_fmas_f64 v[181:182], v[181:182], v[183:184], v[185:186]
	v_div_fixup_f64 v[181:182], v[181:182], v[166:167], v[168:169]
	v_fma_f64 v[166:167], v[168:169], v[181:182], v[166:167]
	v_div_scale_f64 v[168:169], null, v[166:167], v[166:167], 1.0
	v_rcp_f64_e32 v[183:184], v[168:169]
	v_fma_f64 v[185:186], -v[168:169], v[183:184], 1.0
	v_fma_f64 v[183:184], v[183:184], v[185:186], v[183:184]
	v_fma_f64 v[185:186], -v[168:169], v[183:184], 1.0
	v_fma_f64 v[183:184], v[183:184], v[185:186], v[183:184]
	v_div_scale_f64 v[185:186], vcc_lo, 1.0, v[166:167], 1.0
	v_mul_f64 v[187:188], v[185:186], v[183:184]
	v_fma_f64 v[168:169], -v[168:169], v[187:188], v[185:186]
	v_div_fmas_f64 v[168:169], v[168:169], v[183:184], v[187:188]
	v_div_fixup_f64 v[166:167], v[168:169], v[166:167], 1.0
	v_mul_f64 v[168:169], v[181:182], -v[166:167]
.LBB80_72:
	s_or_b32 exec_lo, exec_lo, s1
.LBB80_73:
	s_or_b32 exec_lo, exec_lo, s0
	s_mov_b32 s0, exec_lo
	v_cmpx_ne_u32_e64 v180, v174
	s_xor_b32 s0, exec_lo, s0
	s_cbranch_execz .LBB80_79
; %bb.74:
	s_mov_b32 s1, exec_lo
	v_cmpx_eq_u32_e32 3, v180
	s_cbranch_execz .LBB80_78
; %bb.75:
	v_cmp_ne_u32_e32 vcc_lo, 3, v174
	s_xor_b32 s2, s16, -1
	s_and_b32 s3, s2, vcc_lo
	s_and_saveexec_b32 s2, s3
	s_cbranch_execz .LBB80_77
; %bb.76:
	v_ashrrev_i32_e32 v175, 31, v174
	v_lshlrev_b64 v[180:181], 2, v[174:175]
	v_add_co_u32 v180, vcc_lo, v172, v180
	v_add_co_ci_u32_e64 v181, null, v173, v181, vcc_lo
	s_clause 0x1
	global_load_dword v0, v[180:181], off
	global_load_dword v175, v[172:173], off offset:12
	s_waitcnt vmcnt(1)
	global_store_dword v[172:173], v0, off offset:12
	s_waitcnt vmcnt(0)
	global_store_dword v[180:181], v175, off
.LBB80_77:
	s_or_b32 exec_lo, exec_lo, s2
	v_mov_b32_e32 v180, v174
	v_mov_b32_e32 v0, v174
.LBB80_78:
	s_or_b32 exec_lo, exec_lo, s1
.LBB80_79:
	s_andn2_saveexec_b32 s0, s0
	s_cbranch_execz .LBB80_81
; %bb.80:
	v_mov_b32_e32 v180, 3
	ds_write2_b64 v1, v[146:147], v[148:149] offset0:8 offset1:9
	ds_write2_b64 v1, v[142:143], v[144:145] offset0:10 offset1:11
	;; [unrolled: 1-line block ×37, first 2 shown]
.LBB80_81:
	s_or_b32 exec_lo, exec_lo, s0
	s_mov_b32 s0, exec_lo
	s_waitcnt lgkmcnt(0)
	s_waitcnt_vscnt null, 0x0
	s_barrier
	buffer_gl0_inv
	v_cmpx_lt_i32_e32 3, v180
	s_cbranch_execz .LBB80_83
; %bb.82:
	v_mul_f64 v[174:175], v[168:169], v[156:157]
	v_mul_f64 v[156:157], v[166:167], v[156:157]
	v_fma_f64 v[174:175], v[166:167], v[154:155], -v[174:175]
	v_fma_f64 v[156:157], v[168:169], v[154:155], v[156:157]
	ds_read2_b64 v[166:169], v1 offset0:8 offset1:9
	s_waitcnt lgkmcnt(0)
	v_mul_f64 v[154:155], v[168:169], v[156:157]
	v_fma_f64 v[154:155], v[166:167], v[174:175], -v[154:155]
	v_mul_f64 v[166:167], v[166:167], v[156:157]
	v_add_f64 v[146:147], v[146:147], -v[154:155]
	v_fma_f64 v[166:167], v[168:169], v[174:175], v[166:167]
	v_add_f64 v[148:149], v[148:149], -v[166:167]
	ds_read2_b64 v[166:169], v1 offset0:10 offset1:11
	s_waitcnt lgkmcnt(0)
	v_mul_f64 v[154:155], v[168:169], v[156:157]
	v_fma_f64 v[154:155], v[166:167], v[174:175], -v[154:155]
	v_mul_f64 v[166:167], v[166:167], v[156:157]
	v_add_f64 v[142:143], v[142:143], -v[154:155]
	v_fma_f64 v[166:167], v[168:169], v[174:175], v[166:167]
	v_add_f64 v[144:145], v[144:145], -v[166:167]
	;; [unrolled: 8-line block ×36, first 2 shown]
	ds_read2_b64 v[166:169], v1 offset0:80 offset1:81
	s_waitcnt lgkmcnt(0)
	v_mul_f64 v[154:155], v[168:169], v[156:157]
	v_fma_f64 v[154:155], v[166:167], v[174:175], -v[154:155]
	v_mul_f64 v[166:167], v[166:167], v[156:157]
	v_add_f64 v[2:3], v[2:3], -v[154:155]
	v_fma_f64 v[166:167], v[168:169], v[174:175], v[166:167]
	v_mov_b32_e32 v154, v174
	v_mov_b32_e32 v155, v175
	v_add_f64 v[4:5], v[4:5], -v[166:167]
.LBB80_83:
	s_or_b32 exec_lo, exec_lo, s0
	v_lshl_add_u32 v166, v180, 4, v1
	s_barrier
	buffer_gl0_inv
	v_mov_b32_e32 v174, 4
	ds_write2_b64 v166, v[146:147], v[148:149] offset1:1
	s_waitcnt lgkmcnt(0)
	s_barrier
	buffer_gl0_inv
	ds_read2_b64 v[166:169], v1 offset0:8 offset1:9
	s_cmp_lt_i32 s18, 6
	s_cbranch_scc1 .LBB80_86
; %bb.84:
	v_mov_b32_e32 v174, 4
	v_add3_u32 v175, v176, 0, 0x50
	s_mov_b32 s1, 5
	s_inst_prefetch 0x1
	.p2align	6
.LBB80_85:                              ; =>This Inner Loop Header: Depth=1
	s_waitcnt lgkmcnt(0)
	v_cmp_gt_f64_e32 vcc_lo, 0, v[168:169]
	v_cmp_gt_f64_e64 s0, 0, v[166:167]
	ds_read2_b64 v[181:184], v175 offset1:1
	v_xor_b32_e32 v186, 0x80000000, v167
	v_xor_b32_e32 v188, 0x80000000, v169
	v_mov_b32_e32 v185, v166
	v_mov_b32_e32 v187, v168
	v_add_nc_u32_e32 v175, 16, v175
	s_waitcnt lgkmcnt(0)
	v_xor_b32_e32 v190, 0x80000000, v184
	v_cndmask_b32_e64 v186, v167, v186, s0
	v_cndmask_b32_e32 v188, v169, v188, vcc_lo
	v_cmp_gt_f64_e32 vcc_lo, 0, v[183:184]
	v_cmp_gt_f64_e64 s0, 0, v[181:182]
	v_mov_b32_e32 v189, v183
	v_add_f64 v[185:186], v[185:186], v[187:188]
	v_xor_b32_e32 v188, 0x80000000, v182
	v_mov_b32_e32 v187, v181
	v_cndmask_b32_e32 v190, v184, v190, vcc_lo
	v_cndmask_b32_e64 v188, v182, v188, s0
	v_add_f64 v[187:188], v[187:188], v[189:190]
	v_cmp_lt_f64_e32 vcc_lo, v[185:186], v[187:188]
	v_cndmask_b32_e32 v167, v167, v182, vcc_lo
	v_cndmask_b32_e32 v166, v166, v181, vcc_lo
	;; [unrolled: 1-line block ×4, first 2 shown]
	v_cndmask_b32_e64 v174, v174, s1, vcc_lo
	s_add_i32 s1, s1, 1
	s_cmp_lg_u32 s18, s1
	s_cbranch_scc1 .LBB80_85
.LBB80_86:
	s_inst_prefetch 0x2
	s_waitcnt lgkmcnt(0)
	v_cmp_eq_f64_e32 vcc_lo, 0, v[166:167]
	v_cmp_eq_f64_e64 s0, 0, v[168:169]
	s_and_b32 s0, vcc_lo, s0
	s_and_saveexec_b32 s1, s0
	s_xor_b32 s0, exec_lo, s1
; %bb.87:
	v_cmp_ne_u32_e32 vcc_lo, 0, v179
	v_cndmask_b32_e32 v179, 5, v179, vcc_lo
; %bb.88:
	s_andn2_saveexec_b32 s0, s0
	s_cbranch_execz .LBB80_94
; %bb.89:
	v_cmp_ngt_f64_e64 s1, |v[166:167]|, |v[168:169]|
	s_and_saveexec_b32 s2, s1
	s_xor_b32 s1, exec_lo, s2
	s_cbranch_execz .LBB80_91
; %bb.90:
	v_div_scale_f64 v[181:182], null, v[168:169], v[168:169], v[166:167]
	v_div_scale_f64 v[187:188], vcc_lo, v[166:167], v[168:169], v[166:167]
	v_rcp_f64_e32 v[183:184], v[181:182]
	v_fma_f64 v[185:186], -v[181:182], v[183:184], 1.0
	v_fma_f64 v[183:184], v[183:184], v[185:186], v[183:184]
	v_fma_f64 v[185:186], -v[181:182], v[183:184], 1.0
	v_fma_f64 v[183:184], v[183:184], v[185:186], v[183:184]
	v_mul_f64 v[185:186], v[187:188], v[183:184]
	v_fma_f64 v[181:182], -v[181:182], v[185:186], v[187:188]
	v_div_fmas_f64 v[181:182], v[181:182], v[183:184], v[185:186]
	v_div_fixup_f64 v[181:182], v[181:182], v[168:169], v[166:167]
	v_fma_f64 v[166:167], v[166:167], v[181:182], v[168:169]
	v_div_scale_f64 v[168:169], null, v[166:167], v[166:167], 1.0
	v_rcp_f64_e32 v[183:184], v[168:169]
	v_fma_f64 v[185:186], -v[168:169], v[183:184], 1.0
	v_fma_f64 v[183:184], v[183:184], v[185:186], v[183:184]
	v_fma_f64 v[185:186], -v[168:169], v[183:184], 1.0
	v_fma_f64 v[183:184], v[183:184], v[185:186], v[183:184]
	v_div_scale_f64 v[185:186], vcc_lo, 1.0, v[166:167], 1.0
	v_mul_f64 v[187:188], v[185:186], v[183:184]
	v_fma_f64 v[168:169], -v[168:169], v[187:188], v[185:186]
	v_div_fmas_f64 v[168:169], v[168:169], v[183:184], v[187:188]
	v_div_fixup_f64 v[168:169], v[168:169], v[166:167], 1.0
	v_mul_f64 v[166:167], v[181:182], v[168:169]
	v_xor_b32_e32 v169, 0x80000000, v169
.LBB80_91:
	s_andn2_saveexec_b32 s1, s1
	s_cbranch_execz .LBB80_93
; %bb.92:
	v_div_scale_f64 v[181:182], null, v[166:167], v[166:167], v[168:169]
	v_div_scale_f64 v[187:188], vcc_lo, v[168:169], v[166:167], v[168:169]
	v_rcp_f64_e32 v[183:184], v[181:182]
	v_fma_f64 v[185:186], -v[181:182], v[183:184], 1.0
	v_fma_f64 v[183:184], v[183:184], v[185:186], v[183:184]
	v_fma_f64 v[185:186], -v[181:182], v[183:184], 1.0
	v_fma_f64 v[183:184], v[183:184], v[185:186], v[183:184]
	v_mul_f64 v[185:186], v[187:188], v[183:184]
	v_fma_f64 v[181:182], -v[181:182], v[185:186], v[187:188]
	v_div_fmas_f64 v[181:182], v[181:182], v[183:184], v[185:186]
	v_div_fixup_f64 v[181:182], v[181:182], v[166:167], v[168:169]
	v_fma_f64 v[166:167], v[168:169], v[181:182], v[166:167]
	v_div_scale_f64 v[168:169], null, v[166:167], v[166:167], 1.0
	v_rcp_f64_e32 v[183:184], v[168:169]
	v_fma_f64 v[185:186], -v[168:169], v[183:184], 1.0
	v_fma_f64 v[183:184], v[183:184], v[185:186], v[183:184]
	v_fma_f64 v[185:186], -v[168:169], v[183:184], 1.0
	v_fma_f64 v[183:184], v[183:184], v[185:186], v[183:184]
	v_div_scale_f64 v[185:186], vcc_lo, 1.0, v[166:167], 1.0
	v_mul_f64 v[187:188], v[185:186], v[183:184]
	v_fma_f64 v[168:169], -v[168:169], v[187:188], v[185:186]
	v_div_fmas_f64 v[168:169], v[168:169], v[183:184], v[187:188]
	v_div_fixup_f64 v[166:167], v[168:169], v[166:167], 1.0
	v_mul_f64 v[168:169], v[181:182], -v[166:167]
.LBB80_93:
	s_or_b32 exec_lo, exec_lo, s1
.LBB80_94:
	s_or_b32 exec_lo, exec_lo, s0
	s_mov_b32 s0, exec_lo
	v_cmpx_ne_u32_e64 v180, v174
	s_xor_b32 s0, exec_lo, s0
	s_cbranch_execz .LBB80_100
; %bb.95:
	s_mov_b32 s1, exec_lo
	v_cmpx_eq_u32_e32 4, v180
	s_cbranch_execz .LBB80_99
; %bb.96:
	v_cmp_ne_u32_e32 vcc_lo, 4, v174
	s_xor_b32 s2, s16, -1
	s_and_b32 s3, s2, vcc_lo
	s_and_saveexec_b32 s2, s3
	s_cbranch_execz .LBB80_98
; %bb.97:
	v_ashrrev_i32_e32 v175, 31, v174
	v_lshlrev_b64 v[180:181], 2, v[174:175]
	v_add_co_u32 v180, vcc_lo, v172, v180
	v_add_co_ci_u32_e64 v181, null, v173, v181, vcc_lo
	s_clause 0x1
	global_load_dword v0, v[180:181], off
	global_load_dword v175, v[172:173], off offset:16
	s_waitcnt vmcnt(1)
	global_store_dword v[172:173], v0, off offset:16
	s_waitcnt vmcnt(0)
	global_store_dword v[180:181], v175, off
.LBB80_98:
	s_or_b32 exec_lo, exec_lo, s2
	v_mov_b32_e32 v180, v174
	v_mov_b32_e32 v0, v174
.LBB80_99:
	s_or_b32 exec_lo, exec_lo, s1
.LBB80_100:
	s_andn2_saveexec_b32 s0, s0
	s_cbranch_execz .LBB80_102
; %bb.101:
	v_mov_b32_e32 v180, 4
	ds_write2_b64 v1, v[142:143], v[144:145] offset0:10 offset1:11
	ds_write2_b64 v1, v[138:139], v[140:141] offset0:12 offset1:13
	;; [unrolled: 1-line block ×36, first 2 shown]
.LBB80_102:
	s_or_b32 exec_lo, exec_lo, s0
	s_mov_b32 s0, exec_lo
	s_waitcnt lgkmcnt(0)
	s_waitcnt_vscnt null, 0x0
	s_barrier
	buffer_gl0_inv
	v_cmpx_lt_i32_e32 4, v180
	s_cbranch_execz .LBB80_104
; %bb.103:
	v_mul_f64 v[174:175], v[168:169], v[148:149]
	v_mul_f64 v[148:149], v[166:167], v[148:149]
	v_fma_f64 v[174:175], v[166:167], v[146:147], -v[174:175]
	v_fma_f64 v[148:149], v[168:169], v[146:147], v[148:149]
	ds_read2_b64 v[166:169], v1 offset0:10 offset1:11
	s_waitcnt lgkmcnt(0)
	v_mul_f64 v[146:147], v[168:169], v[148:149]
	v_fma_f64 v[146:147], v[166:167], v[174:175], -v[146:147]
	v_mul_f64 v[166:167], v[166:167], v[148:149]
	v_add_f64 v[142:143], v[142:143], -v[146:147]
	v_fma_f64 v[166:167], v[168:169], v[174:175], v[166:167]
	v_add_f64 v[144:145], v[144:145], -v[166:167]
	ds_read2_b64 v[166:169], v1 offset0:12 offset1:13
	s_waitcnt lgkmcnt(0)
	v_mul_f64 v[146:147], v[168:169], v[148:149]
	v_fma_f64 v[146:147], v[166:167], v[174:175], -v[146:147]
	v_mul_f64 v[166:167], v[166:167], v[148:149]
	v_add_f64 v[138:139], v[138:139], -v[146:147]
	v_fma_f64 v[166:167], v[168:169], v[174:175], v[166:167]
	v_add_f64 v[140:141], v[140:141], -v[166:167]
	ds_read2_b64 v[166:169], v1 offset0:14 offset1:15
	s_waitcnt lgkmcnt(0)
	v_mul_f64 v[146:147], v[168:169], v[148:149]
	v_fma_f64 v[146:147], v[166:167], v[174:175], -v[146:147]
	v_mul_f64 v[166:167], v[166:167], v[148:149]
	v_add_f64 v[134:135], v[134:135], -v[146:147]
	v_fma_f64 v[166:167], v[168:169], v[174:175], v[166:167]
	v_add_f64 v[136:137], v[136:137], -v[166:167]
	ds_read2_b64 v[166:169], v1 offset0:16 offset1:17
	s_waitcnt lgkmcnt(0)
	v_mul_f64 v[146:147], v[168:169], v[148:149]
	v_fma_f64 v[146:147], v[166:167], v[174:175], -v[146:147]
	v_mul_f64 v[166:167], v[166:167], v[148:149]
	v_add_f64 v[130:131], v[130:131], -v[146:147]
	v_fma_f64 v[166:167], v[168:169], v[174:175], v[166:167]
	v_add_f64 v[132:133], v[132:133], -v[166:167]
	ds_read2_b64 v[166:169], v1 offset0:18 offset1:19
	s_waitcnt lgkmcnt(0)
	v_mul_f64 v[146:147], v[168:169], v[148:149]
	v_fma_f64 v[146:147], v[166:167], v[174:175], -v[146:147]
	v_mul_f64 v[166:167], v[166:167], v[148:149]
	v_add_f64 v[126:127], v[126:127], -v[146:147]
	v_fma_f64 v[166:167], v[168:169], v[174:175], v[166:167]
	v_add_f64 v[128:129], v[128:129], -v[166:167]
	ds_read2_b64 v[166:169], v1 offset0:20 offset1:21
	s_waitcnt lgkmcnt(0)
	v_mul_f64 v[146:147], v[168:169], v[148:149]
	v_fma_f64 v[146:147], v[166:167], v[174:175], -v[146:147]
	v_mul_f64 v[166:167], v[166:167], v[148:149]
	v_add_f64 v[122:123], v[122:123], -v[146:147]
	v_fma_f64 v[166:167], v[168:169], v[174:175], v[166:167]
	v_add_f64 v[124:125], v[124:125], -v[166:167]
	ds_read2_b64 v[166:169], v1 offset0:22 offset1:23
	s_waitcnt lgkmcnt(0)
	v_mul_f64 v[146:147], v[168:169], v[148:149]
	v_fma_f64 v[146:147], v[166:167], v[174:175], -v[146:147]
	v_mul_f64 v[166:167], v[166:167], v[148:149]
	v_add_f64 v[118:119], v[118:119], -v[146:147]
	v_fma_f64 v[166:167], v[168:169], v[174:175], v[166:167]
	v_add_f64 v[120:121], v[120:121], -v[166:167]
	ds_read2_b64 v[166:169], v1 offset0:24 offset1:25
	s_waitcnt lgkmcnt(0)
	v_mul_f64 v[146:147], v[168:169], v[148:149]
	v_fma_f64 v[146:147], v[166:167], v[174:175], -v[146:147]
	v_mul_f64 v[166:167], v[166:167], v[148:149]
	v_add_f64 v[114:115], v[114:115], -v[146:147]
	v_fma_f64 v[166:167], v[168:169], v[174:175], v[166:167]
	v_add_f64 v[116:117], v[116:117], -v[166:167]
	ds_read2_b64 v[166:169], v1 offset0:26 offset1:27
	s_waitcnt lgkmcnt(0)
	v_mul_f64 v[146:147], v[168:169], v[148:149]
	v_fma_f64 v[146:147], v[166:167], v[174:175], -v[146:147]
	v_mul_f64 v[166:167], v[166:167], v[148:149]
	v_add_f64 v[110:111], v[110:111], -v[146:147]
	v_fma_f64 v[166:167], v[168:169], v[174:175], v[166:167]
	v_add_f64 v[112:113], v[112:113], -v[166:167]
	ds_read2_b64 v[166:169], v1 offset0:28 offset1:29
	s_waitcnt lgkmcnt(0)
	v_mul_f64 v[146:147], v[168:169], v[148:149]
	v_fma_f64 v[146:147], v[166:167], v[174:175], -v[146:147]
	v_mul_f64 v[166:167], v[166:167], v[148:149]
	v_add_f64 v[106:107], v[106:107], -v[146:147]
	v_fma_f64 v[166:167], v[168:169], v[174:175], v[166:167]
	v_add_f64 v[108:109], v[108:109], -v[166:167]
	ds_read2_b64 v[166:169], v1 offset0:30 offset1:31
	s_waitcnt lgkmcnt(0)
	v_mul_f64 v[146:147], v[168:169], v[148:149]
	v_fma_f64 v[146:147], v[166:167], v[174:175], -v[146:147]
	v_mul_f64 v[166:167], v[166:167], v[148:149]
	v_add_f64 v[102:103], v[102:103], -v[146:147]
	v_fma_f64 v[166:167], v[168:169], v[174:175], v[166:167]
	v_add_f64 v[104:105], v[104:105], -v[166:167]
	ds_read2_b64 v[166:169], v1 offset0:32 offset1:33
	s_waitcnt lgkmcnt(0)
	v_mul_f64 v[146:147], v[168:169], v[148:149]
	v_fma_f64 v[146:147], v[166:167], v[174:175], -v[146:147]
	v_mul_f64 v[166:167], v[166:167], v[148:149]
	v_add_f64 v[98:99], v[98:99], -v[146:147]
	v_fma_f64 v[166:167], v[168:169], v[174:175], v[166:167]
	v_add_f64 v[100:101], v[100:101], -v[166:167]
	ds_read2_b64 v[166:169], v1 offset0:34 offset1:35
	s_waitcnt lgkmcnt(0)
	v_mul_f64 v[146:147], v[168:169], v[148:149]
	v_fma_f64 v[146:147], v[166:167], v[174:175], -v[146:147]
	v_mul_f64 v[166:167], v[166:167], v[148:149]
	v_add_f64 v[94:95], v[94:95], -v[146:147]
	v_fma_f64 v[166:167], v[168:169], v[174:175], v[166:167]
	v_add_f64 v[96:97], v[96:97], -v[166:167]
	ds_read2_b64 v[166:169], v1 offset0:36 offset1:37
	s_waitcnt lgkmcnt(0)
	v_mul_f64 v[146:147], v[168:169], v[148:149]
	v_fma_f64 v[146:147], v[166:167], v[174:175], -v[146:147]
	v_mul_f64 v[166:167], v[166:167], v[148:149]
	v_add_f64 v[90:91], v[90:91], -v[146:147]
	v_fma_f64 v[166:167], v[168:169], v[174:175], v[166:167]
	v_add_f64 v[92:93], v[92:93], -v[166:167]
	ds_read2_b64 v[166:169], v1 offset0:38 offset1:39
	s_waitcnt lgkmcnt(0)
	v_mul_f64 v[146:147], v[168:169], v[148:149]
	v_fma_f64 v[146:147], v[166:167], v[174:175], -v[146:147]
	v_mul_f64 v[166:167], v[166:167], v[148:149]
	v_add_f64 v[86:87], v[86:87], -v[146:147]
	v_fma_f64 v[166:167], v[168:169], v[174:175], v[166:167]
	v_add_f64 v[88:89], v[88:89], -v[166:167]
	ds_read2_b64 v[166:169], v1 offset0:40 offset1:41
	s_waitcnt lgkmcnt(0)
	v_mul_f64 v[146:147], v[168:169], v[148:149]
	v_fma_f64 v[146:147], v[166:167], v[174:175], -v[146:147]
	v_mul_f64 v[166:167], v[166:167], v[148:149]
	v_add_f64 v[82:83], v[82:83], -v[146:147]
	v_fma_f64 v[166:167], v[168:169], v[174:175], v[166:167]
	v_add_f64 v[84:85], v[84:85], -v[166:167]
	ds_read2_b64 v[166:169], v1 offset0:42 offset1:43
	s_waitcnt lgkmcnt(0)
	v_mul_f64 v[146:147], v[168:169], v[148:149]
	v_fma_f64 v[146:147], v[166:167], v[174:175], -v[146:147]
	v_mul_f64 v[166:167], v[166:167], v[148:149]
	v_add_f64 v[78:79], v[78:79], -v[146:147]
	v_fma_f64 v[166:167], v[168:169], v[174:175], v[166:167]
	v_add_f64 v[80:81], v[80:81], -v[166:167]
	ds_read2_b64 v[166:169], v1 offset0:44 offset1:45
	s_waitcnt lgkmcnt(0)
	v_mul_f64 v[146:147], v[168:169], v[148:149]
	v_fma_f64 v[146:147], v[166:167], v[174:175], -v[146:147]
	v_mul_f64 v[166:167], v[166:167], v[148:149]
	v_add_f64 v[74:75], v[74:75], -v[146:147]
	v_fma_f64 v[166:167], v[168:169], v[174:175], v[166:167]
	v_add_f64 v[76:77], v[76:77], -v[166:167]
	ds_read2_b64 v[166:169], v1 offset0:46 offset1:47
	s_waitcnt lgkmcnt(0)
	v_mul_f64 v[146:147], v[168:169], v[148:149]
	v_fma_f64 v[146:147], v[166:167], v[174:175], -v[146:147]
	v_mul_f64 v[166:167], v[166:167], v[148:149]
	v_add_f64 v[70:71], v[70:71], -v[146:147]
	v_fma_f64 v[166:167], v[168:169], v[174:175], v[166:167]
	v_add_f64 v[72:73], v[72:73], -v[166:167]
	ds_read2_b64 v[166:169], v1 offset0:48 offset1:49
	s_waitcnt lgkmcnt(0)
	v_mul_f64 v[146:147], v[168:169], v[148:149]
	v_fma_f64 v[146:147], v[166:167], v[174:175], -v[146:147]
	v_mul_f64 v[166:167], v[166:167], v[148:149]
	v_add_f64 v[66:67], v[66:67], -v[146:147]
	v_fma_f64 v[166:167], v[168:169], v[174:175], v[166:167]
	v_add_f64 v[68:69], v[68:69], -v[166:167]
	ds_read2_b64 v[166:169], v1 offset0:50 offset1:51
	s_waitcnt lgkmcnt(0)
	v_mul_f64 v[146:147], v[168:169], v[148:149]
	v_fma_f64 v[146:147], v[166:167], v[174:175], -v[146:147]
	v_mul_f64 v[166:167], v[166:167], v[148:149]
	v_add_f64 v[62:63], v[62:63], -v[146:147]
	v_fma_f64 v[166:167], v[168:169], v[174:175], v[166:167]
	v_add_f64 v[64:65], v[64:65], -v[166:167]
	ds_read2_b64 v[166:169], v1 offset0:52 offset1:53
	s_waitcnt lgkmcnt(0)
	v_mul_f64 v[146:147], v[168:169], v[148:149]
	v_fma_f64 v[146:147], v[166:167], v[174:175], -v[146:147]
	v_mul_f64 v[166:167], v[166:167], v[148:149]
	v_add_f64 v[58:59], v[58:59], -v[146:147]
	v_fma_f64 v[166:167], v[168:169], v[174:175], v[166:167]
	v_add_f64 v[60:61], v[60:61], -v[166:167]
	ds_read2_b64 v[166:169], v1 offset0:54 offset1:55
	s_waitcnt lgkmcnt(0)
	v_mul_f64 v[146:147], v[168:169], v[148:149]
	v_fma_f64 v[146:147], v[166:167], v[174:175], -v[146:147]
	v_mul_f64 v[166:167], v[166:167], v[148:149]
	v_add_f64 v[54:55], v[54:55], -v[146:147]
	v_fma_f64 v[166:167], v[168:169], v[174:175], v[166:167]
	v_add_f64 v[56:57], v[56:57], -v[166:167]
	ds_read2_b64 v[166:169], v1 offset0:56 offset1:57
	s_waitcnt lgkmcnt(0)
	v_mul_f64 v[146:147], v[168:169], v[148:149]
	v_fma_f64 v[146:147], v[166:167], v[174:175], -v[146:147]
	v_mul_f64 v[166:167], v[166:167], v[148:149]
	v_add_f64 v[50:51], v[50:51], -v[146:147]
	v_fma_f64 v[166:167], v[168:169], v[174:175], v[166:167]
	v_add_f64 v[52:53], v[52:53], -v[166:167]
	ds_read2_b64 v[166:169], v1 offset0:58 offset1:59
	s_waitcnt lgkmcnt(0)
	v_mul_f64 v[146:147], v[168:169], v[148:149]
	v_fma_f64 v[146:147], v[166:167], v[174:175], -v[146:147]
	v_mul_f64 v[166:167], v[166:167], v[148:149]
	v_add_f64 v[46:47], v[46:47], -v[146:147]
	v_fma_f64 v[166:167], v[168:169], v[174:175], v[166:167]
	v_add_f64 v[48:49], v[48:49], -v[166:167]
	ds_read2_b64 v[166:169], v1 offset0:60 offset1:61
	s_waitcnt lgkmcnt(0)
	v_mul_f64 v[146:147], v[168:169], v[148:149]
	v_fma_f64 v[146:147], v[166:167], v[174:175], -v[146:147]
	v_mul_f64 v[166:167], v[166:167], v[148:149]
	v_add_f64 v[42:43], v[42:43], -v[146:147]
	v_fma_f64 v[166:167], v[168:169], v[174:175], v[166:167]
	v_add_f64 v[44:45], v[44:45], -v[166:167]
	ds_read2_b64 v[166:169], v1 offset0:62 offset1:63
	s_waitcnt lgkmcnt(0)
	v_mul_f64 v[146:147], v[168:169], v[148:149]
	v_fma_f64 v[146:147], v[166:167], v[174:175], -v[146:147]
	v_mul_f64 v[166:167], v[166:167], v[148:149]
	v_add_f64 v[38:39], v[38:39], -v[146:147]
	v_fma_f64 v[166:167], v[168:169], v[174:175], v[166:167]
	v_add_f64 v[40:41], v[40:41], -v[166:167]
	ds_read2_b64 v[166:169], v1 offset0:64 offset1:65
	s_waitcnt lgkmcnt(0)
	v_mul_f64 v[146:147], v[168:169], v[148:149]
	v_fma_f64 v[146:147], v[166:167], v[174:175], -v[146:147]
	v_mul_f64 v[166:167], v[166:167], v[148:149]
	v_add_f64 v[34:35], v[34:35], -v[146:147]
	v_fma_f64 v[166:167], v[168:169], v[174:175], v[166:167]
	v_add_f64 v[36:37], v[36:37], -v[166:167]
	ds_read2_b64 v[166:169], v1 offset0:66 offset1:67
	s_waitcnt lgkmcnt(0)
	v_mul_f64 v[146:147], v[168:169], v[148:149]
	v_fma_f64 v[146:147], v[166:167], v[174:175], -v[146:147]
	v_mul_f64 v[166:167], v[166:167], v[148:149]
	v_add_f64 v[30:31], v[30:31], -v[146:147]
	v_fma_f64 v[166:167], v[168:169], v[174:175], v[166:167]
	v_add_f64 v[32:33], v[32:33], -v[166:167]
	ds_read2_b64 v[166:169], v1 offset0:68 offset1:69
	s_waitcnt lgkmcnt(0)
	v_mul_f64 v[146:147], v[168:169], v[148:149]
	v_fma_f64 v[146:147], v[166:167], v[174:175], -v[146:147]
	v_mul_f64 v[166:167], v[166:167], v[148:149]
	v_add_f64 v[26:27], v[26:27], -v[146:147]
	v_fma_f64 v[166:167], v[168:169], v[174:175], v[166:167]
	v_add_f64 v[28:29], v[28:29], -v[166:167]
	ds_read2_b64 v[166:169], v1 offset0:70 offset1:71
	s_waitcnt lgkmcnt(0)
	v_mul_f64 v[146:147], v[168:169], v[148:149]
	v_fma_f64 v[146:147], v[166:167], v[174:175], -v[146:147]
	v_mul_f64 v[166:167], v[166:167], v[148:149]
	v_add_f64 v[22:23], v[22:23], -v[146:147]
	v_fma_f64 v[166:167], v[168:169], v[174:175], v[166:167]
	v_add_f64 v[24:25], v[24:25], -v[166:167]
	ds_read2_b64 v[166:169], v1 offset0:72 offset1:73
	s_waitcnt lgkmcnt(0)
	v_mul_f64 v[146:147], v[168:169], v[148:149]
	v_fma_f64 v[146:147], v[166:167], v[174:175], -v[146:147]
	v_mul_f64 v[166:167], v[166:167], v[148:149]
	v_add_f64 v[18:19], v[18:19], -v[146:147]
	v_fma_f64 v[166:167], v[168:169], v[174:175], v[166:167]
	v_add_f64 v[20:21], v[20:21], -v[166:167]
	ds_read2_b64 v[166:169], v1 offset0:74 offset1:75
	s_waitcnt lgkmcnt(0)
	v_mul_f64 v[146:147], v[168:169], v[148:149]
	v_fma_f64 v[146:147], v[166:167], v[174:175], -v[146:147]
	v_mul_f64 v[166:167], v[166:167], v[148:149]
	v_add_f64 v[14:15], v[14:15], -v[146:147]
	v_fma_f64 v[166:167], v[168:169], v[174:175], v[166:167]
	v_add_f64 v[16:17], v[16:17], -v[166:167]
	ds_read2_b64 v[166:169], v1 offset0:76 offset1:77
	s_waitcnt lgkmcnt(0)
	v_mul_f64 v[146:147], v[168:169], v[148:149]
	v_fma_f64 v[146:147], v[166:167], v[174:175], -v[146:147]
	v_mul_f64 v[166:167], v[166:167], v[148:149]
	v_add_f64 v[10:11], v[10:11], -v[146:147]
	v_fma_f64 v[166:167], v[168:169], v[174:175], v[166:167]
	v_add_f64 v[12:13], v[12:13], -v[166:167]
	ds_read2_b64 v[166:169], v1 offset0:78 offset1:79
	s_waitcnt lgkmcnt(0)
	v_mul_f64 v[146:147], v[168:169], v[148:149]
	v_fma_f64 v[146:147], v[166:167], v[174:175], -v[146:147]
	v_mul_f64 v[166:167], v[166:167], v[148:149]
	v_add_f64 v[6:7], v[6:7], -v[146:147]
	v_fma_f64 v[166:167], v[168:169], v[174:175], v[166:167]
	v_add_f64 v[8:9], v[8:9], -v[166:167]
	ds_read2_b64 v[166:169], v1 offset0:80 offset1:81
	s_waitcnt lgkmcnt(0)
	v_mul_f64 v[146:147], v[168:169], v[148:149]
	v_fma_f64 v[146:147], v[166:167], v[174:175], -v[146:147]
	v_mul_f64 v[166:167], v[166:167], v[148:149]
	v_add_f64 v[2:3], v[2:3], -v[146:147]
	v_fma_f64 v[166:167], v[168:169], v[174:175], v[166:167]
	v_mov_b32_e32 v146, v174
	v_mov_b32_e32 v147, v175
	v_add_f64 v[4:5], v[4:5], -v[166:167]
.LBB80_104:
	s_or_b32 exec_lo, exec_lo, s0
	v_lshl_add_u32 v166, v180, 4, v1
	s_barrier
	buffer_gl0_inv
	v_mov_b32_e32 v174, 5
	ds_write2_b64 v166, v[142:143], v[144:145] offset1:1
	s_waitcnt lgkmcnt(0)
	s_barrier
	buffer_gl0_inv
	ds_read2_b64 v[166:169], v1 offset0:10 offset1:11
	s_cmp_lt_i32 s18, 7
	s_cbranch_scc1 .LBB80_107
; %bb.105:
	v_add3_u32 v175, v176, 0, 0x60
	v_mov_b32_e32 v174, 5
	s_mov_b32 s1, 6
	s_inst_prefetch 0x1
	.p2align	6
.LBB80_106:                             ; =>This Inner Loop Header: Depth=1
	s_waitcnt lgkmcnt(0)
	v_cmp_gt_f64_e32 vcc_lo, 0, v[168:169]
	v_cmp_gt_f64_e64 s0, 0, v[166:167]
	ds_read2_b64 v[181:184], v175 offset1:1
	v_xor_b32_e32 v186, 0x80000000, v167
	v_xor_b32_e32 v188, 0x80000000, v169
	v_mov_b32_e32 v185, v166
	v_mov_b32_e32 v187, v168
	v_add_nc_u32_e32 v175, 16, v175
	s_waitcnt lgkmcnt(0)
	v_xor_b32_e32 v190, 0x80000000, v184
	v_cndmask_b32_e64 v186, v167, v186, s0
	v_cndmask_b32_e32 v188, v169, v188, vcc_lo
	v_cmp_gt_f64_e32 vcc_lo, 0, v[183:184]
	v_cmp_gt_f64_e64 s0, 0, v[181:182]
	v_mov_b32_e32 v189, v183
	v_add_f64 v[185:186], v[185:186], v[187:188]
	v_xor_b32_e32 v188, 0x80000000, v182
	v_mov_b32_e32 v187, v181
	v_cndmask_b32_e32 v190, v184, v190, vcc_lo
	v_cndmask_b32_e64 v188, v182, v188, s0
	v_add_f64 v[187:188], v[187:188], v[189:190]
	v_cmp_lt_f64_e32 vcc_lo, v[185:186], v[187:188]
	v_cndmask_b32_e32 v167, v167, v182, vcc_lo
	v_cndmask_b32_e32 v166, v166, v181, vcc_lo
	;; [unrolled: 1-line block ×4, first 2 shown]
	v_cndmask_b32_e64 v174, v174, s1, vcc_lo
	s_add_i32 s1, s1, 1
	s_cmp_lg_u32 s18, s1
	s_cbranch_scc1 .LBB80_106
.LBB80_107:
	s_inst_prefetch 0x2
	s_waitcnt lgkmcnt(0)
	v_cmp_eq_f64_e32 vcc_lo, 0, v[166:167]
	v_cmp_eq_f64_e64 s0, 0, v[168:169]
	s_and_b32 s0, vcc_lo, s0
	s_and_saveexec_b32 s1, s0
	s_xor_b32 s0, exec_lo, s1
; %bb.108:
	v_cmp_ne_u32_e32 vcc_lo, 0, v179
	v_cndmask_b32_e32 v179, 6, v179, vcc_lo
; %bb.109:
	s_andn2_saveexec_b32 s0, s0
	s_cbranch_execz .LBB80_115
; %bb.110:
	v_cmp_ngt_f64_e64 s1, |v[166:167]|, |v[168:169]|
	s_and_saveexec_b32 s2, s1
	s_xor_b32 s1, exec_lo, s2
	s_cbranch_execz .LBB80_112
; %bb.111:
	v_div_scale_f64 v[181:182], null, v[168:169], v[168:169], v[166:167]
	v_div_scale_f64 v[187:188], vcc_lo, v[166:167], v[168:169], v[166:167]
	v_rcp_f64_e32 v[183:184], v[181:182]
	v_fma_f64 v[185:186], -v[181:182], v[183:184], 1.0
	v_fma_f64 v[183:184], v[183:184], v[185:186], v[183:184]
	v_fma_f64 v[185:186], -v[181:182], v[183:184], 1.0
	v_fma_f64 v[183:184], v[183:184], v[185:186], v[183:184]
	v_mul_f64 v[185:186], v[187:188], v[183:184]
	v_fma_f64 v[181:182], -v[181:182], v[185:186], v[187:188]
	v_div_fmas_f64 v[181:182], v[181:182], v[183:184], v[185:186]
	v_div_fixup_f64 v[181:182], v[181:182], v[168:169], v[166:167]
	v_fma_f64 v[166:167], v[166:167], v[181:182], v[168:169]
	v_div_scale_f64 v[168:169], null, v[166:167], v[166:167], 1.0
	v_rcp_f64_e32 v[183:184], v[168:169]
	v_fma_f64 v[185:186], -v[168:169], v[183:184], 1.0
	v_fma_f64 v[183:184], v[183:184], v[185:186], v[183:184]
	v_fma_f64 v[185:186], -v[168:169], v[183:184], 1.0
	v_fma_f64 v[183:184], v[183:184], v[185:186], v[183:184]
	v_div_scale_f64 v[185:186], vcc_lo, 1.0, v[166:167], 1.0
	v_mul_f64 v[187:188], v[185:186], v[183:184]
	v_fma_f64 v[168:169], -v[168:169], v[187:188], v[185:186]
	v_div_fmas_f64 v[168:169], v[168:169], v[183:184], v[187:188]
	v_div_fixup_f64 v[168:169], v[168:169], v[166:167], 1.0
	v_mul_f64 v[166:167], v[181:182], v[168:169]
	v_xor_b32_e32 v169, 0x80000000, v169
.LBB80_112:
	s_andn2_saveexec_b32 s1, s1
	s_cbranch_execz .LBB80_114
; %bb.113:
	v_div_scale_f64 v[181:182], null, v[166:167], v[166:167], v[168:169]
	v_div_scale_f64 v[187:188], vcc_lo, v[168:169], v[166:167], v[168:169]
	v_rcp_f64_e32 v[183:184], v[181:182]
	v_fma_f64 v[185:186], -v[181:182], v[183:184], 1.0
	v_fma_f64 v[183:184], v[183:184], v[185:186], v[183:184]
	v_fma_f64 v[185:186], -v[181:182], v[183:184], 1.0
	v_fma_f64 v[183:184], v[183:184], v[185:186], v[183:184]
	v_mul_f64 v[185:186], v[187:188], v[183:184]
	v_fma_f64 v[181:182], -v[181:182], v[185:186], v[187:188]
	v_div_fmas_f64 v[181:182], v[181:182], v[183:184], v[185:186]
	v_div_fixup_f64 v[181:182], v[181:182], v[166:167], v[168:169]
	v_fma_f64 v[166:167], v[168:169], v[181:182], v[166:167]
	v_div_scale_f64 v[168:169], null, v[166:167], v[166:167], 1.0
	v_rcp_f64_e32 v[183:184], v[168:169]
	v_fma_f64 v[185:186], -v[168:169], v[183:184], 1.0
	v_fma_f64 v[183:184], v[183:184], v[185:186], v[183:184]
	v_fma_f64 v[185:186], -v[168:169], v[183:184], 1.0
	v_fma_f64 v[183:184], v[183:184], v[185:186], v[183:184]
	v_div_scale_f64 v[185:186], vcc_lo, 1.0, v[166:167], 1.0
	v_mul_f64 v[187:188], v[185:186], v[183:184]
	v_fma_f64 v[168:169], -v[168:169], v[187:188], v[185:186]
	v_div_fmas_f64 v[168:169], v[168:169], v[183:184], v[187:188]
	v_div_fixup_f64 v[166:167], v[168:169], v[166:167], 1.0
	v_mul_f64 v[168:169], v[181:182], -v[166:167]
.LBB80_114:
	s_or_b32 exec_lo, exec_lo, s1
.LBB80_115:
	s_or_b32 exec_lo, exec_lo, s0
	s_mov_b32 s0, exec_lo
	v_cmpx_ne_u32_e64 v180, v174
	s_xor_b32 s0, exec_lo, s0
	s_cbranch_execz .LBB80_121
; %bb.116:
	s_mov_b32 s1, exec_lo
	v_cmpx_eq_u32_e32 5, v180
	s_cbranch_execz .LBB80_120
; %bb.117:
	v_cmp_ne_u32_e32 vcc_lo, 5, v174
	s_xor_b32 s2, s16, -1
	s_and_b32 s3, s2, vcc_lo
	s_and_saveexec_b32 s2, s3
	s_cbranch_execz .LBB80_119
; %bb.118:
	v_ashrrev_i32_e32 v175, 31, v174
	v_lshlrev_b64 v[180:181], 2, v[174:175]
	v_add_co_u32 v180, vcc_lo, v172, v180
	v_add_co_ci_u32_e64 v181, null, v173, v181, vcc_lo
	s_clause 0x1
	global_load_dword v0, v[180:181], off
	global_load_dword v175, v[172:173], off offset:20
	s_waitcnt vmcnt(1)
	global_store_dword v[172:173], v0, off offset:20
	s_waitcnt vmcnt(0)
	global_store_dword v[180:181], v175, off
.LBB80_119:
	s_or_b32 exec_lo, exec_lo, s2
	v_mov_b32_e32 v180, v174
	v_mov_b32_e32 v0, v174
.LBB80_120:
	s_or_b32 exec_lo, exec_lo, s1
.LBB80_121:
	s_andn2_saveexec_b32 s0, s0
	s_cbranch_execz .LBB80_123
; %bb.122:
	v_mov_b32_e32 v180, 5
	ds_write2_b64 v1, v[138:139], v[140:141] offset0:12 offset1:13
	ds_write2_b64 v1, v[134:135], v[136:137] offset0:14 offset1:15
	;; [unrolled: 1-line block ×35, first 2 shown]
.LBB80_123:
	s_or_b32 exec_lo, exec_lo, s0
	s_mov_b32 s0, exec_lo
	s_waitcnt lgkmcnt(0)
	s_waitcnt_vscnt null, 0x0
	s_barrier
	buffer_gl0_inv
	v_cmpx_lt_i32_e32 5, v180
	s_cbranch_execz .LBB80_125
; %bb.124:
	v_mul_f64 v[174:175], v[168:169], v[144:145]
	v_mul_f64 v[144:145], v[166:167], v[144:145]
	v_fma_f64 v[174:175], v[166:167], v[142:143], -v[174:175]
	v_fma_f64 v[144:145], v[168:169], v[142:143], v[144:145]
	ds_read2_b64 v[166:169], v1 offset0:12 offset1:13
	s_waitcnt lgkmcnt(0)
	v_mul_f64 v[142:143], v[168:169], v[144:145]
	v_fma_f64 v[142:143], v[166:167], v[174:175], -v[142:143]
	v_mul_f64 v[166:167], v[166:167], v[144:145]
	v_add_f64 v[138:139], v[138:139], -v[142:143]
	v_fma_f64 v[166:167], v[168:169], v[174:175], v[166:167]
	v_add_f64 v[140:141], v[140:141], -v[166:167]
	ds_read2_b64 v[166:169], v1 offset0:14 offset1:15
	s_waitcnt lgkmcnt(0)
	v_mul_f64 v[142:143], v[168:169], v[144:145]
	v_fma_f64 v[142:143], v[166:167], v[174:175], -v[142:143]
	v_mul_f64 v[166:167], v[166:167], v[144:145]
	v_add_f64 v[134:135], v[134:135], -v[142:143]
	v_fma_f64 v[166:167], v[168:169], v[174:175], v[166:167]
	v_add_f64 v[136:137], v[136:137], -v[166:167]
	;; [unrolled: 8-line block ×34, first 2 shown]
	ds_read2_b64 v[166:169], v1 offset0:80 offset1:81
	s_waitcnt lgkmcnt(0)
	v_mul_f64 v[142:143], v[168:169], v[144:145]
	v_fma_f64 v[142:143], v[166:167], v[174:175], -v[142:143]
	v_mul_f64 v[166:167], v[166:167], v[144:145]
	v_add_f64 v[2:3], v[2:3], -v[142:143]
	v_fma_f64 v[166:167], v[168:169], v[174:175], v[166:167]
	v_mov_b32_e32 v142, v174
	v_mov_b32_e32 v143, v175
	v_add_f64 v[4:5], v[4:5], -v[166:167]
.LBB80_125:
	s_or_b32 exec_lo, exec_lo, s0
	v_lshl_add_u32 v166, v180, 4, v1
	s_barrier
	buffer_gl0_inv
	v_mov_b32_e32 v174, 6
	ds_write2_b64 v166, v[138:139], v[140:141] offset1:1
	s_waitcnt lgkmcnt(0)
	s_barrier
	buffer_gl0_inv
	ds_read2_b64 v[166:169], v1 offset0:12 offset1:13
	s_cmp_lt_i32 s18, 8
	s_cbranch_scc1 .LBB80_128
; %bb.126:
	v_add3_u32 v175, v176, 0, 0x70
	v_mov_b32_e32 v174, 6
	s_mov_b32 s1, 7
	s_inst_prefetch 0x1
	.p2align	6
.LBB80_127:                             ; =>This Inner Loop Header: Depth=1
	s_waitcnt lgkmcnt(0)
	v_cmp_gt_f64_e32 vcc_lo, 0, v[168:169]
	v_cmp_gt_f64_e64 s0, 0, v[166:167]
	ds_read2_b64 v[181:184], v175 offset1:1
	v_xor_b32_e32 v186, 0x80000000, v167
	v_xor_b32_e32 v188, 0x80000000, v169
	v_mov_b32_e32 v185, v166
	v_mov_b32_e32 v187, v168
	v_add_nc_u32_e32 v175, 16, v175
	s_waitcnt lgkmcnt(0)
	v_xor_b32_e32 v190, 0x80000000, v184
	v_cndmask_b32_e64 v186, v167, v186, s0
	v_cndmask_b32_e32 v188, v169, v188, vcc_lo
	v_cmp_gt_f64_e32 vcc_lo, 0, v[183:184]
	v_cmp_gt_f64_e64 s0, 0, v[181:182]
	v_mov_b32_e32 v189, v183
	v_add_f64 v[185:186], v[185:186], v[187:188]
	v_xor_b32_e32 v188, 0x80000000, v182
	v_mov_b32_e32 v187, v181
	v_cndmask_b32_e32 v190, v184, v190, vcc_lo
	v_cndmask_b32_e64 v188, v182, v188, s0
	v_add_f64 v[187:188], v[187:188], v[189:190]
	v_cmp_lt_f64_e32 vcc_lo, v[185:186], v[187:188]
	v_cndmask_b32_e32 v167, v167, v182, vcc_lo
	v_cndmask_b32_e32 v166, v166, v181, vcc_lo
	;; [unrolled: 1-line block ×4, first 2 shown]
	v_cndmask_b32_e64 v174, v174, s1, vcc_lo
	s_add_i32 s1, s1, 1
	s_cmp_lg_u32 s18, s1
	s_cbranch_scc1 .LBB80_127
.LBB80_128:
	s_inst_prefetch 0x2
	s_waitcnt lgkmcnt(0)
	v_cmp_eq_f64_e32 vcc_lo, 0, v[166:167]
	v_cmp_eq_f64_e64 s0, 0, v[168:169]
	s_and_b32 s0, vcc_lo, s0
	s_and_saveexec_b32 s1, s0
	s_xor_b32 s0, exec_lo, s1
; %bb.129:
	v_cmp_ne_u32_e32 vcc_lo, 0, v179
	v_cndmask_b32_e32 v179, 7, v179, vcc_lo
; %bb.130:
	s_andn2_saveexec_b32 s0, s0
	s_cbranch_execz .LBB80_136
; %bb.131:
	v_cmp_ngt_f64_e64 s1, |v[166:167]|, |v[168:169]|
	s_and_saveexec_b32 s2, s1
	s_xor_b32 s1, exec_lo, s2
	s_cbranch_execz .LBB80_133
; %bb.132:
	v_div_scale_f64 v[181:182], null, v[168:169], v[168:169], v[166:167]
	v_div_scale_f64 v[187:188], vcc_lo, v[166:167], v[168:169], v[166:167]
	v_rcp_f64_e32 v[183:184], v[181:182]
	v_fma_f64 v[185:186], -v[181:182], v[183:184], 1.0
	v_fma_f64 v[183:184], v[183:184], v[185:186], v[183:184]
	v_fma_f64 v[185:186], -v[181:182], v[183:184], 1.0
	v_fma_f64 v[183:184], v[183:184], v[185:186], v[183:184]
	v_mul_f64 v[185:186], v[187:188], v[183:184]
	v_fma_f64 v[181:182], -v[181:182], v[185:186], v[187:188]
	v_div_fmas_f64 v[181:182], v[181:182], v[183:184], v[185:186]
	v_div_fixup_f64 v[181:182], v[181:182], v[168:169], v[166:167]
	v_fma_f64 v[166:167], v[166:167], v[181:182], v[168:169]
	v_div_scale_f64 v[168:169], null, v[166:167], v[166:167], 1.0
	v_rcp_f64_e32 v[183:184], v[168:169]
	v_fma_f64 v[185:186], -v[168:169], v[183:184], 1.0
	v_fma_f64 v[183:184], v[183:184], v[185:186], v[183:184]
	v_fma_f64 v[185:186], -v[168:169], v[183:184], 1.0
	v_fma_f64 v[183:184], v[183:184], v[185:186], v[183:184]
	v_div_scale_f64 v[185:186], vcc_lo, 1.0, v[166:167], 1.0
	v_mul_f64 v[187:188], v[185:186], v[183:184]
	v_fma_f64 v[168:169], -v[168:169], v[187:188], v[185:186]
	v_div_fmas_f64 v[168:169], v[168:169], v[183:184], v[187:188]
	v_div_fixup_f64 v[168:169], v[168:169], v[166:167], 1.0
	v_mul_f64 v[166:167], v[181:182], v[168:169]
	v_xor_b32_e32 v169, 0x80000000, v169
.LBB80_133:
	s_andn2_saveexec_b32 s1, s1
	s_cbranch_execz .LBB80_135
; %bb.134:
	v_div_scale_f64 v[181:182], null, v[166:167], v[166:167], v[168:169]
	v_div_scale_f64 v[187:188], vcc_lo, v[168:169], v[166:167], v[168:169]
	v_rcp_f64_e32 v[183:184], v[181:182]
	v_fma_f64 v[185:186], -v[181:182], v[183:184], 1.0
	v_fma_f64 v[183:184], v[183:184], v[185:186], v[183:184]
	v_fma_f64 v[185:186], -v[181:182], v[183:184], 1.0
	v_fma_f64 v[183:184], v[183:184], v[185:186], v[183:184]
	v_mul_f64 v[185:186], v[187:188], v[183:184]
	v_fma_f64 v[181:182], -v[181:182], v[185:186], v[187:188]
	v_div_fmas_f64 v[181:182], v[181:182], v[183:184], v[185:186]
	v_div_fixup_f64 v[181:182], v[181:182], v[166:167], v[168:169]
	v_fma_f64 v[166:167], v[168:169], v[181:182], v[166:167]
	v_div_scale_f64 v[168:169], null, v[166:167], v[166:167], 1.0
	v_rcp_f64_e32 v[183:184], v[168:169]
	v_fma_f64 v[185:186], -v[168:169], v[183:184], 1.0
	v_fma_f64 v[183:184], v[183:184], v[185:186], v[183:184]
	v_fma_f64 v[185:186], -v[168:169], v[183:184], 1.0
	v_fma_f64 v[183:184], v[183:184], v[185:186], v[183:184]
	v_div_scale_f64 v[185:186], vcc_lo, 1.0, v[166:167], 1.0
	v_mul_f64 v[187:188], v[185:186], v[183:184]
	v_fma_f64 v[168:169], -v[168:169], v[187:188], v[185:186]
	v_div_fmas_f64 v[168:169], v[168:169], v[183:184], v[187:188]
	v_div_fixup_f64 v[166:167], v[168:169], v[166:167], 1.0
	v_mul_f64 v[168:169], v[181:182], -v[166:167]
.LBB80_135:
	s_or_b32 exec_lo, exec_lo, s1
.LBB80_136:
	s_or_b32 exec_lo, exec_lo, s0
	s_mov_b32 s0, exec_lo
	v_cmpx_ne_u32_e64 v180, v174
	s_xor_b32 s0, exec_lo, s0
	s_cbranch_execz .LBB80_142
; %bb.137:
	s_mov_b32 s1, exec_lo
	v_cmpx_eq_u32_e32 6, v180
	s_cbranch_execz .LBB80_141
; %bb.138:
	v_cmp_ne_u32_e32 vcc_lo, 6, v174
	s_xor_b32 s2, s16, -1
	s_and_b32 s3, s2, vcc_lo
	s_and_saveexec_b32 s2, s3
	s_cbranch_execz .LBB80_140
; %bb.139:
	v_ashrrev_i32_e32 v175, 31, v174
	v_lshlrev_b64 v[180:181], 2, v[174:175]
	v_add_co_u32 v180, vcc_lo, v172, v180
	v_add_co_ci_u32_e64 v181, null, v173, v181, vcc_lo
	s_clause 0x1
	global_load_dword v0, v[180:181], off
	global_load_dword v175, v[172:173], off offset:24
	s_waitcnt vmcnt(1)
	global_store_dword v[172:173], v0, off offset:24
	s_waitcnt vmcnt(0)
	global_store_dword v[180:181], v175, off
.LBB80_140:
	s_or_b32 exec_lo, exec_lo, s2
	v_mov_b32_e32 v180, v174
	v_mov_b32_e32 v0, v174
.LBB80_141:
	s_or_b32 exec_lo, exec_lo, s1
.LBB80_142:
	s_andn2_saveexec_b32 s0, s0
	s_cbranch_execz .LBB80_144
; %bb.143:
	v_mov_b32_e32 v180, 6
	ds_write2_b64 v1, v[134:135], v[136:137] offset0:14 offset1:15
	ds_write2_b64 v1, v[130:131], v[132:133] offset0:16 offset1:17
	;; [unrolled: 1-line block ×34, first 2 shown]
.LBB80_144:
	s_or_b32 exec_lo, exec_lo, s0
	s_mov_b32 s0, exec_lo
	s_waitcnt lgkmcnt(0)
	s_waitcnt_vscnt null, 0x0
	s_barrier
	buffer_gl0_inv
	v_cmpx_lt_i32_e32 6, v180
	s_cbranch_execz .LBB80_146
; %bb.145:
	v_mul_f64 v[174:175], v[168:169], v[140:141]
	v_mul_f64 v[140:141], v[166:167], v[140:141]
	v_fma_f64 v[174:175], v[166:167], v[138:139], -v[174:175]
	v_fma_f64 v[140:141], v[168:169], v[138:139], v[140:141]
	ds_read2_b64 v[166:169], v1 offset0:14 offset1:15
	s_waitcnt lgkmcnt(0)
	v_mul_f64 v[138:139], v[168:169], v[140:141]
	v_fma_f64 v[138:139], v[166:167], v[174:175], -v[138:139]
	v_mul_f64 v[166:167], v[166:167], v[140:141]
	v_add_f64 v[134:135], v[134:135], -v[138:139]
	v_fma_f64 v[166:167], v[168:169], v[174:175], v[166:167]
	v_add_f64 v[136:137], v[136:137], -v[166:167]
	ds_read2_b64 v[166:169], v1 offset0:16 offset1:17
	s_waitcnt lgkmcnt(0)
	v_mul_f64 v[138:139], v[168:169], v[140:141]
	v_fma_f64 v[138:139], v[166:167], v[174:175], -v[138:139]
	v_mul_f64 v[166:167], v[166:167], v[140:141]
	v_add_f64 v[130:131], v[130:131], -v[138:139]
	v_fma_f64 v[166:167], v[168:169], v[174:175], v[166:167]
	v_add_f64 v[132:133], v[132:133], -v[166:167]
	;; [unrolled: 8-line block ×33, first 2 shown]
	ds_read2_b64 v[166:169], v1 offset0:80 offset1:81
	s_waitcnt lgkmcnt(0)
	v_mul_f64 v[138:139], v[168:169], v[140:141]
	v_fma_f64 v[138:139], v[166:167], v[174:175], -v[138:139]
	v_mul_f64 v[166:167], v[166:167], v[140:141]
	v_add_f64 v[2:3], v[2:3], -v[138:139]
	v_fma_f64 v[166:167], v[168:169], v[174:175], v[166:167]
	v_mov_b32_e32 v138, v174
	v_mov_b32_e32 v139, v175
	v_add_f64 v[4:5], v[4:5], -v[166:167]
.LBB80_146:
	s_or_b32 exec_lo, exec_lo, s0
	v_lshl_add_u32 v166, v180, 4, v1
	s_barrier
	buffer_gl0_inv
	v_mov_b32_e32 v174, 7
	ds_write2_b64 v166, v[134:135], v[136:137] offset1:1
	s_waitcnt lgkmcnt(0)
	s_barrier
	buffer_gl0_inv
	ds_read2_b64 v[166:169], v1 offset0:14 offset1:15
	s_cmp_lt_i32 s18, 9
	s_cbranch_scc1 .LBB80_149
; %bb.147:
	v_add3_u32 v175, v176, 0, 0x80
	v_mov_b32_e32 v174, 7
	s_mov_b32 s1, 8
	s_inst_prefetch 0x1
	.p2align	6
.LBB80_148:                             ; =>This Inner Loop Header: Depth=1
	s_waitcnt lgkmcnt(0)
	v_cmp_gt_f64_e32 vcc_lo, 0, v[168:169]
	v_cmp_gt_f64_e64 s0, 0, v[166:167]
	ds_read2_b64 v[181:184], v175 offset1:1
	v_xor_b32_e32 v186, 0x80000000, v167
	v_xor_b32_e32 v188, 0x80000000, v169
	v_mov_b32_e32 v185, v166
	v_mov_b32_e32 v187, v168
	v_add_nc_u32_e32 v175, 16, v175
	s_waitcnt lgkmcnt(0)
	v_xor_b32_e32 v190, 0x80000000, v184
	v_cndmask_b32_e64 v186, v167, v186, s0
	v_cndmask_b32_e32 v188, v169, v188, vcc_lo
	v_cmp_gt_f64_e32 vcc_lo, 0, v[183:184]
	v_cmp_gt_f64_e64 s0, 0, v[181:182]
	v_mov_b32_e32 v189, v183
	v_add_f64 v[185:186], v[185:186], v[187:188]
	v_xor_b32_e32 v188, 0x80000000, v182
	v_mov_b32_e32 v187, v181
	v_cndmask_b32_e32 v190, v184, v190, vcc_lo
	v_cndmask_b32_e64 v188, v182, v188, s0
	v_add_f64 v[187:188], v[187:188], v[189:190]
	v_cmp_lt_f64_e32 vcc_lo, v[185:186], v[187:188]
	v_cndmask_b32_e32 v167, v167, v182, vcc_lo
	v_cndmask_b32_e32 v166, v166, v181, vcc_lo
	;; [unrolled: 1-line block ×4, first 2 shown]
	v_cndmask_b32_e64 v174, v174, s1, vcc_lo
	s_add_i32 s1, s1, 1
	s_cmp_lg_u32 s18, s1
	s_cbranch_scc1 .LBB80_148
.LBB80_149:
	s_inst_prefetch 0x2
	s_waitcnt lgkmcnt(0)
	v_cmp_eq_f64_e32 vcc_lo, 0, v[166:167]
	v_cmp_eq_f64_e64 s0, 0, v[168:169]
	s_and_b32 s0, vcc_lo, s0
	s_and_saveexec_b32 s1, s0
	s_xor_b32 s0, exec_lo, s1
; %bb.150:
	v_cmp_ne_u32_e32 vcc_lo, 0, v179
	v_cndmask_b32_e32 v179, 8, v179, vcc_lo
; %bb.151:
	s_andn2_saveexec_b32 s0, s0
	s_cbranch_execz .LBB80_157
; %bb.152:
	v_cmp_ngt_f64_e64 s1, |v[166:167]|, |v[168:169]|
	s_and_saveexec_b32 s2, s1
	s_xor_b32 s1, exec_lo, s2
	s_cbranch_execz .LBB80_154
; %bb.153:
	v_div_scale_f64 v[181:182], null, v[168:169], v[168:169], v[166:167]
	v_div_scale_f64 v[187:188], vcc_lo, v[166:167], v[168:169], v[166:167]
	v_rcp_f64_e32 v[183:184], v[181:182]
	v_fma_f64 v[185:186], -v[181:182], v[183:184], 1.0
	v_fma_f64 v[183:184], v[183:184], v[185:186], v[183:184]
	v_fma_f64 v[185:186], -v[181:182], v[183:184], 1.0
	v_fma_f64 v[183:184], v[183:184], v[185:186], v[183:184]
	v_mul_f64 v[185:186], v[187:188], v[183:184]
	v_fma_f64 v[181:182], -v[181:182], v[185:186], v[187:188]
	v_div_fmas_f64 v[181:182], v[181:182], v[183:184], v[185:186]
	v_div_fixup_f64 v[181:182], v[181:182], v[168:169], v[166:167]
	v_fma_f64 v[166:167], v[166:167], v[181:182], v[168:169]
	v_div_scale_f64 v[168:169], null, v[166:167], v[166:167], 1.0
	v_rcp_f64_e32 v[183:184], v[168:169]
	v_fma_f64 v[185:186], -v[168:169], v[183:184], 1.0
	v_fma_f64 v[183:184], v[183:184], v[185:186], v[183:184]
	v_fma_f64 v[185:186], -v[168:169], v[183:184], 1.0
	v_fma_f64 v[183:184], v[183:184], v[185:186], v[183:184]
	v_div_scale_f64 v[185:186], vcc_lo, 1.0, v[166:167], 1.0
	v_mul_f64 v[187:188], v[185:186], v[183:184]
	v_fma_f64 v[168:169], -v[168:169], v[187:188], v[185:186]
	v_div_fmas_f64 v[168:169], v[168:169], v[183:184], v[187:188]
	v_div_fixup_f64 v[168:169], v[168:169], v[166:167], 1.0
	v_mul_f64 v[166:167], v[181:182], v[168:169]
	v_xor_b32_e32 v169, 0x80000000, v169
.LBB80_154:
	s_andn2_saveexec_b32 s1, s1
	s_cbranch_execz .LBB80_156
; %bb.155:
	v_div_scale_f64 v[181:182], null, v[166:167], v[166:167], v[168:169]
	v_div_scale_f64 v[187:188], vcc_lo, v[168:169], v[166:167], v[168:169]
	v_rcp_f64_e32 v[183:184], v[181:182]
	v_fma_f64 v[185:186], -v[181:182], v[183:184], 1.0
	v_fma_f64 v[183:184], v[183:184], v[185:186], v[183:184]
	v_fma_f64 v[185:186], -v[181:182], v[183:184], 1.0
	v_fma_f64 v[183:184], v[183:184], v[185:186], v[183:184]
	v_mul_f64 v[185:186], v[187:188], v[183:184]
	v_fma_f64 v[181:182], -v[181:182], v[185:186], v[187:188]
	v_div_fmas_f64 v[181:182], v[181:182], v[183:184], v[185:186]
	v_div_fixup_f64 v[181:182], v[181:182], v[166:167], v[168:169]
	v_fma_f64 v[166:167], v[168:169], v[181:182], v[166:167]
	v_div_scale_f64 v[168:169], null, v[166:167], v[166:167], 1.0
	v_rcp_f64_e32 v[183:184], v[168:169]
	v_fma_f64 v[185:186], -v[168:169], v[183:184], 1.0
	v_fma_f64 v[183:184], v[183:184], v[185:186], v[183:184]
	v_fma_f64 v[185:186], -v[168:169], v[183:184], 1.0
	v_fma_f64 v[183:184], v[183:184], v[185:186], v[183:184]
	v_div_scale_f64 v[185:186], vcc_lo, 1.0, v[166:167], 1.0
	v_mul_f64 v[187:188], v[185:186], v[183:184]
	v_fma_f64 v[168:169], -v[168:169], v[187:188], v[185:186]
	v_div_fmas_f64 v[168:169], v[168:169], v[183:184], v[187:188]
	v_div_fixup_f64 v[166:167], v[168:169], v[166:167], 1.0
	v_mul_f64 v[168:169], v[181:182], -v[166:167]
.LBB80_156:
	s_or_b32 exec_lo, exec_lo, s1
.LBB80_157:
	s_or_b32 exec_lo, exec_lo, s0
	s_mov_b32 s0, exec_lo
	v_cmpx_ne_u32_e64 v180, v174
	s_xor_b32 s0, exec_lo, s0
	s_cbranch_execz .LBB80_163
; %bb.158:
	s_mov_b32 s1, exec_lo
	v_cmpx_eq_u32_e32 7, v180
	s_cbranch_execz .LBB80_162
; %bb.159:
	v_cmp_ne_u32_e32 vcc_lo, 7, v174
	s_xor_b32 s2, s16, -1
	s_and_b32 s3, s2, vcc_lo
	s_and_saveexec_b32 s2, s3
	s_cbranch_execz .LBB80_161
; %bb.160:
	v_ashrrev_i32_e32 v175, 31, v174
	v_lshlrev_b64 v[180:181], 2, v[174:175]
	v_add_co_u32 v180, vcc_lo, v172, v180
	v_add_co_ci_u32_e64 v181, null, v173, v181, vcc_lo
	s_clause 0x1
	global_load_dword v0, v[180:181], off
	global_load_dword v175, v[172:173], off offset:28
	s_waitcnt vmcnt(1)
	global_store_dword v[172:173], v0, off offset:28
	s_waitcnt vmcnt(0)
	global_store_dword v[180:181], v175, off
.LBB80_161:
	s_or_b32 exec_lo, exec_lo, s2
	v_mov_b32_e32 v180, v174
	v_mov_b32_e32 v0, v174
.LBB80_162:
	s_or_b32 exec_lo, exec_lo, s1
.LBB80_163:
	s_andn2_saveexec_b32 s0, s0
	s_cbranch_execz .LBB80_165
; %bb.164:
	v_mov_b32_e32 v180, 7
	ds_write2_b64 v1, v[130:131], v[132:133] offset0:16 offset1:17
	ds_write2_b64 v1, v[126:127], v[128:129] offset0:18 offset1:19
	ds_write2_b64 v1, v[122:123], v[124:125] offset0:20 offset1:21
	ds_write2_b64 v1, v[118:119], v[120:121] offset0:22 offset1:23
	ds_write2_b64 v1, v[114:115], v[116:117] offset0:24 offset1:25
	ds_write2_b64 v1, v[110:111], v[112:113] offset0:26 offset1:27
	ds_write2_b64 v1, v[106:107], v[108:109] offset0:28 offset1:29
	ds_write2_b64 v1, v[102:103], v[104:105] offset0:30 offset1:31
	ds_write2_b64 v1, v[98:99], v[100:101] offset0:32 offset1:33
	ds_write2_b64 v1, v[94:95], v[96:97] offset0:34 offset1:35
	ds_write2_b64 v1, v[90:91], v[92:93] offset0:36 offset1:37
	ds_write2_b64 v1, v[86:87], v[88:89] offset0:38 offset1:39
	ds_write2_b64 v1, v[82:83], v[84:85] offset0:40 offset1:41
	ds_write2_b64 v1, v[78:79], v[80:81] offset0:42 offset1:43
	ds_write2_b64 v1, v[74:75], v[76:77] offset0:44 offset1:45
	ds_write2_b64 v1, v[70:71], v[72:73] offset0:46 offset1:47
	ds_write2_b64 v1, v[66:67], v[68:69] offset0:48 offset1:49
	ds_write2_b64 v1, v[62:63], v[64:65] offset0:50 offset1:51
	ds_write2_b64 v1, v[58:59], v[60:61] offset0:52 offset1:53
	ds_write2_b64 v1, v[54:55], v[56:57] offset0:54 offset1:55
	ds_write2_b64 v1, v[50:51], v[52:53] offset0:56 offset1:57
	ds_write2_b64 v1, v[46:47], v[48:49] offset0:58 offset1:59
	ds_write2_b64 v1, v[42:43], v[44:45] offset0:60 offset1:61
	ds_write2_b64 v1, v[38:39], v[40:41] offset0:62 offset1:63
	ds_write2_b64 v1, v[34:35], v[36:37] offset0:64 offset1:65
	ds_write2_b64 v1, v[30:31], v[32:33] offset0:66 offset1:67
	ds_write2_b64 v1, v[26:27], v[28:29] offset0:68 offset1:69
	ds_write2_b64 v1, v[22:23], v[24:25] offset0:70 offset1:71
	ds_write2_b64 v1, v[18:19], v[20:21] offset0:72 offset1:73
	ds_write2_b64 v1, v[14:15], v[16:17] offset0:74 offset1:75
	ds_write2_b64 v1, v[10:11], v[12:13] offset0:76 offset1:77
	ds_write2_b64 v1, v[6:7], v[8:9] offset0:78 offset1:79
	ds_write2_b64 v1, v[2:3], v[4:5] offset0:80 offset1:81
.LBB80_165:
	s_or_b32 exec_lo, exec_lo, s0
	s_mov_b32 s0, exec_lo
	s_waitcnt lgkmcnt(0)
	s_waitcnt_vscnt null, 0x0
	s_barrier
	buffer_gl0_inv
	v_cmpx_lt_i32_e32 7, v180
	s_cbranch_execz .LBB80_167
; %bb.166:
	v_mul_f64 v[174:175], v[168:169], v[136:137]
	v_mul_f64 v[136:137], v[166:167], v[136:137]
	v_fma_f64 v[174:175], v[166:167], v[134:135], -v[174:175]
	v_fma_f64 v[136:137], v[168:169], v[134:135], v[136:137]
	ds_read2_b64 v[166:169], v1 offset0:16 offset1:17
	s_waitcnt lgkmcnt(0)
	v_mul_f64 v[134:135], v[168:169], v[136:137]
	v_fma_f64 v[134:135], v[166:167], v[174:175], -v[134:135]
	v_mul_f64 v[166:167], v[166:167], v[136:137]
	v_add_f64 v[130:131], v[130:131], -v[134:135]
	v_fma_f64 v[166:167], v[168:169], v[174:175], v[166:167]
	v_add_f64 v[132:133], v[132:133], -v[166:167]
	ds_read2_b64 v[166:169], v1 offset0:18 offset1:19
	s_waitcnt lgkmcnt(0)
	v_mul_f64 v[134:135], v[168:169], v[136:137]
	v_fma_f64 v[134:135], v[166:167], v[174:175], -v[134:135]
	v_mul_f64 v[166:167], v[166:167], v[136:137]
	v_add_f64 v[126:127], v[126:127], -v[134:135]
	v_fma_f64 v[166:167], v[168:169], v[174:175], v[166:167]
	v_add_f64 v[128:129], v[128:129], -v[166:167]
	;; [unrolled: 8-line block ×32, first 2 shown]
	ds_read2_b64 v[166:169], v1 offset0:80 offset1:81
	s_waitcnt lgkmcnt(0)
	v_mul_f64 v[134:135], v[168:169], v[136:137]
	v_fma_f64 v[134:135], v[166:167], v[174:175], -v[134:135]
	v_mul_f64 v[166:167], v[166:167], v[136:137]
	v_add_f64 v[2:3], v[2:3], -v[134:135]
	v_fma_f64 v[166:167], v[168:169], v[174:175], v[166:167]
	v_mov_b32_e32 v134, v174
	v_mov_b32_e32 v135, v175
	v_add_f64 v[4:5], v[4:5], -v[166:167]
.LBB80_167:
	s_or_b32 exec_lo, exec_lo, s0
	v_lshl_add_u32 v166, v180, 4, v1
	s_barrier
	buffer_gl0_inv
	v_mov_b32_e32 v174, 8
	ds_write2_b64 v166, v[130:131], v[132:133] offset1:1
	s_waitcnt lgkmcnt(0)
	s_barrier
	buffer_gl0_inv
	ds_read2_b64 v[166:169], v1 offset0:16 offset1:17
	s_cmp_lt_i32 s18, 10
	s_cbranch_scc1 .LBB80_170
; %bb.168:
	v_add3_u32 v175, v176, 0, 0x90
	v_mov_b32_e32 v174, 8
	s_mov_b32 s1, 9
	s_inst_prefetch 0x1
	.p2align	6
.LBB80_169:                             ; =>This Inner Loop Header: Depth=1
	s_waitcnt lgkmcnt(0)
	v_cmp_gt_f64_e32 vcc_lo, 0, v[168:169]
	v_cmp_gt_f64_e64 s0, 0, v[166:167]
	ds_read2_b64 v[181:184], v175 offset1:1
	v_xor_b32_e32 v186, 0x80000000, v167
	v_xor_b32_e32 v188, 0x80000000, v169
	v_mov_b32_e32 v185, v166
	v_mov_b32_e32 v187, v168
	v_add_nc_u32_e32 v175, 16, v175
	s_waitcnt lgkmcnt(0)
	v_xor_b32_e32 v190, 0x80000000, v184
	v_cndmask_b32_e64 v186, v167, v186, s0
	v_cndmask_b32_e32 v188, v169, v188, vcc_lo
	v_cmp_gt_f64_e32 vcc_lo, 0, v[183:184]
	v_cmp_gt_f64_e64 s0, 0, v[181:182]
	v_mov_b32_e32 v189, v183
	v_add_f64 v[185:186], v[185:186], v[187:188]
	v_xor_b32_e32 v188, 0x80000000, v182
	v_mov_b32_e32 v187, v181
	v_cndmask_b32_e32 v190, v184, v190, vcc_lo
	v_cndmask_b32_e64 v188, v182, v188, s0
	v_add_f64 v[187:188], v[187:188], v[189:190]
	v_cmp_lt_f64_e32 vcc_lo, v[185:186], v[187:188]
	v_cndmask_b32_e32 v167, v167, v182, vcc_lo
	v_cndmask_b32_e32 v166, v166, v181, vcc_lo
	;; [unrolled: 1-line block ×4, first 2 shown]
	v_cndmask_b32_e64 v174, v174, s1, vcc_lo
	s_add_i32 s1, s1, 1
	s_cmp_lg_u32 s18, s1
	s_cbranch_scc1 .LBB80_169
.LBB80_170:
	s_inst_prefetch 0x2
	s_waitcnt lgkmcnt(0)
	v_cmp_eq_f64_e32 vcc_lo, 0, v[166:167]
	v_cmp_eq_f64_e64 s0, 0, v[168:169]
	s_and_b32 s0, vcc_lo, s0
	s_and_saveexec_b32 s1, s0
	s_xor_b32 s0, exec_lo, s1
; %bb.171:
	v_cmp_ne_u32_e32 vcc_lo, 0, v179
	v_cndmask_b32_e32 v179, 9, v179, vcc_lo
; %bb.172:
	s_andn2_saveexec_b32 s0, s0
	s_cbranch_execz .LBB80_178
; %bb.173:
	v_cmp_ngt_f64_e64 s1, |v[166:167]|, |v[168:169]|
	s_and_saveexec_b32 s2, s1
	s_xor_b32 s1, exec_lo, s2
	s_cbranch_execz .LBB80_175
; %bb.174:
	v_div_scale_f64 v[181:182], null, v[168:169], v[168:169], v[166:167]
	v_div_scale_f64 v[187:188], vcc_lo, v[166:167], v[168:169], v[166:167]
	v_rcp_f64_e32 v[183:184], v[181:182]
	v_fma_f64 v[185:186], -v[181:182], v[183:184], 1.0
	v_fma_f64 v[183:184], v[183:184], v[185:186], v[183:184]
	v_fma_f64 v[185:186], -v[181:182], v[183:184], 1.0
	v_fma_f64 v[183:184], v[183:184], v[185:186], v[183:184]
	v_mul_f64 v[185:186], v[187:188], v[183:184]
	v_fma_f64 v[181:182], -v[181:182], v[185:186], v[187:188]
	v_div_fmas_f64 v[181:182], v[181:182], v[183:184], v[185:186]
	v_div_fixup_f64 v[181:182], v[181:182], v[168:169], v[166:167]
	v_fma_f64 v[166:167], v[166:167], v[181:182], v[168:169]
	v_div_scale_f64 v[168:169], null, v[166:167], v[166:167], 1.0
	v_rcp_f64_e32 v[183:184], v[168:169]
	v_fma_f64 v[185:186], -v[168:169], v[183:184], 1.0
	v_fma_f64 v[183:184], v[183:184], v[185:186], v[183:184]
	v_fma_f64 v[185:186], -v[168:169], v[183:184], 1.0
	v_fma_f64 v[183:184], v[183:184], v[185:186], v[183:184]
	v_div_scale_f64 v[185:186], vcc_lo, 1.0, v[166:167], 1.0
	v_mul_f64 v[187:188], v[185:186], v[183:184]
	v_fma_f64 v[168:169], -v[168:169], v[187:188], v[185:186]
	v_div_fmas_f64 v[168:169], v[168:169], v[183:184], v[187:188]
	v_div_fixup_f64 v[168:169], v[168:169], v[166:167], 1.0
	v_mul_f64 v[166:167], v[181:182], v[168:169]
	v_xor_b32_e32 v169, 0x80000000, v169
.LBB80_175:
	s_andn2_saveexec_b32 s1, s1
	s_cbranch_execz .LBB80_177
; %bb.176:
	v_div_scale_f64 v[181:182], null, v[166:167], v[166:167], v[168:169]
	v_div_scale_f64 v[187:188], vcc_lo, v[168:169], v[166:167], v[168:169]
	v_rcp_f64_e32 v[183:184], v[181:182]
	v_fma_f64 v[185:186], -v[181:182], v[183:184], 1.0
	v_fma_f64 v[183:184], v[183:184], v[185:186], v[183:184]
	v_fma_f64 v[185:186], -v[181:182], v[183:184], 1.0
	v_fma_f64 v[183:184], v[183:184], v[185:186], v[183:184]
	v_mul_f64 v[185:186], v[187:188], v[183:184]
	v_fma_f64 v[181:182], -v[181:182], v[185:186], v[187:188]
	v_div_fmas_f64 v[181:182], v[181:182], v[183:184], v[185:186]
	v_div_fixup_f64 v[181:182], v[181:182], v[166:167], v[168:169]
	v_fma_f64 v[166:167], v[168:169], v[181:182], v[166:167]
	v_div_scale_f64 v[168:169], null, v[166:167], v[166:167], 1.0
	v_rcp_f64_e32 v[183:184], v[168:169]
	v_fma_f64 v[185:186], -v[168:169], v[183:184], 1.0
	v_fma_f64 v[183:184], v[183:184], v[185:186], v[183:184]
	v_fma_f64 v[185:186], -v[168:169], v[183:184], 1.0
	v_fma_f64 v[183:184], v[183:184], v[185:186], v[183:184]
	v_div_scale_f64 v[185:186], vcc_lo, 1.0, v[166:167], 1.0
	v_mul_f64 v[187:188], v[185:186], v[183:184]
	v_fma_f64 v[168:169], -v[168:169], v[187:188], v[185:186]
	v_div_fmas_f64 v[168:169], v[168:169], v[183:184], v[187:188]
	v_div_fixup_f64 v[166:167], v[168:169], v[166:167], 1.0
	v_mul_f64 v[168:169], v[181:182], -v[166:167]
.LBB80_177:
	s_or_b32 exec_lo, exec_lo, s1
.LBB80_178:
	s_or_b32 exec_lo, exec_lo, s0
	s_mov_b32 s0, exec_lo
	v_cmpx_ne_u32_e64 v180, v174
	s_xor_b32 s0, exec_lo, s0
	s_cbranch_execz .LBB80_184
; %bb.179:
	s_mov_b32 s1, exec_lo
	v_cmpx_eq_u32_e32 8, v180
	s_cbranch_execz .LBB80_183
; %bb.180:
	v_cmp_ne_u32_e32 vcc_lo, 8, v174
	s_xor_b32 s2, s16, -1
	s_and_b32 s3, s2, vcc_lo
	s_and_saveexec_b32 s2, s3
	s_cbranch_execz .LBB80_182
; %bb.181:
	v_ashrrev_i32_e32 v175, 31, v174
	v_lshlrev_b64 v[180:181], 2, v[174:175]
	v_add_co_u32 v180, vcc_lo, v172, v180
	v_add_co_ci_u32_e64 v181, null, v173, v181, vcc_lo
	s_clause 0x1
	global_load_dword v0, v[180:181], off
	global_load_dword v175, v[172:173], off offset:32
	s_waitcnt vmcnt(1)
	global_store_dword v[172:173], v0, off offset:32
	s_waitcnt vmcnt(0)
	global_store_dword v[180:181], v175, off
.LBB80_182:
	s_or_b32 exec_lo, exec_lo, s2
	v_mov_b32_e32 v180, v174
	v_mov_b32_e32 v0, v174
.LBB80_183:
	s_or_b32 exec_lo, exec_lo, s1
.LBB80_184:
	s_andn2_saveexec_b32 s0, s0
	s_cbranch_execz .LBB80_186
; %bb.185:
	v_mov_b32_e32 v180, 8
	ds_write2_b64 v1, v[126:127], v[128:129] offset0:18 offset1:19
	ds_write2_b64 v1, v[122:123], v[124:125] offset0:20 offset1:21
	ds_write2_b64 v1, v[118:119], v[120:121] offset0:22 offset1:23
	ds_write2_b64 v1, v[114:115], v[116:117] offset0:24 offset1:25
	ds_write2_b64 v1, v[110:111], v[112:113] offset0:26 offset1:27
	ds_write2_b64 v1, v[106:107], v[108:109] offset0:28 offset1:29
	ds_write2_b64 v1, v[102:103], v[104:105] offset0:30 offset1:31
	ds_write2_b64 v1, v[98:99], v[100:101] offset0:32 offset1:33
	ds_write2_b64 v1, v[94:95], v[96:97] offset0:34 offset1:35
	ds_write2_b64 v1, v[90:91], v[92:93] offset0:36 offset1:37
	ds_write2_b64 v1, v[86:87], v[88:89] offset0:38 offset1:39
	ds_write2_b64 v1, v[82:83], v[84:85] offset0:40 offset1:41
	ds_write2_b64 v1, v[78:79], v[80:81] offset0:42 offset1:43
	ds_write2_b64 v1, v[74:75], v[76:77] offset0:44 offset1:45
	ds_write2_b64 v1, v[70:71], v[72:73] offset0:46 offset1:47
	ds_write2_b64 v1, v[66:67], v[68:69] offset0:48 offset1:49
	ds_write2_b64 v1, v[62:63], v[64:65] offset0:50 offset1:51
	ds_write2_b64 v1, v[58:59], v[60:61] offset0:52 offset1:53
	ds_write2_b64 v1, v[54:55], v[56:57] offset0:54 offset1:55
	ds_write2_b64 v1, v[50:51], v[52:53] offset0:56 offset1:57
	ds_write2_b64 v1, v[46:47], v[48:49] offset0:58 offset1:59
	ds_write2_b64 v1, v[42:43], v[44:45] offset0:60 offset1:61
	ds_write2_b64 v1, v[38:39], v[40:41] offset0:62 offset1:63
	ds_write2_b64 v1, v[34:35], v[36:37] offset0:64 offset1:65
	ds_write2_b64 v1, v[30:31], v[32:33] offset0:66 offset1:67
	ds_write2_b64 v1, v[26:27], v[28:29] offset0:68 offset1:69
	ds_write2_b64 v1, v[22:23], v[24:25] offset0:70 offset1:71
	ds_write2_b64 v1, v[18:19], v[20:21] offset0:72 offset1:73
	ds_write2_b64 v1, v[14:15], v[16:17] offset0:74 offset1:75
	ds_write2_b64 v1, v[10:11], v[12:13] offset0:76 offset1:77
	ds_write2_b64 v1, v[6:7], v[8:9] offset0:78 offset1:79
	ds_write2_b64 v1, v[2:3], v[4:5] offset0:80 offset1:81
.LBB80_186:
	s_or_b32 exec_lo, exec_lo, s0
	s_mov_b32 s0, exec_lo
	s_waitcnt lgkmcnt(0)
	s_waitcnt_vscnt null, 0x0
	s_barrier
	buffer_gl0_inv
	v_cmpx_lt_i32_e32 8, v180
	s_cbranch_execz .LBB80_188
; %bb.187:
	v_mul_f64 v[174:175], v[168:169], v[132:133]
	v_mul_f64 v[132:133], v[166:167], v[132:133]
	v_fma_f64 v[174:175], v[166:167], v[130:131], -v[174:175]
	v_fma_f64 v[132:133], v[168:169], v[130:131], v[132:133]
	ds_read2_b64 v[166:169], v1 offset0:18 offset1:19
	s_waitcnt lgkmcnt(0)
	v_mul_f64 v[130:131], v[168:169], v[132:133]
	v_fma_f64 v[130:131], v[166:167], v[174:175], -v[130:131]
	v_mul_f64 v[166:167], v[166:167], v[132:133]
	v_add_f64 v[126:127], v[126:127], -v[130:131]
	v_fma_f64 v[166:167], v[168:169], v[174:175], v[166:167]
	v_add_f64 v[128:129], v[128:129], -v[166:167]
	ds_read2_b64 v[166:169], v1 offset0:20 offset1:21
	s_waitcnt lgkmcnt(0)
	v_mul_f64 v[130:131], v[168:169], v[132:133]
	v_fma_f64 v[130:131], v[166:167], v[174:175], -v[130:131]
	v_mul_f64 v[166:167], v[166:167], v[132:133]
	v_add_f64 v[122:123], v[122:123], -v[130:131]
	v_fma_f64 v[166:167], v[168:169], v[174:175], v[166:167]
	v_add_f64 v[124:125], v[124:125], -v[166:167]
	;; [unrolled: 8-line block ×31, first 2 shown]
	ds_read2_b64 v[166:169], v1 offset0:80 offset1:81
	s_waitcnt lgkmcnt(0)
	v_mul_f64 v[130:131], v[168:169], v[132:133]
	v_fma_f64 v[130:131], v[166:167], v[174:175], -v[130:131]
	v_mul_f64 v[166:167], v[166:167], v[132:133]
	v_add_f64 v[2:3], v[2:3], -v[130:131]
	v_fma_f64 v[166:167], v[168:169], v[174:175], v[166:167]
	v_mov_b32_e32 v130, v174
	v_mov_b32_e32 v131, v175
	v_add_f64 v[4:5], v[4:5], -v[166:167]
.LBB80_188:
	s_or_b32 exec_lo, exec_lo, s0
	v_lshl_add_u32 v166, v180, 4, v1
	s_barrier
	buffer_gl0_inv
	v_mov_b32_e32 v174, 9
	ds_write2_b64 v166, v[126:127], v[128:129] offset1:1
	s_waitcnt lgkmcnt(0)
	s_barrier
	buffer_gl0_inv
	ds_read2_b64 v[166:169], v1 offset0:18 offset1:19
	s_cmp_lt_i32 s18, 11
	s_cbranch_scc1 .LBB80_191
; %bb.189:
	v_add3_u32 v175, v176, 0, 0xa0
	v_mov_b32_e32 v174, 9
	s_mov_b32 s1, 10
	s_inst_prefetch 0x1
	.p2align	6
.LBB80_190:                             ; =>This Inner Loop Header: Depth=1
	s_waitcnt lgkmcnt(0)
	v_cmp_gt_f64_e32 vcc_lo, 0, v[168:169]
	v_cmp_gt_f64_e64 s0, 0, v[166:167]
	ds_read2_b64 v[181:184], v175 offset1:1
	v_xor_b32_e32 v186, 0x80000000, v167
	v_xor_b32_e32 v188, 0x80000000, v169
	v_mov_b32_e32 v185, v166
	v_mov_b32_e32 v187, v168
	v_add_nc_u32_e32 v175, 16, v175
	s_waitcnt lgkmcnt(0)
	v_xor_b32_e32 v190, 0x80000000, v184
	v_cndmask_b32_e64 v186, v167, v186, s0
	v_cndmask_b32_e32 v188, v169, v188, vcc_lo
	v_cmp_gt_f64_e32 vcc_lo, 0, v[183:184]
	v_cmp_gt_f64_e64 s0, 0, v[181:182]
	v_mov_b32_e32 v189, v183
	v_add_f64 v[185:186], v[185:186], v[187:188]
	v_xor_b32_e32 v188, 0x80000000, v182
	v_mov_b32_e32 v187, v181
	v_cndmask_b32_e32 v190, v184, v190, vcc_lo
	v_cndmask_b32_e64 v188, v182, v188, s0
	v_add_f64 v[187:188], v[187:188], v[189:190]
	v_cmp_lt_f64_e32 vcc_lo, v[185:186], v[187:188]
	v_cndmask_b32_e32 v167, v167, v182, vcc_lo
	v_cndmask_b32_e32 v166, v166, v181, vcc_lo
	;; [unrolled: 1-line block ×4, first 2 shown]
	v_cndmask_b32_e64 v174, v174, s1, vcc_lo
	s_add_i32 s1, s1, 1
	s_cmp_lg_u32 s18, s1
	s_cbranch_scc1 .LBB80_190
.LBB80_191:
	s_inst_prefetch 0x2
	s_waitcnt lgkmcnt(0)
	v_cmp_eq_f64_e32 vcc_lo, 0, v[166:167]
	v_cmp_eq_f64_e64 s0, 0, v[168:169]
	s_and_b32 s0, vcc_lo, s0
	s_and_saveexec_b32 s1, s0
	s_xor_b32 s0, exec_lo, s1
; %bb.192:
	v_cmp_ne_u32_e32 vcc_lo, 0, v179
	v_cndmask_b32_e32 v179, 10, v179, vcc_lo
; %bb.193:
	s_andn2_saveexec_b32 s0, s0
	s_cbranch_execz .LBB80_199
; %bb.194:
	v_cmp_ngt_f64_e64 s1, |v[166:167]|, |v[168:169]|
	s_and_saveexec_b32 s2, s1
	s_xor_b32 s1, exec_lo, s2
	s_cbranch_execz .LBB80_196
; %bb.195:
	v_div_scale_f64 v[181:182], null, v[168:169], v[168:169], v[166:167]
	v_div_scale_f64 v[187:188], vcc_lo, v[166:167], v[168:169], v[166:167]
	v_rcp_f64_e32 v[183:184], v[181:182]
	v_fma_f64 v[185:186], -v[181:182], v[183:184], 1.0
	v_fma_f64 v[183:184], v[183:184], v[185:186], v[183:184]
	v_fma_f64 v[185:186], -v[181:182], v[183:184], 1.0
	v_fma_f64 v[183:184], v[183:184], v[185:186], v[183:184]
	v_mul_f64 v[185:186], v[187:188], v[183:184]
	v_fma_f64 v[181:182], -v[181:182], v[185:186], v[187:188]
	v_div_fmas_f64 v[181:182], v[181:182], v[183:184], v[185:186]
	v_div_fixup_f64 v[181:182], v[181:182], v[168:169], v[166:167]
	v_fma_f64 v[166:167], v[166:167], v[181:182], v[168:169]
	v_div_scale_f64 v[168:169], null, v[166:167], v[166:167], 1.0
	v_rcp_f64_e32 v[183:184], v[168:169]
	v_fma_f64 v[185:186], -v[168:169], v[183:184], 1.0
	v_fma_f64 v[183:184], v[183:184], v[185:186], v[183:184]
	v_fma_f64 v[185:186], -v[168:169], v[183:184], 1.0
	v_fma_f64 v[183:184], v[183:184], v[185:186], v[183:184]
	v_div_scale_f64 v[185:186], vcc_lo, 1.0, v[166:167], 1.0
	v_mul_f64 v[187:188], v[185:186], v[183:184]
	v_fma_f64 v[168:169], -v[168:169], v[187:188], v[185:186]
	v_div_fmas_f64 v[168:169], v[168:169], v[183:184], v[187:188]
	v_div_fixup_f64 v[168:169], v[168:169], v[166:167], 1.0
	v_mul_f64 v[166:167], v[181:182], v[168:169]
	v_xor_b32_e32 v169, 0x80000000, v169
.LBB80_196:
	s_andn2_saveexec_b32 s1, s1
	s_cbranch_execz .LBB80_198
; %bb.197:
	v_div_scale_f64 v[181:182], null, v[166:167], v[166:167], v[168:169]
	v_div_scale_f64 v[187:188], vcc_lo, v[168:169], v[166:167], v[168:169]
	v_rcp_f64_e32 v[183:184], v[181:182]
	v_fma_f64 v[185:186], -v[181:182], v[183:184], 1.0
	v_fma_f64 v[183:184], v[183:184], v[185:186], v[183:184]
	v_fma_f64 v[185:186], -v[181:182], v[183:184], 1.0
	v_fma_f64 v[183:184], v[183:184], v[185:186], v[183:184]
	v_mul_f64 v[185:186], v[187:188], v[183:184]
	v_fma_f64 v[181:182], -v[181:182], v[185:186], v[187:188]
	v_div_fmas_f64 v[181:182], v[181:182], v[183:184], v[185:186]
	v_div_fixup_f64 v[181:182], v[181:182], v[166:167], v[168:169]
	v_fma_f64 v[166:167], v[168:169], v[181:182], v[166:167]
	v_div_scale_f64 v[168:169], null, v[166:167], v[166:167], 1.0
	v_rcp_f64_e32 v[183:184], v[168:169]
	v_fma_f64 v[185:186], -v[168:169], v[183:184], 1.0
	v_fma_f64 v[183:184], v[183:184], v[185:186], v[183:184]
	v_fma_f64 v[185:186], -v[168:169], v[183:184], 1.0
	v_fma_f64 v[183:184], v[183:184], v[185:186], v[183:184]
	v_div_scale_f64 v[185:186], vcc_lo, 1.0, v[166:167], 1.0
	v_mul_f64 v[187:188], v[185:186], v[183:184]
	v_fma_f64 v[168:169], -v[168:169], v[187:188], v[185:186]
	v_div_fmas_f64 v[168:169], v[168:169], v[183:184], v[187:188]
	v_div_fixup_f64 v[166:167], v[168:169], v[166:167], 1.0
	v_mul_f64 v[168:169], v[181:182], -v[166:167]
.LBB80_198:
	s_or_b32 exec_lo, exec_lo, s1
.LBB80_199:
	s_or_b32 exec_lo, exec_lo, s0
	s_mov_b32 s0, exec_lo
	v_cmpx_ne_u32_e64 v180, v174
	s_xor_b32 s0, exec_lo, s0
	s_cbranch_execz .LBB80_205
; %bb.200:
	s_mov_b32 s1, exec_lo
	v_cmpx_eq_u32_e32 9, v180
	s_cbranch_execz .LBB80_204
; %bb.201:
	v_cmp_ne_u32_e32 vcc_lo, 9, v174
	s_xor_b32 s2, s16, -1
	s_and_b32 s3, s2, vcc_lo
	s_and_saveexec_b32 s2, s3
	s_cbranch_execz .LBB80_203
; %bb.202:
	v_ashrrev_i32_e32 v175, 31, v174
	v_lshlrev_b64 v[180:181], 2, v[174:175]
	v_add_co_u32 v180, vcc_lo, v172, v180
	v_add_co_ci_u32_e64 v181, null, v173, v181, vcc_lo
	s_clause 0x1
	global_load_dword v0, v[180:181], off
	global_load_dword v175, v[172:173], off offset:36
	s_waitcnt vmcnt(1)
	global_store_dword v[172:173], v0, off offset:36
	s_waitcnt vmcnt(0)
	global_store_dword v[180:181], v175, off
.LBB80_203:
	s_or_b32 exec_lo, exec_lo, s2
	v_mov_b32_e32 v180, v174
	v_mov_b32_e32 v0, v174
.LBB80_204:
	s_or_b32 exec_lo, exec_lo, s1
.LBB80_205:
	s_andn2_saveexec_b32 s0, s0
	s_cbranch_execz .LBB80_207
; %bb.206:
	v_mov_b32_e32 v180, 9
	ds_write2_b64 v1, v[122:123], v[124:125] offset0:20 offset1:21
	ds_write2_b64 v1, v[118:119], v[120:121] offset0:22 offset1:23
	;; [unrolled: 1-line block ×31, first 2 shown]
.LBB80_207:
	s_or_b32 exec_lo, exec_lo, s0
	s_mov_b32 s0, exec_lo
	s_waitcnt lgkmcnt(0)
	s_waitcnt_vscnt null, 0x0
	s_barrier
	buffer_gl0_inv
	v_cmpx_lt_i32_e32 9, v180
	s_cbranch_execz .LBB80_209
; %bb.208:
	v_mul_f64 v[174:175], v[168:169], v[128:129]
	v_mul_f64 v[128:129], v[166:167], v[128:129]
	v_fma_f64 v[174:175], v[166:167], v[126:127], -v[174:175]
	v_fma_f64 v[128:129], v[168:169], v[126:127], v[128:129]
	ds_read2_b64 v[166:169], v1 offset0:20 offset1:21
	s_waitcnt lgkmcnt(0)
	v_mul_f64 v[126:127], v[168:169], v[128:129]
	v_fma_f64 v[126:127], v[166:167], v[174:175], -v[126:127]
	v_mul_f64 v[166:167], v[166:167], v[128:129]
	v_add_f64 v[122:123], v[122:123], -v[126:127]
	v_fma_f64 v[166:167], v[168:169], v[174:175], v[166:167]
	v_add_f64 v[124:125], v[124:125], -v[166:167]
	ds_read2_b64 v[166:169], v1 offset0:22 offset1:23
	s_waitcnt lgkmcnt(0)
	v_mul_f64 v[126:127], v[168:169], v[128:129]
	v_fma_f64 v[126:127], v[166:167], v[174:175], -v[126:127]
	v_mul_f64 v[166:167], v[166:167], v[128:129]
	v_add_f64 v[118:119], v[118:119], -v[126:127]
	v_fma_f64 v[166:167], v[168:169], v[174:175], v[166:167]
	v_add_f64 v[120:121], v[120:121], -v[166:167]
	;; [unrolled: 8-line block ×30, first 2 shown]
	ds_read2_b64 v[166:169], v1 offset0:80 offset1:81
	s_waitcnt lgkmcnt(0)
	v_mul_f64 v[126:127], v[168:169], v[128:129]
	v_fma_f64 v[126:127], v[166:167], v[174:175], -v[126:127]
	v_mul_f64 v[166:167], v[166:167], v[128:129]
	v_add_f64 v[2:3], v[2:3], -v[126:127]
	v_fma_f64 v[166:167], v[168:169], v[174:175], v[166:167]
	v_mov_b32_e32 v126, v174
	v_mov_b32_e32 v127, v175
	v_add_f64 v[4:5], v[4:5], -v[166:167]
.LBB80_209:
	s_or_b32 exec_lo, exec_lo, s0
	v_lshl_add_u32 v166, v180, 4, v1
	s_barrier
	buffer_gl0_inv
	v_mov_b32_e32 v174, 10
	ds_write2_b64 v166, v[122:123], v[124:125] offset1:1
	s_waitcnt lgkmcnt(0)
	s_barrier
	buffer_gl0_inv
	ds_read2_b64 v[166:169], v1 offset0:20 offset1:21
	s_cmp_lt_i32 s18, 12
	s_cbranch_scc1 .LBB80_212
; %bb.210:
	v_add3_u32 v175, v176, 0, 0xb0
	v_mov_b32_e32 v174, 10
	s_mov_b32 s1, 11
	s_inst_prefetch 0x1
	.p2align	6
.LBB80_211:                             ; =>This Inner Loop Header: Depth=1
	s_waitcnt lgkmcnt(0)
	v_cmp_gt_f64_e32 vcc_lo, 0, v[168:169]
	v_cmp_gt_f64_e64 s0, 0, v[166:167]
	ds_read2_b64 v[181:184], v175 offset1:1
	v_xor_b32_e32 v186, 0x80000000, v167
	v_xor_b32_e32 v188, 0x80000000, v169
	v_mov_b32_e32 v185, v166
	v_mov_b32_e32 v187, v168
	v_add_nc_u32_e32 v175, 16, v175
	s_waitcnt lgkmcnt(0)
	v_xor_b32_e32 v190, 0x80000000, v184
	v_cndmask_b32_e64 v186, v167, v186, s0
	v_cndmask_b32_e32 v188, v169, v188, vcc_lo
	v_cmp_gt_f64_e32 vcc_lo, 0, v[183:184]
	v_cmp_gt_f64_e64 s0, 0, v[181:182]
	v_mov_b32_e32 v189, v183
	v_add_f64 v[185:186], v[185:186], v[187:188]
	v_xor_b32_e32 v188, 0x80000000, v182
	v_mov_b32_e32 v187, v181
	v_cndmask_b32_e32 v190, v184, v190, vcc_lo
	v_cndmask_b32_e64 v188, v182, v188, s0
	v_add_f64 v[187:188], v[187:188], v[189:190]
	v_cmp_lt_f64_e32 vcc_lo, v[185:186], v[187:188]
	v_cndmask_b32_e32 v167, v167, v182, vcc_lo
	v_cndmask_b32_e32 v166, v166, v181, vcc_lo
	;; [unrolled: 1-line block ×4, first 2 shown]
	v_cndmask_b32_e64 v174, v174, s1, vcc_lo
	s_add_i32 s1, s1, 1
	s_cmp_lg_u32 s18, s1
	s_cbranch_scc1 .LBB80_211
.LBB80_212:
	s_inst_prefetch 0x2
	s_waitcnt lgkmcnt(0)
	v_cmp_eq_f64_e32 vcc_lo, 0, v[166:167]
	v_cmp_eq_f64_e64 s0, 0, v[168:169]
	s_and_b32 s0, vcc_lo, s0
	s_and_saveexec_b32 s1, s0
	s_xor_b32 s0, exec_lo, s1
; %bb.213:
	v_cmp_ne_u32_e32 vcc_lo, 0, v179
	v_cndmask_b32_e32 v179, 11, v179, vcc_lo
; %bb.214:
	s_andn2_saveexec_b32 s0, s0
	s_cbranch_execz .LBB80_220
; %bb.215:
	v_cmp_ngt_f64_e64 s1, |v[166:167]|, |v[168:169]|
	s_and_saveexec_b32 s2, s1
	s_xor_b32 s1, exec_lo, s2
	s_cbranch_execz .LBB80_217
; %bb.216:
	v_div_scale_f64 v[181:182], null, v[168:169], v[168:169], v[166:167]
	v_div_scale_f64 v[187:188], vcc_lo, v[166:167], v[168:169], v[166:167]
	v_rcp_f64_e32 v[183:184], v[181:182]
	v_fma_f64 v[185:186], -v[181:182], v[183:184], 1.0
	v_fma_f64 v[183:184], v[183:184], v[185:186], v[183:184]
	v_fma_f64 v[185:186], -v[181:182], v[183:184], 1.0
	v_fma_f64 v[183:184], v[183:184], v[185:186], v[183:184]
	v_mul_f64 v[185:186], v[187:188], v[183:184]
	v_fma_f64 v[181:182], -v[181:182], v[185:186], v[187:188]
	v_div_fmas_f64 v[181:182], v[181:182], v[183:184], v[185:186]
	v_div_fixup_f64 v[181:182], v[181:182], v[168:169], v[166:167]
	v_fma_f64 v[166:167], v[166:167], v[181:182], v[168:169]
	v_div_scale_f64 v[168:169], null, v[166:167], v[166:167], 1.0
	v_rcp_f64_e32 v[183:184], v[168:169]
	v_fma_f64 v[185:186], -v[168:169], v[183:184], 1.0
	v_fma_f64 v[183:184], v[183:184], v[185:186], v[183:184]
	v_fma_f64 v[185:186], -v[168:169], v[183:184], 1.0
	v_fma_f64 v[183:184], v[183:184], v[185:186], v[183:184]
	v_div_scale_f64 v[185:186], vcc_lo, 1.0, v[166:167], 1.0
	v_mul_f64 v[187:188], v[185:186], v[183:184]
	v_fma_f64 v[168:169], -v[168:169], v[187:188], v[185:186]
	v_div_fmas_f64 v[168:169], v[168:169], v[183:184], v[187:188]
	v_div_fixup_f64 v[168:169], v[168:169], v[166:167], 1.0
	v_mul_f64 v[166:167], v[181:182], v[168:169]
	v_xor_b32_e32 v169, 0x80000000, v169
.LBB80_217:
	s_andn2_saveexec_b32 s1, s1
	s_cbranch_execz .LBB80_219
; %bb.218:
	v_div_scale_f64 v[181:182], null, v[166:167], v[166:167], v[168:169]
	v_div_scale_f64 v[187:188], vcc_lo, v[168:169], v[166:167], v[168:169]
	v_rcp_f64_e32 v[183:184], v[181:182]
	v_fma_f64 v[185:186], -v[181:182], v[183:184], 1.0
	v_fma_f64 v[183:184], v[183:184], v[185:186], v[183:184]
	v_fma_f64 v[185:186], -v[181:182], v[183:184], 1.0
	v_fma_f64 v[183:184], v[183:184], v[185:186], v[183:184]
	v_mul_f64 v[185:186], v[187:188], v[183:184]
	v_fma_f64 v[181:182], -v[181:182], v[185:186], v[187:188]
	v_div_fmas_f64 v[181:182], v[181:182], v[183:184], v[185:186]
	v_div_fixup_f64 v[181:182], v[181:182], v[166:167], v[168:169]
	v_fma_f64 v[166:167], v[168:169], v[181:182], v[166:167]
	v_div_scale_f64 v[168:169], null, v[166:167], v[166:167], 1.0
	v_rcp_f64_e32 v[183:184], v[168:169]
	v_fma_f64 v[185:186], -v[168:169], v[183:184], 1.0
	v_fma_f64 v[183:184], v[183:184], v[185:186], v[183:184]
	v_fma_f64 v[185:186], -v[168:169], v[183:184], 1.0
	v_fma_f64 v[183:184], v[183:184], v[185:186], v[183:184]
	v_div_scale_f64 v[185:186], vcc_lo, 1.0, v[166:167], 1.0
	v_mul_f64 v[187:188], v[185:186], v[183:184]
	v_fma_f64 v[168:169], -v[168:169], v[187:188], v[185:186]
	v_div_fmas_f64 v[168:169], v[168:169], v[183:184], v[187:188]
	v_div_fixup_f64 v[166:167], v[168:169], v[166:167], 1.0
	v_mul_f64 v[168:169], v[181:182], -v[166:167]
.LBB80_219:
	s_or_b32 exec_lo, exec_lo, s1
.LBB80_220:
	s_or_b32 exec_lo, exec_lo, s0
	s_mov_b32 s0, exec_lo
	v_cmpx_ne_u32_e64 v180, v174
	s_xor_b32 s0, exec_lo, s0
	s_cbranch_execz .LBB80_226
; %bb.221:
	s_mov_b32 s1, exec_lo
	v_cmpx_eq_u32_e32 10, v180
	s_cbranch_execz .LBB80_225
; %bb.222:
	v_cmp_ne_u32_e32 vcc_lo, 10, v174
	s_xor_b32 s2, s16, -1
	s_and_b32 s3, s2, vcc_lo
	s_and_saveexec_b32 s2, s3
	s_cbranch_execz .LBB80_224
; %bb.223:
	v_ashrrev_i32_e32 v175, 31, v174
	v_lshlrev_b64 v[180:181], 2, v[174:175]
	v_add_co_u32 v180, vcc_lo, v172, v180
	v_add_co_ci_u32_e64 v181, null, v173, v181, vcc_lo
	s_clause 0x1
	global_load_dword v0, v[180:181], off
	global_load_dword v175, v[172:173], off offset:40
	s_waitcnt vmcnt(1)
	global_store_dword v[172:173], v0, off offset:40
	s_waitcnt vmcnt(0)
	global_store_dword v[180:181], v175, off
.LBB80_224:
	s_or_b32 exec_lo, exec_lo, s2
	v_mov_b32_e32 v180, v174
	v_mov_b32_e32 v0, v174
.LBB80_225:
	s_or_b32 exec_lo, exec_lo, s1
.LBB80_226:
	s_andn2_saveexec_b32 s0, s0
	s_cbranch_execz .LBB80_228
; %bb.227:
	v_mov_b32_e32 v180, 10
	ds_write2_b64 v1, v[118:119], v[120:121] offset0:22 offset1:23
	ds_write2_b64 v1, v[114:115], v[116:117] offset0:24 offset1:25
	;; [unrolled: 1-line block ×30, first 2 shown]
.LBB80_228:
	s_or_b32 exec_lo, exec_lo, s0
	s_mov_b32 s0, exec_lo
	s_waitcnt lgkmcnt(0)
	s_waitcnt_vscnt null, 0x0
	s_barrier
	buffer_gl0_inv
	v_cmpx_lt_i32_e32 10, v180
	s_cbranch_execz .LBB80_230
; %bb.229:
	v_mul_f64 v[174:175], v[168:169], v[124:125]
	v_mul_f64 v[124:125], v[166:167], v[124:125]
	v_fma_f64 v[174:175], v[166:167], v[122:123], -v[174:175]
	v_fma_f64 v[124:125], v[168:169], v[122:123], v[124:125]
	ds_read2_b64 v[166:169], v1 offset0:22 offset1:23
	s_waitcnt lgkmcnt(0)
	v_mul_f64 v[122:123], v[168:169], v[124:125]
	v_fma_f64 v[122:123], v[166:167], v[174:175], -v[122:123]
	v_mul_f64 v[166:167], v[166:167], v[124:125]
	v_add_f64 v[118:119], v[118:119], -v[122:123]
	v_fma_f64 v[166:167], v[168:169], v[174:175], v[166:167]
	v_add_f64 v[120:121], v[120:121], -v[166:167]
	ds_read2_b64 v[166:169], v1 offset0:24 offset1:25
	s_waitcnt lgkmcnt(0)
	v_mul_f64 v[122:123], v[168:169], v[124:125]
	v_fma_f64 v[122:123], v[166:167], v[174:175], -v[122:123]
	v_mul_f64 v[166:167], v[166:167], v[124:125]
	v_add_f64 v[114:115], v[114:115], -v[122:123]
	v_fma_f64 v[166:167], v[168:169], v[174:175], v[166:167]
	v_add_f64 v[116:117], v[116:117], -v[166:167]
	;; [unrolled: 8-line block ×29, first 2 shown]
	ds_read2_b64 v[166:169], v1 offset0:80 offset1:81
	s_waitcnt lgkmcnt(0)
	v_mul_f64 v[122:123], v[168:169], v[124:125]
	v_fma_f64 v[122:123], v[166:167], v[174:175], -v[122:123]
	v_mul_f64 v[166:167], v[166:167], v[124:125]
	v_add_f64 v[2:3], v[2:3], -v[122:123]
	v_fma_f64 v[166:167], v[168:169], v[174:175], v[166:167]
	v_mov_b32_e32 v122, v174
	v_mov_b32_e32 v123, v175
	v_add_f64 v[4:5], v[4:5], -v[166:167]
.LBB80_230:
	s_or_b32 exec_lo, exec_lo, s0
	v_lshl_add_u32 v166, v180, 4, v1
	s_barrier
	buffer_gl0_inv
	v_mov_b32_e32 v174, 11
	ds_write2_b64 v166, v[118:119], v[120:121] offset1:1
	s_waitcnt lgkmcnt(0)
	s_barrier
	buffer_gl0_inv
	ds_read2_b64 v[166:169], v1 offset0:22 offset1:23
	s_cmp_lt_i32 s18, 13
	s_cbranch_scc1 .LBB80_233
; %bb.231:
	v_add3_u32 v175, v176, 0, 0xc0
	v_mov_b32_e32 v174, 11
	s_mov_b32 s1, 12
	s_inst_prefetch 0x1
	.p2align	6
.LBB80_232:                             ; =>This Inner Loop Header: Depth=1
	s_waitcnt lgkmcnt(0)
	v_cmp_gt_f64_e32 vcc_lo, 0, v[168:169]
	v_cmp_gt_f64_e64 s0, 0, v[166:167]
	ds_read2_b64 v[181:184], v175 offset1:1
	v_xor_b32_e32 v186, 0x80000000, v167
	v_xor_b32_e32 v188, 0x80000000, v169
	v_mov_b32_e32 v185, v166
	v_mov_b32_e32 v187, v168
	v_add_nc_u32_e32 v175, 16, v175
	s_waitcnt lgkmcnt(0)
	v_xor_b32_e32 v190, 0x80000000, v184
	v_cndmask_b32_e64 v186, v167, v186, s0
	v_cndmask_b32_e32 v188, v169, v188, vcc_lo
	v_cmp_gt_f64_e32 vcc_lo, 0, v[183:184]
	v_cmp_gt_f64_e64 s0, 0, v[181:182]
	v_mov_b32_e32 v189, v183
	v_add_f64 v[185:186], v[185:186], v[187:188]
	v_xor_b32_e32 v188, 0x80000000, v182
	v_mov_b32_e32 v187, v181
	v_cndmask_b32_e32 v190, v184, v190, vcc_lo
	v_cndmask_b32_e64 v188, v182, v188, s0
	v_add_f64 v[187:188], v[187:188], v[189:190]
	v_cmp_lt_f64_e32 vcc_lo, v[185:186], v[187:188]
	v_cndmask_b32_e32 v167, v167, v182, vcc_lo
	v_cndmask_b32_e32 v166, v166, v181, vcc_lo
	;; [unrolled: 1-line block ×4, first 2 shown]
	v_cndmask_b32_e64 v174, v174, s1, vcc_lo
	s_add_i32 s1, s1, 1
	s_cmp_lg_u32 s18, s1
	s_cbranch_scc1 .LBB80_232
.LBB80_233:
	s_inst_prefetch 0x2
	s_waitcnt lgkmcnt(0)
	v_cmp_eq_f64_e32 vcc_lo, 0, v[166:167]
	v_cmp_eq_f64_e64 s0, 0, v[168:169]
	s_and_b32 s0, vcc_lo, s0
	s_and_saveexec_b32 s1, s0
	s_xor_b32 s0, exec_lo, s1
; %bb.234:
	v_cmp_ne_u32_e32 vcc_lo, 0, v179
	v_cndmask_b32_e32 v179, 12, v179, vcc_lo
; %bb.235:
	s_andn2_saveexec_b32 s0, s0
	s_cbranch_execz .LBB80_241
; %bb.236:
	v_cmp_ngt_f64_e64 s1, |v[166:167]|, |v[168:169]|
	s_and_saveexec_b32 s2, s1
	s_xor_b32 s1, exec_lo, s2
	s_cbranch_execz .LBB80_238
; %bb.237:
	v_div_scale_f64 v[181:182], null, v[168:169], v[168:169], v[166:167]
	v_div_scale_f64 v[187:188], vcc_lo, v[166:167], v[168:169], v[166:167]
	v_rcp_f64_e32 v[183:184], v[181:182]
	v_fma_f64 v[185:186], -v[181:182], v[183:184], 1.0
	v_fma_f64 v[183:184], v[183:184], v[185:186], v[183:184]
	v_fma_f64 v[185:186], -v[181:182], v[183:184], 1.0
	v_fma_f64 v[183:184], v[183:184], v[185:186], v[183:184]
	v_mul_f64 v[185:186], v[187:188], v[183:184]
	v_fma_f64 v[181:182], -v[181:182], v[185:186], v[187:188]
	v_div_fmas_f64 v[181:182], v[181:182], v[183:184], v[185:186]
	v_div_fixup_f64 v[181:182], v[181:182], v[168:169], v[166:167]
	v_fma_f64 v[166:167], v[166:167], v[181:182], v[168:169]
	v_div_scale_f64 v[168:169], null, v[166:167], v[166:167], 1.0
	v_rcp_f64_e32 v[183:184], v[168:169]
	v_fma_f64 v[185:186], -v[168:169], v[183:184], 1.0
	v_fma_f64 v[183:184], v[183:184], v[185:186], v[183:184]
	v_fma_f64 v[185:186], -v[168:169], v[183:184], 1.0
	v_fma_f64 v[183:184], v[183:184], v[185:186], v[183:184]
	v_div_scale_f64 v[185:186], vcc_lo, 1.0, v[166:167], 1.0
	v_mul_f64 v[187:188], v[185:186], v[183:184]
	v_fma_f64 v[168:169], -v[168:169], v[187:188], v[185:186]
	v_div_fmas_f64 v[168:169], v[168:169], v[183:184], v[187:188]
	v_div_fixup_f64 v[168:169], v[168:169], v[166:167], 1.0
	v_mul_f64 v[166:167], v[181:182], v[168:169]
	v_xor_b32_e32 v169, 0x80000000, v169
.LBB80_238:
	s_andn2_saveexec_b32 s1, s1
	s_cbranch_execz .LBB80_240
; %bb.239:
	v_div_scale_f64 v[181:182], null, v[166:167], v[166:167], v[168:169]
	v_div_scale_f64 v[187:188], vcc_lo, v[168:169], v[166:167], v[168:169]
	v_rcp_f64_e32 v[183:184], v[181:182]
	v_fma_f64 v[185:186], -v[181:182], v[183:184], 1.0
	v_fma_f64 v[183:184], v[183:184], v[185:186], v[183:184]
	v_fma_f64 v[185:186], -v[181:182], v[183:184], 1.0
	v_fma_f64 v[183:184], v[183:184], v[185:186], v[183:184]
	v_mul_f64 v[185:186], v[187:188], v[183:184]
	v_fma_f64 v[181:182], -v[181:182], v[185:186], v[187:188]
	v_div_fmas_f64 v[181:182], v[181:182], v[183:184], v[185:186]
	v_div_fixup_f64 v[181:182], v[181:182], v[166:167], v[168:169]
	v_fma_f64 v[166:167], v[168:169], v[181:182], v[166:167]
	v_div_scale_f64 v[168:169], null, v[166:167], v[166:167], 1.0
	v_rcp_f64_e32 v[183:184], v[168:169]
	v_fma_f64 v[185:186], -v[168:169], v[183:184], 1.0
	v_fma_f64 v[183:184], v[183:184], v[185:186], v[183:184]
	v_fma_f64 v[185:186], -v[168:169], v[183:184], 1.0
	v_fma_f64 v[183:184], v[183:184], v[185:186], v[183:184]
	v_div_scale_f64 v[185:186], vcc_lo, 1.0, v[166:167], 1.0
	v_mul_f64 v[187:188], v[185:186], v[183:184]
	v_fma_f64 v[168:169], -v[168:169], v[187:188], v[185:186]
	v_div_fmas_f64 v[168:169], v[168:169], v[183:184], v[187:188]
	v_div_fixup_f64 v[166:167], v[168:169], v[166:167], 1.0
	v_mul_f64 v[168:169], v[181:182], -v[166:167]
.LBB80_240:
	s_or_b32 exec_lo, exec_lo, s1
.LBB80_241:
	s_or_b32 exec_lo, exec_lo, s0
	s_mov_b32 s0, exec_lo
	v_cmpx_ne_u32_e64 v180, v174
	s_xor_b32 s0, exec_lo, s0
	s_cbranch_execz .LBB80_247
; %bb.242:
	s_mov_b32 s1, exec_lo
	v_cmpx_eq_u32_e32 11, v180
	s_cbranch_execz .LBB80_246
; %bb.243:
	v_cmp_ne_u32_e32 vcc_lo, 11, v174
	s_xor_b32 s2, s16, -1
	s_and_b32 s3, s2, vcc_lo
	s_and_saveexec_b32 s2, s3
	s_cbranch_execz .LBB80_245
; %bb.244:
	v_ashrrev_i32_e32 v175, 31, v174
	v_lshlrev_b64 v[180:181], 2, v[174:175]
	v_add_co_u32 v180, vcc_lo, v172, v180
	v_add_co_ci_u32_e64 v181, null, v173, v181, vcc_lo
	s_clause 0x1
	global_load_dword v0, v[180:181], off
	global_load_dword v175, v[172:173], off offset:44
	s_waitcnt vmcnt(1)
	global_store_dword v[172:173], v0, off offset:44
	s_waitcnt vmcnt(0)
	global_store_dword v[180:181], v175, off
.LBB80_245:
	s_or_b32 exec_lo, exec_lo, s2
	v_mov_b32_e32 v180, v174
	v_mov_b32_e32 v0, v174
.LBB80_246:
	s_or_b32 exec_lo, exec_lo, s1
.LBB80_247:
	s_andn2_saveexec_b32 s0, s0
	s_cbranch_execz .LBB80_249
; %bb.248:
	v_mov_b32_e32 v180, 11
	ds_write2_b64 v1, v[114:115], v[116:117] offset0:24 offset1:25
	ds_write2_b64 v1, v[110:111], v[112:113] offset0:26 offset1:27
	;; [unrolled: 1-line block ×29, first 2 shown]
.LBB80_249:
	s_or_b32 exec_lo, exec_lo, s0
	s_mov_b32 s0, exec_lo
	s_waitcnt lgkmcnt(0)
	s_waitcnt_vscnt null, 0x0
	s_barrier
	buffer_gl0_inv
	v_cmpx_lt_i32_e32 11, v180
	s_cbranch_execz .LBB80_251
; %bb.250:
	v_mul_f64 v[174:175], v[168:169], v[120:121]
	v_mul_f64 v[120:121], v[166:167], v[120:121]
	v_fma_f64 v[174:175], v[166:167], v[118:119], -v[174:175]
	v_fma_f64 v[120:121], v[168:169], v[118:119], v[120:121]
	ds_read2_b64 v[166:169], v1 offset0:24 offset1:25
	s_waitcnt lgkmcnt(0)
	v_mul_f64 v[118:119], v[168:169], v[120:121]
	v_fma_f64 v[118:119], v[166:167], v[174:175], -v[118:119]
	v_mul_f64 v[166:167], v[166:167], v[120:121]
	v_add_f64 v[114:115], v[114:115], -v[118:119]
	v_fma_f64 v[166:167], v[168:169], v[174:175], v[166:167]
	v_add_f64 v[116:117], v[116:117], -v[166:167]
	ds_read2_b64 v[166:169], v1 offset0:26 offset1:27
	s_waitcnt lgkmcnt(0)
	v_mul_f64 v[118:119], v[168:169], v[120:121]
	v_fma_f64 v[118:119], v[166:167], v[174:175], -v[118:119]
	v_mul_f64 v[166:167], v[166:167], v[120:121]
	v_add_f64 v[110:111], v[110:111], -v[118:119]
	v_fma_f64 v[166:167], v[168:169], v[174:175], v[166:167]
	v_add_f64 v[112:113], v[112:113], -v[166:167]
	;; [unrolled: 8-line block ×28, first 2 shown]
	ds_read2_b64 v[166:169], v1 offset0:80 offset1:81
	s_waitcnt lgkmcnt(0)
	v_mul_f64 v[118:119], v[168:169], v[120:121]
	v_fma_f64 v[118:119], v[166:167], v[174:175], -v[118:119]
	v_mul_f64 v[166:167], v[166:167], v[120:121]
	v_add_f64 v[2:3], v[2:3], -v[118:119]
	v_fma_f64 v[166:167], v[168:169], v[174:175], v[166:167]
	v_mov_b32_e32 v118, v174
	v_mov_b32_e32 v119, v175
	v_add_f64 v[4:5], v[4:5], -v[166:167]
.LBB80_251:
	s_or_b32 exec_lo, exec_lo, s0
	v_lshl_add_u32 v166, v180, 4, v1
	s_barrier
	buffer_gl0_inv
	v_mov_b32_e32 v174, 12
	ds_write2_b64 v166, v[114:115], v[116:117] offset1:1
	s_waitcnt lgkmcnt(0)
	s_barrier
	buffer_gl0_inv
	ds_read2_b64 v[166:169], v1 offset0:24 offset1:25
	s_cmp_lt_i32 s18, 14
	s_cbranch_scc1 .LBB80_254
; %bb.252:
	v_add3_u32 v175, v176, 0, 0xd0
	v_mov_b32_e32 v174, 12
	s_mov_b32 s1, 13
	s_inst_prefetch 0x1
	.p2align	6
.LBB80_253:                             ; =>This Inner Loop Header: Depth=1
	s_waitcnt lgkmcnt(0)
	v_cmp_gt_f64_e32 vcc_lo, 0, v[168:169]
	v_cmp_gt_f64_e64 s0, 0, v[166:167]
	ds_read2_b64 v[181:184], v175 offset1:1
	v_xor_b32_e32 v186, 0x80000000, v167
	v_xor_b32_e32 v188, 0x80000000, v169
	v_mov_b32_e32 v185, v166
	v_mov_b32_e32 v187, v168
	v_add_nc_u32_e32 v175, 16, v175
	s_waitcnt lgkmcnt(0)
	v_xor_b32_e32 v190, 0x80000000, v184
	v_cndmask_b32_e64 v186, v167, v186, s0
	v_cndmask_b32_e32 v188, v169, v188, vcc_lo
	v_cmp_gt_f64_e32 vcc_lo, 0, v[183:184]
	v_cmp_gt_f64_e64 s0, 0, v[181:182]
	v_mov_b32_e32 v189, v183
	v_add_f64 v[185:186], v[185:186], v[187:188]
	v_xor_b32_e32 v188, 0x80000000, v182
	v_mov_b32_e32 v187, v181
	v_cndmask_b32_e32 v190, v184, v190, vcc_lo
	v_cndmask_b32_e64 v188, v182, v188, s0
	v_add_f64 v[187:188], v[187:188], v[189:190]
	v_cmp_lt_f64_e32 vcc_lo, v[185:186], v[187:188]
	v_cndmask_b32_e32 v167, v167, v182, vcc_lo
	v_cndmask_b32_e32 v166, v166, v181, vcc_lo
	v_cndmask_b32_e32 v169, v169, v184, vcc_lo
	v_cndmask_b32_e32 v168, v168, v183, vcc_lo
	v_cndmask_b32_e64 v174, v174, s1, vcc_lo
	s_add_i32 s1, s1, 1
	s_cmp_lg_u32 s18, s1
	s_cbranch_scc1 .LBB80_253
.LBB80_254:
	s_inst_prefetch 0x2
	s_waitcnt lgkmcnt(0)
	v_cmp_eq_f64_e32 vcc_lo, 0, v[166:167]
	v_cmp_eq_f64_e64 s0, 0, v[168:169]
	s_and_b32 s0, vcc_lo, s0
	s_and_saveexec_b32 s1, s0
	s_xor_b32 s0, exec_lo, s1
; %bb.255:
	v_cmp_ne_u32_e32 vcc_lo, 0, v179
	v_cndmask_b32_e32 v179, 13, v179, vcc_lo
; %bb.256:
	s_andn2_saveexec_b32 s0, s0
	s_cbranch_execz .LBB80_262
; %bb.257:
	v_cmp_ngt_f64_e64 s1, |v[166:167]|, |v[168:169]|
	s_and_saveexec_b32 s2, s1
	s_xor_b32 s1, exec_lo, s2
	s_cbranch_execz .LBB80_259
; %bb.258:
	v_div_scale_f64 v[181:182], null, v[168:169], v[168:169], v[166:167]
	v_div_scale_f64 v[187:188], vcc_lo, v[166:167], v[168:169], v[166:167]
	v_rcp_f64_e32 v[183:184], v[181:182]
	v_fma_f64 v[185:186], -v[181:182], v[183:184], 1.0
	v_fma_f64 v[183:184], v[183:184], v[185:186], v[183:184]
	v_fma_f64 v[185:186], -v[181:182], v[183:184], 1.0
	v_fma_f64 v[183:184], v[183:184], v[185:186], v[183:184]
	v_mul_f64 v[185:186], v[187:188], v[183:184]
	v_fma_f64 v[181:182], -v[181:182], v[185:186], v[187:188]
	v_div_fmas_f64 v[181:182], v[181:182], v[183:184], v[185:186]
	v_div_fixup_f64 v[181:182], v[181:182], v[168:169], v[166:167]
	v_fma_f64 v[166:167], v[166:167], v[181:182], v[168:169]
	v_div_scale_f64 v[168:169], null, v[166:167], v[166:167], 1.0
	v_rcp_f64_e32 v[183:184], v[168:169]
	v_fma_f64 v[185:186], -v[168:169], v[183:184], 1.0
	v_fma_f64 v[183:184], v[183:184], v[185:186], v[183:184]
	v_fma_f64 v[185:186], -v[168:169], v[183:184], 1.0
	v_fma_f64 v[183:184], v[183:184], v[185:186], v[183:184]
	v_div_scale_f64 v[185:186], vcc_lo, 1.0, v[166:167], 1.0
	v_mul_f64 v[187:188], v[185:186], v[183:184]
	v_fma_f64 v[168:169], -v[168:169], v[187:188], v[185:186]
	v_div_fmas_f64 v[168:169], v[168:169], v[183:184], v[187:188]
	v_div_fixup_f64 v[168:169], v[168:169], v[166:167], 1.0
	v_mul_f64 v[166:167], v[181:182], v[168:169]
	v_xor_b32_e32 v169, 0x80000000, v169
.LBB80_259:
	s_andn2_saveexec_b32 s1, s1
	s_cbranch_execz .LBB80_261
; %bb.260:
	v_div_scale_f64 v[181:182], null, v[166:167], v[166:167], v[168:169]
	v_div_scale_f64 v[187:188], vcc_lo, v[168:169], v[166:167], v[168:169]
	v_rcp_f64_e32 v[183:184], v[181:182]
	v_fma_f64 v[185:186], -v[181:182], v[183:184], 1.0
	v_fma_f64 v[183:184], v[183:184], v[185:186], v[183:184]
	v_fma_f64 v[185:186], -v[181:182], v[183:184], 1.0
	v_fma_f64 v[183:184], v[183:184], v[185:186], v[183:184]
	v_mul_f64 v[185:186], v[187:188], v[183:184]
	v_fma_f64 v[181:182], -v[181:182], v[185:186], v[187:188]
	v_div_fmas_f64 v[181:182], v[181:182], v[183:184], v[185:186]
	v_div_fixup_f64 v[181:182], v[181:182], v[166:167], v[168:169]
	v_fma_f64 v[166:167], v[168:169], v[181:182], v[166:167]
	v_div_scale_f64 v[168:169], null, v[166:167], v[166:167], 1.0
	v_rcp_f64_e32 v[183:184], v[168:169]
	v_fma_f64 v[185:186], -v[168:169], v[183:184], 1.0
	v_fma_f64 v[183:184], v[183:184], v[185:186], v[183:184]
	v_fma_f64 v[185:186], -v[168:169], v[183:184], 1.0
	v_fma_f64 v[183:184], v[183:184], v[185:186], v[183:184]
	v_div_scale_f64 v[185:186], vcc_lo, 1.0, v[166:167], 1.0
	v_mul_f64 v[187:188], v[185:186], v[183:184]
	v_fma_f64 v[168:169], -v[168:169], v[187:188], v[185:186]
	v_div_fmas_f64 v[168:169], v[168:169], v[183:184], v[187:188]
	v_div_fixup_f64 v[166:167], v[168:169], v[166:167], 1.0
	v_mul_f64 v[168:169], v[181:182], -v[166:167]
.LBB80_261:
	s_or_b32 exec_lo, exec_lo, s1
.LBB80_262:
	s_or_b32 exec_lo, exec_lo, s0
	s_mov_b32 s0, exec_lo
	v_cmpx_ne_u32_e64 v180, v174
	s_xor_b32 s0, exec_lo, s0
	s_cbranch_execz .LBB80_268
; %bb.263:
	s_mov_b32 s1, exec_lo
	v_cmpx_eq_u32_e32 12, v180
	s_cbranch_execz .LBB80_267
; %bb.264:
	v_cmp_ne_u32_e32 vcc_lo, 12, v174
	s_xor_b32 s2, s16, -1
	s_and_b32 s3, s2, vcc_lo
	s_and_saveexec_b32 s2, s3
	s_cbranch_execz .LBB80_266
; %bb.265:
	v_ashrrev_i32_e32 v175, 31, v174
	v_lshlrev_b64 v[180:181], 2, v[174:175]
	v_add_co_u32 v180, vcc_lo, v172, v180
	v_add_co_ci_u32_e64 v181, null, v173, v181, vcc_lo
	s_clause 0x1
	global_load_dword v0, v[180:181], off
	global_load_dword v175, v[172:173], off offset:48
	s_waitcnt vmcnt(1)
	global_store_dword v[172:173], v0, off offset:48
	s_waitcnt vmcnt(0)
	global_store_dword v[180:181], v175, off
.LBB80_266:
	s_or_b32 exec_lo, exec_lo, s2
	v_mov_b32_e32 v180, v174
	v_mov_b32_e32 v0, v174
.LBB80_267:
	s_or_b32 exec_lo, exec_lo, s1
.LBB80_268:
	s_andn2_saveexec_b32 s0, s0
	s_cbranch_execz .LBB80_270
; %bb.269:
	v_mov_b32_e32 v180, 12
	ds_write2_b64 v1, v[110:111], v[112:113] offset0:26 offset1:27
	ds_write2_b64 v1, v[106:107], v[108:109] offset0:28 offset1:29
	;; [unrolled: 1-line block ×28, first 2 shown]
.LBB80_270:
	s_or_b32 exec_lo, exec_lo, s0
	s_mov_b32 s0, exec_lo
	s_waitcnt lgkmcnt(0)
	s_waitcnt_vscnt null, 0x0
	s_barrier
	buffer_gl0_inv
	v_cmpx_lt_i32_e32 12, v180
	s_cbranch_execz .LBB80_272
; %bb.271:
	v_mul_f64 v[174:175], v[168:169], v[116:117]
	v_mul_f64 v[116:117], v[166:167], v[116:117]
	v_fma_f64 v[174:175], v[166:167], v[114:115], -v[174:175]
	v_fma_f64 v[116:117], v[168:169], v[114:115], v[116:117]
	ds_read2_b64 v[166:169], v1 offset0:26 offset1:27
	s_waitcnt lgkmcnt(0)
	v_mul_f64 v[114:115], v[168:169], v[116:117]
	v_fma_f64 v[114:115], v[166:167], v[174:175], -v[114:115]
	v_mul_f64 v[166:167], v[166:167], v[116:117]
	v_add_f64 v[110:111], v[110:111], -v[114:115]
	v_fma_f64 v[166:167], v[168:169], v[174:175], v[166:167]
	v_add_f64 v[112:113], v[112:113], -v[166:167]
	ds_read2_b64 v[166:169], v1 offset0:28 offset1:29
	s_waitcnt lgkmcnt(0)
	v_mul_f64 v[114:115], v[168:169], v[116:117]
	v_fma_f64 v[114:115], v[166:167], v[174:175], -v[114:115]
	v_mul_f64 v[166:167], v[166:167], v[116:117]
	v_add_f64 v[106:107], v[106:107], -v[114:115]
	v_fma_f64 v[166:167], v[168:169], v[174:175], v[166:167]
	v_add_f64 v[108:109], v[108:109], -v[166:167]
	;; [unrolled: 8-line block ×27, first 2 shown]
	ds_read2_b64 v[166:169], v1 offset0:80 offset1:81
	s_waitcnt lgkmcnt(0)
	v_mul_f64 v[114:115], v[168:169], v[116:117]
	v_fma_f64 v[114:115], v[166:167], v[174:175], -v[114:115]
	v_mul_f64 v[166:167], v[166:167], v[116:117]
	v_add_f64 v[2:3], v[2:3], -v[114:115]
	v_fma_f64 v[166:167], v[168:169], v[174:175], v[166:167]
	v_mov_b32_e32 v114, v174
	v_mov_b32_e32 v115, v175
	v_add_f64 v[4:5], v[4:5], -v[166:167]
.LBB80_272:
	s_or_b32 exec_lo, exec_lo, s0
	v_lshl_add_u32 v166, v180, 4, v1
	s_barrier
	buffer_gl0_inv
	v_mov_b32_e32 v174, 13
	ds_write2_b64 v166, v[110:111], v[112:113] offset1:1
	s_waitcnt lgkmcnt(0)
	s_barrier
	buffer_gl0_inv
	ds_read2_b64 v[166:169], v1 offset0:26 offset1:27
	s_cmp_lt_i32 s18, 15
	s_cbranch_scc1 .LBB80_275
; %bb.273:
	v_add3_u32 v175, v176, 0, 0xe0
	v_mov_b32_e32 v174, 13
	s_mov_b32 s1, 14
	s_inst_prefetch 0x1
	.p2align	6
.LBB80_274:                             ; =>This Inner Loop Header: Depth=1
	s_waitcnt lgkmcnt(0)
	v_cmp_gt_f64_e32 vcc_lo, 0, v[168:169]
	v_cmp_gt_f64_e64 s0, 0, v[166:167]
	ds_read2_b64 v[181:184], v175 offset1:1
	v_xor_b32_e32 v186, 0x80000000, v167
	v_xor_b32_e32 v188, 0x80000000, v169
	v_mov_b32_e32 v185, v166
	v_mov_b32_e32 v187, v168
	v_add_nc_u32_e32 v175, 16, v175
	s_waitcnt lgkmcnt(0)
	v_xor_b32_e32 v190, 0x80000000, v184
	v_cndmask_b32_e64 v186, v167, v186, s0
	v_cndmask_b32_e32 v188, v169, v188, vcc_lo
	v_cmp_gt_f64_e32 vcc_lo, 0, v[183:184]
	v_cmp_gt_f64_e64 s0, 0, v[181:182]
	v_mov_b32_e32 v189, v183
	v_add_f64 v[185:186], v[185:186], v[187:188]
	v_xor_b32_e32 v188, 0x80000000, v182
	v_mov_b32_e32 v187, v181
	v_cndmask_b32_e32 v190, v184, v190, vcc_lo
	v_cndmask_b32_e64 v188, v182, v188, s0
	v_add_f64 v[187:188], v[187:188], v[189:190]
	v_cmp_lt_f64_e32 vcc_lo, v[185:186], v[187:188]
	v_cndmask_b32_e32 v167, v167, v182, vcc_lo
	v_cndmask_b32_e32 v166, v166, v181, vcc_lo
	;; [unrolled: 1-line block ×4, first 2 shown]
	v_cndmask_b32_e64 v174, v174, s1, vcc_lo
	s_add_i32 s1, s1, 1
	s_cmp_lg_u32 s18, s1
	s_cbranch_scc1 .LBB80_274
.LBB80_275:
	s_inst_prefetch 0x2
	s_waitcnt lgkmcnt(0)
	v_cmp_eq_f64_e32 vcc_lo, 0, v[166:167]
	v_cmp_eq_f64_e64 s0, 0, v[168:169]
	s_and_b32 s0, vcc_lo, s0
	s_and_saveexec_b32 s1, s0
	s_xor_b32 s0, exec_lo, s1
; %bb.276:
	v_cmp_ne_u32_e32 vcc_lo, 0, v179
	v_cndmask_b32_e32 v179, 14, v179, vcc_lo
; %bb.277:
	s_andn2_saveexec_b32 s0, s0
	s_cbranch_execz .LBB80_283
; %bb.278:
	v_cmp_ngt_f64_e64 s1, |v[166:167]|, |v[168:169]|
	s_and_saveexec_b32 s2, s1
	s_xor_b32 s1, exec_lo, s2
	s_cbranch_execz .LBB80_280
; %bb.279:
	v_div_scale_f64 v[181:182], null, v[168:169], v[168:169], v[166:167]
	v_div_scale_f64 v[187:188], vcc_lo, v[166:167], v[168:169], v[166:167]
	v_rcp_f64_e32 v[183:184], v[181:182]
	v_fma_f64 v[185:186], -v[181:182], v[183:184], 1.0
	v_fma_f64 v[183:184], v[183:184], v[185:186], v[183:184]
	v_fma_f64 v[185:186], -v[181:182], v[183:184], 1.0
	v_fma_f64 v[183:184], v[183:184], v[185:186], v[183:184]
	v_mul_f64 v[185:186], v[187:188], v[183:184]
	v_fma_f64 v[181:182], -v[181:182], v[185:186], v[187:188]
	v_div_fmas_f64 v[181:182], v[181:182], v[183:184], v[185:186]
	v_div_fixup_f64 v[181:182], v[181:182], v[168:169], v[166:167]
	v_fma_f64 v[166:167], v[166:167], v[181:182], v[168:169]
	v_div_scale_f64 v[168:169], null, v[166:167], v[166:167], 1.0
	v_rcp_f64_e32 v[183:184], v[168:169]
	v_fma_f64 v[185:186], -v[168:169], v[183:184], 1.0
	v_fma_f64 v[183:184], v[183:184], v[185:186], v[183:184]
	v_fma_f64 v[185:186], -v[168:169], v[183:184], 1.0
	v_fma_f64 v[183:184], v[183:184], v[185:186], v[183:184]
	v_div_scale_f64 v[185:186], vcc_lo, 1.0, v[166:167], 1.0
	v_mul_f64 v[187:188], v[185:186], v[183:184]
	v_fma_f64 v[168:169], -v[168:169], v[187:188], v[185:186]
	v_div_fmas_f64 v[168:169], v[168:169], v[183:184], v[187:188]
	v_div_fixup_f64 v[168:169], v[168:169], v[166:167], 1.0
	v_mul_f64 v[166:167], v[181:182], v[168:169]
	v_xor_b32_e32 v169, 0x80000000, v169
.LBB80_280:
	s_andn2_saveexec_b32 s1, s1
	s_cbranch_execz .LBB80_282
; %bb.281:
	v_div_scale_f64 v[181:182], null, v[166:167], v[166:167], v[168:169]
	v_div_scale_f64 v[187:188], vcc_lo, v[168:169], v[166:167], v[168:169]
	v_rcp_f64_e32 v[183:184], v[181:182]
	v_fma_f64 v[185:186], -v[181:182], v[183:184], 1.0
	v_fma_f64 v[183:184], v[183:184], v[185:186], v[183:184]
	v_fma_f64 v[185:186], -v[181:182], v[183:184], 1.0
	v_fma_f64 v[183:184], v[183:184], v[185:186], v[183:184]
	v_mul_f64 v[185:186], v[187:188], v[183:184]
	v_fma_f64 v[181:182], -v[181:182], v[185:186], v[187:188]
	v_div_fmas_f64 v[181:182], v[181:182], v[183:184], v[185:186]
	v_div_fixup_f64 v[181:182], v[181:182], v[166:167], v[168:169]
	v_fma_f64 v[166:167], v[168:169], v[181:182], v[166:167]
	v_div_scale_f64 v[168:169], null, v[166:167], v[166:167], 1.0
	v_rcp_f64_e32 v[183:184], v[168:169]
	v_fma_f64 v[185:186], -v[168:169], v[183:184], 1.0
	v_fma_f64 v[183:184], v[183:184], v[185:186], v[183:184]
	v_fma_f64 v[185:186], -v[168:169], v[183:184], 1.0
	v_fma_f64 v[183:184], v[183:184], v[185:186], v[183:184]
	v_div_scale_f64 v[185:186], vcc_lo, 1.0, v[166:167], 1.0
	v_mul_f64 v[187:188], v[185:186], v[183:184]
	v_fma_f64 v[168:169], -v[168:169], v[187:188], v[185:186]
	v_div_fmas_f64 v[168:169], v[168:169], v[183:184], v[187:188]
	v_div_fixup_f64 v[166:167], v[168:169], v[166:167], 1.0
	v_mul_f64 v[168:169], v[181:182], -v[166:167]
.LBB80_282:
	s_or_b32 exec_lo, exec_lo, s1
.LBB80_283:
	s_or_b32 exec_lo, exec_lo, s0
	s_mov_b32 s0, exec_lo
	v_cmpx_ne_u32_e64 v180, v174
	s_xor_b32 s0, exec_lo, s0
	s_cbranch_execz .LBB80_289
; %bb.284:
	s_mov_b32 s1, exec_lo
	v_cmpx_eq_u32_e32 13, v180
	s_cbranch_execz .LBB80_288
; %bb.285:
	v_cmp_ne_u32_e32 vcc_lo, 13, v174
	s_xor_b32 s2, s16, -1
	s_and_b32 s3, s2, vcc_lo
	s_and_saveexec_b32 s2, s3
	s_cbranch_execz .LBB80_287
; %bb.286:
	v_ashrrev_i32_e32 v175, 31, v174
	v_lshlrev_b64 v[180:181], 2, v[174:175]
	v_add_co_u32 v180, vcc_lo, v172, v180
	v_add_co_ci_u32_e64 v181, null, v173, v181, vcc_lo
	s_clause 0x1
	global_load_dword v0, v[180:181], off
	global_load_dword v175, v[172:173], off offset:52
	s_waitcnt vmcnt(1)
	global_store_dword v[172:173], v0, off offset:52
	s_waitcnt vmcnt(0)
	global_store_dword v[180:181], v175, off
.LBB80_287:
	s_or_b32 exec_lo, exec_lo, s2
	v_mov_b32_e32 v180, v174
	v_mov_b32_e32 v0, v174
.LBB80_288:
	s_or_b32 exec_lo, exec_lo, s1
.LBB80_289:
	s_andn2_saveexec_b32 s0, s0
	s_cbranch_execz .LBB80_291
; %bb.290:
	v_mov_b32_e32 v180, 13
	ds_write2_b64 v1, v[106:107], v[108:109] offset0:28 offset1:29
	ds_write2_b64 v1, v[102:103], v[104:105] offset0:30 offset1:31
	;; [unrolled: 1-line block ×27, first 2 shown]
.LBB80_291:
	s_or_b32 exec_lo, exec_lo, s0
	s_mov_b32 s0, exec_lo
	s_waitcnt lgkmcnt(0)
	s_waitcnt_vscnt null, 0x0
	s_barrier
	buffer_gl0_inv
	v_cmpx_lt_i32_e32 13, v180
	s_cbranch_execz .LBB80_293
; %bb.292:
	v_mul_f64 v[174:175], v[168:169], v[112:113]
	v_mul_f64 v[112:113], v[166:167], v[112:113]
	v_fma_f64 v[174:175], v[166:167], v[110:111], -v[174:175]
	v_fma_f64 v[112:113], v[168:169], v[110:111], v[112:113]
	ds_read2_b64 v[166:169], v1 offset0:28 offset1:29
	s_waitcnt lgkmcnt(0)
	v_mul_f64 v[110:111], v[168:169], v[112:113]
	v_fma_f64 v[110:111], v[166:167], v[174:175], -v[110:111]
	v_mul_f64 v[166:167], v[166:167], v[112:113]
	v_add_f64 v[106:107], v[106:107], -v[110:111]
	v_fma_f64 v[166:167], v[168:169], v[174:175], v[166:167]
	v_add_f64 v[108:109], v[108:109], -v[166:167]
	ds_read2_b64 v[166:169], v1 offset0:30 offset1:31
	s_waitcnt lgkmcnt(0)
	v_mul_f64 v[110:111], v[168:169], v[112:113]
	v_fma_f64 v[110:111], v[166:167], v[174:175], -v[110:111]
	v_mul_f64 v[166:167], v[166:167], v[112:113]
	v_add_f64 v[102:103], v[102:103], -v[110:111]
	v_fma_f64 v[166:167], v[168:169], v[174:175], v[166:167]
	v_add_f64 v[104:105], v[104:105], -v[166:167]
	;; [unrolled: 8-line block ×26, first 2 shown]
	ds_read2_b64 v[166:169], v1 offset0:80 offset1:81
	s_waitcnt lgkmcnt(0)
	v_mul_f64 v[110:111], v[168:169], v[112:113]
	v_fma_f64 v[110:111], v[166:167], v[174:175], -v[110:111]
	v_mul_f64 v[166:167], v[166:167], v[112:113]
	v_add_f64 v[2:3], v[2:3], -v[110:111]
	v_fma_f64 v[166:167], v[168:169], v[174:175], v[166:167]
	v_mov_b32_e32 v110, v174
	v_mov_b32_e32 v111, v175
	v_add_f64 v[4:5], v[4:5], -v[166:167]
.LBB80_293:
	s_or_b32 exec_lo, exec_lo, s0
	v_lshl_add_u32 v166, v180, 4, v1
	s_barrier
	buffer_gl0_inv
	v_mov_b32_e32 v174, 14
	ds_write2_b64 v166, v[106:107], v[108:109] offset1:1
	s_waitcnt lgkmcnt(0)
	s_barrier
	buffer_gl0_inv
	ds_read2_b64 v[166:169], v1 offset0:28 offset1:29
	s_cmp_lt_i32 s18, 16
	s_cbranch_scc1 .LBB80_296
; %bb.294:
	v_add3_u32 v175, v176, 0, 0xf0
	v_mov_b32_e32 v174, 14
	s_mov_b32 s1, 15
	s_inst_prefetch 0x1
	.p2align	6
.LBB80_295:                             ; =>This Inner Loop Header: Depth=1
	s_waitcnt lgkmcnt(0)
	v_cmp_gt_f64_e32 vcc_lo, 0, v[168:169]
	v_cmp_gt_f64_e64 s0, 0, v[166:167]
	ds_read2_b64 v[181:184], v175 offset1:1
	v_xor_b32_e32 v186, 0x80000000, v167
	v_xor_b32_e32 v188, 0x80000000, v169
	v_mov_b32_e32 v185, v166
	v_mov_b32_e32 v187, v168
	v_add_nc_u32_e32 v175, 16, v175
	s_waitcnt lgkmcnt(0)
	v_xor_b32_e32 v190, 0x80000000, v184
	v_cndmask_b32_e64 v186, v167, v186, s0
	v_cndmask_b32_e32 v188, v169, v188, vcc_lo
	v_cmp_gt_f64_e32 vcc_lo, 0, v[183:184]
	v_cmp_gt_f64_e64 s0, 0, v[181:182]
	v_mov_b32_e32 v189, v183
	v_add_f64 v[185:186], v[185:186], v[187:188]
	v_xor_b32_e32 v188, 0x80000000, v182
	v_mov_b32_e32 v187, v181
	v_cndmask_b32_e32 v190, v184, v190, vcc_lo
	v_cndmask_b32_e64 v188, v182, v188, s0
	v_add_f64 v[187:188], v[187:188], v[189:190]
	v_cmp_lt_f64_e32 vcc_lo, v[185:186], v[187:188]
	v_cndmask_b32_e32 v167, v167, v182, vcc_lo
	v_cndmask_b32_e32 v166, v166, v181, vcc_lo
	;; [unrolled: 1-line block ×4, first 2 shown]
	v_cndmask_b32_e64 v174, v174, s1, vcc_lo
	s_add_i32 s1, s1, 1
	s_cmp_lg_u32 s18, s1
	s_cbranch_scc1 .LBB80_295
.LBB80_296:
	s_inst_prefetch 0x2
	s_waitcnt lgkmcnt(0)
	v_cmp_eq_f64_e32 vcc_lo, 0, v[166:167]
	v_cmp_eq_f64_e64 s0, 0, v[168:169]
	s_and_b32 s0, vcc_lo, s0
	s_and_saveexec_b32 s1, s0
	s_xor_b32 s0, exec_lo, s1
; %bb.297:
	v_cmp_ne_u32_e32 vcc_lo, 0, v179
	v_cndmask_b32_e32 v179, 15, v179, vcc_lo
; %bb.298:
	s_andn2_saveexec_b32 s0, s0
	s_cbranch_execz .LBB80_304
; %bb.299:
	v_cmp_ngt_f64_e64 s1, |v[166:167]|, |v[168:169]|
	s_and_saveexec_b32 s2, s1
	s_xor_b32 s1, exec_lo, s2
	s_cbranch_execz .LBB80_301
; %bb.300:
	v_div_scale_f64 v[181:182], null, v[168:169], v[168:169], v[166:167]
	v_div_scale_f64 v[187:188], vcc_lo, v[166:167], v[168:169], v[166:167]
	v_rcp_f64_e32 v[183:184], v[181:182]
	v_fma_f64 v[185:186], -v[181:182], v[183:184], 1.0
	v_fma_f64 v[183:184], v[183:184], v[185:186], v[183:184]
	v_fma_f64 v[185:186], -v[181:182], v[183:184], 1.0
	v_fma_f64 v[183:184], v[183:184], v[185:186], v[183:184]
	v_mul_f64 v[185:186], v[187:188], v[183:184]
	v_fma_f64 v[181:182], -v[181:182], v[185:186], v[187:188]
	v_div_fmas_f64 v[181:182], v[181:182], v[183:184], v[185:186]
	v_div_fixup_f64 v[181:182], v[181:182], v[168:169], v[166:167]
	v_fma_f64 v[166:167], v[166:167], v[181:182], v[168:169]
	v_div_scale_f64 v[168:169], null, v[166:167], v[166:167], 1.0
	v_rcp_f64_e32 v[183:184], v[168:169]
	v_fma_f64 v[185:186], -v[168:169], v[183:184], 1.0
	v_fma_f64 v[183:184], v[183:184], v[185:186], v[183:184]
	v_fma_f64 v[185:186], -v[168:169], v[183:184], 1.0
	v_fma_f64 v[183:184], v[183:184], v[185:186], v[183:184]
	v_div_scale_f64 v[185:186], vcc_lo, 1.0, v[166:167], 1.0
	v_mul_f64 v[187:188], v[185:186], v[183:184]
	v_fma_f64 v[168:169], -v[168:169], v[187:188], v[185:186]
	v_div_fmas_f64 v[168:169], v[168:169], v[183:184], v[187:188]
	v_div_fixup_f64 v[168:169], v[168:169], v[166:167], 1.0
	v_mul_f64 v[166:167], v[181:182], v[168:169]
	v_xor_b32_e32 v169, 0x80000000, v169
.LBB80_301:
	s_andn2_saveexec_b32 s1, s1
	s_cbranch_execz .LBB80_303
; %bb.302:
	v_div_scale_f64 v[181:182], null, v[166:167], v[166:167], v[168:169]
	v_div_scale_f64 v[187:188], vcc_lo, v[168:169], v[166:167], v[168:169]
	v_rcp_f64_e32 v[183:184], v[181:182]
	v_fma_f64 v[185:186], -v[181:182], v[183:184], 1.0
	v_fma_f64 v[183:184], v[183:184], v[185:186], v[183:184]
	v_fma_f64 v[185:186], -v[181:182], v[183:184], 1.0
	v_fma_f64 v[183:184], v[183:184], v[185:186], v[183:184]
	v_mul_f64 v[185:186], v[187:188], v[183:184]
	v_fma_f64 v[181:182], -v[181:182], v[185:186], v[187:188]
	v_div_fmas_f64 v[181:182], v[181:182], v[183:184], v[185:186]
	v_div_fixup_f64 v[181:182], v[181:182], v[166:167], v[168:169]
	v_fma_f64 v[166:167], v[168:169], v[181:182], v[166:167]
	v_div_scale_f64 v[168:169], null, v[166:167], v[166:167], 1.0
	v_rcp_f64_e32 v[183:184], v[168:169]
	v_fma_f64 v[185:186], -v[168:169], v[183:184], 1.0
	v_fma_f64 v[183:184], v[183:184], v[185:186], v[183:184]
	v_fma_f64 v[185:186], -v[168:169], v[183:184], 1.0
	v_fma_f64 v[183:184], v[183:184], v[185:186], v[183:184]
	v_div_scale_f64 v[185:186], vcc_lo, 1.0, v[166:167], 1.0
	v_mul_f64 v[187:188], v[185:186], v[183:184]
	v_fma_f64 v[168:169], -v[168:169], v[187:188], v[185:186]
	v_div_fmas_f64 v[168:169], v[168:169], v[183:184], v[187:188]
	v_div_fixup_f64 v[166:167], v[168:169], v[166:167], 1.0
	v_mul_f64 v[168:169], v[181:182], -v[166:167]
.LBB80_303:
	s_or_b32 exec_lo, exec_lo, s1
.LBB80_304:
	s_or_b32 exec_lo, exec_lo, s0
	s_mov_b32 s0, exec_lo
	v_cmpx_ne_u32_e64 v180, v174
	s_xor_b32 s0, exec_lo, s0
	s_cbranch_execz .LBB80_310
; %bb.305:
	s_mov_b32 s1, exec_lo
	v_cmpx_eq_u32_e32 14, v180
	s_cbranch_execz .LBB80_309
; %bb.306:
	v_cmp_ne_u32_e32 vcc_lo, 14, v174
	s_xor_b32 s2, s16, -1
	s_and_b32 s3, s2, vcc_lo
	s_and_saveexec_b32 s2, s3
	s_cbranch_execz .LBB80_308
; %bb.307:
	v_ashrrev_i32_e32 v175, 31, v174
	v_lshlrev_b64 v[180:181], 2, v[174:175]
	v_add_co_u32 v180, vcc_lo, v172, v180
	v_add_co_ci_u32_e64 v181, null, v173, v181, vcc_lo
	s_clause 0x1
	global_load_dword v0, v[180:181], off
	global_load_dword v175, v[172:173], off offset:56
	s_waitcnt vmcnt(1)
	global_store_dword v[172:173], v0, off offset:56
	s_waitcnt vmcnt(0)
	global_store_dword v[180:181], v175, off
.LBB80_308:
	s_or_b32 exec_lo, exec_lo, s2
	v_mov_b32_e32 v180, v174
	v_mov_b32_e32 v0, v174
.LBB80_309:
	s_or_b32 exec_lo, exec_lo, s1
.LBB80_310:
	s_andn2_saveexec_b32 s0, s0
	s_cbranch_execz .LBB80_312
; %bb.311:
	v_mov_b32_e32 v180, 14
	ds_write2_b64 v1, v[102:103], v[104:105] offset0:30 offset1:31
	ds_write2_b64 v1, v[98:99], v[100:101] offset0:32 offset1:33
	;; [unrolled: 1-line block ×26, first 2 shown]
.LBB80_312:
	s_or_b32 exec_lo, exec_lo, s0
	s_mov_b32 s0, exec_lo
	s_waitcnt lgkmcnt(0)
	s_waitcnt_vscnt null, 0x0
	s_barrier
	buffer_gl0_inv
	v_cmpx_lt_i32_e32 14, v180
	s_cbranch_execz .LBB80_314
; %bb.313:
	v_mul_f64 v[174:175], v[168:169], v[108:109]
	v_mul_f64 v[108:109], v[166:167], v[108:109]
	v_fma_f64 v[174:175], v[166:167], v[106:107], -v[174:175]
	v_fma_f64 v[108:109], v[168:169], v[106:107], v[108:109]
	ds_read2_b64 v[166:169], v1 offset0:30 offset1:31
	s_waitcnt lgkmcnt(0)
	v_mul_f64 v[106:107], v[168:169], v[108:109]
	v_fma_f64 v[106:107], v[166:167], v[174:175], -v[106:107]
	v_mul_f64 v[166:167], v[166:167], v[108:109]
	v_add_f64 v[102:103], v[102:103], -v[106:107]
	v_fma_f64 v[166:167], v[168:169], v[174:175], v[166:167]
	v_add_f64 v[104:105], v[104:105], -v[166:167]
	ds_read2_b64 v[166:169], v1 offset0:32 offset1:33
	s_waitcnt lgkmcnt(0)
	v_mul_f64 v[106:107], v[168:169], v[108:109]
	v_fma_f64 v[106:107], v[166:167], v[174:175], -v[106:107]
	v_mul_f64 v[166:167], v[166:167], v[108:109]
	v_add_f64 v[98:99], v[98:99], -v[106:107]
	v_fma_f64 v[166:167], v[168:169], v[174:175], v[166:167]
	v_add_f64 v[100:101], v[100:101], -v[166:167]
	;; [unrolled: 8-line block ×25, first 2 shown]
	ds_read2_b64 v[166:169], v1 offset0:80 offset1:81
	s_waitcnt lgkmcnt(0)
	v_mul_f64 v[106:107], v[168:169], v[108:109]
	v_fma_f64 v[106:107], v[166:167], v[174:175], -v[106:107]
	v_mul_f64 v[166:167], v[166:167], v[108:109]
	v_add_f64 v[2:3], v[2:3], -v[106:107]
	v_fma_f64 v[166:167], v[168:169], v[174:175], v[166:167]
	v_mov_b32_e32 v106, v174
	v_mov_b32_e32 v107, v175
	v_add_f64 v[4:5], v[4:5], -v[166:167]
.LBB80_314:
	s_or_b32 exec_lo, exec_lo, s0
	v_lshl_add_u32 v166, v180, 4, v1
	s_barrier
	buffer_gl0_inv
	v_mov_b32_e32 v174, 15
	ds_write2_b64 v166, v[102:103], v[104:105] offset1:1
	s_waitcnt lgkmcnt(0)
	s_barrier
	buffer_gl0_inv
	ds_read2_b64 v[166:169], v1 offset0:30 offset1:31
	s_cmp_lt_i32 s18, 17
	s_cbranch_scc1 .LBB80_317
; %bb.315:
	v_add3_u32 v175, v176, 0, 0x100
	v_mov_b32_e32 v174, 15
	s_mov_b32 s1, 16
	s_inst_prefetch 0x1
	.p2align	6
.LBB80_316:                             ; =>This Inner Loop Header: Depth=1
	s_waitcnt lgkmcnt(0)
	v_cmp_gt_f64_e32 vcc_lo, 0, v[168:169]
	v_cmp_gt_f64_e64 s0, 0, v[166:167]
	ds_read2_b64 v[181:184], v175 offset1:1
	v_xor_b32_e32 v186, 0x80000000, v167
	v_xor_b32_e32 v188, 0x80000000, v169
	v_mov_b32_e32 v185, v166
	v_mov_b32_e32 v187, v168
	v_add_nc_u32_e32 v175, 16, v175
	s_waitcnt lgkmcnt(0)
	v_xor_b32_e32 v190, 0x80000000, v184
	v_cndmask_b32_e64 v186, v167, v186, s0
	v_cndmask_b32_e32 v188, v169, v188, vcc_lo
	v_cmp_gt_f64_e32 vcc_lo, 0, v[183:184]
	v_cmp_gt_f64_e64 s0, 0, v[181:182]
	v_mov_b32_e32 v189, v183
	v_add_f64 v[185:186], v[185:186], v[187:188]
	v_xor_b32_e32 v188, 0x80000000, v182
	v_mov_b32_e32 v187, v181
	v_cndmask_b32_e32 v190, v184, v190, vcc_lo
	v_cndmask_b32_e64 v188, v182, v188, s0
	v_add_f64 v[187:188], v[187:188], v[189:190]
	v_cmp_lt_f64_e32 vcc_lo, v[185:186], v[187:188]
	v_cndmask_b32_e32 v167, v167, v182, vcc_lo
	v_cndmask_b32_e32 v166, v166, v181, vcc_lo
	;; [unrolled: 1-line block ×4, first 2 shown]
	v_cndmask_b32_e64 v174, v174, s1, vcc_lo
	s_add_i32 s1, s1, 1
	s_cmp_lg_u32 s18, s1
	s_cbranch_scc1 .LBB80_316
.LBB80_317:
	s_inst_prefetch 0x2
	s_waitcnt lgkmcnt(0)
	v_cmp_eq_f64_e32 vcc_lo, 0, v[166:167]
	v_cmp_eq_f64_e64 s0, 0, v[168:169]
	s_and_b32 s0, vcc_lo, s0
	s_and_saveexec_b32 s1, s0
	s_xor_b32 s0, exec_lo, s1
; %bb.318:
	v_cmp_ne_u32_e32 vcc_lo, 0, v179
	v_cndmask_b32_e32 v179, 16, v179, vcc_lo
; %bb.319:
	s_andn2_saveexec_b32 s0, s0
	s_cbranch_execz .LBB80_325
; %bb.320:
	v_cmp_ngt_f64_e64 s1, |v[166:167]|, |v[168:169]|
	s_and_saveexec_b32 s2, s1
	s_xor_b32 s1, exec_lo, s2
	s_cbranch_execz .LBB80_322
; %bb.321:
	v_div_scale_f64 v[181:182], null, v[168:169], v[168:169], v[166:167]
	v_div_scale_f64 v[187:188], vcc_lo, v[166:167], v[168:169], v[166:167]
	v_rcp_f64_e32 v[183:184], v[181:182]
	v_fma_f64 v[185:186], -v[181:182], v[183:184], 1.0
	v_fma_f64 v[183:184], v[183:184], v[185:186], v[183:184]
	v_fma_f64 v[185:186], -v[181:182], v[183:184], 1.0
	v_fma_f64 v[183:184], v[183:184], v[185:186], v[183:184]
	v_mul_f64 v[185:186], v[187:188], v[183:184]
	v_fma_f64 v[181:182], -v[181:182], v[185:186], v[187:188]
	v_div_fmas_f64 v[181:182], v[181:182], v[183:184], v[185:186]
	v_div_fixup_f64 v[181:182], v[181:182], v[168:169], v[166:167]
	v_fma_f64 v[166:167], v[166:167], v[181:182], v[168:169]
	v_div_scale_f64 v[168:169], null, v[166:167], v[166:167], 1.0
	v_rcp_f64_e32 v[183:184], v[168:169]
	v_fma_f64 v[185:186], -v[168:169], v[183:184], 1.0
	v_fma_f64 v[183:184], v[183:184], v[185:186], v[183:184]
	v_fma_f64 v[185:186], -v[168:169], v[183:184], 1.0
	v_fma_f64 v[183:184], v[183:184], v[185:186], v[183:184]
	v_div_scale_f64 v[185:186], vcc_lo, 1.0, v[166:167], 1.0
	v_mul_f64 v[187:188], v[185:186], v[183:184]
	v_fma_f64 v[168:169], -v[168:169], v[187:188], v[185:186]
	v_div_fmas_f64 v[168:169], v[168:169], v[183:184], v[187:188]
	v_div_fixup_f64 v[168:169], v[168:169], v[166:167], 1.0
	v_mul_f64 v[166:167], v[181:182], v[168:169]
	v_xor_b32_e32 v169, 0x80000000, v169
.LBB80_322:
	s_andn2_saveexec_b32 s1, s1
	s_cbranch_execz .LBB80_324
; %bb.323:
	v_div_scale_f64 v[181:182], null, v[166:167], v[166:167], v[168:169]
	v_div_scale_f64 v[187:188], vcc_lo, v[168:169], v[166:167], v[168:169]
	v_rcp_f64_e32 v[183:184], v[181:182]
	v_fma_f64 v[185:186], -v[181:182], v[183:184], 1.0
	v_fma_f64 v[183:184], v[183:184], v[185:186], v[183:184]
	v_fma_f64 v[185:186], -v[181:182], v[183:184], 1.0
	v_fma_f64 v[183:184], v[183:184], v[185:186], v[183:184]
	v_mul_f64 v[185:186], v[187:188], v[183:184]
	v_fma_f64 v[181:182], -v[181:182], v[185:186], v[187:188]
	v_div_fmas_f64 v[181:182], v[181:182], v[183:184], v[185:186]
	v_div_fixup_f64 v[181:182], v[181:182], v[166:167], v[168:169]
	v_fma_f64 v[166:167], v[168:169], v[181:182], v[166:167]
	v_div_scale_f64 v[168:169], null, v[166:167], v[166:167], 1.0
	v_rcp_f64_e32 v[183:184], v[168:169]
	v_fma_f64 v[185:186], -v[168:169], v[183:184], 1.0
	v_fma_f64 v[183:184], v[183:184], v[185:186], v[183:184]
	v_fma_f64 v[185:186], -v[168:169], v[183:184], 1.0
	v_fma_f64 v[183:184], v[183:184], v[185:186], v[183:184]
	v_div_scale_f64 v[185:186], vcc_lo, 1.0, v[166:167], 1.0
	v_mul_f64 v[187:188], v[185:186], v[183:184]
	v_fma_f64 v[168:169], -v[168:169], v[187:188], v[185:186]
	v_div_fmas_f64 v[168:169], v[168:169], v[183:184], v[187:188]
	v_div_fixup_f64 v[166:167], v[168:169], v[166:167], 1.0
	v_mul_f64 v[168:169], v[181:182], -v[166:167]
.LBB80_324:
	s_or_b32 exec_lo, exec_lo, s1
.LBB80_325:
	s_or_b32 exec_lo, exec_lo, s0
	s_mov_b32 s0, exec_lo
	v_cmpx_ne_u32_e64 v180, v174
	s_xor_b32 s0, exec_lo, s0
	s_cbranch_execz .LBB80_331
; %bb.326:
	s_mov_b32 s1, exec_lo
	v_cmpx_eq_u32_e32 15, v180
	s_cbranch_execz .LBB80_330
; %bb.327:
	v_cmp_ne_u32_e32 vcc_lo, 15, v174
	s_xor_b32 s2, s16, -1
	s_and_b32 s3, s2, vcc_lo
	s_and_saveexec_b32 s2, s3
	s_cbranch_execz .LBB80_329
; %bb.328:
	v_ashrrev_i32_e32 v175, 31, v174
	v_lshlrev_b64 v[180:181], 2, v[174:175]
	v_add_co_u32 v180, vcc_lo, v172, v180
	v_add_co_ci_u32_e64 v181, null, v173, v181, vcc_lo
	s_clause 0x1
	global_load_dword v0, v[180:181], off
	global_load_dword v175, v[172:173], off offset:60
	s_waitcnt vmcnt(1)
	global_store_dword v[172:173], v0, off offset:60
	s_waitcnt vmcnt(0)
	global_store_dword v[180:181], v175, off
.LBB80_329:
	s_or_b32 exec_lo, exec_lo, s2
	v_mov_b32_e32 v180, v174
	v_mov_b32_e32 v0, v174
.LBB80_330:
	s_or_b32 exec_lo, exec_lo, s1
.LBB80_331:
	s_andn2_saveexec_b32 s0, s0
	s_cbranch_execz .LBB80_333
; %bb.332:
	v_mov_b32_e32 v180, 15
	ds_write2_b64 v1, v[98:99], v[100:101] offset0:32 offset1:33
	ds_write2_b64 v1, v[94:95], v[96:97] offset0:34 offset1:35
	;; [unrolled: 1-line block ×25, first 2 shown]
.LBB80_333:
	s_or_b32 exec_lo, exec_lo, s0
	s_mov_b32 s0, exec_lo
	s_waitcnt lgkmcnt(0)
	s_waitcnt_vscnt null, 0x0
	s_barrier
	buffer_gl0_inv
	v_cmpx_lt_i32_e32 15, v180
	s_cbranch_execz .LBB80_335
; %bb.334:
	v_mul_f64 v[174:175], v[168:169], v[104:105]
	v_mul_f64 v[104:105], v[166:167], v[104:105]
	v_fma_f64 v[174:175], v[166:167], v[102:103], -v[174:175]
	v_fma_f64 v[104:105], v[168:169], v[102:103], v[104:105]
	ds_read2_b64 v[166:169], v1 offset0:32 offset1:33
	s_waitcnt lgkmcnt(0)
	v_mul_f64 v[102:103], v[168:169], v[104:105]
	v_fma_f64 v[102:103], v[166:167], v[174:175], -v[102:103]
	v_mul_f64 v[166:167], v[166:167], v[104:105]
	v_add_f64 v[98:99], v[98:99], -v[102:103]
	v_fma_f64 v[166:167], v[168:169], v[174:175], v[166:167]
	v_add_f64 v[100:101], v[100:101], -v[166:167]
	ds_read2_b64 v[166:169], v1 offset0:34 offset1:35
	s_waitcnt lgkmcnt(0)
	v_mul_f64 v[102:103], v[168:169], v[104:105]
	v_fma_f64 v[102:103], v[166:167], v[174:175], -v[102:103]
	v_mul_f64 v[166:167], v[166:167], v[104:105]
	v_add_f64 v[94:95], v[94:95], -v[102:103]
	v_fma_f64 v[166:167], v[168:169], v[174:175], v[166:167]
	v_add_f64 v[96:97], v[96:97], -v[166:167]
	;; [unrolled: 8-line block ×24, first 2 shown]
	ds_read2_b64 v[166:169], v1 offset0:80 offset1:81
	s_waitcnt lgkmcnt(0)
	v_mul_f64 v[102:103], v[168:169], v[104:105]
	v_fma_f64 v[102:103], v[166:167], v[174:175], -v[102:103]
	v_mul_f64 v[166:167], v[166:167], v[104:105]
	v_add_f64 v[2:3], v[2:3], -v[102:103]
	v_fma_f64 v[166:167], v[168:169], v[174:175], v[166:167]
	v_mov_b32_e32 v102, v174
	v_mov_b32_e32 v103, v175
	v_add_f64 v[4:5], v[4:5], -v[166:167]
.LBB80_335:
	s_or_b32 exec_lo, exec_lo, s0
	v_lshl_add_u32 v166, v180, 4, v1
	s_barrier
	buffer_gl0_inv
	v_mov_b32_e32 v174, 16
	ds_write2_b64 v166, v[98:99], v[100:101] offset1:1
	s_waitcnt lgkmcnt(0)
	s_barrier
	buffer_gl0_inv
	ds_read2_b64 v[166:169], v1 offset0:32 offset1:33
	s_cmp_lt_i32 s18, 18
	s_cbranch_scc1 .LBB80_338
; %bb.336:
	v_add3_u32 v175, v176, 0, 0x110
	v_mov_b32_e32 v174, 16
	s_mov_b32 s1, 17
	s_inst_prefetch 0x1
	.p2align	6
.LBB80_337:                             ; =>This Inner Loop Header: Depth=1
	s_waitcnt lgkmcnt(0)
	v_cmp_gt_f64_e32 vcc_lo, 0, v[168:169]
	v_cmp_gt_f64_e64 s0, 0, v[166:167]
	ds_read2_b64 v[181:184], v175 offset1:1
	v_xor_b32_e32 v186, 0x80000000, v167
	v_xor_b32_e32 v188, 0x80000000, v169
	v_mov_b32_e32 v185, v166
	v_mov_b32_e32 v187, v168
	v_add_nc_u32_e32 v175, 16, v175
	s_waitcnt lgkmcnt(0)
	v_xor_b32_e32 v190, 0x80000000, v184
	v_cndmask_b32_e64 v186, v167, v186, s0
	v_cndmask_b32_e32 v188, v169, v188, vcc_lo
	v_cmp_gt_f64_e32 vcc_lo, 0, v[183:184]
	v_cmp_gt_f64_e64 s0, 0, v[181:182]
	v_mov_b32_e32 v189, v183
	v_add_f64 v[185:186], v[185:186], v[187:188]
	v_xor_b32_e32 v188, 0x80000000, v182
	v_mov_b32_e32 v187, v181
	v_cndmask_b32_e32 v190, v184, v190, vcc_lo
	v_cndmask_b32_e64 v188, v182, v188, s0
	v_add_f64 v[187:188], v[187:188], v[189:190]
	v_cmp_lt_f64_e32 vcc_lo, v[185:186], v[187:188]
	v_cndmask_b32_e32 v167, v167, v182, vcc_lo
	v_cndmask_b32_e32 v166, v166, v181, vcc_lo
	;; [unrolled: 1-line block ×4, first 2 shown]
	v_cndmask_b32_e64 v174, v174, s1, vcc_lo
	s_add_i32 s1, s1, 1
	s_cmp_lg_u32 s18, s1
	s_cbranch_scc1 .LBB80_337
.LBB80_338:
	s_inst_prefetch 0x2
	s_waitcnt lgkmcnt(0)
	v_cmp_eq_f64_e32 vcc_lo, 0, v[166:167]
	v_cmp_eq_f64_e64 s0, 0, v[168:169]
	s_and_b32 s0, vcc_lo, s0
	s_and_saveexec_b32 s1, s0
	s_xor_b32 s0, exec_lo, s1
; %bb.339:
	v_cmp_ne_u32_e32 vcc_lo, 0, v179
	v_cndmask_b32_e32 v179, 17, v179, vcc_lo
; %bb.340:
	s_andn2_saveexec_b32 s0, s0
	s_cbranch_execz .LBB80_346
; %bb.341:
	v_cmp_ngt_f64_e64 s1, |v[166:167]|, |v[168:169]|
	s_and_saveexec_b32 s2, s1
	s_xor_b32 s1, exec_lo, s2
	s_cbranch_execz .LBB80_343
; %bb.342:
	v_div_scale_f64 v[181:182], null, v[168:169], v[168:169], v[166:167]
	v_div_scale_f64 v[187:188], vcc_lo, v[166:167], v[168:169], v[166:167]
	v_rcp_f64_e32 v[183:184], v[181:182]
	v_fma_f64 v[185:186], -v[181:182], v[183:184], 1.0
	v_fma_f64 v[183:184], v[183:184], v[185:186], v[183:184]
	v_fma_f64 v[185:186], -v[181:182], v[183:184], 1.0
	v_fma_f64 v[183:184], v[183:184], v[185:186], v[183:184]
	v_mul_f64 v[185:186], v[187:188], v[183:184]
	v_fma_f64 v[181:182], -v[181:182], v[185:186], v[187:188]
	v_div_fmas_f64 v[181:182], v[181:182], v[183:184], v[185:186]
	v_div_fixup_f64 v[181:182], v[181:182], v[168:169], v[166:167]
	v_fma_f64 v[166:167], v[166:167], v[181:182], v[168:169]
	v_div_scale_f64 v[168:169], null, v[166:167], v[166:167], 1.0
	v_rcp_f64_e32 v[183:184], v[168:169]
	v_fma_f64 v[185:186], -v[168:169], v[183:184], 1.0
	v_fma_f64 v[183:184], v[183:184], v[185:186], v[183:184]
	v_fma_f64 v[185:186], -v[168:169], v[183:184], 1.0
	v_fma_f64 v[183:184], v[183:184], v[185:186], v[183:184]
	v_div_scale_f64 v[185:186], vcc_lo, 1.0, v[166:167], 1.0
	v_mul_f64 v[187:188], v[185:186], v[183:184]
	v_fma_f64 v[168:169], -v[168:169], v[187:188], v[185:186]
	v_div_fmas_f64 v[168:169], v[168:169], v[183:184], v[187:188]
	v_div_fixup_f64 v[168:169], v[168:169], v[166:167], 1.0
	v_mul_f64 v[166:167], v[181:182], v[168:169]
	v_xor_b32_e32 v169, 0x80000000, v169
.LBB80_343:
	s_andn2_saveexec_b32 s1, s1
	s_cbranch_execz .LBB80_345
; %bb.344:
	v_div_scale_f64 v[181:182], null, v[166:167], v[166:167], v[168:169]
	v_div_scale_f64 v[187:188], vcc_lo, v[168:169], v[166:167], v[168:169]
	v_rcp_f64_e32 v[183:184], v[181:182]
	v_fma_f64 v[185:186], -v[181:182], v[183:184], 1.0
	v_fma_f64 v[183:184], v[183:184], v[185:186], v[183:184]
	v_fma_f64 v[185:186], -v[181:182], v[183:184], 1.0
	v_fma_f64 v[183:184], v[183:184], v[185:186], v[183:184]
	v_mul_f64 v[185:186], v[187:188], v[183:184]
	v_fma_f64 v[181:182], -v[181:182], v[185:186], v[187:188]
	v_div_fmas_f64 v[181:182], v[181:182], v[183:184], v[185:186]
	v_div_fixup_f64 v[181:182], v[181:182], v[166:167], v[168:169]
	v_fma_f64 v[166:167], v[168:169], v[181:182], v[166:167]
	v_div_scale_f64 v[168:169], null, v[166:167], v[166:167], 1.0
	v_rcp_f64_e32 v[183:184], v[168:169]
	v_fma_f64 v[185:186], -v[168:169], v[183:184], 1.0
	v_fma_f64 v[183:184], v[183:184], v[185:186], v[183:184]
	v_fma_f64 v[185:186], -v[168:169], v[183:184], 1.0
	v_fma_f64 v[183:184], v[183:184], v[185:186], v[183:184]
	v_div_scale_f64 v[185:186], vcc_lo, 1.0, v[166:167], 1.0
	v_mul_f64 v[187:188], v[185:186], v[183:184]
	v_fma_f64 v[168:169], -v[168:169], v[187:188], v[185:186]
	v_div_fmas_f64 v[168:169], v[168:169], v[183:184], v[187:188]
	v_div_fixup_f64 v[166:167], v[168:169], v[166:167], 1.0
	v_mul_f64 v[168:169], v[181:182], -v[166:167]
.LBB80_345:
	s_or_b32 exec_lo, exec_lo, s1
.LBB80_346:
	s_or_b32 exec_lo, exec_lo, s0
	s_mov_b32 s0, exec_lo
	v_cmpx_ne_u32_e64 v180, v174
	s_xor_b32 s0, exec_lo, s0
	s_cbranch_execz .LBB80_352
; %bb.347:
	s_mov_b32 s1, exec_lo
	v_cmpx_eq_u32_e32 16, v180
	s_cbranch_execz .LBB80_351
; %bb.348:
	v_cmp_ne_u32_e32 vcc_lo, 16, v174
	s_xor_b32 s2, s16, -1
	s_and_b32 s3, s2, vcc_lo
	s_and_saveexec_b32 s2, s3
	s_cbranch_execz .LBB80_350
; %bb.349:
	v_ashrrev_i32_e32 v175, 31, v174
	v_lshlrev_b64 v[180:181], 2, v[174:175]
	v_add_co_u32 v180, vcc_lo, v172, v180
	v_add_co_ci_u32_e64 v181, null, v173, v181, vcc_lo
	s_clause 0x1
	global_load_dword v0, v[180:181], off
	global_load_dword v175, v[172:173], off offset:64
	s_waitcnt vmcnt(1)
	global_store_dword v[172:173], v0, off offset:64
	s_waitcnt vmcnt(0)
	global_store_dword v[180:181], v175, off
.LBB80_350:
	s_or_b32 exec_lo, exec_lo, s2
	v_mov_b32_e32 v180, v174
	v_mov_b32_e32 v0, v174
.LBB80_351:
	s_or_b32 exec_lo, exec_lo, s1
.LBB80_352:
	s_andn2_saveexec_b32 s0, s0
	s_cbranch_execz .LBB80_354
; %bb.353:
	v_mov_b32_e32 v180, 16
	ds_write2_b64 v1, v[94:95], v[96:97] offset0:34 offset1:35
	ds_write2_b64 v1, v[90:91], v[92:93] offset0:36 offset1:37
	;; [unrolled: 1-line block ×24, first 2 shown]
.LBB80_354:
	s_or_b32 exec_lo, exec_lo, s0
	s_mov_b32 s0, exec_lo
	s_waitcnt lgkmcnt(0)
	s_waitcnt_vscnt null, 0x0
	s_barrier
	buffer_gl0_inv
	v_cmpx_lt_i32_e32 16, v180
	s_cbranch_execz .LBB80_356
; %bb.355:
	v_mul_f64 v[174:175], v[168:169], v[100:101]
	v_mul_f64 v[100:101], v[166:167], v[100:101]
	v_fma_f64 v[174:175], v[166:167], v[98:99], -v[174:175]
	v_fma_f64 v[100:101], v[168:169], v[98:99], v[100:101]
	ds_read2_b64 v[166:169], v1 offset0:34 offset1:35
	s_waitcnt lgkmcnt(0)
	v_mul_f64 v[98:99], v[168:169], v[100:101]
	v_fma_f64 v[98:99], v[166:167], v[174:175], -v[98:99]
	v_mul_f64 v[166:167], v[166:167], v[100:101]
	v_add_f64 v[94:95], v[94:95], -v[98:99]
	v_fma_f64 v[166:167], v[168:169], v[174:175], v[166:167]
	v_add_f64 v[96:97], v[96:97], -v[166:167]
	ds_read2_b64 v[166:169], v1 offset0:36 offset1:37
	s_waitcnt lgkmcnt(0)
	v_mul_f64 v[98:99], v[168:169], v[100:101]
	v_fma_f64 v[98:99], v[166:167], v[174:175], -v[98:99]
	v_mul_f64 v[166:167], v[166:167], v[100:101]
	v_add_f64 v[90:91], v[90:91], -v[98:99]
	v_fma_f64 v[166:167], v[168:169], v[174:175], v[166:167]
	v_add_f64 v[92:93], v[92:93], -v[166:167]
	;; [unrolled: 8-line block ×23, first 2 shown]
	ds_read2_b64 v[166:169], v1 offset0:80 offset1:81
	s_waitcnt lgkmcnt(0)
	v_mul_f64 v[98:99], v[168:169], v[100:101]
	v_fma_f64 v[98:99], v[166:167], v[174:175], -v[98:99]
	v_mul_f64 v[166:167], v[166:167], v[100:101]
	v_add_f64 v[2:3], v[2:3], -v[98:99]
	v_fma_f64 v[166:167], v[168:169], v[174:175], v[166:167]
	v_mov_b32_e32 v98, v174
	v_mov_b32_e32 v99, v175
	v_add_f64 v[4:5], v[4:5], -v[166:167]
.LBB80_356:
	s_or_b32 exec_lo, exec_lo, s0
	v_lshl_add_u32 v166, v180, 4, v1
	s_barrier
	buffer_gl0_inv
	v_mov_b32_e32 v174, 17
	ds_write2_b64 v166, v[94:95], v[96:97] offset1:1
	s_waitcnt lgkmcnt(0)
	s_barrier
	buffer_gl0_inv
	ds_read2_b64 v[166:169], v1 offset0:34 offset1:35
	s_cmp_lt_i32 s18, 19
	s_cbranch_scc1 .LBB80_359
; %bb.357:
	v_add3_u32 v175, v176, 0, 0x120
	v_mov_b32_e32 v174, 17
	s_mov_b32 s1, 18
	s_inst_prefetch 0x1
	.p2align	6
.LBB80_358:                             ; =>This Inner Loop Header: Depth=1
	s_waitcnt lgkmcnt(0)
	v_cmp_gt_f64_e32 vcc_lo, 0, v[168:169]
	v_cmp_gt_f64_e64 s0, 0, v[166:167]
	ds_read2_b64 v[181:184], v175 offset1:1
	v_xor_b32_e32 v186, 0x80000000, v167
	v_xor_b32_e32 v188, 0x80000000, v169
	v_mov_b32_e32 v185, v166
	v_mov_b32_e32 v187, v168
	v_add_nc_u32_e32 v175, 16, v175
	s_waitcnt lgkmcnt(0)
	v_xor_b32_e32 v190, 0x80000000, v184
	v_cndmask_b32_e64 v186, v167, v186, s0
	v_cndmask_b32_e32 v188, v169, v188, vcc_lo
	v_cmp_gt_f64_e32 vcc_lo, 0, v[183:184]
	v_cmp_gt_f64_e64 s0, 0, v[181:182]
	v_mov_b32_e32 v189, v183
	v_add_f64 v[185:186], v[185:186], v[187:188]
	v_xor_b32_e32 v188, 0x80000000, v182
	v_mov_b32_e32 v187, v181
	v_cndmask_b32_e32 v190, v184, v190, vcc_lo
	v_cndmask_b32_e64 v188, v182, v188, s0
	v_add_f64 v[187:188], v[187:188], v[189:190]
	v_cmp_lt_f64_e32 vcc_lo, v[185:186], v[187:188]
	v_cndmask_b32_e32 v167, v167, v182, vcc_lo
	v_cndmask_b32_e32 v166, v166, v181, vcc_lo
	;; [unrolled: 1-line block ×4, first 2 shown]
	v_cndmask_b32_e64 v174, v174, s1, vcc_lo
	s_add_i32 s1, s1, 1
	s_cmp_lg_u32 s18, s1
	s_cbranch_scc1 .LBB80_358
.LBB80_359:
	s_inst_prefetch 0x2
	s_waitcnt lgkmcnt(0)
	v_cmp_eq_f64_e32 vcc_lo, 0, v[166:167]
	v_cmp_eq_f64_e64 s0, 0, v[168:169]
	s_and_b32 s0, vcc_lo, s0
	s_and_saveexec_b32 s1, s0
	s_xor_b32 s0, exec_lo, s1
; %bb.360:
	v_cmp_ne_u32_e32 vcc_lo, 0, v179
	v_cndmask_b32_e32 v179, 18, v179, vcc_lo
; %bb.361:
	s_andn2_saveexec_b32 s0, s0
	s_cbranch_execz .LBB80_367
; %bb.362:
	v_cmp_ngt_f64_e64 s1, |v[166:167]|, |v[168:169]|
	s_and_saveexec_b32 s2, s1
	s_xor_b32 s1, exec_lo, s2
	s_cbranch_execz .LBB80_364
; %bb.363:
	v_div_scale_f64 v[181:182], null, v[168:169], v[168:169], v[166:167]
	v_div_scale_f64 v[187:188], vcc_lo, v[166:167], v[168:169], v[166:167]
	v_rcp_f64_e32 v[183:184], v[181:182]
	v_fma_f64 v[185:186], -v[181:182], v[183:184], 1.0
	v_fma_f64 v[183:184], v[183:184], v[185:186], v[183:184]
	v_fma_f64 v[185:186], -v[181:182], v[183:184], 1.0
	v_fma_f64 v[183:184], v[183:184], v[185:186], v[183:184]
	v_mul_f64 v[185:186], v[187:188], v[183:184]
	v_fma_f64 v[181:182], -v[181:182], v[185:186], v[187:188]
	v_div_fmas_f64 v[181:182], v[181:182], v[183:184], v[185:186]
	v_div_fixup_f64 v[181:182], v[181:182], v[168:169], v[166:167]
	v_fma_f64 v[166:167], v[166:167], v[181:182], v[168:169]
	v_div_scale_f64 v[168:169], null, v[166:167], v[166:167], 1.0
	v_rcp_f64_e32 v[183:184], v[168:169]
	v_fma_f64 v[185:186], -v[168:169], v[183:184], 1.0
	v_fma_f64 v[183:184], v[183:184], v[185:186], v[183:184]
	v_fma_f64 v[185:186], -v[168:169], v[183:184], 1.0
	v_fma_f64 v[183:184], v[183:184], v[185:186], v[183:184]
	v_div_scale_f64 v[185:186], vcc_lo, 1.0, v[166:167], 1.0
	v_mul_f64 v[187:188], v[185:186], v[183:184]
	v_fma_f64 v[168:169], -v[168:169], v[187:188], v[185:186]
	v_div_fmas_f64 v[168:169], v[168:169], v[183:184], v[187:188]
	v_div_fixup_f64 v[168:169], v[168:169], v[166:167], 1.0
	v_mul_f64 v[166:167], v[181:182], v[168:169]
	v_xor_b32_e32 v169, 0x80000000, v169
.LBB80_364:
	s_andn2_saveexec_b32 s1, s1
	s_cbranch_execz .LBB80_366
; %bb.365:
	v_div_scale_f64 v[181:182], null, v[166:167], v[166:167], v[168:169]
	v_div_scale_f64 v[187:188], vcc_lo, v[168:169], v[166:167], v[168:169]
	v_rcp_f64_e32 v[183:184], v[181:182]
	v_fma_f64 v[185:186], -v[181:182], v[183:184], 1.0
	v_fma_f64 v[183:184], v[183:184], v[185:186], v[183:184]
	v_fma_f64 v[185:186], -v[181:182], v[183:184], 1.0
	v_fma_f64 v[183:184], v[183:184], v[185:186], v[183:184]
	v_mul_f64 v[185:186], v[187:188], v[183:184]
	v_fma_f64 v[181:182], -v[181:182], v[185:186], v[187:188]
	v_div_fmas_f64 v[181:182], v[181:182], v[183:184], v[185:186]
	v_div_fixup_f64 v[181:182], v[181:182], v[166:167], v[168:169]
	v_fma_f64 v[166:167], v[168:169], v[181:182], v[166:167]
	v_div_scale_f64 v[168:169], null, v[166:167], v[166:167], 1.0
	v_rcp_f64_e32 v[183:184], v[168:169]
	v_fma_f64 v[185:186], -v[168:169], v[183:184], 1.0
	v_fma_f64 v[183:184], v[183:184], v[185:186], v[183:184]
	v_fma_f64 v[185:186], -v[168:169], v[183:184], 1.0
	v_fma_f64 v[183:184], v[183:184], v[185:186], v[183:184]
	v_div_scale_f64 v[185:186], vcc_lo, 1.0, v[166:167], 1.0
	v_mul_f64 v[187:188], v[185:186], v[183:184]
	v_fma_f64 v[168:169], -v[168:169], v[187:188], v[185:186]
	v_div_fmas_f64 v[168:169], v[168:169], v[183:184], v[187:188]
	v_div_fixup_f64 v[166:167], v[168:169], v[166:167], 1.0
	v_mul_f64 v[168:169], v[181:182], -v[166:167]
.LBB80_366:
	s_or_b32 exec_lo, exec_lo, s1
.LBB80_367:
	s_or_b32 exec_lo, exec_lo, s0
	s_mov_b32 s0, exec_lo
	v_cmpx_ne_u32_e64 v180, v174
	s_xor_b32 s0, exec_lo, s0
	s_cbranch_execz .LBB80_373
; %bb.368:
	s_mov_b32 s1, exec_lo
	v_cmpx_eq_u32_e32 17, v180
	s_cbranch_execz .LBB80_372
; %bb.369:
	v_cmp_ne_u32_e32 vcc_lo, 17, v174
	s_xor_b32 s2, s16, -1
	s_and_b32 s3, s2, vcc_lo
	s_and_saveexec_b32 s2, s3
	s_cbranch_execz .LBB80_371
; %bb.370:
	v_ashrrev_i32_e32 v175, 31, v174
	v_lshlrev_b64 v[180:181], 2, v[174:175]
	v_add_co_u32 v180, vcc_lo, v172, v180
	v_add_co_ci_u32_e64 v181, null, v173, v181, vcc_lo
	s_clause 0x1
	global_load_dword v0, v[180:181], off
	global_load_dword v175, v[172:173], off offset:68
	s_waitcnt vmcnt(1)
	global_store_dword v[172:173], v0, off offset:68
	s_waitcnt vmcnt(0)
	global_store_dword v[180:181], v175, off
.LBB80_371:
	s_or_b32 exec_lo, exec_lo, s2
	v_mov_b32_e32 v180, v174
	v_mov_b32_e32 v0, v174
.LBB80_372:
	s_or_b32 exec_lo, exec_lo, s1
.LBB80_373:
	s_andn2_saveexec_b32 s0, s0
	s_cbranch_execz .LBB80_375
; %bb.374:
	v_mov_b32_e32 v180, 17
	ds_write2_b64 v1, v[90:91], v[92:93] offset0:36 offset1:37
	ds_write2_b64 v1, v[86:87], v[88:89] offset0:38 offset1:39
	;; [unrolled: 1-line block ×23, first 2 shown]
.LBB80_375:
	s_or_b32 exec_lo, exec_lo, s0
	s_mov_b32 s0, exec_lo
	s_waitcnt lgkmcnt(0)
	s_waitcnt_vscnt null, 0x0
	s_barrier
	buffer_gl0_inv
	v_cmpx_lt_i32_e32 17, v180
	s_cbranch_execz .LBB80_377
; %bb.376:
	v_mul_f64 v[174:175], v[168:169], v[96:97]
	v_mul_f64 v[96:97], v[166:167], v[96:97]
	v_fma_f64 v[174:175], v[166:167], v[94:95], -v[174:175]
	v_fma_f64 v[96:97], v[168:169], v[94:95], v[96:97]
	ds_read2_b64 v[166:169], v1 offset0:36 offset1:37
	s_waitcnt lgkmcnt(0)
	v_mul_f64 v[94:95], v[168:169], v[96:97]
	v_fma_f64 v[94:95], v[166:167], v[174:175], -v[94:95]
	v_mul_f64 v[166:167], v[166:167], v[96:97]
	v_add_f64 v[90:91], v[90:91], -v[94:95]
	v_fma_f64 v[166:167], v[168:169], v[174:175], v[166:167]
	v_add_f64 v[92:93], v[92:93], -v[166:167]
	ds_read2_b64 v[166:169], v1 offset0:38 offset1:39
	s_waitcnt lgkmcnt(0)
	v_mul_f64 v[94:95], v[168:169], v[96:97]
	v_fma_f64 v[94:95], v[166:167], v[174:175], -v[94:95]
	v_mul_f64 v[166:167], v[166:167], v[96:97]
	v_add_f64 v[86:87], v[86:87], -v[94:95]
	v_fma_f64 v[166:167], v[168:169], v[174:175], v[166:167]
	v_add_f64 v[88:89], v[88:89], -v[166:167]
	;; [unrolled: 8-line block ×22, first 2 shown]
	ds_read2_b64 v[166:169], v1 offset0:80 offset1:81
	s_waitcnt lgkmcnt(0)
	v_mul_f64 v[94:95], v[168:169], v[96:97]
	v_fma_f64 v[94:95], v[166:167], v[174:175], -v[94:95]
	v_mul_f64 v[166:167], v[166:167], v[96:97]
	v_add_f64 v[2:3], v[2:3], -v[94:95]
	v_fma_f64 v[166:167], v[168:169], v[174:175], v[166:167]
	v_mov_b32_e32 v94, v174
	v_mov_b32_e32 v95, v175
	v_add_f64 v[4:5], v[4:5], -v[166:167]
.LBB80_377:
	s_or_b32 exec_lo, exec_lo, s0
	v_lshl_add_u32 v166, v180, 4, v1
	s_barrier
	buffer_gl0_inv
	v_mov_b32_e32 v174, 18
	ds_write2_b64 v166, v[90:91], v[92:93] offset1:1
	s_waitcnt lgkmcnt(0)
	s_barrier
	buffer_gl0_inv
	ds_read2_b64 v[166:169], v1 offset0:36 offset1:37
	s_cmp_lt_i32 s18, 20
	s_cbranch_scc1 .LBB80_380
; %bb.378:
	v_add3_u32 v175, v176, 0, 0x130
	v_mov_b32_e32 v174, 18
	s_mov_b32 s1, 19
	s_inst_prefetch 0x1
	.p2align	6
.LBB80_379:                             ; =>This Inner Loop Header: Depth=1
	s_waitcnt lgkmcnt(0)
	v_cmp_gt_f64_e32 vcc_lo, 0, v[168:169]
	v_cmp_gt_f64_e64 s0, 0, v[166:167]
	ds_read2_b64 v[181:184], v175 offset1:1
	v_xor_b32_e32 v186, 0x80000000, v167
	v_xor_b32_e32 v188, 0x80000000, v169
	v_mov_b32_e32 v185, v166
	v_mov_b32_e32 v187, v168
	v_add_nc_u32_e32 v175, 16, v175
	s_waitcnt lgkmcnt(0)
	v_xor_b32_e32 v190, 0x80000000, v184
	v_cndmask_b32_e64 v186, v167, v186, s0
	v_cndmask_b32_e32 v188, v169, v188, vcc_lo
	v_cmp_gt_f64_e32 vcc_lo, 0, v[183:184]
	v_cmp_gt_f64_e64 s0, 0, v[181:182]
	v_mov_b32_e32 v189, v183
	v_add_f64 v[185:186], v[185:186], v[187:188]
	v_xor_b32_e32 v188, 0x80000000, v182
	v_mov_b32_e32 v187, v181
	v_cndmask_b32_e32 v190, v184, v190, vcc_lo
	v_cndmask_b32_e64 v188, v182, v188, s0
	v_add_f64 v[187:188], v[187:188], v[189:190]
	v_cmp_lt_f64_e32 vcc_lo, v[185:186], v[187:188]
	v_cndmask_b32_e32 v167, v167, v182, vcc_lo
	v_cndmask_b32_e32 v166, v166, v181, vcc_lo
	;; [unrolled: 1-line block ×4, first 2 shown]
	v_cndmask_b32_e64 v174, v174, s1, vcc_lo
	s_add_i32 s1, s1, 1
	s_cmp_lg_u32 s18, s1
	s_cbranch_scc1 .LBB80_379
.LBB80_380:
	s_inst_prefetch 0x2
	s_waitcnt lgkmcnt(0)
	v_cmp_eq_f64_e32 vcc_lo, 0, v[166:167]
	v_cmp_eq_f64_e64 s0, 0, v[168:169]
	s_and_b32 s0, vcc_lo, s0
	s_and_saveexec_b32 s1, s0
	s_xor_b32 s0, exec_lo, s1
; %bb.381:
	v_cmp_ne_u32_e32 vcc_lo, 0, v179
	v_cndmask_b32_e32 v179, 19, v179, vcc_lo
; %bb.382:
	s_andn2_saveexec_b32 s0, s0
	s_cbranch_execz .LBB80_388
; %bb.383:
	v_cmp_ngt_f64_e64 s1, |v[166:167]|, |v[168:169]|
	s_and_saveexec_b32 s2, s1
	s_xor_b32 s1, exec_lo, s2
	s_cbranch_execz .LBB80_385
; %bb.384:
	v_div_scale_f64 v[181:182], null, v[168:169], v[168:169], v[166:167]
	v_div_scale_f64 v[187:188], vcc_lo, v[166:167], v[168:169], v[166:167]
	v_rcp_f64_e32 v[183:184], v[181:182]
	v_fma_f64 v[185:186], -v[181:182], v[183:184], 1.0
	v_fma_f64 v[183:184], v[183:184], v[185:186], v[183:184]
	v_fma_f64 v[185:186], -v[181:182], v[183:184], 1.0
	v_fma_f64 v[183:184], v[183:184], v[185:186], v[183:184]
	v_mul_f64 v[185:186], v[187:188], v[183:184]
	v_fma_f64 v[181:182], -v[181:182], v[185:186], v[187:188]
	v_div_fmas_f64 v[181:182], v[181:182], v[183:184], v[185:186]
	v_div_fixup_f64 v[181:182], v[181:182], v[168:169], v[166:167]
	v_fma_f64 v[166:167], v[166:167], v[181:182], v[168:169]
	v_div_scale_f64 v[168:169], null, v[166:167], v[166:167], 1.0
	v_rcp_f64_e32 v[183:184], v[168:169]
	v_fma_f64 v[185:186], -v[168:169], v[183:184], 1.0
	v_fma_f64 v[183:184], v[183:184], v[185:186], v[183:184]
	v_fma_f64 v[185:186], -v[168:169], v[183:184], 1.0
	v_fma_f64 v[183:184], v[183:184], v[185:186], v[183:184]
	v_div_scale_f64 v[185:186], vcc_lo, 1.0, v[166:167], 1.0
	v_mul_f64 v[187:188], v[185:186], v[183:184]
	v_fma_f64 v[168:169], -v[168:169], v[187:188], v[185:186]
	v_div_fmas_f64 v[168:169], v[168:169], v[183:184], v[187:188]
	v_div_fixup_f64 v[168:169], v[168:169], v[166:167], 1.0
	v_mul_f64 v[166:167], v[181:182], v[168:169]
	v_xor_b32_e32 v169, 0x80000000, v169
.LBB80_385:
	s_andn2_saveexec_b32 s1, s1
	s_cbranch_execz .LBB80_387
; %bb.386:
	v_div_scale_f64 v[181:182], null, v[166:167], v[166:167], v[168:169]
	v_div_scale_f64 v[187:188], vcc_lo, v[168:169], v[166:167], v[168:169]
	v_rcp_f64_e32 v[183:184], v[181:182]
	v_fma_f64 v[185:186], -v[181:182], v[183:184], 1.0
	v_fma_f64 v[183:184], v[183:184], v[185:186], v[183:184]
	v_fma_f64 v[185:186], -v[181:182], v[183:184], 1.0
	v_fma_f64 v[183:184], v[183:184], v[185:186], v[183:184]
	v_mul_f64 v[185:186], v[187:188], v[183:184]
	v_fma_f64 v[181:182], -v[181:182], v[185:186], v[187:188]
	v_div_fmas_f64 v[181:182], v[181:182], v[183:184], v[185:186]
	v_div_fixup_f64 v[181:182], v[181:182], v[166:167], v[168:169]
	v_fma_f64 v[166:167], v[168:169], v[181:182], v[166:167]
	v_div_scale_f64 v[168:169], null, v[166:167], v[166:167], 1.0
	v_rcp_f64_e32 v[183:184], v[168:169]
	v_fma_f64 v[185:186], -v[168:169], v[183:184], 1.0
	v_fma_f64 v[183:184], v[183:184], v[185:186], v[183:184]
	v_fma_f64 v[185:186], -v[168:169], v[183:184], 1.0
	v_fma_f64 v[183:184], v[183:184], v[185:186], v[183:184]
	v_div_scale_f64 v[185:186], vcc_lo, 1.0, v[166:167], 1.0
	v_mul_f64 v[187:188], v[185:186], v[183:184]
	v_fma_f64 v[168:169], -v[168:169], v[187:188], v[185:186]
	v_div_fmas_f64 v[168:169], v[168:169], v[183:184], v[187:188]
	v_div_fixup_f64 v[166:167], v[168:169], v[166:167], 1.0
	v_mul_f64 v[168:169], v[181:182], -v[166:167]
.LBB80_387:
	s_or_b32 exec_lo, exec_lo, s1
.LBB80_388:
	s_or_b32 exec_lo, exec_lo, s0
	s_mov_b32 s0, exec_lo
	v_cmpx_ne_u32_e64 v180, v174
	s_xor_b32 s0, exec_lo, s0
	s_cbranch_execz .LBB80_394
; %bb.389:
	s_mov_b32 s1, exec_lo
	v_cmpx_eq_u32_e32 18, v180
	s_cbranch_execz .LBB80_393
; %bb.390:
	v_cmp_ne_u32_e32 vcc_lo, 18, v174
	s_xor_b32 s2, s16, -1
	s_and_b32 s3, s2, vcc_lo
	s_and_saveexec_b32 s2, s3
	s_cbranch_execz .LBB80_392
; %bb.391:
	v_ashrrev_i32_e32 v175, 31, v174
	v_lshlrev_b64 v[180:181], 2, v[174:175]
	v_add_co_u32 v180, vcc_lo, v172, v180
	v_add_co_ci_u32_e64 v181, null, v173, v181, vcc_lo
	s_clause 0x1
	global_load_dword v0, v[180:181], off
	global_load_dword v175, v[172:173], off offset:72
	s_waitcnt vmcnt(1)
	global_store_dword v[172:173], v0, off offset:72
	s_waitcnt vmcnt(0)
	global_store_dword v[180:181], v175, off
.LBB80_392:
	s_or_b32 exec_lo, exec_lo, s2
	v_mov_b32_e32 v180, v174
	v_mov_b32_e32 v0, v174
.LBB80_393:
	s_or_b32 exec_lo, exec_lo, s1
.LBB80_394:
	s_andn2_saveexec_b32 s0, s0
	s_cbranch_execz .LBB80_396
; %bb.395:
	v_mov_b32_e32 v180, 18
	ds_write2_b64 v1, v[86:87], v[88:89] offset0:38 offset1:39
	ds_write2_b64 v1, v[82:83], v[84:85] offset0:40 offset1:41
	ds_write2_b64 v1, v[78:79], v[80:81] offset0:42 offset1:43
	ds_write2_b64 v1, v[74:75], v[76:77] offset0:44 offset1:45
	ds_write2_b64 v1, v[70:71], v[72:73] offset0:46 offset1:47
	ds_write2_b64 v1, v[66:67], v[68:69] offset0:48 offset1:49
	ds_write2_b64 v1, v[62:63], v[64:65] offset0:50 offset1:51
	ds_write2_b64 v1, v[58:59], v[60:61] offset0:52 offset1:53
	ds_write2_b64 v1, v[54:55], v[56:57] offset0:54 offset1:55
	ds_write2_b64 v1, v[50:51], v[52:53] offset0:56 offset1:57
	ds_write2_b64 v1, v[46:47], v[48:49] offset0:58 offset1:59
	ds_write2_b64 v1, v[42:43], v[44:45] offset0:60 offset1:61
	ds_write2_b64 v1, v[38:39], v[40:41] offset0:62 offset1:63
	ds_write2_b64 v1, v[34:35], v[36:37] offset0:64 offset1:65
	ds_write2_b64 v1, v[30:31], v[32:33] offset0:66 offset1:67
	ds_write2_b64 v1, v[26:27], v[28:29] offset0:68 offset1:69
	ds_write2_b64 v1, v[22:23], v[24:25] offset0:70 offset1:71
	ds_write2_b64 v1, v[18:19], v[20:21] offset0:72 offset1:73
	ds_write2_b64 v1, v[14:15], v[16:17] offset0:74 offset1:75
	ds_write2_b64 v1, v[10:11], v[12:13] offset0:76 offset1:77
	ds_write2_b64 v1, v[6:7], v[8:9] offset0:78 offset1:79
	ds_write2_b64 v1, v[2:3], v[4:5] offset0:80 offset1:81
.LBB80_396:
	s_or_b32 exec_lo, exec_lo, s0
	s_mov_b32 s0, exec_lo
	s_waitcnt lgkmcnt(0)
	s_waitcnt_vscnt null, 0x0
	s_barrier
	buffer_gl0_inv
	v_cmpx_lt_i32_e32 18, v180
	s_cbranch_execz .LBB80_398
; %bb.397:
	v_mul_f64 v[174:175], v[168:169], v[92:93]
	v_mul_f64 v[92:93], v[166:167], v[92:93]
	v_fma_f64 v[174:175], v[166:167], v[90:91], -v[174:175]
	v_fma_f64 v[92:93], v[168:169], v[90:91], v[92:93]
	ds_read2_b64 v[166:169], v1 offset0:38 offset1:39
	s_waitcnt lgkmcnt(0)
	v_mul_f64 v[90:91], v[168:169], v[92:93]
	v_fma_f64 v[90:91], v[166:167], v[174:175], -v[90:91]
	v_mul_f64 v[166:167], v[166:167], v[92:93]
	v_add_f64 v[86:87], v[86:87], -v[90:91]
	v_fma_f64 v[166:167], v[168:169], v[174:175], v[166:167]
	v_add_f64 v[88:89], v[88:89], -v[166:167]
	ds_read2_b64 v[166:169], v1 offset0:40 offset1:41
	s_waitcnt lgkmcnt(0)
	v_mul_f64 v[90:91], v[168:169], v[92:93]
	v_fma_f64 v[90:91], v[166:167], v[174:175], -v[90:91]
	v_mul_f64 v[166:167], v[166:167], v[92:93]
	v_add_f64 v[82:83], v[82:83], -v[90:91]
	v_fma_f64 v[166:167], v[168:169], v[174:175], v[166:167]
	v_add_f64 v[84:85], v[84:85], -v[166:167]
	;; [unrolled: 8-line block ×21, first 2 shown]
	ds_read2_b64 v[166:169], v1 offset0:80 offset1:81
	s_waitcnt lgkmcnt(0)
	v_mul_f64 v[90:91], v[168:169], v[92:93]
	v_fma_f64 v[90:91], v[166:167], v[174:175], -v[90:91]
	v_mul_f64 v[166:167], v[166:167], v[92:93]
	v_add_f64 v[2:3], v[2:3], -v[90:91]
	v_fma_f64 v[166:167], v[168:169], v[174:175], v[166:167]
	v_mov_b32_e32 v90, v174
	v_mov_b32_e32 v91, v175
	v_add_f64 v[4:5], v[4:5], -v[166:167]
.LBB80_398:
	s_or_b32 exec_lo, exec_lo, s0
	v_lshl_add_u32 v166, v180, 4, v1
	s_barrier
	buffer_gl0_inv
	v_mov_b32_e32 v174, 19
	ds_write2_b64 v166, v[86:87], v[88:89] offset1:1
	s_waitcnt lgkmcnt(0)
	s_barrier
	buffer_gl0_inv
	ds_read2_b64 v[166:169], v1 offset0:38 offset1:39
	s_cmp_lt_i32 s18, 21
	s_cbranch_scc1 .LBB80_401
; %bb.399:
	v_add3_u32 v175, v176, 0, 0x140
	v_mov_b32_e32 v174, 19
	s_mov_b32 s1, 20
	s_inst_prefetch 0x1
	.p2align	6
.LBB80_400:                             ; =>This Inner Loop Header: Depth=1
	s_waitcnt lgkmcnt(0)
	v_cmp_gt_f64_e32 vcc_lo, 0, v[168:169]
	v_cmp_gt_f64_e64 s0, 0, v[166:167]
	ds_read2_b64 v[181:184], v175 offset1:1
	v_xor_b32_e32 v186, 0x80000000, v167
	v_xor_b32_e32 v188, 0x80000000, v169
	v_mov_b32_e32 v185, v166
	v_mov_b32_e32 v187, v168
	v_add_nc_u32_e32 v175, 16, v175
	s_waitcnt lgkmcnt(0)
	v_xor_b32_e32 v190, 0x80000000, v184
	v_cndmask_b32_e64 v186, v167, v186, s0
	v_cndmask_b32_e32 v188, v169, v188, vcc_lo
	v_cmp_gt_f64_e32 vcc_lo, 0, v[183:184]
	v_cmp_gt_f64_e64 s0, 0, v[181:182]
	v_mov_b32_e32 v189, v183
	v_add_f64 v[185:186], v[185:186], v[187:188]
	v_xor_b32_e32 v188, 0x80000000, v182
	v_mov_b32_e32 v187, v181
	v_cndmask_b32_e32 v190, v184, v190, vcc_lo
	v_cndmask_b32_e64 v188, v182, v188, s0
	v_add_f64 v[187:188], v[187:188], v[189:190]
	v_cmp_lt_f64_e32 vcc_lo, v[185:186], v[187:188]
	v_cndmask_b32_e32 v167, v167, v182, vcc_lo
	v_cndmask_b32_e32 v166, v166, v181, vcc_lo
	;; [unrolled: 1-line block ×4, first 2 shown]
	v_cndmask_b32_e64 v174, v174, s1, vcc_lo
	s_add_i32 s1, s1, 1
	s_cmp_lg_u32 s18, s1
	s_cbranch_scc1 .LBB80_400
.LBB80_401:
	s_inst_prefetch 0x2
	s_waitcnt lgkmcnt(0)
	v_cmp_eq_f64_e32 vcc_lo, 0, v[166:167]
	v_cmp_eq_f64_e64 s0, 0, v[168:169]
	s_and_b32 s0, vcc_lo, s0
	s_and_saveexec_b32 s1, s0
	s_xor_b32 s0, exec_lo, s1
; %bb.402:
	v_cmp_ne_u32_e32 vcc_lo, 0, v179
	v_cndmask_b32_e32 v179, 20, v179, vcc_lo
; %bb.403:
	s_andn2_saveexec_b32 s0, s0
	s_cbranch_execz .LBB80_409
; %bb.404:
	v_cmp_ngt_f64_e64 s1, |v[166:167]|, |v[168:169]|
	s_and_saveexec_b32 s2, s1
	s_xor_b32 s1, exec_lo, s2
	s_cbranch_execz .LBB80_406
; %bb.405:
	v_div_scale_f64 v[181:182], null, v[168:169], v[168:169], v[166:167]
	v_div_scale_f64 v[187:188], vcc_lo, v[166:167], v[168:169], v[166:167]
	v_rcp_f64_e32 v[183:184], v[181:182]
	v_fma_f64 v[185:186], -v[181:182], v[183:184], 1.0
	v_fma_f64 v[183:184], v[183:184], v[185:186], v[183:184]
	v_fma_f64 v[185:186], -v[181:182], v[183:184], 1.0
	v_fma_f64 v[183:184], v[183:184], v[185:186], v[183:184]
	v_mul_f64 v[185:186], v[187:188], v[183:184]
	v_fma_f64 v[181:182], -v[181:182], v[185:186], v[187:188]
	v_div_fmas_f64 v[181:182], v[181:182], v[183:184], v[185:186]
	v_div_fixup_f64 v[181:182], v[181:182], v[168:169], v[166:167]
	v_fma_f64 v[166:167], v[166:167], v[181:182], v[168:169]
	v_div_scale_f64 v[168:169], null, v[166:167], v[166:167], 1.0
	v_rcp_f64_e32 v[183:184], v[168:169]
	v_fma_f64 v[185:186], -v[168:169], v[183:184], 1.0
	v_fma_f64 v[183:184], v[183:184], v[185:186], v[183:184]
	v_fma_f64 v[185:186], -v[168:169], v[183:184], 1.0
	v_fma_f64 v[183:184], v[183:184], v[185:186], v[183:184]
	v_div_scale_f64 v[185:186], vcc_lo, 1.0, v[166:167], 1.0
	v_mul_f64 v[187:188], v[185:186], v[183:184]
	v_fma_f64 v[168:169], -v[168:169], v[187:188], v[185:186]
	v_div_fmas_f64 v[168:169], v[168:169], v[183:184], v[187:188]
	v_div_fixup_f64 v[168:169], v[168:169], v[166:167], 1.0
	v_mul_f64 v[166:167], v[181:182], v[168:169]
	v_xor_b32_e32 v169, 0x80000000, v169
.LBB80_406:
	s_andn2_saveexec_b32 s1, s1
	s_cbranch_execz .LBB80_408
; %bb.407:
	v_div_scale_f64 v[181:182], null, v[166:167], v[166:167], v[168:169]
	v_div_scale_f64 v[187:188], vcc_lo, v[168:169], v[166:167], v[168:169]
	v_rcp_f64_e32 v[183:184], v[181:182]
	v_fma_f64 v[185:186], -v[181:182], v[183:184], 1.0
	v_fma_f64 v[183:184], v[183:184], v[185:186], v[183:184]
	v_fma_f64 v[185:186], -v[181:182], v[183:184], 1.0
	v_fma_f64 v[183:184], v[183:184], v[185:186], v[183:184]
	v_mul_f64 v[185:186], v[187:188], v[183:184]
	v_fma_f64 v[181:182], -v[181:182], v[185:186], v[187:188]
	v_div_fmas_f64 v[181:182], v[181:182], v[183:184], v[185:186]
	v_div_fixup_f64 v[181:182], v[181:182], v[166:167], v[168:169]
	v_fma_f64 v[166:167], v[168:169], v[181:182], v[166:167]
	v_div_scale_f64 v[168:169], null, v[166:167], v[166:167], 1.0
	v_rcp_f64_e32 v[183:184], v[168:169]
	v_fma_f64 v[185:186], -v[168:169], v[183:184], 1.0
	v_fma_f64 v[183:184], v[183:184], v[185:186], v[183:184]
	v_fma_f64 v[185:186], -v[168:169], v[183:184], 1.0
	v_fma_f64 v[183:184], v[183:184], v[185:186], v[183:184]
	v_div_scale_f64 v[185:186], vcc_lo, 1.0, v[166:167], 1.0
	v_mul_f64 v[187:188], v[185:186], v[183:184]
	v_fma_f64 v[168:169], -v[168:169], v[187:188], v[185:186]
	v_div_fmas_f64 v[168:169], v[168:169], v[183:184], v[187:188]
	v_div_fixup_f64 v[166:167], v[168:169], v[166:167], 1.0
	v_mul_f64 v[168:169], v[181:182], -v[166:167]
.LBB80_408:
	s_or_b32 exec_lo, exec_lo, s1
.LBB80_409:
	s_or_b32 exec_lo, exec_lo, s0
	s_mov_b32 s0, exec_lo
	v_cmpx_ne_u32_e64 v180, v174
	s_xor_b32 s0, exec_lo, s0
	s_cbranch_execz .LBB80_415
; %bb.410:
	s_mov_b32 s1, exec_lo
	v_cmpx_eq_u32_e32 19, v180
	s_cbranch_execz .LBB80_414
; %bb.411:
	v_cmp_ne_u32_e32 vcc_lo, 19, v174
	s_xor_b32 s2, s16, -1
	s_and_b32 s3, s2, vcc_lo
	s_and_saveexec_b32 s2, s3
	s_cbranch_execz .LBB80_413
; %bb.412:
	v_ashrrev_i32_e32 v175, 31, v174
	v_lshlrev_b64 v[180:181], 2, v[174:175]
	v_add_co_u32 v180, vcc_lo, v172, v180
	v_add_co_ci_u32_e64 v181, null, v173, v181, vcc_lo
	s_clause 0x1
	global_load_dword v0, v[180:181], off
	global_load_dword v175, v[172:173], off offset:76
	s_waitcnt vmcnt(1)
	global_store_dword v[172:173], v0, off offset:76
	s_waitcnt vmcnt(0)
	global_store_dword v[180:181], v175, off
.LBB80_413:
	s_or_b32 exec_lo, exec_lo, s2
	v_mov_b32_e32 v180, v174
	v_mov_b32_e32 v0, v174
.LBB80_414:
	s_or_b32 exec_lo, exec_lo, s1
.LBB80_415:
	s_andn2_saveexec_b32 s0, s0
	s_cbranch_execz .LBB80_417
; %bb.416:
	v_mov_b32_e32 v180, 19
	ds_write2_b64 v1, v[82:83], v[84:85] offset0:40 offset1:41
	ds_write2_b64 v1, v[78:79], v[80:81] offset0:42 offset1:43
	;; [unrolled: 1-line block ×21, first 2 shown]
.LBB80_417:
	s_or_b32 exec_lo, exec_lo, s0
	s_mov_b32 s0, exec_lo
	s_waitcnt lgkmcnt(0)
	s_waitcnt_vscnt null, 0x0
	s_barrier
	buffer_gl0_inv
	v_cmpx_lt_i32_e32 19, v180
	s_cbranch_execz .LBB80_419
; %bb.418:
	v_mul_f64 v[174:175], v[168:169], v[88:89]
	v_mul_f64 v[88:89], v[166:167], v[88:89]
	v_fma_f64 v[174:175], v[166:167], v[86:87], -v[174:175]
	v_fma_f64 v[88:89], v[168:169], v[86:87], v[88:89]
	ds_read2_b64 v[166:169], v1 offset0:40 offset1:41
	s_waitcnt lgkmcnt(0)
	v_mul_f64 v[86:87], v[168:169], v[88:89]
	v_fma_f64 v[86:87], v[166:167], v[174:175], -v[86:87]
	v_mul_f64 v[166:167], v[166:167], v[88:89]
	v_add_f64 v[82:83], v[82:83], -v[86:87]
	v_fma_f64 v[166:167], v[168:169], v[174:175], v[166:167]
	v_add_f64 v[84:85], v[84:85], -v[166:167]
	ds_read2_b64 v[166:169], v1 offset0:42 offset1:43
	s_waitcnt lgkmcnt(0)
	v_mul_f64 v[86:87], v[168:169], v[88:89]
	v_fma_f64 v[86:87], v[166:167], v[174:175], -v[86:87]
	v_mul_f64 v[166:167], v[166:167], v[88:89]
	v_add_f64 v[78:79], v[78:79], -v[86:87]
	v_fma_f64 v[166:167], v[168:169], v[174:175], v[166:167]
	v_add_f64 v[80:81], v[80:81], -v[166:167]
	;; [unrolled: 8-line block ×20, first 2 shown]
	ds_read2_b64 v[166:169], v1 offset0:80 offset1:81
	s_waitcnt lgkmcnt(0)
	v_mul_f64 v[86:87], v[168:169], v[88:89]
	v_fma_f64 v[86:87], v[166:167], v[174:175], -v[86:87]
	v_mul_f64 v[166:167], v[166:167], v[88:89]
	v_add_f64 v[2:3], v[2:3], -v[86:87]
	v_fma_f64 v[166:167], v[168:169], v[174:175], v[166:167]
	v_mov_b32_e32 v86, v174
	v_mov_b32_e32 v87, v175
	v_add_f64 v[4:5], v[4:5], -v[166:167]
.LBB80_419:
	s_or_b32 exec_lo, exec_lo, s0
	v_lshl_add_u32 v166, v180, 4, v1
	s_barrier
	buffer_gl0_inv
	v_mov_b32_e32 v174, 20
	ds_write2_b64 v166, v[82:83], v[84:85] offset1:1
	s_waitcnt lgkmcnt(0)
	s_barrier
	buffer_gl0_inv
	ds_read2_b64 v[166:169], v1 offset0:40 offset1:41
	s_cmp_lt_i32 s18, 22
	s_cbranch_scc1 .LBB80_422
; %bb.420:
	v_add3_u32 v175, v176, 0, 0x150
	v_mov_b32_e32 v174, 20
	s_mov_b32 s1, 21
	s_inst_prefetch 0x1
	.p2align	6
.LBB80_421:                             ; =>This Inner Loop Header: Depth=1
	s_waitcnt lgkmcnt(0)
	v_cmp_gt_f64_e32 vcc_lo, 0, v[168:169]
	v_cmp_gt_f64_e64 s0, 0, v[166:167]
	ds_read2_b64 v[181:184], v175 offset1:1
	v_xor_b32_e32 v186, 0x80000000, v167
	v_xor_b32_e32 v188, 0x80000000, v169
	v_mov_b32_e32 v185, v166
	v_mov_b32_e32 v187, v168
	v_add_nc_u32_e32 v175, 16, v175
	s_waitcnt lgkmcnt(0)
	v_xor_b32_e32 v190, 0x80000000, v184
	v_cndmask_b32_e64 v186, v167, v186, s0
	v_cndmask_b32_e32 v188, v169, v188, vcc_lo
	v_cmp_gt_f64_e32 vcc_lo, 0, v[183:184]
	v_cmp_gt_f64_e64 s0, 0, v[181:182]
	v_mov_b32_e32 v189, v183
	v_add_f64 v[185:186], v[185:186], v[187:188]
	v_xor_b32_e32 v188, 0x80000000, v182
	v_mov_b32_e32 v187, v181
	v_cndmask_b32_e32 v190, v184, v190, vcc_lo
	v_cndmask_b32_e64 v188, v182, v188, s0
	v_add_f64 v[187:188], v[187:188], v[189:190]
	v_cmp_lt_f64_e32 vcc_lo, v[185:186], v[187:188]
	v_cndmask_b32_e32 v167, v167, v182, vcc_lo
	v_cndmask_b32_e32 v166, v166, v181, vcc_lo
	;; [unrolled: 1-line block ×4, first 2 shown]
	v_cndmask_b32_e64 v174, v174, s1, vcc_lo
	s_add_i32 s1, s1, 1
	s_cmp_lg_u32 s18, s1
	s_cbranch_scc1 .LBB80_421
.LBB80_422:
	s_inst_prefetch 0x2
	s_waitcnt lgkmcnt(0)
	v_cmp_eq_f64_e32 vcc_lo, 0, v[166:167]
	v_cmp_eq_f64_e64 s0, 0, v[168:169]
	s_and_b32 s0, vcc_lo, s0
	s_and_saveexec_b32 s1, s0
	s_xor_b32 s0, exec_lo, s1
; %bb.423:
	v_cmp_ne_u32_e32 vcc_lo, 0, v179
	v_cndmask_b32_e32 v179, 21, v179, vcc_lo
; %bb.424:
	s_andn2_saveexec_b32 s0, s0
	s_cbranch_execz .LBB80_430
; %bb.425:
	v_cmp_ngt_f64_e64 s1, |v[166:167]|, |v[168:169]|
	s_and_saveexec_b32 s2, s1
	s_xor_b32 s1, exec_lo, s2
	s_cbranch_execz .LBB80_427
; %bb.426:
	v_div_scale_f64 v[181:182], null, v[168:169], v[168:169], v[166:167]
	v_div_scale_f64 v[187:188], vcc_lo, v[166:167], v[168:169], v[166:167]
	v_rcp_f64_e32 v[183:184], v[181:182]
	v_fma_f64 v[185:186], -v[181:182], v[183:184], 1.0
	v_fma_f64 v[183:184], v[183:184], v[185:186], v[183:184]
	v_fma_f64 v[185:186], -v[181:182], v[183:184], 1.0
	v_fma_f64 v[183:184], v[183:184], v[185:186], v[183:184]
	v_mul_f64 v[185:186], v[187:188], v[183:184]
	v_fma_f64 v[181:182], -v[181:182], v[185:186], v[187:188]
	v_div_fmas_f64 v[181:182], v[181:182], v[183:184], v[185:186]
	v_div_fixup_f64 v[181:182], v[181:182], v[168:169], v[166:167]
	v_fma_f64 v[166:167], v[166:167], v[181:182], v[168:169]
	v_div_scale_f64 v[168:169], null, v[166:167], v[166:167], 1.0
	v_rcp_f64_e32 v[183:184], v[168:169]
	v_fma_f64 v[185:186], -v[168:169], v[183:184], 1.0
	v_fma_f64 v[183:184], v[183:184], v[185:186], v[183:184]
	v_fma_f64 v[185:186], -v[168:169], v[183:184], 1.0
	v_fma_f64 v[183:184], v[183:184], v[185:186], v[183:184]
	v_div_scale_f64 v[185:186], vcc_lo, 1.0, v[166:167], 1.0
	v_mul_f64 v[187:188], v[185:186], v[183:184]
	v_fma_f64 v[168:169], -v[168:169], v[187:188], v[185:186]
	v_div_fmas_f64 v[168:169], v[168:169], v[183:184], v[187:188]
	v_div_fixup_f64 v[168:169], v[168:169], v[166:167], 1.0
	v_mul_f64 v[166:167], v[181:182], v[168:169]
	v_xor_b32_e32 v169, 0x80000000, v169
.LBB80_427:
	s_andn2_saveexec_b32 s1, s1
	s_cbranch_execz .LBB80_429
; %bb.428:
	v_div_scale_f64 v[181:182], null, v[166:167], v[166:167], v[168:169]
	v_div_scale_f64 v[187:188], vcc_lo, v[168:169], v[166:167], v[168:169]
	v_rcp_f64_e32 v[183:184], v[181:182]
	v_fma_f64 v[185:186], -v[181:182], v[183:184], 1.0
	v_fma_f64 v[183:184], v[183:184], v[185:186], v[183:184]
	v_fma_f64 v[185:186], -v[181:182], v[183:184], 1.0
	v_fma_f64 v[183:184], v[183:184], v[185:186], v[183:184]
	v_mul_f64 v[185:186], v[187:188], v[183:184]
	v_fma_f64 v[181:182], -v[181:182], v[185:186], v[187:188]
	v_div_fmas_f64 v[181:182], v[181:182], v[183:184], v[185:186]
	v_div_fixup_f64 v[181:182], v[181:182], v[166:167], v[168:169]
	v_fma_f64 v[166:167], v[168:169], v[181:182], v[166:167]
	v_div_scale_f64 v[168:169], null, v[166:167], v[166:167], 1.0
	v_rcp_f64_e32 v[183:184], v[168:169]
	v_fma_f64 v[185:186], -v[168:169], v[183:184], 1.0
	v_fma_f64 v[183:184], v[183:184], v[185:186], v[183:184]
	v_fma_f64 v[185:186], -v[168:169], v[183:184], 1.0
	v_fma_f64 v[183:184], v[183:184], v[185:186], v[183:184]
	v_div_scale_f64 v[185:186], vcc_lo, 1.0, v[166:167], 1.0
	v_mul_f64 v[187:188], v[185:186], v[183:184]
	v_fma_f64 v[168:169], -v[168:169], v[187:188], v[185:186]
	v_div_fmas_f64 v[168:169], v[168:169], v[183:184], v[187:188]
	v_div_fixup_f64 v[166:167], v[168:169], v[166:167], 1.0
	v_mul_f64 v[168:169], v[181:182], -v[166:167]
.LBB80_429:
	s_or_b32 exec_lo, exec_lo, s1
.LBB80_430:
	s_or_b32 exec_lo, exec_lo, s0
	s_mov_b32 s0, exec_lo
	v_cmpx_ne_u32_e64 v180, v174
	s_xor_b32 s0, exec_lo, s0
	s_cbranch_execz .LBB80_436
; %bb.431:
	s_mov_b32 s1, exec_lo
	v_cmpx_eq_u32_e32 20, v180
	s_cbranch_execz .LBB80_435
; %bb.432:
	v_cmp_ne_u32_e32 vcc_lo, 20, v174
	s_xor_b32 s2, s16, -1
	s_and_b32 s3, s2, vcc_lo
	s_and_saveexec_b32 s2, s3
	s_cbranch_execz .LBB80_434
; %bb.433:
	v_ashrrev_i32_e32 v175, 31, v174
	v_lshlrev_b64 v[180:181], 2, v[174:175]
	v_add_co_u32 v180, vcc_lo, v172, v180
	v_add_co_ci_u32_e64 v181, null, v173, v181, vcc_lo
	s_clause 0x1
	global_load_dword v0, v[180:181], off
	global_load_dword v175, v[172:173], off offset:80
	s_waitcnt vmcnt(1)
	global_store_dword v[172:173], v0, off offset:80
	s_waitcnt vmcnt(0)
	global_store_dword v[180:181], v175, off
.LBB80_434:
	s_or_b32 exec_lo, exec_lo, s2
	v_mov_b32_e32 v180, v174
	v_mov_b32_e32 v0, v174
.LBB80_435:
	s_or_b32 exec_lo, exec_lo, s1
.LBB80_436:
	s_andn2_saveexec_b32 s0, s0
	s_cbranch_execz .LBB80_438
; %bb.437:
	v_mov_b32_e32 v180, 20
	ds_write2_b64 v1, v[78:79], v[80:81] offset0:42 offset1:43
	ds_write2_b64 v1, v[74:75], v[76:77] offset0:44 offset1:45
	;; [unrolled: 1-line block ×20, first 2 shown]
.LBB80_438:
	s_or_b32 exec_lo, exec_lo, s0
	s_mov_b32 s0, exec_lo
	s_waitcnt lgkmcnt(0)
	s_waitcnt_vscnt null, 0x0
	s_barrier
	buffer_gl0_inv
	v_cmpx_lt_i32_e32 20, v180
	s_cbranch_execz .LBB80_440
; %bb.439:
	v_mul_f64 v[174:175], v[168:169], v[84:85]
	v_mul_f64 v[84:85], v[166:167], v[84:85]
	v_fma_f64 v[174:175], v[166:167], v[82:83], -v[174:175]
	v_fma_f64 v[84:85], v[168:169], v[82:83], v[84:85]
	ds_read2_b64 v[166:169], v1 offset0:42 offset1:43
	s_waitcnt lgkmcnt(0)
	v_mul_f64 v[82:83], v[168:169], v[84:85]
	v_fma_f64 v[82:83], v[166:167], v[174:175], -v[82:83]
	v_mul_f64 v[166:167], v[166:167], v[84:85]
	v_add_f64 v[78:79], v[78:79], -v[82:83]
	v_fma_f64 v[166:167], v[168:169], v[174:175], v[166:167]
	v_add_f64 v[80:81], v[80:81], -v[166:167]
	ds_read2_b64 v[166:169], v1 offset0:44 offset1:45
	s_waitcnt lgkmcnt(0)
	v_mul_f64 v[82:83], v[168:169], v[84:85]
	v_fma_f64 v[82:83], v[166:167], v[174:175], -v[82:83]
	v_mul_f64 v[166:167], v[166:167], v[84:85]
	v_add_f64 v[74:75], v[74:75], -v[82:83]
	v_fma_f64 v[166:167], v[168:169], v[174:175], v[166:167]
	v_add_f64 v[76:77], v[76:77], -v[166:167]
	;; [unrolled: 8-line block ×19, first 2 shown]
	ds_read2_b64 v[166:169], v1 offset0:80 offset1:81
	s_waitcnt lgkmcnt(0)
	v_mul_f64 v[82:83], v[168:169], v[84:85]
	v_fma_f64 v[82:83], v[166:167], v[174:175], -v[82:83]
	v_mul_f64 v[166:167], v[166:167], v[84:85]
	v_add_f64 v[2:3], v[2:3], -v[82:83]
	v_fma_f64 v[166:167], v[168:169], v[174:175], v[166:167]
	v_mov_b32_e32 v82, v174
	v_mov_b32_e32 v83, v175
	v_add_f64 v[4:5], v[4:5], -v[166:167]
.LBB80_440:
	s_or_b32 exec_lo, exec_lo, s0
	v_lshl_add_u32 v166, v180, 4, v1
	s_barrier
	buffer_gl0_inv
	v_mov_b32_e32 v174, 21
	ds_write2_b64 v166, v[78:79], v[80:81] offset1:1
	s_waitcnt lgkmcnt(0)
	s_barrier
	buffer_gl0_inv
	ds_read2_b64 v[166:169], v1 offset0:42 offset1:43
	s_cmp_lt_i32 s18, 23
	s_cbranch_scc1 .LBB80_443
; %bb.441:
	v_add3_u32 v175, v176, 0, 0x160
	v_mov_b32_e32 v174, 21
	s_mov_b32 s1, 22
	s_inst_prefetch 0x1
	.p2align	6
.LBB80_442:                             ; =>This Inner Loop Header: Depth=1
	s_waitcnt lgkmcnt(0)
	v_cmp_gt_f64_e32 vcc_lo, 0, v[168:169]
	v_cmp_gt_f64_e64 s0, 0, v[166:167]
	ds_read2_b64 v[181:184], v175 offset1:1
	v_xor_b32_e32 v186, 0x80000000, v167
	v_xor_b32_e32 v188, 0x80000000, v169
	v_mov_b32_e32 v185, v166
	v_mov_b32_e32 v187, v168
	v_add_nc_u32_e32 v175, 16, v175
	s_waitcnt lgkmcnt(0)
	v_xor_b32_e32 v190, 0x80000000, v184
	v_cndmask_b32_e64 v186, v167, v186, s0
	v_cndmask_b32_e32 v188, v169, v188, vcc_lo
	v_cmp_gt_f64_e32 vcc_lo, 0, v[183:184]
	v_cmp_gt_f64_e64 s0, 0, v[181:182]
	v_mov_b32_e32 v189, v183
	v_add_f64 v[185:186], v[185:186], v[187:188]
	v_xor_b32_e32 v188, 0x80000000, v182
	v_mov_b32_e32 v187, v181
	v_cndmask_b32_e32 v190, v184, v190, vcc_lo
	v_cndmask_b32_e64 v188, v182, v188, s0
	v_add_f64 v[187:188], v[187:188], v[189:190]
	v_cmp_lt_f64_e32 vcc_lo, v[185:186], v[187:188]
	v_cndmask_b32_e32 v167, v167, v182, vcc_lo
	v_cndmask_b32_e32 v166, v166, v181, vcc_lo
	;; [unrolled: 1-line block ×4, first 2 shown]
	v_cndmask_b32_e64 v174, v174, s1, vcc_lo
	s_add_i32 s1, s1, 1
	s_cmp_lg_u32 s18, s1
	s_cbranch_scc1 .LBB80_442
.LBB80_443:
	s_inst_prefetch 0x2
	s_waitcnt lgkmcnt(0)
	v_cmp_eq_f64_e32 vcc_lo, 0, v[166:167]
	v_cmp_eq_f64_e64 s0, 0, v[168:169]
	s_and_b32 s0, vcc_lo, s0
	s_and_saveexec_b32 s1, s0
	s_xor_b32 s0, exec_lo, s1
; %bb.444:
	v_cmp_ne_u32_e32 vcc_lo, 0, v179
	v_cndmask_b32_e32 v179, 22, v179, vcc_lo
; %bb.445:
	s_andn2_saveexec_b32 s0, s0
	s_cbranch_execz .LBB80_451
; %bb.446:
	v_cmp_ngt_f64_e64 s1, |v[166:167]|, |v[168:169]|
	s_and_saveexec_b32 s2, s1
	s_xor_b32 s1, exec_lo, s2
	s_cbranch_execz .LBB80_448
; %bb.447:
	v_div_scale_f64 v[181:182], null, v[168:169], v[168:169], v[166:167]
	v_div_scale_f64 v[187:188], vcc_lo, v[166:167], v[168:169], v[166:167]
	v_rcp_f64_e32 v[183:184], v[181:182]
	v_fma_f64 v[185:186], -v[181:182], v[183:184], 1.0
	v_fma_f64 v[183:184], v[183:184], v[185:186], v[183:184]
	v_fma_f64 v[185:186], -v[181:182], v[183:184], 1.0
	v_fma_f64 v[183:184], v[183:184], v[185:186], v[183:184]
	v_mul_f64 v[185:186], v[187:188], v[183:184]
	v_fma_f64 v[181:182], -v[181:182], v[185:186], v[187:188]
	v_div_fmas_f64 v[181:182], v[181:182], v[183:184], v[185:186]
	v_div_fixup_f64 v[181:182], v[181:182], v[168:169], v[166:167]
	v_fma_f64 v[166:167], v[166:167], v[181:182], v[168:169]
	v_div_scale_f64 v[168:169], null, v[166:167], v[166:167], 1.0
	v_rcp_f64_e32 v[183:184], v[168:169]
	v_fma_f64 v[185:186], -v[168:169], v[183:184], 1.0
	v_fma_f64 v[183:184], v[183:184], v[185:186], v[183:184]
	v_fma_f64 v[185:186], -v[168:169], v[183:184], 1.0
	v_fma_f64 v[183:184], v[183:184], v[185:186], v[183:184]
	v_div_scale_f64 v[185:186], vcc_lo, 1.0, v[166:167], 1.0
	v_mul_f64 v[187:188], v[185:186], v[183:184]
	v_fma_f64 v[168:169], -v[168:169], v[187:188], v[185:186]
	v_div_fmas_f64 v[168:169], v[168:169], v[183:184], v[187:188]
	v_div_fixup_f64 v[168:169], v[168:169], v[166:167], 1.0
	v_mul_f64 v[166:167], v[181:182], v[168:169]
	v_xor_b32_e32 v169, 0x80000000, v169
.LBB80_448:
	s_andn2_saveexec_b32 s1, s1
	s_cbranch_execz .LBB80_450
; %bb.449:
	v_div_scale_f64 v[181:182], null, v[166:167], v[166:167], v[168:169]
	v_div_scale_f64 v[187:188], vcc_lo, v[168:169], v[166:167], v[168:169]
	v_rcp_f64_e32 v[183:184], v[181:182]
	v_fma_f64 v[185:186], -v[181:182], v[183:184], 1.0
	v_fma_f64 v[183:184], v[183:184], v[185:186], v[183:184]
	v_fma_f64 v[185:186], -v[181:182], v[183:184], 1.0
	v_fma_f64 v[183:184], v[183:184], v[185:186], v[183:184]
	v_mul_f64 v[185:186], v[187:188], v[183:184]
	v_fma_f64 v[181:182], -v[181:182], v[185:186], v[187:188]
	v_div_fmas_f64 v[181:182], v[181:182], v[183:184], v[185:186]
	v_div_fixup_f64 v[181:182], v[181:182], v[166:167], v[168:169]
	v_fma_f64 v[166:167], v[168:169], v[181:182], v[166:167]
	v_div_scale_f64 v[168:169], null, v[166:167], v[166:167], 1.0
	v_rcp_f64_e32 v[183:184], v[168:169]
	v_fma_f64 v[185:186], -v[168:169], v[183:184], 1.0
	v_fma_f64 v[183:184], v[183:184], v[185:186], v[183:184]
	v_fma_f64 v[185:186], -v[168:169], v[183:184], 1.0
	v_fma_f64 v[183:184], v[183:184], v[185:186], v[183:184]
	v_div_scale_f64 v[185:186], vcc_lo, 1.0, v[166:167], 1.0
	v_mul_f64 v[187:188], v[185:186], v[183:184]
	v_fma_f64 v[168:169], -v[168:169], v[187:188], v[185:186]
	v_div_fmas_f64 v[168:169], v[168:169], v[183:184], v[187:188]
	v_div_fixup_f64 v[166:167], v[168:169], v[166:167], 1.0
	v_mul_f64 v[168:169], v[181:182], -v[166:167]
.LBB80_450:
	s_or_b32 exec_lo, exec_lo, s1
.LBB80_451:
	s_or_b32 exec_lo, exec_lo, s0
	s_mov_b32 s0, exec_lo
	v_cmpx_ne_u32_e64 v180, v174
	s_xor_b32 s0, exec_lo, s0
	s_cbranch_execz .LBB80_457
; %bb.452:
	s_mov_b32 s1, exec_lo
	v_cmpx_eq_u32_e32 21, v180
	s_cbranch_execz .LBB80_456
; %bb.453:
	v_cmp_ne_u32_e32 vcc_lo, 21, v174
	s_xor_b32 s2, s16, -1
	s_and_b32 s3, s2, vcc_lo
	s_and_saveexec_b32 s2, s3
	s_cbranch_execz .LBB80_455
; %bb.454:
	v_ashrrev_i32_e32 v175, 31, v174
	v_lshlrev_b64 v[180:181], 2, v[174:175]
	v_add_co_u32 v180, vcc_lo, v172, v180
	v_add_co_ci_u32_e64 v181, null, v173, v181, vcc_lo
	s_clause 0x1
	global_load_dword v0, v[180:181], off
	global_load_dword v175, v[172:173], off offset:84
	s_waitcnt vmcnt(1)
	global_store_dword v[172:173], v0, off offset:84
	s_waitcnt vmcnt(0)
	global_store_dword v[180:181], v175, off
.LBB80_455:
	s_or_b32 exec_lo, exec_lo, s2
	v_mov_b32_e32 v180, v174
	v_mov_b32_e32 v0, v174
.LBB80_456:
	s_or_b32 exec_lo, exec_lo, s1
.LBB80_457:
	s_andn2_saveexec_b32 s0, s0
	s_cbranch_execz .LBB80_459
; %bb.458:
	v_mov_b32_e32 v180, 21
	ds_write2_b64 v1, v[74:75], v[76:77] offset0:44 offset1:45
	ds_write2_b64 v1, v[70:71], v[72:73] offset0:46 offset1:47
	;; [unrolled: 1-line block ×19, first 2 shown]
.LBB80_459:
	s_or_b32 exec_lo, exec_lo, s0
	s_mov_b32 s0, exec_lo
	s_waitcnt lgkmcnt(0)
	s_waitcnt_vscnt null, 0x0
	s_barrier
	buffer_gl0_inv
	v_cmpx_lt_i32_e32 21, v180
	s_cbranch_execz .LBB80_461
; %bb.460:
	v_mul_f64 v[174:175], v[168:169], v[80:81]
	v_mul_f64 v[80:81], v[166:167], v[80:81]
	v_fma_f64 v[174:175], v[166:167], v[78:79], -v[174:175]
	v_fma_f64 v[80:81], v[168:169], v[78:79], v[80:81]
	ds_read2_b64 v[166:169], v1 offset0:44 offset1:45
	s_waitcnt lgkmcnt(0)
	v_mul_f64 v[78:79], v[168:169], v[80:81]
	v_fma_f64 v[78:79], v[166:167], v[174:175], -v[78:79]
	v_mul_f64 v[166:167], v[166:167], v[80:81]
	v_add_f64 v[74:75], v[74:75], -v[78:79]
	v_fma_f64 v[166:167], v[168:169], v[174:175], v[166:167]
	v_add_f64 v[76:77], v[76:77], -v[166:167]
	ds_read2_b64 v[166:169], v1 offset0:46 offset1:47
	s_waitcnt lgkmcnt(0)
	v_mul_f64 v[78:79], v[168:169], v[80:81]
	v_fma_f64 v[78:79], v[166:167], v[174:175], -v[78:79]
	v_mul_f64 v[166:167], v[166:167], v[80:81]
	v_add_f64 v[70:71], v[70:71], -v[78:79]
	v_fma_f64 v[166:167], v[168:169], v[174:175], v[166:167]
	v_add_f64 v[72:73], v[72:73], -v[166:167]
	;; [unrolled: 8-line block ×18, first 2 shown]
	ds_read2_b64 v[166:169], v1 offset0:80 offset1:81
	s_waitcnt lgkmcnt(0)
	v_mul_f64 v[78:79], v[168:169], v[80:81]
	v_fma_f64 v[78:79], v[166:167], v[174:175], -v[78:79]
	v_mul_f64 v[166:167], v[166:167], v[80:81]
	v_add_f64 v[2:3], v[2:3], -v[78:79]
	v_fma_f64 v[166:167], v[168:169], v[174:175], v[166:167]
	v_mov_b32_e32 v78, v174
	v_mov_b32_e32 v79, v175
	v_add_f64 v[4:5], v[4:5], -v[166:167]
.LBB80_461:
	s_or_b32 exec_lo, exec_lo, s0
	v_lshl_add_u32 v166, v180, 4, v1
	s_barrier
	buffer_gl0_inv
	v_mov_b32_e32 v174, 22
	ds_write2_b64 v166, v[74:75], v[76:77] offset1:1
	s_waitcnt lgkmcnt(0)
	s_barrier
	buffer_gl0_inv
	ds_read2_b64 v[166:169], v1 offset0:44 offset1:45
	s_cmp_lt_i32 s18, 24
	s_cbranch_scc1 .LBB80_464
; %bb.462:
	v_add3_u32 v175, v176, 0, 0x170
	v_mov_b32_e32 v174, 22
	s_mov_b32 s1, 23
	s_inst_prefetch 0x1
	.p2align	6
.LBB80_463:                             ; =>This Inner Loop Header: Depth=1
	s_waitcnt lgkmcnt(0)
	v_cmp_gt_f64_e32 vcc_lo, 0, v[168:169]
	v_cmp_gt_f64_e64 s0, 0, v[166:167]
	ds_read2_b64 v[181:184], v175 offset1:1
	v_xor_b32_e32 v186, 0x80000000, v167
	v_xor_b32_e32 v188, 0x80000000, v169
	v_mov_b32_e32 v185, v166
	v_mov_b32_e32 v187, v168
	v_add_nc_u32_e32 v175, 16, v175
	s_waitcnt lgkmcnt(0)
	v_xor_b32_e32 v190, 0x80000000, v184
	v_cndmask_b32_e64 v186, v167, v186, s0
	v_cndmask_b32_e32 v188, v169, v188, vcc_lo
	v_cmp_gt_f64_e32 vcc_lo, 0, v[183:184]
	v_cmp_gt_f64_e64 s0, 0, v[181:182]
	v_mov_b32_e32 v189, v183
	v_add_f64 v[185:186], v[185:186], v[187:188]
	v_xor_b32_e32 v188, 0x80000000, v182
	v_mov_b32_e32 v187, v181
	v_cndmask_b32_e32 v190, v184, v190, vcc_lo
	v_cndmask_b32_e64 v188, v182, v188, s0
	v_add_f64 v[187:188], v[187:188], v[189:190]
	v_cmp_lt_f64_e32 vcc_lo, v[185:186], v[187:188]
	v_cndmask_b32_e32 v167, v167, v182, vcc_lo
	v_cndmask_b32_e32 v166, v166, v181, vcc_lo
	;; [unrolled: 1-line block ×4, first 2 shown]
	v_cndmask_b32_e64 v174, v174, s1, vcc_lo
	s_add_i32 s1, s1, 1
	s_cmp_lg_u32 s18, s1
	s_cbranch_scc1 .LBB80_463
.LBB80_464:
	s_inst_prefetch 0x2
	s_waitcnt lgkmcnt(0)
	v_cmp_eq_f64_e32 vcc_lo, 0, v[166:167]
	v_cmp_eq_f64_e64 s0, 0, v[168:169]
	s_and_b32 s0, vcc_lo, s0
	s_and_saveexec_b32 s1, s0
	s_xor_b32 s0, exec_lo, s1
; %bb.465:
	v_cmp_ne_u32_e32 vcc_lo, 0, v179
	v_cndmask_b32_e32 v179, 23, v179, vcc_lo
; %bb.466:
	s_andn2_saveexec_b32 s0, s0
	s_cbranch_execz .LBB80_472
; %bb.467:
	v_cmp_ngt_f64_e64 s1, |v[166:167]|, |v[168:169]|
	s_and_saveexec_b32 s2, s1
	s_xor_b32 s1, exec_lo, s2
	s_cbranch_execz .LBB80_469
; %bb.468:
	v_div_scale_f64 v[181:182], null, v[168:169], v[168:169], v[166:167]
	v_div_scale_f64 v[187:188], vcc_lo, v[166:167], v[168:169], v[166:167]
	v_rcp_f64_e32 v[183:184], v[181:182]
	v_fma_f64 v[185:186], -v[181:182], v[183:184], 1.0
	v_fma_f64 v[183:184], v[183:184], v[185:186], v[183:184]
	v_fma_f64 v[185:186], -v[181:182], v[183:184], 1.0
	v_fma_f64 v[183:184], v[183:184], v[185:186], v[183:184]
	v_mul_f64 v[185:186], v[187:188], v[183:184]
	v_fma_f64 v[181:182], -v[181:182], v[185:186], v[187:188]
	v_div_fmas_f64 v[181:182], v[181:182], v[183:184], v[185:186]
	v_div_fixup_f64 v[181:182], v[181:182], v[168:169], v[166:167]
	v_fma_f64 v[166:167], v[166:167], v[181:182], v[168:169]
	v_div_scale_f64 v[168:169], null, v[166:167], v[166:167], 1.0
	v_rcp_f64_e32 v[183:184], v[168:169]
	v_fma_f64 v[185:186], -v[168:169], v[183:184], 1.0
	v_fma_f64 v[183:184], v[183:184], v[185:186], v[183:184]
	v_fma_f64 v[185:186], -v[168:169], v[183:184], 1.0
	v_fma_f64 v[183:184], v[183:184], v[185:186], v[183:184]
	v_div_scale_f64 v[185:186], vcc_lo, 1.0, v[166:167], 1.0
	v_mul_f64 v[187:188], v[185:186], v[183:184]
	v_fma_f64 v[168:169], -v[168:169], v[187:188], v[185:186]
	v_div_fmas_f64 v[168:169], v[168:169], v[183:184], v[187:188]
	v_div_fixup_f64 v[168:169], v[168:169], v[166:167], 1.0
	v_mul_f64 v[166:167], v[181:182], v[168:169]
	v_xor_b32_e32 v169, 0x80000000, v169
.LBB80_469:
	s_andn2_saveexec_b32 s1, s1
	s_cbranch_execz .LBB80_471
; %bb.470:
	v_div_scale_f64 v[181:182], null, v[166:167], v[166:167], v[168:169]
	v_div_scale_f64 v[187:188], vcc_lo, v[168:169], v[166:167], v[168:169]
	v_rcp_f64_e32 v[183:184], v[181:182]
	v_fma_f64 v[185:186], -v[181:182], v[183:184], 1.0
	v_fma_f64 v[183:184], v[183:184], v[185:186], v[183:184]
	v_fma_f64 v[185:186], -v[181:182], v[183:184], 1.0
	v_fma_f64 v[183:184], v[183:184], v[185:186], v[183:184]
	v_mul_f64 v[185:186], v[187:188], v[183:184]
	v_fma_f64 v[181:182], -v[181:182], v[185:186], v[187:188]
	v_div_fmas_f64 v[181:182], v[181:182], v[183:184], v[185:186]
	v_div_fixup_f64 v[181:182], v[181:182], v[166:167], v[168:169]
	v_fma_f64 v[166:167], v[168:169], v[181:182], v[166:167]
	v_div_scale_f64 v[168:169], null, v[166:167], v[166:167], 1.0
	v_rcp_f64_e32 v[183:184], v[168:169]
	v_fma_f64 v[185:186], -v[168:169], v[183:184], 1.0
	v_fma_f64 v[183:184], v[183:184], v[185:186], v[183:184]
	v_fma_f64 v[185:186], -v[168:169], v[183:184], 1.0
	v_fma_f64 v[183:184], v[183:184], v[185:186], v[183:184]
	v_div_scale_f64 v[185:186], vcc_lo, 1.0, v[166:167], 1.0
	v_mul_f64 v[187:188], v[185:186], v[183:184]
	v_fma_f64 v[168:169], -v[168:169], v[187:188], v[185:186]
	v_div_fmas_f64 v[168:169], v[168:169], v[183:184], v[187:188]
	v_div_fixup_f64 v[166:167], v[168:169], v[166:167], 1.0
	v_mul_f64 v[168:169], v[181:182], -v[166:167]
.LBB80_471:
	s_or_b32 exec_lo, exec_lo, s1
.LBB80_472:
	s_or_b32 exec_lo, exec_lo, s0
	s_mov_b32 s0, exec_lo
	v_cmpx_ne_u32_e64 v180, v174
	s_xor_b32 s0, exec_lo, s0
	s_cbranch_execz .LBB80_478
; %bb.473:
	s_mov_b32 s1, exec_lo
	v_cmpx_eq_u32_e32 22, v180
	s_cbranch_execz .LBB80_477
; %bb.474:
	v_cmp_ne_u32_e32 vcc_lo, 22, v174
	s_xor_b32 s2, s16, -1
	s_and_b32 s3, s2, vcc_lo
	s_and_saveexec_b32 s2, s3
	s_cbranch_execz .LBB80_476
; %bb.475:
	v_ashrrev_i32_e32 v175, 31, v174
	v_lshlrev_b64 v[180:181], 2, v[174:175]
	v_add_co_u32 v180, vcc_lo, v172, v180
	v_add_co_ci_u32_e64 v181, null, v173, v181, vcc_lo
	s_clause 0x1
	global_load_dword v0, v[180:181], off
	global_load_dword v175, v[172:173], off offset:88
	s_waitcnt vmcnt(1)
	global_store_dword v[172:173], v0, off offset:88
	s_waitcnt vmcnt(0)
	global_store_dword v[180:181], v175, off
.LBB80_476:
	s_or_b32 exec_lo, exec_lo, s2
	v_mov_b32_e32 v180, v174
	v_mov_b32_e32 v0, v174
.LBB80_477:
	s_or_b32 exec_lo, exec_lo, s1
.LBB80_478:
	s_andn2_saveexec_b32 s0, s0
	s_cbranch_execz .LBB80_480
; %bb.479:
	v_mov_b32_e32 v180, 22
	ds_write2_b64 v1, v[70:71], v[72:73] offset0:46 offset1:47
	ds_write2_b64 v1, v[66:67], v[68:69] offset0:48 offset1:49
	;; [unrolled: 1-line block ×18, first 2 shown]
.LBB80_480:
	s_or_b32 exec_lo, exec_lo, s0
	s_mov_b32 s0, exec_lo
	s_waitcnt lgkmcnt(0)
	s_waitcnt_vscnt null, 0x0
	s_barrier
	buffer_gl0_inv
	v_cmpx_lt_i32_e32 22, v180
	s_cbranch_execz .LBB80_482
; %bb.481:
	v_mul_f64 v[174:175], v[168:169], v[76:77]
	v_mul_f64 v[76:77], v[166:167], v[76:77]
	v_fma_f64 v[174:175], v[166:167], v[74:75], -v[174:175]
	v_fma_f64 v[76:77], v[168:169], v[74:75], v[76:77]
	ds_read2_b64 v[166:169], v1 offset0:46 offset1:47
	s_waitcnt lgkmcnt(0)
	v_mul_f64 v[74:75], v[168:169], v[76:77]
	v_fma_f64 v[74:75], v[166:167], v[174:175], -v[74:75]
	v_mul_f64 v[166:167], v[166:167], v[76:77]
	v_add_f64 v[70:71], v[70:71], -v[74:75]
	v_fma_f64 v[166:167], v[168:169], v[174:175], v[166:167]
	v_add_f64 v[72:73], v[72:73], -v[166:167]
	ds_read2_b64 v[166:169], v1 offset0:48 offset1:49
	s_waitcnt lgkmcnt(0)
	v_mul_f64 v[74:75], v[168:169], v[76:77]
	v_fma_f64 v[74:75], v[166:167], v[174:175], -v[74:75]
	v_mul_f64 v[166:167], v[166:167], v[76:77]
	v_add_f64 v[66:67], v[66:67], -v[74:75]
	v_fma_f64 v[166:167], v[168:169], v[174:175], v[166:167]
	v_add_f64 v[68:69], v[68:69], -v[166:167]
	;; [unrolled: 8-line block ×17, first 2 shown]
	ds_read2_b64 v[166:169], v1 offset0:80 offset1:81
	s_waitcnt lgkmcnt(0)
	v_mul_f64 v[74:75], v[168:169], v[76:77]
	v_fma_f64 v[74:75], v[166:167], v[174:175], -v[74:75]
	v_mul_f64 v[166:167], v[166:167], v[76:77]
	v_add_f64 v[2:3], v[2:3], -v[74:75]
	v_fma_f64 v[166:167], v[168:169], v[174:175], v[166:167]
	v_mov_b32_e32 v74, v174
	v_mov_b32_e32 v75, v175
	v_add_f64 v[4:5], v[4:5], -v[166:167]
.LBB80_482:
	s_or_b32 exec_lo, exec_lo, s0
	v_lshl_add_u32 v166, v180, 4, v1
	s_barrier
	buffer_gl0_inv
	v_mov_b32_e32 v174, 23
	ds_write2_b64 v166, v[70:71], v[72:73] offset1:1
	s_waitcnt lgkmcnt(0)
	s_barrier
	buffer_gl0_inv
	ds_read2_b64 v[166:169], v1 offset0:46 offset1:47
	s_cmp_lt_i32 s18, 25
	s_cbranch_scc1 .LBB80_485
; %bb.483:
	v_add3_u32 v175, v176, 0, 0x180
	v_mov_b32_e32 v174, 23
	s_mov_b32 s1, 24
	s_inst_prefetch 0x1
	.p2align	6
.LBB80_484:                             ; =>This Inner Loop Header: Depth=1
	s_waitcnt lgkmcnt(0)
	v_cmp_gt_f64_e32 vcc_lo, 0, v[168:169]
	v_cmp_gt_f64_e64 s0, 0, v[166:167]
	ds_read2_b64 v[181:184], v175 offset1:1
	v_xor_b32_e32 v186, 0x80000000, v167
	v_xor_b32_e32 v188, 0x80000000, v169
	v_mov_b32_e32 v185, v166
	v_mov_b32_e32 v187, v168
	v_add_nc_u32_e32 v175, 16, v175
	s_waitcnt lgkmcnt(0)
	v_xor_b32_e32 v190, 0x80000000, v184
	v_cndmask_b32_e64 v186, v167, v186, s0
	v_cndmask_b32_e32 v188, v169, v188, vcc_lo
	v_cmp_gt_f64_e32 vcc_lo, 0, v[183:184]
	v_cmp_gt_f64_e64 s0, 0, v[181:182]
	v_mov_b32_e32 v189, v183
	v_add_f64 v[185:186], v[185:186], v[187:188]
	v_xor_b32_e32 v188, 0x80000000, v182
	v_mov_b32_e32 v187, v181
	v_cndmask_b32_e32 v190, v184, v190, vcc_lo
	v_cndmask_b32_e64 v188, v182, v188, s0
	v_add_f64 v[187:188], v[187:188], v[189:190]
	v_cmp_lt_f64_e32 vcc_lo, v[185:186], v[187:188]
	v_cndmask_b32_e32 v167, v167, v182, vcc_lo
	v_cndmask_b32_e32 v166, v166, v181, vcc_lo
	;; [unrolled: 1-line block ×4, first 2 shown]
	v_cndmask_b32_e64 v174, v174, s1, vcc_lo
	s_add_i32 s1, s1, 1
	s_cmp_lg_u32 s18, s1
	s_cbranch_scc1 .LBB80_484
.LBB80_485:
	s_inst_prefetch 0x2
	s_waitcnt lgkmcnt(0)
	v_cmp_eq_f64_e32 vcc_lo, 0, v[166:167]
	v_cmp_eq_f64_e64 s0, 0, v[168:169]
	s_and_b32 s0, vcc_lo, s0
	s_and_saveexec_b32 s1, s0
	s_xor_b32 s0, exec_lo, s1
; %bb.486:
	v_cmp_ne_u32_e32 vcc_lo, 0, v179
	v_cndmask_b32_e32 v179, 24, v179, vcc_lo
; %bb.487:
	s_andn2_saveexec_b32 s0, s0
	s_cbranch_execz .LBB80_493
; %bb.488:
	v_cmp_ngt_f64_e64 s1, |v[166:167]|, |v[168:169]|
	s_and_saveexec_b32 s2, s1
	s_xor_b32 s1, exec_lo, s2
	s_cbranch_execz .LBB80_490
; %bb.489:
	v_div_scale_f64 v[181:182], null, v[168:169], v[168:169], v[166:167]
	v_div_scale_f64 v[187:188], vcc_lo, v[166:167], v[168:169], v[166:167]
	v_rcp_f64_e32 v[183:184], v[181:182]
	v_fma_f64 v[185:186], -v[181:182], v[183:184], 1.0
	v_fma_f64 v[183:184], v[183:184], v[185:186], v[183:184]
	v_fma_f64 v[185:186], -v[181:182], v[183:184], 1.0
	v_fma_f64 v[183:184], v[183:184], v[185:186], v[183:184]
	v_mul_f64 v[185:186], v[187:188], v[183:184]
	v_fma_f64 v[181:182], -v[181:182], v[185:186], v[187:188]
	v_div_fmas_f64 v[181:182], v[181:182], v[183:184], v[185:186]
	v_div_fixup_f64 v[181:182], v[181:182], v[168:169], v[166:167]
	v_fma_f64 v[166:167], v[166:167], v[181:182], v[168:169]
	v_div_scale_f64 v[168:169], null, v[166:167], v[166:167], 1.0
	v_rcp_f64_e32 v[183:184], v[168:169]
	v_fma_f64 v[185:186], -v[168:169], v[183:184], 1.0
	v_fma_f64 v[183:184], v[183:184], v[185:186], v[183:184]
	v_fma_f64 v[185:186], -v[168:169], v[183:184], 1.0
	v_fma_f64 v[183:184], v[183:184], v[185:186], v[183:184]
	v_div_scale_f64 v[185:186], vcc_lo, 1.0, v[166:167], 1.0
	v_mul_f64 v[187:188], v[185:186], v[183:184]
	v_fma_f64 v[168:169], -v[168:169], v[187:188], v[185:186]
	v_div_fmas_f64 v[168:169], v[168:169], v[183:184], v[187:188]
	v_div_fixup_f64 v[168:169], v[168:169], v[166:167], 1.0
	v_mul_f64 v[166:167], v[181:182], v[168:169]
	v_xor_b32_e32 v169, 0x80000000, v169
.LBB80_490:
	s_andn2_saveexec_b32 s1, s1
	s_cbranch_execz .LBB80_492
; %bb.491:
	v_div_scale_f64 v[181:182], null, v[166:167], v[166:167], v[168:169]
	v_div_scale_f64 v[187:188], vcc_lo, v[168:169], v[166:167], v[168:169]
	v_rcp_f64_e32 v[183:184], v[181:182]
	v_fma_f64 v[185:186], -v[181:182], v[183:184], 1.0
	v_fma_f64 v[183:184], v[183:184], v[185:186], v[183:184]
	v_fma_f64 v[185:186], -v[181:182], v[183:184], 1.0
	v_fma_f64 v[183:184], v[183:184], v[185:186], v[183:184]
	v_mul_f64 v[185:186], v[187:188], v[183:184]
	v_fma_f64 v[181:182], -v[181:182], v[185:186], v[187:188]
	v_div_fmas_f64 v[181:182], v[181:182], v[183:184], v[185:186]
	v_div_fixup_f64 v[181:182], v[181:182], v[166:167], v[168:169]
	v_fma_f64 v[166:167], v[168:169], v[181:182], v[166:167]
	v_div_scale_f64 v[168:169], null, v[166:167], v[166:167], 1.0
	v_rcp_f64_e32 v[183:184], v[168:169]
	v_fma_f64 v[185:186], -v[168:169], v[183:184], 1.0
	v_fma_f64 v[183:184], v[183:184], v[185:186], v[183:184]
	v_fma_f64 v[185:186], -v[168:169], v[183:184], 1.0
	v_fma_f64 v[183:184], v[183:184], v[185:186], v[183:184]
	v_div_scale_f64 v[185:186], vcc_lo, 1.0, v[166:167], 1.0
	v_mul_f64 v[187:188], v[185:186], v[183:184]
	v_fma_f64 v[168:169], -v[168:169], v[187:188], v[185:186]
	v_div_fmas_f64 v[168:169], v[168:169], v[183:184], v[187:188]
	v_div_fixup_f64 v[166:167], v[168:169], v[166:167], 1.0
	v_mul_f64 v[168:169], v[181:182], -v[166:167]
.LBB80_492:
	s_or_b32 exec_lo, exec_lo, s1
.LBB80_493:
	s_or_b32 exec_lo, exec_lo, s0
	s_mov_b32 s0, exec_lo
	v_cmpx_ne_u32_e64 v180, v174
	s_xor_b32 s0, exec_lo, s0
	s_cbranch_execz .LBB80_499
; %bb.494:
	s_mov_b32 s1, exec_lo
	v_cmpx_eq_u32_e32 23, v180
	s_cbranch_execz .LBB80_498
; %bb.495:
	v_cmp_ne_u32_e32 vcc_lo, 23, v174
	s_xor_b32 s2, s16, -1
	s_and_b32 s3, s2, vcc_lo
	s_and_saveexec_b32 s2, s3
	s_cbranch_execz .LBB80_497
; %bb.496:
	v_ashrrev_i32_e32 v175, 31, v174
	v_lshlrev_b64 v[180:181], 2, v[174:175]
	v_add_co_u32 v180, vcc_lo, v172, v180
	v_add_co_ci_u32_e64 v181, null, v173, v181, vcc_lo
	s_clause 0x1
	global_load_dword v0, v[180:181], off
	global_load_dword v175, v[172:173], off offset:92
	s_waitcnt vmcnt(1)
	global_store_dword v[172:173], v0, off offset:92
	s_waitcnt vmcnt(0)
	global_store_dword v[180:181], v175, off
.LBB80_497:
	s_or_b32 exec_lo, exec_lo, s2
	v_mov_b32_e32 v180, v174
	v_mov_b32_e32 v0, v174
.LBB80_498:
	s_or_b32 exec_lo, exec_lo, s1
.LBB80_499:
	s_andn2_saveexec_b32 s0, s0
	s_cbranch_execz .LBB80_501
; %bb.500:
	v_mov_b32_e32 v180, 23
	ds_write2_b64 v1, v[66:67], v[68:69] offset0:48 offset1:49
	ds_write2_b64 v1, v[62:63], v[64:65] offset0:50 offset1:51
	ds_write2_b64 v1, v[58:59], v[60:61] offset0:52 offset1:53
	ds_write2_b64 v1, v[54:55], v[56:57] offset0:54 offset1:55
	ds_write2_b64 v1, v[50:51], v[52:53] offset0:56 offset1:57
	ds_write2_b64 v1, v[46:47], v[48:49] offset0:58 offset1:59
	ds_write2_b64 v1, v[42:43], v[44:45] offset0:60 offset1:61
	ds_write2_b64 v1, v[38:39], v[40:41] offset0:62 offset1:63
	ds_write2_b64 v1, v[34:35], v[36:37] offset0:64 offset1:65
	ds_write2_b64 v1, v[30:31], v[32:33] offset0:66 offset1:67
	ds_write2_b64 v1, v[26:27], v[28:29] offset0:68 offset1:69
	ds_write2_b64 v1, v[22:23], v[24:25] offset0:70 offset1:71
	ds_write2_b64 v1, v[18:19], v[20:21] offset0:72 offset1:73
	ds_write2_b64 v1, v[14:15], v[16:17] offset0:74 offset1:75
	ds_write2_b64 v1, v[10:11], v[12:13] offset0:76 offset1:77
	ds_write2_b64 v1, v[6:7], v[8:9] offset0:78 offset1:79
	ds_write2_b64 v1, v[2:3], v[4:5] offset0:80 offset1:81
.LBB80_501:
	s_or_b32 exec_lo, exec_lo, s0
	s_mov_b32 s0, exec_lo
	s_waitcnt lgkmcnt(0)
	s_waitcnt_vscnt null, 0x0
	s_barrier
	buffer_gl0_inv
	v_cmpx_lt_i32_e32 23, v180
	s_cbranch_execz .LBB80_503
; %bb.502:
	v_mul_f64 v[174:175], v[168:169], v[72:73]
	v_mul_f64 v[72:73], v[166:167], v[72:73]
	v_fma_f64 v[174:175], v[166:167], v[70:71], -v[174:175]
	v_fma_f64 v[72:73], v[168:169], v[70:71], v[72:73]
	ds_read2_b64 v[166:169], v1 offset0:48 offset1:49
	s_waitcnt lgkmcnt(0)
	v_mul_f64 v[70:71], v[168:169], v[72:73]
	v_fma_f64 v[70:71], v[166:167], v[174:175], -v[70:71]
	v_mul_f64 v[166:167], v[166:167], v[72:73]
	v_add_f64 v[66:67], v[66:67], -v[70:71]
	v_fma_f64 v[166:167], v[168:169], v[174:175], v[166:167]
	v_add_f64 v[68:69], v[68:69], -v[166:167]
	ds_read2_b64 v[166:169], v1 offset0:50 offset1:51
	s_waitcnt lgkmcnt(0)
	v_mul_f64 v[70:71], v[168:169], v[72:73]
	v_fma_f64 v[70:71], v[166:167], v[174:175], -v[70:71]
	v_mul_f64 v[166:167], v[166:167], v[72:73]
	v_add_f64 v[62:63], v[62:63], -v[70:71]
	v_fma_f64 v[166:167], v[168:169], v[174:175], v[166:167]
	v_add_f64 v[64:65], v[64:65], -v[166:167]
	ds_read2_b64 v[166:169], v1 offset0:52 offset1:53
	s_waitcnt lgkmcnt(0)
	v_mul_f64 v[70:71], v[168:169], v[72:73]
	v_fma_f64 v[70:71], v[166:167], v[174:175], -v[70:71]
	v_mul_f64 v[166:167], v[166:167], v[72:73]
	v_add_f64 v[58:59], v[58:59], -v[70:71]
	v_fma_f64 v[166:167], v[168:169], v[174:175], v[166:167]
	v_add_f64 v[60:61], v[60:61], -v[166:167]
	ds_read2_b64 v[166:169], v1 offset0:54 offset1:55
	s_waitcnt lgkmcnt(0)
	v_mul_f64 v[70:71], v[168:169], v[72:73]
	v_fma_f64 v[70:71], v[166:167], v[174:175], -v[70:71]
	v_mul_f64 v[166:167], v[166:167], v[72:73]
	v_add_f64 v[54:55], v[54:55], -v[70:71]
	v_fma_f64 v[166:167], v[168:169], v[174:175], v[166:167]
	v_add_f64 v[56:57], v[56:57], -v[166:167]
	ds_read2_b64 v[166:169], v1 offset0:56 offset1:57
	s_waitcnt lgkmcnt(0)
	v_mul_f64 v[70:71], v[168:169], v[72:73]
	v_fma_f64 v[70:71], v[166:167], v[174:175], -v[70:71]
	v_mul_f64 v[166:167], v[166:167], v[72:73]
	v_add_f64 v[50:51], v[50:51], -v[70:71]
	v_fma_f64 v[166:167], v[168:169], v[174:175], v[166:167]
	v_add_f64 v[52:53], v[52:53], -v[166:167]
	ds_read2_b64 v[166:169], v1 offset0:58 offset1:59
	s_waitcnt lgkmcnt(0)
	v_mul_f64 v[70:71], v[168:169], v[72:73]
	v_fma_f64 v[70:71], v[166:167], v[174:175], -v[70:71]
	v_mul_f64 v[166:167], v[166:167], v[72:73]
	v_add_f64 v[46:47], v[46:47], -v[70:71]
	v_fma_f64 v[166:167], v[168:169], v[174:175], v[166:167]
	v_add_f64 v[48:49], v[48:49], -v[166:167]
	ds_read2_b64 v[166:169], v1 offset0:60 offset1:61
	s_waitcnt lgkmcnt(0)
	v_mul_f64 v[70:71], v[168:169], v[72:73]
	v_fma_f64 v[70:71], v[166:167], v[174:175], -v[70:71]
	v_mul_f64 v[166:167], v[166:167], v[72:73]
	v_add_f64 v[42:43], v[42:43], -v[70:71]
	v_fma_f64 v[166:167], v[168:169], v[174:175], v[166:167]
	v_add_f64 v[44:45], v[44:45], -v[166:167]
	ds_read2_b64 v[166:169], v1 offset0:62 offset1:63
	s_waitcnt lgkmcnt(0)
	v_mul_f64 v[70:71], v[168:169], v[72:73]
	v_fma_f64 v[70:71], v[166:167], v[174:175], -v[70:71]
	v_mul_f64 v[166:167], v[166:167], v[72:73]
	v_add_f64 v[38:39], v[38:39], -v[70:71]
	v_fma_f64 v[166:167], v[168:169], v[174:175], v[166:167]
	v_add_f64 v[40:41], v[40:41], -v[166:167]
	ds_read2_b64 v[166:169], v1 offset0:64 offset1:65
	s_waitcnt lgkmcnt(0)
	v_mul_f64 v[70:71], v[168:169], v[72:73]
	v_fma_f64 v[70:71], v[166:167], v[174:175], -v[70:71]
	v_mul_f64 v[166:167], v[166:167], v[72:73]
	v_add_f64 v[34:35], v[34:35], -v[70:71]
	v_fma_f64 v[166:167], v[168:169], v[174:175], v[166:167]
	v_add_f64 v[36:37], v[36:37], -v[166:167]
	ds_read2_b64 v[166:169], v1 offset0:66 offset1:67
	s_waitcnt lgkmcnt(0)
	v_mul_f64 v[70:71], v[168:169], v[72:73]
	v_fma_f64 v[70:71], v[166:167], v[174:175], -v[70:71]
	v_mul_f64 v[166:167], v[166:167], v[72:73]
	v_add_f64 v[30:31], v[30:31], -v[70:71]
	v_fma_f64 v[166:167], v[168:169], v[174:175], v[166:167]
	v_add_f64 v[32:33], v[32:33], -v[166:167]
	ds_read2_b64 v[166:169], v1 offset0:68 offset1:69
	s_waitcnt lgkmcnt(0)
	v_mul_f64 v[70:71], v[168:169], v[72:73]
	v_fma_f64 v[70:71], v[166:167], v[174:175], -v[70:71]
	v_mul_f64 v[166:167], v[166:167], v[72:73]
	v_add_f64 v[26:27], v[26:27], -v[70:71]
	v_fma_f64 v[166:167], v[168:169], v[174:175], v[166:167]
	v_add_f64 v[28:29], v[28:29], -v[166:167]
	ds_read2_b64 v[166:169], v1 offset0:70 offset1:71
	s_waitcnt lgkmcnt(0)
	v_mul_f64 v[70:71], v[168:169], v[72:73]
	v_fma_f64 v[70:71], v[166:167], v[174:175], -v[70:71]
	v_mul_f64 v[166:167], v[166:167], v[72:73]
	v_add_f64 v[22:23], v[22:23], -v[70:71]
	v_fma_f64 v[166:167], v[168:169], v[174:175], v[166:167]
	v_add_f64 v[24:25], v[24:25], -v[166:167]
	ds_read2_b64 v[166:169], v1 offset0:72 offset1:73
	s_waitcnt lgkmcnt(0)
	v_mul_f64 v[70:71], v[168:169], v[72:73]
	v_fma_f64 v[70:71], v[166:167], v[174:175], -v[70:71]
	v_mul_f64 v[166:167], v[166:167], v[72:73]
	v_add_f64 v[18:19], v[18:19], -v[70:71]
	v_fma_f64 v[166:167], v[168:169], v[174:175], v[166:167]
	v_add_f64 v[20:21], v[20:21], -v[166:167]
	ds_read2_b64 v[166:169], v1 offset0:74 offset1:75
	s_waitcnt lgkmcnt(0)
	v_mul_f64 v[70:71], v[168:169], v[72:73]
	v_fma_f64 v[70:71], v[166:167], v[174:175], -v[70:71]
	v_mul_f64 v[166:167], v[166:167], v[72:73]
	v_add_f64 v[14:15], v[14:15], -v[70:71]
	v_fma_f64 v[166:167], v[168:169], v[174:175], v[166:167]
	v_add_f64 v[16:17], v[16:17], -v[166:167]
	ds_read2_b64 v[166:169], v1 offset0:76 offset1:77
	s_waitcnt lgkmcnt(0)
	v_mul_f64 v[70:71], v[168:169], v[72:73]
	v_fma_f64 v[70:71], v[166:167], v[174:175], -v[70:71]
	v_mul_f64 v[166:167], v[166:167], v[72:73]
	v_add_f64 v[10:11], v[10:11], -v[70:71]
	v_fma_f64 v[166:167], v[168:169], v[174:175], v[166:167]
	v_add_f64 v[12:13], v[12:13], -v[166:167]
	ds_read2_b64 v[166:169], v1 offset0:78 offset1:79
	s_waitcnt lgkmcnt(0)
	v_mul_f64 v[70:71], v[168:169], v[72:73]
	v_fma_f64 v[70:71], v[166:167], v[174:175], -v[70:71]
	v_mul_f64 v[166:167], v[166:167], v[72:73]
	v_add_f64 v[6:7], v[6:7], -v[70:71]
	v_fma_f64 v[166:167], v[168:169], v[174:175], v[166:167]
	v_add_f64 v[8:9], v[8:9], -v[166:167]
	ds_read2_b64 v[166:169], v1 offset0:80 offset1:81
	s_waitcnt lgkmcnt(0)
	v_mul_f64 v[70:71], v[168:169], v[72:73]
	v_fma_f64 v[70:71], v[166:167], v[174:175], -v[70:71]
	v_mul_f64 v[166:167], v[166:167], v[72:73]
	v_add_f64 v[2:3], v[2:3], -v[70:71]
	v_fma_f64 v[166:167], v[168:169], v[174:175], v[166:167]
	v_mov_b32_e32 v70, v174
	v_mov_b32_e32 v71, v175
	v_add_f64 v[4:5], v[4:5], -v[166:167]
.LBB80_503:
	s_or_b32 exec_lo, exec_lo, s0
	v_lshl_add_u32 v166, v180, 4, v1
	s_barrier
	buffer_gl0_inv
	v_mov_b32_e32 v174, 24
	ds_write2_b64 v166, v[66:67], v[68:69] offset1:1
	s_waitcnt lgkmcnt(0)
	s_barrier
	buffer_gl0_inv
	ds_read2_b64 v[166:169], v1 offset0:48 offset1:49
	s_cmp_lt_i32 s18, 26
	s_cbranch_scc1 .LBB80_506
; %bb.504:
	v_add3_u32 v175, v176, 0, 0x190
	v_mov_b32_e32 v174, 24
	s_mov_b32 s1, 25
	s_inst_prefetch 0x1
	.p2align	6
.LBB80_505:                             ; =>This Inner Loop Header: Depth=1
	s_waitcnt lgkmcnt(0)
	v_cmp_gt_f64_e32 vcc_lo, 0, v[168:169]
	v_cmp_gt_f64_e64 s0, 0, v[166:167]
	ds_read2_b64 v[181:184], v175 offset1:1
	v_xor_b32_e32 v186, 0x80000000, v167
	v_xor_b32_e32 v188, 0x80000000, v169
	v_mov_b32_e32 v185, v166
	v_mov_b32_e32 v187, v168
	v_add_nc_u32_e32 v175, 16, v175
	s_waitcnt lgkmcnt(0)
	v_xor_b32_e32 v190, 0x80000000, v184
	v_cndmask_b32_e64 v186, v167, v186, s0
	v_cndmask_b32_e32 v188, v169, v188, vcc_lo
	v_cmp_gt_f64_e32 vcc_lo, 0, v[183:184]
	v_cmp_gt_f64_e64 s0, 0, v[181:182]
	v_mov_b32_e32 v189, v183
	v_add_f64 v[185:186], v[185:186], v[187:188]
	v_xor_b32_e32 v188, 0x80000000, v182
	v_mov_b32_e32 v187, v181
	v_cndmask_b32_e32 v190, v184, v190, vcc_lo
	v_cndmask_b32_e64 v188, v182, v188, s0
	v_add_f64 v[187:188], v[187:188], v[189:190]
	v_cmp_lt_f64_e32 vcc_lo, v[185:186], v[187:188]
	v_cndmask_b32_e32 v167, v167, v182, vcc_lo
	v_cndmask_b32_e32 v166, v166, v181, vcc_lo
	;; [unrolled: 1-line block ×4, first 2 shown]
	v_cndmask_b32_e64 v174, v174, s1, vcc_lo
	s_add_i32 s1, s1, 1
	s_cmp_lg_u32 s18, s1
	s_cbranch_scc1 .LBB80_505
.LBB80_506:
	s_inst_prefetch 0x2
	s_waitcnt lgkmcnt(0)
	v_cmp_eq_f64_e32 vcc_lo, 0, v[166:167]
	v_cmp_eq_f64_e64 s0, 0, v[168:169]
	s_and_b32 s0, vcc_lo, s0
	s_and_saveexec_b32 s1, s0
	s_xor_b32 s0, exec_lo, s1
; %bb.507:
	v_cmp_ne_u32_e32 vcc_lo, 0, v179
	v_cndmask_b32_e32 v179, 25, v179, vcc_lo
; %bb.508:
	s_andn2_saveexec_b32 s0, s0
	s_cbranch_execz .LBB80_514
; %bb.509:
	v_cmp_ngt_f64_e64 s1, |v[166:167]|, |v[168:169]|
	s_and_saveexec_b32 s2, s1
	s_xor_b32 s1, exec_lo, s2
	s_cbranch_execz .LBB80_511
; %bb.510:
	v_div_scale_f64 v[181:182], null, v[168:169], v[168:169], v[166:167]
	v_div_scale_f64 v[187:188], vcc_lo, v[166:167], v[168:169], v[166:167]
	v_rcp_f64_e32 v[183:184], v[181:182]
	v_fma_f64 v[185:186], -v[181:182], v[183:184], 1.0
	v_fma_f64 v[183:184], v[183:184], v[185:186], v[183:184]
	v_fma_f64 v[185:186], -v[181:182], v[183:184], 1.0
	v_fma_f64 v[183:184], v[183:184], v[185:186], v[183:184]
	v_mul_f64 v[185:186], v[187:188], v[183:184]
	v_fma_f64 v[181:182], -v[181:182], v[185:186], v[187:188]
	v_div_fmas_f64 v[181:182], v[181:182], v[183:184], v[185:186]
	v_div_fixup_f64 v[181:182], v[181:182], v[168:169], v[166:167]
	v_fma_f64 v[166:167], v[166:167], v[181:182], v[168:169]
	v_div_scale_f64 v[168:169], null, v[166:167], v[166:167], 1.0
	v_rcp_f64_e32 v[183:184], v[168:169]
	v_fma_f64 v[185:186], -v[168:169], v[183:184], 1.0
	v_fma_f64 v[183:184], v[183:184], v[185:186], v[183:184]
	v_fma_f64 v[185:186], -v[168:169], v[183:184], 1.0
	v_fma_f64 v[183:184], v[183:184], v[185:186], v[183:184]
	v_div_scale_f64 v[185:186], vcc_lo, 1.0, v[166:167], 1.0
	v_mul_f64 v[187:188], v[185:186], v[183:184]
	v_fma_f64 v[168:169], -v[168:169], v[187:188], v[185:186]
	v_div_fmas_f64 v[168:169], v[168:169], v[183:184], v[187:188]
	v_div_fixup_f64 v[168:169], v[168:169], v[166:167], 1.0
	v_mul_f64 v[166:167], v[181:182], v[168:169]
	v_xor_b32_e32 v169, 0x80000000, v169
.LBB80_511:
	s_andn2_saveexec_b32 s1, s1
	s_cbranch_execz .LBB80_513
; %bb.512:
	v_div_scale_f64 v[181:182], null, v[166:167], v[166:167], v[168:169]
	v_div_scale_f64 v[187:188], vcc_lo, v[168:169], v[166:167], v[168:169]
	v_rcp_f64_e32 v[183:184], v[181:182]
	v_fma_f64 v[185:186], -v[181:182], v[183:184], 1.0
	v_fma_f64 v[183:184], v[183:184], v[185:186], v[183:184]
	v_fma_f64 v[185:186], -v[181:182], v[183:184], 1.0
	v_fma_f64 v[183:184], v[183:184], v[185:186], v[183:184]
	v_mul_f64 v[185:186], v[187:188], v[183:184]
	v_fma_f64 v[181:182], -v[181:182], v[185:186], v[187:188]
	v_div_fmas_f64 v[181:182], v[181:182], v[183:184], v[185:186]
	v_div_fixup_f64 v[181:182], v[181:182], v[166:167], v[168:169]
	v_fma_f64 v[166:167], v[168:169], v[181:182], v[166:167]
	v_div_scale_f64 v[168:169], null, v[166:167], v[166:167], 1.0
	v_rcp_f64_e32 v[183:184], v[168:169]
	v_fma_f64 v[185:186], -v[168:169], v[183:184], 1.0
	v_fma_f64 v[183:184], v[183:184], v[185:186], v[183:184]
	v_fma_f64 v[185:186], -v[168:169], v[183:184], 1.0
	v_fma_f64 v[183:184], v[183:184], v[185:186], v[183:184]
	v_div_scale_f64 v[185:186], vcc_lo, 1.0, v[166:167], 1.0
	v_mul_f64 v[187:188], v[185:186], v[183:184]
	v_fma_f64 v[168:169], -v[168:169], v[187:188], v[185:186]
	v_div_fmas_f64 v[168:169], v[168:169], v[183:184], v[187:188]
	v_div_fixup_f64 v[166:167], v[168:169], v[166:167], 1.0
	v_mul_f64 v[168:169], v[181:182], -v[166:167]
.LBB80_513:
	s_or_b32 exec_lo, exec_lo, s1
.LBB80_514:
	s_or_b32 exec_lo, exec_lo, s0
	s_mov_b32 s0, exec_lo
	v_cmpx_ne_u32_e64 v180, v174
	s_xor_b32 s0, exec_lo, s0
	s_cbranch_execz .LBB80_520
; %bb.515:
	s_mov_b32 s1, exec_lo
	v_cmpx_eq_u32_e32 24, v180
	s_cbranch_execz .LBB80_519
; %bb.516:
	v_cmp_ne_u32_e32 vcc_lo, 24, v174
	s_xor_b32 s2, s16, -1
	s_and_b32 s3, s2, vcc_lo
	s_and_saveexec_b32 s2, s3
	s_cbranch_execz .LBB80_518
; %bb.517:
	v_ashrrev_i32_e32 v175, 31, v174
	v_lshlrev_b64 v[180:181], 2, v[174:175]
	v_add_co_u32 v180, vcc_lo, v172, v180
	v_add_co_ci_u32_e64 v181, null, v173, v181, vcc_lo
	s_clause 0x1
	global_load_dword v0, v[180:181], off
	global_load_dword v175, v[172:173], off offset:96
	s_waitcnt vmcnt(1)
	global_store_dword v[172:173], v0, off offset:96
	s_waitcnt vmcnt(0)
	global_store_dword v[180:181], v175, off
.LBB80_518:
	s_or_b32 exec_lo, exec_lo, s2
	v_mov_b32_e32 v180, v174
	v_mov_b32_e32 v0, v174
.LBB80_519:
	s_or_b32 exec_lo, exec_lo, s1
.LBB80_520:
	s_andn2_saveexec_b32 s0, s0
	s_cbranch_execz .LBB80_522
; %bb.521:
	v_mov_b32_e32 v180, 24
	ds_write2_b64 v1, v[62:63], v[64:65] offset0:50 offset1:51
	ds_write2_b64 v1, v[58:59], v[60:61] offset0:52 offset1:53
	;; [unrolled: 1-line block ×16, first 2 shown]
.LBB80_522:
	s_or_b32 exec_lo, exec_lo, s0
	s_mov_b32 s0, exec_lo
	s_waitcnt lgkmcnt(0)
	s_waitcnt_vscnt null, 0x0
	s_barrier
	buffer_gl0_inv
	v_cmpx_lt_i32_e32 24, v180
	s_cbranch_execz .LBB80_524
; %bb.523:
	v_mul_f64 v[174:175], v[166:167], v[68:69]
	v_mul_f64 v[68:69], v[168:169], v[68:69]
	v_fma_f64 v[174:175], v[168:169], v[66:67], v[174:175]
	v_fma_f64 v[66:67], v[166:167], v[66:67], -v[68:69]
	ds_read2_b64 v[166:169], v1 offset0:50 offset1:51
	s_waitcnt lgkmcnt(0)
	v_mul_f64 v[68:69], v[168:169], v[174:175]
	v_fma_f64 v[68:69], v[166:167], v[66:67], -v[68:69]
	v_mul_f64 v[166:167], v[166:167], v[174:175]
	v_add_f64 v[62:63], v[62:63], -v[68:69]
	v_fma_f64 v[166:167], v[168:169], v[66:67], v[166:167]
	v_add_f64 v[64:65], v[64:65], -v[166:167]
	ds_read2_b64 v[166:169], v1 offset0:52 offset1:53
	s_waitcnt lgkmcnt(0)
	v_mul_f64 v[68:69], v[168:169], v[174:175]
	v_fma_f64 v[68:69], v[166:167], v[66:67], -v[68:69]
	v_mul_f64 v[166:167], v[166:167], v[174:175]
	v_add_f64 v[58:59], v[58:59], -v[68:69]
	v_fma_f64 v[166:167], v[168:169], v[66:67], v[166:167]
	v_add_f64 v[60:61], v[60:61], -v[166:167]
	ds_read2_b64 v[166:169], v1 offset0:54 offset1:55
	s_waitcnt lgkmcnt(0)
	v_mul_f64 v[68:69], v[168:169], v[174:175]
	v_fma_f64 v[68:69], v[166:167], v[66:67], -v[68:69]
	v_mul_f64 v[166:167], v[166:167], v[174:175]
	v_add_f64 v[54:55], v[54:55], -v[68:69]
	v_fma_f64 v[166:167], v[168:169], v[66:67], v[166:167]
	v_add_f64 v[56:57], v[56:57], -v[166:167]
	ds_read2_b64 v[166:169], v1 offset0:56 offset1:57
	s_waitcnt lgkmcnt(0)
	v_mul_f64 v[68:69], v[168:169], v[174:175]
	v_fma_f64 v[68:69], v[166:167], v[66:67], -v[68:69]
	v_mul_f64 v[166:167], v[166:167], v[174:175]
	v_add_f64 v[50:51], v[50:51], -v[68:69]
	v_fma_f64 v[166:167], v[168:169], v[66:67], v[166:167]
	v_add_f64 v[52:53], v[52:53], -v[166:167]
	ds_read2_b64 v[166:169], v1 offset0:58 offset1:59
	s_waitcnt lgkmcnt(0)
	v_mul_f64 v[68:69], v[168:169], v[174:175]
	v_fma_f64 v[68:69], v[166:167], v[66:67], -v[68:69]
	v_mul_f64 v[166:167], v[166:167], v[174:175]
	v_add_f64 v[46:47], v[46:47], -v[68:69]
	v_fma_f64 v[166:167], v[168:169], v[66:67], v[166:167]
	v_add_f64 v[48:49], v[48:49], -v[166:167]
	ds_read2_b64 v[166:169], v1 offset0:60 offset1:61
	s_waitcnt lgkmcnt(0)
	v_mul_f64 v[68:69], v[168:169], v[174:175]
	v_fma_f64 v[68:69], v[166:167], v[66:67], -v[68:69]
	v_mul_f64 v[166:167], v[166:167], v[174:175]
	v_add_f64 v[42:43], v[42:43], -v[68:69]
	v_fma_f64 v[166:167], v[168:169], v[66:67], v[166:167]
	v_add_f64 v[44:45], v[44:45], -v[166:167]
	ds_read2_b64 v[166:169], v1 offset0:62 offset1:63
	s_waitcnt lgkmcnt(0)
	v_mul_f64 v[68:69], v[168:169], v[174:175]
	v_fma_f64 v[68:69], v[166:167], v[66:67], -v[68:69]
	v_mul_f64 v[166:167], v[166:167], v[174:175]
	v_add_f64 v[38:39], v[38:39], -v[68:69]
	v_fma_f64 v[166:167], v[168:169], v[66:67], v[166:167]
	v_add_f64 v[40:41], v[40:41], -v[166:167]
	ds_read2_b64 v[166:169], v1 offset0:64 offset1:65
	s_waitcnt lgkmcnt(0)
	v_mul_f64 v[68:69], v[168:169], v[174:175]
	v_fma_f64 v[68:69], v[166:167], v[66:67], -v[68:69]
	v_mul_f64 v[166:167], v[166:167], v[174:175]
	v_add_f64 v[34:35], v[34:35], -v[68:69]
	v_fma_f64 v[166:167], v[168:169], v[66:67], v[166:167]
	v_add_f64 v[36:37], v[36:37], -v[166:167]
	ds_read2_b64 v[166:169], v1 offset0:66 offset1:67
	s_waitcnt lgkmcnt(0)
	v_mul_f64 v[68:69], v[168:169], v[174:175]
	v_fma_f64 v[68:69], v[166:167], v[66:67], -v[68:69]
	v_mul_f64 v[166:167], v[166:167], v[174:175]
	v_add_f64 v[30:31], v[30:31], -v[68:69]
	v_fma_f64 v[166:167], v[168:169], v[66:67], v[166:167]
	v_add_f64 v[32:33], v[32:33], -v[166:167]
	ds_read2_b64 v[166:169], v1 offset0:68 offset1:69
	s_waitcnt lgkmcnt(0)
	v_mul_f64 v[68:69], v[168:169], v[174:175]
	v_fma_f64 v[68:69], v[166:167], v[66:67], -v[68:69]
	v_mul_f64 v[166:167], v[166:167], v[174:175]
	v_add_f64 v[26:27], v[26:27], -v[68:69]
	v_fma_f64 v[166:167], v[168:169], v[66:67], v[166:167]
	v_add_f64 v[28:29], v[28:29], -v[166:167]
	ds_read2_b64 v[166:169], v1 offset0:70 offset1:71
	s_waitcnt lgkmcnt(0)
	v_mul_f64 v[68:69], v[168:169], v[174:175]
	v_fma_f64 v[68:69], v[166:167], v[66:67], -v[68:69]
	v_mul_f64 v[166:167], v[166:167], v[174:175]
	v_add_f64 v[22:23], v[22:23], -v[68:69]
	v_fma_f64 v[166:167], v[168:169], v[66:67], v[166:167]
	v_add_f64 v[24:25], v[24:25], -v[166:167]
	ds_read2_b64 v[166:169], v1 offset0:72 offset1:73
	s_waitcnt lgkmcnt(0)
	v_mul_f64 v[68:69], v[168:169], v[174:175]
	v_fma_f64 v[68:69], v[166:167], v[66:67], -v[68:69]
	v_mul_f64 v[166:167], v[166:167], v[174:175]
	v_add_f64 v[18:19], v[18:19], -v[68:69]
	v_fma_f64 v[166:167], v[168:169], v[66:67], v[166:167]
	v_add_f64 v[20:21], v[20:21], -v[166:167]
	ds_read2_b64 v[166:169], v1 offset0:74 offset1:75
	s_waitcnt lgkmcnt(0)
	v_mul_f64 v[68:69], v[168:169], v[174:175]
	v_fma_f64 v[68:69], v[166:167], v[66:67], -v[68:69]
	v_mul_f64 v[166:167], v[166:167], v[174:175]
	v_add_f64 v[14:15], v[14:15], -v[68:69]
	v_fma_f64 v[166:167], v[168:169], v[66:67], v[166:167]
	v_add_f64 v[16:17], v[16:17], -v[166:167]
	ds_read2_b64 v[166:169], v1 offset0:76 offset1:77
	s_waitcnt lgkmcnt(0)
	v_mul_f64 v[68:69], v[168:169], v[174:175]
	v_fma_f64 v[68:69], v[166:167], v[66:67], -v[68:69]
	v_mul_f64 v[166:167], v[166:167], v[174:175]
	v_add_f64 v[10:11], v[10:11], -v[68:69]
	v_fma_f64 v[166:167], v[168:169], v[66:67], v[166:167]
	v_add_f64 v[12:13], v[12:13], -v[166:167]
	ds_read2_b64 v[166:169], v1 offset0:78 offset1:79
	s_waitcnt lgkmcnt(0)
	v_mul_f64 v[68:69], v[168:169], v[174:175]
	v_fma_f64 v[68:69], v[166:167], v[66:67], -v[68:69]
	v_mul_f64 v[166:167], v[166:167], v[174:175]
	v_add_f64 v[6:7], v[6:7], -v[68:69]
	v_fma_f64 v[166:167], v[168:169], v[66:67], v[166:167]
	v_add_f64 v[8:9], v[8:9], -v[166:167]
	ds_read2_b64 v[166:169], v1 offset0:80 offset1:81
	s_waitcnt lgkmcnt(0)
	v_mul_f64 v[68:69], v[168:169], v[174:175]
	v_fma_f64 v[68:69], v[166:167], v[66:67], -v[68:69]
	v_mul_f64 v[166:167], v[166:167], v[174:175]
	v_add_f64 v[2:3], v[2:3], -v[68:69]
	v_fma_f64 v[166:167], v[168:169], v[66:67], v[166:167]
	v_mov_b32_e32 v68, v174
	v_mov_b32_e32 v69, v175
	v_add_f64 v[4:5], v[4:5], -v[166:167]
.LBB80_524:
	s_or_b32 exec_lo, exec_lo, s0
	v_lshl_add_u32 v166, v180, 4, v1
	s_barrier
	buffer_gl0_inv
	v_mov_b32_e32 v174, 25
	ds_write2_b64 v166, v[62:63], v[64:65] offset1:1
	s_waitcnt lgkmcnt(0)
	s_barrier
	buffer_gl0_inv
	ds_read2_b64 v[166:169], v1 offset0:50 offset1:51
	s_cmp_lt_i32 s18, 27
	s_cbranch_scc1 .LBB80_527
; %bb.525:
	v_add3_u32 v175, v176, 0, 0x1a0
	v_mov_b32_e32 v174, 25
	s_mov_b32 s1, 26
	s_inst_prefetch 0x1
	.p2align	6
.LBB80_526:                             ; =>This Inner Loop Header: Depth=1
	s_waitcnt lgkmcnt(0)
	v_cmp_gt_f64_e32 vcc_lo, 0, v[168:169]
	v_cmp_gt_f64_e64 s0, 0, v[166:167]
	ds_read2_b64 v[181:184], v175 offset1:1
	v_xor_b32_e32 v186, 0x80000000, v167
	v_xor_b32_e32 v188, 0x80000000, v169
	v_mov_b32_e32 v185, v166
	v_mov_b32_e32 v187, v168
	v_add_nc_u32_e32 v175, 16, v175
	s_waitcnt lgkmcnt(0)
	v_xor_b32_e32 v190, 0x80000000, v184
	v_cndmask_b32_e64 v186, v167, v186, s0
	v_cndmask_b32_e32 v188, v169, v188, vcc_lo
	v_cmp_gt_f64_e32 vcc_lo, 0, v[183:184]
	v_cmp_gt_f64_e64 s0, 0, v[181:182]
	v_mov_b32_e32 v189, v183
	v_add_f64 v[185:186], v[185:186], v[187:188]
	v_xor_b32_e32 v188, 0x80000000, v182
	v_mov_b32_e32 v187, v181
	v_cndmask_b32_e32 v190, v184, v190, vcc_lo
	v_cndmask_b32_e64 v188, v182, v188, s0
	v_add_f64 v[187:188], v[187:188], v[189:190]
	v_cmp_lt_f64_e32 vcc_lo, v[185:186], v[187:188]
	v_cndmask_b32_e32 v167, v167, v182, vcc_lo
	v_cndmask_b32_e32 v166, v166, v181, vcc_lo
	;; [unrolled: 1-line block ×4, first 2 shown]
	v_cndmask_b32_e64 v174, v174, s1, vcc_lo
	s_add_i32 s1, s1, 1
	s_cmp_lg_u32 s18, s1
	s_cbranch_scc1 .LBB80_526
.LBB80_527:
	s_inst_prefetch 0x2
	s_waitcnt lgkmcnt(0)
	v_cmp_eq_f64_e32 vcc_lo, 0, v[166:167]
	v_cmp_eq_f64_e64 s0, 0, v[168:169]
	s_and_b32 s0, vcc_lo, s0
	s_and_saveexec_b32 s1, s0
	s_xor_b32 s0, exec_lo, s1
; %bb.528:
	v_cmp_ne_u32_e32 vcc_lo, 0, v179
	v_cndmask_b32_e32 v179, 26, v179, vcc_lo
; %bb.529:
	s_andn2_saveexec_b32 s0, s0
	s_cbranch_execz .LBB80_535
; %bb.530:
	v_cmp_ngt_f64_e64 s1, |v[166:167]|, |v[168:169]|
	s_and_saveexec_b32 s2, s1
	s_xor_b32 s1, exec_lo, s2
	s_cbranch_execz .LBB80_532
; %bb.531:
	v_div_scale_f64 v[181:182], null, v[168:169], v[168:169], v[166:167]
	v_div_scale_f64 v[187:188], vcc_lo, v[166:167], v[168:169], v[166:167]
	v_rcp_f64_e32 v[183:184], v[181:182]
	v_fma_f64 v[185:186], -v[181:182], v[183:184], 1.0
	v_fma_f64 v[183:184], v[183:184], v[185:186], v[183:184]
	v_fma_f64 v[185:186], -v[181:182], v[183:184], 1.0
	v_fma_f64 v[183:184], v[183:184], v[185:186], v[183:184]
	v_mul_f64 v[185:186], v[187:188], v[183:184]
	v_fma_f64 v[181:182], -v[181:182], v[185:186], v[187:188]
	v_div_fmas_f64 v[181:182], v[181:182], v[183:184], v[185:186]
	v_div_fixup_f64 v[181:182], v[181:182], v[168:169], v[166:167]
	v_fma_f64 v[166:167], v[166:167], v[181:182], v[168:169]
	v_div_scale_f64 v[168:169], null, v[166:167], v[166:167], 1.0
	v_rcp_f64_e32 v[183:184], v[168:169]
	v_fma_f64 v[185:186], -v[168:169], v[183:184], 1.0
	v_fma_f64 v[183:184], v[183:184], v[185:186], v[183:184]
	v_fma_f64 v[185:186], -v[168:169], v[183:184], 1.0
	v_fma_f64 v[183:184], v[183:184], v[185:186], v[183:184]
	v_div_scale_f64 v[185:186], vcc_lo, 1.0, v[166:167], 1.0
	v_mul_f64 v[187:188], v[185:186], v[183:184]
	v_fma_f64 v[168:169], -v[168:169], v[187:188], v[185:186]
	v_div_fmas_f64 v[168:169], v[168:169], v[183:184], v[187:188]
	v_div_fixup_f64 v[168:169], v[168:169], v[166:167], 1.0
	v_mul_f64 v[166:167], v[181:182], v[168:169]
	v_xor_b32_e32 v169, 0x80000000, v169
.LBB80_532:
	s_andn2_saveexec_b32 s1, s1
	s_cbranch_execz .LBB80_534
; %bb.533:
	v_div_scale_f64 v[181:182], null, v[166:167], v[166:167], v[168:169]
	v_div_scale_f64 v[187:188], vcc_lo, v[168:169], v[166:167], v[168:169]
	v_rcp_f64_e32 v[183:184], v[181:182]
	v_fma_f64 v[185:186], -v[181:182], v[183:184], 1.0
	v_fma_f64 v[183:184], v[183:184], v[185:186], v[183:184]
	v_fma_f64 v[185:186], -v[181:182], v[183:184], 1.0
	v_fma_f64 v[183:184], v[183:184], v[185:186], v[183:184]
	v_mul_f64 v[185:186], v[187:188], v[183:184]
	v_fma_f64 v[181:182], -v[181:182], v[185:186], v[187:188]
	v_div_fmas_f64 v[181:182], v[181:182], v[183:184], v[185:186]
	v_div_fixup_f64 v[181:182], v[181:182], v[166:167], v[168:169]
	v_fma_f64 v[166:167], v[168:169], v[181:182], v[166:167]
	v_div_scale_f64 v[168:169], null, v[166:167], v[166:167], 1.0
	v_rcp_f64_e32 v[183:184], v[168:169]
	v_fma_f64 v[185:186], -v[168:169], v[183:184], 1.0
	v_fma_f64 v[183:184], v[183:184], v[185:186], v[183:184]
	v_fma_f64 v[185:186], -v[168:169], v[183:184], 1.0
	v_fma_f64 v[183:184], v[183:184], v[185:186], v[183:184]
	v_div_scale_f64 v[185:186], vcc_lo, 1.0, v[166:167], 1.0
	v_mul_f64 v[187:188], v[185:186], v[183:184]
	v_fma_f64 v[168:169], -v[168:169], v[187:188], v[185:186]
	v_div_fmas_f64 v[168:169], v[168:169], v[183:184], v[187:188]
	v_div_fixup_f64 v[166:167], v[168:169], v[166:167], 1.0
	v_mul_f64 v[168:169], v[181:182], -v[166:167]
.LBB80_534:
	s_or_b32 exec_lo, exec_lo, s1
.LBB80_535:
	s_or_b32 exec_lo, exec_lo, s0
	s_mov_b32 s0, exec_lo
	v_cmpx_ne_u32_e64 v180, v174
	s_xor_b32 s0, exec_lo, s0
	s_cbranch_execz .LBB80_541
; %bb.536:
	s_mov_b32 s1, exec_lo
	v_cmpx_eq_u32_e32 25, v180
	s_cbranch_execz .LBB80_540
; %bb.537:
	v_cmp_ne_u32_e32 vcc_lo, 25, v174
	s_xor_b32 s2, s16, -1
	s_and_b32 s3, s2, vcc_lo
	s_and_saveexec_b32 s2, s3
	s_cbranch_execz .LBB80_539
; %bb.538:
	v_ashrrev_i32_e32 v175, 31, v174
	v_lshlrev_b64 v[180:181], 2, v[174:175]
	v_add_co_u32 v180, vcc_lo, v172, v180
	v_add_co_ci_u32_e64 v181, null, v173, v181, vcc_lo
	s_clause 0x1
	global_load_dword v0, v[180:181], off
	global_load_dword v175, v[172:173], off offset:100
	s_waitcnt vmcnt(1)
	global_store_dword v[172:173], v0, off offset:100
	s_waitcnt vmcnt(0)
	global_store_dword v[180:181], v175, off
.LBB80_539:
	s_or_b32 exec_lo, exec_lo, s2
	v_mov_b32_e32 v180, v174
	v_mov_b32_e32 v0, v174
.LBB80_540:
	s_or_b32 exec_lo, exec_lo, s1
.LBB80_541:
	s_andn2_saveexec_b32 s0, s0
	s_cbranch_execz .LBB80_543
; %bb.542:
	v_mov_b32_e32 v180, 25
	ds_write2_b64 v1, v[58:59], v[60:61] offset0:52 offset1:53
	ds_write2_b64 v1, v[54:55], v[56:57] offset0:54 offset1:55
	;; [unrolled: 1-line block ×15, first 2 shown]
.LBB80_543:
	s_or_b32 exec_lo, exec_lo, s0
	s_mov_b32 s0, exec_lo
	s_waitcnt lgkmcnt(0)
	s_waitcnt_vscnt null, 0x0
	s_barrier
	buffer_gl0_inv
	v_cmpx_lt_i32_e32 25, v180
	s_cbranch_execz .LBB80_545
; %bb.544:
	v_mul_f64 v[174:175], v[166:167], v[64:65]
	v_mul_f64 v[64:65], v[168:169], v[64:65]
	v_fma_f64 v[174:175], v[168:169], v[62:63], v[174:175]
	v_fma_f64 v[62:63], v[166:167], v[62:63], -v[64:65]
	ds_read2_b64 v[166:169], v1 offset0:52 offset1:53
	s_waitcnt lgkmcnt(0)
	v_mul_f64 v[64:65], v[168:169], v[174:175]
	v_fma_f64 v[64:65], v[166:167], v[62:63], -v[64:65]
	v_mul_f64 v[166:167], v[166:167], v[174:175]
	v_add_f64 v[58:59], v[58:59], -v[64:65]
	v_fma_f64 v[166:167], v[168:169], v[62:63], v[166:167]
	v_add_f64 v[60:61], v[60:61], -v[166:167]
	ds_read2_b64 v[166:169], v1 offset0:54 offset1:55
	s_waitcnt lgkmcnt(0)
	v_mul_f64 v[64:65], v[168:169], v[174:175]
	v_fma_f64 v[64:65], v[166:167], v[62:63], -v[64:65]
	v_mul_f64 v[166:167], v[166:167], v[174:175]
	v_add_f64 v[54:55], v[54:55], -v[64:65]
	v_fma_f64 v[166:167], v[168:169], v[62:63], v[166:167]
	v_add_f64 v[56:57], v[56:57], -v[166:167]
	;; [unrolled: 8-line block ×14, first 2 shown]
	ds_read2_b64 v[166:169], v1 offset0:80 offset1:81
	s_waitcnt lgkmcnt(0)
	v_mul_f64 v[64:65], v[168:169], v[174:175]
	v_fma_f64 v[64:65], v[166:167], v[62:63], -v[64:65]
	v_mul_f64 v[166:167], v[166:167], v[174:175]
	v_add_f64 v[2:3], v[2:3], -v[64:65]
	v_fma_f64 v[166:167], v[168:169], v[62:63], v[166:167]
	v_mov_b32_e32 v64, v174
	v_mov_b32_e32 v65, v175
	v_add_f64 v[4:5], v[4:5], -v[166:167]
.LBB80_545:
	s_or_b32 exec_lo, exec_lo, s0
	v_lshl_add_u32 v166, v180, 4, v1
	s_barrier
	buffer_gl0_inv
	v_mov_b32_e32 v174, 26
	ds_write2_b64 v166, v[58:59], v[60:61] offset1:1
	s_waitcnt lgkmcnt(0)
	s_barrier
	buffer_gl0_inv
	ds_read2_b64 v[166:169], v1 offset0:52 offset1:53
	s_cmp_lt_i32 s18, 28
	s_cbranch_scc1 .LBB80_548
; %bb.546:
	v_add3_u32 v175, v176, 0, 0x1b0
	v_mov_b32_e32 v174, 26
	s_mov_b32 s1, 27
	s_inst_prefetch 0x1
	.p2align	6
.LBB80_547:                             ; =>This Inner Loop Header: Depth=1
	s_waitcnt lgkmcnt(0)
	v_cmp_gt_f64_e32 vcc_lo, 0, v[168:169]
	v_cmp_gt_f64_e64 s0, 0, v[166:167]
	ds_read2_b64 v[181:184], v175 offset1:1
	v_xor_b32_e32 v186, 0x80000000, v167
	v_xor_b32_e32 v188, 0x80000000, v169
	v_mov_b32_e32 v185, v166
	v_mov_b32_e32 v187, v168
	v_add_nc_u32_e32 v175, 16, v175
	s_waitcnt lgkmcnt(0)
	v_xor_b32_e32 v190, 0x80000000, v184
	v_cndmask_b32_e64 v186, v167, v186, s0
	v_cndmask_b32_e32 v188, v169, v188, vcc_lo
	v_cmp_gt_f64_e32 vcc_lo, 0, v[183:184]
	v_cmp_gt_f64_e64 s0, 0, v[181:182]
	v_mov_b32_e32 v189, v183
	v_add_f64 v[185:186], v[185:186], v[187:188]
	v_xor_b32_e32 v188, 0x80000000, v182
	v_mov_b32_e32 v187, v181
	v_cndmask_b32_e32 v190, v184, v190, vcc_lo
	v_cndmask_b32_e64 v188, v182, v188, s0
	v_add_f64 v[187:188], v[187:188], v[189:190]
	v_cmp_lt_f64_e32 vcc_lo, v[185:186], v[187:188]
	v_cndmask_b32_e32 v167, v167, v182, vcc_lo
	v_cndmask_b32_e32 v166, v166, v181, vcc_lo
	;; [unrolled: 1-line block ×4, first 2 shown]
	v_cndmask_b32_e64 v174, v174, s1, vcc_lo
	s_add_i32 s1, s1, 1
	s_cmp_lg_u32 s18, s1
	s_cbranch_scc1 .LBB80_547
.LBB80_548:
	s_inst_prefetch 0x2
	s_waitcnt lgkmcnt(0)
	v_cmp_eq_f64_e32 vcc_lo, 0, v[166:167]
	v_cmp_eq_f64_e64 s0, 0, v[168:169]
	s_and_b32 s0, vcc_lo, s0
	s_and_saveexec_b32 s1, s0
	s_xor_b32 s0, exec_lo, s1
; %bb.549:
	v_cmp_ne_u32_e32 vcc_lo, 0, v179
	v_cndmask_b32_e32 v179, 27, v179, vcc_lo
; %bb.550:
	s_andn2_saveexec_b32 s0, s0
	s_cbranch_execz .LBB80_556
; %bb.551:
	v_cmp_ngt_f64_e64 s1, |v[166:167]|, |v[168:169]|
	s_and_saveexec_b32 s2, s1
	s_xor_b32 s1, exec_lo, s2
	s_cbranch_execz .LBB80_553
; %bb.552:
	v_div_scale_f64 v[181:182], null, v[168:169], v[168:169], v[166:167]
	v_div_scale_f64 v[187:188], vcc_lo, v[166:167], v[168:169], v[166:167]
	v_rcp_f64_e32 v[183:184], v[181:182]
	v_fma_f64 v[185:186], -v[181:182], v[183:184], 1.0
	v_fma_f64 v[183:184], v[183:184], v[185:186], v[183:184]
	v_fma_f64 v[185:186], -v[181:182], v[183:184], 1.0
	v_fma_f64 v[183:184], v[183:184], v[185:186], v[183:184]
	v_mul_f64 v[185:186], v[187:188], v[183:184]
	v_fma_f64 v[181:182], -v[181:182], v[185:186], v[187:188]
	v_div_fmas_f64 v[181:182], v[181:182], v[183:184], v[185:186]
	v_div_fixup_f64 v[181:182], v[181:182], v[168:169], v[166:167]
	v_fma_f64 v[166:167], v[166:167], v[181:182], v[168:169]
	v_div_scale_f64 v[168:169], null, v[166:167], v[166:167], 1.0
	v_rcp_f64_e32 v[183:184], v[168:169]
	v_fma_f64 v[185:186], -v[168:169], v[183:184], 1.0
	v_fma_f64 v[183:184], v[183:184], v[185:186], v[183:184]
	v_fma_f64 v[185:186], -v[168:169], v[183:184], 1.0
	v_fma_f64 v[183:184], v[183:184], v[185:186], v[183:184]
	v_div_scale_f64 v[185:186], vcc_lo, 1.0, v[166:167], 1.0
	v_mul_f64 v[187:188], v[185:186], v[183:184]
	v_fma_f64 v[168:169], -v[168:169], v[187:188], v[185:186]
	v_div_fmas_f64 v[168:169], v[168:169], v[183:184], v[187:188]
	v_div_fixup_f64 v[168:169], v[168:169], v[166:167], 1.0
	v_mul_f64 v[166:167], v[181:182], v[168:169]
	v_xor_b32_e32 v169, 0x80000000, v169
.LBB80_553:
	s_andn2_saveexec_b32 s1, s1
	s_cbranch_execz .LBB80_555
; %bb.554:
	v_div_scale_f64 v[181:182], null, v[166:167], v[166:167], v[168:169]
	v_div_scale_f64 v[187:188], vcc_lo, v[168:169], v[166:167], v[168:169]
	v_rcp_f64_e32 v[183:184], v[181:182]
	v_fma_f64 v[185:186], -v[181:182], v[183:184], 1.0
	v_fma_f64 v[183:184], v[183:184], v[185:186], v[183:184]
	v_fma_f64 v[185:186], -v[181:182], v[183:184], 1.0
	v_fma_f64 v[183:184], v[183:184], v[185:186], v[183:184]
	v_mul_f64 v[185:186], v[187:188], v[183:184]
	v_fma_f64 v[181:182], -v[181:182], v[185:186], v[187:188]
	v_div_fmas_f64 v[181:182], v[181:182], v[183:184], v[185:186]
	v_div_fixup_f64 v[181:182], v[181:182], v[166:167], v[168:169]
	v_fma_f64 v[166:167], v[168:169], v[181:182], v[166:167]
	v_div_scale_f64 v[168:169], null, v[166:167], v[166:167], 1.0
	v_rcp_f64_e32 v[183:184], v[168:169]
	v_fma_f64 v[185:186], -v[168:169], v[183:184], 1.0
	v_fma_f64 v[183:184], v[183:184], v[185:186], v[183:184]
	v_fma_f64 v[185:186], -v[168:169], v[183:184], 1.0
	v_fma_f64 v[183:184], v[183:184], v[185:186], v[183:184]
	v_div_scale_f64 v[185:186], vcc_lo, 1.0, v[166:167], 1.0
	v_mul_f64 v[187:188], v[185:186], v[183:184]
	v_fma_f64 v[168:169], -v[168:169], v[187:188], v[185:186]
	v_div_fmas_f64 v[168:169], v[168:169], v[183:184], v[187:188]
	v_div_fixup_f64 v[166:167], v[168:169], v[166:167], 1.0
	v_mul_f64 v[168:169], v[181:182], -v[166:167]
.LBB80_555:
	s_or_b32 exec_lo, exec_lo, s1
.LBB80_556:
	s_or_b32 exec_lo, exec_lo, s0
	s_mov_b32 s0, exec_lo
	v_cmpx_ne_u32_e64 v180, v174
	s_xor_b32 s0, exec_lo, s0
	s_cbranch_execz .LBB80_562
; %bb.557:
	s_mov_b32 s1, exec_lo
	v_cmpx_eq_u32_e32 26, v180
	s_cbranch_execz .LBB80_561
; %bb.558:
	v_cmp_ne_u32_e32 vcc_lo, 26, v174
	s_xor_b32 s2, s16, -1
	s_and_b32 s3, s2, vcc_lo
	s_and_saveexec_b32 s2, s3
	s_cbranch_execz .LBB80_560
; %bb.559:
	v_ashrrev_i32_e32 v175, 31, v174
	v_lshlrev_b64 v[180:181], 2, v[174:175]
	v_add_co_u32 v180, vcc_lo, v172, v180
	v_add_co_ci_u32_e64 v181, null, v173, v181, vcc_lo
	s_clause 0x1
	global_load_dword v0, v[180:181], off
	global_load_dword v175, v[172:173], off offset:104
	s_waitcnt vmcnt(1)
	global_store_dword v[172:173], v0, off offset:104
	s_waitcnt vmcnt(0)
	global_store_dword v[180:181], v175, off
.LBB80_560:
	s_or_b32 exec_lo, exec_lo, s2
	v_mov_b32_e32 v180, v174
	v_mov_b32_e32 v0, v174
.LBB80_561:
	s_or_b32 exec_lo, exec_lo, s1
.LBB80_562:
	s_andn2_saveexec_b32 s0, s0
	s_cbranch_execz .LBB80_564
; %bb.563:
	v_mov_b32_e32 v180, 26
	ds_write2_b64 v1, v[54:55], v[56:57] offset0:54 offset1:55
	ds_write2_b64 v1, v[50:51], v[52:53] offset0:56 offset1:57
	;; [unrolled: 1-line block ×14, first 2 shown]
.LBB80_564:
	s_or_b32 exec_lo, exec_lo, s0
	s_mov_b32 s0, exec_lo
	s_waitcnt lgkmcnt(0)
	s_waitcnt_vscnt null, 0x0
	s_barrier
	buffer_gl0_inv
	v_cmpx_lt_i32_e32 26, v180
	s_cbranch_execz .LBB80_566
; %bb.565:
	v_mul_f64 v[174:175], v[166:167], v[60:61]
	v_mul_f64 v[60:61], v[168:169], v[60:61]
	v_fma_f64 v[174:175], v[168:169], v[58:59], v[174:175]
	v_fma_f64 v[58:59], v[166:167], v[58:59], -v[60:61]
	ds_read2_b64 v[166:169], v1 offset0:54 offset1:55
	s_waitcnt lgkmcnt(0)
	v_mul_f64 v[60:61], v[168:169], v[174:175]
	v_fma_f64 v[60:61], v[166:167], v[58:59], -v[60:61]
	v_mul_f64 v[166:167], v[166:167], v[174:175]
	v_add_f64 v[54:55], v[54:55], -v[60:61]
	v_fma_f64 v[166:167], v[168:169], v[58:59], v[166:167]
	v_add_f64 v[56:57], v[56:57], -v[166:167]
	ds_read2_b64 v[166:169], v1 offset0:56 offset1:57
	s_waitcnt lgkmcnt(0)
	v_mul_f64 v[60:61], v[168:169], v[174:175]
	v_fma_f64 v[60:61], v[166:167], v[58:59], -v[60:61]
	v_mul_f64 v[166:167], v[166:167], v[174:175]
	v_add_f64 v[50:51], v[50:51], -v[60:61]
	v_fma_f64 v[166:167], v[168:169], v[58:59], v[166:167]
	v_add_f64 v[52:53], v[52:53], -v[166:167]
	;; [unrolled: 8-line block ×13, first 2 shown]
	ds_read2_b64 v[166:169], v1 offset0:80 offset1:81
	s_waitcnt lgkmcnt(0)
	v_mul_f64 v[60:61], v[168:169], v[174:175]
	v_fma_f64 v[60:61], v[166:167], v[58:59], -v[60:61]
	v_mul_f64 v[166:167], v[166:167], v[174:175]
	v_add_f64 v[2:3], v[2:3], -v[60:61]
	v_fma_f64 v[166:167], v[168:169], v[58:59], v[166:167]
	v_mov_b32_e32 v60, v174
	v_mov_b32_e32 v61, v175
	v_add_f64 v[4:5], v[4:5], -v[166:167]
.LBB80_566:
	s_or_b32 exec_lo, exec_lo, s0
	v_lshl_add_u32 v166, v180, 4, v1
	s_barrier
	buffer_gl0_inv
	v_mov_b32_e32 v174, 27
	ds_write2_b64 v166, v[54:55], v[56:57] offset1:1
	s_waitcnt lgkmcnt(0)
	s_barrier
	buffer_gl0_inv
	ds_read2_b64 v[166:169], v1 offset0:54 offset1:55
	s_cmp_lt_i32 s18, 29
	s_cbranch_scc1 .LBB80_569
; %bb.567:
	v_add3_u32 v175, v176, 0, 0x1c0
	v_mov_b32_e32 v174, 27
	s_mov_b32 s1, 28
	s_inst_prefetch 0x1
	.p2align	6
.LBB80_568:                             ; =>This Inner Loop Header: Depth=1
	s_waitcnt lgkmcnt(0)
	v_cmp_gt_f64_e32 vcc_lo, 0, v[168:169]
	v_cmp_gt_f64_e64 s0, 0, v[166:167]
	ds_read2_b64 v[181:184], v175 offset1:1
	v_xor_b32_e32 v186, 0x80000000, v167
	v_xor_b32_e32 v188, 0x80000000, v169
	v_mov_b32_e32 v185, v166
	v_mov_b32_e32 v187, v168
	v_add_nc_u32_e32 v175, 16, v175
	s_waitcnt lgkmcnt(0)
	v_xor_b32_e32 v190, 0x80000000, v184
	v_cndmask_b32_e64 v186, v167, v186, s0
	v_cndmask_b32_e32 v188, v169, v188, vcc_lo
	v_cmp_gt_f64_e32 vcc_lo, 0, v[183:184]
	v_cmp_gt_f64_e64 s0, 0, v[181:182]
	v_mov_b32_e32 v189, v183
	v_add_f64 v[185:186], v[185:186], v[187:188]
	v_xor_b32_e32 v188, 0x80000000, v182
	v_mov_b32_e32 v187, v181
	v_cndmask_b32_e32 v190, v184, v190, vcc_lo
	v_cndmask_b32_e64 v188, v182, v188, s0
	v_add_f64 v[187:188], v[187:188], v[189:190]
	v_cmp_lt_f64_e32 vcc_lo, v[185:186], v[187:188]
	v_cndmask_b32_e32 v167, v167, v182, vcc_lo
	v_cndmask_b32_e32 v166, v166, v181, vcc_lo
	;; [unrolled: 1-line block ×4, first 2 shown]
	v_cndmask_b32_e64 v174, v174, s1, vcc_lo
	s_add_i32 s1, s1, 1
	s_cmp_lg_u32 s18, s1
	s_cbranch_scc1 .LBB80_568
.LBB80_569:
	s_inst_prefetch 0x2
	s_waitcnt lgkmcnt(0)
	v_cmp_eq_f64_e32 vcc_lo, 0, v[166:167]
	v_cmp_eq_f64_e64 s0, 0, v[168:169]
	s_and_b32 s0, vcc_lo, s0
	s_and_saveexec_b32 s1, s0
	s_xor_b32 s0, exec_lo, s1
; %bb.570:
	v_cmp_ne_u32_e32 vcc_lo, 0, v179
	v_cndmask_b32_e32 v179, 28, v179, vcc_lo
; %bb.571:
	s_andn2_saveexec_b32 s0, s0
	s_cbranch_execz .LBB80_577
; %bb.572:
	v_cmp_ngt_f64_e64 s1, |v[166:167]|, |v[168:169]|
	s_and_saveexec_b32 s2, s1
	s_xor_b32 s1, exec_lo, s2
	s_cbranch_execz .LBB80_574
; %bb.573:
	v_div_scale_f64 v[181:182], null, v[168:169], v[168:169], v[166:167]
	v_div_scale_f64 v[187:188], vcc_lo, v[166:167], v[168:169], v[166:167]
	v_rcp_f64_e32 v[183:184], v[181:182]
	v_fma_f64 v[185:186], -v[181:182], v[183:184], 1.0
	v_fma_f64 v[183:184], v[183:184], v[185:186], v[183:184]
	v_fma_f64 v[185:186], -v[181:182], v[183:184], 1.0
	v_fma_f64 v[183:184], v[183:184], v[185:186], v[183:184]
	v_mul_f64 v[185:186], v[187:188], v[183:184]
	v_fma_f64 v[181:182], -v[181:182], v[185:186], v[187:188]
	v_div_fmas_f64 v[181:182], v[181:182], v[183:184], v[185:186]
	v_div_fixup_f64 v[181:182], v[181:182], v[168:169], v[166:167]
	v_fma_f64 v[166:167], v[166:167], v[181:182], v[168:169]
	v_div_scale_f64 v[168:169], null, v[166:167], v[166:167], 1.0
	v_rcp_f64_e32 v[183:184], v[168:169]
	v_fma_f64 v[185:186], -v[168:169], v[183:184], 1.0
	v_fma_f64 v[183:184], v[183:184], v[185:186], v[183:184]
	v_fma_f64 v[185:186], -v[168:169], v[183:184], 1.0
	v_fma_f64 v[183:184], v[183:184], v[185:186], v[183:184]
	v_div_scale_f64 v[185:186], vcc_lo, 1.0, v[166:167], 1.0
	v_mul_f64 v[187:188], v[185:186], v[183:184]
	v_fma_f64 v[168:169], -v[168:169], v[187:188], v[185:186]
	v_div_fmas_f64 v[168:169], v[168:169], v[183:184], v[187:188]
	v_div_fixup_f64 v[168:169], v[168:169], v[166:167], 1.0
	v_mul_f64 v[166:167], v[181:182], v[168:169]
	v_xor_b32_e32 v169, 0x80000000, v169
.LBB80_574:
	s_andn2_saveexec_b32 s1, s1
	s_cbranch_execz .LBB80_576
; %bb.575:
	v_div_scale_f64 v[181:182], null, v[166:167], v[166:167], v[168:169]
	v_div_scale_f64 v[187:188], vcc_lo, v[168:169], v[166:167], v[168:169]
	v_rcp_f64_e32 v[183:184], v[181:182]
	v_fma_f64 v[185:186], -v[181:182], v[183:184], 1.0
	v_fma_f64 v[183:184], v[183:184], v[185:186], v[183:184]
	v_fma_f64 v[185:186], -v[181:182], v[183:184], 1.0
	v_fma_f64 v[183:184], v[183:184], v[185:186], v[183:184]
	v_mul_f64 v[185:186], v[187:188], v[183:184]
	v_fma_f64 v[181:182], -v[181:182], v[185:186], v[187:188]
	v_div_fmas_f64 v[181:182], v[181:182], v[183:184], v[185:186]
	v_div_fixup_f64 v[181:182], v[181:182], v[166:167], v[168:169]
	v_fma_f64 v[166:167], v[168:169], v[181:182], v[166:167]
	v_div_scale_f64 v[168:169], null, v[166:167], v[166:167], 1.0
	v_rcp_f64_e32 v[183:184], v[168:169]
	v_fma_f64 v[185:186], -v[168:169], v[183:184], 1.0
	v_fma_f64 v[183:184], v[183:184], v[185:186], v[183:184]
	v_fma_f64 v[185:186], -v[168:169], v[183:184], 1.0
	v_fma_f64 v[183:184], v[183:184], v[185:186], v[183:184]
	v_div_scale_f64 v[185:186], vcc_lo, 1.0, v[166:167], 1.0
	v_mul_f64 v[187:188], v[185:186], v[183:184]
	v_fma_f64 v[168:169], -v[168:169], v[187:188], v[185:186]
	v_div_fmas_f64 v[168:169], v[168:169], v[183:184], v[187:188]
	v_div_fixup_f64 v[166:167], v[168:169], v[166:167], 1.0
	v_mul_f64 v[168:169], v[181:182], -v[166:167]
.LBB80_576:
	s_or_b32 exec_lo, exec_lo, s1
.LBB80_577:
	s_or_b32 exec_lo, exec_lo, s0
	s_mov_b32 s0, exec_lo
	v_cmpx_ne_u32_e64 v180, v174
	s_xor_b32 s0, exec_lo, s0
	s_cbranch_execz .LBB80_583
; %bb.578:
	s_mov_b32 s1, exec_lo
	v_cmpx_eq_u32_e32 27, v180
	s_cbranch_execz .LBB80_582
; %bb.579:
	v_cmp_ne_u32_e32 vcc_lo, 27, v174
	s_xor_b32 s2, s16, -1
	s_and_b32 s3, s2, vcc_lo
	s_and_saveexec_b32 s2, s3
	s_cbranch_execz .LBB80_581
; %bb.580:
	v_ashrrev_i32_e32 v175, 31, v174
	v_lshlrev_b64 v[180:181], 2, v[174:175]
	v_add_co_u32 v180, vcc_lo, v172, v180
	v_add_co_ci_u32_e64 v181, null, v173, v181, vcc_lo
	s_clause 0x1
	global_load_dword v0, v[180:181], off
	global_load_dword v175, v[172:173], off offset:108
	s_waitcnt vmcnt(1)
	global_store_dword v[172:173], v0, off offset:108
	s_waitcnt vmcnt(0)
	global_store_dword v[180:181], v175, off
.LBB80_581:
	s_or_b32 exec_lo, exec_lo, s2
	v_mov_b32_e32 v180, v174
	v_mov_b32_e32 v0, v174
.LBB80_582:
	s_or_b32 exec_lo, exec_lo, s1
.LBB80_583:
	s_andn2_saveexec_b32 s0, s0
	s_cbranch_execz .LBB80_585
; %bb.584:
	v_mov_b32_e32 v180, 27
	ds_write2_b64 v1, v[50:51], v[52:53] offset0:56 offset1:57
	ds_write2_b64 v1, v[46:47], v[48:49] offset0:58 offset1:59
	;; [unrolled: 1-line block ×13, first 2 shown]
.LBB80_585:
	s_or_b32 exec_lo, exec_lo, s0
	s_mov_b32 s0, exec_lo
	s_waitcnt lgkmcnt(0)
	s_waitcnt_vscnt null, 0x0
	s_barrier
	buffer_gl0_inv
	v_cmpx_lt_i32_e32 27, v180
	s_cbranch_execz .LBB80_587
; %bb.586:
	v_mul_f64 v[174:175], v[166:167], v[56:57]
	v_mul_f64 v[56:57], v[168:169], v[56:57]
	v_fma_f64 v[174:175], v[168:169], v[54:55], v[174:175]
	v_fma_f64 v[54:55], v[166:167], v[54:55], -v[56:57]
	ds_read2_b64 v[166:169], v1 offset0:56 offset1:57
	s_waitcnt lgkmcnt(0)
	v_mul_f64 v[56:57], v[168:169], v[174:175]
	v_fma_f64 v[56:57], v[166:167], v[54:55], -v[56:57]
	v_mul_f64 v[166:167], v[166:167], v[174:175]
	v_add_f64 v[50:51], v[50:51], -v[56:57]
	v_fma_f64 v[166:167], v[168:169], v[54:55], v[166:167]
	v_add_f64 v[52:53], v[52:53], -v[166:167]
	ds_read2_b64 v[166:169], v1 offset0:58 offset1:59
	s_waitcnt lgkmcnt(0)
	v_mul_f64 v[56:57], v[168:169], v[174:175]
	v_fma_f64 v[56:57], v[166:167], v[54:55], -v[56:57]
	v_mul_f64 v[166:167], v[166:167], v[174:175]
	v_add_f64 v[46:47], v[46:47], -v[56:57]
	v_fma_f64 v[166:167], v[168:169], v[54:55], v[166:167]
	v_add_f64 v[48:49], v[48:49], -v[166:167]
	;; [unrolled: 8-line block ×12, first 2 shown]
	ds_read2_b64 v[166:169], v1 offset0:80 offset1:81
	s_waitcnt lgkmcnt(0)
	v_mul_f64 v[56:57], v[168:169], v[174:175]
	v_fma_f64 v[56:57], v[166:167], v[54:55], -v[56:57]
	v_mul_f64 v[166:167], v[166:167], v[174:175]
	v_add_f64 v[2:3], v[2:3], -v[56:57]
	v_fma_f64 v[166:167], v[168:169], v[54:55], v[166:167]
	v_mov_b32_e32 v56, v174
	v_mov_b32_e32 v57, v175
	v_add_f64 v[4:5], v[4:5], -v[166:167]
.LBB80_587:
	s_or_b32 exec_lo, exec_lo, s0
	v_lshl_add_u32 v166, v180, 4, v1
	s_barrier
	buffer_gl0_inv
	v_mov_b32_e32 v174, 28
	ds_write2_b64 v166, v[50:51], v[52:53] offset1:1
	s_waitcnt lgkmcnt(0)
	s_barrier
	buffer_gl0_inv
	ds_read2_b64 v[166:169], v1 offset0:56 offset1:57
	s_cmp_lt_i32 s18, 30
	s_cbranch_scc1 .LBB80_590
; %bb.588:
	v_add3_u32 v175, v176, 0, 0x1d0
	v_mov_b32_e32 v174, 28
	s_mov_b32 s1, 29
	s_inst_prefetch 0x1
	.p2align	6
.LBB80_589:                             ; =>This Inner Loop Header: Depth=1
	s_waitcnt lgkmcnt(0)
	v_cmp_gt_f64_e32 vcc_lo, 0, v[168:169]
	v_cmp_gt_f64_e64 s0, 0, v[166:167]
	ds_read2_b64 v[181:184], v175 offset1:1
	v_xor_b32_e32 v186, 0x80000000, v167
	v_xor_b32_e32 v188, 0x80000000, v169
	v_mov_b32_e32 v185, v166
	v_mov_b32_e32 v187, v168
	v_add_nc_u32_e32 v175, 16, v175
	s_waitcnt lgkmcnt(0)
	v_xor_b32_e32 v190, 0x80000000, v184
	v_cndmask_b32_e64 v186, v167, v186, s0
	v_cndmask_b32_e32 v188, v169, v188, vcc_lo
	v_cmp_gt_f64_e32 vcc_lo, 0, v[183:184]
	v_cmp_gt_f64_e64 s0, 0, v[181:182]
	v_mov_b32_e32 v189, v183
	v_add_f64 v[185:186], v[185:186], v[187:188]
	v_xor_b32_e32 v188, 0x80000000, v182
	v_mov_b32_e32 v187, v181
	v_cndmask_b32_e32 v190, v184, v190, vcc_lo
	v_cndmask_b32_e64 v188, v182, v188, s0
	v_add_f64 v[187:188], v[187:188], v[189:190]
	v_cmp_lt_f64_e32 vcc_lo, v[185:186], v[187:188]
	v_cndmask_b32_e32 v167, v167, v182, vcc_lo
	v_cndmask_b32_e32 v166, v166, v181, vcc_lo
	;; [unrolled: 1-line block ×4, first 2 shown]
	v_cndmask_b32_e64 v174, v174, s1, vcc_lo
	s_add_i32 s1, s1, 1
	s_cmp_lg_u32 s18, s1
	s_cbranch_scc1 .LBB80_589
.LBB80_590:
	s_inst_prefetch 0x2
	s_waitcnt lgkmcnt(0)
	v_cmp_eq_f64_e32 vcc_lo, 0, v[166:167]
	v_cmp_eq_f64_e64 s0, 0, v[168:169]
	s_and_b32 s0, vcc_lo, s0
	s_and_saveexec_b32 s1, s0
	s_xor_b32 s0, exec_lo, s1
; %bb.591:
	v_cmp_ne_u32_e32 vcc_lo, 0, v179
	v_cndmask_b32_e32 v179, 29, v179, vcc_lo
; %bb.592:
	s_andn2_saveexec_b32 s0, s0
	s_cbranch_execz .LBB80_598
; %bb.593:
	v_cmp_ngt_f64_e64 s1, |v[166:167]|, |v[168:169]|
	s_and_saveexec_b32 s2, s1
	s_xor_b32 s1, exec_lo, s2
	s_cbranch_execz .LBB80_595
; %bb.594:
	v_div_scale_f64 v[181:182], null, v[168:169], v[168:169], v[166:167]
	v_div_scale_f64 v[187:188], vcc_lo, v[166:167], v[168:169], v[166:167]
	v_rcp_f64_e32 v[183:184], v[181:182]
	v_fma_f64 v[185:186], -v[181:182], v[183:184], 1.0
	v_fma_f64 v[183:184], v[183:184], v[185:186], v[183:184]
	v_fma_f64 v[185:186], -v[181:182], v[183:184], 1.0
	v_fma_f64 v[183:184], v[183:184], v[185:186], v[183:184]
	v_mul_f64 v[185:186], v[187:188], v[183:184]
	v_fma_f64 v[181:182], -v[181:182], v[185:186], v[187:188]
	v_div_fmas_f64 v[181:182], v[181:182], v[183:184], v[185:186]
	v_div_fixup_f64 v[181:182], v[181:182], v[168:169], v[166:167]
	v_fma_f64 v[166:167], v[166:167], v[181:182], v[168:169]
	v_div_scale_f64 v[168:169], null, v[166:167], v[166:167], 1.0
	v_rcp_f64_e32 v[183:184], v[168:169]
	v_fma_f64 v[185:186], -v[168:169], v[183:184], 1.0
	v_fma_f64 v[183:184], v[183:184], v[185:186], v[183:184]
	v_fma_f64 v[185:186], -v[168:169], v[183:184], 1.0
	v_fma_f64 v[183:184], v[183:184], v[185:186], v[183:184]
	v_div_scale_f64 v[185:186], vcc_lo, 1.0, v[166:167], 1.0
	v_mul_f64 v[187:188], v[185:186], v[183:184]
	v_fma_f64 v[168:169], -v[168:169], v[187:188], v[185:186]
	v_div_fmas_f64 v[168:169], v[168:169], v[183:184], v[187:188]
	v_div_fixup_f64 v[168:169], v[168:169], v[166:167], 1.0
	v_mul_f64 v[166:167], v[181:182], v[168:169]
	v_xor_b32_e32 v169, 0x80000000, v169
.LBB80_595:
	s_andn2_saveexec_b32 s1, s1
	s_cbranch_execz .LBB80_597
; %bb.596:
	v_div_scale_f64 v[181:182], null, v[166:167], v[166:167], v[168:169]
	v_div_scale_f64 v[187:188], vcc_lo, v[168:169], v[166:167], v[168:169]
	v_rcp_f64_e32 v[183:184], v[181:182]
	v_fma_f64 v[185:186], -v[181:182], v[183:184], 1.0
	v_fma_f64 v[183:184], v[183:184], v[185:186], v[183:184]
	v_fma_f64 v[185:186], -v[181:182], v[183:184], 1.0
	v_fma_f64 v[183:184], v[183:184], v[185:186], v[183:184]
	v_mul_f64 v[185:186], v[187:188], v[183:184]
	v_fma_f64 v[181:182], -v[181:182], v[185:186], v[187:188]
	v_div_fmas_f64 v[181:182], v[181:182], v[183:184], v[185:186]
	v_div_fixup_f64 v[181:182], v[181:182], v[166:167], v[168:169]
	v_fma_f64 v[166:167], v[168:169], v[181:182], v[166:167]
	v_div_scale_f64 v[168:169], null, v[166:167], v[166:167], 1.0
	v_rcp_f64_e32 v[183:184], v[168:169]
	v_fma_f64 v[185:186], -v[168:169], v[183:184], 1.0
	v_fma_f64 v[183:184], v[183:184], v[185:186], v[183:184]
	v_fma_f64 v[185:186], -v[168:169], v[183:184], 1.0
	v_fma_f64 v[183:184], v[183:184], v[185:186], v[183:184]
	v_div_scale_f64 v[185:186], vcc_lo, 1.0, v[166:167], 1.0
	v_mul_f64 v[187:188], v[185:186], v[183:184]
	v_fma_f64 v[168:169], -v[168:169], v[187:188], v[185:186]
	v_div_fmas_f64 v[168:169], v[168:169], v[183:184], v[187:188]
	v_div_fixup_f64 v[166:167], v[168:169], v[166:167], 1.0
	v_mul_f64 v[168:169], v[181:182], -v[166:167]
.LBB80_597:
	s_or_b32 exec_lo, exec_lo, s1
.LBB80_598:
	s_or_b32 exec_lo, exec_lo, s0
	s_mov_b32 s0, exec_lo
	v_cmpx_ne_u32_e64 v180, v174
	s_xor_b32 s0, exec_lo, s0
	s_cbranch_execz .LBB80_604
; %bb.599:
	s_mov_b32 s1, exec_lo
	v_cmpx_eq_u32_e32 28, v180
	s_cbranch_execz .LBB80_603
; %bb.600:
	v_cmp_ne_u32_e32 vcc_lo, 28, v174
	s_xor_b32 s2, s16, -1
	s_and_b32 s3, s2, vcc_lo
	s_and_saveexec_b32 s2, s3
	s_cbranch_execz .LBB80_602
; %bb.601:
	v_ashrrev_i32_e32 v175, 31, v174
	v_lshlrev_b64 v[180:181], 2, v[174:175]
	v_add_co_u32 v180, vcc_lo, v172, v180
	v_add_co_ci_u32_e64 v181, null, v173, v181, vcc_lo
	s_clause 0x1
	global_load_dword v0, v[180:181], off
	global_load_dword v175, v[172:173], off offset:112
	s_waitcnt vmcnt(1)
	global_store_dword v[172:173], v0, off offset:112
	s_waitcnt vmcnt(0)
	global_store_dword v[180:181], v175, off
.LBB80_602:
	s_or_b32 exec_lo, exec_lo, s2
	v_mov_b32_e32 v180, v174
	v_mov_b32_e32 v0, v174
.LBB80_603:
	s_or_b32 exec_lo, exec_lo, s1
.LBB80_604:
	s_andn2_saveexec_b32 s0, s0
	s_cbranch_execz .LBB80_606
; %bb.605:
	v_mov_b32_e32 v180, 28
	ds_write2_b64 v1, v[46:47], v[48:49] offset0:58 offset1:59
	ds_write2_b64 v1, v[42:43], v[44:45] offset0:60 offset1:61
	;; [unrolled: 1-line block ×12, first 2 shown]
.LBB80_606:
	s_or_b32 exec_lo, exec_lo, s0
	s_mov_b32 s0, exec_lo
	s_waitcnt lgkmcnt(0)
	s_waitcnt_vscnt null, 0x0
	s_barrier
	buffer_gl0_inv
	v_cmpx_lt_i32_e32 28, v180
	s_cbranch_execz .LBB80_608
; %bb.607:
	v_mul_f64 v[174:175], v[166:167], v[52:53]
	v_mul_f64 v[52:53], v[168:169], v[52:53]
	v_fma_f64 v[174:175], v[168:169], v[50:51], v[174:175]
	v_fma_f64 v[50:51], v[166:167], v[50:51], -v[52:53]
	ds_read2_b64 v[166:169], v1 offset0:58 offset1:59
	s_waitcnt lgkmcnt(0)
	v_mul_f64 v[52:53], v[168:169], v[174:175]
	v_fma_f64 v[52:53], v[166:167], v[50:51], -v[52:53]
	v_mul_f64 v[166:167], v[166:167], v[174:175]
	v_add_f64 v[46:47], v[46:47], -v[52:53]
	v_fma_f64 v[166:167], v[168:169], v[50:51], v[166:167]
	v_add_f64 v[48:49], v[48:49], -v[166:167]
	ds_read2_b64 v[166:169], v1 offset0:60 offset1:61
	s_waitcnt lgkmcnt(0)
	v_mul_f64 v[52:53], v[168:169], v[174:175]
	v_fma_f64 v[52:53], v[166:167], v[50:51], -v[52:53]
	v_mul_f64 v[166:167], v[166:167], v[174:175]
	v_add_f64 v[42:43], v[42:43], -v[52:53]
	v_fma_f64 v[166:167], v[168:169], v[50:51], v[166:167]
	v_add_f64 v[44:45], v[44:45], -v[166:167]
	;; [unrolled: 8-line block ×11, first 2 shown]
	ds_read2_b64 v[166:169], v1 offset0:80 offset1:81
	s_waitcnt lgkmcnt(0)
	v_mul_f64 v[52:53], v[168:169], v[174:175]
	v_fma_f64 v[52:53], v[166:167], v[50:51], -v[52:53]
	v_mul_f64 v[166:167], v[166:167], v[174:175]
	v_add_f64 v[2:3], v[2:3], -v[52:53]
	v_fma_f64 v[166:167], v[168:169], v[50:51], v[166:167]
	v_mov_b32_e32 v52, v174
	v_mov_b32_e32 v53, v175
	v_add_f64 v[4:5], v[4:5], -v[166:167]
.LBB80_608:
	s_or_b32 exec_lo, exec_lo, s0
	v_lshl_add_u32 v166, v180, 4, v1
	s_barrier
	buffer_gl0_inv
	v_mov_b32_e32 v174, 29
	ds_write2_b64 v166, v[46:47], v[48:49] offset1:1
	s_waitcnt lgkmcnt(0)
	s_barrier
	buffer_gl0_inv
	ds_read2_b64 v[166:169], v1 offset0:58 offset1:59
	s_cmp_lt_i32 s18, 31
	s_cbranch_scc1 .LBB80_611
; %bb.609:
	v_add3_u32 v175, v176, 0, 0x1e0
	v_mov_b32_e32 v174, 29
	s_mov_b32 s1, 30
	s_inst_prefetch 0x1
	.p2align	6
.LBB80_610:                             ; =>This Inner Loop Header: Depth=1
	s_waitcnt lgkmcnt(0)
	v_cmp_gt_f64_e32 vcc_lo, 0, v[168:169]
	v_cmp_gt_f64_e64 s0, 0, v[166:167]
	ds_read2_b64 v[181:184], v175 offset1:1
	v_xor_b32_e32 v186, 0x80000000, v167
	v_xor_b32_e32 v188, 0x80000000, v169
	v_mov_b32_e32 v185, v166
	v_mov_b32_e32 v187, v168
	v_add_nc_u32_e32 v175, 16, v175
	s_waitcnt lgkmcnt(0)
	v_xor_b32_e32 v190, 0x80000000, v184
	v_cndmask_b32_e64 v186, v167, v186, s0
	v_cndmask_b32_e32 v188, v169, v188, vcc_lo
	v_cmp_gt_f64_e32 vcc_lo, 0, v[183:184]
	v_cmp_gt_f64_e64 s0, 0, v[181:182]
	v_mov_b32_e32 v189, v183
	v_add_f64 v[185:186], v[185:186], v[187:188]
	v_xor_b32_e32 v188, 0x80000000, v182
	v_mov_b32_e32 v187, v181
	v_cndmask_b32_e32 v190, v184, v190, vcc_lo
	v_cndmask_b32_e64 v188, v182, v188, s0
	v_add_f64 v[187:188], v[187:188], v[189:190]
	v_cmp_lt_f64_e32 vcc_lo, v[185:186], v[187:188]
	v_cndmask_b32_e32 v167, v167, v182, vcc_lo
	v_cndmask_b32_e32 v166, v166, v181, vcc_lo
	;; [unrolled: 1-line block ×4, first 2 shown]
	v_cndmask_b32_e64 v174, v174, s1, vcc_lo
	s_add_i32 s1, s1, 1
	s_cmp_lg_u32 s18, s1
	s_cbranch_scc1 .LBB80_610
.LBB80_611:
	s_inst_prefetch 0x2
	s_waitcnt lgkmcnt(0)
	v_cmp_eq_f64_e32 vcc_lo, 0, v[166:167]
	v_cmp_eq_f64_e64 s0, 0, v[168:169]
	s_and_b32 s0, vcc_lo, s0
	s_and_saveexec_b32 s1, s0
	s_xor_b32 s0, exec_lo, s1
; %bb.612:
	v_cmp_ne_u32_e32 vcc_lo, 0, v179
	v_cndmask_b32_e32 v179, 30, v179, vcc_lo
; %bb.613:
	s_andn2_saveexec_b32 s0, s0
	s_cbranch_execz .LBB80_619
; %bb.614:
	v_cmp_ngt_f64_e64 s1, |v[166:167]|, |v[168:169]|
	s_and_saveexec_b32 s2, s1
	s_xor_b32 s1, exec_lo, s2
	s_cbranch_execz .LBB80_616
; %bb.615:
	v_div_scale_f64 v[181:182], null, v[168:169], v[168:169], v[166:167]
	v_div_scale_f64 v[187:188], vcc_lo, v[166:167], v[168:169], v[166:167]
	v_rcp_f64_e32 v[183:184], v[181:182]
	v_fma_f64 v[185:186], -v[181:182], v[183:184], 1.0
	v_fma_f64 v[183:184], v[183:184], v[185:186], v[183:184]
	v_fma_f64 v[185:186], -v[181:182], v[183:184], 1.0
	v_fma_f64 v[183:184], v[183:184], v[185:186], v[183:184]
	v_mul_f64 v[185:186], v[187:188], v[183:184]
	v_fma_f64 v[181:182], -v[181:182], v[185:186], v[187:188]
	v_div_fmas_f64 v[181:182], v[181:182], v[183:184], v[185:186]
	v_div_fixup_f64 v[181:182], v[181:182], v[168:169], v[166:167]
	v_fma_f64 v[166:167], v[166:167], v[181:182], v[168:169]
	v_div_scale_f64 v[168:169], null, v[166:167], v[166:167], 1.0
	v_rcp_f64_e32 v[183:184], v[168:169]
	v_fma_f64 v[185:186], -v[168:169], v[183:184], 1.0
	v_fma_f64 v[183:184], v[183:184], v[185:186], v[183:184]
	v_fma_f64 v[185:186], -v[168:169], v[183:184], 1.0
	v_fma_f64 v[183:184], v[183:184], v[185:186], v[183:184]
	v_div_scale_f64 v[185:186], vcc_lo, 1.0, v[166:167], 1.0
	v_mul_f64 v[187:188], v[185:186], v[183:184]
	v_fma_f64 v[168:169], -v[168:169], v[187:188], v[185:186]
	v_div_fmas_f64 v[168:169], v[168:169], v[183:184], v[187:188]
	v_div_fixup_f64 v[168:169], v[168:169], v[166:167], 1.0
	v_mul_f64 v[166:167], v[181:182], v[168:169]
	v_xor_b32_e32 v169, 0x80000000, v169
.LBB80_616:
	s_andn2_saveexec_b32 s1, s1
	s_cbranch_execz .LBB80_618
; %bb.617:
	v_div_scale_f64 v[181:182], null, v[166:167], v[166:167], v[168:169]
	v_div_scale_f64 v[187:188], vcc_lo, v[168:169], v[166:167], v[168:169]
	v_rcp_f64_e32 v[183:184], v[181:182]
	v_fma_f64 v[185:186], -v[181:182], v[183:184], 1.0
	v_fma_f64 v[183:184], v[183:184], v[185:186], v[183:184]
	v_fma_f64 v[185:186], -v[181:182], v[183:184], 1.0
	v_fma_f64 v[183:184], v[183:184], v[185:186], v[183:184]
	v_mul_f64 v[185:186], v[187:188], v[183:184]
	v_fma_f64 v[181:182], -v[181:182], v[185:186], v[187:188]
	v_div_fmas_f64 v[181:182], v[181:182], v[183:184], v[185:186]
	v_div_fixup_f64 v[181:182], v[181:182], v[166:167], v[168:169]
	v_fma_f64 v[166:167], v[168:169], v[181:182], v[166:167]
	v_div_scale_f64 v[168:169], null, v[166:167], v[166:167], 1.0
	v_rcp_f64_e32 v[183:184], v[168:169]
	v_fma_f64 v[185:186], -v[168:169], v[183:184], 1.0
	v_fma_f64 v[183:184], v[183:184], v[185:186], v[183:184]
	v_fma_f64 v[185:186], -v[168:169], v[183:184], 1.0
	v_fma_f64 v[183:184], v[183:184], v[185:186], v[183:184]
	v_div_scale_f64 v[185:186], vcc_lo, 1.0, v[166:167], 1.0
	v_mul_f64 v[187:188], v[185:186], v[183:184]
	v_fma_f64 v[168:169], -v[168:169], v[187:188], v[185:186]
	v_div_fmas_f64 v[168:169], v[168:169], v[183:184], v[187:188]
	v_div_fixup_f64 v[166:167], v[168:169], v[166:167], 1.0
	v_mul_f64 v[168:169], v[181:182], -v[166:167]
.LBB80_618:
	s_or_b32 exec_lo, exec_lo, s1
.LBB80_619:
	s_or_b32 exec_lo, exec_lo, s0
	s_mov_b32 s0, exec_lo
	v_cmpx_ne_u32_e64 v180, v174
	s_xor_b32 s0, exec_lo, s0
	s_cbranch_execz .LBB80_625
; %bb.620:
	s_mov_b32 s1, exec_lo
	v_cmpx_eq_u32_e32 29, v180
	s_cbranch_execz .LBB80_624
; %bb.621:
	v_cmp_ne_u32_e32 vcc_lo, 29, v174
	s_xor_b32 s2, s16, -1
	s_and_b32 s3, s2, vcc_lo
	s_and_saveexec_b32 s2, s3
	s_cbranch_execz .LBB80_623
; %bb.622:
	v_ashrrev_i32_e32 v175, 31, v174
	v_lshlrev_b64 v[180:181], 2, v[174:175]
	v_add_co_u32 v180, vcc_lo, v172, v180
	v_add_co_ci_u32_e64 v181, null, v173, v181, vcc_lo
	s_clause 0x1
	global_load_dword v0, v[180:181], off
	global_load_dword v175, v[172:173], off offset:116
	s_waitcnt vmcnt(1)
	global_store_dword v[172:173], v0, off offset:116
	s_waitcnt vmcnt(0)
	global_store_dword v[180:181], v175, off
.LBB80_623:
	s_or_b32 exec_lo, exec_lo, s2
	v_mov_b32_e32 v180, v174
	v_mov_b32_e32 v0, v174
.LBB80_624:
	s_or_b32 exec_lo, exec_lo, s1
.LBB80_625:
	s_andn2_saveexec_b32 s0, s0
	s_cbranch_execz .LBB80_627
; %bb.626:
	v_mov_b32_e32 v180, 29
	ds_write2_b64 v1, v[42:43], v[44:45] offset0:60 offset1:61
	ds_write2_b64 v1, v[38:39], v[40:41] offset0:62 offset1:63
	;; [unrolled: 1-line block ×11, first 2 shown]
.LBB80_627:
	s_or_b32 exec_lo, exec_lo, s0
	s_mov_b32 s0, exec_lo
	s_waitcnt lgkmcnt(0)
	s_waitcnt_vscnt null, 0x0
	s_barrier
	buffer_gl0_inv
	v_cmpx_lt_i32_e32 29, v180
	s_cbranch_execz .LBB80_629
; %bb.628:
	v_mul_f64 v[174:175], v[166:167], v[48:49]
	v_mul_f64 v[48:49], v[168:169], v[48:49]
	v_fma_f64 v[174:175], v[168:169], v[46:47], v[174:175]
	v_fma_f64 v[46:47], v[166:167], v[46:47], -v[48:49]
	ds_read2_b64 v[166:169], v1 offset0:60 offset1:61
	s_waitcnt lgkmcnt(0)
	v_mul_f64 v[48:49], v[168:169], v[174:175]
	v_fma_f64 v[48:49], v[166:167], v[46:47], -v[48:49]
	v_mul_f64 v[166:167], v[166:167], v[174:175]
	v_add_f64 v[42:43], v[42:43], -v[48:49]
	v_fma_f64 v[166:167], v[168:169], v[46:47], v[166:167]
	v_add_f64 v[44:45], v[44:45], -v[166:167]
	ds_read2_b64 v[166:169], v1 offset0:62 offset1:63
	s_waitcnt lgkmcnt(0)
	v_mul_f64 v[48:49], v[168:169], v[174:175]
	v_fma_f64 v[48:49], v[166:167], v[46:47], -v[48:49]
	v_mul_f64 v[166:167], v[166:167], v[174:175]
	v_add_f64 v[38:39], v[38:39], -v[48:49]
	v_fma_f64 v[166:167], v[168:169], v[46:47], v[166:167]
	v_add_f64 v[40:41], v[40:41], -v[166:167]
	;; [unrolled: 8-line block ×10, first 2 shown]
	ds_read2_b64 v[166:169], v1 offset0:80 offset1:81
	s_waitcnt lgkmcnt(0)
	v_mul_f64 v[48:49], v[168:169], v[174:175]
	v_fma_f64 v[48:49], v[166:167], v[46:47], -v[48:49]
	v_mul_f64 v[166:167], v[166:167], v[174:175]
	v_add_f64 v[2:3], v[2:3], -v[48:49]
	v_fma_f64 v[166:167], v[168:169], v[46:47], v[166:167]
	v_mov_b32_e32 v48, v174
	v_mov_b32_e32 v49, v175
	v_add_f64 v[4:5], v[4:5], -v[166:167]
.LBB80_629:
	s_or_b32 exec_lo, exec_lo, s0
	v_lshl_add_u32 v166, v180, 4, v1
	s_barrier
	buffer_gl0_inv
	v_mov_b32_e32 v174, 30
	ds_write2_b64 v166, v[42:43], v[44:45] offset1:1
	s_waitcnt lgkmcnt(0)
	s_barrier
	buffer_gl0_inv
	ds_read2_b64 v[166:169], v1 offset0:60 offset1:61
	s_cmp_lt_i32 s18, 32
	s_cbranch_scc1 .LBB80_632
; %bb.630:
	v_add3_u32 v175, v176, 0, 0x1f0
	v_mov_b32_e32 v174, 30
	s_mov_b32 s1, 31
	s_inst_prefetch 0x1
	.p2align	6
.LBB80_631:                             ; =>This Inner Loop Header: Depth=1
	s_waitcnt lgkmcnt(0)
	v_cmp_gt_f64_e32 vcc_lo, 0, v[168:169]
	v_cmp_gt_f64_e64 s0, 0, v[166:167]
	ds_read2_b64 v[181:184], v175 offset1:1
	v_xor_b32_e32 v186, 0x80000000, v167
	v_xor_b32_e32 v188, 0x80000000, v169
	v_mov_b32_e32 v185, v166
	v_mov_b32_e32 v187, v168
	v_add_nc_u32_e32 v175, 16, v175
	s_waitcnt lgkmcnt(0)
	v_xor_b32_e32 v190, 0x80000000, v184
	v_cndmask_b32_e64 v186, v167, v186, s0
	v_cndmask_b32_e32 v188, v169, v188, vcc_lo
	v_cmp_gt_f64_e32 vcc_lo, 0, v[183:184]
	v_cmp_gt_f64_e64 s0, 0, v[181:182]
	v_mov_b32_e32 v189, v183
	v_add_f64 v[185:186], v[185:186], v[187:188]
	v_xor_b32_e32 v188, 0x80000000, v182
	v_mov_b32_e32 v187, v181
	v_cndmask_b32_e32 v190, v184, v190, vcc_lo
	v_cndmask_b32_e64 v188, v182, v188, s0
	v_add_f64 v[187:188], v[187:188], v[189:190]
	v_cmp_lt_f64_e32 vcc_lo, v[185:186], v[187:188]
	v_cndmask_b32_e32 v167, v167, v182, vcc_lo
	v_cndmask_b32_e32 v166, v166, v181, vcc_lo
	;; [unrolled: 1-line block ×4, first 2 shown]
	v_cndmask_b32_e64 v174, v174, s1, vcc_lo
	s_add_i32 s1, s1, 1
	s_cmp_lg_u32 s18, s1
	s_cbranch_scc1 .LBB80_631
.LBB80_632:
	s_inst_prefetch 0x2
	s_waitcnt lgkmcnt(0)
	v_cmp_eq_f64_e32 vcc_lo, 0, v[166:167]
	v_cmp_eq_f64_e64 s0, 0, v[168:169]
	s_and_b32 s0, vcc_lo, s0
	s_and_saveexec_b32 s1, s0
	s_xor_b32 s0, exec_lo, s1
; %bb.633:
	v_cmp_ne_u32_e32 vcc_lo, 0, v179
	v_cndmask_b32_e32 v179, 31, v179, vcc_lo
; %bb.634:
	s_andn2_saveexec_b32 s0, s0
	s_cbranch_execz .LBB80_640
; %bb.635:
	v_cmp_ngt_f64_e64 s1, |v[166:167]|, |v[168:169]|
	s_and_saveexec_b32 s2, s1
	s_xor_b32 s1, exec_lo, s2
	s_cbranch_execz .LBB80_637
; %bb.636:
	v_div_scale_f64 v[181:182], null, v[168:169], v[168:169], v[166:167]
	v_div_scale_f64 v[187:188], vcc_lo, v[166:167], v[168:169], v[166:167]
	v_rcp_f64_e32 v[183:184], v[181:182]
	v_fma_f64 v[185:186], -v[181:182], v[183:184], 1.0
	v_fma_f64 v[183:184], v[183:184], v[185:186], v[183:184]
	v_fma_f64 v[185:186], -v[181:182], v[183:184], 1.0
	v_fma_f64 v[183:184], v[183:184], v[185:186], v[183:184]
	v_mul_f64 v[185:186], v[187:188], v[183:184]
	v_fma_f64 v[181:182], -v[181:182], v[185:186], v[187:188]
	v_div_fmas_f64 v[181:182], v[181:182], v[183:184], v[185:186]
	v_div_fixup_f64 v[181:182], v[181:182], v[168:169], v[166:167]
	v_fma_f64 v[166:167], v[166:167], v[181:182], v[168:169]
	v_div_scale_f64 v[168:169], null, v[166:167], v[166:167], 1.0
	v_rcp_f64_e32 v[183:184], v[168:169]
	v_fma_f64 v[185:186], -v[168:169], v[183:184], 1.0
	v_fma_f64 v[183:184], v[183:184], v[185:186], v[183:184]
	v_fma_f64 v[185:186], -v[168:169], v[183:184], 1.0
	v_fma_f64 v[183:184], v[183:184], v[185:186], v[183:184]
	v_div_scale_f64 v[185:186], vcc_lo, 1.0, v[166:167], 1.0
	v_mul_f64 v[187:188], v[185:186], v[183:184]
	v_fma_f64 v[168:169], -v[168:169], v[187:188], v[185:186]
	v_div_fmas_f64 v[168:169], v[168:169], v[183:184], v[187:188]
	v_div_fixup_f64 v[168:169], v[168:169], v[166:167], 1.0
	v_mul_f64 v[166:167], v[181:182], v[168:169]
	v_xor_b32_e32 v169, 0x80000000, v169
.LBB80_637:
	s_andn2_saveexec_b32 s1, s1
	s_cbranch_execz .LBB80_639
; %bb.638:
	v_div_scale_f64 v[181:182], null, v[166:167], v[166:167], v[168:169]
	v_div_scale_f64 v[187:188], vcc_lo, v[168:169], v[166:167], v[168:169]
	v_rcp_f64_e32 v[183:184], v[181:182]
	v_fma_f64 v[185:186], -v[181:182], v[183:184], 1.0
	v_fma_f64 v[183:184], v[183:184], v[185:186], v[183:184]
	v_fma_f64 v[185:186], -v[181:182], v[183:184], 1.0
	v_fma_f64 v[183:184], v[183:184], v[185:186], v[183:184]
	v_mul_f64 v[185:186], v[187:188], v[183:184]
	v_fma_f64 v[181:182], -v[181:182], v[185:186], v[187:188]
	v_div_fmas_f64 v[181:182], v[181:182], v[183:184], v[185:186]
	v_div_fixup_f64 v[181:182], v[181:182], v[166:167], v[168:169]
	v_fma_f64 v[166:167], v[168:169], v[181:182], v[166:167]
	v_div_scale_f64 v[168:169], null, v[166:167], v[166:167], 1.0
	v_rcp_f64_e32 v[183:184], v[168:169]
	v_fma_f64 v[185:186], -v[168:169], v[183:184], 1.0
	v_fma_f64 v[183:184], v[183:184], v[185:186], v[183:184]
	v_fma_f64 v[185:186], -v[168:169], v[183:184], 1.0
	v_fma_f64 v[183:184], v[183:184], v[185:186], v[183:184]
	v_div_scale_f64 v[185:186], vcc_lo, 1.0, v[166:167], 1.0
	v_mul_f64 v[187:188], v[185:186], v[183:184]
	v_fma_f64 v[168:169], -v[168:169], v[187:188], v[185:186]
	v_div_fmas_f64 v[168:169], v[168:169], v[183:184], v[187:188]
	v_div_fixup_f64 v[166:167], v[168:169], v[166:167], 1.0
	v_mul_f64 v[168:169], v[181:182], -v[166:167]
.LBB80_639:
	s_or_b32 exec_lo, exec_lo, s1
.LBB80_640:
	s_or_b32 exec_lo, exec_lo, s0
	s_mov_b32 s0, exec_lo
	v_cmpx_ne_u32_e64 v180, v174
	s_xor_b32 s0, exec_lo, s0
	s_cbranch_execz .LBB80_646
; %bb.641:
	s_mov_b32 s1, exec_lo
	v_cmpx_eq_u32_e32 30, v180
	s_cbranch_execz .LBB80_645
; %bb.642:
	v_cmp_ne_u32_e32 vcc_lo, 30, v174
	s_xor_b32 s2, s16, -1
	s_and_b32 s3, s2, vcc_lo
	s_and_saveexec_b32 s2, s3
	s_cbranch_execz .LBB80_644
; %bb.643:
	v_ashrrev_i32_e32 v175, 31, v174
	v_lshlrev_b64 v[180:181], 2, v[174:175]
	v_add_co_u32 v180, vcc_lo, v172, v180
	v_add_co_ci_u32_e64 v181, null, v173, v181, vcc_lo
	s_clause 0x1
	global_load_dword v0, v[180:181], off
	global_load_dword v175, v[172:173], off offset:120
	s_waitcnt vmcnt(1)
	global_store_dword v[172:173], v0, off offset:120
	s_waitcnt vmcnt(0)
	global_store_dword v[180:181], v175, off
.LBB80_644:
	s_or_b32 exec_lo, exec_lo, s2
	v_mov_b32_e32 v180, v174
	v_mov_b32_e32 v0, v174
.LBB80_645:
	s_or_b32 exec_lo, exec_lo, s1
.LBB80_646:
	s_andn2_saveexec_b32 s0, s0
	s_cbranch_execz .LBB80_648
; %bb.647:
	v_mov_b32_e32 v180, 30
	ds_write2_b64 v1, v[38:39], v[40:41] offset0:62 offset1:63
	ds_write2_b64 v1, v[34:35], v[36:37] offset0:64 offset1:65
	;; [unrolled: 1-line block ×10, first 2 shown]
.LBB80_648:
	s_or_b32 exec_lo, exec_lo, s0
	s_mov_b32 s0, exec_lo
	s_waitcnt lgkmcnt(0)
	s_waitcnt_vscnt null, 0x0
	s_barrier
	buffer_gl0_inv
	v_cmpx_lt_i32_e32 30, v180
	s_cbranch_execz .LBB80_650
; %bb.649:
	v_mul_f64 v[174:175], v[166:167], v[44:45]
	v_mul_f64 v[44:45], v[168:169], v[44:45]
	v_fma_f64 v[174:175], v[168:169], v[42:43], v[174:175]
	v_fma_f64 v[42:43], v[166:167], v[42:43], -v[44:45]
	ds_read2_b64 v[166:169], v1 offset0:62 offset1:63
	s_waitcnt lgkmcnt(0)
	v_mul_f64 v[44:45], v[168:169], v[174:175]
	v_fma_f64 v[44:45], v[166:167], v[42:43], -v[44:45]
	v_mul_f64 v[166:167], v[166:167], v[174:175]
	v_add_f64 v[38:39], v[38:39], -v[44:45]
	v_fma_f64 v[166:167], v[168:169], v[42:43], v[166:167]
	v_add_f64 v[40:41], v[40:41], -v[166:167]
	ds_read2_b64 v[166:169], v1 offset0:64 offset1:65
	s_waitcnt lgkmcnt(0)
	v_mul_f64 v[44:45], v[168:169], v[174:175]
	v_fma_f64 v[44:45], v[166:167], v[42:43], -v[44:45]
	v_mul_f64 v[166:167], v[166:167], v[174:175]
	v_add_f64 v[34:35], v[34:35], -v[44:45]
	v_fma_f64 v[166:167], v[168:169], v[42:43], v[166:167]
	v_add_f64 v[36:37], v[36:37], -v[166:167]
	;; [unrolled: 8-line block ×9, first 2 shown]
	ds_read2_b64 v[166:169], v1 offset0:80 offset1:81
	s_waitcnt lgkmcnt(0)
	v_mul_f64 v[44:45], v[168:169], v[174:175]
	v_fma_f64 v[44:45], v[166:167], v[42:43], -v[44:45]
	v_mul_f64 v[166:167], v[166:167], v[174:175]
	v_add_f64 v[2:3], v[2:3], -v[44:45]
	v_fma_f64 v[166:167], v[168:169], v[42:43], v[166:167]
	v_mov_b32_e32 v44, v174
	v_mov_b32_e32 v45, v175
	v_add_f64 v[4:5], v[4:5], -v[166:167]
.LBB80_650:
	s_or_b32 exec_lo, exec_lo, s0
	v_lshl_add_u32 v166, v180, 4, v1
	s_barrier
	buffer_gl0_inv
	v_mov_b32_e32 v174, 31
	ds_write2_b64 v166, v[38:39], v[40:41] offset1:1
	s_waitcnt lgkmcnt(0)
	s_barrier
	buffer_gl0_inv
	ds_read2_b64 v[166:169], v1 offset0:62 offset1:63
	s_cmp_lt_i32 s18, 33
	s_cbranch_scc1 .LBB80_653
; %bb.651:
	v_add3_u32 v175, v176, 0, 0x200
	v_mov_b32_e32 v174, 31
	s_mov_b32 s1, 32
	s_inst_prefetch 0x1
	.p2align	6
.LBB80_652:                             ; =>This Inner Loop Header: Depth=1
	s_waitcnt lgkmcnt(0)
	v_cmp_gt_f64_e32 vcc_lo, 0, v[168:169]
	v_cmp_gt_f64_e64 s0, 0, v[166:167]
	ds_read2_b64 v[181:184], v175 offset1:1
	v_xor_b32_e32 v186, 0x80000000, v167
	v_xor_b32_e32 v188, 0x80000000, v169
	v_mov_b32_e32 v185, v166
	v_mov_b32_e32 v187, v168
	v_add_nc_u32_e32 v175, 16, v175
	s_waitcnt lgkmcnt(0)
	v_xor_b32_e32 v190, 0x80000000, v184
	v_cndmask_b32_e64 v186, v167, v186, s0
	v_cndmask_b32_e32 v188, v169, v188, vcc_lo
	v_cmp_gt_f64_e32 vcc_lo, 0, v[183:184]
	v_cmp_gt_f64_e64 s0, 0, v[181:182]
	v_mov_b32_e32 v189, v183
	v_add_f64 v[185:186], v[185:186], v[187:188]
	v_xor_b32_e32 v188, 0x80000000, v182
	v_mov_b32_e32 v187, v181
	v_cndmask_b32_e32 v190, v184, v190, vcc_lo
	v_cndmask_b32_e64 v188, v182, v188, s0
	v_add_f64 v[187:188], v[187:188], v[189:190]
	v_cmp_lt_f64_e32 vcc_lo, v[185:186], v[187:188]
	v_cndmask_b32_e32 v167, v167, v182, vcc_lo
	v_cndmask_b32_e32 v166, v166, v181, vcc_lo
	;; [unrolled: 1-line block ×4, first 2 shown]
	v_cndmask_b32_e64 v174, v174, s1, vcc_lo
	s_add_i32 s1, s1, 1
	s_cmp_lg_u32 s18, s1
	s_cbranch_scc1 .LBB80_652
.LBB80_653:
	s_inst_prefetch 0x2
	s_waitcnt lgkmcnt(0)
	v_cmp_eq_f64_e32 vcc_lo, 0, v[166:167]
	v_cmp_eq_f64_e64 s0, 0, v[168:169]
	s_and_b32 s0, vcc_lo, s0
	s_and_saveexec_b32 s1, s0
	s_xor_b32 s0, exec_lo, s1
; %bb.654:
	v_cmp_ne_u32_e32 vcc_lo, 0, v179
	v_cndmask_b32_e32 v179, 32, v179, vcc_lo
; %bb.655:
	s_andn2_saveexec_b32 s0, s0
	s_cbranch_execz .LBB80_661
; %bb.656:
	v_cmp_ngt_f64_e64 s1, |v[166:167]|, |v[168:169]|
	s_and_saveexec_b32 s2, s1
	s_xor_b32 s1, exec_lo, s2
	s_cbranch_execz .LBB80_658
; %bb.657:
	v_div_scale_f64 v[181:182], null, v[168:169], v[168:169], v[166:167]
	v_div_scale_f64 v[187:188], vcc_lo, v[166:167], v[168:169], v[166:167]
	v_rcp_f64_e32 v[183:184], v[181:182]
	v_fma_f64 v[185:186], -v[181:182], v[183:184], 1.0
	v_fma_f64 v[183:184], v[183:184], v[185:186], v[183:184]
	v_fma_f64 v[185:186], -v[181:182], v[183:184], 1.0
	v_fma_f64 v[183:184], v[183:184], v[185:186], v[183:184]
	v_mul_f64 v[185:186], v[187:188], v[183:184]
	v_fma_f64 v[181:182], -v[181:182], v[185:186], v[187:188]
	v_div_fmas_f64 v[181:182], v[181:182], v[183:184], v[185:186]
	v_div_fixup_f64 v[181:182], v[181:182], v[168:169], v[166:167]
	v_fma_f64 v[166:167], v[166:167], v[181:182], v[168:169]
	v_div_scale_f64 v[168:169], null, v[166:167], v[166:167], 1.0
	v_rcp_f64_e32 v[183:184], v[168:169]
	v_fma_f64 v[185:186], -v[168:169], v[183:184], 1.0
	v_fma_f64 v[183:184], v[183:184], v[185:186], v[183:184]
	v_fma_f64 v[185:186], -v[168:169], v[183:184], 1.0
	v_fma_f64 v[183:184], v[183:184], v[185:186], v[183:184]
	v_div_scale_f64 v[185:186], vcc_lo, 1.0, v[166:167], 1.0
	v_mul_f64 v[187:188], v[185:186], v[183:184]
	v_fma_f64 v[168:169], -v[168:169], v[187:188], v[185:186]
	v_div_fmas_f64 v[168:169], v[168:169], v[183:184], v[187:188]
	v_div_fixup_f64 v[168:169], v[168:169], v[166:167], 1.0
	v_mul_f64 v[166:167], v[181:182], v[168:169]
	v_xor_b32_e32 v169, 0x80000000, v169
.LBB80_658:
	s_andn2_saveexec_b32 s1, s1
	s_cbranch_execz .LBB80_660
; %bb.659:
	v_div_scale_f64 v[181:182], null, v[166:167], v[166:167], v[168:169]
	v_div_scale_f64 v[187:188], vcc_lo, v[168:169], v[166:167], v[168:169]
	v_rcp_f64_e32 v[183:184], v[181:182]
	v_fma_f64 v[185:186], -v[181:182], v[183:184], 1.0
	v_fma_f64 v[183:184], v[183:184], v[185:186], v[183:184]
	v_fma_f64 v[185:186], -v[181:182], v[183:184], 1.0
	v_fma_f64 v[183:184], v[183:184], v[185:186], v[183:184]
	v_mul_f64 v[185:186], v[187:188], v[183:184]
	v_fma_f64 v[181:182], -v[181:182], v[185:186], v[187:188]
	v_div_fmas_f64 v[181:182], v[181:182], v[183:184], v[185:186]
	v_div_fixup_f64 v[181:182], v[181:182], v[166:167], v[168:169]
	v_fma_f64 v[166:167], v[168:169], v[181:182], v[166:167]
	v_div_scale_f64 v[168:169], null, v[166:167], v[166:167], 1.0
	v_rcp_f64_e32 v[183:184], v[168:169]
	v_fma_f64 v[185:186], -v[168:169], v[183:184], 1.0
	v_fma_f64 v[183:184], v[183:184], v[185:186], v[183:184]
	v_fma_f64 v[185:186], -v[168:169], v[183:184], 1.0
	v_fma_f64 v[183:184], v[183:184], v[185:186], v[183:184]
	v_div_scale_f64 v[185:186], vcc_lo, 1.0, v[166:167], 1.0
	v_mul_f64 v[187:188], v[185:186], v[183:184]
	v_fma_f64 v[168:169], -v[168:169], v[187:188], v[185:186]
	v_div_fmas_f64 v[168:169], v[168:169], v[183:184], v[187:188]
	v_div_fixup_f64 v[166:167], v[168:169], v[166:167], 1.0
	v_mul_f64 v[168:169], v[181:182], -v[166:167]
.LBB80_660:
	s_or_b32 exec_lo, exec_lo, s1
.LBB80_661:
	s_or_b32 exec_lo, exec_lo, s0
	s_mov_b32 s0, exec_lo
	v_cmpx_ne_u32_e64 v180, v174
	s_xor_b32 s0, exec_lo, s0
	s_cbranch_execz .LBB80_667
; %bb.662:
	s_mov_b32 s1, exec_lo
	v_cmpx_eq_u32_e32 31, v180
	s_cbranch_execz .LBB80_666
; %bb.663:
	v_cmp_ne_u32_e32 vcc_lo, 31, v174
	s_xor_b32 s2, s16, -1
	s_and_b32 s3, s2, vcc_lo
	s_and_saveexec_b32 s2, s3
	s_cbranch_execz .LBB80_665
; %bb.664:
	v_ashrrev_i32_e32 v175, 31, v174
	v_lshlrev_b64 v[180:181], 2, v[174:175]
	v_add_co_u32 v180, vcc_lo, v172, v180
	v_add_co_ci_u32_e64 v181, null, v173, v181, vcc_lo
	s_clause 0x1
	global_load_dword v0, v[180:181], off
	global_load_dword v175, v[172:173], off offset:124
	s_waitcnt vmcnt(1)
	global_store_dword v[172:173], v0, off offset:124
	s_waitcnt vmcnt(0)
	global_store_dword v[180:181], v175, off
.LBB80_665:
	s_or_b32 exec_lo, exec_lo, s2
	v_mov_b32_e32 v180, v174
	v_mov_b32_e32 v0, v174
.LBB80_666:
	s_or_b32 exec_lo, exec_lo, s1
.LBB80_667:
	s_andn2_saveexec_b32 s0, s0
	s_cbranch_execz .LBB80_669
; %bb.668:
	v_mov_b32_e32 v180, 31
	ds_write2_b64 v1, v[34:35], v[36:37] offset0:64 offset1:65
	ds_write2_b64 v1, v[30:31], v[32:33] offset0:66 offset1:67
	;; [unrolled: 1-line block ×9, first 2 shown]
.LBB80_669:
	s_or_b32 exec_lo, exec_lo, s0
	s_mov_b32 s0, exec_lo
	s_waitcnt lgkmcnt(0)
	s_waitcnt_vscnt null, 0x0
	s_barrier
	buffer_gl0_inv
	v_cmpx_lt_i32_e32 31, v180
	s_cbranch_execz .LBB80_671
; %bb.670:
	v_mul_f64 v[174:175], v[166:167], v[40:41]
	v_mul_f64 v[40:41], v[168:169], v[40:41]
	ds_read2_b64 v[181:184], v1 offset0:64 offset1:65
	ds_read2_b64 v[185:188], v1 offset0:66 offset1:67
	;; [unrolled: 1-line block ×9, first 2 shown]
	v_fma_f64 v[168:169], v[168:169], v[38:39], v[174:175]
	v_fma_f64 v[38:39], v[166:167], v[38:39], -v[40:41]
	s_waitcnt lgkmcnt(8)
	v_mul_f64 v[40:41], v[183:184], v[168:169]
	v_mul_f64 v[166:167], v[181:182], v[168:169]
	s_waitcnt lgkmcnt(7)
	v_mul_f64 v[174:175], v[187:188], v[168:169]
	v_mul_f64 v[217:218], v[185:186], v[168:169]
	;; [unrolled: 3-line block ×9, first 2 shown]
	v_fma_f64 v[40:41], v[181:182], v[38:39], -v[40:41]
	v_fma_f64 v[166:167], v[183:184], v[38:39], v[166:167]
	v_fma_f64 v[174:175], v[185:186], v[38:39], -v[174:175]
	v_fma_f64 v[181:182], v[187:188], v[38:39], v[217:218]
	;; [unrolled: 2-line block ×9, first 2 shown]
	v_add_f64 v[34:35], v[34:35], -v[40:41]
	v_add_f64 v[36:37], v[36:37], -v[166:167]
	;; [unrolled: 1-line block ×18, first 2 shown]
	v_mov_b32_e32 v40, v168
	v_mov_b32_e32 v41, v169
.LBB80_671:
	s_or_b32 exec_lo, exec_lo, s0
	v_lshl_add_u32 v166, v180, 4, v1
	s_barrier
	buffer_gl0_inv
	v_mov_b32_e32 v174, 32
	ds_write2_b64 v166, v[34:35], v[36:37] offset1:1
	s_waitcnt lgkmcnt(0)
	s_barrier
	buffer_gl0_inv
	ds_read2_b64 v[166:169], v1 offset0:64 offset1:65
	s_cmp_lt_i32 s18, 34
	s_cbranch_scc1 .LBB80_674
; %bb.672:
	v_add3_u32 v175, v176, 0, 0x210
	v_mov_b32_e32 v174, 32
	s_mov_b32 s1, 33
	s_inst_prefetch 0x1
	.p2align	6
.LBB80_673:                             ; =>This Inner Loop Header: Depth=1
	s_waitcnt lgkmcnt(0)
	v_cmp_gt_f64_e32 vcc_lo, 0, v[168:169]
	v_cmp_gt_f64_e64 s0, 0, v[166:167]
	ds_read2_b64 v[181:184], v175 offset1:1
	v_xor_b32_e32 v186, 0x80000000, v167
	v_xor_b32_e32 v188, 0x80000000, v169
	v_mov_b32_e32 v185, v166
	v_mov_b32_e32 v187, v168
	v_add_nc_u32_e32 v175, 16, v175
	s_waitcnt lgkmcnt(0)
	v_xor_b32_e32 v190, 0x80000000, v184
	v_cndmask_b32_e64 v186, v167, v186, s0
	v_cndmask_b32_e32 v188, v169, v188, vcc_lo
	v_cmp_gt_f64_e32 vcc_lo, 0, v[183:184]
	v_cmp_gt_f64_e64 s0, 0, v[181:182]
	v_mov_b32_e32 v189, v183
	v_add_f64 v[185:186], v[185:186], v[187:188]
	v_xor_b32_e32 v188, 0x80000000, v182
	v_mov_b32_e32 v187, v181
	v_cndmask_b32_e32 v190, v184, v190, vcc_lo
	v_cndmask_b32_e64 v188, v182, v188, s0
	v_add_f64 v[187:188], v[187:188], v[189:190]
	v_cmp_lt_f64_e32 vcc_lo, v[185:186], v[187:188]
	v_cndmask_b32_e32 v167, v167, v182, vcc_lo
	v_cndmask_b32_e32 v166, v166, v181, vcc_lo
	;; [unrolled: 1-line block ×4, first 2 shown]
	v_cndmask_b32_e64 v174, v174, s1, vcc_lo
	s_add_i32 s1, s1, 1
	s_cmp_lg_u32 s18, s1
	s_cbranch_scc1 .LBB80_673
.LBB80_674:
	s_inst_prefetch 0x2
	s_waitcnt lgkmcnt(0)
	v_cmp_eq_f64_e32 vcc_lo, 0, v[166:167]
	v_cmp_eq_f64_e64 s0, 0, v[168:169]
	s_and_b32 s0, vcc_lo, s0
	s_and_saveexec_b32 s1, s0
	s_xor_b32 s0, exec_lo, s1
; %bb.675:
	v_cmp_ne_u32_e32 vcc_lo, 0, v179
	v_cndmask_b32_e32 v179, 33, v179, vcc_lo
; %bb.676:
	s_andn2_saveexec_b32 s0, s0
	s_cbranch_execz .LBB80_682
; %bb.677:
	v_cmp_ngt_f64_e64 s1, |v[166:167]|, |v[168:169]|
	s_and_saveexec_b32 s2, s1
	s_xor_b32 s1, exec_lo, s2
	s_cbranch_execz .LBB80_679
; %bb.678:
	v_div_scale_f64 v[181:182], null, v[168:169], v[168:169], v[166:167]
	v_div_scale_f64 v[187:188], vcc_lo, v[166:167], v[168:169], v[166:167]
	v_rcp_f64_e32 v[183:184], v[181:182]
	v_fma_f64 v[185:186], -v[181:182], v[183:184], 1.0
	v_fma_f64 v[183:184], v[183:184], v[185:186], v[183:184]
	v_fma_f64 v[185:186], -v[181:182], v[183:184], 1.0
	v_fma_f64 v[183:184], v[183:184], v[185:186], v[183:184]
	v_mul_f64 v[185:186], v[187:188], v[183:184]
	v_fma_f64 v[181:182], -v[181:182], v[185:186], v[187:188]
	v_div_fmas_f64 v[181:182], v[181:182], v[183:184], v[185:186]
	v_div_fixup_f64 v[181:182], v[181:182], v[168:169], v[166:167]
	v_fma_f64 v[166:167], v[166:167], v[181:182], v[168:169]
	v_div_scale_f64 v[168:169], null, v[166:167], v[166:167], 1.0
	v_rcp_f64_e32 v[183:184], v[168:169]
	v_fma_f64 v[185:186], -v[168:169], v[183:184], 1.0
	v_fma_f64 v[183:184], v[183:184], v[185:186], v[183:184]
	v_fma_f64 v[185:186], -v[168:169], v[183:184], 1.0
	v_fma_f64 v[183:184], v[183:184], v[185:186], v[183:184]
	v_div_scale_f64 v[185:186], vcc_lo, 1.0, v[166:167], 1.0
	v_mul_f64 v[187:188], v[185:186], v[183:184]
	v_fma_f64 v[168:169], -v[168:169], v[187:188], v[185:186]
	v_div_fmas_f64 v[168:169], v[168:169], v[183:184], v[187:188]
	v_div_fixup_f64 v[168:169], v[168:169], v[166:167], 1.0
	v_mul_f64 v[166:167], v[181:182], v[168:169]
	v_xor_b32_e32 v169, 0x80000000, v169
.LBB80_679:
	s_andn2_saveexec_b32 s1, s1
	s_cbranch_execz .LBB80_681
; %bb.680:
	v_div_scale_f64 v[181:182], null, v[166:167], v[166:167], v[168:169]
	v_div_scale_f64 v[187:188], vcc_lo, v[168:169], v[166:167], v[168:169]
	v_rcp_f64_e32 v[183:184], v[181:182]
	v_fma_f64 v[185:186], -v[181:182], v[183:184], 1.0
	v_fma_f64 v[183:184], v[183:184], v[185:186], v[183:184]
	v_fma_f64 v[185:186], -v[181:182], v[183:184], 1.0
	v_fma_f64 v[183:184], v[183:184], v[185:186], v[183:184]
	v_mul_f64 v[185:186], v[187:188], v[183:184]
	v_fma_f64 v[181:182], -v[181:182], v[185:186], v[187:188]
	v_div_fmas_f64 v[181:182], v[181:182], v[183:184], v[185:186]
	v_div_fixup_f64 v[181:182], v[181:182], v[166:167], v[168:169]
	v_fma_f64 v[166:167], v[168:169], v[181:182], v[166:167]
	v_div_scale_f64 v[168:169], null, v[166:167], v[166:167], 1.0
	v_rcp_f64_e32 v[183:184], v[168:169]
	v_fma_f64 v[185:186], -v[168:169], v[183:184], 1.0
	v_fma_f64 v[183:184], v[183:184], v[185:186], v[183:184]
	v_fma_f64 v[185:186], -v[168:169], v[183:184], 1.0
	v_fma_f64 v[183:184], v[183:184], v[185:186], v[183:184]
	v_div_scale_f64 v[185:186], vcc_lo, 1.0, v[166:167], 1.0
	v_mul_f64 v[187:188], v[185:186], v[183:184]
	v_fma_f64 v[168:169], -v[168:169], v[187:188], v[185:186]
	v_div_fmas_f64 v[168:169], v[168:169], v[183:184], v[187:188]
	v_div_fixup_f64 v[166:167], v[168:169], v[166:167], 1.0
	v_mul_f64 v[168:169], v[181:182], -v[166:167]
.LBB80_681:
	s_or_b32 exec_lo, exec_lo, s1
.LBB80_682:
	s_or_b32 exec_lo, exec_lo, s0
	s_mov_b32 s0, exec_lo
	v_cmpx_ne_u32_e64 v180, v174
	s_xor_b32 s0, exec_lo, s0
	s_cbranch_execz .LBB80_688
; %bb.683:
	s_mov_b32 s1, exec_lo
	v_cmpx_eq_u32_e32 32, v180
	s_cbranch_execz .LBB80_687
; %bb.684:
	v_cmp_ne_u32_e32 vcc_lo, 32, v174
	s_xor_b32 s2, s16, -1
	s_and_b32 s3, s2, vcc_lo
	s_and_saveexec_b32 s2, s3
	s_cbranch_execz .LBB80_686
; %bb.685:
	v_ashrrev_i32_e32 v175, 31, v174
	v_lshlrev_b64 v[180:181], 2, v[174:175]
	v_add_co_u32 v180, vcc_lo, v172, v180
	v_add_co_ci_u32_e64 v181, null, v173, v181, vcc_lo
	s_clause 0x1
	global_load_dword v0, v[180:181], off
	global_load_dword v175, v[172:173], off offset:128
	s_waitcnt vmcnt(1)
	global_store_dword v[172:173], v0, off offset:128
	s_waitcnt vmcnt(0)
	global_store_dword v[180:181], v175, off
.LBB80_686:
	s_or_b32 exec_lo, exec_lo, s2
	v_mov_b32_e32 v180, v174
	v_mov_b32_e32 v0, v174
.LBB80_687:
	s_or_b32 exec_lo, exec_lo, s1
.LBB80_688:
	s_andn2_saveexec_b32 s0, s0
	s_cbranch_execz .LBB80_690
; %bb.689:
	v_mov_b32_e32 v180, 32
	ds_write2_b64 v1, v[30:31], v[32:33] offset0:66 offset1:67
	ds_write2_b64 v1, v[26:27], v[28:29] offset0:68 offset1:69
	;; [unrolled: 1-line block ×8, first 2 shown]
.LBB80_690:
	s_or_b32 exec_lo, exec_lo, s0
	s_mov_b32 s0, exec_lo
	s_waitcnt lgkmcnt(0)
	s_waitcnt_vscnt null, 0x0
	s_barrier
	buffer_gl0_inv
	v_cmpx_lt_i32_e32 32, v180
	s_cbranch_execz .LBB80_692
; %bb.691:
	v_mul_f64 v[174:175], v[166:167], v[36:37]
	v_mul_f64 v[36:37], v[168:169], v[36:37]
	ds_read2_b64 v[181:184], v1 offset0:66 offset1:67
	ds_read2_b64 v[185:188], v1 offset0:68 offset1:69
	;; [unrolled: 1-line block ×8, first 2 shown]
	v_fma_f64 v[168:169], v[168:169], v[34:35], v[174:175]
	v_fma_f64 v[34:35], v[166:167], v[34:35], -v[36:37]
	s_waitcnt lgkmcnt(7)
	v_mul_f64 v[36:37], v[183:184], v[168:169]
	v_mul_f64 v[166:167], v[181:182], v[168:169]
	s_waitcnt lgkmcnt(6)
	v_mul_f64 v[174:175], v[187:188], v[168:169]
	v_mul_f64 v[213:214], v[185:186], v[168:169]
	;; [unrolled: 3-line block ×8, first 2 shown]
	v_fma_f64 v[36:37], v[181:182], v[34:35], -v[36:37]
	v_fma_f64 v[166:167], v[183:184], v[34:35], v[166:167]
	v_fma_f64 v[174:175], v[185:186], v[34:35], -v[174:175]
	v_fma_f64 v[181:182], v[187:188], v[34:35], v[213:214]
	;; [unrolled: 2-line block ×8, first 2 shown]
	v_add_f64 v[30:31], v[30:31], -v[36:37]
	v_add_f64 v[32:33], v[32:33], -v[166:167]
	;; [unrolled: 1-line block ×16, first 2 shown]
	v_mov_b32_e32 v36, v168
	v_mov_b32_e32 v37, v169
.LBB80_692:
	s_or_b32 exec_lo, exec_lo, s0
	v_lshl_add_u32 v166, v180, 4, v1
	s_barrier
	buffer_gl0_inv
	v_mov_b32_e32 v174, 33
	ds_write2_b64 v166, v[30:31], v[32:33] offset1:1
	s_waitcnt lgkmcnt(0)
	s_barrier
	buffer_gl0_inv
	ds_read2_b64 v[166:169], v1 offset0:66 offset1:67
	s_cmp_lt_i32 s18, 35
	s_cbranch_scc1 .LBB80_695
; %bb.693:
	v_add3_u32 v175, v176, 0, 0x220
	v_mov_b32_e32 v174, 33
	s_mov_b32 s1, 34
	s_inst_prefetch 0x1
	.p2align	6
.LBB80_694:                             ; =>This Inner Loop Header: Depth=1
	s_waitcnt lgkmcnt(0)
	v_cmp_gt_f64_e32 vcc_lo, 0, v[168:169]
	v_cmp_gt_f64_e64 s0, 0, v[166:167]
	ds_read2_b64 v[181:184], v175 offset1:1
	v_xor_b32_e32 v186, 0x80000000, v167
	v_xor_b32_e32 v188, 0x80000000, v169
	v_mov_b32_e32 v185, v166
	v_mov_b32_e32 v187, v168
	v_add_nc_u32_e32 v175, 16, v175
	s_waitcnt lgkmcnt(0)
	v_xor_b32_e32 v190, 0x80000000, v184
	v_cndmask_b32_e64 v186, v167, v186, s0
	v_cndmask_b32_e32 v188, v169, v188, vcc_lo
	v_cmp_gt_f64_e32 vcc_lo, 0, v[183:184]
	v_cmp_gt_f64_e64 s0, 0, v[181:182]
	v_mov_b32_e32 v189, v183
	v_add_f64 v[185:186], v[185:186], v[187:188]
	v_xor_b32_e32 v188, 0x80000000, v182
	v_mov_b32_e32 v187, v181
	v_cndmask_b32_e32 v190, v184, v190, vcc_lo
	v_cndmask_b32_e64 v188, v182, v188, s0
	v_add_f64 v[187:188], v[187:188], v[189:190]
	v_cmp_lt_f64_e32 vcc_lo, v[185:186], v[187:188]
	v_cndmask_b32_e32 v167, v167, v182, vcc_lo
	v_cndmask_b32_e32 v166, v166, v181, vcc_lo
	;; [unrolled: 1-line block ×4, first 2 shown]
	v_cndmask_b32_e64 v174, v174, s1, vcc_lo
	s_add_i32 s1, s1, 1
	s_cmp_lg_u32 s18, s1
	s_cbranch_scc1 .LBB80_694
.LBB80_695:
	s_inst_prefetch 0x2
	s_waitcnt lgkmcnt(0)
	v_cmp_eq_f64_e32 vcc_lo, 0, v[166:167]
	v_cmp_eq_f64_e64 s0, 0, v[168:169]
	s_and_b32 s0, vcc_lo, s0
	s_and_saveexec_b32 s1, s0
	s_xor_b32 s0, exec_lo, s1
; %bb.696:
	v_cmp_ne_u32_e32 vcc_lo, 0, v179
	v_cndmask_b32_e32 v179, 34, v179, vcc_lo
; %bb.697:
	s_andn2_saveexec_b32 s0, s0
	s_cbranch_execz .LBB80_703
; %bb.698:
	v_cmp_ngt_f64_e64 s1, |v[166:167]|, |v[168:169]|
	s_and_saveexec_b32 s2, s1
	s_xor_b32 s1, exec_lo, s2
	s_cbranch_execz .LBB80_700
; %bb.699:
	v_div_scale_f64 v[181:182], null, v[168:169], v[168:169], v[166:167]
	v_div_scale_f64 v[187:188], vcc_lo, v[166:167], v[168:169], v[166:167]
	v_rcp_f64_e32 v[183:184], v[181:182]
	v_fma_f64 v[185:186], -v[181:182], v[183:184], 1.0
	v_fma_f64 v[183:184], v[183:184], v[185:186], v[183:184]
	v_fma_f64 v[185:186], -v[181:182], v[183:184], 1.0
	v_fma_f64 v[183:184], v[183:184], v[185:186], v[183:184]
	v_mul_f64 v[185:186], v[187:188], v[183:184]
	v_fma_f64 v[181:182], -v[181:182], v[185:186], v[187:188]
	v_div_fmas_f64 v[181:182], v[181:182], v[183:184], v[185:186]
	v_div_fixup_f64 v[181:182], v[181:182], v[168:169], v[166:167]
	v_fma_f64 v[166:167], v[166:167], v[181:182], v[168:169]
	v_div_scale_f64 v[168:169], null, v[166:167], v[166:167], 1.0
	v_rcp_f64_e32 v[183:184], v[168:169]
	v_fma_f64 v[185:186], -v[168:169], v[183:184], 1.0
	v_fma_f64 v[183:184], v[183:184], v[185:186], v[183:184]
	v_fma_f64 v[185:186], -v[168:169], v[183:184], 1.0
	v_fma_f64 v[183:184], v[183:184], v[185:186], v[183:184]
	v_div_scale_f64 v[185:186], vcc_lo, 1.0, v[166:167], 1.0
	v_mul_f64 v[187:188], v[185:186], v[183:184]
	v_fma_f64 v[168:169], -v[168:169], v[187:188], v[185:186]
	v_div_fmas_f64 v[168:169], v[168:169], v[183:184], v[187:188]
	v_div_fixup_f64 v[168:169], v[168:169], v[166:167], 1.0
	v_mul_f64 v[166:167], v[181:182], v[168:169]
	v_xor_b32_e32 v169, 0x80000000, v169
.LBB80_700:
	s_andn2_saveexec_b32 s1, s1
	s_cbranch_execz .LBB80_702
; %bb.701:
	v_div_scale_f64 v[181:182], null, v[166:167], v[166:167], v[168:169]
	v_div_scale_f64 v[187:188], vcc_lo, v[168:169], v[166:167], v[168:169]
	v_rcp_f64_e32 v[183:184], v[181:182]
	v_fma_f64 v[185:186], -v[181:182], v[183:184], 1.0
	v_fma_f64 v[183:184], v[183:184], v[185:186], v[183:184]
	v_fma_f64 v[185:186], -v[181:182], v[183:184], 1.0
	v_fma_f64 v[183:184], v[183:184], v[185:186], v[183:184]
	v_mul_f64 v[185:186], v[187:188], v[183:184]
	v_fma_f64 v[181:182], -v[181:182], v[185:186], v[187:188]
	v_div_fmas_f64 v[181:182], v[181:182], v[183:184], v[185:186]
	v_div_fixup_f64 v[181:182], v[181:182], v[166:167], v[168:169]
	v_fma_f64 v[166:167], v[168:169], v[181:182], v[166:167]
	v_div_scale_f64 v[168:169], null, v[166:167], v[166:167], 1.0
	v_rcp_f64_e32 v[183:184], v[168:169]
	v_fma_f64 v[185:186], -v[168:169], v[183:184], 1.0
	v_fma_f64 v[183:184], v[183:184], v[185:186], v[183:184]
	v_fma_f64 v[185:186], -v[168:169], v[183:184], 1.0
	v_fma_f64 v[183:184], v[183:184], v[185:186], v[183:184]
	v_div_scale_f64 v[185:186], vcc_lo, 1.0, v[166:167], 1.0
	v_mul_f64 v[187:188], v[185:186], v[183:184]
	v_fma_f64 v[168:169], -v[168:169], v[187:188], v[185:186]
	v_div_fmas_f64 v[168:169], v[168:169], v[183:184], v[187:188]
	v_div_fixup_f64 v[166:167], v[168:169], v[166:167], 1.0
	v_mul_f64 v[168:169], v[181:182], -v[166:167]
.LBB80_702:
	s_or_b32 exec_lo, exec_lo, s1
.LBB80_703:
	s_or_b32 exec_lo, exec_lo, s0
	s_mov_b32 s0, exec_lo
	v_cmpx_ne_u32_e64 v180, v174
	s_xor_b32 s0, exec_lo, s0
	s_cbranch_execz .LBB80_709
; %bb.704:
	s_mov_b32 s1, exec_lo
	v_cmpx_eq_u32_e32 33, v180
	s_cbranch_execz .LBB80_708
; %bb.705:
	v_cmp_ne_u32_e32 vcc_lo, 33, v174
	s_xor_b32 s2, s16, -1
	s_and_b32 s3, s2, vcc_lo
	s_and_saveexec_b32 s2, s3
	s_cbranch_execz .LBB80_707
; %bb.706:
	v_ashrrev_i32_e32 v175, 31, v174
	v_lshlrev_b64 v[180:181], 2, v[174:175]
	v_add_co_u32 v180, vcc_lo, v172, v180
	v_add_co_ci_u32_e64 v181, null, v173, v181, vcc_lo
	s_clause 0x1
	global_load_dword v0, v[180:181], off
	global_load_dword v175, v[172:173], off offset:132
	s_waitcnt vmcnt(1)
	global_store_dword v[172:173], v0, off offset:132
	s_waitcnt vmcnt(0)
	global_store_dword v[180:181], v175, off
.LBB80_707:
	s_or_b32 exec_lo, exec_lo, s2
	v_mov_b32_e32 v180, v174
	v_mov_b32_e32 v0, v174
.LBB80_708:
	s_or_b32 exec_lo, exec_lo, s1
.LBB80_709:
	s_andn2_saveexec_b32 s0, s0
	s_cbranch_execz .LBB80_711
; %bb.710:
	v_mov_b32_e32 v180, 33
	ds_write2_b64 v1, v[26:27], v[28:29] offset0:68 offset1:69
	ds_write2_b64 v1, v[22:23], v[24:25] offset0:70 offset1:71
	;; [unrolled: 1-line block ×7, first 2 shown]
.LBB80_711:
	s_or_b32 exec_lo, exec_lo, s0
	s_mov_b32 s0, exec_lo
	s_waitcnt lgkmcnt(0)
	s_waitcnt_vscnt null, 0x0
	s_barrier
	buffer_gl0_inv
	v_cmpx_lt_i32_e32 33, v180
	s_cbranch_execz .LBB80_713
; %bb.712:
	v_mul_f64 v[174:175], v[166:167], v[32:33]
	v_mul_f64 v[32:33], v[168:169], v[32:33]
	ds_read2_b64 v[181:184], v1 offset0:68 offset1:69
	ds_read2_b64 v[185:188], v1 offset0:70 offset1:71
	;; [unrolled: 1-line block ×7, first 2 shown]
	v_fma_f64 v[168:169], v[168:169], v[30:31], v[174:175]
	v_fma_f64 v[30:31], v[166:167], v[30:31], -v[32:33]
	s_waitcnt lgkmcnt(6)
	v_mul_f64 v[32:33], v[183:184], v[168:169]
	v_mul_f64 v[166:167], v[181:182], v[168:169]
	s_waitcnt lgkmcnt(5)
	v_mul_f64 v[174:175], v[187:188], v[168:169]
	v_mul_f64 v[209:210], v[185:186], v[168:169]
	;; [unrolled: 3-line block ×7, first 2 shown]
	v_fma_f64 v[32:33], v[181:182], v[30:31], -v[32:33]
	v_fma_f64 v[166:167], v[183:184], v[30:31], v[166:167]
	v_fma_f64 v[174:175], v[185:186], v[30:31], -v[174:175]
	v_fma_f64 v[181:182], v[187:188], v[30:31], v[209:210]
	;; [unrolled: 2-line block ×7, first 2 shown]
	v_add_f64 v[26:27], v[26:27], -v[32:33]
	v_add_f64 v[28:29], v[28:29], -v[166:167]
	;; [unrolled: 1-line block ×14, first 2 shown]
	v_mov_b32_e32 v32, v168
	v_mov_b32_e32 v33, v169
.LBB80_713:
	s_or_b32 exec_lo, exec_lo, s0
	v_lshl_add_u32 v166, v180, 4, v1
	s_barrier
	buffer_gl0_inv
	v_mov_b32_e32 v174, 34
	ds_write2_b64 v166, v[26:27], v[28:29] offset1:1
	s_waitcnt lgkmcnt(0)
	s_barrier
	buffer_gl0_inv
	ds_read2_b64 v[166:169], v1 offset0:68 offset1:69
	s_cmp_lt_i32 s18, 36
	s_cbranch_scc1 .LBB80_716
; %bb.714:
	v_add3_u32 v175, v176, 0, 0x230
	v_mov_b32_e32 v174, 34
	s_mov_b32 s1, 35
	s_inst_prefetch 0x1
	.p2align	6
.LBB80_715:                             ; =>This Inner Loop Header: Depth=1
	s_waitcnt lgkmcnt(0)
	v_cmp_gt_f64_e32 vcc_lo, 0, v[168:169]
	v_cmp_gt_f64_e64 s0, 0, v[166:167]
	ds_read2_b64 v[181:184], v175 offset1:1
	v_xor_b32_e32 v186, 0x80000000, v167
	v_xor_b32_e32 v188, 0x80000000, v169
	v_mov_b32_e32 v185, v166
	v_mov_b32_e32 v187, v168
	v_add_nc_u32_e32 v175, 16, v175
	s_waitcnt lgkmcnt(0)
	v_xor_b32_e32 v190, 0x80000000, v184
	v_cndmask_b32_e64 v186, v167, v186, s0
	v_cndmask_b32_e32 v188, v169, v188, vcc_lo
	v_cmp_gt_f64_e32 vcc_lo, 0, v[183:184]
	v_cmp_gt_f64_e64 s0, 0, v[181:182]
	v_mov_b32_e32 v189, v183
	v_add_f64 v[185:186], v[185:186], v[187:188]
	v_xor_b32_e32 v188, 0x80000000, v182
	v_mov_b32_e32 v187, v181
	v_cndmask_b32_e32 v190, v184, v190, vcc_lo
	v_cndmask_b32_e64 v188, v182, v188, s0
	v_add_f64 v[187:188], v[187:188], v[189:190]
	v_cmp_lt_f64_e32 vcc_lo, v[185:186], v[187:188]
	v_cndmask_b32_e32 v167, v167, v182, vcc_lo
	v_cndmask_b32_e32 v166, v166, v181, vcc_lo
	;; [unrolled: 1-line block ×4, first 2 shown]
	v_cndmask_b32_e64 v174, v174, s1, vcc_lo
	s_add_i32 s1, s1, 1
	s_cmp_lg_u32 s18, s1
	s_cbranch_scc1 .LBB80_715
.LBB80_716:
	s_inst_prefetch 0x2
	s_waitcnt lgkmcnt(0)
	v_cmp_eq_f64_e32 vcc_lo, 0, v[166:167]
	v_cmp_eq_f64_e64 s0, 0, v[168:169]
	s_and_b32 s0, vcc_lo, s0
	s_and_saveexec_b32 s1, s0
	s_xor_b32 s0, exec_lo, s1
; %bb.717:
	v_cmp_ne_u32_e32 vcc_lo, 0, v179
	v_cndmask_b32_e32 v179, 35, v179, vcc_lo
; %bb.718:
	s_andn2_saveexec_b32 s0, s0
	s_cbranch_execz .LBB80_724
; %bb.719:
	v_cmp_ngt_f64_e64 s1, |v[166:167]|, |v[168:169]|
	s_and_saveexec_b32 s2, s1
	s_xor_b32 s1, exec_lo, s2
	s_cbranch_execz .LBB80_721
; %bb.720:
	v_div_scale_f64 v[181:182], null, v[168:169], v[168:169], v[166:167]
	v_div_scale_f64 v[187:188], vcc_lo, v[166:167], v[168:169], v[166:167]
	v_rcp_f64_e32 v[183:184], v[181:182]
	v_fma_f64 v[185:186], -v[181:182], v[183:184], 1.0
	v_fma_f64 v[183:184], v[183:184], v[185:186], v[183:184]
	v_fma_f64 v[185:186], -v[181:182], v[183:184], 1.0
	v_fma_f64 v[183:184], v[183:184], v[185:186], v[183:184]
	v_mul_f64 v[185:186], v[187:188], v[183:184]
	v_fma_f64 v[181:182], -v[181:182], v[185:186], v[187:188]
	v_div_fmas_f64 v[181:182], v[181:182], v[183:184], v[185:186]
	v_div_fixup_f64 v[181:182], v[181:182], v[168:169], v[166:167]
	v_fma_f64 v[166:167], v[166:167], v[181:182], v[168:169]
	v_div_scale_f64 v[168:169], null, v[166:167], v[166:167], 1.0
	v_rcp_f64_e32 v[183:184], v[168:169]
	v_fma_f64 v[185:186], -v[168:169], v[183:184], 1.0
	v_fma_f64 v[183:184], v[183:184], v[185:186], v[183:184]
	v_fma_f64 v[185:186], -v[168:169], v[183:184], 1.0
	v_fma_f64 v[183:184], v[183:184], v[185:186], v[183:184]
	v_div_scale_f64 v[185:186], vcc_lo, 1.0, v[166:167], 1.0
	v_mul_f64 v[187:188], v[185:186], v[183:184]
	v_fma_f64 v[168:169], -v[168:169], v[187:188], v[185:186]
	v_div_fmas_f64 v[168:169], v[168:169], v[183:184], v[187:188]
	v_div_fixup_f64 v[168:169], v[168:169], v[166:167], 1.0
	v_mul_f64 v[166:167], v[181:182], v[168:169]
	v_xor_b32_e32 v169, 0x80000000, v169
.LBB80_721:
	s_andn2_saveexec_b32 s1, s1
	s_cbranch_execz .LBB80_723
; %bb.722:
	v_div_scale_f64 v[181:182], null, v[166:167], v[166:167], v[168:169]
	v_div_scale_f64 v[187:188], vcc_lo, v[168:169], v[166:167], v[168:169]
	v_rcp_f64_e32 v[183:184], v[181:182]
	v_fma_f64 v[185:186], -v[181:182], v[183:184], 1.0
	v_fma_f64 v[183:184], v[183:184], v[185:186], v[183:184]
	v_fma_f64 v[185:186], -v[181:182], v[183:184], 1.0
	v_fma_f64 v[183:184], v[183:184], v[185:186], v[183:184]
	v_mul_f64 v[185:186], v[187:188], v[183:184]
	v_fma_f64 v[181:182], -v[181:182], v[185:186], v[187:188]
	v_div_fmas_f64 v[181:182], v[181:182], v[183:184], v[185:186]
	v_div_fixup_f64 v[181:182], v[181:182], v[166:167], v[168:169]
	v_fma_f64 v[166:167], v[168:169], v[181:182], v[166:167]
	v_div_scale_f64 v[168:169], null, v[166:167], v[166:167], 1.0
	v_rcp_f64_e32 v[183:184], v[168:169]
	v_fma_f64 v[185:186], -v[168:169], v[183:184], 1.0
	v_fma_f64 v[183:184], v[183:184], v[185:186], v[183:184]
	v_fma_f64 v[185:186], -v[168:169], v[183:184], 1.0
	v_fma_f64 v[183:184], v[183:184], v[185:186], v[183:184]
	v_div_scale_f64 v[185:186], vcc_lo, 1.0, v[166:167], 1.0
	v_mul_f64 v[187:188], v[185:186], v[183:184]
	v_fma_f64 v[168:169], -v[168:169], v[187:188], v[185:186]
	v_div_fmas_f64 v[168:169], v[168:169], v[183:184], v[187:188]
	v_div_fixup_f64 v[166:167], v[168:169], v[166:167], 1.0
	v_mul_f64 v[168:169], v[181:182], -v[166:167]
.LBB80_723:
	s_or_b32 exec_lo, exec_lo, s1
.LBB80_724:
	s_or_b32 exec_lo, exec_lo, s0
	s_mov_b32 s0, exec_lo
	v_cmpx_ne_u32_e64 v180, v174
	s_xor_b32 s0, exec_lo, s0
	s_cbranch_execz .LBB80_730
; %bb.725:
	s_mov_b32 s1, exec_lo
	v_cmpx_eq_u32_e32 34, v180
	s_cbranch_execz .LBB80_729
; %bb.726:
	v_cmp_ne_u32_e32 vcc_lo, 34, v174
	s_xor_b32 s2, s16, -1
	s_and_b32 s3, s2, vcc_lo
	s_and_saveexec_b32 s2, s3
	s_cbranch_execz .LBB80_728
; %bb.727:
	v_ashrrev_i32_e32 v175, 31, v174
	v_lshlrev_b64 v[180:181], 2, v[174:175]
	v_add_co_u32 v180, vcc_lo, v172, v180
	v_add_co_ci_u32_e64 v181, null, v173, v181, vcc_lo
	s_clause 0x1
	global_load_dword v0, v[180:181], off
	global_load_dword v175, v[172:173], off offset:136
	s_waitcnt vmcnt(1)
	global_store_dword v[172:173], v0, off offset:136
	s_waitcnt vmcnt(0)
	global_store_dword v[180:181], v175, off
.LBB80_728:
	s_or_b32 exec_lo, exec_lo, s2
	v_mov_b32_e32 v180, v174
	v_mov_b32_e32 v0, v174
.LBB80_729:
	s_or_b32 exec_lo, exec_lo, s1
.LBB80_730:
	s_andn2_saveexec_b32 s0, s0
	s_cbranch_execz .LBB80_732
; %bb.731:
	v_mov_b32_e32 v180, 34
	ds_write2_b64 v1, v[22:23], v[24:25] offset0:70 offset1:71
	ds_write2_b64 v1, v[18:19], v[20:21] offset0:72 offset1:73
	;; [unrolled: 1-line block ×6, first 2 shown]
.LBB80_732:
	s_or_b32 exec_lo, exec_lo, s0
	s_mov_b32 s0, exec_lo
	s_waitcnt lgkmcnt(0)
	s_waitcnt_vscnt null, 0x0
	s_barrier
	buffer_gl0_inv
	v_cmpx_lt_i32_e32 34, v180
	s_cbranch_execz .LBB80_734
; %bb.733:
	v_mul_f64 v[174:175], v[166:167], v[28:29]
	v_mul_f64 v[28:29], v[168:169], v[28:29]
	ds_read2_b64 v[181:184], v1 offset0:70 offset1:71
	ds_read2_b64 v[185:188], v1 offset0:72 offset1:73
	;; [unrolled: 1-line block ×6, first 2 shown]
	v_fma_f64 v[168:169], v[168:169], v[26:27], v[174:175]
	v_fma_f64 v[26:27], v[166:167], v[26:27], -v[28:29]
	s_waitcnt lgkmcnt(5)
	v_mul_f64 v[28:29], v[183:184], v[168:169]
	v_mul_f64 v[166:167], v[181:182], v[168:169]
	s_waitcnt lgkmcnt(4)
	v_mul_f64 v[174:175], v[187:188], v[168:169]
	v_mul_f64 v[205:206], v[185:186], v[168:169]
	s_waitcnt lgkmcnt(3)
	v_mul_f64 v[207:208], v[191:192], v[168:169]
	v_mul_f64 v[209:210], v[189:190], v[168:169]
	s_waitcnt lgkmcnt(2)
	v_mul_f64 v[211:212], v[195:196], v[168:169]
	v_mul_f64 v[213:214], v[193:194], v[168:169]
	s_waitcnt lgkmcnt(1)
	v_mul_f64 v[215:216], v[199:200], v[168:169]
	v_mul_f64 v[217:218], v[197:198], v[168:169]
	s_waitcnt lgkmcnt(0)
	v_mul_f64 v[219:220], v[203:204], v[168:169]
	v_mul_f64 v[221:222], v[201:202], v[168:169]
	v_fma_f64 v[28:29], v[181:182], v[26:27], -v[28:29]
	v_fma_f64 v[166:167], v[183:184], v[26:27], v[166:167]
	v_fma_f64 v[174:175], v[185:186], v[26:27], -v[174:175]
	v_fma_f64 v[181:182], v[187:188], v[26:27], v[205:206]
	;; [unrolled: 2-line block ×6, first 2 shown]
	v_add_f64 v[22:23], v[22:23], -v[28:29]
	v_add_f64 v[24:25], v[24:25], -v[166:167]
	;; [unrolled: 1-line block ×12, first 2 shown]
	v_mov_b32_e32 v28, v168
	v_mov_b32_e32 v29, v169
.LBB80_734:
	s_or_b32 exec_lo, exec_lo, s0
	v_lshl_add_u32 v166, v180, 4, v1
	s_barrier
	buffer_gl0_inv
	v_mov_b32_e32 v174, 35
	ds_write2_b64 v166, v[22:23], v[24:25] offset1:1
	s_waitcnt lgkmcnt(0)
	s_barrier
	buffer_gl0_inv
	ds_read2_b64 v[166:169], v1 offset0:70 offset1:71
	s_cmp_lt_i32 s18, 37
	s_cbranch_scc1 .LBB80_737
; %bb.735:
	v_add3_u32 v175, v176, 0, 0x240
	v_mov_b32_e32 v174, 35
	s_mov_b32 s1, 36
	s_inst_prefetch 0x1
	.p2align	6
.LBB80_736:                             ; =>This Inner Loop Header: Depth=1
	s_waitcnt lgkmcnt(0)
	v_cmp_gt_f64_e32 vcc_lo, 0, v[168:169]
	v_cmp_gt_f64_e64 s0, 0, v[166:167]
	ds_read2_b64 v[181:184], v175 offset1:1
	v_xor_b32_e32 v186, 0x80000000, v167
	v_xor_b32_e32 v188, 0x80000000, v169
	v_mov_b32_e32 v185, v166
	v_mov_b32_e32 v187, v168
	v_add_nc_u32_e32 v175, 16, v175
	s_waitcnt lgkmcnt(0)
	v_xor_b32_e32 v190, 0x80000000, v184
	v_cndmask_b32_e64 v186, v167, v186, s0
	v_cndmask_b32_e32 v188, v169, v188, vcc_lo
	v_cmp_gt_f64_e32 vcc_lo, 0, v[183:184]
	v_cmp_gt_f64_e64 s0, 0, v[181:182]
	v_mov_b32_e32 v189, v183
	v_add_f64 v[185:186], v[185:186], v[187:188]
	v_xor_b32_e32 v188, 0x80000000, v182
	v_mov_b32_e32 v187, v181
	v_cndmask_b32_e32 v190, v184, v190, vcc_lo
	v_cndmask_b32_e64 v188, v182, v188, s0
	v_add_f64 v[187:188], v[187:188], v[189:190]
	v_cmp_lt_f64_e32 vcc_lo, v[185:186], v[187:188]
	v_cndmask_b32_e32 v167, v167, v182, vcc_lo
	v_cndmask_b32_e32 v166, v166, v181, vcc_lo
	;; [unrolled: 1-line block ×4, first 2 shown]
	v_cndmask_b32_e64 v174, v174, s1, vcc_lo
	s_add_i32 s1, s1, 1
	s_cmp_lg_u32 s18, s1
	s_cbranch_scc1 .LBB80_736
.LBB80_737:
	s_inst_prefetch 0x2
	s_waitcnt lgkmcnt(0)
	v_cmp_eq_f64_e32 vcc_lo, 0, v[166:167]
	v_cmp_eq_f64_e64 s0, 0, v[168:169]
	s_and_b32 s0, vcc_lo, s0
	s_and_saveexec_b32 s1, s0
	s_xor_b32 s0, exec_lo, s1
; %bb.738:
	v_cmp_ne_u32_e32 vcc_lo, 0, v179
	v_cndmask_b32_e32 v179, 36, v179, vcc_lo
; %bb.739:
	s_andn2_saveexec_b32 s0, s0
	s_cbranch_execz .LBB80_745
; %bb.740:
	v_cmp_ngt_f64_e64 s1, |v[166:167]|, |v[168:169]|
	s_and_saveexec_b32 s2, s1
	s_xor_b32 s1, exec_lo, s2
	s_cbranch_execz .LBB80_742
; %bb.741:
	v_div_scale_f64 v[181:182], null, v[168:169], v[168:169], v[166:167]
	v_div_scale_f64 v[187:188], vcc_lo, v[166:167], v[168:169], v[166:167]
	v_rcp_f64_e32 v[183:184], v[181:182]
	v_fma_f64 v[185:186], -v[181:182], v[183:184], 1.0
	v_fma_f64 v[183:184], v[183:184], v[185:186], v[183:184]
	v_fma_f64 v[185:186], -v[181:182], v[183:184], 1.0
	v_fma_f64 v[183:184], v[183:184], v[185:186], v[183:184]
	v_mul_f64 v[185:186], v[187:188], v[183:184]
	v_fma_f64 v[181:182], -v[181:182], v[185:186], v[187:188]
	v_div_fmas_f64 v[181:182], v[181:182], v[183:184], v[185:186]
	v_div_fixup_f64 v[181:182], v[181:182], v[168:169], v[166:167]
	v_fma_f64 v[166:167], v[166:167], v[181:182], v[168:169]
	v_div_scale_f64 v[168:169], null, v[166:167], v[166:167], 1.0
	v_rcp_f64_e32 v[183:184], v[168:169]
	v_fma_f64 v[185:186], -v[168:169], v[183:184], 1.0
	v_fma_f64 v[183:184], v[183:184], v[185:186], v[183:184]
	v_fma_f64 v[185:186], -v[168:169], v[183:184], 1.0
	v_fma_f64 v[183:184], v[183:184], v[185:186], v[183:184]
	v_div_scale_f64 v[185:186], vcc_lo, 1.0, v[166:167], 1.0
	v_mul_f64 v[187:188], v[185:186], v[183:184]
	v_fma_f64 v[168:169], -v[168:169], v[187:188], v[185:186]
	v_div_fmas_f64 v[168:169], v[168:169], v[183:184], v[187:188]
	v_div_fixup_f64 v[168:169], v[168:169], v[166:167], 1.0
	v_mul_f64 v[166:167], v[181:182], v[168:169]
	v_xor_b32_e32 v169, 0x80000000, v169
.LBB80_742:
	s_andn2_saveexec_b32 s1, s1
	s_cbranch_execz .LBB80_744
; %bb.743:
	v_div_scale_f64 v[181:182], null, v[166:167], v[166:167], v[168:169]
	v_div_scale_f64 v[187:188], vcc_lo, v[168:169], v[166:167], v[168:169]
	v_rcp_f64_e32 v[183:184], v[181:182]
	v_fma_f64 v[185:186], -v[181:182], v[183:184], 1.0
	v_fma_f64 v[183:184], v[183:184], v[185:186], v[183:184]
	v_fma_f64 v[185:186], -v[181:182], v[183:184], 1.0
	v_fma_f64 v[183:184], v[183:184], v[185:186], v[183:184]
	v_mul_f64 v[185:186], v[187:188], v[183:184]
	v_fma_f64 v[181:182], -v[181:182], v[185:186], v[187:188]
	v_div_fmas_f64 v[181:182], v[181:182], v[183:184], v[185:186]
	v_div_fixup_f64 v[181:182], v[181:182], v[166:167], v[168:169]
	v_fma_f64 v[166:167], v[168:169], v[181:182], v[166:167]
	v_div_scale_f64 v[168:169], null, v[166:167], v[166:167], 1.0
	v_rcp_f64_e32 v[183:184], v[168:169]
	v_fma_f64 v[185:186], -v[168:169], v[183:184], 1.0
	v_fma_f64 v[183:184], v[183:184], v[185:186], v[183:184]
	v_fma_f64 v[185:186], -v[168:169], v[183:184], 1.0
	v_fma_f64 v[183:184], v[183:184], v[185:186], v[183:184]
	v_div_scale_f64 v[185:186], vcc_lo, 1.0, v[166:167], 1.0
	v_mul_f64 v[187:188], v[185:186], v[183:184]
	v_fma_f64 v[168:169], -v[168:169], v[187:188], v[185:186]
	v_div_fmas_f64 v[168:169], v[168:169], v[183:184], v[187:188]
	v_div_fixup_f64 v[166:167], v[168:169], v[166:167], 1.0
	v_mul_f64 v[168:169], v[181:182], -v[166:167]
.LBB80_744:
	s_or_b32 exec_lo, exec_lo, s1
.LBB80_745:
	s_or_b32 exec_lo, exec_lo, s0
	s_mov_b32 s0, exec_lo
	v_cmpx_ne_u32_e64 v180, v174
	s_xor_b32 s0, exec_lo, s0
	s_cbranch_execz .LBB80_751
; %bb.746:
	s_mov_b32 s1, exec_lo
	v_cmpx_eq_u32_e32 35, v180
	s_cbranch_execz .LBB80_750
; %bb.747:
	v_cmp_ne_u32_e32 vcc_lo, 35, v174
	s_xor_b32 s2, s16, -1
	s_and_b32 s3, s2, vcc_lo
	s_and_saveexec_b32 s2, s3
	s_cbranch_execz .LBB80_749
; %bb.748:
	v_ashrrev_i32_e32 v175, 31, v174
	v_lshlrev_b64 v[180:181], 2, v[174:175]
	v_add_co_u32 v180, vcc_lo, v172, v180
	v_add_co_ci_u32_e64 v181, null, v173, v181, vcc_lo
	s_clause 0x1
	global_load_dword v0, v[180:181], off
	global_load_dword v175, v[172:173], off offset:140
	s_waitcnt vmcnt(1)
	global_store_dword v[172:173], v0, off offset:140
	s_waitcnt vmcnt(0)
	global_store_dword v[180:181], v175, off
.LBB80_749:
	s_or_b32 exec_lo, exec_lo, s2
	v_mov_b32_e32 v180, v174
	v_mov_b32_e32 v0, v174
.LBB80_750:
	s_or_b32 exec_lo, exec_lo, s1
.LBB80_751:
	s_andn2_saveexec_b32 s0, s0
	s_cbranch_execz .LBB80_753
; %bb.752:
	v_mov_b32_e32 v180, 35
	ds_write2_b64 v1, v[18:19], v[20:21] offset0:72 offset1:73
	ds_write2_b64 v1, v[14:15], v[16:17] offset0:74 offset1:75
	;; [unrolled: 1-line block ×5, first 2 shown]
.LBB80_753:
	s_or_b32 exec_lo, exec_lo, s0
	s_mov_b32 s0, exec_lo
	s_waitcnt lgkmcnt(0)
	s_waitcnt_vscnt null, 0x0
	s_barrier
	buffer_gl0_inv
	v_cmpx_lt_i32_e32 35, v180
	s_cbranch_execz .LBB80_755
; %bb.754:
	v_mul_f64 v[174:175], v[166:167], v[24:25]
	v_mul_f64 v[24:25], v[168:169], v[24:25]
	ds_read2_b64 v[181:184], v1 offset0:72 offset1:73
	ds_read2_b64 v[185:188], v1 offset0:74 offset1:75
	ds_read2_b64 v[189:192], v1 offset0:76 offset1:77
	ds_read2_b64 v[193:196], v1 offset0:78 offset1:79
	ds_read2_b64 v[197:200], v1 offset0:80 offset1:81
	v_fma_f64 v[168:169], v[168:169], v[22:23], v[174:175]
	v_fma_f64 v[22:23], v[166:167], v[22:23], -v[24:25]
	s_waitcnt lgkmcnt(4)
	v_mul_f64 v[24:25], v[183:184], v[168:169]
	v_mul_f64 v[166:167], v[181:182], v[168:169]
	s_waitcnt lgkmcnt(3)
	v_mul_f64 v[174:175], v[187:188], v[168:169]
	v_mul_f64 v[201:202], v[185:186], v[168:169]
	;; [unrolled: 3-line block ×5, first 2 shown]
	v_fma_f64 v[24:25], v[181:182], v[22:23], -v[24:25]
	v_fma_f64 v[166:167], v[183:184], v[22:23], v[166:167]
	v_fma_f64 v[174:175], v[185:186], v[22:23], -v[174:175]
	v_fma_f64 v[181:182], v[187:188], v[22:23], v[201:202]
	;; [unrolled: 2-line block ×5, first 2 shown]
	v_add_f64 v[18:19], v[18:19], -v[24:25]
	v_add_f64 v[20:21], v[20:21], -v[166:167]
	;; [unrolled: 1-line block ×10, first 2 shown]
	v_mov_b32_e32 v24, v168
	v_mov_b32_e32 v25, v169
.LBB80_755:
	s_or_b32 exec_lo, exec_lo, s0
	v_lshl_add_u32 v166, v180, 4, v1
	s_barrier
	buffer_gl0_inv
	v_mov_b32_e32 v174, 36
	ds_write2_b64 v166, v[18:19], v[20:21] offset1:1
	s_waitcnt lgkmcnt(0)
	s_barrier
	buffer_gl0_inv
	ds_read2_b64 v[166:169], v1 offset0:72 offset1:73
	s_cmp_lt_i32 s18, 38
	s_cbranch_scc1 .LBB80_758
; %bb.756:
	v_add3_u32 v175, v176, 0, 0x250
	v_mov_b32_e32 v174, 36
	s_mov_b32 s1, 37
	s_inst_prefetch 0x1
	.p2align	6
.LBB80_757:                             ; =>This Inner Loop Header: Depth=1
	s_waitcnt lgkmcnt(0)
	v_cmp_gt_f64_e32 vcc_lo, 0, v[168:169]
	v_cmp_gt_f64_e64 s0, 0, v[166:167]
	ds_read2_b64 v[181:184], v175 offset1:1
	v_xor_b32_e32 v186, 0x80000000, v167
	v_xor_b32_e32 v188, 0x80000000, v169
	v_mov_b32_e32 v185, v166
	v_mov_b32_e32 v187, v168
	v_add_nc_u32_e32 v175, 16, v175
	s_waitcnt lgkmcnt(0)
	v_xor_b32_e32 v190, 0x80000000, v184
	v_cndmask_b32_e64 v186, v167, v186, s0
	v_cndmask_b32_e32 v188, v169, v188, vcc_lo
	v_cmp_gt_f64_e32 vcc_lo, 0, v[183:184]
	v_cmp_gt_f64_e64 s0, 0, v[181:182]
	v_mov_b32_e32 v189, v183
	v_add_f64 v[185:186], v[185:186], v[187:188]
	v_xor_b32_e32 v188, 0x80000000, v182
	v_mov_b32_e32 v187, v181
	v_cndmask_b32_e32 v190, v184, v190, vcc_lo
	v_cndmask_b32_e64 v188, v182, v188, s0
	v_add_f64 v[187:188], v[187:188], v[189:190]
	v_cmp_lt_f64_e32 vcc_lo, v[185:186], v[187:188]
	v_cndmask_b32_e32 v167, v167, v182, vcc_lo
	v_cndmask_b32_e32 v166, v166, v181, vcc_lo
	;; [unrolled: 1-line block ×4, first 2 shown]
	v_cndmask_b32_e64 v174, v174, s1, vcc_lo
	s_add_i32 s1, s1, 1
	s_cmp_lg_u32 s18, s1
	s_cbranch_scc1 .LBB80_757
.LBB80_758:
	s_inst_prefetch 0x2
	s_waitcnt lgkmcnt(0)
	v_cmp_eq_f64_e32 vcc_lo, 0, v[166:167]
	v_cmp_eq_f64_e64 s0, 0, v[168:169]
	s_and_b32 s0, vcc_lo, s0
	s_and_saveexec_b32 s1, s0
	s_xor_b32 s0, exec_lo, s1
; %bb.759:
	v_cmp_ne_u32_e32 vcc_lo, 0, v179
	v_cndmask_b32_e32 v179, 37, v179, vcc_lo
; %bb.760:
	s_andn2_saveexec_b32 s0, s0
	s_cbranch_execz .LBB80_766
; %bb.761:
	v_cmp_ngt_f64_e64 s1, |v[166:167]|, |v[168:169]|
	s_and_saveexec_b32 s2, s1
	s_xor_b32 s1, exec_lo, s2
	s_cbranch_execz .LBB80_763
; %bb.762:
	v_div_scale_f64 v[181:182], null, v[168:169], v[168:169], v[166:167]
	v_div_scale_f64 v[187:188], vcc_lo, v[166:167], v[168:169], v[166:167]
	v_rcp_f64_e32 v[183:184], v[181:182]
	v_fma_f64 v[185:186], -v[181:182], v[183:184], 1.0
	v_fma_f64 v[183:184], v[183:184], v[185:186], v[183:184]
	v_fma_f64 v[185:186], -v[181:182], v[183:184], 1.0
	v_fma_f64 v[183:184], v[183:184], v[185:186], v[183:184]
	v_mul_f64 v[185:186], v[187:188], v[183:184]
	v_fma_f64 v[181:182], -v[181:182], v[185:186], v[187:188]
	v_div_fmas_f64 v[181:182], v[181:182], v[183:184], v[185:186]
	v_div_fixup_f64 v[181:182], v[181:182], v[168:169], v[166:167]
	v_fma_f64 v[166:167], v[166:167], v[181:182], v[168:169]
	v_div_scale_f64 v[168:169], null, v[166:167], v[166:167], 1.0
	v_rcp_f64_e32 v[183:184], v[168:169]
	v_fma_f64 v[185:186], -v[168:169], v[183:184], 1.0
	v_fma_f64 v[183:184], v[183:184], v[185:186], v[183:184]
	v_fma_f64 v[185:186], -v[168:169], v[183:184], 1.0
	v_fma_f64 v[183:184], v[183:184], v[185:186], v[183:184]
	v_div_scale_f64 v[185:186], vcc_lo, 1.0, v[166:167], 1.0
	v_mul_f64 v[187:188], v[185:186], v[183:184]
	v_fma_f64 v[168:169], -v[168:169], v[187:188], v[185:186]
	v_div_fmas_f64 v[168:169], v[168:169], v[183:184], v[187:188]
	v_div_fixup_f64 v[168:169], v[168:169], v[166:167], 1.0
	v_mul_f64 v[166:167], v[181:182], v[168:169]
	v_xor_b32_e32 v169, 0x80000000, v169
.LBB80_763:
	s_andn2_saveexec_b32 s1, s1
	s_cbranch_execz .LBB80_765
; %bb.764:
	v_div_scale_f64 v[181:182], null, v[166:167], v[166:167], v[168:169]
	v_div_scale_f64 v[187:188], vcc_lo, v[168:169], v[166:167], v[168:169]
	v_rcp_f64_e32 v[183:184], v[181:182]
	v_fma_f64 v[185:186], -v[181:182], v[183:184], 1.0
	v_fma_f64 v[183:184], v[183:184], v[185:186], v[183:184]
	v_fma_f64 v[185:186], -v[181:182], v[183:184], 1.0
	v_fma_f64 v[183:184], v[183:184], v[185:186], v[183:184]
	v_mul_f64 v[185:186], v[187:188], v[183:184]
	v_fma_f64 v[181:182], -v[181:182], v[185:186], v[187:188]
	v_div_fmas_f64 v[181:182], v[181:182], v[183:184], v[185:186]
	v_div_fixup_f64 v[181:182], v[181:182], v[166:167], v[168:169]
	v_fma_f64 v[166:167], v[168:169], v[181:182], v[166:167]
	v_div_scale_f64 v[168:169], null, v[166:167], v[166:167], 1.0
	v_rcp_f64_e32 v[183:184], v[168:169]
	v_fma_f64 v[185:186], -v[168:169], v[183:184], 1.0
	v_fma_f64 v[183:184], v[183:184], v[185:186], v[183:184]
	v_fma_f64 v[185:186], -v[168:169], v[183:184], 1.0
	v_fma_f64 v[183:184], v[183:184], v[185:186], v[183:184]
	v_div_scale_f64 v[185:186], vcc_lo, 1.0, v[166:167], 1.0
	v_mul_f64 v[187:188], v[185:186], v[183:184]
	v_fma_f64 v[168:169], -v[168:169], v[187:188], v[185:186]
	v_div_fmas_f64 v[168:169], v[168:169], v[183:184], v[187:188]
	v_div_fixup_f64 v[166:167], v[168:169], v[166:167], 1.0
	v_mul_f64 v[168:169], v[181:182], -v[166:167]
.LBB80_765:
	s_or_b32 exec_lo, exec_lo, s1
.LBB80_766:
	s_or_b32 exec_lo, exec_lo, s0
	s_mov_b32 s0, exec_lo
	v_cmpx_ne_u32_e64 v180, v174
	s_xor_b32 s0, exec_lo, s0
	s_cbranch_execz .LBB80_772
; %bb.767:
	s_mov_b32 s1, exec_lo
	v_cmpx_eq_u32_e32 36, v180
	s_cbranch_execz .LBB80_771
; %bb.768:
	v_cmp_ne_u32_e32 vcc_lo, 36, v174
	s_xor_b32 s2, s16, -1
	s_and_b32 s3, s2, vcc_lo
	s_and_saveexec_b32 s2, s3
	s_cbranch_execz .LBB80_770
; %bb.769:
	v_ashrrev_i32_e32 v175, 31, v174
	v_lshlrev_b64 v[180:181], 2, v[174:175]
	v_add_co_u32 v180, vcc_lo, v172, v180
	v_add_co_ci_u32_e64 v181, null, v173, v181, vcc_lo
	s_clause 0x1
	global_load_dword v0, v[180:181], off
	global_load_dword v175, v[172:173], off offset:144
	s_waitcnt vmcnt(1)
	global_store_dword v[172:173], v0, off offset:144
	s_waitcnt vmcnt(0)
	global_store_dword v[180:181], v175, off
.LBB80_770:
	s_or_b32 exec_lo, exec_lo, s2
	v_mov_b32_e32 v180, v174
	v_mov_b32_e32 v0, v174
.LBB80_771:
	s_or_b32 exec_lo, exec_lo, s1
.LBB80_772:
	s_andn2_saveexec_b32 s0, s0
	s_cbranch_execz .LBB80_774
; %bb.773:
	v_mov_b32_e32 v180, 36
	ds_write2_b64 v1, v[14:15], v[16:17] offset0:74 offset1:75
	ds_write2_b64 v1, v[10:11], v[12:13] offset0:76 offset1:77
	;; [unrolled: 1-line block ×4, first 2 shown]
.LBB80_774:
	s_or_b32 exec_lo, exec_lo, s0
	s_mov_b32 s0, exec_lo
	s_waitcnt lgkmcnt(0)
	s_waitcnt_vscnt null, 0x0
	s_barrier
	buffer_gl0_inv
	v_cmpx_lt_i32_e32 36, v180
	s_cbranch_execz .LBB80_776
; %bb.775:
	v_mul_f64 v[174:175], v[166:167], v[20:21]
	v_mul_f64 v[20:21], v[168:169], v[20:21]
	ds_read2_b64 v[181:184], v1 offset0:74 offset1:75
	ds_read2_b64 v[185:188], v1 offset0:76 offset1:77
	;; [unrolled: 1-line block ×4, first 2 shown]
	v_fma_f64 v[168:169], v[168:169], v[18:19], v[174:175]
	v_fma_f64 v[18:19], v[166:167], v[18:19], -v[20:21]
	s_waitcnt lgkmcnt(3)
	v_mul_f64 v[20:21], v[183:184], v[168:169]
	v_mul_f64 v[166:167], v[181:182], v[168:169]
	s_waitcnt lgkmcnt(2)
	v_mul_f64 v[174:175], v[187:188], v[168:169]
	v_mul_f64 v[197:198], v[185:186], v[168:169]
	s_waitcnt lgkmcnt(1)
	v_mul_f64 v[199:200], v[191:192], v[168:169]
	v_mul_f64 v[201:202], v[189:190], v[168:169]
	s_waitcnt lgkmcnt(0)
	v_mul_f64 v[203:204], v[195:196], v[168:169]
	v_mul_f64 v[205:206], v[193:194], v[168:169]
	v_fma_f64 v[20:21], v[181:182], v[18:19], -v[20:21]
	v_fma_f64 v[166:167], v[183:184], v[18:19], v[166:167]
	v_fma_f64 v[174:175], v[185:186], v[18:19], -v[174:175]
	v_fma_f64 v[181:182], v[187:188], v[18:19], v[197:198]
	;; [unrolled: 2-line block ×4, first 2 shown]
	v_add_f64 v[14:15], v[14:15], -v[20:21]
	v_add_f64 v[16:17], v[16:17], -v[166:167]
	;; [unrolled: 1-line block ×8, first 2 shown]
	v_mov_b32_e32 v20, v168
	v_mov_b32_e32 v21, v169
.LBB80_776:
	s_or_b32 exec_lo, exec_lo, s0
	v_lshl_add_u32 v166, v180, 4, v1
	s_barrier
	buffer_gl0_inv
	v_mov_b32_e32 v174, 37
	ds_write2_b64 v166, v[14:15], v[16:17] offset1:1
	s_waitcnt lgkmcnt(0)
	s_barrier
	buffer_gl0_inv
	ds_read2_b64 v[166:169], v1 offset0:74 offset1:75
	s_cmp_lt_i32 s18, 39
	s_cbranch_scc1 .LBB80_779
; %bb.777:
	v_add3_u32 v175, v176, 0, 0x260
	v_mov_b32_e32 v174, 37
	s_mov_b32 s1, 38
	s_inst_prefetch 0x1
	.p2align	6
.LBB80_778:                             ; =>This Inner Loop Header: Depth=1
	s_waitcnt lgkmcnt(0)
	v_cmp_gt_f64_e32 vcc_lo, 0, v[168:169]
	v_cmp_gt_f64_e64 s0, 0, v[166:167]
	ds_read2_b64 v[181:184], v175 offset1:1
	v_xor_b32_e32 v186, 0x80000000, v167
	v_xor_b32_e32 v188, 0x80000000, v169
	v_mov_b32_e32 v185, v166
	v_mov_b32_e32 v187, v168
	v_add_nc_u32_e32 v175, 16, v175
	s_waitcnt lgkmcnt(0)
	v_xor_b32_e32 v190, 0x80000000, v184
	v_cndmask_b32_e64 v186, v167, v186, s0
	v_cndmask_b32_e32 v188, v169, v188, vcc_lo
	v_cmp_gt_f64_e32 vcc_lo, 0, v[183:184]
	v_cmp_gt_f64_e64 s0, 0, v[181:182]
	v_mov_b32_e32 v189, v183
	v_add_f64 v[185:186], v[185:186], v[187:188]
	v_xor_b32_e32 v188, 0x80000000, v182
	v_mov_b32_e32 v187, v181
	v_cndmask_b32_e32 v190, v184, v190, vcc_lo
	v_cndmask_b32_e64 v188, v182, v188, s0
	v_add_f64 v[187:188], v[187:188], v[189:190]
	v_cmp_lt_f64_e32 vcc_lo, v[185:186], v[187:188]
	v_cndmask_b32_e32 v167, v167, v182, vcc_lo
	v_cndmask_b32_e32 v166, v166, v181, vcc_lo
	;; [unrolled: 1-line block ×4, first 2 shown]
	v_cndmask_b32_e64 v174, v174, s1, vcc_lo
	s_add_i32 s1, s1, 1
	s_cmp_lg_u32 s18, s1
	s_cbranch_scc1 .LBB80_778
.LBB80_779:
	s_inst_prefetch 0x2
	s_waitcnt lgkmcnt(0)
	v_cmp_eq_f64_e32 vcc_lo, 0, v[166:167]
	v_cmp_eq_f64_e64 s0, 0, v[168:169]
	s_and_b32 s0, vcc_lo, s0
	s_and_saveexec_b32 s1, s0
	s_xor_b32 s0, exec_lo, s1
; %bb.780:
	v_cmp_ne_u32_e32 vcc_lo, 0, v179
	v_cndmask_b32_e32 v179, 38, v179, vcc_lo
; %bb.781:
	s_andn2_saveexec_b32 s0, s0
	s_cbranch_execz .LBB80_787
; %bb.782:
	v_cmp_ngt_f64_e64 s1, |v[166:167]|, |v[168:169]|
	s_and_saveexec_b32 s2, s1
	s_xor_b32 s1, exec_lo, s2
	s_cbranch_execz .LBB80_784
; %bb.783:
	v_div_scale_f64 v[181:182], null, v[168:169], v[168:169], v[166:167]
	v_div_scale_f64 v[187:188], vcc_lo, v[166:167], v[168:169], v[166:167]
	v_rcp_f64_e32 v[183:184], v[181:182]
	v_fma_f64 v[185:186], -v[181:182], v[183:184], 1.0
	v_fma_f64 v[183:184], v[183:184], v[185:186], v[183:184]
	v_fma_f64 v[185:186], -v[181:182], v[183:184], 1.0
	v_fma_f64 v[183:184], v[183:184], v[185:186], v[183:184]
	v_mul_f64 v[185:186], v[187:188], v[183:184]
	v_fma_f64 v[181:182], -v[181:182], v[185:186], v[187:188]
	v_div_fmas_f64 v[181:182], v[181:182], v[183:184], v[185:186]
	v_div_fixup_f64 v[181:182], v[181:182], v[168:169], v[166:167]
	v_fma_f64 v[166:167], v[166:167], v[181:182], v[168:169]
	v_div_scale_f64 v[168:169], null, v[166:167], v[166:167], 1.0
	v_rcp_f64_e32 v[183:184], v[168:169]
	v_fma_f64 v[185:186], -v[168:169], v[183:184], 1.0
	v_fma_f64 v[183:184], v[183:184], v[185:186], v[183:184]
	v_fma_f64 v[185:186], -v[168:169], v[183:184], 1.0
	v_fma_f64 v[183:184], v[183:184], v[185:186], v[183:184]
	v_div_scale_f64 v[185:186], vcc_lo, 1.0, v[166:167], 1.0
	v_mul_f64 v[187:188], v[185:186], v[183:184]
	v_fma_f64 v[168:169], -v[168:169], v[187:188], v[185:186]
	v_div_fmas_f64 v[168:169], v[168:169], v[183:184], v[187:188]
	v_div_fixup_f64 v[168:169], v[168:169], v[166:167], 1.0
	v_mul_f64 v[166:167], v[181:182], v[168:169]
	v_xor_b32_e32 v169, 0x80000000, v169
.LBB80_784:
	s_andn2_saveexec_b32 s1, s1
	s_cbranch_execz .LBB80_786
; %bb.785:
	v_div_scale_f64 v[181:182], null, v[166:167], v[166:167], v[168:169]
	v_div_scale_f64 v[187:188], vcc_lo, v[168:169], v[166:167], v[168:169]
	v_rcp_f64_e32 v[183:184], v[181:182]
	v_fma_f64 v[185:186], -v[181:182], v[183:184], 1.0
	v_fma_f64 v[183:184], v[183:184], v[185:186], v[183:184]
	v_fma_f64 v[185:186], -v[181:182], v[183:184], 1.0
	v_fma_f64 v[183:184], v[183:184], v[185:186], v[183:184]
	v_mul_f64 v[185:186], v[187:188], v[183:184]
	v_fma_f64 v[181:182], -v[181:182], v[185:186], v[187:188]
	v_div_fmas_f64 v[181:182], v[181:182], v[183:184], v[185:186]
	v_div_fixup_f64 v[181:182], v[181:182], v[166:167], v[168:169]
	v_fma_f64 v[166:167], v[168:169], v[181:182], v[166:167]
	v_div_scale_f64 v[168:169], null, v[166:167], v[166:167], 1.0
	v_rcp_f64_e32 v[183:184], v[168:169]
	v_fma_f64 v[185:186], -v[168:169], v[183:184], 1.0
	v_fma_f64 v[183:184], v[183:184], v[185:186], v[183:184]
	v_fma_f64 v[185:186], -v[168:169], v[183:184], 1.0
	v_fma_f64 v[183:184], v[183:184], v[185:186], v[183:184]
	v_div_scale_f64 v[185:186], vcc_lo, 1.0, v[166:167], 1.0
	v_mul_f64 v[187:188], v[185:186], v[183:184]
	v_fma_f64 v[168:169], -v[168:169], v[187:188], v[185:186]
	v_div_fmas_f64 v[168:169], v[168:169], v[183:184], v[187:188]
	v_div_fixup_f64 v[166:167], v[168:169], v[166:167], 1.0
	v_mul_f64 v[168:169], v[181:182], -v[166:167]
.LBB80_786:
	s_or_b32 exec_lo, exec_lo, s1
.LBB80_787:
	s_or_b32 exec_lo, exec_lo, s0
	s_mov_b32 s0, exec_lo
	v_cmpx_ne_u32_e64 v180, v174
	s_xor_b32 s0, exec_lo, s0
	s_cbranch_execz .LBB80_793
; %bb.788:
	s_mov_b32 s1, exec_lo
	v_cmpx_eq_u32_e32 37, v180
	s_cbranch_execz .LBB80_792
; %bb.789:
	v_cmp_ne_u32_e32 vcc_lo, 37, v174
	s_xor_b32 s2, s16, -1
	s_and_b32 s3, s2, vcc_lo
	s_and_saveexec_b32 s2, s3
	s_cbranch_execz .LBB80_791
; %bb.790:
	v_ashrrev_i32_e32 v175, 31, v174
	v_lshlrev_b64 v[180:181], 2, v[174:175]
	v_add_co_u32 v180, vcc_lo, v172, v180
	v_add_co_ci_u32_e64 v181, null, v173, v181, vcc_lo
	s_clause 0x1
	global_load_dword v0, v[180:181], off
	global_load_dword v175, v[172:173], off offset:148
	s_waitcnt vmcnt(1)
	global_store_dword v[172:173], v0, off offset:148
	s_waitcnt vmcnt(0)
	global_store_dword v[180:181], v175, off
.LBB80_791:
	s_or_b32 exec_lo, exec_lo, s2
	v_mov_b32_e32 v180, v174
	v_mov_b32_e32 v0, v174
.LBB80_792:
	s_or_b32 exec_lo, exec_lo, s1
.LBB80_793:
	s_andn2_saveexec_b32 s0, s0
	s_cbranch_execz .LBB80_795
; %bb.794:
	v_mov_b32_e32 v180, 37
	ds_write2_b64 v1, v[10:11], v[12:13] offset0:76 offset1:77
	ds_write2_b64 v1, v[6:7], v[8:9] offset0:78 offset1:79
	;; [unrolled: 1-line block ×3, first 2 shown]
.LBB80_795:
	s_or_b32 exec_lo, exec_lo, s0
	s_mov_b32 s0, exec_lo
	s_waitcnt lgkmcnt(0)
	s_waitcnt_vscnt null, 0x0
	s_barrier
	buffer_gl0_inv
	v_cmpx_lt_i32_e32 37, v180
	s_cbranch_execz .LBB80_797
; %bb.796:
	v_mul_f64 v[174:175], v[166:167], v[16:17]
	v_mul_f64 v[16:17], v[168:169], v[16:17]
	ds_read2_b64 v[181:184], v1 offset0:76 offset1:77
	ds_read2_b64 v[185:188], v1 offset0:78 offset1:79
	;; [unrolled: 1-line block ×3, first 2 shown]
	v_fma_f64 v[168:169], v[168:169], v[14:15], v[174:175]
	v_fma_f64 v[14:15], v[166:167], v[14:15], -v[16:17]
	s_waitcnt lgkmcnt(2)
	v_mul_f64 v[16:17], v[183:184], v[168:169]
	v_mul_f64 v[166:167], v[181:182], v[168:169]
	s_waitcnt lgkmcnt(1)
	v_mul_f64 v[174:175], v[187:188], v[168:169]
	v_mul_f64 v[193:194], v[185:186], v[168:169]
	;; [unrolled: 3-line block ×3, first 2 shown]
	v_fma_f64 v[16:17], v[181:182], v[14:15], -v[16:17]
	v_fma_f64 v[166:167], v[183:184], v[14:15], v[166:167]
	v_fma_f64 v[174:175], v[185:186], v[14:15], -v[174:175]
	v_fma_f64 v[181:182], v[187:188], v[14:15], v[193:194]
	;; [unrolled: 2-line block ×3, first 2 shown]
	v_add_f64 v[10:11], v[10:11], -v[16:17]
	v_add_f64 v[12:13], v[12:13], -v[166:167]
	;; [unrolled: 1-line block ×6, first 2 shown]
	v_mov_b32_e32 v16, v168
	v_mov_b32_e32 v17, v169
.LBB80_797:
	s_or_b32 exec_lo, exec_lo, s0
	v_lshl_add_u32 v166, v180, 4, v1
	s_barrier
	buffer_gl0_inv
	v_mov_b32_e32 v174, 38
	ds_write2_b64 v166, v[10:11], v[12:13] offset1:1
	s_waitcnt lgkmcnt(0)
	s_barrier
	buffer_gl0_inv
	ds_read2_b64 v[166:169], v1 offset0:76 offset1:77
	s_cmp_lt_i32 s18, 40
	s_cbranch_scc1 .LBB80_800
; %bb.798:
	v_add3_u32 v175, v176, 0, 0x270
	v_mov_b32_e32 v174, 38
	s_mov_b32 s1, 39
	s_inst_prefetch 0x1
	.p2align	6
.LBB80_799:                             ; =>This Inner Loop Header: Depth=1
	s_waitcnt lgkmcnt(0)
	v_cmp_gt_f64_e32 vcc_lo, 0, v[168:169]
	v_cmp_gt_f64_e64 s0, 0, v[166:167]
	ds_read2_b64 v[181:184], v175 offset1:1
	v_xor_b32_e32 v186, 0x80000000, v167
	v_xor_b32_e32 v188, 0x80000000, v169
	v_mov_b32_e32 v185, v166
	v_mov_b32_e32 v187, v168
	v_add_nc_u32_e32 v175, 16, v175
	s_waitcnt lgkmcnt(0)
	v_xor_b32_e32 v190, 0x80000000, v184
	v_cndmask_b32_e64 v186, v167, v186, s0
	v_cndmask_b32_e32 v188, v169, v188, vcc_lo
	v_cmp_gt_f64_e32 vcc_lo, 0, v[183:184]
	v_cmp_gt_f64_e64 s0, 0, v[181:182]
	v_mov_b32_e32 v189, v183
	v_add_f64 v[185:186], v[185:186], v[187:188]
	v_xor_b32_e32 v188, 0x80000000, v182
	v_mov_b32_e32 v187, v181
	v_cndmask_b32_e32 v190, v184, v190, vcc_lo
	v_cndmask_b32_e64 v188, v182, v188, s0
	v_add_f64 v[187:188], v[187:188], v[189:190]
	v_cmp_lt_f64_e32 vcc_lo, v[185:186], v[187:188]
	v_cndmask_b32_e32 v167, v167, v182, vcc_lo
	v_cndmask_b32_e32 v166, v166, v181, vcc_lo
	v_cndmask_b32_e32 v169, v169, v184, vcc_lo
	v_cndmask_b32_e32 v168, v168, v183, vcc_lo
	v_cndmask_b32_e64 v174, v174, s1, vcc_lo
	s_add_i32 s1, s1, 1
	s_cmp_lg_u32 s18, s1
	s_cbranch_scc1 .LBB80_799
.LBB80_800:
	s_inst_prefetch 0x2
	s_waitcnt lgkmcnt(0)
	v_cmp_eq_f64_e32 vcc_lo, 0, v[166:167]
	v_cmp_eq_f64_e64 s0, 0, v[168:169]
	s_and_b32 s0, vcc_lo, s0
	s_and_saveexec_b32 s1, s0
	s_xor_b32 s0, exec_lo, s1
; %bb.801:
	v_cmp_ne_u32_e32 vcc_lo, 0, v179
	v_cndmask_b32_e32 v179, 39, v179, vcc_lo
; %bb.802:
	s_andn2_saveexec_b32 s0, s0
	s_cbranch_execz .LBB80_808
; %bb.803:
	v_cmp_ngt_f64_e64 s1, |v[166:167]|, |v[168:169]|
	s_and_saveexec_b32 s2, s1
	s_xor_b32 s1, exec_lo, s2
	s_cbranch_execz .LBB80_805
; %bb.804:
	v_div_scale_f64 v[181:182], null, v[168:169], v[168:169], v[166:167]
	v_div_scale_f64 v[187:188], vcc_lo, v[166:167], v[168:169], v[166:167]
	v_rcp_f64_e32 v[183:184], v[181:182]
	v_fma_f64 v[185:186], -v[181:182], v[183:184], 1.0
	v_fma_f64 v[183:184], v[183:184], v[185:186], v[183:184]
	v_fma_f64 v[185:186], -v[181:182], v[183:184], 1.0
	v_fma_f64 v[183:184], v[183:184], v[185:186], v[183:184]
	v_mul_f64 v[185:186], v[187:188], v[183:184]
	v_fma_f64 v[181:182], -v[181:182], v[185:186], v[187:188]
	v_div_fmas_f64 v[181:182], v[181:182], v[183:184], v[185:186]
	v_div_fixup_f64 v[181:182], v[181:182], v[168:169], v[166:167]
	v_fma_f64 v[166:167], v[166:167], v[181:182], v[168:169]
	v_div_scale_f64 v[168:169], null, v[166:167], v[166:167], 1.0
	v_rcp_f64_e32 v[183:184], v[168:169]
	v_fma_f64 v[185:186], -v[168:169], v[183:184], 1.0
	v_fma_f64 v[183:184], v[183:184], v[185:186], v[183:184]
	v_fma_f64 v[185:186], -v[168:169], v[183:184], 1.0
	v_fma_f64 v[183:184], v[183:184], v[185:186], v[183:184]
	v_div_scale_f64 v[185:186], vcc_lo, 1.0, v[166:167], 1.0
	v_mul_f64 v[187:188], v[185:186], v[183:184]
	v_fma_f64 v[168:169], -v[168:169], v[187:188], v[185:186]
	v_div_fmas_f64 v[168:169], v[168:169], v[183:184], v[187:188]
	v_div_fixup_f64 v[168:169], v[168:169], v[166:167], 1.0
	v_mul_f64 v[166:167], v[181:182], v[168:169]
	v_xor_b32_e32 v169, 0x80000000, v169
.LBB80_805:
	s_andn2_saveexec_b32 s1, s1
	s_cbranch_execz .LBB80_807
; %bb.806:
	v_div_scale_f64 v[181:182], null, v[166:167], v[166:167], v[168:169]
	v_div_scale_f64 v[187:188], vcc_lo, v[168:169], v[166:167], v[168:169]
	v_rcp_f64_e32 v[183:184], v[181:182]
	v_fma_f64 v[185:186], -v[181:182], v[183:184], 1.0
	v_fma_f64 v[183:184], v[183:184], v[185:186], v[183:184]
	v_fma_f64 v[185:186], -v[181:182], v[183:184], 1.0
	v_fma_f64 v[183:184], v[183:184], v[185:186], v[183:184]
	v_mul_f64 v[185:186], v[187:188], v[183:184]
	v_fma_f64 v[181:182], -v[181:182], v[185:186], v[187:188]
	v_div_fmas_f64 v[181:182], v[181:182], v[183:184], v[185:186]
	v_div_fixup_f64 v[181:182], v[181:182], v[166:167], v[168:169]
	v_fma_f64 v[166:167], v[168:169], v[181:182], v[166:167]
	v_div_scale_f64 v[168:169], null, v[166:167], v[166:167], 1.0
	v_rcp_f64_e32 v[183:184], v[168:169]
	v_fma_f64 v[185:186], -v[168:169], v[183:184], 1.0
	v_fma_f64 v[183:184], v[183:184], v[185:186], v[183:184]
	v_fma_f64 v[185:186], -v[168:169], v[183:184], 1.0
	v_fma_f64 v[183:184], v[183:184], v[185:186], v[183:184]
	v_div_scale_f64 v[185:186], vcc_lo, 1.0, v[166:167], 1.0
	v_mul_f64 v[187:188], v[185:186], v[183:184]
	v_fma_f64 v[168:169], -v[168:169], v[187:188], v[185:186]
	v_div_fmas_f64 v[168:169], v[168:169], v[183:184], v[187:188]
	v_div_fixup_f64 v[166:167], v[168:169], v[166:167], 1.0
	v_mul_f64 v[168:169], v[181:182], -v[166:167]
.LBB80_807:
	s_or_b32 exec_lo, exec_lo, s1
.LBB80_808:
	s_or_b32 exec_lo, exec_lo, s0
	s_mov_b32 s0, exec_lo
	v_cmpx_ne_u32_e64 v180, v174
	s_xor_b32 s0, exec_lo, s0
	s_cbranch_execz .LBB80_814
; %bb.809:
	s_mov_b32 s1, exec_lo
	v_cmpx_eq_u32_e32 38, v180
	s_cbranch_execz .LBB80_813
; %bb.810:
	v_cmp_ne_u32_e32 vcc_lo, 38, v174
	s_xor_b32 s2, s16, -1
	s_and_b32 s3, s2, vcc_lo
	s_and_saveexec_b32 s2, s3
	s_cbranch_execz .LBB80_812
; %bb.811:
	v_ashrrev_i32_e32 v175, 31, v174
	v_lshlrev_b64 v[180:181], 2, v[174:175]
	v_add_co_u32 v180, vcc_lo, v172, v180
	v_add_co_ci_u32_e64 v181, null, v173, v181, vcc_lo
	s_clause 0x1
	global_load_dword v0, v[180:181], off
	global_load_dword v175, v[172:173], off offset:152
	s_waitcnt vmcnt(1)
	global_store_dword v[172:173], v0, off offset:152
	s_waitcnt vmcnt(0)
	global_store_dword v[180:181], v175, off
.LBB80_812:
	s_or_b32 exec_lo, exec_lo, s2
	v_mov_b32_e32 v180, v174
	v_mov_b32_e32 v0, v174
.LBB80_813:
	s_or_b32 exec_lo, exec_lo, s1
.LBB80_814:
	s_andn2_saveexec_b32 s0, s0
	s_cbranch_execz .LBB80_816
; %bb.815:
	v_mov_b32_e32 v180, 38
	ds_write2_b64 v1, v[6:7], v[8:9] offset0:78 offset1:79
	ds_write2_b64 v1, v[2:3], v[4:5] offset0:80 offset1:81
.LBB80_816:
	s_or_b32 exec_lo, exec_lo, s0
	s_mov_b32 s0, exec_lo
	s_waitcnt lgkmcnt(0)
	s_waitcnt_vscnt null, 0x0
	s_barrier
	buffer_gl0_inv
	v_cmpx_lt_i32_e32 38, v180
	s_cbranch_execz .LBB80_818
; %bb.817:
	v_mul_f64 v[174:175], v[166:167], v[12:13]
	v_mul_f64 v[12:13], v[168:169], v[12:13]
	ds_read2_b64 v[181:184], v1 offset0:78 offset1:79
	ds_read2_b64 v[185:188], v1 offset0:80 offset1:81
	v_fma_f64 v[168:169], v[168:169], v[10:11], v[174:175]
	v_fma_f64 v[10:11], v[166:167], v[10:11], -v[12:13]
	s_waitcnt lgkmcnt(1)
	v_mul_f64 v[12:13], v[183:184], v[168:169]
	v_mul_f64 v[166:167], v[181:182], v[168:169]
	s_waitcnt lgkmcnt(0)
	v_mul_f64 v[174:175], v[187:188], v[168:169]
	v_mul_f64 v[189:190], v[185:186], v[168:169]
	v_fma_f64 v[12:13], v[181:182], v[10:11], -v[12:13]
	v_fma_f64 v[166:167], v[183:184], v[10:11], v[166:167]
	v_fma_f64 v[174:175], v[185:186], v[10:11], -v[174:175]
	v_fma_f64 v[181:182], v[187:188], v[10:11], v[189:190]
	v_add_f64 v[6:7], v[6:7], -v[12:13]
	v_add_f64 v[8:9], v[8:9], -v[166:167]
	;; [unrolled: 1-line block ×4, first 2 shown]
	v_mov_b32_e32 v12, v168
	v_mov_b32_e32 v13, v169
.LBB80_818:
	s_or_b32 exec_lo, exec_lo, s0
	v_lshl_add_u32 v166, v180, 4, v1
	s_barrier
	buffer_gl0_inv
	v_mov_b32_e32 v174, 39
	ds_write2_b64 v166, v[6:7], v[8:9] offset1:1
	s_waitcnt lgkmcnt(0)
	s_barrier
	buffer_gl0_inv
	ds_read2_b64 v[166:169], v1 offset0:78 offset1:79
	s_cmp_lt_i32 s18, 41
	s_cbranch_scc1 .LBB80_821
; %bb.819:
	v_add3_u32 v175, v176, 0, 0x280
	v_mov_b32_e32 v174, 39
	s_mov_b32 s1, 40
	s_inst_prefetch 0x1
	.p2align	6
.LBB80_820:                             ; =>This Inner Loop Header: Depth=1
	s_waitcnt lgkmcnt(0)
	v_cmp_gt_f64_e32 vcc_lo, 0, v[168:169]
	v_cmp_gt_f64_e64 s0, 0, v[166:167]
	ds_read2_b64 v[181:184], v175 offset1:1
	v_xor_b32_e32 v186, 0x80000000, v167
	v_xor_b32_e32 v188, 0x80000000, v169
	v_mov_b32_e32 v185, v166
	v_mov_b32_e32 v187, v168
	v_add_nc_u32_e32 v175, 16, v175
	s_waitcnt lgkmcnt(0)
	v_xor_b32_e32 v190, 0x80000000, v184
	v_cndmask_b32_e64 v186, v167, v186, s0
	v_cndmask_b32_e32 v188, v169, v188, vcc_lo
	v_cmp_gt_f64_e32 vcc_lo, 0, v[183:184]
	v_cmp_gt_f64_e64 s0, 0, v[181:182]
	v_mov_b32_e32 v189, v183
	v_add_f64 v[185:186], v[185:186], v[187:188]
	v_xor_b32_e32 v188, 0x80000000, v182
	v_mov_b32_e32 v187, v181
	v_cndmask_b32_e32 v190, v184, v190, vcc_lo
	v_cndmask_b32_e64 v188, v182, v188, s0
	v_add_f64 v[187:188], v[187:188], v[189:190]
	v_cmp_lt_f64_e32 vcc_lo, v[185:186], v[187:188]
	v_cndmask_b32_e32 v167, v167, v182, vcc_lo
	v_cndmask_b32_e32 v166, v166, v181, vcc_lo
	;; [unrolled: 1-line block ×4, first 2 shown]
	v_cndmask_b32_e64 v174, v174, s1, vcc_lo
	s_add_i32 s1, s1, 1
	s_cmp_lg_u32 s18, s1
	s_cbranch_scc1 .LBB80_820
.LBB80_821:
	s_inst_prefetch 0x2
	s_waitcnt lgkmcnt(0)
	v_cmp_eq_f64_e32 vcc_lo, 0, v[166:167]
	v_cmp_eq_f64_e64 s0, 0, v[168:169]
	s_and_b32 s0, vcc_lo, s0
	s_and_saveexec_b32 s1, s0
	s_xor_b32 s0, exec_lo, s1
; %bb.822:
	v_cmp_ne_u32_e32 vcc_lo, 0, v179
	v_cndmask_b32_e32 v179, 40, v179, vcc_lo
; %bb.823:
	s_andn2_saveexec_b32 s0, s0
	s_cbranch_execz .LBB80_829
; %bb.824:
	v_cmp_ngt_f64_e64 s1, |v[166:167]|, |v[168:169]|
	s_and_saveexec_b32 s2, s1
	s_xor_b32 s1, exec_lo, s2
	s_cbranch_execz .LBB80_826
; %bb.825:
	v_div_scale_f64 v[181:182], null, v[168:169], v[168:169], v[166:167]
	v_div_scale_f64 v[187:188], vcc_lo, v[166:167], v[168:169], v[166:167]
	v_rcp_f64_e32 v[183:184], v[181:182]
	v_fma_f64 v[185:186], -v[181:182], v[183:184], 1.0
	v_fma_f64 v[183:184], v[183:184], v[185:186], v[183:184]
	v_fma_f64 v[185:186], -v[181:182], v[183:184], 1.0
	v_fma_f64 v[183:184], v[183:184], v[185:186], v[183:184]
	v_mul_f64 v[185:186], v[187:188], v[183:184]
	v_fma_f64 v[181:182], -v[181:182], v[185:186], v[187:188]
	v_div_fmas_f64 v[181:182], v[181:182], v[183:184], v[185:186]
	v_div_fixup_f64 v[181:182], v[181:182], v[168:169], v[166:167]
	v_fma_f64 v[166:167], v[166:167], v[181:182], v[168:169]
	v_div_scale_f64 v[168:169], null, v[166:167], v[166:167], 1.0
	v_rcp_f64_e32 v[183:184], v[168:169]
	v_fma_f64 v[185:186], -v[168:169], v[183:184], 1.0
	v_fma_f64 v[183:184], v[183:184], v[185:186], v[183:184]
	v_fma_f64 v[185:186], -v[168:169], v[183:184], 1.0
	v_fma_f64 v[183:184], v[183:184], v[185:186], v[183:184]
	v_div_scale_f64 v[185:186], vcc_lo, 1.0, v[166:167], 1.0
	v_mul_f64 v[187:188], v[185:186], v[183:184]
	v_fma_f64 v[168:169], -v[168:169], v[187:188], v[185:186]
	v_div_fmas_f64 v[168:169], v[168:169], v[183:184], v[187:188]
	v_div_fixup_f64 v[168:169], v[168:169], v[166:167], 1.0
	v_mul_f64 v[166:167], v[181:182], v[168:169]
	v_xor_b32_e32 v169, 0x80000000, v169
.LBB80_826:
	s_andn2_saveexec_b32 s1, s1
	s_cbranch_execz .LBB80_828
; %bb.827:
	v_div_scale_f64 v[181:182], null, v[166:167], v[166:167], v[168:169]
	v_div_scale_f64 v[187:188], vcc_lo, v[168:169], v[166:167], v[168:169]
	v_rcp_f64_e32 v[183:184], v[181:182]
	v_fma_f64 v[185:186], -v[181:182], v[183:184], 1.0
	v_fma_f64 v[183:184], v[183:184], v[185:186], v[183:184]
	v_fma_f64 v[185:186], -v[181:182], v[183:184], 1.0
	v_fma_f64 v[183:184], v[183:184], v[185:186], v[183:184]
	v_mul_f64 v[185:186], v[187:188], v[183:184]
	v_fma_f64 v[181:182], -v[181:182], v[185:186], v[187:188]
	v_div_fmas_f64 v[181:182], v[181:182], v[183:184], v[185:186]
	v_div_fixup_f64 v[181:182], v[181:182], v[166:167], v[168:169]
	v_fma_f64 v[166:167], v[168:169], v[181:182], v[166:167]
	v_div_scale_f64 v[168:169], null, v[166:167], v[166:167], 1.0
	v_rcp_f64_e32 v[183:184], v[168:169]
	v_fma_f64 v[185:186], -v[168:169], v[183:184], 1.0
	v_fma_f64 v[183:184], v[183:184], v[185:186], v[183:184]
	v_fma_f64 v[185:186], -v[168:169], v[183:184], 1.0
	v_fma_f64 v[183:184], v[183:184], v[185:186], v[183:184]
	v_div_scale_f64 v[185:186], vcc_lo, 1.0, v[166:167], 1.0
	v_mul_f64 v[187:188], v[185:186], v[183:184]
	v_fma_f64 v[168:169], -v[168:169], v[187:188], v[185:186]
	v_div_fmas_f64 v[168:169], v[168:169], v[183:184], v[187:188]
	v_div_fixup_f64 v[166:167], v[168:169], v[166:167], 1.0
	v_mul_f64 v[168:169], v[181:182], -v[166:167]
.LBB80_828:
	s_or_b32 exec_lo, exec_lo, s1
.LBB80_829:
	s_or_b32 exec_lo, exec_lo, s0
	s_mov_b32 s0, exec_lo
	v_cmpx_ne_u32_e64 v180, v174
	s_xor_b32 s0, exec_lo, s0
	s_cbranch_execz .LBB80_835
; %bb.830:
	s_mov_b32 s1, exec_lo
	v_cmpx_eq_u32_e32 39, v180
	s_cbranch_execz .LBB80_834
; %bb.831:
	v_cmp_ne_u32_e32 vcc_lo, 39, v174
	s_xor_b32 s2, s16, -1
	s_and_b32 s3, s2, vcc_lo
	s_and_saveexec_b32 s2, s3
	s_cbranch_execz .LBB80_833
; %bb.832:
	v_ashrrev_i32_e32 v175, 31, v174
	v_lshlrev_b64 v[180:181], 2, v[174:175]
	v_add_co_u32 v180, vcc_lo, v172, v180
	v_add_co_ci_u32_e64 v181, null, v173, v181, vcc_lo
	s_clause 0x1
	global_load_dword v0, v[180:181], off
	global_load_dword v175, v[172:173], off offset:156
	s_waitcnt vmcnt(1)
	global_store_dword v[172:173], v0, off offset:156
	s_waitcnt vmcnt(0)
	global_store_dword v[180:181], v175, off
.LBB80_833:
	s_or_b32 exec_lo, exec_lo, s2
	v_mov_b32_e32 v180, v174
	v_mov_b32_e32 v0, v174
.LBB80_834:
	s_or_b32 exec_lo, exec_lo, s1
.LBB80_835:
	s_andn2_saveexec_b32 s0, s0
; %bb.836:
	v_mov_b32_e32 v180, 39
	ds_write2_b64 v1, v[2:3], v[4:5] offset0:80 offset1:81
; %bb.837:
	s_or_b32 exec_lo, exec_lo, s0
	s_mov_b32 s0, exec_lo
	s_waitcnt lgkmcnt(0)
	s_waitcnt_vscnt null, 0x0
	s_barrier
	buffer_gl0_inv
	v_cmpx_lt_i32_e32 39, v180
	s_cbranch_execz .LBB80_839
; %bb.838:
	v_mul_f64 v[174:175], v[166:167], v[8:9]
	v_mul_f64 v[8:9], v[168:169], v[8:9]
	ds_read2_b64 v[181:184], v1 offset0:80 offset1:81
	v_fma_f64 v[168:169], v[168:169], v[6:7], v[174:175]
	v_fma_f64 v[6:7], v[166:167], v[6:7], -v[8:9]
	s_waitcnt lgkmcnt(0)
	v_mul_f64 v[8:9], v[183:184], v[168:169]
	v_mul_f64 v[166:167], v[181:182], v[168:169]
	v_fma_f64 v[8:9], v[181:182], v[6:7], -v[8:9]
	v_fma_f64 v[166:167], v[183:184], v[6:7], v[166:167]
	v_add_f64 v[2:3], v[2:3], -v[8:9]
	v_add_f64 v[4:5], v[4:5], -v[166:167]
	v_mov_b32_e32 v8, v168
	v_mov_b32_e32 v9, v169
.LBB80_839:
	s_or_b32 exec_lo, exec_lo, s0
	v_lshl_add_u32 v166, v180, 4, v1
	s_barrier
	buffer_gl0_inv
	v_mov_b32_e32 v174, 40
	ds_write2_b64 v166, v[2:3], v[4:5] offset1:1
	s_waitcnt lgkmcnt(0)
	s_barrier
	buffer_gl0_inv
	ds_read2_b64 v[166:169], v1 offset0:80 offset1:81
	s_cmp_lt_i32 s18, 42
	s_cbranch_scc1 .LBB80_842
; %bb.840:
	v_add3_u32 v1, v176, 0, 0x290
	v_mov_b32_e32 v174, 40
	s_mov_b32 s1, 41
	s_inst_prefetch 0x1
	.p2align	6
.LBB80_841:                             ; =>This Inner Loop Header: Depth=1
	s_waitcnt lgkmcnt(0)
	v_cmp_gt_f64_e32 vcc_lo, 0, v[168:169]
	v_cmp_gt_f64_e64 s0, 0, v[166:167]
	ds_read2_b64 v[181:184], v1 offset1:1
	v_xor_b32_e32 v176, 0x80000000, v167
	v_xor_b32_e32 v186, 0x80000000, v169
	v_mov_b32_e32 v175, v166
	v_mov_b32_e32 v185, v168
	v_add_nc_u32_e32 v1, 16, v1
	s_waitcnt lgkmcnt(0)
	v_xor_b32_e32 v188, 0x80000000, v184
	v_cndmask_b32_e64 v176, v167, v176, s0
	v_cndmask_b32_e32 v186, v169, v186, vcc_lo
	v_cmp_gt_f64_e32 vcc_lo, 0, v[183:184]
	v_cmp_gt_f64_e64 s0, 0, v[181:182]
	v_mov_b32_e32 v187, v183
	v_add_f64 v[175:176], v[175:176], v[185:186]
	v_xor_b32_e32 v186, 0x80000000, v182
	v_mov_b32_e32 v185, v181
	v_cndmask_b32_e32 v188, v184, v188, vcc_lo
	v_cndmask_b32_e64 v186, v182, v186, s0
	v_add_f64 v[185:186], v[185:186], v[187:188]
	v_cmp_lt_f64_e32 vcc_lo, v[175:176], v[185:186]
	v_cndmask_b32_e32 v167, v167, v182, vcc_lo
	v_cndmask_b32_e32 v166, v166, v181, vcc_lo
	;; [unrolled: 1-line block ×4, first 2 shown]
	v_cndmask_b32_e64 v174, v174, s1, vcc_lo
	s_add_i32 s1, s1, 1
	s_cmp_lg_u32 s18, s1
	s_cbranch_scc1 .LBB80_841
.LBB80_842:
	s_inst_prefetch 0x2
	s_waitcnt lgkmcnt(0)
	v_cmp_eq_f64_e32 vcc_lo, 0, v[166:167]
	v_cmp_eq_f64_e64 s0, 0, v[168:169]
	s_and_b32 s0, vcc_lo, s0
	s_and_saveexec_b32 s1, s0
	s_xor_b32 s0, exec_lo, s1
; %bb.843:
	v_cmp_ne_u32_e32 vcc_lo, 0, v179
	v_cndmask_b32_e32 v179, 41, v179, vcc_lo
; %bb.844:
	s_andn2_saveexec_b32 s0, s0
	s_cbranch_execz .LBB80_850
; %bb.845:
	v_cmp_ngt_f64_e64 s1, |v[166:167]|, |v[168:169]|
	s_and_saveexec_b32 s2, s1
	s_xor_b32 s1, exec_lo, s2
	s_cbranch_execz .LBB80_847
; %bb.846:
	v_div_scale_f64 v[175:176], null, v[168:169], v[168:169], v[166:167]
	v_div_scale_f64 v[185:186], vcc_lo, v[166:167], v[168:169], v[166:167]
	v_rcp_f64_e32 v[181:182], v[175:176]
	v_fma_f64 v[183:184], -v[175:176], v[181:182], 1.0
	v_fma_f64 v[181:182], v[181:182], v[183:184], v[181:182]
	v_fma_f64 v[183:184], -v[175:176], v[181:182], 1.0
	v_fma_f64 v[181:182], v[181:182], v[183:184], v[181:182]
	v_mul_f64 v[183:184], v[185:186], v[181:182]
	v_fma_f64 v[175:176], -v[175:176], v[183:184], v[185:186]
	v_div_fmas_f64 v[175:176], v[175:176], v[181:182], v[183:184]
	v_div_fixup_f64 v[175:176], v[175:176], v[168:169], v[166:167]
	v_fma_f64 v[166:167], v[166:167], v[175:176], v[168:169]
	v_div_scale_f64 v[168:169], null, v[166:167], v[166:167], 1.0
	v_rcp_f64_e32 v[181:182], v[168:169]
	v_fma_f64 v[183:184], -v[168:169], v[181:182], 1.0
	v_fma_f64 v[181:182], v[181:182], v[183:184], v[181:182]
	v_fma_f64 v[183:184], -v[168:169], v[181:182], 1.0
	v_fma_f64 v[181:182], v[181:182], v[183:184], v[181:182]
	v_div_scale_f64 v[183:184], vcc_lo, 1.0, v[166:167], 1.0
	v_mul_f64 v[185:186], v[183:184], v[181:182]
	v_fma_f64 v[168:169], -v[168:169], v[185:186], v[183:184]
	v_div_fmas_f64 v[168:169], v[168:169], v[181:182], v[185:186]
	v_div_fixup_f64 v[168:169], v[168:169], v[166:167], 1.0
	v_mul_f64 v[166:167], v[175:176], v[168:169]
	v_xor_b32_e32 v169, 0x80000000, v169
.LBB80_847:
	s_andn2_saveexec_b32 s1, s1
	s_cbranch_execz .LBB80_849
; %bb.848:
	v_div_scale_f64 v[175:176], null, v[166:167], v[166:167], v[168:169]
	v_div_scale_f64 v[185:186], vcc_lo, v[168:169], v[166:167], v[168:169]
	v_rcp_f64_e32 v[181:182], v[175:176]
	v_fma_f64 v[183:184], -v[175:176], v[181:182], 1.0
	v_fma_f64 v[181:182], v[181:182], v[183:184], v[181:182]
	v_fma_f64 v[183:184], -v[175:176], v[181:182], 1.0
	v_fma_f64 v[181:182], v[181:182], v[183:184], v[181:182]
	v_mul_f64 v[183:184], v[185:186], v[181:182]
	v_fma_f64 v[175:176], -v[175:176], v[183:184], v[185:186]
	v_div_fmas_f64 v[175:176], v[175:176], v[181:182], v[183:184]
	v_div_fixup_f64 v[175:176], v[175:176], v[166:167], v[168:169]
	v_fma_f64 v[166:167], v[168:169], v[175:176], v[166:167]
	v_div_scale_f64 v[168:169], null, v[166:167], v[166:167], 1.0
	v_rcp_f64_e32 v[181:182], v[168:169]
	v_fma_f64 v[183:184], -v[168:169], v[181:182], 1.0
	v_fma_f64 v[181:182], v[181:182], v[183:184], v[181:182]
	v_fma_f64 v[183:184], -v[168:169], v[181:182], 1.0
	v_fma_f64 v[181:182], v[181:182], v[183:184], v[181:182]
	v_div_scale_f64 v[183:184], vcc_lo, 1.0, v[166:167], 1.0
	v_mul_f64 v[185:186], v[183:184], v[181:182]
	v_fma_f64 v[168:169], -v[168:169], v[185:186], v[183:184]
	v_div_fmas_f64 v[168:169], v[168:169], v[181:182], v[185:186]
	v_div_fixup_f64 v[166:167], v[168:169], v[166:167], 1.0
	v_mul_f64 v[168:169], v[175:176], -v[166:167]
.LBB80_849:
	s_or_b32 exec_lo, exec_lo, s1
.LBB80_850:
	s_or_b32 exec_lo, exec_lo, s0
	v_mov_b32_e32 v175, 40
	s_mov_b32 s0, exec_lo
	v_cmpx_ne_u32_e64 v180, v174
	s_cbranch_execz .LBB80_856
; %bb.851:
	s_mov_b32 s1, exec_lo
	v_cmpx_eq_u32_e32 40, v180
	s_cbranch_execz .LBB80_855
; %bb.852:
	v_cmp_ne_u32_e32 vcc_lo, 40, v174
	s_xor_b32 s2, s16, -1
	s_and_b32 s3, s2, vcc_lo
	s_and_saveexec_b32 s2, s3
	s_cbranch_execz .LBB80_854
; %bb.853:
	v_ashrrev_i32_e32 v175, 31, v174
	v_lshlrev_b64 v[0:1], 2, v[174:175]
	v_add_co_u32 v0, vcc_lo, v172, v0
	v_add_co_ci_u32_e64 v1, null, v173, v1, vcc_lo
	s_clause 0x1
	global_load_dword v175, v[0:1], off
	global_load_dword v176, v[172:173], off offset:160
	s_waitcnt vmcnt(1)
	global_store_dword v[172:173], v175, off offset:160
	s_waitcnt vmcnt(0)
	global_store_dword v[0:1], v176, off
.LBB80_854:
	s_or_b32 exec_lo, exec_lo, s2
	v_mov_b32_e32 v180, v174
	v_mov_b32_e32 v0, v174
.LBB80_855:
	s_or_b32 exec_lo, exec_lo, s1
	v_mov_b32_e32 v175, v180
.LBB80_856:
	s_or_b32 exec_lo, exec_lo, s0
	s_mov_b32 s0, exec_lo
	s_waitcnt_vscnt null, 0x0
	s_barrier
	buffer_gl0_inv
	v_cmpx_lt_i32_e32 40, v175
	s_cbranch_execz .LBB80_858
; %bb.857:
	v_mul_f64 v[172:173], v[168:169], v[4:5]
	v_mul_f64 v[4:5], v[166:167], v[4:5]
	v_fma_f64 v[166:167], v[166:167], v[2:3], -v[172:173]
	v_fma_f64 v[4:5], v[168:169], v[2:3], v[4:5]
	v_mov_b32_e32 v2, v166
	v_mov_b32_e32 v3, v167
.LBB80_858:
	s_or_b32 exec_lo, exec_lo, s0
	v_ashrrev_i32_e32 v176, 31, v175
	s_mov_b32 s0, exec_lo
	s_barrier
	buffer_gl0_inv
	v_cmpx_gt_i32_e32 41, v175
	s_cbranch_execz .LBB80_860
; %bb.859:
	v_mul_lo_u32 v1, s15, v170
	v_mul_lo_u32 v168, s14, v171
	v_mad_u64_u32 v[166:167], null, s14, v170, 0
	s_lshl_b64 s[2:3], s[12:13], 2
	v_add3_u32 v0, v0, s17, 1
	v_add3_u32 v167, v167, v168, v1
	v_lshlrev_b64 v[166:167], 2, v[166:167]
	v_add_co_u32 v1, vcc_lo, s10, v166
	v_add_co_ci_u32_e64 v168, null, s11, v167, vcc_lo
	v_lshlrev_b64 v[166:167], 2, v[175:176]
	v_add_co_u32 v1, vcc_lo, v1, s2
	v_add_co_ci_u32_e64 v168, null, s3, v168, vcc_lo
	v_add_co_u32 v166, vcc_lo, v1, v166
	v_add_co_ci_u32_e64 v167, null, v168, v167, vcc_lo
	global_store_dword v[166:167], v0, off
.LBB80_860:
	s_or_b32 exec_lo, exec_lo, s0
	s_mov_b32 s1, exec_lo
	v_cmpx_eq_u32_e32 0, v175
	s_cbranch_execz .LBB80_863
; %bb.861:
	v_lshlrev_b64 v[0:1], 2, v[170:171]
	v_cmp_ne_u32_e64 s0, 0, v179
	v_add_co_u32 v0, vcc_lo, s4, v0
	v_add_co_ci_u32_e64 v1, null, s5, v1, vcc_lo
	global_load_dword v166, v[0:1], off
	s_waitcnt vmcnt(0)
	v_cmp_eq_u32_e32 vcc_lo, 0, v166
	s_and_b32 s0, vcc_lo, s0
	s_and_b32 exec_lo, exec_lo, s0
	s_cbranch_execz .LBB80_863
; %bb.862:
	v_add_nc_u32_e32 v166, s17, v179
	global_store_dword v[0:1], v166, off
.LBB80_863:
	s_or_b32 exec_lo, exec_lo, s1
	v_lshlrev_b64 v[166:167], 4, v[175:176]
	v_add3_u32 v0, s6, s6, v175
	v_add_nc_u32_e32 v168, s6, v0
	v_add_co_u32 v166, vcc_lo, v177, v166
	v_add_co_ci_u32_e64 v167, null, v178, v167, vcc_lo
	v_ashrrev_i32_e32 v1, 31, v0
	v_ashrrev_i32_e32 v169, 31, v168
	global_store_dwordx4 v[166:167], v[162:165], off
	v_add_co_u32 v162, vcc_lo, v166, s8
	v_add_nc_u32_e32 v166, s6, v168
	v_lshlrev_b64 v[0:1], 4, v[0:1]
	v_lshlrev_b64 v[164:165], 4, v[168:169]
	v_add_co_ci_u32_e64 v163, null, s9, v167, vcc_lo
	v_add_nc_u32_e32 v168, s6, v166
	v_ashrrev_i32_e32 v167, 31, v166
	v_add_co_u32 v0, vcc_lo, v177, v0
	v_add_co_ci_u32_e64 v1, null, v178, v1, vcc_lo
	v_add_co_u32 v164, vcc_lo, v177, v164
	global_store_dwordx4 v[162:163], v[150:153], off
	v_add_nc_u32_e32 v152, s6, v168
	v_add_co_ci_u32_e64 v165, null, v178, v165, vcc_lo
	v_ashrrev_i32_e32 v169, 31, v168
	v_lshlrev_b64 v[150:151], 4, v[166:167]
	global_store_dwordx4 v[0:1], v[158:161], off
	global_store_dwordx4 v[164:165], v[154:157], off
	v_add_nc_u32_e32 v154, s6, v152
	v_ashrrev_i32_e32 v153, 31, v152
	v_lshlrev_b64 v[0:1], 4, v[168:169]
	v_add_co_u32 v150, vcc_lo, v177, v150
	v_add_nc_u32_e32 v156, s6, v154
	v_add_co_ci_u32_e64 v151, null, v178, v151, vcc_lo
	v_add_co_u32 v0, vcc_lo, v177, v0
	v_ashrrev_i32_e32 v155, 31, v154
	v_add_co_ci_u32_e64 v1, null, v178, v1, vcc_lo
	v_ashrrev_i32_e32 v157, 31, v156
	v_lshlrev_b64 v[152:153], 4, v[152:153]
	global_store_dwordx4 v[150:151], v[146:149], off
	global_store_dwordx4 v[0:1], v[142:145], off
	v_lshlrev_b64 v[0:1], 4, v[154:155]
	v_add_nc_u32_e32 v146, s6, v156
	v_lshlrev_b64 v[144:145], 4, v[156:157]
	v_add_co_u32 v142, vcc_lo, v177, v152
	v_add_co_ci_u32_e64 v143, null, v178, v153, vcc_lo
	v_add_co_u32 v0, vcc_lo, v177, v0
	v_add_co_ci_u32_e64 v1, null, v178, v1, vcc_lo
	v_add_co_u32 v144, vcc_lo, v177, v144
	v_add_nc_u32_e32 v148, s6, v146
	v_add_co_ci_u32_e64 v145, null, v178, v145, vcc_lo
	v_ashrrev_i32_e32 v147, 31, v146
	global_store_dwordx4 v[142:143], v[138:141], off
	global_store_dwordx4 v[0:1], v[134:137], off
	global_store_dwordx4 v[144:145], v[130:133], off
	v_add_nc_u32_e32 v130, s6, v148
	v_ashrrev_i32_e32 v149, 31, v148
	v_lshlrev_b64 v[138:139], 4, v[146:147]
	v_add_nc_u32_e32 v134, s6, v130
	v_lshlrev_b64 v[0:1], 4, v[148:149]
	v_ashrrev_i32_e32 v131, 31, v130
	v_add_co_u32 v132, vcc_lo, v177, v138
	v_add_nc_u32_e32 v136, s6, v134
	v_add_co_ci_u32_e64 v133, null, v178, v139, vcc_lo
	v_add_co_u32 v0, vcc_lo, v177, v0
	v_ashrrev_i32_e32 v135, 31, v134
	v_add_co_ci_u32_e64 v1, null, v178, v1, vcc_lo
	v_ashrrev_i32_e32 v137, 31, v136
	v_lshlrev_b64 v[130:131], 4, v[130:131]
	global_store_dwordx4 v[132:133], v[126:129], off
	global_store_dwordx4 v[0:1], v[122:125], off
	v_lshlrev_b64 v[0:1], 4, v[134:135]
	v_add_nc_u32_e32 v126, s6, v136
	v_lshlrev_b64 v[124:125], 4, v[136:137]
	v_add_co_u32 v122, vcc_lo, v177, v130
	v_add_co_ci_u32_e64 v123, null, v178, v131, vcc_lo
	v_add_co_u32 v0, vcc_lo, v177, v0
	v_add_co_ci_u32_e64 v1, null, v178, v1, vcc_lo
	v_add_co_u32 v124, vcc_lo, v177, v124
	v_add_nc_u32_e32 v128, s6, v126
	v_add_co_ci_u32_e64 v125, null, v178, v125, vcc_lo
	v_ashrrev_i32_e32 v127, 31, v126
	global_store_dwordx4 v[122:123], v[118:121], off
	global_store_dwordx4 v[0:1], v[114:117], off
	global_store_dwordx4 v[124:125], v[110:113], off
	v_add_nc_u32_e32 v110, s6, v128
	v_ashrrev_i32_e32 v129, 31, v128
	v_lshlrev_b64 v[118:119], 4, v[126:127]
	v_add_nc_u32_e32 v114, s6, v110
	v_lshlrev_b64 v[0:1], 4, v[128:129]
	v_ashrrev_i32_e32 v111, 31, v110
	;; [unrolled: 30-line block ×5, first 2 shown]
	v_add_co_u32 v52, vcc_lo, v177, v58
	v_add_nc_u32_e32 v56, s6, v54
	v_add_co_ci_u32_e64 v53, null, v178, v59, vcc_lo
	v_add_co_u32 v0, vcc_lo, v177, v0
	v_ashrrev_i32_e32 v55, 31, v54
	v_add_co_ci_u32_e64 v1, null, v178, v1, vcc_lo
	v_ashrrev_i32_e32 v57, 31, v56
	v_lshlrev_b64 v[50:51], 4, v[50:51]
	global_store_dwordx4 v[52:53], v[46:49], off
	global_store_dwordx4 v[0:1], v[42:45], off
	v_lshlrev_b64 v[0:1], 4, v[54:55]
	v_add_nc_u32_e32 v46, s6, v56
	v_lshlrev_b64 v[44:45], 4, v[56:57]
	v_add_co_u32 v42, vcc_lo, v177, v50
	v_add_co_ci_u32_e64 v43, null, v178, v51, vcc_lo
	v_add_co_u32 v0, vcc_lo, v177, v0
	v_add_nc_u32_e32 v48, s6, v46
	v_add_co_ci_u32_e64 v1, null, v178, v1, vcc_lo
	v_add_co_u32 v44, vcc_lo, v177, v44
	v_ashrrev_i32_e32 v47, 31, v46
	v_add_co_ci_u32_e64 v45, null, v178, v45, vcc_lo
	v_ashrrev_i32_e32 v49, 31, v48
	global_store_dwordx4 v[42:43], v[38:41], off
	v_lshlrev_b64 v[38:39], 4, v[46:47]
	global_store_dwordx4 v[0:1], v[34:37], off
	global_store_dwordx4 v[44:45], v[30:33], off
	v_add_nc_u32_e32 v30, s6, v48
	v_lshlrev_b64 v[0:1], 4, v[48:49]
	v_add_co_u32 v32, vcc_lo, v177, v38
	v_add_nc_u32_e32 v34, s6, v30
	v_add_co_ci_u32_e64 v33, null, v178, v39, vcc_lo
	v_add_co_u32 v0, vcc_lo, v177, v0
	v_add_co_ci_u32_e64 v1, null, v178, v1, vcc_lo
	v_add_nc_u32_e32 v36, s6, v34
	v_ashrrev_i32_e32 v31, 31, v30
	global_store_dwordx4 v[32:33], v[26:29], off
	global_store_dwordx4 v[0:1], v[22:25], off
	v_ashrrev_i32_e32 v35, 31, v34
	v_add_nc_u32_e32 v22, s6, v36
	v_lshlrev_b64 v[26:27], 4, v[30:31]
	v_ashrrev_i32_e32 v37, 31, v36
	v_lshlrev_b64 v[0:1], 4, v[34:35]
	v_add_nc_u32_e32 v28, s6, v22
	v_ashrrev_i32_e32 v23, 31, v22
	v_add_co_u32 v24, vcc_lo, v177, v26
	v_add_co_ci_u32_e64 v25, null, v178, v27, vcc_lo
	v_ashrrev_i32_e32 v29, 31, v28
	v_lshlrev_b64 v[26:27], 4, v[36:37]
	v_lshlrev_b64 v[22:23], 4, v[22:23]
	v_add_co_u32 v0, vcc_lo, v177, v0
	v_lshlrev_b64 v[28:29], 4, v[28:29]
	v_add_co_ci_u32_e64 v1, null, v178, v1, vcc_lo
	v_add_co_u32 v26, vcc_lo, v177, v26
	v_add_co_ci_u32_e64 v27, null, v178, v27, vcc_lo
	v_add_co_u32 v22, vcc_lo, v177, v22
	;; [unrolled: 2-line block ×3, first 2 shown]
	v_add_co_ci_u32_e64 v29, null, v178, v29, vcc_lo
	global_store_dwordx4 v[24:25], v[18:21], off
	global_store_dwordx4 v[0:1], v[14:17], off
	;; [unrolled: 1-line block ×5, first 2 shown]
.LBB80_864:
	s_endpgm
	.section	.rodata,"a",@progbits
	.p2align	6, 0x0
	.amdhsa_kernel _ZN9rocsolver6v33100L18getf2_small_kernelILi41E19rocblas_complex_numIdEiiPS3_EEvT1_T3_lS5_lPS5_llPT2_S5_S5_S7_l
		.amdhsa_group_segment_fixed_size 0
		.amdhsa_private_segment_fixed_size 0
		.amdhsa_kernarg_size 352
		.amdhsa_user_sgpr_count 6
		.amdhsa_user_sgpr_private_segment_buffer 1
		.amdhsa_user_sgpr_dispatch_ptr 0
		.amdhsa_user_sgpr_queue_ptr 0
		.amdhsa_user_sgpr_kernarg_segment_ptr 1
		.amdhsa_user_sgpr_dispatch_id 0
		.amdhsa_user_sgpr_flat_scratch_init 0
		.amdhsa_user_sgpr_private_segment_size 0
		.amdhsa_wavefront_size32 1
		.amdhsa_uses_dynamic_stack 0
		.amdhsa_system_sgpr_private_segment_wavefront_offset 0
		.amdhsa_system_sgpr_workgroup_id_x 1
		.amdhsa_system_sgpr_workgroup_id_y 1
		.amdhsa_system_sgpr_workgroup_id_z 0
		.amdhsa_system_sgpr_workgroup_info 0
		.amdhsa_system_vgpr_workitem_id 1
		.amdhsa_next_free_vgpr 247
		.amdhsa_next_free_sgpr 19
		.amdhsa_reserve_vcc 1
		.amdhsa_reserve_flat_scratch 0
		.amdhsa_float_round_mode_32 0
		.amdhsa_float_round_mode_16_64 0
		.amdhsa_float_denorm_mode_32 3
		.amdhsa_float_denorm_mode_16_64 3
		.amdhsa_dx10_clamp 1
		.amdhsa_ieee_mode 1
		.amdhsa_fp16_overflow 0
		.amdhsa_workgroup_processor_mode 1
		.amdhsa_memory_ordered 1
		.amdhsa_forward_progress 1
		.amdhsa_shared_vgpr_count 0
		.amdhsa_exception_fp_ieee_invalid_op 0
		.amdhsa_exception_fp_denorm_src 0
		.amdhsa_exception_fp_ieee_div_zero 0
		.amdhsa_exception_fp_ieee_overflow 0
		.amdhsa_exception_fp_ieee_underflow 0
		.amdhsa_exception_fp_ieee_inexact 0
		.amdhsa_exception_int_div_zero 0
	.end_amdhsa_kernel
	.section	.text._ZN9rocsolver6v33100L18getf2_small_kernelILi41E19rocblas_complex_numIdEiiPS3_EEvT1_T3_lS5_lPS5_llPT2_S5_S5_S7_l,"axG",@progbits,_ZN9rocsolver6v33100L18getf2_small_kernelILi41E19rocblas_complex_numIdEiiPS3_EEvT1_T3_lS5_lPS5_llPT2_S5_S5_S7_l,comdat
.Lfunc_end80:
	.size	_ZN9rocsolver6v33100L18getf2_small_kernelILi41E19rocblas_complex_numIdEiiPS3_EEvT1_T3_lS5_lPS5_llPT2_S5_S5_S7_l, .Lfunc_end80-_ZN9rocsolver6v33100L18getf2_small_kernelILi41E19rocblas_complex_numIdEiiPS3_EEvT1_T3_lS5_lPS5_llPT2_S5_S5_S7_l
                                        ; -- End function
	.set _ZN9rocsolver6v33100L18getf2_small_kernelILi41E19rocblas_complex_numIdEiiPS3_EEvT1_T3_lS5_lPS5_llPT2_S5_S5_S7_l.num_vgpr, 247
	.set _ZN9rocsolver6v33100L18getf2_small_kernelILi41E19rocblas_complex_numIdEiiPS3_EEvT1_T3_lS5_lPS5_llPT2_S5_S5_S7_l.num_agpr, 0
	.set _ZN9rocsolver6v33100L18getf2_small_kernelILi41E19rocblas_complex_numIdEiiPS3_EEvT1_T3_lS5_lPS5_llPT2_S5_S5_S7_l.numbered_sgpr, 19
	.set _ZN9rocsolver6v33100L18getf2_small_kernelILi41E19rocblas_complex_numIdEiiPS3_EEvT1_T3_lS5_lPS5_llPT2_S5_S5_S7_l.num_named_barrier, 0
	.set _ZN9rocsolver6v33100L18getf2_small_kernelILi41E19rocblas_complex_numIdEiiPS3_EEvT1_T3_lS5_lPS5_llPT2_S5_S5_S7_l.private_seg_size, 0
	.set _ZN9rocsolver6v33100L18getf2_small_kernelILi41E19rocblas_complex_numIdEiiPS3_EEvT1_T3_lS5_lPS5_llPT2_S5_S5_S7_l.uses_vcc, 1
	.set _ZN9rocsolver6v33100L18getf2_small_kernelILi41E19rocblas_complex_numIdEiiPS3_EEvT1_T3_lS5_lPS5_llPT2_S5_S5_S7_l.uses_flat_scratch, 0
	.set _ZN9rocsolver6v33100L18getf2_small_kernelILi41E19rocblas_complex_numIdEiiPS3_EEvT1_T3_lS5_lPS5_llPT2_S5_S5_S7_l.has_dyn_sized_stack, 0
	.set _ZN9rocsolver6v33100L18getf2_small_kernelILi41E19rocblas_complex_numIdEiiPS3_EEvT1_T3_lS5_lPS5_llPT2_S5_S5_S7_l.has_recursion, 0
	.set _ZN9rocsolver6v33100L18getf2_small_kernelILi41E19rocblas_complex_numIdEiiPS3_EEvT1_T3_lS5_lPS5_llPT2_S5_S5_S7_l.has_indirect_call, 0
	.section	.AMDGPU.csdata,"",@progbits
; Kernel info:
; codeLenInByte = 99864
; TotalNumSgprs: 21
; NumVgprs: 247
; ScratchSize: 0
; MemoryBound: 0
; FloatMode: 240
; IeeeMode: 1
; LDSByteSize: 0 bytes/workgroup (compile time only)
; SGPRBlocks: 0
; VGPRBlocks: 30
; NumSGPRsForWavesPerEU: 21
; NumVGPRsForWavesPerEU: 247
; Occupancy: 4
; WaveLimiterHint : 0
; COMPUTE_PGM_RSRC2:SCRATCH_EN: 0
; COMPUTE_PGM_RSRC2:USER_SGPR: 6
; COMPUTE_PGM_RSRC2:TRAP_HANDLER: 0
; COMPUTE_PGM_RSRC2:TGID_X_EN: 1
; COMPUTE_PGM_RSRC2:TGID_Y_EN: 1
; COMPUTE_PGM_RSRC2:TGID_Z_EN: 0
; COMPUTE_PGM_RSRC2:TIDIG_COMP_CNT: 1
	.section	.text._ZN9rocsolver6v33100L23getf2_npvt_small_kernelILi41E19rocblas_complex_numIdEiiPS3_EEvT1_T3_lS5_lPT2_S5_S5_,"axG",@progbits,_ZN9rocsolver6v33100L23getf2_npvt_small_kernelILi41E19rocblas_complex_numIdEiiPS3_EEvT1_T3_lS5_lPT2_S5_S5_,comdat
	.globl	_ZN9rocsolver6v33100L23getf2_npvt_small_kernelILi41E19rocblas_complex_numIdEiiPS3_EEvT1_T3_lS5_lPT2_S5_S5_ ; -- Begin function _ZN9rocsolver6v33100L23getf2_npvt_small_kernelILi41E19rocblas_complex_numIdEiiPS3_EEvT1_T3_lS5_lPT2_S5_S5_
	.p2align	8
	.type	_ZN9rocsolver6v33100L23getf2_npvt_small_kernelILi41E19rocblas_complex_numIdEiiPS3_EEvT1_T3_lS5_lPT2_S5_S5_,@function
_ZN9rocsolver6v33100L23getf2_npvt_small_kernelILi41E19rocblas_complex_numIdEiiPS3_EEvT1_T3_lS5_lPT2_S5_S5_: ; @_ZN9rocsolver6v33100L23getf2_npvt_small_kernelILi41E19rocblas_complex_numIdEiiPS3_EEvT1_T3_lS5_lPT2_S5_S5_
; %bb.0:
	s_mov_b64 s[18:19], s[2:3]
	s_mov_b64 s[16:17], s[0:1]
	s_clause 0x1
	s_load_dword s0, s[4:5], 0x44
	s_load_dwordx2 s[12:13], s[4:5], 0x30
	s_add_u32 s16, s16, s8
	s_addc_u32 s17, s17, 0
	s_waitcnt lgkmcnt(0)
	s_lshr_b32 s14, s0, 16
	s_mov_b32 s0, exec_lo
	v_mad_u64_u32 v[2:3], null, s7, s14, v[1:2]
	v_cmpx_gt_i32_e64 s12, v2
	s_cbranch_execz .LBB81_374
; %bb.1:
	s_clause 0x2
	s_load_dwordx4 s[8:11], s[4:5], 0x20
	s_load_dword s6, s[4:5], 0x18
	s_load_dwordx4 s[0:3], s[4:5], 0x8
	v_ashrrev_i32_e32 v3, 31, v2
	s_mulk_i32 s14, 0x290
	v_mad_u32_u24 v254, 0x290, v1, 0
	s_waitcnt lgkmcnt(0)
	v_mul_lo_u32 v5, s9, v2
	v_mul_lo_u32 v7, s8, v3
	buffer_store_dword v2, off, s[16:19], 0 offset:656 ; 4-byte Folded Spill
	buffer_store_dword v3, off, s[16:19], 0 offset:660 ; 4-byte Folded Spill
	v_add3_u32 v4, s6, s6, v0
	s_lshl_b64 s[2:3], s[2:3], 4
	s_ashr_i32 s7, s6, 31
	v_add_nc_u32_e32 v6, s6, v4
	v_add_nc_u32_e32 v8, s6, v6
	;; [unrolled: 1-line block ×3, first 2 shown]
	v_ashrrev_i32_e32 v9, 31, v8
	v_add_nc_u32_e32 v12, s6, v10
	v_ashrrev_i32_e32 v11, 31, v10
	v_lshlrev_b64 v[8:9], 4, v[8:9]
	v_add_nc_u32_e32 v14, s6, v12
	v_ashrrev_i32_e32 v13, 31, v12
	v_lshlrev_b64 v[10:11], 4, v[10:11]
	v_ashrrev_i32_e32 v15, 31, v14
	v_mad_u64_u32 v[2:3], null, s8, v2, 0
	v_add3_u32 v3, v3, v7, v5
	v_ashrrev_i32_e32 v5, 31, v4
	v_ashrrev_i32_e32 v7, 31, v6
	v_lshlrev_b64 v[2:3], 4, v[2:3]
	v_lshlrev_b64 v[4:5], 4, v[4:5]
	v_lshlrev_b64 v[6:7], 4, v[6:7]
	v_add_co_u32 v2, vcc_lo, s0, v2
	v_add_co_ci_u32_e64 v3, null, s1, v3, vcc_lo
	s_lshl_b64 s[0:1], s[6:7], 4
	v_add_co_u32 v2, vcc_lo, v2, s2
	v_add_co_ci_u32_e64 v3, null, s3, v3, vcc_lo
	v_add_co_u32 v252, vcc_lo, v2, v4
	v_add_co_ci_u32_e64 v253, null, v3, v5, vcc_lo
	v_add_co_u32 v246, vcc_lo, v2, v6
	v_add_nc_u32_e32 v6, s6, v14
	v_lshlrev_b64 v[4:5], 4, v[12:13]
	v_add_co_ci_u32_e64 v247, null, v3, v7, vcc_lo
	v_add_co_u32 v248, vcc_lo, v2, v8
	v_add_co_ci_u32_e64 v249, null, v3, v9, vcc_lo
	v_add_co_u32 v250, vcc_lo, v2, v10
	v_ashrrev_i32_e32 v7, 31, v6
	v_add_nc_u32_e32 v10, s6, v6
	v_lshlrev_b64 v[8:9], 4, v[14:15]
	v_add_co_ci_u32_e64 v251, null, v3, v11, vcc_lo
	v_add_co_u32 v244, vcc_lo, v2, v4
	v_add_co_ci_u32_e64 v245, null, v3, v5, vcc_lo
	v_lshlrev_b64 v[4:5], 4, v[6:7]
	v_ashrrev_i32_e32 v11, 31, v10
	v_add_nc_u32_e32 v6, s6, v10
	v_add_co_u32 v12, vcc_lo, v2, v8
	v_add_co_ci_u32_e64 v13, null, v3, v9, vcc_lo
	v_lshlrev_b64 v[8:9], 4, v[10:11]
	v_ashrrev_i32_e32 v7, 31, v6
	v_add_nc_u32_e32 v10, s6, v6
	;; [unrolled: 5-line block ×29, first 2 shown]
	v_add_co_u32 v180, vcc_lo, v2, v8
	v_add_co_ci_u32_e64 v181, null, v3, v9, vcc_lo
	v_lshlrev_b64 v[8:9], 4, v[10:11]
	v_add_nc_u32_e32 v10, s6, v6
	v_ashrrev_i32_e32 v7, 31, v6
	v_add_co_u32 v184, vcc_lo, v2, v4
	v_add_co_ci_u32_e64 v185, null, v3, v5, vcc_lo
	v_ashrrev_i32_e32 v11, 31, v10
	v_lshlrev_b64 v[4:5], 4, v[6:7]
	v_add_co_u32 v182, vcc_lo, v2, v8
	v_add_nc_u32_e32 v8, s6, v10
	v_lshlrev_b64 v[6:7], 4, v[10:11]
	v_lshlrev_b32_e32 v10, 4, v0
	v_add_co_ci_u32_e64 v183, null, v3, v9, vcc_lo
	v_add_co_u32 v186, vcc_lo, v2, v4
	v_add_co_ci_u32_e64 v187, null, v3, v5, vcc_lo
	v_add_co_u32 v6, vcc_lo, v2, v6
	v_ashrrev_i32_e32 v9, 31, v8
	v_add_co_ci_u32_e64 v7, null, v3, v7, vcc_lo
	v_add_co_u32 v10, vcc_lo, v2, v10
	v_add_co_ci_u32_e64 v11, null, 0, v3, vcc_lo
	v_lshlrev_b64 v[4:5], 4, v[8:9]
	v_add_co_u32 v8, vcc_lo, v10, s0
	v_add_co_ci_u32_e64 v9, null, s1, v11, vcc_lo
	buffer_store_dword v10, off, s[16:19], 0 offset:280 ; 4-byte Folded Spill
	buffer_store_dword v11, off, s[16:19], 0 offset:284 ; 4-byte Folded Spill
	v_add_co_u32 v2, vcc_lo, v2, v4
	v_add_co_ci_u32_e64 v3, null, v3, v5, vcc_lo
	v_cmp_ne_u32_e64 s1, 0, v0
	v_cmp_eq_u32_e64 s0, 0, v0
	global_load_dwordx4 v[162:165], v[10:11], off
	buffer_store_dword v8, off, s[16:19], 0 offset:272 ; 4-byte Folded Spill
	buffer_store_dword v9, off, s[16:19], 0 offset:276 ; 4-byte Folded Spill
	s_clause 0x5
	global_load_dwordx4 v[158:161], v[8:9], off
	global_load_dwordx4 v[154:157], v[252:253], off
	;; [unrolled: 1-line block ×6, first 2 shown]
	buffer_store_dword v12, off, s[16:19], 0 ; 4-byte Folded Spill
	buffer_store_dword v13, off, s[16:19], 0 offset:4 ; 4-byte Folded Spill
	global_load_dwordx4 v[134:137], v[12:13], off
	buffer_store_dword v14, off, s[16:19], 0 offset:8 ; 4-byte Folded Spill
	buffer_store_dword v15, off, s[16:19], 0 offset:12 ; 4-byte Folded Spill
	global_load_dwordx4 v[130:133], v[14:15], off
	buffer_store_dword v16, off, s[16:19], 0 offset:16 ; 4-byte Folded Spill
	;; [unrolled: 3-line block ×22, first 2 shown]
	buffer_store_dword v169, off, s[16:19], 0 offset:180 ; 4-byte Folded Spill
	v_lshlrev_b32_e32 v166, 4, v1
	v_add3_u32 v1, 0, s14, v166
	global_load_dwordx4 v[46:49], v[168:169], off
	buffer_store_dword v170, off, s[16:19], 0 offset:184 ; 4-byte Folded Spill
	buffer_store_dword v171, off, s[16:19], 0 offset:188 ; 4-byte Folded Spill
	global_load_dwordx4 v[42:45], v[170:171], off
	buffer_store_dword v172, off, s[16:19], 0 offset:192 ; 4-byte Folded Spill
	buffer_store_dword v173, off, s[16:19], 0 offset:196 ; 4-byte Folded Spill
	;; [unrolled: 3-line block ×11, first 2 shown]
	global_load_dwordx4 v[2:5], v[2:3], off
	s_and_saveexec_b32 s3, s0
	s_cbranch_execz .LBB81_8
; %bb.2:
	s_waitcnt vmcnt(40)
	ds_write2_b64 v1, v[162:163], v[164:165] offset1:1
	s_waitcnt vmcnt(39)
	ds_write2_b64 v254, v[158:159], v[160:161] offset0:2 offset1:3
	s_waitcnt vmcnt(38)
	ds_write2_b64 v254, v[154:155], v[156:157] offset0:4 offset1:5
	;; [unrolled: 2-line block ×40, first 2 shown]
	ds_read2_b64 v[166:169], v1 offset1:1
	s_waitcnt lgkmcnt(0)
	v_cmp_neq_f64_e32 vcc_lo, 0, v[166:167]
	v_cmp_neq_f64_e64 s2, 0, v[168:169]
	s_or_b32 s2, vcc_lo, s2
	s_and_b32 exec_lo, exec_lo, s2
	s_cbranch_execz .LBB81_8
; %bb.3:
	v_cmp_ngt_f64_e64 s2, |v[166:167]|, |v[168:169]|
                                        ; implicit-def: $vgpr170_vgpr171
	s_and_saveexec_b32 s4, s2
	s_xor_b32 s2, exec_lo, s4
                                        ; implicit-def: $vgpr172_vgpr173
	s_cbranch_execz .LBB81_5
; %bb.4:
	v_div_scale_f64 v[170:171], null, v[168:169], v[168:169], v[166:167]
	v_div_scale_f64 v[176:177], vcc_lo, v[166:167], v[168:169], v[166:167]
	v_rcp_f64_e32 v[172:173], v[170:171]
	v_fma_f64 v[174:175], -v[170:171], v[172:173], 1.0
	v_fma_f64 v[172:173], v[172:173], v[174:175], v[172:173]
	v_fma_f64 v[174:175], -v[170:171], v[172:173], 1.0
	v_fma_f64 v[172:173], v[172:173], v[174:175], v[172:173]
	v_mul_f64 v[174:175], v[176:177], v[172:173]
	v_fma_f64 v[170:171], -v[170:171], v[174:175], v[176:177]
	v_div_fmas_f64 v[170:171], v[170:171], v[172:173], v[174:175]
	v_div_fixup_f64 v[170:171], v[170:171], v[168:169], v[166:167]
	v_fma_f64 v[166:167], v[166:167], v[170:171], v[168:169]
	v_div_scale_f64 v[168:169], null, v[166:167], v[166:167], 1.0
	v_rcp_f64_e32 v[172:173], v[168:169]
	v_fma_f64 v[174:175], -v[168:169], v[172:173], 1.0
	v_fma_f64 v[172:173], v[172:173], v[174:175], v[172:173]
	v_fma_f64 v[174:175], -v[168:169], v[172:173], 1.0
	v_fma_f64 v[172:173], v[172:173], v[174:175], v[172:173]
	v_div_scale_f64 v[174:175], vcc_lo, 1.0, v[166:167], 1.0
	v_mul_f64 v[176:177], v[174:175], v[172:173]
	v_fma_f64 v[168:169], -v[168:169], v[176:177], v[174:175]
	v_div_fmas_f64 v[168:169], v[168:169], v[172:173], v[176:177]
	v_div_fixup_f64 v[172:173], v[168:169], v[166:167], 1.0
                                        ; implicit-def: $vgpr166_vgpr167
	v_mul_f64 v[170:171], v[170:171], v[172:173]
	v_xor_b32_e32 v173, 0x80000000, v173
.LBB81_5:
	s_andn2_saveexec_b32 s2, s2
	s_cbranch_execz .LBB81_7
; %bb.6:
	v_div_scale_f64 v[170:171], null, v[166:167], v[166:167], v[168:169]
	v_div_scale_f64 v[176:177], vcc_lo, v[168:169], v[166:167], v[168:169]
	v_rcp_f64_e32 v[172:173], v[170:171]
	v_fma_f64 v[174:175], -v[170:171], v[172:173], 1.0
	v_fma_f64 v[172:173], v[172:173], v[174:175], v[172:173]
	v_fma_f64 v[174:175], -v[170:171], v[172:173], 1.0
	v_fma_f64 v[172:173], v[172:173], v[174:175], v[172:173]
	v_mul_f64 v[174:175], v[176:177], v[172:173]
	v_fma_f64 v[170:171], -v[170:171], v[174:175], v[176:177]
	v_div_fmas_f64 v[170:171], v[170:171], v[172:173], v[174:175]
	v_div_fixup_f64 v[172:173], v[170:171], v[166:167], v[168:169]
	v_fma_f64 v[166:167], v[168:169], v[172:173], v[166:167]
	v_div_scale_f64 v[168:169], null, v[166:167], v[166:167], 1.0
	v_rcp_f64_e32 v[170:171], v[168:169]
	v_fma_f64 v[174:175], -v[168:169], v[170:171], 1.0
	v_fma_f64 v[170:171], v[170:171], v[174:175], v[170:171]
	v_fma_f64 v[174:175], -v[168:169], v[170:171], 1.0
	v_fma_f64 v[170:171], v[170:171], v[174:175], v[170:171]
	v_div_scale_f64 v[174:175], vcc_lo, 1.0, v[166:167], 1.0
	v_mul_f64 v[176:177], v[174:175], v[170:171]
	v_fma_f64 v[168:169], -v[168:169], v[176:177], v[174:175]
	v_div_fmas_f64 v[168:169], v[168:169], v[170:171], v[176:177]
	v_div_fixup_f64 v[170:171], v[168:169], v[166:167], 1.0
	v_mul_f64 v[172:173], v[172:173], -v[170:171]
.LBB81_7:
	s_or_b32 exec_lo, exec_lo, s2
	ds_write2_b64 v1, v[170:171], v[172:173] offset1:1
.LBB81_8:
	s_or_b32 exec_lo, exec_lo, s3
	s_waitcnt vmcnt(0) lgkmcnt(0)
	s_waitcnt_vscnt null, 0x0
	s_barrier
	buffer_gl0_inv
	ds_read2_b64 v[166:169], v1 offset1:1
	s_waitcnt lgkmcnt(0)
	buffer_store_dword v166, off, s[16:19], 0 offset:288 ; 4-byte Folded Spill
	buffer_store_dword v167, off, s[16:19], 0 offset:292 ; 4-byte Folded Spill
	;; [unrolled: 1-line block ×4, first 2 shown]
	s_and_saveexec_b32 s2, s1
	s_cbranch_execz .LBB81_10
; %bb.9:
	s_clause 0x3
	buffer_load_dword v168, off, s[16:19], 0 offset:288
	buffer_load_dword v169, off, s[16:19], 0 offset:292
	;; [unrolled: 1-line block ×4, first 2 shown]
	s_waitcnt vmcnt(0)
	v_mul_f64 v[166:167], v[170:171], v[164:165]
	v_mul_f64 v[164:165], v[168:169], v[164:165]
	v_fma_f64 v[166:167], v[168:169], v[162:163], -v[166:167]
	v_fma_f64 v[164:165], v[170:171], v[162:163], v[164:165]
	ds_read2_b64 v[168:171], v254 offset0:2 offset1:3
	s_waitcnt lgkmcnt(0)
	v_mul_f64 v[162:163], v[170:171], v[164:165]
	v_fma_f64 v[162:163], v[168:169], v[166:167], -v[162:163]
	v_mul_f64 v[168:169], v[168:169], v[164:165]
	v_add_f64 v[158:159], v[158:159], -v[162:163]
	v_fma_f64 v[168:169], v[170:171], v[166:167], v[168:169]
	v_add_f64 v[160:161], v[160:161], -v[168:169]
	ds_read2_b64 v[168:171], v254 offset0:4 offset1:5
	s_waitcnt lgkmcnt(0)
	v_mul_f64 v[162:163], v[170:171], v[164:165]
	v_fma_f64 v[162:163], v[168:169], v[166:167], -v[162:163]
	v_mul_f64 v[168:169], v[168:169], v[164:165]
	v_add_f64 v[154:155], v[154:155], -v[162:163]
	v_fma_f64 v[168:169], v[170:171], v[166:167], v[168:169]
	v_add_f64 v[156:157], v[156:157], -v[168:169]
	ds_read2_b64 v[168:171], v254 offset0:6 offset1:7
	s_waitcnt lgkmcnt(0)
	v_mul_f64 v[162:163], v[170:171], v[164:165]
	v_fma_f64 v[162:163], v[168:169], v[166:167], -v[162:163]
	v_mul_f64 v[168:169], v[168:169], v[164:165]
	v_add_f64 v[150:151], v[150:151], -v[162:163]
	v_fma_f64 v[168:169], v[170:171], v[166:167], v[168:169]
	v_add_f64 v[152:153], v[152:153], -v[168:169]
	ds_read2_b64 v[168:171], v254 offset0:8 offset1:9
	s_waitcnt lgkmcnt(0)
	v_mul_f64 v[162:163], v[170:171], v[164:165]
	v_fma_f64 v[162:163], v[168:169], v[166:167], -v[162:163]
	v_mul_f64 v[168:169], v[168:169], v[164:165]
	v_add_f64 v[146:147], v[146:147], -v[162:163]
	v_fma_f64 v[168:169], v[170:171], v[166:167], v[168:169]
	v_add_f64 v[148:149], v[148:149], -v[168:169]
	ds_read2_b64 v[168:171], v254 offset0:10 offset1:11
	s_waitcnt lgkmcnt(0)
	v_mul_f64 v[162:163], v[170:171], v[164:165]
	v_fma_f64 v[162:163], v[168:169], v[166:167], -v[162:163]
	v_mul_f64 v[168:169], v[168:169], v[164:165]
	v_add_f64 v[142:143], v[142:143], -v[162:163]
	v_fma_f64 v[168:169], v[170:171], v[166:167], v[168:169]
	v_add_f64 v[144:145], v[144:145], -v[168:169]
	ds_read2_b64 v[168:171], v254 offset0:12 offset1:13
	s_waitcnt lgkmcnt(0)
	v_mul_f64 v[162:163], v[170:171], v[164:165]
	v_fma_f64 v[162:163], v[168:169], v[166:167], -v[162:163]
	v_mul_f64 v[168:169], v[168:169], v[164:165]
	v_add_f64 v[138:139], v[138:139], -v[162:163]
	v_fma_f64 v[168:169], v[170:171], v[166:167], v[168:169]
	v_add_f64 v[140:141], v[140:141], -v[168:169]
	ds_read2_b64 v[168:171], v254 offset0:14 offset1:15
	s_waitcnt lgkmcnt(0)
	v_mul_f64 v[162:163], v[170:171], v[164:165]
	v_fma_f64 v[162:163], v[168:169], v[166:167], -v[162:163]
	v_mul_f64 v[168:169], v[168:169], v[164:165]
	v_add_f64 v[134:135], v[134:135], -v[162:163]
	v_fma_f64 v[168:169], v[170:171], v[166:167], v[168:169]
	v_add_f64 v[136:137], v[136:137], -v[168:169]
	ds_read2_b64 v[168:171], v254 offset0:16 offset1:17
	s_waitcnt lgkmcnt(0)
	v_mul_f64 v[162:163], v[170:171], v[164:165]
	v_fma_f64 v[162:163], v[168:169], v[166:167], -v[162:163]
	v_mul_f64 v[168:169], v[168:169], v[164:165]
	v_add_f64 v[130:131], v[130:131], -v[162:163]
	v_fma_f64 v[168:169], v[170:171], v[166:167], v[168:169]
	v_add_f64 v[132:133], v[132:133], -v[168:169]
	ds_read2_b64 v[168:171], v254 offset0:18 offset1:19
	s_waitcnt lgkmcnt(0)
	v_mul_f64 v[162:163], v[170:171], v[164:165]
	v_fma_f64 v[162:163], v[168:169], v[166:167], -v[162:163]
	v_mul_f64 v[168:169], v[168:169], v[164:165]
	v_add_f64 v[126:127], v[126:127], -v[162:163]
	v_fma_f64 v[168:169], v[170:171], v[166:167], v[168:169]
	v_add_f64 v[128:129], v[128:129], -v[168:169]
	ds_read2_b64 v[168:171], v254 offset0:20 offset1:21
	s_waitcnt lgkmcnt(0)
	v_mul_f64 v[162:163], v[170:171], v[164:165]
	v_fma_f64 v[162:163], v[168:169], v[166:167], -v[162:163]
	v_mul_f64 v[168:169], v[168:169], v[164:165]
	v_add_f64 v[122:123], v[122:123], -v[162:163]
	v_fma_f64 v[168:169], v[170:171], v[166:167], v[168:169]
	v_add_f64 v[124:125], v[124:125], -v[168:169]
	ds_read2_b64 v[168:171], v254 offset0:22 offset1:23
	s_waitcnt lgkmcnt(0)
	v_mul_f64 v[162:163], v[170:171], v[164:165]
	v_fma_f64 v[162:163], v[168:169], v[166:167], -v[162:163]
	v_mul_f64 v[168:169], v[168:169], v[164:165]
	v_add_f64 v[118:119], v[118:119], -v[162:163]
	v_fma_f64 v[168:169], v[170:171], v[166:167], v[168:169]
	v_add_f64 v[120:121], v[120:121], -v[168:169]
	ds_read2_b64 v[168:171], v254 offset0:24 offset1:25
	s_waitcnt lgkmcnt(0)
	v_mul_f64 v[162:163], v[170:171], v[164:165]
	v_fma_f64 v[162:163], v[168:169], v[166:167], -v[162:163]
	v_mul_f64 v[168:169], v[168:169], v[164:165]
	v_add_f64 v[114:115], v[114:115], -v[162:163]
	v_fma_f64 v[168:169], v[170:171], v[166:167], v[168:169]
	v_add_f64 v[116:117], v[116:117], -v[168:169]
	ds_read2_b64 v[168:171], v254 offset0:26 offset1:27
	s_waitcnt lgkmcnt(0)
	v_mul_f64 v[162:163], v[170:171], v[164:165]
	v_fma_f64 v[162:163], v[168:169], v[166:167], -v[162:163]
	v_mul_f64 v[168:169], v[168:169], v[164:165]
	v_add_f64 v[110:111], v[110:111], -v[162:163]
	v_fma_f64 v[168:169], v[170:171], v[166:167], v[168:169]
	v_add_f64 v[112:113], v[112:113], -v[168:169]
	ds_read2_b64 v[168:171], v254 offset0:28 offset1:29
	s_waitcnt lgkmcnt(0)
	v_mul_f64 v[162:163], v[170:171], v[164:165]
	v_fma_f64 v[162:163], v[168:169], v[166:167], -v[162:163]
	v_mul_f64 v[168:169], v[168:169], v[164:165]
	v_add_f64 v[106:107], v[106:107], -v[162:163]
	v_fma_f64 v[168:169], v[170:171], v[166:167], v[168:169]
	v_add_f64 v[108:109], v[108:109], -v[168:169]
	ds_read2_b64 v[168:171], v254 offset0:30 offset1:31
	s_waitcnt lgkmcnt(0)
	v_mul_f64 v[162:163], v[170:171], v[164:165]
	v_fma_f64 v[162:163], v[168:169], v[166:167], -v[162:163]
	v_mul_f64 v[168:169], v[168:169], v[164:165]
	v_add_f64 v[102:103], v[102:103], -v[162:163]
	v_fma_f64 v[168:169], v[170:171], v[166:167], v[168:169]
	v_add_f64 v[104:105], v[104:105], -v[168:169]
	ds_read2_b64 v[168:171], v254 offset0:32 offset1:33
	s_waitcnt lgkmcnt(0)
	v_mul_f64 v[162:163], v[170:171], v[164:165]
	v_fma_f64 v[162:163], v[168:169], v[166:167], -v[162:163]
	v_mul_f64 v[168:169], v[168:169], v[164:165]
	v_add_f64 v[98:99], v[98:99], -v[162:163]
	v_fma_f64 v[168:169], v[170:171], v[166:167], v[168:169]
	v_add_f64 v[100:101], v[100:101], -v[168:169]
	ds_read2_b64 v[168:171], v254 offset0:34 offset1:35
	s_waitcnt lgkmcnt(0)
	v_mul_f64 v[162:163], v[170:171], v[164:165]
	v_fma_f64 v[162:163], v[168:169], v[166:167], -v[162:163]
	v_mul_f64 v[168:169], v[168:169], v[164:165]
	v_add_f64 v[94:95], v[94:95], -v[162:163]
	v_fma_f64 v[168:169], v[170:171], v[166:167], v[168:169]
	v_add_f64 v[96:97], v[96:97], -v[168:169]
	ds_read2_b64 v[168:171], v254 offset0:36 offset1:37
	s_waitcnt lgkmcnt(0)
	v_mul_f64 v[162:163], v[170:171], v[164:165]
	v_fma_f64 v[162:163], v[168:169], v[166:167], -v[162:163]
	v_mul_f64 v[168:169], v[168:169], v[164:165]
	v_add_f64 v[90:91], v[90:91], -v[162:163]
	v_fma_f64 v[168:169], v[170:171], v[166:167], v[168:169]
	v_add_f64 v[92:93], v[92:93], -v[168:169]
	ds_read2_b64 v[168:171], v254 offset0:38 offset1:39
	s_waitcnt lgkmcnt(0)
	v_mul_f64 v[162:163], v[170:171], v[164:165]
	v_fma_f64 v[162:163], v[168:169], v[166:167], -v[162:163]
	v_mul_f64 v[168:169], v[168:169], v[164:165]
	v_add_f64 v[86:87], v[86:87], -v[162:163]
	v_fma_f64 v[168:169], v[170:171], v[166:167], v[168:169]
	v_add_f64 v[88:89], v[88:89], -v[168:169]
	ds_read2_b64 v[168:171], v254 offset0:40 offset1:41
	s_waitcnt lgkmcnt(0)
	v_mul_f64 v[162:163], v[170:171], v[164:165]
	v_fma_f64 v[162:163], v[168:169], v[166:167], -v[162:163]
	v_mul_f64 v[168:169], v[168:169], v[164:165]
	v_add_f64 v[82:83], v[82:83], -v[162:163]
	v_fma_f64 v[168:169], v[170:171], v[166:167], v[168:169]
	v_add_f64 v[84:85], v[84:85], -v[168:169]
	ds_read2_b64 v[168:171], v254 offset0:42 offset1:43
	s_waitcnt lgkmcnt(0)
	v_mul_f64 v[162:163], v[170:171], v[164:165]
	v_fma_f64 v[162:163], v[168:169], v[166:167], -v[162:163]
	v_mul_f64 v[168:169], v[168:169], v[164:165]
	v_add_f64 v[78:79], v[78:79], -v[162:163]
	v_fma_f64 v[168:169], v[170:171], v[166:167], v[168:169]
	v_add_f64 v[80:81], v[80:81], -v[168:169]
	ds_read2_b64 v[168:171], v254 offset0:44 offset1:45
	s_waitcnt lgkmcnt(0)
	v_mul_f64 v[162:163], v[170:171], v[164:165]
	v_fma_f64 v[162:163], v[168:169], v[166:167], -v[162:163]
	v_mul_f64 v[168:169], v[168:169], v[164:165]
	v_add_f64 v[74:75], v[74:75], -v[162:163]
	v_fma_f64 v[168:169], v[170:171], v[166:167], v[168:169]
	v_add_f64 v[76:77], v[76:77], -v[168:169]
	ds_read2_b64 v[168:171], v254 offset0:46 offset1:47
	s_waitcnt lgkmcnt(0)
	v_mul_f64 v[162:163], v[170:171], v[164:165]
	v_fma_f64 v[162:163], v[168:169], v[166:167], -v[162:163]
	v_mul_f64 v[168:169], v[168:169], v[164:165]
	v_add_f64 v[70:71], v[70:71], -v[162:163]
	v_fma_f64 v[168:169], v[170:171], v[166:167], v[168:169]
	v_add_f64 v[72:73], v[72:73], -v[168:169]
	ds_read2_b64 v[168:171], v254 offset0:48 offset1:49
	s_waitcnt lgkmcnt(0)
	v_mul_f64 v[162:163], v[170:171], v[164:165]
	v_fma_f64 v[162:163], v[168:169], v[166:167], -v[162:163]
	v_mul_f64 v[168:169], v[168:169], v[164:165]
	v_add_f64 v[66:67], v[66:67], -v[162:163]
	v_fma_f64 v[168:169], v[170:171], v[166:167], v[168:169]
	v_add_f64 v[68:69], v[68:69], -v[168:169]
	ds_read2_b64 v[168:171], v254 offset0:50 offset1:51
	s_waitcnt lgkmcnt(0)
	v_mul_f64 v[162:163], v[170:171], v[164:165]
	v_fma_f64 v[162:163], v[168:169], v[166:167], -v[162:163]
	v_mul_f64 v[168:169], v[168:169], v[164:165]
	v_add_f64 v[62:63], v[62:63], -v[162:163]
	v_fma_f64 v[168:169], v[170:171], v[166:167], v[168:169]
	v_add_f64 v[64:65], v[64:65], -v[168:169]
	ds_read2_b64 v[168:171], v254 offset0:52 offset1:53
	s_waitcnt lgkmcnt(0)
	v_mul_f64 v[162:163], v[170:171], v[164:165]
	v_fma_f64 v[162:163], v[168:169], v[166:167], -v[162:163]
	v_mul_f64 v[168:169], v[168:169], v[164:165]
	v_add_f64 v[58:59], v[58:59], -v[162:163]
	v_fma_f64 v[168:169], v[170:171], v[166:167], v[168:169]
	v_add_f64 v[60:61], v[60:61], -v[168:169]
	ds_read2_b64 v[168:171], v254 offset0:54 offset1:55
	s_waitcnt lgkmcnt(0)
	v_mul_f64 v[162:163], v[170:171], v[164:165]
	v_fma_f64 v[162:163], v[168:169], v[166:167], -v[162:163]
	v_mul_f64 v[168:169], v[168:169], v[164:165]
	v_add_f64 v[54:55], v[54:55], -v[162:163]
	v_fma_f64 v[168:169], v[170:171], v[166:167], v[168:169]
	v_add_f64 v[56:57], v[56:57], -v[168:169]
	ds_read2_b64 v[168:171], v254 offset0:56 offset1:57
	s_waitcnt lgkmcnt(0)
	v_mul_f64 v[162:163], v[170:171], v[164:165]
	v_fma_f64 v[162:163], v[168:169], v[166:167], -v[162:163]
	v_mul_f64 v[168:169], v[168:169], v[164:165]
	v_add_f64 v[50:51], v[50:51], -v[162:163]
	v_fma_f64 v[168:169], v[170:171], v[166:167], v[168:169]
	v_add_f64 v[52:53], v[52:53], -v[168:169]
	ds_read2_b64 v[168:171], v254 offset0:58 offset1:59
	s_waitcnt lgkmcnt(0)
	v_mul_f64 v[162:163], v[170:171], v[164:165]
	v_fma_f64 v[162:163], v[168:169], v[166:167], -v[162:163]
	v_mul_f64 v[168:169], v[168:169], v[164:165]
	v_add_f64 v[46:47], v[46:47], -v[162:163]
	v_fma_f64 v[168:169], v[170:171], v[166:167], v[168:169]
	v_add_f64 v[48:49], v[48:49], -v[168:169]
	ds_read2_b64 v[168:171], v254 offset0:60 offset1:61
	s_waitcnt lgkmcnt(0)
	v_mul_f64 v[162:163], v[170:171], v[164:165]
	v_fma_f64 v[162:163], v[168:169], v[166:167], -v[162:163]
	v_mul_f64 v[168:169], v[168:169], v[164:165]
	v_add_f64 v[42:43], v[42:43], -v[162:163]
	v_fma_f64 v[168:169], v[170:171], v[166:167], v[168:169]
	v_add_f64 v[44:45], v[44:45], -v[168:169]
	ds_read2_b64 v[168:171], v254 offset0:62 offset1:63
	s_waitcnt lgkmcnt(0)
	v_mul_f64 v[162:163], v[170:171], v[164:165]
	v_fma_f64 v[162:163], v[168:169], v[166:167], -v[162:163]
	v_mul_f64 v[168:169], v[168:169], v[164:165]
	v_add_f64 v[38:39], v[38:39], -v[162:163]
	v_fma_f64 v[168:169], v[170:171], v[166:167], v[168:169]
	v_add_f64 v[40:41], v[40:41], -v[168:169]
	ds_read2_b64 v[168:171], v254 offset0:64 offset1:65
	s_waitcnt lgkmcnt(0)
	v_mul_f64 v[162:163], v[170:171], v[164:165]
	v_fma_f64 v[162:163], v[168:169], v[166:167], -v[162:163]
	v_mul_f64 v[168:169], v[168:169], v[164:165]
	v_add_f64 v[34:35], v[34:35], -v[162:163]
	v_fma_f64 v[168:169], v[170:171], v[166:167], v[168:169]
	v_add_f64 v[36:37], v[36:37], -v[168:169]
	ds_read2_b64 v[168:171], v254 offset0:66 offset1:67
	s_waitcnt lgkmcnt(0)
	v_mul_f64 v[162:163], v[170:171], v[164:165]
	v_fma_f64 v[162:163], v[168:169], v[166:167], -v[162:163]
	v_mul_f64 v[168:169], v[168:169], v[164:165]
	v_add_f64 v[30:31], v[30:31], -v[162:163]
	v_fma_f64 v[168:169], v[170:171], v[166:167], v[168:169]
	v_add_f64 v[32:33], v[32:33], -v[168:169]
	ds_read2_b64 v[168:171], v254 offset0:68 offset1:69
	s_waitcnt lgkmcnt(0)
	v_mul_f64 v[162:163], v[170:171], v[164:165]
	v_fma_f64 v[162:163], v[168:169], v[166:167], -v[162:163]
	v_mul_f64 v[168:169], v[168:169], v[164:165]
	v_add_f64 v[26:27], v[26:27], -v[162:163]
	v_fma_f64 v[168:169], v[170:171], v[166:167], v[168:169]
	v_add_f64 v[28:29], v[28:29], -v[168:169]
	ds_read2_b64 v[168:171], v254 offset0:70 offset1:71
	s_waitcnt lgkmcnt(0)
	v_mul_f64 v[162:163], v[170:171], v[164:165]
	v_fma_f64 v[162:163], v[168:169], v[166:167], -v[162:163]
	v_mul_f64 v[168:169], v[168:169], v[164:165]
	v_add_f64 v[22:23], v[22:23], -v[162:163]
	v_fma_f64 v[168:169], v[170:171], v[166:167], v[168:169]
	v_add_f64 v[24:25], v[24:25], -v[168:169]
	ds_read2_b64 v[168:171], v254 offset0:72 offset1:73
	s_waitcnt lgkmcnt(0)
	v_mul_f64 v[162:163], v[170:171], v[164:165]
	v_fma_f64 v[162:163], v[168:169], v[166:167], -v[162:163]
	v_mul_f64 v[168:169], v[168:169], v[164:165]
	v_add_f64 v[18:19], v[18:19], -v[162:163]
	v_fma_f64 v[168:169], v[170:171], v[166:167], v[168:169]
	v_add_f64 v[20:21], v[20:21], -v[168:169]
	ds_read2_b64 v[168:171], v254 offset0:74 offset1:75
	s_waitcnt lgkmcnt(0)
	v_mul_f64 v[162:163], v[170:171], v[164:165]
	v_fma_f64 v[162:163], v[168:169], v[166:167], -v[162:163]
	v_mul_f64 v[168:169], v[168:169], v[164:165]
	v_add_f64 v[14:15], v[14:15], -v[162:163]
	v_fma_f64 v[168:169], v[170:171], v[166:167], v[168:169]
	v_add_f64 v[16:17], v[16:17], -v[168:169]
	ds_read2_b64 v[168:171], v254 offset0:76 offset1:77
	s_waitcnt lgkmcnt(0)
	v_mul_f64 v[162:163], v[170:171], v[164:165]
	v_fma_f64 v[162:163], v[168:169], v[166:167], -v[162:163]
	v_mul_f64 v[168:169], v[168:169], v[164:165]
	v_add_f64 v[10:11], v[10:11], -v[162:163]
	v_fma_f64 v[168:169], v[170:171], v[166:167], v[168:169]
	v_add_f64 v[12:13], v[12:13], -v[168:169]
	ds_read2_b64 v[168:171], v254 offset0:78 offset1:79
	s_waitcnt lgkmcnt(0)
	v_mul_f64 v[162:163], v[170:171], v[164:165]
	v_fma_f64 v[162:163], v[168:169], v[166:167], -v[162:163]
	v_mul_f64 v[168:169], v[168:169], v[164:165]
	v_add_f64 v[6:7], v[6:7], -v[162:163]
	v_fma_f64 v[168:169], v[170:171], v[166:167], v[168:169]
	v_add_f64 v[8:9], v[8:9], -v[168:169]
	ds_read2_b64 v[168:171], v254 offset0:80 offset1:81
	s_waitcnt lgkmcnt(0)
	v_mul_f64 v[162:163], v[170:171], v[164:165]
	v_fma_f64 v[162:163], v[168:169], v[166:167], -v[162:163]
	v_mul_f64 v[168:169], v[168:169], v[164:165]
	v_add_f64 v[2:3], v[2:3], -v[162:163]
	v_fma_f64 v[168:169], v[170:171], v[166:167], v[168:169]
	v_mov_b32_e32 v162, v166
	v_mov_b32_e32 v163, v167
	v_add_f64 v[4:5], v[4:5], -v[168:169]
.LBB81_10:
	s_or_b32 exec_lo, exec_lo, s2
	s_mov_b32 s2, exec_lo
	s_waitcnt_vscnt null, 0x0
	s_barrier
	buffer_gl0_inv
	v_cmpx_eq_u32_e32 1, v0
	s_cbranch_execz .LBB81_17
; %bb.11:
	ds_write2_b64 v1, v[158:159], v[160:161] offset1:1
	ds_write2_b64 v254, v[154:155], v[156:157] offset0:4 offset1:5
	ds_write2_b64 v254, v[150:151], v[152:153] offset0:6 offset1:7
	;; [unrolled: 1-line block ×39, first 2 shown]
	ds_read2_b64 v[166:169], v1 offset1:1
	s_waitcnt lgkmcnt(0)
	v_cmp_neq_f64_e32 vcc_lo, 0, v[166:167]
	v_cmp_neq_f64_e64 s1, 0, v[168:169]
	s_or_b32 s1, vcc_lo, s1
	s_and_b32 exec_lo, exec_lo, s1
	s_cbranch_execz .LBB81_17
; %bb.12:
	v_cmp_ngt_f64_e64 s1, |v[166:167]|, |v[168:169]|
                                        ; implicit-def: $vgpr170_vgpr171
	s_and_saveexec_b32 s3, s1
	s_xor_b32 s1, exec_lo, s3
                                        ; implicit-def: $vgpr172_vgpr173
	s_cbranch_execz .LBB81_14
; %bb.13:
	v_div_scale_f64 v[170:171], null, v[168:169], v[168:169], v[166:167]
	v_div_scale_f64 v[176:177], vcc_lo, v[166:167], v[168:169], v[166:167]
	v_rcp_f64_e32 v[172:173], v[170:171]
	v_fma_f64 v[174:175], -v[170:171], v[172:173], 1.0
	v_fma_f64 v[172:173], v[172:173], v[174:175], v[172:173]
	v_fma_f64 v[174:175], -v[170:171], v[172:173], 1.0
	v_fma_f64 v[172:173], v[172:173], v[174:175], v[172:173]
	v_mul_f64 v[174:175], v[176:177], v[172:173]
	v_fma_f64 v[170:171], -v[170:171], v[174:175], v[176:177]
	v_div_fmas_f64 v[170:171], v[170:171], v[172:173], v[174:175]
	v_div_fixup_f64 v[170:171], v[170:171], v[168:169], v[166:167]
	v_fma_f64 v[166:167], v[166:167], v[170:171], v[168:169]
	v_div_scale_f64 v[168:169], null, v[166:167], v[166:167], 1.0
	v_rcp_f64_e32 v[172:173], v[168:169]
	v_fma_f64 v[174:175], -v[168:169], v[172:173], 1.0
	v_fma_f64 v[172:173], v[172:173], v[174:175], v[172:173]
	v_fma_f64 v[174:175], -v[168:169], v[172:173], 1.0
	v_fma_f64 v[172:173], v[172:173], v[174:175], v[172:173]
	v_div_scale_f64 v[174:175], vcc_lo, 1.0, v[166:167], 1.0
	v_mul_f64 v[176:177], v[174:175], v[172:173]
	v_fma_f64 v[168:169], -v[168:169], v[176:177], v[174:175]
	v_div_fmas_f64 v[168:169], v[168:169], v[172:173], v[176:177]
	v_div_fixup_f64 v[172:173], v[168:169], v[166:167], 1.0
                                        ; implicit-def: $vgpr166_vgpr167
	v_mul_f64 v[170:171], v[170:171], v[172:173]
	v_xor_b32_e32 v173, 0x80000000, v173
.LBB81_14:
	s_andn2_saveexec_b32 s1, s1
	s_cbranch_execz .LBB81_16
; %bb.15:
	v_div_scale_f64 v[170:171], null, v[166:167], v[166:167], v[168:169]
	v_div_scale_f64 v[176:177], vcc_lo, v[168:169], v[166:167], v[168:169]
	v_rcp_f64_e32 v[172:173], v[170:171]
	v_fma_f64 v[174:175], -v[170:171], v[172:173], 1.0
	v_fma_f64 v[172:173], v[172:173], v[174:175], v[172:173]
	v_fma_f64 v[174:175], -v[170:171], v[172:173], 1.0
	v_fma_f64 v[172:173], v[172:173], v[174:175], v[172:173]
	v_mul_f64 v[174:175], v[176:177], v[172:173]
	v_fma_f64 v[170:171], -v[170:171], v[174:175], v[176:177]
	v_div_fmas_f64 v[170:171], v[170:171], v[172:173], v[174:175]
	v_div_fixup_f64 v[172:173], v[170:171], v[166:167], v[168:169]
	v_fma_f64 v[166:167], v[168:169], v[172:173], v[166:167]
	v_div_scale_f64 v[168:169], null, v[166:167], v[166:167], 1.0
	v_rcp_f64_e32 v[170:171], v[168:169]
	v_fma_f64 v[174:175], -v[168:169], v[170:171], 1.0
	v_fma_f64 v[170:171], v[170:171], v[174:175], v[170:171]
	v_fma_f64 v[174:175], -v[168:169], v[170:171], 1.0
	v_fma_f64 v[170:171], v[170:171], v[174:175], v[170:171]
	v_div_scale_f64 v[174:175], vcc_lo, 1.0, v[166:167], 1.0
	v_mul_f64 v[176:177], v[174:175], v[170:171]
	v_fma_f64 v[168:169], -v[168:169], v[176:177], v[174:175]
	v_div_fmas_f64 v[168:169], v[168:169], v[170:171], v[176:177]
	v_div_fixup_f64 v[170:171], v[168:169], v[166:167], 1.0
	v_mul_f64 v[172:173], v[172:173], -v[170:171]
.LBB81_16:
	s_or_b32 exec_lo, exec_lo, s1
	ds_write2_b64 v1, v[170:171], v[172:173] offset1:1
.LBB81_17:
	s_or_b32 exec_lo, exec_lo, s2
	s_waitcnt lgkmcnt(0)
	s_barrier
	buffer_gl0_inv
	ds_read2_b64 v[166:169], v1 offset1:1
	s_mov_b32 s1, exec_lo
	s_waitcnt lgkmcnt(0)
	buffer_store_dword v166, off, s[16:19], 0 offset:304 ; 4-byte Folded Spill
	buffer_store_dword v167, off, s[16:19], 0 offset:308 ; 4-byte Folded Spill
	;; [unrolled: 1-line block ×4, first 2 shown]
	v_cmpx_lt_u32_e32 1, v0
	s_cbranch_execz .LBB81_19
; %bb.18:
	s_clause 0x3
	buffer_load_dword v168, off, s[16:19], 0 offset:304
	buffer_load_dword v169, off, s[16:19], 0 offset:308
	;; [unrolled: 1-line block ×4, first 2 shown]
	s_waitcnt vmcnt(0)
	v_mul_f64 v[166:167], v[170:171], v[160:161]
	v_mul_f64 v[160:161], v[168:169], v[160:161]
	v_fma_f64 v[166:167], v[168:169], v[158:159], -v[166:167]
	v_fma_f64 v[160:161], v[170:171], v[158:159], v[160:161]
	ds_read2_b64 v[168:171], v254 offset0:4 offset1:5
	s_waitcnt lgkmcnt(0)
	v_mul_f64 v[158:159], v[170:171], v[160:161]
	v_fma_f64 v[158:159], v[168:169], v[166:167], -v[158:159]
	v_mul_f64 v[168:169], v[168:169], v[160:161]
	v_add_f64 v[154:155], v[154:155], -v[158:159]
	v_fma_f64 v[168:169], v[170:171], v[166:167], v[168:169]
	v_add_f64 v[156:157], v[156:157], -v[168:169]
	ds_read2_b64 v[168:171], v254 offset0:6 offset1:7
	s_waitcnt lgkmcnt(0)
	v_mul_f64 v[158:159], v[170:171], v[160:161]
	v_fma_f64 v[158:159], v[168:169], v[166:167], -v[158:159]
	v_mul_f64 v[168:169], v[168:169], v[160:161]
	v_add_f64 v[150:151], v[150:151], -v[158:159]
	v_fma_f64 v[168:169], v[170:171], v[166:167], v[168:169]
	v_add_f64 v[152:153], v[152:153], -v[168:169]
	;; [unrolled: 8-line block ×38, first 2 shown]
	ds_read2_b64 v[168:171], v254 offset0:80 offset1:81
	s_waitcnt lgkmcnt(0)
	v_mul_f64 v[158:159], v[170:171], v[160:161]
	v_fma_f64 v[158:159], v[168:169], v[166:167], -v[158:159]
	v_mul_f64 v[168:169], v[168:169], v[160:161]
	v_add_f64 v[2:3], v[2:3], -v[158:159]
	v_fma_f64 v[168:169], v[170:171], v[166:167], v[168:169]
	v_mov_b32_e32 v158, v166
	v_mov_b32_e32 v159, v167
	v_add_f64 v[4:5], v[4:5], -v[168:169]
.LBB81_19:
	s_or_b32 exec_lo, exec_lo, s1
	s_mov_b32 s2, exec_lo
	s_waitcnt_vscnt null, 0x0
	s_barrier
	buffer_gl0_inv
	v_cmpx_eq_u32_e32 2, v0
	s_cbranch_execz .LBB81_26
; %bb.20:
	ds_write2_b64 v1, v[154:155], v[156:157] offset1:1
	ds_write2_b64 v254, v[150:151], v[152:153] offset0:6 offset1:7
	ds_write2_b64 v254, v[146:147], v[148:149] offset0:8 offset1:9
	;; [unrolled: 1-line block ×38, first 2 shown]
	ds_read2_b64 v[166:169], v1 offset1:1
	s_waitcnt lgkmcnt(0)
	v_cmp_neq_f64_e32 vcc_lo, 0, v[166:167]
	v_cmp_neq_f64_e64 s1, 0, v[168:169]
	s_or_b32 s1, vcc_lo, s1
	s_and_b32 exec_lo, exec_lo, s1
	s_cbranch_execz .LBB81_26
; %bb.21:
	v_cmp_ngt_f64_e64 s1, |v[166:167]|, |v[168:169]|
                                        ; implicit-def: $vgpr170_vgpr171
	s_and_saveexec_b32 s3, s1
	s_xor_b32 s1, exec_lo, s3
                                        ; implicit-def: $vgpr172_vgpr173
	s_cbranch_execz .LBB81_23
; %bb.22:
	v_div_scale_f64 v[170:171], null, v[168:169], v[168:169], v[166:167]
	v_div_scale_f64 v[176:177], vcc_lo, v[166:167], v[168:169], v[166:167]
	v_rcp_f64_e32 v[172:173], v[170:171]
	v_fma_f64 v[174:175], -v[170:171], v[172:173], 1.0
	v_fma_f64 v[172:173], v[172:173], v[174:175], v[172:173]
	v_fma_f64 v[174:175], -v[170:171], v[172:173], 1.0
	v_fma_f64 v[172:173], v[172:173], v[174:175], v[172:173]
	v_mul_f64 v[174:175], v[176:177], v[172:173]
	v_fma_f64 v[170:171], -v[170:171], v[174:175], v[176:177]
	v_div_fmas_f64 v[170:171], v[170:171], v[172:173], v[174:175]
	v_div_fixup_f64 v[170:171], v[170:171], v[168:169], v[166:167]
	v_fma_f64 v[166:167], v[166:167], v[170:171], v[168:169]
	v_div_scale_f64 v[168:169], null, v[166:167], v[166:167], 1.0
	v_rcp_f64_e32 v[172:173], v[168:169]
	v_fma_f64 v[174:175], -v[168:169], v[172:173], 1.0
	v_fma_f64 v[172:173], v[172:173], v[174:175], v[172:173]
	v_fma_f64 v[174:175], -v[168:169], v[172:173], 1.0
	v_fma_f64 v[172:173], v[172:173], v[174:175], v[172:173]
	v_div_scale_f64 v[174:175], vcc_lo, 1.0, v[166:167], 1.0
	v_mul_f64 v[176:177], v[174:175], v[172:173]
	v_fma_f64 v[168:169], -v[168:169], v[176:177], v[174:175]
	v_div_fmas_f64 v[168:169], v[168:169], v[172:173], v[176:177]
	v_div_fixup_f64 v[172:173], v[168:169], v[166:167], 1.0
                                        ; implicit-def: $vgpr166_vgpr167
	v_mul_f64 v[170:171], v[170:171], v[172:173]
	v_xor_b32_e32 v173, 0x80000000, v173
.LBB81_23:
	s_andn2_saveexec_b32 s1, s1
	s_cbranch_execz .LBB81_25
; %bb.24:
	v_div_scale_f64 v[170:171], null, v[166:167], v[166:167], v[168:169]
	v_div_scale_f64 v[176:177], vcc_lo, v[168:169], v[166:167], v[168:169]
	v_rcp_f64_e32 v[172:173], v[170:171]
	v_fma_f64 v[174:175], -v[170:171], v[172:173], 1.0
	v_fma_f64 v[172:173], v[172:173], v[174:175], v[172:173]
	v_fma_f64 v[174:175], -v[170:171], v[172:173], 1.0
	v_fma_f64 v[172:173], v[172:173], v[174:175], v[172:173]
	v_mul_f64 v[174:175], v[176:177], v[172:173]
	v_fma_f64 v[170:171], -v[170:171], v[174:175], v[176:177]
	v_div_fmas_f64 v[170:171], v[170:171], v[172:173], v[174:175]
	v_div_fixup_f64 v[172:173], v[170:171], v[166:167], v[168:169]
	v_fma_f64 v[166:167], v[168:169], v[172:173], v[166:167]
	v_div_scale_f64 v[168:169], null, v[166:167], v[166:167], 1.0
	v_rcp_f64_e32 v[170:171], v[168:169]
	v_fma_f64 v[174:175], -v[168:169], v[170:171], 1.0
	v_fma_f64 v[170:171], v[170:171], v[174:175], v[170:171]
	v_fma_f64 v[174:175], -v[168:169], v[170:171], 1.0
	v_fma_f64 v[170:171], v[170:171], v[174:175], v[170:171]
	v_div_scale_f64 v[174:175], vcc_lo, 1.0, v[166:167], 1.0
	v_mul_f64 v[176:177], v[174:175], v[170:171]
	v_fma_f64 v[168:169], -v[168:169], v[176:177], v[174:175]
	v_div_fmas_f64 v[168:169], v[168:169], v[170:171], v[176:177]
	v_div_fixup_f64 v[170:171], v[168:169], v[166:167], 1.0
	v_mul_f64 v[172:173], v[172:173], -v[170:171]
.LBB81_25:
	s_or_b32 exec_lo, exec_lo, s1
	ds_write2_b64 v1, v[170:171], v[172:173] offset1:1
.LBB81_26:
	s_or_b32 exec_lo, exec_lo, s2
	s_waitcnt lgkmcnt(0)
	s_barrier
	buffer_gl0_inv
	ds_read2_b64 v[166:169], v1 offset1:1
	s_mov_b32 s1, exec_lo
	s_waitcnt lgkmcnt(0)
	buffer_store_dword v166, off, s[16:19], 0 offset:320 ; 4-byte Folded Spill
	buffer_store_dword v167, off, s[16:19], 0 offset:324 ; 4-byte Folded Spill
	buffer_store_dword v168, off, s[16:19], 0 offset:328 ; 4-byte Folded Spill
	buffer_store_dword v169, off, s[16:19], 0 offset:332 ; 4-byte Folded Spill
	v_cmpx_lt_u32_e32 2, v0
	s_cbranch_execz .LBB81_28
; %bb.27:
	s_clause 0x3
	buffer_load_dword v168, off, s[16:19], 0 offset:320
	buffer_load_dword v169, off, s[16:19], 0 offset:324
	;; [unrolled: 1-line block ×4, first 2 shown]
	s_waitcnt vmcnt(0)
	v_mul_f64 v[166:167], v[170:171], v[156:157]
	v_mul_f64 v[156:157], v[168:169], v[156:157]
	v_fma_f64 v[166:167], v[168:169], v[154:155], -v[166:167]
	v_fma_f64 v[156:157], v[170:171], v[154:155], v[156:157]
	ds_read2_b64 v[168:171], v254 offset0:6 offset1:7
	s_waitcnt lgkmcnt(0)
	v_mul_f64 v[154:155], v[170:171], v[156:157]
	v_fma_f64 v[154:155], v[168:169], v[166:167], -v[154:155]
	v_mul_f64 v[168:169], v[168:169], v[156:157]
	v_add_f64 v[150:151], v[150:151], -v[154:155]
	v_fma_f64 v[168:169], v[170:171], v[166:167], v[168:169]
	v_add_f64 v[152:153], v[152:153], -v[168:169]
	ds_read2_b64 v[168:171], v254 offset0:8 offset1:9
	s_waitcnt lgkmcnt(0)
	v_mul_f64 v[154:155], v[170:171], v[156:157]
	v_fma_f64 v[154:155], v[168:169], v[166:167], -v[154:155]
	v_mul_f64 v[168:169], v[168:169], v[156:157]
	v_add_f64 v[146:147], v[146:147], -v[154:155]
	v_fma_f64 v[168:169], v[170:171], v[166:167], v[168:169]
	v_add_f64 v[148:149], v[148:149], -v[168:169]
	ds_read2_b64 v[168:171], v254 offset0:10 offset1:11
	s_waitcnt lgkmcnt(0)
	v_mul_f64 v[154:155], v[170:171], v[156:157]
	v_fma_f64 v[154:155], v[168:169], v[166:167], -v[154:155]
	v_mul_f64 v[168:169], v[168:169], v[156:157]
	v_add_f64 v[142:143], v[142:143], -v[154:155]
	v_fma_f64 v[168:169], v[170:171], v[166:167], v[168:169]
	v_add_f64 v[144:145], v[144:145], -v[168:169]
	ds_read2_b64 v[168:171], v254 offset0:12 offset1:13
	s_waitcnt lgkmcnt(0)
	v_mul_f64 v[154:155], v[170:171], v[156:157]
	v_fma_f64 v[154:155], v[168:169], v[166:167], -v[154:155]
	v_mul_f64 v[168:169], v[168:169], v[156:157]
	v_add_f64 v[138:139], v[138:139], -v[154:155]
	v_fma_f64 v[168:169], v[170:171], v[166:167], v[168:169]
	v_add_f64 v[140:141], v[140:141], -v[168:169]
	ds_read2_b64 v[168:171], v254 offset0:14 offset1:15
	s_waitcnt lgkmcnt(0)
	v_mul_f64 v[154:155], v[170:171], v[156:157]
	v_fma_f64 v[154:155], v[168:169], v[166:167], -v[154:155]
	v_mul_f64 v[168:169], v[168:169], v[156:157]
	v_add_f64 v[134:135], v[134:135], -v[154:155]
	v_fma_f64 v[168:169], v[170:171], v[166:167], v[168:169]
	v_add_f64 v[136:137], v[136:137], -v[168:169]
	ds_read2_b64 v[168:171], v254 offset0:16 offset1:17
	s_waitcnt lgkmcnt(0)
	v_mul_f64 v[154:155], v[170:171], v[156:157]
	v_fma_f64 v[154:155], v[168:169], v[166:167], -v[154:155]
	v_mul_f64 v[168:169], v[168:169], v[156:157]
	v_add_f64 v[130:131], v[130:131], -v[154:155]
	v_fma_f64 v[168:169], v[170:171], v[166:167], v[168:169]
	v_add_f64 v[132:133], v[132:133], -v[168:169]
	ds_read2_b64 v[168:171], v254 offset0:18 offset1:19
	s_waitcnt lgkmcnt(0)
	v_mul_f64 v[154:155], v[170:171], v[156:157]
	v_fma_f64 v[154:155], v[168:169], v[166:167], -v[154:155]
	v_mul_f64 v[168:169], v[168:169], v[156:157]
	v_add_f64 v[126:127], v[126:127], -v[154:155]
	v_fma_f64 v[168:169], v[170:171], v[166:167], v[168:169]
	v_add_f64 v[128:129], v[128:129], -v[168:169]
	ds_read2_b64 v[168:171], v254 offset0:20 offset1:21
	s_waitcnt lgkmcnt(0)
	v_mul_f64 v[154:155], v[170:171], v[156:157]
	v_fma_f64 v[154:155], v[168:169], v[166:167], -v[154:155]
	v_mul_f64 v[168:169], v[168:169], v[156:157]
	v_add_f64 v[122:123], v[122:123], -v[154:155]
	v_fma_f64 v[168:169], v[170:171], v[166:167], v[168:169]
	v_add_f64 v[124:125], v[124:125], -v[168:169]
	ds_read2_b64 v[168:171], v254 offset0:22 offset1:23
	s_waitcnt lgkmcnt(0)
	v_mul_f64 v[154:155], v[170:171], v[156:157]
	v_fma_f64 v[154:155], v[168:169], v[166:167], -v[154:155]
	v_mul_f64 v[168:169], v[168:169], v[156:157]
	v_add_f64 v[118:119], v[118:119], -v[154:155]
	v_fma_f64 v[168:169], v[170:171], v[166:167], v[168:169]
	v_add_f64 v[120:121], v[120:121], -v[168:169]
	ds_read2_b64 v[168:171], v254 offset0:24 offset1:25
	s_waitcnt lgkmcnt(0)
	v_mul_f64 v[154:155], v[170:171], v[156:157]
	v_fma_f64 v[154:155], v[168:169], v[166:167], -v[154:155]
	v_mul_f64 v[168:169], v[168:169], v[156:157]
	v_add_f64 v[114:115], v[114:115], -v[154:155]
	v_fma_f64 v[168:169], v[170:171], v[166:167], v[168:169]
	v_add_f64 v[116:117], v[116:117], -v[168:169]
	ds_read2_b64 v[168:171], v254 offset0:26 offset1:27
	s_waitcnt lgkmcnt(0)
	v_mul_f64 v[154:155], v[170:171], v[156:157]
	v_fma_f64 v[154:155], v[168:169], v[166:167], -v[154:155]
	v_mul_f64 v[168:169], v[168:169], v[156:157]
	v_add_f64 v[110:111], v[110:111], -v[154:155]
	v_fma_f64 v[168:169], v[170:171], v[166:167], v[168:169]
	v_add_f64 v[112:113], v[112:113], -v[168:169]
	ds_read2_b64 v[168:171], v254 offset0:28 offset1:29
	s_waitcnt lgkmcnt(0)
	v_mul_f64 v[154:155], v[170:171], v[156:157]
	v_fma_f64 v[154:155], v[168:169], v[166:167], -v[154:155]
	v_mul_f64 v[168:169], v[168:169], v[156:157]
	v_add_f64 v[106:107], v[106:107], -v[154:155]
	v_fma_f64 v[168:169], v[170:171], v[166:167], v[168:169]
	v_add_f64 v[108:109], v[108:109], -v[168:169]
	ds_read2_b64 v[168:171], v254 offset0:30 offset1:31
	s_waitcnt lgkmcnt(0)
	v_mul_f64 v[154:155], v[170:171], v[156:157]
	v_fma_f64 v[154:155], v[168:169], v[166:167], -v[154:155]
	v_mul_f64 v[168:169], v[168:169], v[156:157]
	v_add_f64 v[102:103], v[102:103], -v[154:155]
	v_fma_f64 v[168:169], v[170:171], v[166:167], v[168:169]
	v_add_f64 v[104:105], v[104:105], -v[168:169]
	ds_read2_b64 v[168:171], v254 offset0:32 offset1:33
	s_waitcnt lgkmcnt(0)
	v_mul_f64 v[154:155], v[170:171], v[156:157]
	v_fma_f64 v[154:155], v[168:169], v[166:167], -v[154:155]
	v_mul_f64 v[168:169], v[168:169], v[156:157]
	v_add_f64 v[98:99], v[98:99], -v[154:155]
	v_fma_f64 v[168:169], v[170:171], v[166:167], v[168:169]
	v_add_f64 v[100:101], v[100:101], -v[168:169]
	ds_read2_b64 v[168:171], v254 offset0:34 offset1:35
	s_waitcnt lgkmcnt(0)
	v_mul_f64 v[154:155], v[170:171], v[156:157]
	v_fma_f64 v[154:155], v[168:169], v[166:167], -v[154:155]
	v_mul_f64 v[168:169], v[168:169], v[156:157]
	v_add_f64 v[94:95], v[94:95], -v[154:155]
	v_fma_f64 v[168:169], v[170:171], v[166:167], v[168:169]
	v_add_f64 v[96:97], v[96:97], -v[168:169]
	ds_read2_b64 v[168:171], v254 offset0:36 offset1:37
	s_waitcnt lgkmcnt(0)
	v_mul_f64 v[154:155], v[170:171], v[156:157]
	v_fma_f64 v[154:155], v[168:169], v[166:167], -v[154:155]
	v_mul_f64 v[168:169], v[168:169], v[156:157]
	v_add_f64 v[90:91], v[90:91], -v[154:155]
	v_fma_f64 v[168:169], v[170:171], v[166:167], v[168:169]
	v_add_f64 v[92:93], v[92:93], -v[168:169]
	ds_read2_b64 v[168:171], v254 offset0:38 offset1:39
	s_waitcnt lgkmcnt(0)
	v_mul_f64 v[154:155], v[170:171], v[156:157]
	v_fma_f64 v[154:155], v[168:169], v[166:167], -v[154:155]
	v_mul_f64 v[168:169], v[168:169], v[156:157]
	v_add_f64 v[86:87], v[86:87], -v[154:155]
	v_fma_f64 v[168:169], v[170:171], v[166:167], v[168:169]
	v_add_f64 v[88:89], v[88:89], -v[168:169]
	ds_read2_b64 v[168:171], v254 offset0:40 offset1:41
	s_waitcnt lgkmcnt(0)
	v_mul_f64 v[154:155], v[170:171], v[156:157]
	v_fma_f64 v[154:155], v[168:169], v[166:167], -v[154:155]
	v_mul_f64 v[168:169], v[168:169], v[156:157]
	v_add_f64 v[82:83], v[82:83], -v[154:155]
	v_fma_f64 v[168:169], v[170:171], v[166:167], v[168:169]
	v_add_f64 v[84:85], v[84:85], -v[168:169]
	ds_read2_b64 v[168:171], v254 offset0:42 offset1:43
	s_waitcnt lgkmcnt(0)
	v_mul_f64 v[154:155], v[170:171], v[156:157]
	v_fma_f64 v[154:155], v[168:169], v[166:167], -v[154:155]
	v_mul_f64 v[168:169], v[168:169], v[156:157]
	v_add_f64 v[78:79], v[78:79], -v[154:155]
	v_fma_f64 v[168:169], v[170:171], v[166:167], v[168:169]
	v_add_f64 v[80:81], v[80:81], -v[168:169]
	ds_read2_b64 v[168:171], v254 offset0:44 offset1:45
	s_waitcnt lgkmcnt(0)
	v_mul_f64 v[154:155], v[170:171], v[156:157]
	v_fma_f64 v[154:155], v[168:169], v[166:167], -v[154:155]
	v_mul_f64 v[168:169], v[168:169], v[156:157]
	v_add_f64 v[74:75], v[74:75], -v[154:155]
	v_fma_f64 v[168:169], v[170:171], v[166:167], v[168:169]
	v_add_f64 v[76:77], v[76:77], -v[168:169]
	ds_read2_b64 v[168:171], v254 offset0:46 offset1:47
	s_waitcnt lgkmcnt(0)
	v_mul_f64 v[154:155], v[170:171], v[156:157]
	v_fma_f64 v[154:155], v[168:169], v[166:167], -v[154:155]
	v_mul_f64 v[168:169], v[168:169], v[156:157]
	v_add_f64 v[70:71], v[70:71], -v[154:155]
	v_fma_f64 v[168:169], v[170:171], v[166:167], v[168:169]
	v_add_f64 v[72:73], v[72:73], -v[168:169]
	ds_read2_b64 v[168:171], v254 offset0:48 offset1:49
	s_waitcnt lgkmcnt(0)
	v_mul_f64 v[154:155], v[170:171], v[156:157]
	v_fma_f64 v[154:155], v[168:169], v[166:167], -v[154:155]
	v_mul_f64 v[168:169], v[168:169], v[156:157]
	v_add_f64 v[66:67], v[66:67], -v[154:155]
	v_fma_f64 v[168:169], v[170:171], v[166:167], v[168:169]
	v_add_f64 v[68:69], v[68:69], -v[168:169]
	ds_read2_b64 v[168:171], v254 offset0:50 offset1:51
	s_waitcnt lgkmcnt(0)
	v_mul_f64 v[154:155], v[170:171], v[156:157]
	v_fma_f64 v[154:155], v[168:169], v[166:167], -v[154:155]
	v_mul_f64 v[168:169], v[168:169], v[156:157]
	v_add_f64 v[62:63], v[62:63], -v[154:155]
	v_fma_f64 v[168:169], v[170:171], v[166:167], v[168:169]
	v_add_f64 v[64:65], v[64:65], -v[168:169]
	ds_read2_b64 v[168:171], v254 offset0:52 offset1:53
	s_waitcnt lgkmcnt(0)
	v_mul_f64 v[154:155], v[170:171], v[156:157]
	v_fma_f64 v[154:155], v[168:169], v[166:167], -v[154:155]
	v_mul_f64 v[168:169], v[168:169], v[156:157]
	v_add_f64 v[58:59], v[58:59], -v[154:155]
	v_fma_f64 v[168:169], v[170:171], v[166:167], v[168:169]
	v_add_f64 v[60:61], v[60:61], -v[168:169]
	ds_read2_b64 v[168:171], v254 offset0:54 offset1:55
	s_waitcnt lgkmcnt(0)
	v_mul_f64 v[154:155], v[170:171], v[156:157]
	v_fma_f64 v[154:155], v[168:169], v[166:167], -v[154:155]
	v_mul_f64 v[168:169], v[168:169], v[156:157]
	v_add_f64 v[54:55], v[54:55], -v[154:155]
	v_fma_f64 v[168:169], v[170:171], v[166:167], v[168:169]
	v_add_f64 v[56:57], v[56:57], -v[168:169]
	ds_read2_b64 v[168:171], v254 offset0:56 offset1:57
	s_waitcnt lgkmcnt(0)
	v_mul_f64 v[154:155], v[170:171], v[156:157]
	v_fma_f64 v[154:155], v[168:169], v[166:167], -v[154:155]
	v_mul_f64 v[168:169], v[168:169], v[156:157]
	v_add_f64 v[50:51], v[50:51], -v[154:155]
	v_fma_f64 v[168:169], v[170:171], v[166:167], v[168:169]
	v_add_f64 v[52:53], v[52:53], -v[168:169]
	ds_read2_b64 v[168:171], v254 offset0:58 offset1:59
	s_waitcnt lgkmcnt(0)
	v_mul_f64 v[154:155], v[170:171], v[156:157]
	v_fma_f64 v[154:155], v[168:169], v[166:167], -v[154:155]
	v_mul_f64 v[168:169], v[168:169], v[156:157]
	v_add_f64 v[46:47], v[46:47], -v[154:155]
	v_fma_f64 v[168:169], v[170:171], v[166:167], v[168:169]
	v_add_f64 v[48:49], v[48:49], -v[168:169]
	ds_read2_b64 v[168:171], v254 offset0:60 offset1:61
	s_waitcnt lgkmcnt(0)
	v_mul_f64 v[154:155], v[170:171], v[156:157]
	v_fma_f64 v[154:155], v[168:169], v[166:167], -v[154:155]
	v_mul_f64 v[168:169], v[168:169], v[156:157]
	v_add_f64 v[42:43], v[42:43], -v[154:155]
	v_fma_f64 v[168:169], v[170:171], v[166:167], v[168:169]
	v_add_f64 v[44:45], v[44:45], -v[168:169]
	ds_read2_b64 v[168:171], v254 offset0:62 offset1:63
	s_waitcnt lgkmcnt(0)
	v_mul_f64 v[154:155], v[170:171], v[156:157]
	v_fma_f64 v[154:155], v[168:169], v[166:167], -v[154:155]
	v_mul_f64 v[168:169], v[168:169], v[156:157]
	v_add_f64 v[38:39], v[38:39], -v[154:155]
	v_fma_f64 v[168:169], v[170:171], v[166:167], v[168:169]
	v_add_f64 v[40:41], v[40:41], -v[168:169]
	ds_read2_b64 v[168:171], v254 offset0:64 offset1:65
	s_waitcnt lgkmcnt(0)
	v_mul_f64 v[154:155], v[170:171], v[156:157]
	v_fma_f64 v[154:155], v[168:169], v[166:167], -v[154:155]
	v_mul_f64 v[168:169], v[168:169], v[156:157]
	v_add_f64 v[34:35], v[34:35], -v[154:155]
	v_fma_f64 v[168:169], v[170:171], v[166:167], v[168:169]
	v_add_f64 v[36:37], v[36:37], -v[168:169]
	ds_read2_b64 v[168:171], v254 offset0:66 offset1:67
	s_waitcnt lgkmcnt(0)
	v_mul_f64 v[154:155], v[170:171], v[156:157]
	v_fma_f64 v[154:155], v[168:169], v[166:167], -v[154:155]
	v_mul_f64 v[168:169], v[168:169], v[156:157]
	v_add_f64 v[30:31], v[30:31], -v[154:155]
	v_fma_f64 v[168:169], v[170:171], v[166:167], v[168:169]
	v_add_f64 v[32:33], v[32:33], -v[168:169]
	ds_read2_b64 v[168:171], v254 offset0:68 offset1:69
	s_waitcnt lgkmcnt(0)
	v_mul_f64 v[154:155], v[170:171], v[156:157]
	v_fma_f64 v[154:155], v[168:169], v[166:167], -v[154:155]
	v_mul_f64 v[168:169], v[168:169], v[156:157]
	v_add_f64 v[26:27], v[26:27], -v[154:155]
	v_fma_f64 v[168:169], v[170:171], v[166:167], v[168:169]
	v_add_f64 v[28:29], v[28:29], -v[168:169]
	ds_read2_b64 v[168:171], v254 offset0:70 offset1:71
	s_waitcnt lgkmcnt(0)
	v_mul_f64 v[154:155], v[170:171], v[156:157]
	v_fma_f64 v[154:155], v[168:169], v[166:167], -v[154:155]
	v_mul_f64 v[168:169], v[168:169], v[156:157]
	v_add_f64 v[22:23], v[22:23], -v[154:155]
	v_fma_f64 v[168:169], v[170:171], v[166:167], v[168:169]
	v_add_f64 v[24:25], v[24:25], -v[168:169]
	ds_read2_b64 v[168:171], v254 offset0:72 offset1:73
	s_waitcnt lgkmcnt(0)
	v_mul_f64 v[154:155], v[170:171], v[156:157]
	v_fma_f64 v[154:155], v[168:169], v[166:167], -v[154:155]
	v_mul_f64 v[168:169], v[168:169], v[156:157]
	v_add_f64 v[18:19], v[18:19], -v[154:155]
	v_fma_f64 v[168:169], v[170:171], v[166:167], v[168:169]
	v_add_f64 v[20:21], v[20:21], -v[168:169]
	ds_read2_b64 v[168:171], v254 offset0:74 offset1:75
	s_waitcnt lgkmcnt(0)
	v_mul_f64 v[154:155], v[170:171], v[156:157]
	v_fma_f64 v[154:155], v[168:169], v[166:167], -v[154:155]
	v_mul_f64 v[168:169], v[168:169], v[156:157]
	v_add_f64 v[14:15], v[14:15], -v[154:155]
	v_fma_f64 v[168:169], v[170:171], v[166:167], v[168:169]
	v_add_f64 v[16:17], v[16:17], -v[168:169]
	ds_read2_b64 v[168:171], v254 offset0:76 offset1:77
	s_waitcnt lgkmcnt(0)
	v_mul_f64 v[154:155], v[170:171], v[156:157]
	v_fma_f64 v[154:155], v[168:169], v[166:167], -v[154:155]
	v_mul_f64 v[168:169], v[168:169], v[156:157]
	v_add_f64 v[10:11], v[10:11], -v[154:155]
	v_fma_f64 v[168:169], v[170:171], v[166:167], v[168:169]
	v_add_f64 v[12:13], v[12:13], -v[168:169]
	ds_read2_b64 v[168:171], v254 offset0:78 offset1:79
	s_waitcnt lgkmcnt(0)
	v_mul_f64 v[154:155], v[170:171], v[156:157]
	v_fma_f64 v[154:155], v[168:169], v[166:167], -v[154:155]
	v_mul_f64 v[168:169], v[168:169], v[156:157]
	v_add_f64 v[6:7], v[6:7], -v[154:155]
	v_fma_f64 v[168:169], v[170:171], v[166:167], v[168:169]
	v_add_f64 v[8:9], v[8:9], -v[168:169]
	ds_read2_b64 v[168:171], v254 offset0:80 offset1:81
	s_waitcnt lgkmcnt(0)
	v_mul_f64 v[154:155], v[170:171], v[156:157]
	v_fma_f64 v[154:155], v[168:169], v[166:167], -v[154:155]
	v_mul_f64 v[168:169], v[168:169], v[156:157]
	v_add_f64 v[2:3], v[2:3], -v[154:155]
	v_fma_f64 v[168:169], v[170:171], v[166:167], v[168:169]
	v_mov_b32_e32 v154, v166
	v_mov_b32_e32 v155, v167
	v_add_f64 v[4:5], v[4:5], -v[168:169]
.LBB81_28:
	s_or_b32 exec_lo, exec_lo, s1
	s_mov_b32 s2, exec_lo
	s_waitcnt_vscnt null, 0x0
	s_barrier
	buffer_gl0_inv
	v_cmpx_eq_u32_e32 3, v0
	s_cbranch_execz .LBB81_35
; %bb.29:
	ds_write2_b64 v1, v[150:151], v[152:153] offset1:1
	ds_write2_b64 v254, v[146:147], v[148:149] offset0:8 offset1:9
	ds_write2_b64 v254, v[142:143], v[144:145] offset0:10 offset1:11
	ds_write2_b64 v254, v[138:139], v[140:141] offset0:12 offset1:13
	ds_write2_b64 v254, v[134:135], v[136:137] offset0:14 offset1:15
	ds_write2_b64 v254, v[130:131], v[132:133] offset0:16 offset1:17
	ds_write2_b64 v254, v[126:127], v[128:129] offset0:18 offset1:19
	ds_write2_b64 v254, v[122:123], v[124:125] offset0:20 offset1:21
	ds_write2_b64 v254, v[118:119], v[120:121] offset0:22 offset1:23
	ds_write2_b64 v254, v[114:115], v[116:117] offset0:24 offset1:25
	ds_write2_b64 v254, v[110:111], v[112:113] offset0:26 offset1:27
	ds_write2_b64 v254, v[106:107], v[108:109] offset0:28 offset1:29
	ds_write2_b64 v254, v[102:103], v[104:105] offset0:30 offset1:31
	ds_write2_b64 v254, v[98:99], v[100:101] offset0:32 offset1:33
	ds_write2_b64 v254, v[94:95], v[96:97] offset0:34 offset1:35
	ds_write2_b64 v254, v[90:91], v[92:93] offset0:36 offset1:37
	ds_write2_b64 v254, v[86:87], v[88:89] offset0:38 offset1:39
	ds_write2_b64 v254, v[82:83], v[84:85] offset0:40 offset1:41
	ds_write2_b64 v254, v[78:79], v[80:81] offset0:42 offset1:43
	ds_write2_b64 v254, v[74:75], v[76:77] offset0:44 offset1:45
	ds_write2_b64 v254, v[70:71], v[72:73] offset0:46 offset1:47
	ds_write2_b64 v254, v[66:67], v[68:69] offset0:48 offset1:49
	ds_write2_b64 v254, v[62:63], v[64:65] offset0:50 offset1:51
	ds_write2_b64 v254, v[58:59], v[60:61] offset0:52 offset1:53
	ds_write2_b64 v254, v[54:55], v[56:57] offset0:54 offset1:55
	ds_write2_b64 v254, v[50:51], v[52:53] offset0:56 offset1:57
	ds_write2_b64 v254, v[46:47], v[48:49] offset0:58 offset1:59
	ds_write2_b64 v254, v[42:43], v[44:45] offset0:60 offset1:61
	ds_write2_b64 v254, v[38:39], v[40:41] offset0:62 offset1:63
	ds_write2_b64 v254, v[34:35], v[36:37] offset0:64 offset1:65
	ds_write2_b64 v254, v[30:31], v[32:33] offset0:66 offset1:67
	ds_write2_b64 v254, v[26:27], v[28:29] offset0:68 offset1:69
	ds_write2_b64 v254, v[22:23], v[24:25] offset0:70 offset1:71
	ds_write2_b64 v254, v[18:19], v[20:21] offset0:72 offset1:73
	ds_write2_b64 v254, v[14:15], v[16:17] offset0:74 offset1:75
	ds_write2_b64 v254, v[10:11], v[12:13] offset0:76 offset1:77
	ds_write2_b64 v254, v[6:7], v[8:9] offset0:78 offset1:79
	ds_write2_b64 v254, v[2:3], v[4:5] offset0:80 offset1:81
	ds_read2_b64 v[166:169], v1 offset1:1
	s_waitcnt lgkmcnt(0)
	v_cmp_neq_f64_e32 vcc_lo, 0, v[166:167]
	v_cmp_neq_f64_e64 s1, 0, v[168:169]
	s_or_b32 s1, vcc_lo, s1
	s_and_b32 exec_lo, exec_lo, s1
	s_cbranch_execz .LBB81_35
; %bb.30:
	v_cmp_ngt_f64_e64 s1, |v[166:167]|, |v[168:169]|
                                        ; implicit-def: $vgpr170_vgpr171
	s_and_saveexec_b32 s3, s1
	s_xor_b32 s1, exec_lo, s3
                                        ; implicit-def: $vgpr172_vgpr173
	s_cbranch_execz .LBB81_32
; %bb.31:
	v_div_scale_f64 v[170:171], null, v[168:169], v[168:169], v[166:167]
	v_div_scale_f64 v[176:177], vcc_lo, v[166:167], v[168:169], v[166:167]
	v_rcp_f64_e32 v[172:173], v[170:171]
	v_fma_f64 v[174:175], -v[170:171], v[172:173], 1.0
	v_fma_f64 v[172:173], v[172:173], v[174:175], v[172:173]
	v_fma_f64 v[174:175], -v[170:171], v[172:173], 1.0
	v_fma_f64 v[172:173], v[172:173], v[174:175], v[172:173]
	v_mul_f64 v[174:175], v[176:177], v[172:173]
	v_fma_f64 v[170:171], -v[170:171], v[174:175], v[176:177]
	v_div_fmas_f64 v[170:171], v[170:171], v[172:173], v[174:175]
	v_div_fixup_f64 v[170:171], v[170:171], v[168:169], v[166:167]
	v_fma_f64 v[166:167], v[166:167], v[170:171], v[168:169]
	v_div_scale_f64 v[168:169], null, v[166:167], v[166:167], 1.0
	v_rcp_f64_e32 v[172:173], v[168:169]
	v_fma_f64 v[174:175], -v[168:169], v[172:173], 1.0
	v_fma_f64 v[172:173], v[172:173], v[174:175], v[172:173]
	v_fma_f64 v[174:175], -v[168:169], v[172:173], 1.0
	v_fma_f64 v[172:173], v[172:173], v[174:175], v[172:173]
	v_div_scale_f64 v[174:175], vcc_lo, 1.0, v[166:167], 1.0
	v_mul_f64 v[176:177], v[174:175], v[172:173]
	v_fma_f64 v[168:169], -v[168:169], v[176:177], v[174:175]
	v_div_fmas_f64 v[168:169], v[168:169], v[172:173], v[176:177]
	v_div_fixup_f64 v[172:173], v[168:169], v[166:167], 1.0
                                        ; implicit-def: $vgpr166_vgpr167
	v_mul_f64 v[170:171], v[170:171], v[172:173]
	v_xor_b32_e32 v173, 0x80000000, v173
.LBB81_32:
	s_andn2_saveexec_b32 s1, s1
	s_cbranch_execz .LBB81_34
; %bb.33:
	v_div_scale_f64 v[170:171], null, v[166:167], v[166:167], v[168:169]
	v_div_scale_f64 v[176:177], vcc_lo, v[168:169], v[166:167], v[168:169]
	v_rcp_f64_e32 v[172:173], v[170:171]
	v_fma_f64 v[174:175], -v[170:171], v[172:173], 1.0
	v_fma_f64 v[172:173], v[172:173], v[174:175], v[172:173]
	v_fma_f64 v[174:175], -v[170:171], v[172:173], 1.0
	v_fma_f64 v[172:173], v[172:173], v[174:175], v[172:173]
	v_mul_f64 v[174:175], v[176:177], v[172:173]
	v_fma_f64 v[170:171], -v[170:171], v[174:175], v[176:177]
	v_div_fmas_f64 v[170:171], v[170:171], v[172:173], v[174:175]
	v_div_fixup_f64 v[172:173], v[170:171], v[166:167], v[168:169]
	v_fma_f64 v[166:167], v[168:169], v[172:173], v[166:167]
	v_div_scale_f64 v[168:169], null, v[166:167], v[166:167], 1.0
	v_rcp_f64_e32 v[170:171], v[168:169]
	v_fma_f64 v[174:175], -v[168:169], v[170:171], 1.0
	v_fma_f64 v[170:171], v[170:171], v[174:175], v[170:171]
	v_fma_f64 v[174:175], -v[168:169], v[170:171], 1.0
	v_fma_f64 v[170:171], v[170:171], v[174:175], v[170:171]
	v_div_scale_f64 v[174:175], vcc_lo, 1.0, v[166:167], 1.0
	v_mul_f64 v[176:177], v[174:175], v[170:171]
	v_fma_f64 v[168:169], -v[168:169], v[176:177], v[174:175]
	v_div_fmas_f64 v[168:169], v[168:169], v[170:171], v[176:177]
	v_div_fixup_f64 v[170:171], v[168:169], v[166:167], 1.0
	v_mul_f64 v[172:173], v[172:173], -v[170:171]
.LBB81_34:
	s_or_b32 exec_lo, exec_lo, s1
	ds_write2_b64 v1, v[170:171], v[172:173] offset1:1
.LBB81_35:
	s_or_b32 exec_lo, exec_lo, s2
	s_waitcnt lgkmcnt(0)
	s_barrier
	buffer_gl0_inv
	ds_read2_b64 v[166:169], v1 offset1:1
	s_mov_b32 s1, exec_lo
	s_waitcnt lgkmcnt(0)
	buffer_store_dword v166, off, s[16:19], 0 offset:336 ; 4-byte Folded Spill
	buffer_store_dword v167, off, s[16:19], 0 offset:340 ; 4-byte Folded Spill
	;; [unrolled: 1-line block ×4, first 2 shown]
	v_cmpx_lt_u32_e32 3, v0
	s_cbranch_execz .LBB81_37
; %bb.36:
	s_clause 0x3
	buffer_load_dword v168, off, s[16:19], 0 offset:336
	buffer_load_dword v169, off, s[16:19], 0 offset:340
	;; [unrolled: 1-line block ×4, first 2 shown]
	s_waitcnt vmcnt(0)
	v_mul_f64 v[166:167], v[170:171], v[152:153]
	v_mul_f64 v[152:153], v[168:169], v[152:153]
	v_fma_f64 v[166:167], v[168:169], v[150:151], -v[166:167]
	v_fma_f64 v[152:153], v[170:171], v[150:151], v[152:153]
	ds_read2_b64 v[168:171], v254 offset0:8 offset1:9
	s_waitcnt lgkmcnt(0)
	v_mul_f64 v[150:151], v[170:171], v[152:153]
	v_fma_f64 v[150:151], v[168:169], v[166:167], -v[150:151]
	v_mul_f64 v[168:169], v[168:169], v[152:153]
	v_add_f64 v[146:147], v[146:147], -v[150:151]
	v_fma_f64 v[168:169], v[170:171], v[166:167], v[168:169]
	v_add_f64 v[148:149], v[148:149], -v[168:169]
	ds_read2_b64 v[168:171], v254 offset0:10 offset1:11
	s_waitcnt lgkmcnt(0)
	v_mul_f64 v[150:151], v[170:171], v[152:153]
	v_fma_f64 v[150:151], v[168:169], v[166:167], -v[150:151]
	v_mul_f64 v[168:169], v[168:169], v[152:153]
	v_add_f64 v[142:143], v[142:143], -v[150:151]
	v_fma_f64 v[168:169], v[170:171], v[166:167], v[168:169]
	v_add_f64 v[144:145], v[144:145], -v[168:169]
	;; [unrolled: 8-line block ×36, first 2 shown]
	ds_read2_b64 v[168:171], v254 offset0:80 offset1:81
	s_waitcnt lgkmcnt(0)
	v_mul_f64 v[150:151], v[170:171], v[152:153]
	v_fma_f64 v[150:151], v[168:169], v[166:167], -v[150:151]
	v_mul_f64 v[168:169], v[168:169], v[152:153]
	v_add_f64 v[2:3], v[2:3], -v[150:151]
	v_fma_f64 v[168:169], v[170:171], v[166:167], v[168:169]
	v_mov_b32_e32 v150, v166
	v_mov_b32_e32 v151, v167
	v_add_f64 v[4:5], v[4:5], -v[168:169]
.LBB81_37:
	s_or_b32 exec_lo, exec_lo, s1
	s_mov_b32 s2, exec_lo
	s_waitcnt_vscnt null, 0x0
	s_barrier
	buffer_gl0_inv
	v_cmpx_eq_u32_e32 4, v0
	s_cbranch_execz .LBB81_44
; %bb.38:
	ds_write2_b64 v1, v[146:147], v[148:149] offset1:1
	ds_write2_b64 v254, v[142:143], v[144:145] offset0:10 offset1:11
	ds_write2_b64 v254, v[138:139], v[140:141] offset0:12 offset1:13
	;; [unrolled: 1-line block ×36, first 2 shown]
	ds_read2_b64 v[166:169], v1 offset1:1
	s_waitcnt lgkmcnt(0)
	v_cmp_neq_f64_e32 vcc_lo, 0, v[166:167]
	v_cmp_neq_f64_e64 s1, 0, v[168:169]
	s_or_b32 s1, vcc_lo, s1
	s_and_b32 exec_lo, exec_lo, s1
	s_cbranch_execz .LBB81_44
; %bb.39:
	v_cmp_ngt_f64_e64 s1, |v[166:167]|, |v[168:169]|
                                        ; implicit-def: $vgpr170_vgpr171
	s_and_saveexec_b32 s3, s1
	s_xor_b32 s1, exec_lo, s3
                                        ; implicit-def: $vgpr172_vgpr173
	s_cbranch_execz .LBB81_41
; %bb.40:
	v_div_scale_f64 v[170:171], null, v[168:169], v[168:169], v[166:167]
	v_div_scale_f64 v[176:177], vcc_lo, v[166:167], v[168:169], v[166:167]
	v_rcp_f64_e32 v[172:173], v[170:171]
	v_fma_f64 v[174:175], -v[170:171], v[172:173], 1.0
	v_fma_f64 v[172:173], v[172:173], v[174:175], v[172:173]
	v_fma_f64 v[174:175], -v[170:171], v[172:173], 1.0
	v_fma_f64 v[172:173], v[172:173], v[174:175], v[172:173]
	v_mul_f64 v[174:175], v[176:177], v[172:173]
	v_fma_f64 v[170:171], -v[170:171], v[174:175], v[176:177]
	v_div_fmas_f64 v[170:171], v[170:171], v[172:173], v[174:175]
	v_div_fixup_f64 v[170:171], v[170:171], v[168:169], v[166:167]
	v_fma_f64 v[166:167], v[166:167], v[170:171], v[168:169]
	v_div_scale_f64 v[168:169], null, v[166:167], v[166:167], 1.0
	v_rcp_f64_e32 v[172:173], v[168:169]
	v_fma_f64 v[174:175], -v[168:169], v[172:173], 1.0
	v_fma_f64 v[172:173], v[172:173], v[174:175], v[172:173]
	v_fma_f64 v[174:175], -v[168:169], v[172:173], 1.0
	v_fma_f64 v[172:173], v[172:173], v[174:175], v[172:173]
	v_div_scale_f64 v[174:175], vcc_lo, 1.0, v[166:167], 1.0
	v_mul_f64 v[176:177], v[174:175], v[172:173]
	v_fma_f64 v[168:169], -v[168:169], v[176:177], v[174:175]
	v_div_fmas_f64 v[168:169], v[168:169], v[172:173], v[176:177]
	v_div_fixup_f64 v[172:173], v[168:169], v[166:167], 1.0
                                        ; implicit-def: $vgpr166_vgpr167
	v_mul_f64 v[170:171], v[170:171], v[172:173]
	v_xor_b32_e32 v173, 0x80000000, v173
.LBB81_41:
	s_andn2_saveexec_b32 s1, s1
	s_cbranch_execz .LBB81_43
; %bb.42:
	v_div_scale_f64 v[170:171], null, v[166:167], v[166:167], v[168:169]
	v_div_scale_f64 v[176:177], vcc_lo, v[168:169], v[166:167], v[168:169]
	v_rcp_f64_e32 v[172:173], v[170:171]
	v_fma_f64 v[174:175], -v[170:171], v[172:173], 1.0
	v_fma_f64 v[172:173], v[172:173], v[174:175], v[172:173]
	v_fma_f64 v[174:175], -v[170:171], v[172:173], 1.0
	v_fma_f64 v[172:173], v[172:173], v[174:175], v[172:173]
	v_mul_f64 v[174:175], v[176:177], v[172:173]
	v_fma_f64 v[170:171], -v[170:171], v[174:175], v[176:177]
	v_div_fmas_f64 v[170:171], v[170:171], v[172:173], v[174:175]
	v_div_fixup_f64 v[172:173], v[170:171], v[166:167], v[168:169]
	v_fma_f64 v[166:167], v[168:169], v[172:173], v[166:167]
	v_div_scale_f64 v[168:169], null, v[166:167], v[166:167], 1.0
	v_rcp_f64_e32 v[170:171], v[168:169]
	v_fma_f64 v[174:175], -v[168:169], v[170:171], 1.0
	v_fma_f64 v[170:171], v[170:171], v[174:175], v[170:171]
	v_fma_f64 v[174:175], -v[168:169], v[170:171], 1.0
	v_fma_f64 v[170:171], v[170:171], v[174:175], v[170:171]
	v_div_scale_f64 v[174:175], vcc_lo, 1.0, v[166:167], 1.0
	v_mul_f64 v[176:177], v[174:175], v[170:171]
	v_fma_f64 v[168:169], -v[168:169], v[176:177], v[174:175]
	v_div_fmas_f64 v[168:169], v[168:169], v[170:171], v[176:177]
	v_div_fixup_f64 v[170:171], v[168:169], v[166:167], 1.0
	v_mul_f64 v[172:173], v[172:173], -v[170:171]
.LBB81_43:
	s_or_b32 exec_lo, exec_lo, s1
	ds_write2_b64 v1, v[170:171], v[172:173] offset1:1
.LBB81_44:
	s_or_b32 exec_lo, exec_lo, s2
	s_waitcnt lgkmcnt(0)
	s_barrier
	buffer_gl0_inv
	ds_read2_b64 v[166:169], v1 offset1:1
	s_mov_b32 s1, exec_lo
	s_waitcnt lgkmcnt(0)
	buffer_store_dword v166, off, s[16:19], 0 offset:352 ; 4-byte Folded Spill
	buffer_store_dword v167, off, s[16:19], 0 offset:356 ; 4-byte Folded Spill
	;; [unrolled: 1-line block ×4, first 2 shown]
	v_cmpx_lt_u32_e32 4, v0
	s_cbranch_execz .LBB81_46
; %bb.45:
	s_clause 0x3
	buffer_load_dword v168, off, s[16:19], 0 offset:352
	buffer_load_dword v169, off, s[16:19], 0 offset:356
	;; [unrolled: 1-line block ×4, first 2 shown]
	s_waitcnt vmcnt(0)
	v_mul_f64 v[166:167], v[170:171], v[148:149]
	v_mul_f64 v[148:149], v[168:169], v[148:149]
	v_fma_f64 v[166:167], v[168:169], v[146:147], -v[166:167]
	v_fma_f64 v[148:149], v[170:171], v[146:147], v[148:149]
	ds_read2_b64 v[168:171], v254 offset0:10 offset1:11
	s_waitcnt lgkmcnt(0)
	v_mul_f64 v[146:147], v[170:171], v[148:149]
	v_fma_f64 v[146:147], v[168:169], v[166:167], -v[146:147]
	v_mul_f64 v[168:169], v[168:169], v[148:149]
	v_add_f64 v[142:143], v[142:143], -v[146:147]
	v_fma_f64 v[168:169], v[170:171], v[166:167], v[168:169]
	v_add_f64 v[144:145], v[144:145], -v[168:169]
	ds_read2_b64 v[168:171], v254 offset0:12 offset1:13
	s_waitcnt lgkmcnt(0)
	v_mul_f64 v[146:147], v[170:171], v[148:149]
	v_fma_f64 v[146:147], v[168:169], v[166:167], -v[146:147]
	v_mul_f64 v[168:169], v[168:169], v[148:149]
	v_add_f64 v[138:139], v[138:139], -v[146:147]
	v_fma_f64 v[168:169], v[170:171], v[166:167], v[168:169]
	v_add_f64 v[140:141], v[140:141], -v[168:169]
	ds_read2_b64 v[168:171], v254 offset0:14 offset1:15
	s_waitcnt lgkmcnt(0)
	v_mul_f64 v[146:147], v[170:171], v[148:149]
	v_fma_f64 v[146:147], v[168:169], v[166:167], -v[146:147]
	v_mul_f64 v[168:169], v[168:169], v[148:149]
	v_add_f64 v[134:135], v[134:135], -v[146:147]
	v_fma_f64 v[168:169], v[170:171], v[166:167], v[168:169]
	v_add_f64 v[136:137], v[136:137], -v[168:169]
	ds_read2_b64 v[168:171], v254 offset0:16 offset1:17
	s_waitcnt lgkmcnt(0)
	v_mul_f64 v[146:147], v[170:171], v[148:149]
	v_fma_f64 v[146:147], v[168:169], v[166:167], -v[146:147]
	v_mul_f64 v[168:169], v[168:169], v[148:149]
	v_add_f64 v[130:131], v[130:131], -v[146:147]
	v_fma_f64 v[168:169], v[170:171], v[166:167], v[168:169]
	v_add_f64 v[132:133], v[132:133], -v[168:169]
	ds_read2_b64 v[168:171], v254 offset0:18 offset1:19
	s_waitcnt lgkmcnt(0)
	v_mul_f64 v[146:147], v[170:171], v[148:149]
	v_fma_f64 v[146:147], v[168:169], v[166:167], -v[146:147]
	v_mul_f64 v[168:169], v[168:169], v[148:149]
	v_add_f64 v[126:127], v[126:127], -v[146:147]
	v_fma_f64 v[168:169], v[170:171], v[166:167], v[168:169]
	v_add_f64 v[128:129], v[128:129], -v[168:169]
	ds_read2_b64 v[168:171], v254 offset0:20 offset1:21
	s_waitcnt lgkmcnt(0)
	v_mul_f64 v[146:147], v[170:171], v[148:149]
	v_fma_f64 v[146:147], v[168:169], v[166:167], -v[146:147]
	v_mul_f64 v[168:169], v[168:169], v[148:149]
	v_add_f64 v[122:123], v[122:123], -v[146:147]
	v_fma_f64 v[168:169], v[170:171], v[166:167], v[168:169]
	v_add_f64 v[124:125], v[124:125], -v[168:169]
	ds_read2_b64 v[168:171], v254 offset0:22 offset1:23
	s_waitcnt lgkmcnt(0)
	v_mul_f64 v[146:147], v[170:171], v[148:149]
	v_fma_f64 v[146:147], v[168:169], v[166:167], -v[146:147]
	v_mul_f64 v[168:169], v[168:169], v[148:149]
	v_add_f64 v[118:119], v[118:119], -v[146:147]
	v_fma_f64 v[168:169], v[170:171], v[166:167], v[168:169]
	v_add_f64 v[120:121], v[120:121], -v[168:169]
	ds_read2_b64 v[168:171], v254 offset0:24 offset1:25
	s_waitcnt lgkmcnt(0)
	v_mul_f64 v[146:147], v[170:171], v[148:149]
	v_fma_f64 v[146:147], v[168:169], v[166:167], -v[146:147]
	v_mul_f64 v[168:169], v[168:169], v[148:149]
	v_add_f64 v[114:115], v[114:115], -v[146:147]
	v_fma_f64 v[168:169], v[170:171], v[166:167], v[168:169]
	v_add_f64 v[116:117], v[116:117], -v[168:169]
	ds_read2_b64 v[168:171], v254 offset0:26 offset1:27
	s_waitcnt lgkmcnt(0)
	v_mul_f64 v[146:147], v[170:171], v[148:149]
	v_fma_f64 v[146:147], v[168:169], v[166:167], -v[146:147]
	v_mul_f64 v[168:169], v[168:169], v[148:149]
	v_add_f64 v[110:111], v[110:111], -v[146:147]
	v_fma_f64 v[168:169], v[170:171], v[166:167], v[168:169]
	v_add_f64 v[112:113], v[112:113], -v[168:169]
	ds_read2_b64 v[168:171], v254 offset0:28 offset1:29
	s_waitcnt lgkmcnt(0)
	v_mul_f64 v[146:147], v[170:171], v[148:149]
	v_fma_f64 v[146:147], v[168:169], v[166:167], -v[146:147]
	v_mul_f64 v[168:169], v[168:169], v[148:149]
	v_add_f64 v[106:107], v[106:107], -v[146:147]
	v_fma_f64 v[168:169], v[170:171], v[166:167], v[168:169]
	v_add_f64 v[108:109], v[108:109], -v[168:169]
	ds_read2_b64 v[168:171], v254 offset0:30 offset1:31
	s_waitcnt lgkmcnt(0)
	v_mul_f64 v[146:147], v[170:171], v[148:149]
	v_fma_f64 v[146:147], v[168:169], v[166:167], -v[146:147]
	v_mul_f64 v[168:169], v[168:169], v[148:149]
	v_add_f64 v[102:103], v[102:103], -v[146:147]
	v_fma_f64 v[168:169], v[170:171], v[166:167], v[168:169]
	v_add_f64 v[104:105], v[104:105], -v[168:169]
	ds_read2_b64 v[168:171], v254 offset0:32 offset1:33
	s_waitcnt lgkmcnt(0)
	v_mul_f64 v[146:147], v[170:171], v[148:149]
	v_fma_f64 v[146:147], v[168:169], v[166:167], -v[146:147]
	v_mul_f64 v[168:169], v[168:169], v[148:149]
	v_add_f64 v[98:99], v[98:99], -v[146:147]
	v_fma_f64 v[168:169], v[170:171], v[166:167], v[168:169]
	v_add_f64 v[100:101], v[100:101], -v[168:169]
	ds_read2_b64 v[168:171], v254 offset0:34 offset1:35
	s_waitcnt lgkmcnt(0)
	v_mul_f64 v[146:147], v[170:171], v[148:149]
	v_fma_f64 v[146:147], v[168:169], v[166:167], -v[146:147]
	v_mul_f64 v[168:169], v[168:169], v[148:149]
	v_add_f64 v[94:95], v[94:95], -v[146:147]
	v_fma_f64 v[168:169], v[170:171], v[166:167], v[168:169]
	v_add_f64 v[96:97], v[96:97], -v[168:169]
	ds_read2_b64 v[168:171], v254 offset0:36 offset1:37
	s_waitcnt lgkmcnt(0)
	v_mul_f64 v[146:147], v[170:171], v[148:149]
	v_fma_f64 v[146:147], v[168:169], v[166:167], -v[146:147]
	v_mul_f64 v[168:169], v[168:169], v[148:149]
	v_add_f64 v[90:91], v[90:91], -v[146:147]
	v_fma_f64 v[168:169], v[170:171], v[166:167], v[168:169]
	v_add_f64 v[92:93], v[92:93], -v[168:169]
	ds_read2_b64 v[168:171], v254 offset0:38 offset1:39
	s_waitcnt lgkmcnt(0)
	v_mul_f64 v[146:147], v[170:171], v[148:149]
	v_fma_f64 v[146:147], v[168:169], v[166:167], -v[146:147]
	v_mul_f64 v[168:169], v[168:169], v[148:149]
	v_add_f64 v[86:87], v[86:87], -v[146:147]
	v_fma_f64 v[168:169], v[170:171], v[166:167], v[168:169]
	v_add_f64 v[88:89], v[88:89], -v[168:169]
	ds_read2_b64 v[168:171], v254 offset0:40 offset1:41
	s_waitcnt lgkmcnt(0)
	v_mul_f64 v[146:147], v[170:171], v[148:149]
	v_fma_f64 v[146:147], v[168:169], v[166:167], -v[146:147]
	v_mul_f64 v[168:169], v[168:169], v[148:149]
	v_add_f64 v[82:83], v[82:83], -v[146:147]
	v_fma_f64 v[168:169], v[170:171], v[166:167], v[168:169]
	v_add_f64 v[84:85], v[84:85], -v[168:169]
	ds_read2_b64 v[168:171], v254 offset0:42 offset1:43
	s_waitcnt lgkmcnt(0)
	v_mul_f64 v[146:147], v[170:171], v[148:149]
	v_fma_f64 v[146:147], v[168:169], v[166:167], -v[146:147]
	v_mul_f64 v[168:169], v[168:169], v[148:149]
	v_add_f64 v[78:79], v[78:79], -v[146:147]
	v_fma_f64 v[168:169], v[170:171], v[166:167], v[168:169]
	v_add_f64 v[80:81], v[80:81], -v[168:169]
	ds_read2_b64 v[168:171], v254 offset0:44 offset1:45
	s_waitcnt lgkmcnt(0)
	v_mul_f64 v[146:147], v[170:171], v[148:149]
	v_fma_f64 v[146:147], v[168:169], v[166:167], -v[146:147]
	v_mul_f64 v[168:169], v[168:169], v[148:149]
	v_add_f64 v[74:75], v[74:75], -v[146:147]
	v_fma_f64 v[168:169], v[170:171], v[166:167], v[168:169]
	v_add_f64 v[76:77], v[76:77], -v[168:169]
	ds_read2_b64 v[168:171], v254 offset0:46 offset1:47
	s_waitcnt lgkmcnt(0)
	v_mul_f64 v[146:147], v[170:171], v[148:149]
	v_fma_f64 v[146:147], v[168:169], v[166:167], -v[146:147]
	v_mul_f64 v[168:169], v[168:169], v[148:149]
	v_add_f64 v[70:71], v[70:71], -v[146:147]
	v_fma_f64 v[168:169], v[170:171], v[166:167], v[168:169]
	v_add_f64 v[72:73], v[72:73], -v[168:169]
	ds_read2_b64 v[168:171], v254 offset0:48 offset1:49
	s_waitcnt lgkmcnt(0)
	v_mul_f64 v[146:147], v[170:171], v[148:149]
	v_fma_f64 v[146:147], v[168:169], v[166:167], -v[146:147]
	v_mul_f64 v[168:169], v[168:169], v[148:149]
	v_add_f64 v[66:67], v[66:67], -v[146:147]
	v_fma_f64 v[168:169], v[170:171], v[166:167], v[168:169]
	v_add_f64 v[68:69], v[68:69], -v[168:169]
	ds_read2_b64 v[168:171], v254 offset0:50 offset1:51
	s_waitcnt lgkmcnt(0)
	v_mul_f64 v[146:147], v[170:171], v[148:149]
	v_fma_f64 v[146:147], v[168:169], v[166:167], -v[146:147]
	v_mul_f64 v[168:169], v[168:169], v[148:149]
	v_add_f64 v[62:63], v[62:63], -v[146:147]
	v_fma_f64 v[168:169], v[170:171], v[166:167], v[168:169]
	v_add_f64 v[64:65], v[64:65], -v[168:169]
	ds_read2_b64 v[168:171], v254 offset0:52 offset1:53
	s_waitcnt lgkmcnt(0)
	v_mul_f64 v[146:147], v[170:171], v[148:149]
	v_fma_f64 v[146:147], v[168:169], v[166:167], -v[146:147]
	v_mul_f64 v[168:169], v[168:169], v[148:149]
	v_add_f64 v[58:59], v[58:59], -v[146:147]
	v_fma_f64 v[168:169], v[170:171], v[166:167], v[168:169]
	v_add_f64 v[60:61], v[60:61], -v[168:169]
	ds_read2_b64 v[168:171], v254 offset0:54 offset1:55
	s_waitcnt lgkmcnt(0)
	v_mul_f64 v[146:147], v[170:171], v[148:149]
	v_fma_f64 v[146:147], v[168:169], v[166:167], -v[146:147]
	v_mul_f64 v[168:169], v[168:169], v[148:149]
	v_add_f64 v[54:55], v[54:55], -v[146:147]
	v_fma_f64 v[168:169], v[170:171], v[166:167], v[168:169]
	v_add_f64 v[56:57], v[56:57], -v[168:169]
	ds_read2_b64 v[168:171], v254 offset0:56 offset1:57
	s_waitcnt lgkmcnt(0)
	v_mul_f64 v[146:147], v[170:171], v[148:149]
	v_fma_f64 v[146:147], v[168:169], v[166:167], -v[146:147]
	v_mul_f64 v[168:169], v[168:169], v[148:149]
	v_add_f64 v[50:51], v[50:51], -v[146:147]
	v_fma_f64 v[168:169], v[170:171], v[166:167], v[168:169]
	v_add_f64 v[52:53], v[52:53], -v[168:169]
	ds_read2_b64 v[168:171], v254 offset0:58 offset1:59
	s_waitcnt lgkmcnt(0)
	v_mul_f64 v[146:147], v[170:171], v[148:149]
	v_fma_f64 v[146:147], v[168:169], v[166:167], -v[146:147]
	v_mul_f64 v[168:169], v[168:169], v[148:149]
	v_add_f64 v[46:47], v[46:47], -v[146:147]
	v_fma_f64 v[168:169], v[170:171], v[166:167], v[168:169]
	v_add_f64 v[48:49], v[48:49], -v[168:169]
	ds_read2_b64 v[168:171], v254 offset0:60 offset1:61
	s_waitcnt lgkmcnt(0)
	v_mul_f64 v[146:147], v[170:171], v[148:149]
	v_fma_f64 v[146:147], v[168:169], v[166:167], -v[146:147]
	v_mul_f64 v[168:169], v[168:169], v[148:149]
	v_add_f64 v[42:43], v[42:43], -v[146:147]
	v_fma_f64 v[168:169], v[170:171], v[166:167], v[168:169]
	v_add_f64 v[44:45], v[44:45], -v[168:169]
	ds_read2_b64 v[168:171], v254 offset0:62 offset1:63
	s_waitcnt lgkmcnt(0)
	v_mul_f64 v[146:147], v[170:171], v[148:149]
	v_fma_f64 v[146:147], v[168:169], v[166:167], -v[146:147]
	v_mul_f64 v[168:169], v[168:169], v[148:149]
	v_add_f64 v[38:39], v[38:39], -v[146:147]
	v_fma_f64 v[168:169], v[170:171], v[166:167], v[168:169]
	v_add_f64 v[40:41], v[40:41], -v[168:169]
	ds_read2_b64 v[168:171], v254 offset0:64 offset1:65
	s_waitcnt lgkmcnt(0)
	v_mul_f64 v[146:147], v[170:171], v[148:149]
	v_fma_f64 v[146:147], v[168:169], v[166:167], -v[146:147]
	v_mul_f64 v[168:169], v[168:169], v[148:149]
	v_add_f64 v[34:35], v[34:35], -v[146:147]
	v_fma_f64 v[168:169], v[170:171], v[166:167], v[168:169]
	v_add_f64 v[36:37], v[36:37], -v[168:169]
	ds_read2_b64 v[168:171], v254 offset0:66 offset1:67
	s_waitcnt lgkmcnt(0)
	v_mul_f64 v[146:147], v[170:171], v[148:149]
	v_fma_f64 v[146:147], v[168:169], v[166:167], -v[146:147]
	v_mul_f64 v[168:169], v[168:169], v[148:149]
	v_add_f64 v[30:31], v[30:31], -v[146:147]
	v_fma_f64 v[168:169], v[170:171], v[166:167], v[168:169]
	v_add_f64 v[32:33], v[32:33], -v[168:169]
	ds_read2_b64 v[168:171], v254 offset0:68 offset1:69
	s_waitcnt lgkmcnt(0)
	v_mul_f64 v[146:147], v[170:171], v[148:149]
	v_fma_f64 v[146:147], v[168:169], v[166:167], -v[146:147]
	v_mul_f64 v[168:169], v[168:169], v[148:149]
	v_add_f64 v[26:27], v[26:27], -v[146:147]
	v_fma_f64 v[168:169], v[170:171], v[166:167], v[168:169]
	v_add_f64 v[28:29], v[28:29], -v[168:169]
	ds_read2_b64 v[168:171], v254 offset0:70 offset1:71
	s_waitcnt lgkmcnt(0)
	v_mul_f64 v[146:147], v[170:171], v[148:149]
	v_fma_f64 v[146:147], v[168:169], v[166:167], -v[146:147]
	v_mul_f64 v[168:169], v[168:169], v[148:149]
	v_add_f64 v[22:23], v[22:23], -v[146:147]
	v_fma_f64 v[168:169], v[170:171], v[166:167], v[168:169]
	v_add_f64 v[24:25], v[24:25], -v[168:169]
	ds_read2_b64 v[168:171], v254 offset0:72 offset1:73
	s_waitcnt lgkmcnt(0)
	v_mul_f64 v[146:147], v[170:171], v[148:149]
	v_fma_f64 v[146:147], v[168:169], v[166:167], -v[146:147]
	v_mul_f64 v[168:169], v[168:169], v[148:149]
	v_add_f64 v[18:19], v[18:19], -v[146:147]
	v_fma_f64 v[168:169], v[170:171], v[166:167], v[168:169]
	v_add_f64 v[20:21], v[20:21], -v[168:169]
	ds_read2_b64 v[168:171], v254 offset0:74 offset1:75
	s_waitcnt lgkmcnt(0)
	v_mul_f64 v[146:147], v[170:171], v[148:149]
	v_fma_f64 v[146:147], v[168:169], v[166:167], -v[146:147]
	v_mul_f64 v[168:169], v[168:169], v[148:149]
	v_add_f64 v[14:15], v[14:15], -v[146:147]
	v_fma_f64 v[168:169], v[170:171], v[166:167], v[168:169]
	v_add_f64 v[16:17], v[16:17], -v[168:169]
	ds_read2_b64 v[168:171], v254 offset0:76 offset1:77
	s_waitcnt lgkmcnt(0)
	v_mul_f64 v[146:147], v[170:171], v[148:149]
	v_fma_f64 v[146:147], v[168:169], v[166:167], -v[146:147]
	v_mul_f64 v[168:169], v[168:169], v[148:149]
	v_add_f64 v[10:11], v[10:11], -v[146:147]
	v_fma_f64 v[168:169], v[170:171], v[166:167], v[168:169]
	v_add_f64 v[12:13], v[12:13], -v[168:169]
	ds_read2_b64 v[168:171], v254 offset0:78 offset1:79
	s_waitcnt lgkmcnt(0)
	v_mul_f64 v[146:147], v[170:171], v[148:149]
	v_fma_f64 v[146:147], v[168:169], v[166:167], -v[146:147]
	v_mul_f64 v[168:169], v[168:169], v[148:149]
	v_add_f64 v[6:7], v[6:7], -v[146:147]
	v_fma_f64 v[168:169], v[170:171], v[166:167], v[168:169]
	v_add_f64 v[8:9], v[8:9], -v[168:169]
	ds_read2_b64 v[168:171], v254 offset0:80 offset1:81
	s_waitcnt lgkmcnt(0)
	v_mul_f64 v[146:147], v[170:171], v[148:149]
	v_fma_f64 v[146:147], v[168:169], v[166:167], -v[146:147]
	v_mul_f64 v[168:169], v[168:169], v[148:149]
	v_add_f64 v[2:3], v[2:3], -v[146:147]
	v_fma_f64 v[168:169], v[170:171], v[166:167], v[168:169]
	v_mov_b32_e32 v146, v166
	v_mov_b32_e32 v147, v167
	v_add_f64 v[4:5], v[4:5], -v[168:169]
.LBB81_46:
	s_or_b32 exec_lo, exec_lo, s1
	s_mov_b32 s2, exec_lo
	s_waitcnt_vscnt null, 0x0
	s_barrier
	buffer_gl0_inv
	v_cmpx_eq_u32_e32 5, v0
	s_cbranch_execz .LBB81_53
; %bb.47:
	ds_write2_b64 v1, v[142:143], v[144:145] offset1:1
	ds_write2_b64 v254, v[138:139], v[140:141] offset0:12 offset1:13
	ds_write2_b64 v254, v[134:135], v[136:137] offset0:14 offset1:15
	;; [unrolled: 1-line block ×35, first 2 shown]
	ds_read2_b64 v[166:169], v1 offset1:1
	s_waitcnt lgkmcnt(0)
	v_cmp_neq_f64_e32 vcc_lo, 0, v[166:167]
	v_cmp_neq_f64_e64 s1, 0, v[168:169]
	s_or_b32 s1, vcc_lo, s1
	s_and_b32 exec_lo, exec_lo, s1
	s_cbranch_execz .LBB81_53
; %bb.48:
	v_cmp_ngt_f64_e64 s1, |v[166:167]|, |v[168:169]|
                                        ; implicit-def: $vgpr170_vgpr171
	s_and_saveexec_b32 s3, s1
	s_xor_b32 s1, exec_lo, s3
                                        ; implicit-def: $vgpr172_vgpr173
	s_cbranch_execz .LBB81_50
; %bb.49:
	v_div_scale_f64 v[170:171], null, v[168:169], v[168:169], v[166:167]
	v_div_scale_f64 v[176:177], vcc_lo, v[166:167], v[168:169], v[166:167]
	v_rcp_f64_e32 v[172:173], v[170:171]
	v_fma_f64 v[174:175], -v[170:171], v[172:173], 1.0
	v_fma_f64 v[172:173], v[172:173], v[174:175], v[172:173]
	v_fma_f64 v[174:175], -v[170:171], v[172:173], 1.0
	v_fma_f64 v[172:173], v[172:173], v[174:175], v[172:173]
	v_mul_f64 v[174:175], v[176:177], v[172:173]
	v_fma_f64 v[170:171], -v[170:171], v[174:175], v[176:177]
	v_div_fmas_f64 v[170:171], v[170:171], v[172:173], v[174:175]
	v_div_fixup_f64 v[170:171], v[170:171], v[168:169], v[166:167]
	v_fma_f64 v[166:167], v[166:167], v[170:171], v[168:169]
	v_div_scale_f64 v[168:169], null, v[166:167], v[166:167], 1.0
	v_rcp_f64_e32 v[172:173], v[168:169]
	v_fma_f64 v[174:175], -v[168:169], v[172:173], 1.0
	v_fma_f64 v[172:173], v[172:173], v[174:175], v[172:173]
	v_fma_f64 v[174:175], -v[168:169], v[172:173], 1.0
	v_fma_f64 v[172:173], v[172:173], v[174:175], v[172:173]
	v_div_scale_f64 v[174:175], vcc_lo, 1.0, v[166:167], 1.0
	v_mul_f64 v[176:177], v[174:175], v[172:173]
	v_fma_f64 v[168:169], -v[168:169], v[176:177], v[174:175]
	v_div_fmas_f64 v[168:169], v[168:169], v[172:173], v[176:177]
	v_div_fixup_f64 v[172:173], v[168:169], v[166:167], 1.0
                                        ; implicit-def: $vgpr166_vgpr167
	v_mul_f64 v[170:171], v[170:171], v[172:173]
	v_xor_b32_e32 v173, 0x80000000, v173
.LBB81_50:
	s_andn2_saveexec_b32 s1, s1
	s_cbranch_execz .LBB81_52
; %bb.51:
	v_div_scale_f64 v[170:171], null, v[166:167], v[166:167], v[168:169]
	v_div_scale_f64 v[176:177], vcc_lo, v[168:169], v[166:167], v[168:169]
	v_rcp_f64_e32 v[172:173], v[170:171]
	v_fma_f64 v[174:175], -v[170:171], v[172:173], 1.0
	v_fma_f64 v[172:173], v[172:173], v[174:175], v[172:173]
	v_fma_f64 v[174:175], -v[170:171], v[172:173], 1.0
	v_fma_f64 v[172:173], v[172:173], v[174:175], v[172:173]
	v_mul_f64 v[174:175], v[176:177], v[172:173]
	v_fma_f64 v[170:171], -v[170:171], v[174:175], v[176:177]
	v_div_fmas_f64 v[170:171], v[170:171], v[172:173], v[174:175]
	v_div_fixup_f64 v[172:173], v[170:171], v[166:167], v[168:169]
	v_fma_f64 v[166:167], v[168:169], v[172:173], v[166:167]
	v_div_scale_f64 v[168:169], null, v[166:167], v[166:167], 1.0
	v_rcp_f64_e32 v[170:171], v[168:169]
	v_fma_f64 v[174:175], -v[168:169], v[170:171], 1.0
	v_fma_f64 v[170:171], v[170:171], v[174:175], v[170:171]
	v_fma_f64 v[174:175], -v[168:169], v[170:171], 1.0
	v_fma_f64 v[170:171], v[170:171], v[174:175], v[170:171]
	v_div_scale_f64 v[174:175], vcc_lo, 1.0, v[166:167], 1.0
	v_mul_f64 v[176:177], v[174:175], v[170:171]
	v_fma_f64 v[168:169], -v[168:169], v[176:177], v[174:175]
	v_div_fmas_f64 v[168:169], v[168:169], v[170:171], v[176:177]
	v_div_fixup_f64 v[170:171], v[168:169], v[166:167], 1.0
	v_mul_f64 v[172:173], v[172:173], -v[170:171]
.LBB81_52:
	s_or_b32 exec_lo, exec_lo, s1
	ds_write2_b64 v1, v[170:171], v[172:173] offset1:1
.LBB81_53:
	s_or_b32 exec_lo, exec_lo, s2
	s_waitcnt lgkmcnt(0)
	s_barrier
	buffer_gl0_inv
	ds_read2_b64 v[166:169], v1 offset1:1
	s_mov_b32 s1, exec_lo
	s_waitcnt lgkmcnt(0)
	buffer_store_dword v166, off, s[16:19], 0 offset:368 ; 4-byte Folded Spill
	buffer_store_dword v167, off, s[16:19], 0 offset:372 ; 4-byte Folded Spill
	;; [unrolled: 1-line block ×4, first 2 shown]
	v_cmpx_lt_u32_e32 5, v0
	s_cbranch_execz .LBB81_55
; %bb.54:
	s_clause 0x3
	buffer_load_dword v168, off, s[16:19], 0 offset:368
	buffer_load_dword v169, off, s[16:19], 0 offset:372
	;; [unrolled: 1-line block ×4, first 2 shown]
	s_waitcnt vmcnt(0)
	v_mul_f64 v[166:167], v[170:171], v[144:145]
	v_mul_f64 v[144:145], v[168:169], v[144:145]
	v_fma_f64 v[166:167], v[168:169], v[142:143], -v[166:167]
	v_fma_f64 v[144:145], v[170:171], v[142:143], v[144:145]
	ds_read2_b64 v[168:171], v254 offset0:12 offset1:13
	s_waitcnt lgkmcnt(0)
	v_mul_f64 v[142:143], v[170:171], v[144:145]
	v_fma_f64 v[142:143], v[168:169], v[166:167], -v[142:143]
	v_mul_f64 v[168:169], v[168:169], v[144:145]
	v_add_f64 v[138:139], v[138:139], -v[142:143]
	v_fma_f64 v[168:169], v[170:171], v[166:167], v[168:169]
	v_add_f64 v[140:141], v[140:141], -v[168:169]
	ds_read2_b64 v[168:171], v254 offset0:14 offset1:15
	s_waitcnt lgkmcnt(0)
	v_mul_f64 v[142:143], v[170:171], v[144:145]
	v_fma_f64 v[142:143], v[168:169], v[166:167], -v[142:143]
	v_mul_f64 v[168:169], v[168:169], v[144:145]
	v_add_f64 v[134:135], v[134:135], -v[142:143]
	v_fma_f64 v[168:169], v[170:171], v[166:167], v[168:169]
	v_add_f64 v[136:137], v[136:137], -v[168:169]
	;; [unrolled: 8-line block ×34, first 2 shown]
	ds_read2_b64 v[168:171], v254 offset0:80 offset1:81
	s_waitcnt lgkmcnt(0)
	v_mul_f64 v[142:143], v[170:171], v[144:145]
	v_fma_f64 v[142:143], v[168:169], v[166:167], -v[142:143]
	v_mul_f64 v[168:169], v[168:169], v[144:145]
	v_add_f64 v[2:3], v[2:3], -v[142:143]
	v_fma_f64 v[168:169], v[170:171], v[166:167], v[168:169]
	v_mov_b32_e32 v142, v166
	v_mov_b32_e32 v143, v167
	v_add_f64 v[4:5], v[4:5], -v[168:169]
.LBB81_55:
	s_or_b32 exec_lo, exec_lo, s1
	s_mov_b32 s2, exec_lo
	s_waitcnt_vscnt null, 0x0
	s_barrier
	buffer_gl0_inv
	v_cmpx_eq_u32_e32 6, v0
	s_cbranch_execz .LBB81_62
; %bb.56:
	ds_write2_b64 v1, v[138:139], v[140:141] offset1:1
	ds_write2_b64 v254, v[134:135], v[136:137] offset0:14 offset1:15
	ds_write2_b64 v254, v[130:131], v[132:133] offset0:16 offset1:17
	;; [unrolled: 1-line block ×34, first 2 shown]
	ds_read2_b64 v[166:169], v1 offset1:1
	s_waitcnt lgkmcnt(0)
	v_cmp_neq_f64_e32 vcc_lo, 0, v[166:167]
	v_cmp_neq_f64_e64 s1, 0, v[168:169]
	s_or_b32 s1, vcc_lo, s1
	s_and_b32 exec_lo, exec_lo, s1
	s_cbranch_execz .LBB81_62
; %bb.57:
	v_cmp_ngt_f64_e64 s1, |v[166:167]|, |v[168:169]|
                                        ; implicit-def: $vgpr170_vgpr171
	s_and_saveexec_b32 s3, s1
	s_xor_b32 s1, exec_lo, s3
                                        ; implicit-def: $vgpr172_vgpr173
	s_cbranch_execz .LBB81_59
; %bb.58:
	v_div_scale_f64 v[170:171], null, v[168:169], v[168:169], v[166:167]
	v_div_scale_f64 v[176:177], vcc_lo, v[166:167], v[168:169], v[166:167]
	v_rcp_f64_e32 v[172:173], v[170:171]
	v_fma_f64 v[174:175], -v[170:171], v[172:173], 1.0
	v_fma_f64 v[172:173], v[172:173], v[174:175], v[172:173]
	v_fma_f64 v[174:175], -v[170:171], v[172:173], 1.0
	v_fma_f64 v[172:173], v[172:173], v[174:175], v[172:173]
	v_mul_f64 v[174:175], v[176:177], v[172:173]
	v_fma_f64 v[170:171], -v[170:171], v[174:175], v[176:177]
	v_div_fmas_f64 v[170:171], v[170:171], v[172:173], v[174:175]
	v_div_fixup_f64 v[170:171], v[170:171], v[168:169], v[166:167]
	v_fma_f64 v[166:167], v[166:167], v[170:171], v[168:169]
	v_div_scale_f64 v[168:169], null, v[166:167], v[166:167], 1.0
	v_rcp_f64_e32 v[172:173], v[168:169]
	v_fma_f64 v[174:175], -v[168:169], v[172:173], 1.0
	v_fma_f64 v[172:173], v[172:173], v[174:175], v[172:173]
	v_fma_f64 v[174:175], -v[168:169], v[172:173], 1.0
	v_fma_f64 v[172:173], v[172:173], v[174:175], v[172:173]
	v_div_scale_f64 v[174:175], vcc_lo, 1.0, v[166:167], 1.0
	v_mul_f64 v[176:177], v[174:175], v[172:173]
	v_fma_f64 v[168:169], -v[168:169], v[176:177], v[174:175]
	v_div_fmas_f64 v[168:169], v[168:169], v[172:173], v[176:177]
	v_div_fixup_f64 v[172:173], v[168:169], v[166:167], 1.0
                                        ; implicit-def: $vgpr166_vgpr167
	v_mul_f64 v[170:171], v[170:171], v[172:173]
	v_xor_b32_e32 v173, 0x80000000, v173
.LBB81_59:
	s_andn2_saveexec_b32 s1, s1
	s_cbranch_execz .LBB81_61
; %bb.60:
	v_div_scale_f64 v[170:171], null, v[166:167], v[166:167], v[168:169]
	v_div_scale_f64 v[176:177], vcc_lo, v[168:169], v[166:167], v[168:169]
	v_rcp_f64_e32 v[172:173], v[170:171]
	v_fma_f64 v[174:175], -v[170:171], v[172:173], 1.0
	v_fma_f64 v[172:173], v[172:173], v[174:175], v[172:173]
	v_fma_f64 v[174:175], -v[170:171], v[172:173], 1.0
	v_fma_f64 v[172:173], v[172:173], v[174:175], v[172:173]
	v_mul_f64 v[174:175], v[176:177], v[172:173]
	v_fma_f64 v[170:171], -v[170:171], v[174:175], v[176:177]
	v_div_fmas_f64 v[170:171], v[170:171], v[172:173], v[174:175]
	v_div_fixup_f64 v[172:173], v[170:171], v[166:167], v[168:169]
	v_fma_f64 v[166:167], v[168:169], v[172:173], v[166:167]
	v_div_scale_f64 v[168:169], null, v[166:167], v[166:167], 1.0
	v_rcp_f64_e32 v[170:171], v[168:169]
	v_fma_f64 v[174:175], -v[168:169], v[170:171], 1.0
	v_fma_f64 v[170:171], v[170:171], v[174:175], v[170:171]
	v_fma_f64 v[174:175], -v[168:169], v[170:171], 1.0
	v_fma_f64 v[170:171], v[170:171], v[174:175], v[170:171]
	v_div_scale_f64 v[174:175], vcc_lo, 1.0, v[166:167], 1.0
	v_mul_f64 v[176:177], v[174:175], v[170:171]
	v_fma_f64 v[168:169], -v[168:169], v[176:177], v[174:175]
	v_div_fmas_f64 v[168:169], v[168:169], v[170:171], v[176:177]
	v_div_fixup_f64 v[170:171], v[168:169], v[166:167], 1.0
	v_mul_f64 v[172:173], v[172:173], -v[170:171]
.LBB81_61:
	s_or_b32 exec_lo, exec_lo, s1
	ds_write2_b64 v1, v[170:171], v[172:173] offset1:1
.LBB81_62:
	s_or_b32 exec_lo, exec_lo, s2
	s_waitcnt lgkmcnt(0)
	s_barrier
	buffer_gl0_inv
	ds_read2_b64 v[166:169], v1 offset1:1
	s_mov_b32 s1, exec_lo
	s_waitcnt lgkmcnt(0)
	buffer_store_dword v166, off, s[16:19], 0 offset:384 ; 4-byte Folded Spill
	buffer_store_dword v167, off, s[16:19], 0 offset:388 ; 4-byte Folded Spill
	;; [unrolled: 1-line block ×4, first 2 shown]
	v_cmpx_lt_u32_e32 6, v0
	s_cbranch_execz .LBB81_64
; %bb.63:
	s_clause 0x3
	buffer_load_dword v168, off, s[16:19], 0 offset:384
	buffer_load_dword v169, off, s[16:19], 0 offset:388
	;; [unrolled: 1-line block ×4, first 2 shown]
	s_waitcnt vmcnt(0)
	v_mul_f64 v[166:167], v[170:171], v[140:141]
	v_mul_f64 v[140:141], v[168:169], v[140:141]
	v_fma_f64 v[166:167], v[168:169], v[138:139], -v[166:167]
	v_fma_f64 v[140:141], v[170:171], v[138:139], v[140:141]
	ds_read2_b64 v[168:171], v254 offset0:14 offset1:15
	s_waitcnt lgkmcnt(0)
	v_mul_f64 v[138:139], v[170:171], v[140:141]
	v_fma_f64 v[138:139], v[168:169], v[166:167], -v[138:139]
	v_mul_f64 v[168:169], v[168:169], v[140:141]
	v_add_f64 v[134:135], v[134:135], -v[138:139]
	v_fma_f64 v[168:169], v[170:171], v[166:167], v[168:169]
	v_add_f64 v[136:137], v[136:137], -v[168:169]
	ds_read2_b64 v[168:171], v254 offset0:16 offset1:17
	s_waitcnt lgkmcnt(0)
	v_mul_f64 v[138:139], v[170:171], v[140:141]
	v_fma_f64 v[138:139], v[168:169], v[166:167], -v[138:139]
	v_mul_f64 v[168:169], v[168:169], v[140:141]
	v_add_f64 v[130:131], v[130:131], -v[138:139]
	v_fma_f64 v[168:169], v[170:171], v[166:167], v[168:169]
	v_add_f64 v[132:133], v[132:133], -v[168:169]
	;; [unrolled: 8-line block ×33, first 2 shown]
	ds_read2_b64 v[168:171], v254 offset0:80 offset1:81
	s_waitcnt lgkmcnt(0)
	v_mul_f64 v[138:139], v[170:171], v[140:141]
	v_fma_f64 v[138:139], v[168:169], v[166:167], -v[138:139]
	v_mul_f64 v[168:169], v[168:169], v[140:141]
	v_add_f64 v[2:3], v[2:3], -v[138:139]
	v_fma_f64 v[168:169], v[170:171], v[166:167], v[168:169]
	v_mov_b32_e32 v138, v166
	v_mov_b32_e32 v139, v167
	v_add_f64 v[4:5], v[4:5], -v[168:169]
.LBB81_64:
	s_or_b32 exec_lo, exec_lo, s1
	s_mov_b32 s2, exec_lo
	s_waitcnt_vscnt null, 0x0
	s_barrier
	buffer_gl0_inv
	v_cmpx_eq_u32_e32 7, v0
	s_cbranch_execz .LBB81_71
; %bb.65:
	ds_write2_b64 v1, v[134:135], v[136:137] offset1:1
	ds_write2_b64 v254, v[130:131], v[132:133] offset0:16 offset1:17
	ds_write2_b64 v254, v[126:127], v[128:129] offset0:18 offset1:19
	;; [unrolled: 1-line block ×33, first 2 shown]
	ds_read2_b64 v[166:169], v1 offset1:1
	s_waitcnt lgkmcnt(0)
	v_cmp_neq_f64_e32 vcc_lo, 0, v[166:167]
	v_cmp_neq_f64_e64 s1, 0, v[168:169]
	s_or_b32 s1, vcc_lo, s1
	s_and_b32 exec_lo, exec_lo, s1
	s_cbranch_execz .LBB81_71
; %bb.66:
	v_cmp_ngt_f64_e64 s1, |v[166:167]|, |v[168:169]|
                                        ; implicit-def: $vgpr170_vgpr171
	s_and_saveexec_b32 s3, s1
	s_xor_b32 s1, exec_lo, s3
                                        ; implicit-def: $vgpr172_vgpr173
	s_cbranch_execz .LBB81_68
; %bb.67:
	v_div_scale_f64 v[170:171], null, v[168:169], v[168:169], v[166:167]
	v_div_scale_f64 v[176:177], vcc_lo, v[166:167], v[168:169], v[166:167]
	v_rcp_f64_e32 v[172:173], v[170:171]
	v_fma_f64 v[174:175], -v[170:171], v[172:173], 1.0
	v_fma_f64 v[172:173], v[172:173], v[174:175], v[172:173]
	v_fma_f64 v[174:175], -v[170:171], v[172:173], 1.0
	v_fma_f64 v[172:173], v[172:173], v[174:175], v[172:173]
	v_mul_f64 v[174:175], v[176:177], v[172:173]
	v_fma_f64 v[170:171], -v[170:171], v[174:175], v[176:177]
	v_div_fmas_f64 v[170:171], v[170:171], v[172:173], v[174:175]
	v_div_fixup_f64 v[170:171], v[170:171], v[168:169], v[166:167]
	v_fma_f64 v[166:167], v[166:167], v[170:171], v[168:169]
	v_div_scale_f64 v[168:169], null, v[166:167], v[166:167], 1.0
	v_rcp_f64_e32 v[172:173], v[168:169]
	v_fma_f64 v[174:175], -v[168:169], v[172:173], 1.0
	v_fma_f64 v[172:173], v[172:173], v[174:175], v[172:173]
	v_fma_f64 v[174:175], -v[168:169], v[172:173], 1.0
	v_fma_f64 v[172:173], v[172:173], v[174:175], v[172:173]
	v_div_scale_f64 v[174:175], vcc_lo, 1.0, v[166:167], 1.0
	v_mul_f64 v[176:177], v[174:175], v[172:173]
	v_fma_f64 v[168:169], -v[168:169], v[176:177], v[174:175]
	v_div_fmas_f64 v[168:169], v[168:169], v[172:173], v[176:177]
	v_div_fixup_f64 v[172:173], v[168:169], v[166:167], 1.0
                                        ; implicit-def: $vgpr166_vgpr167
	v_mul_f64 v[170:171], v[170:171], v[172:173]
	v_xor_b32_e32 v173, 0x80000000, v173
.LBB81_68:
	s_andn2_saveexec_b32 s1, s1
	s_cbranch_execz .LBB81_70
; %bb.69:
	v_div_scale_f64 v[170:171], null, v[166:167], v[166:167], v[168:169]
	v_div_scale_f64 v[176:177], vcc_lo, v[168:169], v[166:167], v[168:169]
	v_rcp_f64_e32 v[172:173], v[170:171]
	v_fma_f64 v[174:175], -v[170:171], v[172:173], 1.0
	v_fma_f64 v[172:173], v[172:173], v[174:175], v[172:173]
	v_fma_f64 v[174:175], -v[170:171], v[172:173], 1.0
	v_fma_f64 v[172:173], v[172:173], v[174:175], v[172:173]
	v_mul_f64 v[174:175], v[176:177], v[172:173]
	v_fma_f64 v[170:171], -v[170:171], v[174:175], v[176:177]
	v_div_fmas_f64 v[170:171], v[170:171], v[172:173], v[174:175]
	v_div_fixup_f64 v[172:173], v[170:171], v[166:167], v[168:169]
	v_fma_f64 v[166:167], v[168:169], v[172:173], v[166:167]
	v_div_scale_f64 v[168:169], null, v[166:167], v[166:167], 1.0
	v_rcp_f64_e32 v[170:171], v[168:169]
	v_fma_f64 v[174:175], -v[168:169], v[170:171], 1.0
	v_fma_f64 v[170:171], v[170:171], v[174:175], v[170:171]
	v_fma_f64 v[174:175], -v[168:169], v[170:171], 1.0
	v_fma_f64 v[170:171], v[170:171], v[174:175], v[170:171]
	v_div_scale_f64 v[174:175], vcc_lo, 1.0, v[166:167], 1.0
	v_mul_f64 v[176:177], v[174:175], v[170:171]
	v_fma_f64 v[168:169], -v[168:169], v[176:177], v[174:175]
	v_div_fmas_f64 v[168:169], v[168:169], v[170:171], v[176:177]
	v_div_fixup_f64 v[170:171], v[168:169], v[166:167], 1.0
	v_mul_f64 v[172:173], v[172:173], -v[170:171]
.LBB81_70:
	s_or_b32 exec_lo, exec_lo, s1
	ds_write2_b64 v1, v[170:171], v[172:173] offset1:1
.LBB81_71:
	s_or_b32 exec_lo, exec_lo, s2
	s_waitcnt lgkmcnt(0)
	s_barrier
	buffer_gl0_inv
	ds_read2_b64 v[166:169], v1 offset1:1
	s_mov_b32 s1, exec_lo
	s_waitcnt lgkmcnt(0)
	buffer_store_dword v166, off, s[16:19], 0 offset:400 ; 4-byte Folded Spill
	buffer_store_dword v167, off, s[16:19], 0 offset:404 ; 4-byte Folded Spill
	;; [unrolled: 1-line block ×4, first 2 shown]
	v_cmpx_lt_u32_e32 7, v0
	s_cbranch_execz .LBB81_73
; %bb.72:
	s_clause 0x3
	buffer_load_dword v168, off, s[16:19], 0 offset:400
	buffer_load_dword v169, off, s[16:19], 0 offset:404
	;; [unrolled: 1-line block ×4, first 2 shown]
	s_waitcnt vmcnt(0)
	v_mul_f64 v[166:167], v[170:171], v[136:137]
	v_mul_f64 v[136:137], v[168:169], v[136:137]
	v_fma_f64 v[166:167], v[168:169], v[134:135], -v[166:167]
	v_fma_f64 v[136:137], v[170:171], v[134:135], v[136:137]
	ds_read2_b64 v[168:171], v254 offset0:16 offset1:17
	s_waitcnt lgkmcnt(0)
	v_mul_f64 v[134:135], v[170:171], v[136:137]
	v_fma_f64 v[134:135], v[168:169], v[166:167], -v[134:135]
	v_mul_f64 v[168:169], v[168:169], v[136:137]
	v_add_f64 v[130:131], v[130:131], -v[134:135]
	v_fma_f64 v[168:169], v[170:171], v[166:167], v[168:169]
	v_add_f64 v[132:133], v[132:133], -v[168:169]
	ds_read2_b64 v[168:171], v254 offset0:18 offset1:19
	s_waitcnt lgkmcnt(0)
	v_mul_f64 v[134:135], v[170:171], v[136:137]
	v_fma_f64 v[134:135], v[168:169], v[166:167], -v[134:135]
	v_mul_f64 v[168:169], v[168:169], v[136:137]
	v_add_f64 v[126:127], v[126:127], -v[134:135]
	v_fma_f64 v[168:169], v[170:171], v[166:167], v[168:169]
	v_add_f64 v[128:129], v[128:129], -v[168:169]
	;; [unrolled: 8-line block ×32, first 2 shown]
	ds_read2_b64 v[168:171], v254 offset0:80 offset1:81
	s_waitcnt lgkmcnt(0)
	v_mul_f64 v[134:135], v[170:171], v[136:137]
	v_fma_f64 v[134:135], v[168:169], v[166:167], -v[134:135]
	v_mul_f64 v[168:169], v[168:169], v[136:137]
	v_add_f64 v[2:3], v[2:3], -v[134:135]
	v_fma_f64 v[168:169], v[170:171], v[166:167], v[168:169]
	v_mov_b32_e32 v134, v166
	v_mov_b32_e32 v135, v167
	v_add_f64 v[4:5], v[4:5], -v[168:169]
.LBB81_73:
	s_or_b32 exec_lo, exec_lo, s1
	s_mov_b32 s2, exec_lo
	s_waitcnt_vscnt null, 0x0
	s_barrier
	buffer_gl0_inv
	v_cmpx_eq_u32_e32 8, v0
	s_cbranch_execz .LBB81_80
; %bb.74:
	ds_write2_b64 v1, v[130:131], v[132:133] offset1:1
	ds_write2_b64 v254, v[126:127], v[128:129] offset0:18 offset1:19
	ds_write2_b64 v254, v[122:123], v[124:125] offset0:20 offset1:21
	;; [unrolled: 1-line block ×32, first 2 shown]
	ds_read2_b64 v[166:169], v1 offset1:1
	s_waitcnt lgkmcnt(0)
	v_cmp_neq_f64_e32 vcc_lo, 0, v[166:167]
	v_cmp_neq_f64_e64 s1, 0, v[168:169]
	s_or_b32 s1, vcc_lo, s1
	s_and_b32 exec_lo, exec_lo, s1
	s_cbranch_execz .LBB81_80
; %bb.75:
	v_cmp_ngt_f64_e64 s1, |v[166:167]|, |v[168:169]|
                                        ; implicit-def: $vgpr170_vgpr171
	s_and_saveexec_b32 s3, s1
	s_xor_b32 s1, exec_lo, s3
                                        ; implicit-def: $vgpr172_vgpr173
	s_cbranch_execz .LBB81_77
; %bb.76:
	v_div_scale_f64 v[170:171], null, v[168:169], v[168:169], v[166:167]
	v_div_scale_f64 v[176:177], vcc_lo, v[166:167], v[168:169], v[166:167]
	v_rcp_f64_e32 v[172:173], v[170:171]
	v_fma_f64 v[174:175], -v[170:171], v[172:173], 1.0
	v_fma_f64 v[172:173], v[172:173], v[174:175], v[172:173]
	v_fma_f64 v[174:175], -v[170:171], v[172:173], 1.0
	v_fma_f64 v[172:173], v[172:173], v[174:175], v[172:173]
	v_mul_f64 v[174:175], v[176:177], v[172:173]
	v_fma_f64 v[170:171], -v[170:171], v[174:175], v[176:177]
	v_div_fmas_f64 v[170:171], v[170:171], v[172:173], v[174:175]
	v_div_fixup_f64 v[170:171], v[170:171], v[168:169], v[166:167]
	v_fma_f64 v[166:167], v[166:167], v[170:171], v[168:169]
	v_div_scale_f64 v[168:169], null, v[166:167], v[166:167], 1.0
	v_rcp_f64_e32 v[172:173], v[168:169]
	v_fma_f64 v[174:175], -v[168:169], v[172:173], 1.0
	v_fma_f64 v[172:173], v[172:173], v[174:175], v[172:173]
	v_fma_f64 v[174:175], -v[168:169], v[172:173], 1.0
	v_fma_f64 v[172:173], v[172:173], v[174:175], v[172:173]
	v_div_scale_f64 v[174:175], vcc_lo, 1.0, v[166:167], 1.0
	v_mul_f64 v[176:177], v[174:175], v[172:173]
	v_fma_f64 v[168:169], -v[168:169], v[176:177], v[174:175]
	v_div_fmas_f64 v[168:169], v[168:169], v[172:173], v[176:177]
	v_div_fixup_f64 v[172:173], v[168:169], v[166:167], 1.0
                                        ; implicit-def: $vgpr166_vgpr167
	v_mul_f64 v[170:171], v[170:171], v[172:173]
	v_xor_b32_e32 v173, 0x80000000, v173
.LBB81_77:
	s_andn2_saveexec_b32 s1, s1
	s_cbranch_execz .LBB81_79
; %bb.78:
	v_div_scale_f64 v[170:171], null, v[166:167], v[166:167], v[168:169]
	v_div_scale_f64 v[176:177], vcc_lo, v[168:169], v[166:167], v[168:169]
	v_rcp_f64_e32 v[172:173], v[170:171]
	v_fma_f64 v[174:175], -v[170:171], v[172:173], 1.0
	v_fma_f64 v[172:173], v[172:173], v[174:175], v[172:173]
	v_fma_f64 v[174:175], -v[170:171], v[172:173], 1.0
	v_fma_f64 v[172:173], v[172:173], v[174:175], v[172:173]
	v_mul_f64 v[174:175], v[176:177], v[172:173]
	v_fma_f64 v[170:171], -v[170:171], v[174:175], v[176:177]
	v_div_fmas_f64 v[170:171], v[170:171], v[172:173], v[174:175]
	v_div_fixup_f64 v[172:173], v[170:171], v[166:167], v[168:169]
	v_fma_f64 v[166:167], v[168:169], v[172:173], v[166:167]
	v_div_scale_f64 v[168:169], null, v[166:167], v[166:167], 1.0
	v_rcp_f64_e32 v[170:171], v[168:169]
	v_fma_f64 v[174:175], -v[168:169], v[170:171], 1.0
	v_fma_f64 v[170:171], v[170:171], v[174:175], v[170:171]
	v_fma_f64 v[174:175], -v[168:169], v[170:171], 1.0
	v_fma_f64 v[170:171], v[170:171], v[174:175], v[170:171]
	v_div_scale_f64 v[174:175], vcc_lo, 1.0, v[166:167], 1.0
	v_mul_f64 v[176:177], v[174:175], v[170:171]
	v_fma_f64 v[168:169], -v[168:169], v[176:177], v[174:175]
	v_div_fmas_f64 v[168:169], v[168:169], v[170:171], v[176:177]
	v_div_fixup_f64 v[170:171], v[168:169], v[166:167], 1.0
	v_mul_f64 v[172:173], v[172:173], -v[170:171]
.LBB81_79:
	s_or_b32 exec_lo, exec_lo, s1
	ds_write2_b64 v1, v[170:171], v[172:173] offset1:1
.LBB81_80:
	s_or_b32 exec_lo, exec_lo, s2
	s_waitcnt lgkmcnt(0)
	s_barrier
	buffer_gl0_inv
	ds_read2_b64 v[166:169], v1 offset1:1
	s_mov_b32 s1, exec_lo
	s_waitcnt lgkmcnt(0)
	buffer_store_dword v166, off, s[16:19], 0 offset:416 ; 4-byte Folded Spill
	buffer_store_dword v167, off, s[16:19], 0 offset:420 ; 4-byte Folded Spill
	buffer_store_dword v168, off, s[16:19], 0 offset:424 ; 4-byte Folded Spill
	buffer_store_dword v169, off, s[16:19], 0 offset:428 ; 4-byte Folded Spill
	v_cmpx_lt_u32_e32 8, v0
	s_cbranch_execz .LBB81_82
; %bb.81:
	s_clause 0x3
	buffer_load_dword v168, off, s[16:19], 0 offset:416
	buffer_load_dword v169, off, s[16:19], 0 offset:420
	buffer_load_dword v170, off, s[16:19], 0 offset:424
	buffer_load_dword v171, off, s[16:19], 0 offset:428
	s_waitcnt vmcnt(0)
	v_mul_f64 v[166:167], v[170:171], v[132:133]
	v_mul_f64 v[132:133], v[168:169], v[132:133]
	v_fma_f64 v[166:167], v[168:169], v[130:131], -v[166:167]
	v_fma_f64 v[132:133], v[170:171], v[130:131], v[132:133]
	ds_read2_b64 v[168:171], v254 offset0:18 offset1:19
	s_waitcnt lgkmcnt(0)
	v_mul_f64 v[130:131], v[170:171], v[132:133]
	v_fma_f64 v[130:131], v[168:169], v[166:167], -v[130:131]
	v_mul_f64 v[168:169], v[168:169], v[132:133]
	v_add_f64 v[126:127], v[126:127], -v[130:131]
	v_fma_f64 v[168:169], v[170:171], v[166:167], v[168:169]
	v_add_f64 v[128:129], v[128:129], -v[168:169]
	ds_read2_b64 v[168:171], v254 offset0:20 offset1:21
	s_waitcnt lgkmcnt(0)
	v_mul_f64 v[130:131], v[170:171], v[132:133]
	v_fma_f64 v[130:131], v[168:169], v[166:167], -v[130:131]
	v_mul_f64 v[168:169], v[168:169], v[132:133]
	v_add_f64 v[122:123], v[122:123], -v[130:131]
	v_fma_f64 v[168:169], v[170:171], v[166:167], v[168:169]
	v_add_f64 v[124:125], v[124:125], -v[168:169]
	;; [unrolled: 8-line block ×31, first 2 shown]
	ds_read2_b64 v[168:171], v254 offset0:80 offset1:81
	s_waitcnt lgkmcnt(0)
	v_mul_f64 v[130:131], v[170:171], v[132:133]
	v_fma_f64 v[130:131], v[168:169], v[166:167], -v[130:131]
	v_mul_f64 v[168:169], v[168:169], v[132:133]
	v_add_f64 v[2:3], v[2:3], -v[130:131]
	v_fma_f64 v[168:169], v[170:171], v[166:167], v[168:169]
	v_mov_b32_e32 v130, v166
	v_mov_b32_e32 v131, v167
	v_add_f64 v[4:5], v[4:5], -v[168:169]
.LBB81_82:
	s_or_b32 exec_lo, exec_lo, s1
	s_mov_b32 s2, exec_lo
	s_waitcnt_vscnt null, 0x0
	s_barrier
	buffer_gl0_inv
	v_cmpx_eq_u32_e32 9, v0
	s_cbranch_execz .LBB81_89
; %bb.83:
	ds_write2_b64 v1, v[126:127], v[128:129] offset1:1
	ds_write2_b64 v254, v[122:123], v[124:125] offset0:20 offset1:21
	ds_write2_b64 v254, v[118:119], v[120:121] offset0:22 offset1:23
	;; [unrolled: 1-line block ×31, first 2 shown]
	ds_read2_b64 v[166:169], v1 offset1:1
	s_waitcnt lgkmcnt(0)
	v_cmp_neq_f64_e32 vcc_lo, 0, v[166:167]
	v_cmp_neq_f64_e64 s1, 0, v[168:169]
	s_or_b32 s1, vcc_lo, s1
	s_and_b32 exec_lo, exec_lo, s1
	s_cbranch_execz .LBB81_89
; %bb.84:
	v_cmp_ngt_f64_e64 s1, |v[166:167]|, |v[168:169]|
                                        ; implicit-def: $vgpr170_vgpr171
	s_and_saveexec_b32 s3, s1
	s_xor_b32 s1, exec_lo, s3
                                        ; implicit-def: $vgpr172_vgpr173
	s_cbranch_execz .LBB81_86
; %bb.85:
	v_div_scale_f64 v[170:171], null, v[168:169], v[168:169], v[166:167]
	v_div_scale_f64 v[176:177], vcc_lo, v[166:167], v[168:169], v[166:167]
	v_rcp_f64_e32 v[172:173], v[170:171]
	v_fma_f64 v[174:175], -v[170:171], v[172:173], 1.0
	v_fma_f64 v[172:173], v[172:173], v[174:175], v[172:173]
	v_fma_f64 v[174:175], -v[170:171], v[172:173], 1.0
	v_fma_f64 v[172:173], v[172:173], v[174:175], v[172:173]
	v_mul_f64 v[174:175], v[176:177], v[172:173]
	v_fma_f64 v[170:171], -v[170:171], v[174:175], v[176:177]
	v_div_fmas_f64 v[170:171], v[170:171], v[172:173], v[174:175]
	v_div_fixup_f64 v[170:171], v[170:171], v[168:169], v[166:167]
	v_fma_f64 v[166:167], v[166:167], v[170:171], v[168:169]
	v_div_scale_f64 v[168:169], null, v[166:167], v[166:167], 1.0
	v_rcp_f64_e32 v[172:173], v[168:169]
	v_fma_f64 v[174:175], -v[168:169], v[172:173], 1.0
	v_fma_f64 v[172:173], v[172:173], v[174:175], v[172:173]
	v_fma_f64 v[174:175], -v[168:169], v[172:173], 1.0
	v_fma_f64 v[172:173], v[172:173], v[174:175], v[172:173]
	v_div_scale_f64 v[174:175], vcc_lo, 1.0, v[166:167], 1.0
	v_mul_f64 v[176:177], v[174:175], v[172:173]
	v_fma_f64 v[168:169], -v[168:169], v[176:177], v[174:175]
	v_div_fmas_f64 v[168:169], v[168:169], v[172:173], v[176:177]
	v_div_fixup_f64 v[172:173], v[168:169], v[166:167], 1.0
                                        ; implicit-def: $vgpr166_vgpr167
	v_mul_f64 v[170:171], v[170:171], v[172:173]
	v_xor_b32_e32 v173, 0x80000000, v173
.LBB81_86:
	s_andn2_saveexec_b32 s1, s1
	s_cbranch_execz .LBB81_88
; %bb.87:
	v_div_scale_f64 v[170:171], null, v[166:167], v[166:167], v[168:169]
	v_div_scale_f64 v[176:177], vcc_lo, v[168:169], v[166:167], v[168:169]
	v_rcp_f64_e32 v[172:173], v[170:171]
	v_fma_f64 v[174:175], -v[170:171], v[172:173], 1.0
	v_fma_f64 v[172:173], v[172:173], v[174:175], v[172:173]
	v_fma_f64 v[174:175], -v[170:171], v[172:173], 1.0
	v_fma_f64 v[172:173], v[172:173], v[174:175], v[172:173]
	v_mul_f64 v[174:175], v[176:177], v[172:173]
	v_fma_f64 v[170:171], -v[170:171], v[174:175], v[176:177]
	v_div_fmas_f64 v[170:171], v[170:171], v[172:173], v[174:175]
	v_div_fixup_f64 v[172:173], v[170:171], v[166:167], v[168:169]
	v_fma_f64 v[166:167], v[168:169], v[172:173], v[166:167]
	v_div_scale_f64 v[168:169], null, v[166:167], v[166:167], 1.0
	v_rcp_f64_e32 v[170:171], v[168:169]
	v_fma_f64 v[174:175], -v[168:169], v[170:171], 1.0
	v_fma_f64 v[170:171], v[170:171], v[174:175], v[170:171]
	v_fma_f64 v[174:175], -v[168:169], v[170:171], 1.0
	v_fma_f64 v[170:171], v[170:171], v[174:175], v[170:171]
	v_div_scale_f64 v[174:175], vcc_lo, 1.0, v[166:167], 1.0
	v_mul_f64 v[176:177], v[174:175], v[170:171]
	v_fma_f64 v[168:169], -v[168:169], v[176:177], v[174:175]
	v_div_fmas_f64 v[168:169], v[168:169], v[170:171], v[176:177]
	v_div_fixup_f64 v[170:171], v[168:169], v[166:167], 1.0
	v_mul_f64 v[172:173], v[172:173], -v[170:171]
.LBB81_88:
	s_or_b32 exec_lo, exec_lo, s1
	ds_write2_b64 v1, v[170:171], v[172:173] offset1:1
.LBB81_89:
	s_or_b32 exec_lo, exec_lo, s2
	s_waitcnt lgkmcnt(0)
	s_barrier
	buffer_gl0_inv
	ds_read2_b64 v[166:169], v1 offset1:1
	s_mov_b32 s1, exec_lo
	s_waitcnt lgkmcnt(0)
	buffer_store_dword v166, off, s[16:19], 0 offset:432 ; 4-byte Folded Spill
	buffer_store_dword v167, off, s[16:19], 0 offset:436 ; 4-byte Folded Spill
	;; [unrolled: 1-line block ×4, first 2 shown]
	v_cmpx_lt_u32_e32 9, v0
	s_cbranch_execz .LBB81_91
; %bb.90:
	s_clause 0x3
	buffer_load_dword v168, off, s[16:19], 0 offset:432
	buffer_load_dword v169, off, s[16:19], 0 offset:436
	;; [unrolled: 1-line block ×4, first 2 shown]
	s_waitcnt vmcnt(0)
	v_mul_f64 v[166:167], v[170:171], v[128:129]
	v_mul_f64 v[128:129], v[168:169], v[128:129]
	v_fma_f64 v[166:167], v[168:169], v[126:127], -v[166:167]
	v_fma_f64 v[128:129], v[170:171], v[126:127], v[128:129]
	ds_read2_b64 v[168:171], v254 offset0:20 offset1:21
	s_waitcnt lgkmcnt(0)
	v_mul_f64 v[126:127], v[170:171], v[128:129]
	v_fma_f64 v[126:127], v[168:169], v[166:167], -v[126:127]
	v_mul_f64 v[168:169], v[168:169], v[128:129]
	v_add_f64 v[122:123], v[122:123], -v[126:127]
	v_fma_f64 v[168:169], v[170:171], v[166:167], v[168:169]
	v_add_f64 v[124:125], v[124:125], -v[168:169]
	ds_read2_b64 v[168:171], v254 offset0:22 offset1:23
	s_waitcnt lgkmcnt(0)
	v_mul_f64 v[126:127], v[170:171], v[128:129]
	v_fma_f64 v[126:127], v[168:169], v[166:167], -v[126:127]
	v_mul_f64 v[168:169], v[168:169], v[128:129]
	v_add_f64 v[118:119], v[118:119], -v[126:127]
	v_fma_f64 v[168:169], v[170:171], v[166:167], v[168:169]
	v_add_f64 v[120:121], v[120:121], -v[168:169]
	;; [unrolled: 8-line block ×30, first 2 shown]
	ds_read2_b64 v[168:171], v254 offset0:80 offset1:81
	s_waitcnt lgkmcnt(0)
	v_mul_f64 v[126:127], v[170:171], v[128:129]
	v_fma_f64 v[126:127], v[168:169], v[166:167], -v[126:127]
	v_mul_f64 v[168:169], v[168:169], v[128:129]
	v_add_f64 v[2:3], v[2:3], -v[126:127]
	v_fma_f64 v[168:169], v[170:171], v[166:167], v[168:169]
	v_mov_b32_e32 v126, v166
	v_mov_b32_e32 v127, v167
	v_add_f64 v[4:5], v[4:5], -v[168:169]
.LBB81_91:
	s_or_b32 exec_lo, exec_lo, s1
	s_mov_b32 s2, exec_lo
	s_waitcnt_vscnt null, 0x0
	s_barrier
	buffer_gl0_inv
	v_cmpx_eq_u32_e32 10, v0
	s_cbranch_execz .LBB81_98
; %bb.92:
	ds_write2_b64 v1, v[122:123], v[124:125] offset1:1
	ds_write2_b64 v254, v[118:119], v[120:121] offset0:22 offset1:23
	ds_write2_b64 v254, v[114:115], v[116:117] offset0:24 offset1:25
	;; [unrolled: 1-line block ×30, first 2 shown]
	ds_read2_b64 v[166:169], v1 offset1:1
	s_waitcnt lgkmcnt(0)
	v_cmp_neq_f64_e32 vcc_lo, 0, v[166:167]
	v_cmp_neq_f64_e64 s1, 0, v[168:169]
	s_or_b32 s1, vcc_lo, s1
	s_and_b32 exec_lo, exec_lo, s1
	s_cbranch_execz .LBB81_98
; %bb.93:
	v_cmp_ngt_f64_e64 s1, |v[166:167]|, |v[168:169]|
                                        ; implicit-def: $vgpr170_vgpr171
	s_and_saveexec_b32 s3, s1
	s_xor_b32 s1, exec_lo, s3
                                        ; implicit-def: $vgpr172_vgpr173
	s_cbranch_execz .LBB81_95
; %bb.94:
	v_div_scale_f64 v[170:171], null, v[168:169], v[168:169], v[166:167]
	v_div_scale_f64 v[176:177], vcc_lo, v[166:167], v[168:169], v[166:167]
	v_rcp_f64_e32 v[172:173], v[170:171]
	v_fma_f64 v[174:175], -v[170:171], v[172:173], 1.0
	v_fma_f64 v[172:173], v[172:173], v[174:175], v[172:173]
	v_fma_f64 v[174:175], -v[170:171], v[172:173], 1.0
	v_fma_f64 v[172:173], v[172:173], v[174:175], v[172:173]
	v_mul_f64 v[174:175], v[176:177], v[172:173]
	v_fma_f64 v[170:171], -v[170:171], v[174:175], v[176:177]
	v_div_fmas_f64 v[170:171], v[170:171], v[172:173], v[174:175]
	v_div_fixup_f64 v[170:171], v[170:171], v[168:169], v[166:167]
	v_fma_f64 v[166:167], v[166:167], v[170:171], v[168:169]
	v_div_scale_f64 v[168:169], null, v[166:167], v[166:167], 1.0
	v_rcp_f64_e32 v[172:173], v[168:169]
	v_fma_f64 v[174:175], -v[168:169], v[172:173], 1.0
	v_fma_f64 v[172:173], v[172:173], v[174:175], v[172:173]
	v_fma_f64 v[174:175], -v[168:169], v[172:173], 1.0
	v_fma_f64 v[172:173], v[172:173], v[174:175], v[172:173]
	v_div_scale_f64 v[174:175], vcc_lo, 1.0, v[166:167], 1.0
	v_mul_f64 v[176:177], v[174:175], v[172:173]
	v_fma_f64 v[168:169], -v[168:169], v[176:177], v[174:175]
	v_div_fmas_f64 v[168:169], v[168:169], v[172:173], v[176:177]
	v_div_fixup_f64 v[172:173], v[168:169], v[166:167], 1.0
                                        ; implicit-def: $vgpr166_vgpr167
	v_mul_f64 v[170:171], v[170:171], v[172:173]
	v_xor_b32_e32 v173, 0x80000000, v173
.LBB81_95:
	s_andn2_saveexec_b32 s1, s1
	s_cbranch_execz .LBB81_97
; %bb.96:
	v_div_scale_f64 v[170:171], null, v[166:167], v[166:167], v[168:169]
	v_div_scale_f64 v[176:177], vcc_lo, v[168:169], v[166:167], v[168:169]
	v_rcp_f64_e32 v[172:173], v[170:171]
	v_fma_f64 v[174:175], -v[170:171], v[172:173], 1.0
	v_fma_f64 v[172:173], v[172:173], v[174:175], v[172:173]
	v_fma_f64 v[174:175], -v[170:171], v[172:173], 1.0
	v_fma_f64 v[172:173], v[172:173], v[174:175], v[172:173]
	v_mul_f64 v[174:175], v[176:177], v[172:173]
	v_fma_f64 v[170:171], -v[170:171], v[174:175], v[176:177]
	v_div_fmas_f64 v[170:171], v[170:171], v[172:173], v[174:175]
	v_div_fixup_f64 v[172:173], v[170:171], v[166:167], v[168:169]
	v_fma_f64 v[166:167], v[168:169], v[172:173], v[166:167]
	v_div_scale_f64 v[168:169], null, v[166:167], v[166:167], 1.0
	v_rcp_f64_e32 v[170:171], v[168:169]
	v_fma_f64 v[174:175], -v[168:169], v[170:171], 1.0
	v_fma_f64 v[170:171], v[170:171], v[174:175], v[170:171]
	v_fma_f64 v[174:175], -v[168:169], v[170:171], 1.0
	v_fma_f64 v[170:171], v[170:171], v[174:175], v[170:171]
	v_div_scale_f64 v[174:175], vcc_lo, 1.0, v[166:167], 1.0
	v_mul_f64 v[176:177], v[174:175], v[170:171]
	v_fma_f64 v[168:169], -v[168:169], v[176:177], v[174:175]
	v_div_fmas_f64 v[168:169], v[168:169], v[170:171], v[176:177]
	v_div_fixup_f64 v[170:171], v[168:169], v[166:167], 1.0
	v_mul_f64 v[172:173], v[172:173], -v[170:171]
.LBB81_97:
	s_or_b32 exec_lo, exec_lo, s1
	ds_write2_b64 v1, v[170:171], v[172:173] offset1:1
.LBB81_98:
	s_or_b32 exec_lo, exec_lo, s2
	s_waitcnt lgkmcnt(0)
	s_barrier
	buffer_gl0_inv
	ds_read2_b64 v[166:169], v1 offset1:1
	s_mov_b32 s1, exec_lo
	s_waitcnt lgkmcnt(0)
	buffer_store_dword v166, off, s[16:19], 0 offset:448 ; 4-byte Folded Spill
	buffer_store_dword v167, off, s[16:19], 0 offset:452 ; 4-byte Folded Spill
	buffer_store_dword v168, off, s[16:19], 0 offset:456 ; 4-byte Folded Spill
	buffer_store_dword v169, off, s[16:19], 0 offset:460 ; 4-byte Folded Spill
	v_cmpx_lt_u32_e32 10, v0
	s_cbranch_execz .LBB81_100
; %bb.99:
	s_clause 0x3
	buffer_load_dword v168, off, s[16:19], 0 offset:448
	buffer_load_dword v169, off, s[16:19], 0 offset:452
	;; [unrolled: 1-line block ×4, first 2 shown]
	s_waitcnt vmcnt(0)
	v_mul_f64 v[166:167], v[170:171], v[124:125]
	v_mul_f64 v[124:125], v[168:169], v[124:125]
	v_fma_f64 v[166:167], v[168:169], v[122:123], -v[166:167]
	v_fma_f64 v[124:125], v[170:171], v[122:123], v[124:125]
	ds_read2_b64 v[168:171], v254 offset0:22 offset1:23
	s_waitcnt lgkmcnt(0)
	v_mul_f64 v[122:123], v[170:171], v[124:125]
	v_fma_f64 v[122:123], v[168:169], v[166:167], -v[122:123]
	v_mul_f64 v[168:169], v[168:169], v[124:125]
	v_add_f64 v[118:119], v[118:119], -v[122:123]
	v_fma_f64 v[168:169], v[170:171], v[166:167], v[168:169]
	v_add_f64 v[120:121], v[120:121], -v[168:169]
	ds_read2_b64 v[168:171], v254 offset0:24 offset1:25
	s_waitcnt lgkmcnt(0)
	v_mul_f64 v[122:123], v[170:171], v[124:125]
	v_fma_f64 v[122:123], v[168:169], v[166:167], -v[122:123]
	v_mul_f64 v[168:169], v[168:169], v[124:125]
	v_add_f64 v[114:115], v[114:115], -v[122:123]
	v_fma_f64 v[168:169], v[170:171], v[166:167], v[168:169]
	v_add_f64 v[116:117], v[116:117], -v[168:169]
	ds_read2_b64 v[168:171], v254 offset0:26 offset1:27
	s_waitcnt lgkmcnt(0)
	v_mul_f64 v[122:123], v[170:171], v[124:125]
	v_fma_f64 v[122:123], v[168:169], v[166:167], -v[122:123]
	v_mul_f64 v[168:169], v[168:169], v[124:125]
	v_add_f64 v[110:111], v[110:111], -v[122:123]
	v_fma_f64 v[168:169], v[170:171], v[166:167], v[168:169]
	v_add_f64 v[112:113], v[112:113], -v[168:169]
	ds_read2_b64 v[168:171], v254 offset0:28 offset1:29
	s_waitcnt lgkmcnt(0)
	v_mul_f64 v[122:123], v[170:171], v[124:125]
	v_fma_f64 v[122:123], v[168:169], v[166:167], -v[122:123]
	v_mul_f64 v[168:169], v[168:169], v[124:125]
	v_add_f64 v[106:107], v[106:107], -v[122:123]
	v_fma_f64 v[168:169], v[170:171], v[166:167], v[168:169]
	v_add_f64 v[108:109], v[108:109], -v[168:169]
	ds_read2_b64 v[168:171], v254 offset0:30 offset1:31
	s_waitcnt lgkmcnt(0)
	v_mul_f64 v[122:123], v[170:171], v[124:125]
	v_fma_f64 v[122:123], v[168:169], v[166:167], -v[122:123]
	v_mul_f64 v[168:169], v[168:169], v[124:125]
	v_add_f64 v[102:103], v[102:103], -v[122:123]
	v_fma_f64 v[168:169], v[170:171], v[166:167], v[168:169]
	v_add_f64 v[104:105], v[104:105], -v[168:169]
	ds_read2_b64 v[168:171], v254 offset0:32 offset1:33
	s_waitcnt lgkmcnt(0)
	v_mul_f64 v[122:123], v[170:171], v[124:125]
	v_fma_f64 v[122:123], v[168:169], v[166:167], -v[122:123]
	v_mul_f64 v[168:169], v[168:169], v[124:125]
	v_add_f64 v[98:99], v[98:99], -v[122:123]
	v_fma_f64 v[168:169], v[170:171], v[166:167], v[168:169]
	v_add_f64 v[100:101], v[100:101], -v[168:169]
	ds_read2_b64 v[168:171], v254 offset0:34 offset1:35
	s_waitcnt lgkmcnt(0)
	v_mul_f64 v[122:123], v[170:171], v[124:125]
	v_fma_f64 v[122:123], v[168:169], v[166:167], -v[122:123]
	v_mul_f64 v[168:169], v[168:169], v[124:125]
	v_add_f64 v[94:95], v[94:95], -v[122:123]
	v_fma_f64 v[168:169], v[170:171], v[166:167], v[168:169]
	v_add_f64 v[96:97], v[96:97], -v[168:169]
	ds_read2_b64 v[168:171], v254 offset0:36 offset1:37
	s_waitcnt lgkmcnt(0)
	v_mul_f64 v[122:123], v[170:171], v[124:125]
	v_fma_f64 v[122:123], v[168:169], v[166:167], -v[122:123]
	v_mul_f64 v[168:169], v[168:169], v[124:125]
	v_add_f64 v[90:91], v[90:91], -v[122:123]
	v_fma_f64 v[168:169], v[170:171], v[166:167], v[168:169]
	v_add_f64 v[92:93], v[92:93], -v[168:169]
	ds_read2_b64 v[168:171], v254 offset0:38 offset1:39
	s_waitcnt lgkmcnt(0)
	v_mul_f64 v[122:123], v[170:171], v[124:125]
	v_fma_f64 v[122:123], v[168:169], v[166:167], -v[122:123]
	v_mul_f64 v[168:169], v[168:169], v[124:125]
	v_add_f64 v[86:87], v[86:87], -v[122:123]
	v_fma_f64 v[168:169], v[170:171], v[166:167], v[168:169]
	v_add_f64 v[88:89], v[88:89], -v[168:169]
	ds_read2_b64 v[168:171], v254 offset0:40 offset1:41
	s_waitcnt lgkmcnt(0)
	v_mul_f64 v[122:123], v[170:171], v[124:125]
	v_fma_f64 v[122:123], v[168:169], v[166:167], -v[122:123]
	v_mul_f64 v[168:169], v[168:169], v[124:125]
	v_add_f64 v[82:83], v[82:83], -v[122:123]
	v_fma_f64 v[168:169], v[170:171], v[166:167], v[168:169]
	v_add_f64 v[84:85], v[84:85], -v[168:169]
	ds_read2_b64 v[168:171], v254 offset0:42 offset1:43
	s_waitcnt lgkmcnt(0)
	v_mul_f64 v[122:123], v[170:171], v[124:125]
	v_fma_f64 v[122:123], v[168:169], v[166:167], -v[122:123]
	v_mul_f64 v[168:169], v[168:169], v[124:125]
	v_add_f64 v[78:79], v[78:79], -v[122:123]
	v_fma_f64 v[168:169], v[170:171], v[166:167], v[168:169]
	v_add_f64 v[80:81], v[80:81], -v[168:169]
	ds_read2_b64 v[168:171], v254 offset0:44 offset1:45
	s_waitcnt lgkmcnt(0)
	v_mul_f64 v[122:123], v[170:171], v[124:125]
	v_fma_f64 v[122:123], v[168:169], v[166:167], -v[122:123]
	v_mul_f64 v[168:169], v[168:169], v[124:125]
	v_add_f64 v[74:75], v[74:75], -v[122:123]
	v_fma_f64 v[168:169], v[170:171], v[166:167], v[168:169]
	v_add_f64 v[76:77], v[76:77], -v[168:169]
	ds_read2_b64 v[168:171], v254 offset0:46 offset1:47
	s_waitcnt lgkmcnt(0)
	v_mul_f64 v[122:123], v[170:171], v[124:125]
	v_fma_f64 v[122:123], v[168:169], v[166:167], -v[122:123]
	v_mul_f64 v[168:169], v[168:169], v[124:125]
	v_add_f64 v[70:71], v[70:71], -v[122:123]
	v_fma_f64 v[168:169], v[170:171], v[166:167], v[168:169]
	v_add_f64 v[72:73], v[72:73], -v[168:169]
	ds_read2_b64 v[168:171], v254 offset0:48 offset1:49
	s_waitcnt lgkmcnt(0)
	v_mul_f64 v[122:123], v[170:171], v[124:125]
	v_fma_f64 v[122:123], v[168:169], v[166:167], -v[122:123]
	v_mul_f64 v[168:169], v[168:169], v[124:125]
	v_add_f64 v[66:67], v[66:67], -v[122:123]
	v_fma_f64 v[168:169], v[170:171], v[166:167], v[168:169]
	v_add_f64 v[68:69], v[68:69], -v[168:169]
	ds_read2_b64 v[168:171], v254 offset0:50 offset1:51
	s_waitcnt lgkmcnt(0)
	v_mul_f64 v[122:123], v[170:171], v[124:125]
	v_fma_f64 v[122:123], v[168:169], v[166:167], -v[122:123]
	v_mul_f64 v[168:169], v[168:169], v[124:125]
	v_add_f64 v[62:63], v[62:63], -v[122:123]
	v_fma_f64 v[168:169], v[170:171], v[166:167], v[168:169]
	v_add_f64 v[64:65], v[64:65], -v[168:169]
	ds_read2_b64 v[168:171], v254 offset0:52 offset1:53
	s_waitcnt lgkmcnt(0)
	v_mul_f64 v[122:123], v[170:171], v[124:125]
	v_fma_f64 v[122:123], v[168:169], v[166:167], -v[122:123]
	v_mul_f64 v[168:169], v[168:169], v[124:125]
	v_add_f64 v[58:59], v[58:59], -v[122:123]
	v_fma_f64 v[168:169], v[170:171], v[166:167], v[168:169]
	v_add_f64 v[60:61], v[60:61], -v[168:169]
	ds_read2_b64 v[168:171], v254 offset0:54 offset1:55
	s_waitcnt lgkmcnt(0)
	v_mul_f64 v[122:123], v[170:171], v[124:125]
	v_fma_f64 v[122:123], v[168:169], v[166:167], -v[122:123]
	v_mul_f64 v[168:169], v[168:169], v[124:125]
	v_add_f64 v[54:55], v[54:55], -v[122:123]
	v_fma_f64 v[168:169], v[170:171], v[166:167], v[168:169]
	v_add_f64 v[56:57], v[56:57], -v[168:169]
	ds_read2_b64 v[168:171], v254 offset0:56 offset1:57
	s_waitcnt lgkmcnt(0)
	v_mul_f64 v[122:123], v[170:171], v[124:125]
	v_fma_f64 v[122:123], v[168:169], v[166:167], -v[122:123]
	v_mul_f64 v[168:169], v[168:169], v[124:125]
	v_add_f64 v[50:51], v[50:51], -v[122:123]
	v_fma_f64 v[168:169], v[170:171], v[166:167], v[168:169]
	v_add_f64 v[52:53], v[52:53], -v[168:169]
	ds_read2_b64 v[168:171], v254 offset0:58 offset1:59
	s_waitcnt lgkmcnt(0)
	v_mul_f64 v[122:123], v[170:171], v[124:125]
	v_fma_f64 v[122:123], v[168:169], v[166:167], -v[122:123]
	v_mul_f64 v[168:169], v[168:169], v[124:125]
	v_add_f64 v[46:47], v[46:47], -v[122:123]
	v_fma_f64 v[168:169], v[170:171], v[166:167], v[168:169]
	v_add_f64 v[48:49], v[48:49], -v[168:169]
	ds_read2_b64 v[168:171], v254 offset0:60 offset1:61
	s_waitcnt lgkmcnt(0)
	v_mul_f64 v[122:123], v[170:171], v[124:125]
	v_fma_f64 v[122:123], v[168:169], v[166:167], -v[122:123]
	v_mul_f64 v[168:169], v[168:169], v[124:125]
	v_add_f64 v[42:43], v[42:43], -v[122:123]
	v_fma_f64 v[168:169], v[170:171], v[166:167], v[168:169]
	v_add_f64 v[44:45], v[44:45], -v[168:169]
	ds_read2_b64 v[168:171], v254 offset0:62 offset1:63
	s_waitcnt lgkmcnt(0)
	v_mul_f64 v[122:123], v[170:171], v[124:125]
	v_fma_f64 v[122:123], v[168:169], v[166:167], -v[122:123]
	v_mul_f64 v[168:169], v[168:169], v[124:125]
	v_add_f64 v[38:39], v[38:39], -v[122:123]
	v_fma_f64 v[168:169], v[170:171], v[166:167], v[168:169]
	v_add_f64 v[40:41], v[40:41], -v[168:169]
	ds_read2_b64 v[168:171], v254 offset0:64 offset1:65
	s_waitcnt lgkmcnt(0)
	v_mul_f64 v[122:123], v[170:171], v[124:125]
	v_fma_f64 v[122:123], v[168:169], v[166:167], -v[122:123]
	v_mul_f64 v[168:169], v[168:169], v[124:125]
	v_add_f64 v[34:35], v[34:35], -v[122:123]
	v_fma_f64 v[168:169], v[170:171], v[166:167], v[168:169]
	v_add_f64 v[36:37], v[36:37], -v[168:169]
	ds_read2_b64 v[168:171], v254 offset0:66 offset1:67
	s_waitcnt lgkmcnt(0)
	v_mul_f64 v[122:123], v[170:171], v[124:125]
	v_fma_f64 v[122:123], v[168:169], v[166:167], -v[122:123]
	v_mul_f64 v[168:169], v[168:169], v[124:125]
	v_add_f64 v[30:31], v[30:31], -v[122:123]
	v_fma_f64 v[168:169], v[170:171], v[166:167], v[168:169]
	v_add_f64 v[32:33], v[32:33], -v[168:169]
	ds_read2_b64 v[168:171], v254 offset0:68 offset1:69
	s_waitcnt lgkmcnt(0)
	v_mul_f64 v[122:123], v[170:171], v[124:125]
	v_fma_f64 v[122:123], v[168:169], v[166:167], -v[122:123]
	v_mul_f64 v[168:169], v[168:169], v[124:125]
	v_add_f64 v[26:27], v[26:27], -v[122:123]
	v_fma_f64 v[168:169], v[170:171], v[166:167], v[168:169]
	v_add_f64 v[28:29], v[28:29], -v[168:169]
	ds_read2_b64 v[168:171], v254 offset0:70 offset1:71
	s_waitcnt lgkmcnt(0)
	v_mul_f64 v[122:123], v[170:171], v[124:125]
	v_fma_f64 v[122:123], v[168:169], v[166:167], -v[122:123]
	v_mul_f64 v[168:169], v[168:169], v[124:125]
	v_add_f64 v[22:23], v[22:23], -v[122:123]
	v_fma_f64 v[168:169], v[170:171], v[166:167], v[168:169]
	v_add_f64 v[24:25], v[24:25], -v[168:169]
	ds_read2_b64 v[168:171], v254 offset0:72 offset1:73
	s_waitcnt lgkmcnt(0)
	v_mul_f64 v[122:123], v[170:171], v[124:125]
	v_fma_f64 v[122:123], v[168:169], v[166:167], -v[122:123]
	v_mul_f64 v[168:169], v[168:169], v[124:125]
	v_add_f64 v[18:19], v[18:19], -v[122:123]
	v_fma_f64 v[168:169], v[170:171], v[166:167], v[168:169]
	v_add_f64 v[20:21], v[20:21], -v[168:169]
	ds_read2_b64 v[168:171], v254 offset0:74 offset1:75
	s_waitcnt lgkmcnt(0)
	v_mul_f64 v[122:123], v[170:171], v[124:125]
	v_fma_f64 v[122:123], v[168:169], v[166:167], -v[122:123]
	v_mul_f64 v[168:169], v[168:169], v[124:125]
	v_add_f64 v[14:15], v[14:15], -v[122:123]
	v_fma_f64 v[168:169], v[170:171], v[166:167], v[168:169]
	v_add_f64 v[16:17], v[16:17], -v[168:169]
	ds_read2_b64 v[168:171], v254 offset0:76 offset1:77
	s_waitcnt lgkmcnt(0)
	v_mul_f64 v[122:123], v[170:171], v[124:125]
	v_fma_f64 v[122:123], v[168:169], v[166:167], -v[122:123]
	v_mul_f64 v[168:169], v[168:169], v[124:125]
	v_add_f64 v[10:11], v[10:11], -v[122:123]
	v_fma_f64 v[168:169], v[170:171], v[166:167], v[168:169]
	v_add_f64 v[12:13], v[12:13], -v[168:169]
	ds_read2_b64 v[168:171], v254 offset0:78 offset1:79
	s_waitcnt lgkmcnt(0)
	v_mul_f64 v[122:123], v[170:171], v[124:125]
	v_fma_f64 v[122:123], v[168:169], v[166:167], -v[122:123]
	v_mul_f64 v[168:169], v[168:169], v[124:125]
	v_add_f64 v[6:7], v[6:7], -v[122:123]
	v_fma_f64 v[168:169], v[170:171], v[166:167], v[168:169]
	v_add_f64 v[8:9], v[8:9], -v[168:169]
	ds_read2_b64 v[168:171], v254 offset0:80 offset1:81
	s_waitcnt lgkmcnt(0)
	v_mul_f64 v[122:123], v[170:171], v[124:125]
	v_fma_f64 v[122:123], v[168:169], v[166:167], -v[122:123]
	v_mul_f64 v[168:169], v[168:169], v[124:125]
	v_add_f64 v[2:3], v[2:3], -v[122:123]
	v_fma_f64 v[168:169], v[170:171], v[166:167], v[168:169]
	v_mov_b32_e32 v122, v166
	v_mov_b32_e32 v123, v167
	v_add_f64 v[4:5], v[4:5], -v[168:169]
.LBB81_100:
	s_or_b32 exec_lo, exec_lo, s1
	s_mov_b32 s2, exec_lo
	s_waitcnt_vscnt null, 0x0
	s_barrier
	buffer_gl0_inv
	v_cmpx_eq_u32_e32 11, v0
	s_cbranch_execz .LBB81_107
; %bb.101:
	ds_write2_b64 v1, v[118:119], v[120:121] offset1:1
	ds_write2_b64 v254, v[114:115], v[116:117] offset0:24 offset1:25
	ds_write2_b64 v254, v[110:111], v[112:113] offset0:26 offset1:27
	;; [unrolled: 1-line block ×29, first 2 shown]
	ds_read2_b64 v[166:169], v1 offset1:1
	s_waitcnt lgkmcnt(0)
	v_cmp_neq_f64_e32 vcc_lo, 0, v[166:167]
	v_cmp_neq_f64_e64 s1, 0, v[168:169]
	s_or_b32 s1, vcc_lo, s1
	s_and_b32 exec_lo, exec_lo, s1
	s_cbranch_execz .LBB81_107
; %bb.102:
	v_cmp_ngt_f64_e64 s1, |v[166:167]|, |v[168:169]|
                                        ; implicit-def: $vgpr170_vgpr171
	s_and_saveexec_b32 s3, s1
	s_xor_b32 s1, exec_lo, s3
                                        ; implicit-def: $vgpr172_vgpr173
	s_cbranch_execz .LBB81_104
; %bb.103:
	v_div_scale_f64 v[170:171], null, v[168:169], v[168:169], v[166:167]
	v_div_scale_f64 v[176:177], vcc_lo, v[166:167], v[168:169], v[166:167]
	v_rcp_f64_e32 v[172:173], v[170:171]
	v_fma_f64 v[174:175], -v[170:171], v[172:173], 1.0
	v_fma_f64 v[172:173], v[172:173], v[174:175], v[172:173]
	v_fma_f64 v[174:175], -v[170:171], v[172:173], 1.0
	v_fma_f64 v[172:173], v[172:173], v[174:175], v[172:173]
	v_mul_f64 v[174:175], v[176:177], v[172:173]
	v_fma_f64 v[170:171], -v[170:171], v[174:175], v[176:177]
	v_div_fmas_f64 v[170:171], v[170:171], v[172:173], v[174:175]
	v_div_fixup_f64 v[170:171], v[170:171], v[168:169], v[166:167]
	v_fma_f64 v[166:167], v[166:167], v[170:171], v[168:169]
	v_div_scale_f64 v[168:169], null, v[166:167], v[166:167], 1.0
	v_rcp_f64_e32 v[172:173], v[168:169]
	v_fma_f64 v[174:175], -v[168:169], v[172:173], 1.0
	v_fma_f64 v[172:173], v[172:173], v[174:175], v[172:173]
	v_fma_f64 v[174:175], -v[168:169], v[172:173], 1.0
	v_fma_f64 v[172:173], v[172:173], v[174:175], v[172:173]
	v_div_scale_f64 v[174:175], vcc_lo, 1.0, v[166:167], 1.0
	v_mul_f64 v[176:177], v[174:175], v[172:173]
	v_fma_f64 v[168:169], -v[168:169], v[176:177], v[174:175]
	v_div_fmas_f64 v[168:169], v[168:169], v[172:173], v[176:177]
	v_div_fixup_f64 v[172:173], v[168:169], v[166:167], 1.0
                                        ; implicit-def: $vgpr166_vgpr167
	v_mul_f64 v[170:171], v[170:171], v[172:173]
	v_xor_b32_e32 v173, 0x80000000, v173
.LBB81_104:
	s_andn2_saveexec_b32 s1, s1
	s_cbranch_execz .LBB81_106
; %bb.105:
	v_div_scale_f64 v[170:171], null, v[166:167], v[166:167], v[168:169]
	v_div_scale_f64 v[176:177], vcc_lo, v[168:169], v[166:167], v[168:169]
	v_rcp_f64_e32 v[172:173], v[170:171]
	v_fma_f64 v[174:175], -v[170:171], v[172:173], 1.0
	v_fma_f64 v[172:173], v[172:173], v[174:175], v[172:173]
	v_fma_f64 v[174:175], -v[170:171], v[172:173], 1.0
	v_fma_f64 v[172:173], v[172:173], v[174:175], v[172:173]
	v_mul_f64 v[174:175], v[176:177], v[172:173]
	v_fma_f64 v[170:171], -v[170:171], v[174:175], v[176:177]
	v_div_fmas_f64 v[170:171], v[170:171], v[172:173], v[174:175]
	v_div_fixup_f64 v[172:173], v[170:171], v[166:167], v[168:169]
	v_fma_f64 v[166:167], v[168:169], v[172:173], v[166:167]
	v_div_scale_f64 v[168:169], null, v[166:167], v[166:167], 1.0
	v_rcp_f64_e32 v[170:171], v[168:169]
	v_fma_f64 v[174:175], -v[168:169], v[170:171], 1.0
	v_fma_f64 v[170:171], v[170:171], v[174:175], v[170:171]
	v_fma_f64 v[174:175], -v[168:169], v[170:171], 1.0
	v_fma_f64 v[170:171], v[170:171], v[174:175], v[170:171]
	v_div_scale_f64 v[174:175], vcc_lo, 1.0, v[166:167], 1.0
	v_mul_f64 v[176:177], v[174:175], v[170:171]
	v_fma_f64 v[168:169], -v[168:169], v[176:177], v[174:175]
	v_div_fmas_f64 v[168:169], v[168:169], v[170:171], v[176:177]
	v_div_fixup_f64 v[170:171], v[168:169], v[166:167], 1.0
	v_mul_f64 v[172:173], v[172:173], -v[170:171]
.LBB81_106:
	s_or_b32 exec_lo, exec_lo, s1
	ds_write2_b64 v1, v[170:171], v[172:173] offset1:1
.LBB81_107:
	s_or_b32 exec_lo, exec_lo, s2
	s_waitcnt lgkmcnt(0)
	s_barrier
	buffer_gl0_inv
	ds_read2_b64 v[166:169], v1 offset1:1
	s_mov_b32 s1, exec_lo
	s_waitcnt lgkmcnt(0)
	buffer_store_dword v166, off, s[16:19], 0 offset:464 ; 4-byte Folded Spill
	buffer_store_dword v167, off, s[16:19], 0 offset:468 ; 4-byte Folded Spill
	;; [unrolled: 1-line block ×4, first 2 shown]
	v_cmpx_lt_u32_e32 11, v0
	s_cbranch_execz .LBB81_109
; %bb.108:
	s_clause 0x3
	buffer_load_dword v168, off, s[16:19], 0 offset:464
	buffer_load_dword v169, off, s[16:19], 0 offset:468
	;; [unrolled: 1-line block ×4, first 2 shown]
	s_waitcnt vmcnt(0)
	v_mul_f64 v[166:167], v[170:171], v[120:121]
	v_mul_f64 v[120:121], v[168:169], v[120:121]
	v_fma_f64 v[166:167], v[168:169], v[118:119], -v[166:167]
	v_fma_f64 v[120:121], v[170:171], v[118:119], v[120:121]
	ds_read2_b64 v[168:171], v254 offset0:24 offset1:25
	s_waitcnt lgkmcnt(0)
	v_mul_f64 v[118:119], v[170:171], v[120:121]
	v_fma_f64 v[118:119], v[168:169], v[166:167], -v[118:119]
	v_mul_f64 v[168:169], v[168:169], v[120:121]
	v_add_f64 v[114:115], v[114:115], -v[118:119]
	v_fma_f64 v[168:169], v[170:171], v[166:167], v[168:169]
	v_add_f64 v[116:117], v[116:117], -v[168:169]
	ds_read2_b64 v[168:171], v254 offset0:26 offset1:27
	s_waitcnt lgkmcnt(0)
	v_mul_f64 v[118:119], v[170:171], v[120:121]
	v_fma_f64 v[118:119], v[168:169], v[166:167], -v[118:119]
	v_mul_f64 v[168:169], v[168:169], v[120:121]
	v_add_f64 v[110:111], v[110:111], -v[118:119]
	v_fma_f64 v[168:169], v[170:171], v[166:167], v[168:169]
	v_add_f64 v[112:113], v[112:113], -v[168:169]
	;; [unrolled: 8-line block ×28, first 2 shown]
	ds_read2_b64 v[168:171], v254 offset0:80 offset1:81
	s_waitcnt lgkmcnt(0)
	v_mul_f64 v[118:119], v[170:171], v[120:121]
	v_fma_f64 v[118:119], v[168:169], v[166:167], -v[118:119]
	v_mul_f64 v[168:169], v[168:169], v[120:121]
	v_add_f64 v[2:3], v[2:3], -v[118:119]
	v_fma_f64 v[168:169], v[170:171], v[166:167], v[168:169]
	v_mov_b32_e32 v118, v166
	v_mov_b32_e32 v119, v167
	v_add_f64 v[4:5], v[4:5], -v[168:169]
.LBB81_109:
	s_or_b32 exec_lo, exec_lo, s1
	s_mov_b32 s2, exec_lo
	s_waitcnt_vscnt null, 0x0
	s_barrier
	buffer_gl0_inv
	v_cmpx_eq_u32_e32 12, v0
	s_cbranch_execz .LBB81_116
; %bb.110:
	ds_write2_b64 v1, v[114:115], v[116:117] offset1:1
	ds_write2_b64 v254, v[110:111], v[112:113] offset0:26 offset1:27
	ds_write2_b64 v254, v[106:107], v[108:109] offset0:28 offset1:29
	;; [unrolled: 1-line block ×28, first 2 shown]
	ds_read2_b64 v[166:169], v1 offset1:1
	s_waitcnt lgkmcnt(0)
	v_cmp_neq_f64_e32 vcc_lo, 0, v[166:167]
	v_cmp_neq_f64_e64 s1, 0, v[168:169]
	s_or_b32 s1, vcc_lo, s1
	s_and_b32 exec_lo, exec_lo, s1
	s_cbranch_execz .LBB81_116
; %bb.111:
	v_cmp_ngt_f64_e64 s1, |v[166:167]|, |v[168:169]|
                                        ; implicit-def: $vgpr170_vgpr171
	s_and_saveexec_b32 s3, s1
	s_xor_b32 s1, exec_lo, s3
                                        ; implicit-def: $vgpr172_vgpr173
	s_cbranch_execz .LBB81_113
; %bb.112:
	v_div_scale_f64 v[170:171], null, v[168:169], v[168:169], v[166:167]
	v_div_scale_f64 v[176:177], vcc_lo, v[166:167], v[168:169], v[166:167]
	v_rcp_f64_e32 v[172:173], v[170:171]
	v_fma_f64 v[174:175], -v[170:171], v[172:173], 1.0
	v_fma_f64 v[172:173], v[172:173], v[174:175], v[172:173]
	v_fma_f64 v[174:175], -v[170:171], v[172:173], 1.0
	v_fma_f64 v[172:173], v[172:173], v[174:175], v[172:173]
	v_mul_f64 v[174:175], v[176:177], v[172:173]
	v_fma_f64 v[170:171], -v[170:171], v[174:175], v[176:177]
	v_div_fmas_f64 v[170:171], v[170:171], v[172:173], v[174:175]
	v_div_fixup_f64 v[170:171], v[170:171], v[168:169], v[166:167]
	v_fma_f64 v[166:167], v[166:167], v[170:171], v[168:169]
	v_div_scale_f64 v[168:169], null, v[166:167], v[166:167], 1.0
	v_rcp_f64_e32 v[172:173], v[168:169]
	v_fma_f64 v[174:175], -v[168:169], v[172:173], 1.0
	v_fma_f64 v[172:173], v[172:173], v[174:175], v[172:173]
	v_fma_f64 v[174:175], -v[168:169], v[172:173], 1.0
	v_fma_f64 v[172:173], v[172:173], v[174:175], v[172:173]
	v_div_scale_f64 v[174:175], vcc_lo, 1.0, v[166:167], 1.0
	v_mul_f64 v[176:177], v[174:175], v[172:173]
	v_fma_f64 v[168:169], -v[168:169], v[176:177], v[174:175]
	v_div_fmas_f64 v[168:169], v[168:169], v[172:173], v[176:177]
	v_div_fixup_f64 v[172:173], v[168:169], v[166:167], 1.0
                                        ; implicit-def: $vgpr166_vgpr167
	v_mul_f64 v[170:171], v[170:171], v[172:173]
	v_xor_b32_e32 v173, 0x80000000, v173
.LBB81_113:
	s_andn2_saveexec_b32 s1, s1
	s_cbranch_execz .LBB81_115
; %bb.114:
	v_div_scale_f64 v[170:171], null, v[166:167], v[166:167], v[168:169]
	v_div_scale_f64 v[176:177], vcc_lo, v[168:169], v[166:167], v[168:169]
	v_rcp_f64_e32 v[172:173], v[170:171]
	v_fma_f64 v[174:175], -v[170:171], v[172:173], 1.0
	v_fma_f64 v[172:173], v[172:173], v[174:175], v[172:173]
	v_fma_f64 v[174:175], -v[170:171], v[172:173], 1.0
	v_fma_f64 v[172:173], v[172:173], v[174:175], v[172:173]
	v_mul_f64 v[174:175], v[176:177], v[172:173]
	v_fma_f64 v[170:171], -v[170:171], v[174:175], v[176:177]
	v_div_fmas_f64 v[170:171], v[170:171], v[172:173], v[174:175]
	v_div_fixup_f64 v[172:173], v[170:171], v[166:167], v[168:169]
	v_fma_f64 v[166:167], v[168:169], v[172:173], v[166:167]
	v_div_scale_f64 v[168:169], null, v[166:167], v[166:167], 1.0
	v_rcp_f64_e32 v[170:171], v[168:169]
	v_fma_f64 v[174:175], -v[168:169], v[170:171], 1.0
	v_fma_f64 v[170:171], v[170:171], v[174:175], v[170:171]
	v_fma_f64 v[174:175], -v[168:169], v[170:171], 1.0
	v_fma_f64 v[170:171], v[170:171], v[174:175], v[170:171]
	v_div_scale_f64 v[174:175], vcc_lo, 1.0, v[166:167], 1.0
	v_mul_f64 v[176:177], v[174:175], v[170:171]
	v_fma_f64 v[168:169], -v[168:169], v[176:177], v[174:175]
	v_div_fmas_f64 v[168:169], v[168:169], v[170:171], v[176:177]
	v_div_fixup_f64 v[170:171], v[168:169], v[166:167], 1.0
	v_mul_f64 v[172:173], v[172:173], -v[170:171]
.LBB81_115:
	s_or_b32 exec_lo, exec_lo, s1
	ds_write2_b64 v1, v[170:171], v[172:173] offset1:1
.LBB81_116:
	s_or_b32 exec_lo, exec_lo, s2
	s_waitcnt lgkmcnt(0)
	s_barrier
	buffer_gl0_inv
	ds_read2_b64 v[166:169], v1 offset1:1
	s_mov_b32 s1, exec_lo
	s_waitcnt lgkmcnt(0)
	buffer_store_dword v166, off, s[16:19], 0 offset:480 ; 4-byte Folded Spill
	buffer_store_dword v167, off, s[16:19], 0 offset:484 ; 4-byte Folded Spill
	;; [unrolled: 1-line block ×4, first 2 shown]
	v_cmpx_lt_u32_e32 12, v0
	s_cbranch_execz .LBB81_118
; %bb.117:
	s_clause 0x3
	buffer_load_dword v168, off, s[16:19], 0 offset:480
	buffer_load_dword v169, off, s[16:19], 0 offset:484
	;; [unrolled: 1-line block ×4, first 2 shown]
	s_waitcnt vmcnt(0)
	v_mul_f64 v[166:167], v[170:171], v[116:117]
	v_mul_f64 v[116:117], v[168:169], v[116:117]
	v_fma_f64 v[166:167], v[168:169], v[114:115], -v[166:167]
	v_fma_f64 v[116:117], v[170:171], v[114:115], v[116:117]
	ds_read2_b64 v[168:171], v254 offset0:26 offset1:27
	s_waitcnt lgkmcnt(0)
	v_mul_f64 v[114:115], v[170:171], v[116:117]
	v_fma_f64 v[114:115], v[168:169], v[166:167], -v[114:115]
	v_mul_f64 v[168:169], v[168:169], v[116:117]
	v_add_f64 v[110:111], v[110:111], -v[114:115]
	v_fma_f64 v[168:169], v[170:171], v[166:167], v[168:169]
	v_add_f64 v[112:113], v[112:113], -v[168:169]
	ds_read2_b64 v[168:171], v254 offset0:28 offset1:29
	s_waitcnt lgkmcnt(0)
	v_mul_f64 v[114:115], v[170:171], v[116:117]
	v_fma_f64 v[114:115], v[168:169], v[166:167], -v[114:115]
	v_mul_f64 v[168:169], v[168:169], v[116:117]
	v_add_f64 v[106:107], v[106:107], -v[114:115]
	v_fma_f64 v[168:169], v[170:171], v[166:167], v[168:169]
	v_add_f64 v[108:109], v[108:109], -v[168:169]
	;; [unrolled: 8-line block ×27, first 2 shown]
	ds_read2_b64 v[168:171], v254 offset0:80 offset1:81
	s_waitcnt lgkmcnt(0)
	v_mul_f64 v[114:115], v[170:171], v[116:117]
	v_fma_f64 v[114:115], v[168:169], v[166:167], -v[114:115]
	v_mul_f64 v[168:169], v[168:169], v[116:117]
	v_add_f64 v[2:3], v[2:3], -v[114:115]
	v_fma_f64 v[168:169], v[170:171], v[166:167], v[168:169]
	v_mov_b32_e32 v114, v166
	v_mov_b32_e32 v115, v167
	v_add_f64 v[4:5], v[4:5], -v[168:169]
.LBB81_118:
	s_or_b32 exec_lo, exec_lo, s1
	s_mov_b32 s2, exec_lo
	s_waitcnt_vscnt null, 0x0
	s_barrier
	buffer_gl0_inv
	v_cmpx_eq_u32_e32 13, v0
	s_cbranch_execz .LBB81_125
; %bb.119:
	ds_write2_b64 v1, v[110:111], v[112:113] offset1:1
	ds_write2_b64 v254, v[106:107], v[108:109] offset0:28 offset1:29
	ds_write2_b64 v254, v[102:103], v[104:105] offset0:30 offset1:31
	ds_write2_b64 v254, v[98:99], v[100:101] offset0:32 offset1:33
	ds_write2_b64 v254, v[94:95], v[96:97] offset0:34 offset1:35
	ds_write2_b64 v254, v[90:91], v[92:93] offset0:36 offset1:37
	ds_write2_b64 v254, v[86:87], v[88:89] offset0:38 offset1:39
	ds_write2_b64 v254, v[82:83], v[84:85] offset0:40 offset1:41
	ds_write2_b64 v254, v[78:79], v[80:81] offset0:42 offset1:43
	ds_write2_b64 v254, v[74:75], v[76:77] offset0:44 offset1:45
	ds_write2_b64 v254, v[70:71], v[72:73] offset0:46 offset1:47
	ds_write2_b64 v254, v[66:67], v[68:69] offset0:48 offset1:49
	ds_write2_b64 v254, v[62:63], v[64:65] offset0:50 offset1:51
	ds_write2_b64 v254, v[58:59], v[60:61] offset0:52 offset1:53
	ds_write2_b64 v254, v[54:55], v[56:57] offset0:54 offset1:55
	ds_write2_b64 v254, v[50:51], v[52:53] offset0:56 offset1:57
	ds_write2_b64 v254, v[46:47], v[48:49] offset0:58 offset1:59
	ds_write2_b64 v254, v[42:43], v[44:45] offset0:60 offset1:61
	ds_write2_b64 v254, v[38:39], v[40:41] offset0:62 offset1:63
	ds_write2_b64 v254, v[34:35], v[36:37] offset0:64 offset1:65
	ds_write2_b64 v254, v[30:31], v[32:33] offset0:66 offset1:67
	ds_write2_b64 v254, v[26:27], v[28:29] offset0:68 offset1:69
	ds_write2_b64 v254, v[22:23], v[24:25] offset0:70 offset1:71
	ds_write2_b64 v254, v[18:19], v[20:21] offset0:72 offset1:73
	ds_write2_b64 v254, v[14:15], v[16:17] offset0:74 offset1:75
	ds_write2_b64 v254, v[10:11], v[12:13] offset0:76 offset1:77
	ds_write2_b64 v254, v[6:7], v[8:9] offset0:78 offset1:79
	ds_write2_b64 v254, v[2:3], v[4:5] offset0:80 offset1:81
	ds_read2_b64 v[166:169], v1 offset1:1
	s_waitcnt lgkmcnt(0)
	v_cmp_neq_f64_e32 vcc_lo, 0, v[166:167]
	v_cmp_neq_f64_e64 s1, 0, v[168:169]
	s_or_b32 s1, vcc_lo, s1
	s_and_b32 exec_lo, exec_lo, s1
	s_cbranch_execz .LBB81_125
; %bb.120:
	v_cmp_ngt_f64_e64 s1, |v[166:167]|, |v[168:169]|
                                        ; implicit-def: $vgpr170_vgpr171
	s_and_saveexec_b32 s3, s1
	s_xor_b32 s1, exec_lo, s3
                                        ; implicit-def: $vgpr172_vgpr173
	s_cbranch_execz .LBB81_122
; %bb.121:
	v_div_scale_f64 v[170:171], null, v[168:169], v[168:169], v[166:167]
	v_div_scale_f64 v[176:177], vcc_lo, v[166:167], v[168:169], v[166:167]
	v_rcp_f64_e32 v[172:173], v[170:171]
	v_fma_f64 v[174:175], -v[170:171], v[172:173], 1.0
	v_fma_f64 v[172:173], v[172:173], v[174:175], v[172:173]
	v_fma_f64 v[174:175], -v[170:171], v[172:173], 1.0
	v_fma_f64 v[172:173], v[172:173], v[174:175], v[172:173]
	v_mul_f64 v[174:175], v[176:177], v[172:173]
	v_fma_f64 v[170:171], -v[170:171], v[174:175], v[176:177]
	v_div_fmas_f64 v[170:171], v[170:171], v[172:173], v[174:175]
	v_div_fixup_f64 v[170:171], v[170:171], v[168:169], v[166:167]
	v_fma_f64 v[166:167], v[166:167], v[170:171], v[168:169]
	v_div_scale_f64 v[168:169], null, v[166:167], v[166:167], 1.0
	v_rcp_f64_e32 v[172:173], v[168:169]
	v_fma_f64 v[174:175], -v[168:169], v[172:173], 1.0
	v_fma_f64 v[172:173], v[172:173], v[174:175], v[172:173]
	v_fma_f64 v[174:175], -v[168:169], v[172:173], 1.0
	v_fma_f64 v[172:173], v[172:173], v[174:175], v[172:173]
	v_div_scale_f64 v[174:175], vcc_lo, 1.0, v[166:167], 1.0
	v_mul_f64 v[176:177], v[174:175], v[172:173]
	v_fma_f64 v[168:169], -v[168:169], v[176:177], v[174:175]
	v_div_fmas_f64 v[168:169], v[168:169], v[172:173], v[176:177]
	v_div_fixup_f64 v[172:173], v[168:169], v[166:167], 1.0
                                        ; implicit-def: $vgpr166_vgpr167
	v_mul_f64 v[170:171], v[170:171], v[172:173]
	v_xor_b32_e32 v173, 0x80000000, v173
.LBB81_122:
	s_andn2_saveexec_b32 s1, s1
	s_cbranch_execz .LBB81_124
; %bb.123:
	v_div_scale_f64 v[170:171], null, v[166:167], v[166:167], v[168:169]
	v_div_scale_f64 v[176:177], vcc_lo, v[168:169], v[166:167], v[168:169]
	v_rcp_f64_e32 v[172:173], v[170:171]
	v_fma_f64 v[174:175], -v[170:171], v[172:173], 1.0
	v_fma_f64 v[172:173], v[172:173], v[174:175], v[172:173]
	v_fma_f64 v[174:175], -v[170:171], v[172:173], 1.0
	v_fma_f64 v[172:173], v[172:173], v[174:175], v[172:173]
	v_mul_f64 v[174:175], v[176:177], v[172:173]
	v_fma_f64 v[170:171], -v[170:171], v[174:175], v[176:177]
	v_div_fmas_f64 v[170:171], v[170:171], v[172:173], v[174:175]
	v_div_fixup_f64 v[172:173], v[170:171], v[166:167], v[168:169]
	v_fma_f64 v[166:167], v[168:169], v[172:173], v[166:167]
	v_div_scale_f64 v[168:169], null, v[166:167], v[166:167], 1.0
	v_rcp_f64_e32 v[170:171], v[168:169]
	v_fma_f64 v[174:175], -v[168:169], v[170:171], 1.0
	v_fma_f64 v[170:171], v[170:171], v[174:175], v[170:171]
	v_fma_f64 v[174:175], -v[168:169], v[170:171], 1.0
	v_fma_f64 v[170:171], v[170:171], v[174:175], v[170:171]
	v_div_scale_f64 v[174:175], vcc_lo, 1.0, v[166:167], 1.0
	v_mul_f64 v[176:177], v[174:175], v[170:171]
	v_fma_f64 v[168:169], -v[168:169], v[176:177], v[174:175]
	v_div_fmas_f64 v[168:169], v[168:169], v[170:171], v[176:177]
	v_div_fixup_f64 v[170:171], v[168:169], v[166:167], 1.0
	v_mul_f64 v[172:173], v[172:173], -v[170:171]
.LBB81_124:
	s_or_b32 exec_lo, exec_lo, s1
	ds_write2_b64 v1, v[170:171], v[172:173] offset1:1
.LBB81_125:
	s_or_b32 exec_lo, exec_lo, s2
	s_waitcnt lgkmcnt(0)
	s_barrier
	buffer_gl0_inv
	ds_read2_b64 v[166:169], v1 offset1:1
	s_mov_b32 s1, exec_lo
	s_waitcnt lgkmcnt(0)
	buffer_store_dword v166, off, s[16:19], 0 offset:496 ; 4-byte Folded Spill
	buffer_store_dword v167, off, s[16:19], 0 offset:500 ; 4-byte Folded Spill
	;; [unrolled: 1-line block ×4, first 2 shown]
	v_cmpx_lt_u32_e32 13, v0
	s_cbranch_execz .LBB81_127
; %bb.126:
	s_clause 0x3
	buffer_load_dword v168, off, s[16:19], 0 offset:496
	buffer_load_dword v169, off, s[16:19], 0 offset:500
	buffer_load_dword v170, off, s[16:19], 0 offset:504
	buffer_load_dword v171, off, s[16:19], 0 offset:508
	s_waitcnt vmcnt(0)
	v_mul_f64 v[166:167], v[170:171], v[112:113]
	v_mul_f64 v[112:113], v[168:169], v[112:113]
	v_fma_f64 v[166:167], v[168:169], v[110:111], -v[166:167]
	v_fma_f64 v[112:113], v[170:171], v[110:111], v[112:113]
	ds_read2_b64 v[168:171], v254 offset0:28 offset1:29
	s_waitcnt lgkmcnt(0)
	v_mul_f64 v[110:111], v[170:171], v[112:113]
	v_fma_f64 v[110:111], v[168:169], v[166:167], -v[110:111]
	v_mul_f64 v[168:169], v[168:169], v[112:113]
	v_add_f64 v[106:107], v[106:107], -v[110:111]
	v_fma_f64 v[168:169], v[170:171], v[166:167], v[168:169]
	v_add_f64 v[108:109], v[108:109], -v[168:169]
	ds_read2_b64 v[168:171], v254 offset0:30 offset1:31
	s_waitcnt lgkmcnt(0)
	v_mul_f64 v[110:111], v[170:171], v[112:113]
	v_fma_f64 v[110:111], v[168:169], v[166:167], -v[110:111]
	v_mul_f64 v[168:169], v[168:169], v[112:113]
	v_add_f64 v[102:103], v[102:103], -v[110:111]
	v_fma_f64 v[168:169], v[170:171], v[166:167], v[168:169]
	v_add_f64 v[104:105], v[104:105], -v[168:169]
	;; [unrolled: 8-line block ×26, first 2 shown]
	ds_read2_b64 v[168:171], v254 offset0:80 offset1:81
	s_waitcnt lgkmcnt(0)
	v_mul_f64 v[110:111], v[170:171], v[112:113]
	v_fma_f64 v[110:111], v[168:169], v[166:167], -v[110:111]
	v_mul_f64 v[168:169], v[168:169], v[112:113]
	v_add_f64 v[2:3], v[2:3], -v[110:111]
	v_fma_f64 v[168:169], v[170:171], v[166:167], v[168:169]
	v_mov_b32_e32 v110, v166
	v_mov_b32_e32 v111, v167
	v_add_f64 v[4:5], v[4:5], -v[168:169]
.LBB81_127:
	s_or_b32 exec_lo, exec_lo, s1
	s_mov_b32 s2, exec_lo
	s_waitcnt_vscnt null, 0x0
	s_barrier
	buffer_gl0_inv
	v_cmpx_eq_u32_e32 14, v0
	s_cbranch_execz .LBB81_134
; %bb.128:
	ds_write2_b64 v1, v[106:107], v[108:109] offset1:1
	ds_write2_b64 v254, v[102:103], v[104:105] offset0:30 offset1:31
	ds_write2_b64 v254, v[98:99], v[100:101] offset0:32 offset1:33
	;; [unrolled: 1-line block ×26, first 2 shown]
	ds_read2_b64 v[166:169], v1 offset1:1
	s_waitcnt lgkmcnt(0)
	v_cmp_neq_f64_e32 vcc_lo, 0, v[166:167]
	v_cmp_neq_f64_e64 s1, 0, v[168:169]
	s_or_b32 s1, vcc_lo, s1
	s_and_b32 exec_lo, exec_lo, s1
	s_cbranch_execz .LBB81_134
; %bb.129:
	v_cmp_ngt_f64_e64 s1, |v[166:167]|, |v[168:169]|
                                        ; implicit-def: $vgpr170_vgpr171
	s_and_saveexec_b32 s3, s1
	s_xor_b32 s1, exec_lo, s3
                                        ; implicit-def: $vgpr172_vgpr173
	s_cbranch_execz .LBB81_131
; %bb.130:
	v_div_scale_f64 v[170:171], null, v[168:169], v[168:169], v[166:167]
	v_div_scale_f64 v[176:177], vcc_lo, v[166:167], v[168:169], v[166:167]
	v_rcp_f64_e32 v[172:173], v[170:171]
	v_fma_f64 v[174:175], -v[170:171], v[172:173], 1.0
	v_fma_f64 v[172:173], v[172:173], v[174:175], v[172:173]
	v_fma_f64 v[174:175], -v[170:171], v[172:173], 1.0
	v_fma_f64 v[172:173], v[172:173], v[174:175], v[172:173]
	v_mul_f64 v[174:175], v[176:177], v[172:173]
	v_fma_f64 v[170:171], -v[170:171], v[174:175], v[176:177]
	v_div_fmas_f64 v[170:171], v[170:171], v[172:173], v[174:175]
	v_div_fixup_f64 v[170:171], v[170:171], v[168:169], v[166:167]
	v_fma_f64 v[166:167], v[166:167], v[170:171], v[168:169]
	v_div_scale_f64 v[168:169], null, v[166:167], v[166:167], 1.0
	v_rcp_f64_e32 v[172:173], v[168:169]
	v_fma_f64 v[174:175], -v[168:169], v[172:173], 1.0
	v_fma_f64 v[172:173], v[172:173], v[174:175], v[172:173]
	v_fma_f64 v[174:175], -v[168:169], v[172:173], 1.0
	v_fma_f64 v[172:173], v[172:173], v[174:175], v[172:173]
	v_div_scale_f64 v[174:175], vcc_lo, 1.0, v[166:167], 1.0
	v_mul_f64 v[176:177], v[174:175], v[172:173]
	v_fma_f64 v[168:169], -v[168:169], v[176:177], v[174:175]
	v_div_fmas_f64 v[168:169], v[168:169], v[172:173], v[176:177]
	v_div_fixup_f64 v[172:173], v[168:169], v[166:167], 1.0
                                        ; implicit-def: $vgpr166_vgpr167
	v_mul_f64 v[170:171], v[170:171], v[172:173]
	v_xor_b32_e32 v173, 0x80000000, v173
.LBB81_131:
	s_andn2_saveexec_b32 s1, s1
	s_cbranch_execz .LBB81_133
; %bb.132:
	v_div_scale_f64 v[170:171], null, v[166:167], v[166:167], v[168:169]
	v_div_scale_f64 v[176:177], vcc_lo, v[168:169], v[166:167], v[168:169]
	v_rcp_f64_e32 v[172:173], v[170:171]
	v_fma_f64 v[174:175], -v[170:171], v[172:173], 1.0
	v_fma_f64 v[172:173], v[172:173], v[174:175], v[172:173]
	v_fma_f64 v[174:175], -v[170:171], v[172:173], 1.0
	v_fma_f64 v[172:173], v[172:173], v[174:175], v[172:173]
	v_mul_f64 v[174:175], v[176:177], v[172:173]
	v_fma_f64 v[170:171], -v[170:171], v[174:175], v[176:177]
	v_div_fmas_f64 v[170:171], v[170:171], v[172:173], v[174:175]
	v_div_fixup_f64 v[172:173], v[170:171], v[166:167], v[168:169]
	v_fma_f64 v[166:167], v[168:169], v[172:173], v[166:167]
	v_div_scale_f64 v[168:169], null, v[166:167], v[166:167], 1.0
	v_rcp_f64_e32 v[170:171], v[168:169]
	v_fma_f64 v[174:175], -v[168:169], v[170:171], 1.0
	v_fma_f64 v[170:171], v[170:171], v[174:175], v[170:171]
	v_fma_f64 v[174:175], -v[168:169], v[170:171], 1.0
	v_fma_f64 v[170:171], v[170:171], v[174:175], v[170:171]
	v_div_scale_f64 v[174:175], vcc_lo, 1.0, v[166:167], 1.0
	v_mul_f64 v[176:177], v[174:175], v[170:171]
	v_fma_f64 v[168:169], -v[168:169], v[176:177], v[174:175]
	v_div_fmas_f64 v[168:169], v[168:169], v[170:171], v[176:177]
	v_div_fixup_f64 v[170:171], v[168:169], v[166:167], 1.0
	v_mul_f64 v[172:173], v[172:173], -v[170:171]
.LBB81_133:
	s_or_b32 exec_lo, exec_lo, s1
	ds_write2_b64 v1, v[170:171], v[172:173] offset1:1
.LBB81_134:
	s_or_b32 exec_lo, exec_lo, s2
	s_waitcnt lgkmcnt(0)
	s_barrier
	buffer_gl0_inv
	ds_read2_b64 v[166:169], v1 offset1:1
	s_mov_b32 s1, exec_lo
	s_waitcnt lgkmcnt(0)
	buffer_store_dword v166, off, s[16:19], 0 offset:512 ; 4-byte Folded Spill
	buffer_store_dword v167, off, s[16:19], 0 offset:516 ; 4-byte Folded Spill
	;; [unrolled: 1-line block ×4, first 2 shown]
	v_cmpx_lt_u32_e32 14, v0
	s_cbranch_execz .LBB81_136
; %bb.135:
	s_clause 0x3
	buffer_load_dword v168, off, s[16:19], 0 offset:512
	buffer_load_dword v169, off, s[16:19], 0 offset:516
	;; [unrolled: 1-line block ×4, first 2 shown]
	s_waitcnt vmcnt(0)
	v_mul_f64 v[166:167], v[170:171], v[108:109]
	v_mul_f64 v[108:109], v[168:169], v[108:109]
	v_fma_f64 v[166:167], v[168:169], v[106:107], -v[166:167]
	v_fma_f64 v[108:109], v[170:171], v[106:107], v[108:109]
	ds_read2_b64 v[168:171], v254 offset0:30 offset1:31
	s_waitcnt lgkmcnt(0)
	v_mul_f64 v[106:107], v[170:171], v[108:109]
	v_fma_f64 v[106:107], v[168:169], v[166:167], -v[106:107]
	v_mul_f64 v[168:169], v[168:169], v[108:109]
	v_add_f64 v[102:103], v[102:103], -v[106:107]
	v_fma_f64 v[168:169], v[170:171], v[166:167], v[168:169]
	v_add_f64 v[104:105], v[104:105], -v[168:169]
	ds_read2_b64 v[168:171], v254 offset0:32 offset1:33
	s_waitcnt lgkmcnt(0)
	v_mul_f64 v[106:107], v[170:171], v[108:109]
	v_fma_f64 v[106:107], v[168:169], v[166:167], -v[106:107]
	v_mul_f64 v[168:169], v[168:169], v[108:109]
	v_add_f64 v[98:99], v[98:99], -v[106:107]
	v_fma_f64 v[168:169], v[170:171], v[166:167], v[168:169]
	v_add_f64 v[100:101], v[100:101], -v[168:169]
	ds_read2_b64 v[168:171], v254 offset0:34 offset1:35
	s_waitcnt lgkmcnt(0)
	v_mul_f64 v[106:107], v[170:171], v[108:109]
	v_fma_f64 v[106:107], v[168:169], v[166:167], -v[106:107]
	v_mul_f64 v[168:169], v[168:169], v[108:109]
	v_add_f64 v[94:95], v[94:95], -v[106:107]
	v_fma_f64 v[168:169], v[170:171], v[166:167], v[168:169]
	v_add_f64 v[96:97], v[96:97], -v[168:169]
	ds_read2_b64 v[168:171], v254 offset0:36 offset1:37
	s_waitcnt lgkmcnt(0)
	v_mul_f64 v[106:107], v[170:171], v[108:109]
	v_fma_f64 v[106:107], v[168:169], v[166:167], -v[106:107]
	v_mul_f64 v[168:169], v[168:169], v[108:109]
	v_add_f64 v[90:91], v[90:91], -v[106:107]
	v_fma_f64 v[168:169], v[170:171], v[166:167], v[168:169]
	v_add_f64 v[92:93], v[92:93], -v[168:169]
	ds_read2_b64 v[168:171], v254 offset0:38 offset1:39
	s_waitcnt lgkmcnt(0)
	v_mul_f64 v[106:107], v[170:171], v[108:109]
	v_fma_f64 v[106:107], v[168:169], v[166:167], -v[106:107]
	v_mul_f64 v[168:169], v[168:169], v[108:109]
	v_add_f64 v[86:87], v[86:87], -v[106:107]
	v_fma_f64 v[168:169], v[170:171], v[166:167], v[168:169]
	v_add_f64 v[88:89], v[88:89], -v[168:169]
	ds_read2_b64 v[168:171], v254 offset0:40 offset1:41
	s_waitcnt lgkmcnt(0)
	v_mul_f64 v[106:107], v[170:171], v[108:109]
	v_fma_f64 v[106:107], v[168:169], v[166:167], -v[106:107]
	v_mul_f64 v[168:169], v[168:169], v[108:109]
	v_add_f64 v[82:83], v[82:83], -v[106:107]
	v_fma_f64 v[168:169], v[170:171], v[166:167], v[168:169]
	v_add_f64 v[84:85], v[84:85], -v[168:169]
	ds_read2_b64 v[168:171], v254 offset0:42 offset1:43
	s_waitcnt lgkmcnt(0)
	v_mul_f64 v[106:107], v[170:171], v[108:109]
	v_fma_f64 v[106:107], v[168:169], v[166:167], -v[106:107]
	v_mul_f64 v[168:169], v[168:169], v[108:109]
	v_add_f64 v[78:79], v[78:79], -v[106:107]
	v_fma_f64 v[168:169], v[170:171], v[166:167], v[168:169]
	v_add_f64 v[80:81], v[80:81], -v[168:169]
	ds_read2_b64 v[168:171], v254 offset0:44 offset1:45
	s_waitcnt lgkmcnt(0)
	v_mul_f64 v[106:107], v[170:171], v[108:109]
	v_fma_f64 v[106:107], v[168:169], v[166:167], -v[106:107]
	v_mul_f64 v[168:169], v[168:169], v[108:109]
	v_add_f64 v[74:75], v[74:75], -v[106:107]
	v_fma_f64 v[168:169], v[170:171], v[166:167], v[168:169]
	v_add_f64 v[76:77], v[76:77], -v[168:169]
	ds_read2_b64 v[168:171], v254 offset0:46 offset1:47
	s_waitcnt lgkmcnt(0)
	v_mul_f64 v[106:107], v[170:171], v[108:109]
	v_fma_f64 v[106:107], v[168:169], v[166:167], -v[106:107]
	v_mul_f64 v[168:169], v[168:169], v[108:109]
	v_add_f64 v[70:71], v[70:71], -v[106:107]
	v_fma_f64 v[168:169], v[170:171], v[166:167], v[168:169]
	v_add_f64 v[72:73], v[72:73], -v[168:169]
	ds_read2_b64 v[168:171], v254 offset0:48 offset1:49
	s_waitcnt lgkmcnt(0)
	v_mul_f64 v[106:107], v[170:171], v[108:109]
	v_fma_f64 v[106:107], v[168:169], v[166:167], -v[106:107]
	v_mul_f64 v[168:169], v[168:169], v[108:109]
	v_add_f64 v[66:67], v[66:67], -v[106:107]
	v_fma_f64 v[168:169], v[170:171], v[166:167], v[168:169]
	v_add_f64 v[68:69], v[68:69], -v[168:169]
	ds_read2_b64 v[168:171], v254 offset0:50 offset1:51
	s_waitcnt lgkmcnt(0)
	v_mul_f64 v[106:107], v[170:171], v[108:109]
	v_fma_f64 v[106:107], v[168:169], v[166:167], -v[106:107]
	v_mul_f64 v[168:169], v[168:169], v[108:109]
	v_add_f64 v[62:63], v[62:63], -v[106:107]
	v_fma_f64 v[168:169], v[170:171], v[166:167], v[168:169]
	v_add_f64 v[64:65], v[64:65], -v[168:169]
	ds_read2_b64 v[168:171], v254 offset0:52 offset1:53
	s_waitcnt lgkmcnt(0)
	v_mul_f64 v[106:107], v[170:171], v[108:109]
	v_fma_f64 v[106:107], v[168:169], v[166:167], -v[106:107]
	v_mul_f64 v[168:169], v[168:169], v[108:109]
	v_add_f64 v[58:59], v[58:59], -v[106:107]
	v_fma_f64 v[168:169], v[170:171], v[166:167], v[168:169]
	v_add_f64 v[60:61], v[60:61], -v[168:169]
	ds_read2_b64 v[168:171], v254 offset0:54 offset1:55
	s_waitcnt lgkmcnt(0)
	v_mul_f64 v[106:107], v[170:171], v[108:109]
	v_fma_f64 v[106:107], v[168:169], v[166:167], -v[106:107]
	v_mul_f64 v[168:169], v[168:169], v[108:109]
	v_add_f64 v[54:55], v[54:55], -v[106:107]
	v_fma_f64 v[168:169], v[170:171], v[166:167], v[168:169]
	v_add_f64 v[56:57], v[56:57], -v[168:169]
	ds_read2_b64 v[168:171], v254 offset0:56 offset1:57
	s_waitcnt lgkmcnt(0)
	v_mul_f64 v[106:107], v[170:171], v[108:109]
	v_fma_f64 v[106:107], v[168:169], v[166:167], -v[106:107]
	v_mul_f64 v[168:169], v[168:169], v[108:109]
	v_add_f64 v[50:51], v[50:51], -v[106:107]
	v_fma_f64 v[168:169], v[170:171], v[166:167], v[168:169]
	v_add_f64 v[52:53], v[52:53], -v[168:169]
	ds_read2_b64 v[168:171], v254 offset0:58 offset1:59
	s_waitcnt lgkmcnt(0)
	v_mul_f64 v[106:107], v[170:171], v[108:109]
	v_fma_f64 v[106:107], v[168:169], v[166:167], -v[106:107]
	v_mul_f64 v[168:169], v[168:169], v[108:109]
	v_add_f64 v[46:47], v[46:47], -v[106:107]
	v_fma_f64 v[168:169], v[170:171], v[166:167], v[168:169]
	v_add_f64 v[48:49], v[48:49], -v[168:169]
	ds_read2_b64 v[168:171], v254 offset0:60 offset1:61
	s_waitcnt lgkmcnt(0)
	v_mul_f64 v[106:107], v[170:171], v[108:109]
	v_fma_f64 v[106:107], v[168:169], v[166:167], -v[106:107]
	v_mul_f64 v[168:169], v[168:169], v[108:109]
	v_add_f64 v[42:43], v[42:43], -v[106:107]
	v_fma_f64 v[168:169], v[170:171], v[166:167], v[168:169]
	v_add_f64 v[44:45], v[44:45], -v[168:169]
	ds_read2_b64 v[168:171], v254 offset0:62 offset1:63
	s_waitcnt lgkmcnt(0)
	v_mul_f64 v[106:107], v[170:171], v[108:109]
	v_fma_f64 v[106:107], v[168:169], v[166:167], -v[106:107]
	v_mul_f64 v[168:169], v[168:169], v[108:109]
	v_add_f64 v[38:39], v[38:39], -v[106:107]
	v_fma_f64 v[168:169], v[170:171], v[166:167], v[168:169]
	v_add_f64 v[40:41], v[40:41], -v[168:169]
	ds_read2_b64 v[168:171], v254 offset0:64 offset1:65
	s_waitcnt lgkmcnt(0)
	v_mul_f64 v[106:107], v[170:171], v[108:109]
	v_fma_f64 v[106:107], v[168:169], v[166:167], -v[106:107]
	v_mul_f64 v[168:169], v[168:169], v[108:109]
	v_add_f64 v[34:35], v[34:35], -v[106:107]
	v_fma_f64 v[168:169], v[170:171], v[166:167], v[168:169]
	v_add_f64 v[36:37], v[36:37], -v[168:169]
	ds_read2_b64 v[168:171], v254 offset0:66 offset1:67
	s_waitcnt lgkmcnt(0)
	v_mul_f64 v[106:107], v[170:171], v[108:109]
	v_fma_f64 v[106:107], v[168:169], v[166:167], -v[106:107]
	v_mul_f64 v[168:169], v[168:169], v[108:109]
	v_add_f64 v[30:31], v[30:31], -v[106:107]
	v_fma_f64 v[168:169], v[170:171], v[166:167], v[168:169]
	v_add_f64 v[32:33], v[32:33], -v[168:169]
	ds_read2_b64 v[168:171], v254 offset0:68 offset1:69
	s_waitcnt lgkmcnt(0)
	v_mul_f64 v[106:107], v[170:171], v[108:109]
	v_fma_f64 v[106:107], v[168:169], v[166:167], -v[106:107]
	v_mul_f64 v[168:169], v[168:169], v[108:109]
	v_add_f64 v[26:27], v[26:27], -v[106:107]
	v_fma_f64 v[168:169], v[170:171], v[166:167], v[168:169]
	v_add_f64 v[28:29], v[28:29], -v[168:169]
	ds_read2_b64 v[168:171], v254 offset0:70 offset1:71
	s_waitcnt lgkmcnt(0)
	v_mul_f64 v[106:107], v[170:171], v[108:109]
	v_fma_f64 v[106:107], v[168:169], v[166:167], -v[106:107]
	v_mul_f64 v[168:169], v[168:169], v[108:109]
	v_add_f64 v[22:23], v[22:23], -v[106:107]
	v_fma_f64 v[168:169], v[170:171], v[166:167], v[168:169]
	v_add_f64 v[24:25], v[24:25], -v[168:169]
	ds_read2_b64 v[168:171], v254 offset0:72 offset1:73
	s_waitcnt lgkmcnt(0)
	v_mul_f64 v[106:107], v[170:171], v[108:109]
	v_fma_f64 v[106:107], v[168:169], v[166:167], -v[106:107]
	v_mul_f64 v[168:169], v[168:169], v[108:109]
	v_add_f64 v[18:19], v[18:19], -v[106:107]
	v_fma_f64 v[168:169], v[170:171], v[166:167], v[168:169]
	v_add_f64 v[20:21], v[20:21], -v[168:169]
	ds_read2_b64 v[168:171], v254 offset0:74 offset1:75
	s_waitcnt lgkmcnt(0)
	v_mul_f64 v[106:107], v[170:171], v[108:109]
	v_fma_f64 v[106:107], v[168:169], v[166:167], -v[106:107]
	v_mul_f64 v[168:169], v[168:169], v[108:109]
	v_add_f64 v[14:15], v[14:15], -v[106:107]
	v_fma_f64 v[168:169], v[170:171], v[166:167], v[168:169]
	v_add_f64 v[16:17], v[16:17], -v[168:169]
	ds_read2_b64 v[168:171], v254 offset0:76 offset1:77
	s_waitcnt lgkmcnt(0)
	v_mul_f64 v[106:107], v[170:171], v[108:109]
	v_fma_f64 v[106:107], v[168:169], v[166:167], -v[106:107]
	v_mul_f64 v[168:169], v[168:169], v[108:109]
	v_add_f64 v[10:11], v[10:11], -v[106:107]
	v_fma_f64 v[168:169], v[170:171], v[166:167], v[168:169]
	v_add_f64 v[12:13], v[12:13], -v[168:169]
	ds_read2_b64 v[168:171], v254 offset0:78 offset1:79
	s_waitcnt lgkmcnt(0)
	v_mul_f64 v[106:107], v[170:171], v[108:109]
	v_fma_f64 v[106:107], v[168:169], v[166:167], -v[106:107]
	v_mul_f64 v[168:169], v[168:169], v[108:109]
	v_add_f64 v[6:7], v[6:7], -v[106:107]
	v_fma_f64 v[168:169], v[170:171], v[166:167], v[168:169]
	v_add_f64 v[8:9], v[8:9], -v[168:169]
	ds_read2_b64 v[168:171], v254 offset0:80 offset1:81
	s_waitcnt lgkmcnt(0)
	v_mul_f64 v[106:107], v[170:171], v[108:109]
	v_fma_f64 v[106:107], v[168:169], v[166:167], -v[106:107]
	v_mul_f64 v[168:169], v[168:169], v[108:109]
	v_add_f64 v[2:3], v[2:3], -v[106:107]
	v_fma_f64 v[168:169], v[170:171], v[166:167], v[168:169]
	v_mov_b32_e32 v106, v166
	v_mov_b32_e32 v107, v167
	v_add_f64 v[4:5], v[4:5], -v[168:169]
.LBB81_136:
	s_or_b32 exec_lo, exec_lo, s1
	s_mov_b32 s2, exec_lo
	s_waitcnt_vscnt null, 0x0
	s_barrier
	buffer_gl0_inv
	v_cmpx_eq_u32_e32 15, v0
	s_cbranch_execz .LBB81_143
; %bb.137:
	ds_write2_b64 v1, v[102:103], v[104:105] offset1:1
	ds_write2_b64 v254, v[98:99], v[100:101] offset0:32 offset1:33
	ds_write2_b64 v254, v[94:95], v[96:97] offset0:34 offset1:35
	;; [unrolled: 1-line block ×25, first 2 shown]
	ds_read2_b64 v[166:169], v1 offset1:1
	s_waitcnt lgkmcnt(0)
	v_cmp_neq_f64_e32 vcc_lo, 0, v[166:167]
	v_cmp_neq_f64_e64 s1, 0, v[168:169]
	s_or_b32 s1, vcc_lo, s1
	s_and_b32 exec_lo, exec_lo, s1
	s_cbranch_execz .LBB81_143
; %bb.138:
	v_cmp_ngt_f64_e64 s1, |v[166:167]|, |v[168:169]|
                                        ; implicit-def: $vgpr170_vgpr171
	s_and_saveexec_b32 s3, s1
	s_xor_b32 s1, exec_lo, s3
                                        ; implicit-def: $vgpr172_vgpr173
	s_cbranch_execz .LBB81_140
; %bb.139:
	v_div_scale_f64 v[170:171], null, v[168:169], v[168:169], v[166:167]
	v_div_scale_f64 v[176:177], vcc_lo, v[166:167], v[168:169], v[166:167]
	v_rcp_f64_e32 v[172:173], v[170:171]
	v_fma_f64 v[174:175], -v[170:171], v[172:173], 1.0
	v_fma_f64 v[172:173], v[172:173], v[174:175], v[172:173]
	v_fma_f64 v[174:175], -v[170:171], v[172:173], 1.0
	v_fma_f64 v[172:173], v[172:173], v[174:175], v[172:173]
	v_mul_f64 v[174:175], v[176:177], v[172:173]
	v_fma_f64 v[170:171], -v[170:171], v[174:175], v[176:177]
	v_div_fmas_f64 v[170:171], v[170:171], v[172:173], v[174:175]
	v_div_fixup_f64 v[170:171], v[170:171], v[168:169], v[166:167]
	v_fma_f64 v[166:167], v[166:167], v[170:171], v[168:169]
	v_div_scale_f64 v[168:169], null, v[166:167], v[166:167], 1.0
	v_rcp_f64_e32 v[172:173], v[168:169]
	v_fma_f64 v[174:175], -v[168:169], v[172:173], 1.0
	v_fma_f64 v[172:173], v[172:173], v[174:175], v[172:173]
	v_fma_f64 v[174:175], -v[168:169], v[172:173], 1.0
	v_fma_f64 v[172:173], v[172:173], v[174:175], v[172:173]
	v_div_scale_f64 v[174:175], vcc_lo, 1.0, v[166:167], 1.0
	v_mul_f64 v[176:177], v[174:175], v[172:173]
	v_fma_f64 v[168:169], -v[168:169], v[176:177], v[174:175]
	v_div_fmas_f64 v[168:169], v[168:169], v[172:173], v[176:177]
	v_div_fixup_f64 v[172:173], v[168:169], v[166:167], 1.0
                                        ; implicit-def: $vgpr166_vgpr167
	v_mul_f64 v[170:171], v[170:171], v[172:173]
	v_xor_b32_e32 v173, 0x80000000, v173
.LBB81_140:
	s_andn2_saveexec_b32 s1, s1
	s_cbranch_execz .LBB81_142
; %bb.141:
	v_div_scale_f64 v[170:171], null, v[166:167], v[166:167], v[168:169]
	v_div_scale_f64 v[176:177], vcc_lo, v[168:169], v[166:167], v[168:169]
	v_rcp_f64_e32 v[172:173], v[170:171]
	v_fma_f64 v[174:175], -v[170:171], v[172:173], 1.0
	v_fma_f64 v[172:173], v[172:173], v[174:175], v[172:173]
	v_fma_f64 v[174:175], -v[170:171], v[172:173], 1.0
	v_fma_f64 v[172:173], v[172:173], v[174:175], v[172:173]
	v_mul_f64 v[174:175], v[176:177], v[172:173]
	v_fma_f64 v[170:171], -v[170:171], v[174:175], v[176:177]
	v_div_fmas_f64 v[170:171], v[170:171], v[172:173], v[174:175]
	v_div_fixup_f64 v[172:173], v[170:171], v[166:167], v[168:169]
	v_fma_f64 v[166:167], v[168:169], v[172:173], v[166:167]
	v_div_scale_f64 v[168:169], null, v[166:167], v[166:167], 1.0
	v_rcp_f64_e32 v[170:171], v[168:169]
	v_fma_f64 v[174:175], -v[168:169], v[170:171], 1.0
	v_fma_f64 v[170:171], v[170:171], v[174:175], v[170:171]
	v_fma_f64 v[174:175], -v[168:169], v[170:171], 1.0
	v_fma_f64 v[170:171], v[170:171], v[174:175], v[170:171]
	v_div_scale_f64 v[174:175], vcc_lo, 1.0, v[166:167], 1.0
	v_mul_f64 v[176:177], v[174:175], v[170:171]
	v_fma_f64 v[168:169], -v[168:169], v[176:177], v[174:175]
	v_div_fmas_f64 v[168:169], v[168:169], v[170:171], v[176:177]
	v_div_fixup_f64 v[170:171], v[168:169], v[166:167], 1.0
	v_mul_f64 v[172:173], v[172:173], -v[170:171]
.LBB81_142:
	s_or_b32 exec_lo, exec_lo, s1
	ds_write2_b64 v1, v[170:171], v[172:173] offset1:1
.LBB81_143:
	s_or_b32 exec_lo, exec_lo, s2
	s_waitcnt lgkmcnt(0)
	s_barrier
	buffer_gl0_inv
	ds_read2_b64 v[166:169], v1 offset1:1
	s_mov_b32 s1, exec_lo
	s_waitcnt lgkmcnt(0)
	buffer_store_dword v166, off, s[16:19], 0 offset:528 ; 4-byte Folded Spill
	buffer_store_dword v167, off, s[16:19], 0 offset:532 ; 4-byte Folded Spill
	;; [unrolled: 1-line block ×4, first 2 shown]
	v_cmpx_lt_u32_e32 15, v0
	s_cbranch_execz .LBB81_145
; %bb.144:
	s_clause 0x3
	buffer_load_dword v168, off, s[16:19], 0 offset:528
	buffer_load_dword v169, off, s[16:19], 0 offset:532
	;; [unrolled: 1-line block ×4, first 2 shown]
	s_waitcnt vmcnt(0)
	v_mul_f64 v[166:167], v[170:171], v[104:105]
	v_mul_f64 v[104:105], v[168:169], v[104:105]
	v_fma_f64 v[166:167], v[168:169], v[102:103], -v[166:167]
	v_fma_f64 v[104:105], v[170:171], v[102:103], v[104:105]
	ds_read2_b64 v[168:171], v254 offset0:32 offset1:33
	s_waitcnt lgkmcnt(0)
	v_mul_f64 v[102:103], v[170:171], v[104:105]
	v_fma_f64 v[102:103], v[168:169], v[166:167], -v[102:103]
	v_mul_f64 v[168:169], v[168:169], v[104:105]
	v_add_f64 v[98:99], v[98:99], -v[102:103]
	v_fma_f64 v[168:169], v[170:171], v[166:167], v[168:169]
	v_add_f64 v[100:101], v[100:101], -v[168:169]
	ds_read2_b64 v[168:171], v254 offset0:34 offset1:35
	s_waitcnt lgkmcnt(0)
	v_mul_f64 v[102:103], v[170:171], v[104:105]
	v_fma_f64 v[102:103], v[168:169], v[166:167], -v[102:103]
	v_mul_f64 v[168:169], v[168:169], v[104:105]
	v_add_f64 v[94:95], v[94:95], -v[102:103]
	v_fma_f64 v[168:169], v[170:171], v[166:167], v[168:169]
	v_add_f64 v[96:97], v[96:97], -v[168:169]
	;; [unrolled: 8-line block ×24, first 2 shown]
	ds_read2_b64 v[168:171], v254 offset0:80 offset1:81
	s_waitcnt lgkmcnt(0)
	v_mul_f64 v[102:103], v[170:171], v[104:105]
	v_fma_f64 v[102:103], v[168:169], v[166:167], -v[102:103]
	v_mul_f64 v[168:169], v[168:169], v[104:105]
	v_add_f64 v[2:3], v[2:3], -v[102:103]
	v_fma_f64 v[168:169], v[170:171], v[166:167], v[168:169]
	v_mov_b32_e32 v102, v166
	v_mov_b32_e32 v103, v167
	v_add_f64 v[4:5], v[4:5], -v[168:169]
.LBB81_145:
	s_or_b32 exec_lo, exec_lo, s1
	s_mov_b32 s2, exec_lo
	s_waitcnt_vscnt null, 0x0
	s_barrier
	buffer_gl0_inv
	v_cmpx_eq_u32_e32 16, v0
	s_cbranch_execz .LBB81_152
; %bb.146:
	ds_write2_b64 v1, v[98:99], v[100:101] offset1:1
	ds_write2_b64 v254, v[94:95], v[96:97] offset0:34 offset1:35
	ds_write2_b64 v254, v[90:91], v[92:93] offset0:36 offset1:37
	;; [unrolled: 1-line block ×24, first 2 shown]
	ds_read2_b64 v[166:169], v1 offset1:1
	s_waitcnt lgkmcnt(0)
	v_cmp_neq_f64_e32 vcc_lo, 0, v[166:167]
	v_cmp_neq_f64_e64 s1, 0, v[168:169]
	s_or_b32 s1, vcc_lo, s1
	s_and_b32 exec_lo, exec_lo, s1
	s_cbranch_execz .LBB81_152
; %bb.147:
	v_cmp_ngt_f64_e64 s1, |v[166:167]|, |v[168:169]|
                                        ; implicit-def: $vgpr170_vgpr171
	s_and_saveexec_b32 s3, s1
	s_xor_b32 s1, exec_lo, s3
                                        ; implicit-def: $vgpr172_vgpr173
	s_cbranch_execz .LBB81_149
; %bb.148:
	v_div_scale_f64 v[170:171], null, v[168:169], v[168:169], v[166:167]
	v_div_scale_f64 v[176:177], vcc_lo, v[166:167], v[168:169], v[166:167]
	v_rcp_f64_e32 v[172:173], v[170:171]
	v_fma_f64 v[174:175], -v[170:171], v[172:173], 1.0
	v_fma_f64 v[172:173], v[172:173], v[174:175], v[172:173]
	v_fma_f64 v[174:175], -v[170:171], v[172:173], 1.0
	v_fma_f64 v[172:173], v[172:173], v[174:175], v[172:173]
	v_mul_f64 v[174:175], v[176:177], v[172:173]
	v_fma_f64 v[170:171], -v[170:171], v[174:175], v[176:177]
	v_div_fmas_f64 v[170:171], v[170:171], v[172:173], v[174:175]
	v_div_fixup_f64 v[170:171], v[170:171], v[168:169], v[166:167]
	v_fma_f64 v[166:167], v[166:167], v[170:171], v[168:169]
	v_div_scale_f64 v[168:169], null, v[166:167], v[166:167], 1.0
	v_rcp_f64_e32 v[172:173], v[168:169]
	v_fma_f64 v[174:175], -v[168:169], v[172:173], 1.0
	v_fma_f64 v[172:173], v[172:173], v[174:175], v[172:173]
	v_fma_f64 v[174:175], -v[168:169], v[172:173], 1.0
	v_fma_f64 v[172:173], v[172:173], v[174:175], v[172:173]
	v_div_scale_f64 v[174:175], vcc_lo, 1.0, v[166:167], 1.0
	v_mul_f64 v[176:177], v[174:175], v[172:173]
	v_fma_f64 v[168:169], -v[168:169], v[176:177], v[174:175]
	v_div_fmas_f64 v[168:169], v[168:169], v[172:173], v[176:177]
	v_div_fixup_f64 v[172:173], v[168:169], v[166:167], 1.0
                                        ; implicit-def: $vgpr166_vgpr167
	v_mul_f64 v[170:171], v[170:171], v[172:173]
	v_xor_b32_e32 v173, 0x80000000, v173
.LBB81_149:
	s_andn2_saveexec_b32 s1, s1
	s_cbranch_execz .LBB81_151
; %bb.150:
	v_div_scale_f64 v[170:171], null, v[166:167], v[166:167], v[168:169]
	v_div_scale_f64 v[176:177], vcc_lo, v[168:169], v[166:167], v[168:169]
	v_rcp_f64_e32 v[172:173], v[170:171]
	v_fma_f64 v[174:175], -v[170:171], v[172:173], 1.0
	v_fma_f64 v[172:173], v[172:173], v[174:175], v[172:173]
	v_fma_f64 v[174:175], -v[170:171], v[172:173], 1.0
	v_fma_f64 v[172:173], v[172:173], v[174:175], v[172:173]
	v_mul_f64 v[174:175], v[176:177], v[172:173]
	v_fma_f64 v[170:171], -v[170:171], v[174:175], v[176:177]
	v_div_fmas_f64 v[170:171], v[170:171], v[172:173], v[174:175]
	v_div_fixup_f64 v[172:173], v[170:171], v[166:167], v[168:169]
	v_fma_f64 v[166:167], v[168:169], v[172:173], v[166:167]
	v_div_scale_f64 v[168:169], null, v[166:167], v[166:167], 1.0
	v_rcp_f64_e32 v[170:171], v[168:169]
	v_fma_f64 v[174:175], -v[168:169], v[170:171], 1.0
	v_fma_f64 v[170:171], v[170:171], v[174:175], v[170:171]
	v_fma_f64 v[174:175], -v[168:169], v[170:171], 1.0
	v_fma_f64 v[170:171], v[170:171], v[174:175], v[170:171]
	v_div_scale_f64 v[174:175], vcc_lo, 1.0, v[166:167], 1.0
	v_mul_f64 v[176:177], v[174:175], v[170:171]
	v_fma_f64 v[168:169], -v[168:169], v[176:177], v[174:175]
	v_div_fmas_f64 v[168:169], v[168:169], v[170:171], v[176:177]
	v_div_fixup_f64 v[170:171], v[168:169], v[166:167], 1.0
	v_mul_f64 v[172:173], v[172:173], -v[170:171]
.LBB81_151:
	s_or_b32 exec_lo, exec_lo, s1
	ds_write2_b64 v1, v[170:171], v[172:173] offset1:1
.LBB81_152:
	s_or_b32 exec_lo, exec_lo, s2
	s_waitcnt lgkmcnt(0)
	s_barrier
	buffer_gl0_inv
	ds_read2_b64 v[166:169], v1 offset1:1
	s_mov_b32 s1, exec_lo
	s_waitcnt lgkmcnt(0)
	buffer_store_dword v166, off, s[16:19], 0 offset:544 ; 4-byte Folded Spill
	buffer_store_dword v167, off, s[16:19], 0 offset:548 ; 4-byte Folded Spill
	;; [unrolled: 1-line block ×4, first 2 shown]
	v_cmpx_lt_u32_e32 16, v0
	s_cbranch_execz .LBB81_154
; %bb.153:
	s_clause 0x3
	buffer_load_dword v168, off, s[16:19], 0 offset:544
	buffer_load_dword v169, off, s[16:19], 0 offset:548
	;; [unrolled: 1-line block ×4, first 2 shown]
	s_waitcnt vmcnt(0)
	v_mul_f64 v[166:167], v[170:171], v[100:101]
	v_mul_f64 v[100:101], v[168:169], v[100:101]
	v_fma_f64 v[166:167], v[168:169], v[98:99], -v[166:167]
	v_fma_f64 v[100:101], v[170:171], v[98:99], v[100:101]
	ds_read2_b64 v[168:171], v254 offset0:34 offset1:35
	s_waitcnt lgkmcnt(0)
	v_mul_f64 v[98:99], v[170:171], v[100:101]
	v_fma_f64 v[98:99], v[168:169], v[166:167], -v[98:99]
	v_mul_f64 v[168:169], v[168:169], v[100:101]
	v_add_f64 v[94:95], v[94:95], -v[98:99]
	v_fma_f64 v[168:169], v[170:171], v[166:167], v[168:169]
	v_add_f64 v[96:97], v[96:97], -v[168:169]
	ds_read2_b64 v[168:171], v254 offset0:36 offset1:37
	s_waitcnt lgkmcnt(0)
	v_mul_f64 v[98:99], v[170:171], v[100:101]
	v_fma_f64 v[98:99], v[168:169], v[166:167], -v[98:99]
	v_mul_f64 v[168:169], v[168:169], v[100:101]
	v_add_f64 v[90:91], v[90:91], -v[98:99]
	v_fma_f64 v[168:169], v[170:171], v[166:167], v[168:169]
	v_add_f64 v[92:93], v[92:93], -v[168:169]
	;; [unrolled: 8-line block ×23, first 2 shown]
	ds_read2_b64 v[168:171], v254 offset0:80 offset1:81
	s_waitcnt lgkmcnt(0)
	v_mul_f64 v[98:99], v[170:171], v[100:101]
	v_fma_f64 v[98:99], v[168:169], v[166:167], -v[98:99]
	v_mul_f64 v[168:169], v[168:169], v[100:101]
	v_add_f64 v[2:3], v[2:3], -v[98:99]
	v_fma_f64 v[168:169], v[170:171], v[166:167], v[168:169]
	v_mov_b32_e32 v98, v166
	v_mov_b32_e32 v99, v167
	v_add_f64 v[4:5], v[4:5], -v[168:169]
.LBB81_154:
	s_or_b32 exec_lo, exec_lo, s1
	s_mov_b32 s2, exec_lo
	s_waitcnt_vscnt null, 0x0
	s_barrier
	buffer_gl0_inv
	v_cmpx_eq_u32_e32 17, v0
	s_cbranch_execz .LBB81_161
; %bb.155:
	ds_write2_b64 v1, v[94:95], v[96:97] offset1:1
	ds_write2_b64 v254, v[90:91], v[92:93] offset0:36 offset1:37
	ds_write2_b64 v254, v[86:87], v[88:89] offset0:38 offset1:39
	;; [unrolled: 1-line block ×23, first 2 shown]
	ds_read2_b64 v[166:169], v1 offset1:1
	s_waitcnt lgkmcnt(0)
	v_cmp_neq_f64_e32 vcc_lo, 0, v[166:167]
	v_cmp_neq_f64_e64 s1, 0, v[168:169]
	s_or_b32 s1, vcc_lo, s1
	s_and_b32 exec_lo, exec_lo, s1
	s_cbranch_execz .LBB81_161
; %bb.156:
	v_cmp_ngt_f64_e64 s1, |v[166:167]|, |v[168:169]|
                                        ; implicit-def: $vgpr170_vgpr171
	s_and_saveexec_b32 s3, s1
	s_xor_b32 s1, exec_lo, s3
                                        ; implicit-def: $vgpr172_vgpr173
	s_cbranch_execz .LBB81_158
; %bb.157:
	v_div_scale_f64 v[170:171], null, v[168:169], v[168:169], v[166:167]
	v_div_scale_f64 v[176:177], vcc_lo, v[166:167], v[168:169], v[166:167]
	v_rcp_f64_e32 v[172:173], v[170:171]
	v_fma_f64 v[174:175], -v[170:171], v[172:173], 1.0
	v_fma_f64 v[172:173], v[172:173], v[174:175], v[172:173]
	v_fma_f64 v[174:175], -v[170:171], v[172:173], 1.0
	v_fma_f64 v[172:173], v[172:173], v[174:175], v[172:173]
	v_mul_f64 v[174:175], v[176:177], v[172:173]
	v_fma_f64 v[170:171], -v[170:171], v[174:175], v[176:177]
	v_div_fmas_f64 v[170:171], v[170:171], v[172:173], v[174:175]
	v_div_fixup_f64 v[170:171], v[170:171], v[168:169], v[166:167]
	v_fma_f64 v[166:167], v[166:167], v[170:171], v[168:169]
	v_div_scale_f64 v[168:169], null, v[166:167], v[166:167], 1.0
	v_rcp_f64_e32 v[172:173], v[168:169]
	v_fma_f64 v[174:175], -v[168:169], v[172:173], 1.0
	v_fma_f64 v[172:173], v[172:173], v[174:175], v[172:173]
	v_fma_f64 v[174:175], -v[168:169], v[172:173], 1.0
	v_fma_f64 v[172:173], v[172:173], v[174:175], v[172:173]
	v_div_scale_f64 v[174:175], vcc_lo, 1.0, v[166:167], 1.0
	v_mul_f64 v[176:177], v[174:175], v[172:173]
	v_fma_f64 v[168:169], -v[168:169], v[176:177], v[174:175]
	v_div_fmas_f64 v[168:169], v[168:169], v[172:173], v[176:177]
	v_div_fixup_f64 v[172:173], v[168:169], v[166:167], 1.0
                                        ; implicit-def: $vgpr166_vgpr167
	v_mul_f64 v[170:171], v[170:171], v[172:173]
	v_xor_b32_e32 v173, 0x80000000, v173
.LBB81_158:
	s_andn2_saveexec_b32 s1, s1
	s_cbranch_execz .LBB81_160
; %bb.159:
	v_div_scale_f64 v[170:171], null, v[166:167], v[166:167], v[168:169]
	v_div_scale_f64 v[176:177], vcc_lo, v[168:169], v[166:167], v[168:169]
	v_rcp_f64_e32 v[172:173], v[170:171]
	v_fma_f64 v[174:175], -v[170:171], v[172:173], 1.0
	v_fma_f64 v[172:173], v[172:173], v[174:175], v[172:173]
	v_fma_f64 v[174:175], -v[170:171], v[172:173], 1.0
	v_fma_f64 v[172:173], v[172:173], v[174:175], v[172:173]
	v_mul_f64 v[174:175], v[176:177], v[172:173]
	v_fma_f64 v[170:171], -v[170:171], v[174:175], v[176:177]
	v_div_fmas_f64 v[170:171], v[170:171], v[172:173], v[174:175]
	v_div_fixup_f64 v[172:173], v[170:171], v[166:167], v[168:169]
	v_fma_f64 v[166:167], v[168:169], v[172:173], v[166:167]
	v_div_scale_f64 v[168:169], null, v[166:167], v[166:167], 1.0
	v_rcp_f64_e32 v[170:171], v[168:169]
	v_fma_f64 v[174:175], -v[168:169], v[170:171], 1.0
	v_fma_f64 v[170:171], v[170:171], v[174:175], v[170:171]
	v_fma_f64 v[174:175], -v[168:169], v[170:171], 1.0
	v_fma_f64 v[170:171], v[170:171], v[174:175], v[170:171]
	v_div_scale_f64 v[174:175], vcc_lo, 1.0, v[166:167], 1.0
	v_mul_f64 v[176:177], v[174:175], v[170:171]
	v_fma_f64 v[168:169], -v[168:169], v[176:177], v[174:175]
	v_div_fmas_f64 v[168:169], v[168:169], v[170:171], v[176:177]
	v_div_fixup_f64 v[170:171], v[168:169], v[166:167], 1.0
	v_mul_f64 v[172:173], v[172:173], -v[170:171]
.LBB81_160:
	s_or_b32 exec_lo, exec_lo, s1
	ds_write2_b64 v1, v[170:171], v[172:173] offset1:1
.LBB81_161:
	s_or_b32 exec_lo, exec_lo, s2
	s_waitcnt lgkmcnt(0)
	s_barrier
	buffer_gl0_inv
	ds_read2_b64 v[166:169], v1 offset1:1
	s_mov_b32 s1, exec_lo
	s_waitcnt lgkmcnt(0)
	buffer_store_dword v166, off, s[16:19], 0 offset:560 ; 4-byte Folded Spill
	buffer_store_dword v167, off, s[16:19], 0 offset:564 ; 4-byte Folded Spill
	;; [unrolled: 1-line block ×4, first 2 shown]
	v_cmpx_lt_u32_e32 17, v0
	s_cbranch_execz .LBB81_163
; %bb.162:
	s_clause 0x3
	buffer_load_dword v168, off, s[16:19], 0 offset:560
	buffer_load_dword v169, off, s[16:19], 0 offset:564
	;; [unrolled: 1-line block ×4, first 2 shown]
	s_waitcnt vmcnt(0)
	v_mul_f64 v[166:167], v[170:171], v[96:97]
	v_mul_f64 v[96:97], v[168:169], v[96:97]
	v_fma_f64 v[166:167], v[168:169], v[94:95], -v[166:167]
	v_fma_f64 v[96:97], v[170:171], v[94:95], v[96:97]
	ds_read2_b64 v[168:171], v254 offset0:36 offset1:37
	s_waitcnt lgkmcnt(0)
	v_mul_f64 v[94:95], v[170:171], v[96:97]
	v_fma_f64 v[94:95], v[168:169], v[166:167], -v[94:95]
	v_mul_f64 v[168:169], v[168:169], v[96:97]
	v_add_f64 v[90:91], v[90:91], -v[94:95]
	v_fma_f64 v[168:169], v[170:171], v[166:167], v[168:169]
	v_add_f64 v[92:93], v[92:93], -v[168:169]
	ds_read2_b64 v[168:171], v254 offset0:38 offset1:39
	s_waitcnt lgkmcnt(0)
	v_mul_f64 v[94:95], v[170:171], v[96:97]
	v_fma_f64 v[94:95], v[168:169], v[166:167], -v[94:95]
	v_mul_f64 v[168:169], v[168:169], v[96:97]
	v_add_f64 v[86:87], v[86:87], -v[94:95]
	v_fma_f64 v[168:169], v[170:171], v[166:167], v[168:169]
	v_add_f64 v[88:89], v[88:89], -v[168:169]
	;; [unrolled: 8-line block ×22, first 2 shown]
	ds_read2_b64 v[168:171], v254 offset0:80 offset1:81
	s_waitcnt lgkmcnt(0)
	v_mul_f64 v[94:95], v[170:171], v[96:97]
	v_fma_f64 v[94:95], v[168:169], v[166:167], -v[94:95]
	v_mul_f64 v[168:169], v[168:169], v[96:97]
	v_add_f64 v[2:3], v[2:3], -v[94:95]
	v_fma_f64 v[168:169], v[170:171], v[166:167], v[168:169]
	v_mov_b32_e32 v94, v166
	v_mov_b32_e32 v95, v167
	v_add_f64 v[4:5], v[4:5], -v[168:169]
.LBB81_163:
	s_or_b32 exec_lo, exec_lo, s1
	s_mov_b32 s2, exec_lo
	s_waitcnt_vscnt null, 0x0
	s_barrier
	buffer_gl0_inv
	v_cmpx_eq_u32_e32 18, v0
	s_cbranch_execz .LBB81_170
; %bb.164:
	ds_write2_b64 v1, v[90:91], v[92:93] offset1:1
	ds_write2_b64 v254, v[86:87], v[88:89] offset0:38 offset1:39
	ds_write2_b64 v254, v[82:83], v[84:85] offset0:40 offset1:41
	;; [unrolled: 1-line block ×22, first 2 shown]
	ds_read2_b64 v[166:169], v1 offset1:1
	s_waitcnt lgkmcnt(0)
	v_cmp_neq_f64_e32 vcc_lo, 0, v[166:167]
	v_cmp_neq_f64_e64 s1, 0, v[168:169]
	s_or_b32 s1, vcc_lo, s1
	s_and_b32 exec_lo, exec_lo, s1
	s_cbranch_execz .LBB81_170
; %bb.165:
	v_cmp_ngt_f64_e64 s1, |v[166:167]|, |v[168:169]|
                                        ; implicit-def: $vgpr170_vgpr171
	s_and_saveexec_b32 s3, s1
	s_xor_b32 s1, exec_lo, s3
                                        ; implicit-def: $vgpr172_vgpr173
	s_cbranch_execz .LBB81_167
; %bb.166:
	v_div_scale_f64 v[170:171], null, v[168:169], v[168:169], v[166:167]
	v_div_scale_f64 v[176:177], vcc_lo, v[166:167], v[168:169], v[166:167]
	v_rcp_f64_e32 v[172:173], v[170:171]
	v_fma_f64 v[174:175], -v[170:171], v[172:173], 1.0
	v_fma_f64 v[172:173], v[172:173], v[174:175], v[172:173]
	v_fma_f64 v[174:175], -v[170:171], v[172:173], 1.0
	v_fma_f64 v[172:173], v[172:173], v[174:175], v[172:173]
	v_mul_f64 v[174:175], v[176:177], v[172:173]
	v_fma_f64 v[170:171], -v[170:171], v[174:175], v[176:177]
	v_div_fmas_f64 v[170:171], v[170:171], v[172:173], v[174:175]
	v_div_fixup_f64 v[170:171], v[170:171], v[168:169], v[166:167]
	v_fma_f64 v[166:167], v[166:167], v[170:171], v[168:169]
	v_div_scale_f64 v[168:169], null, v[166:167], v[166:167], 1.0
	v_rcp_f64_e32 v[172:173], v[168:169]
	v_fma_f64 v[174:175], -v[168:169], v[172:173], 1.0
	v_fma_f64 v[172:173], v[172:173], v[174:175], v[172:173]
	v_fma_f64 v[174:175], -v[168:169], v[172:173], 1.0
	v_fma_f64 v[172:173], v[172:173], v[174:175], v[172:173]
	v_div_scale_f64 v[174:175], vcc_lo, 1.0, v[166:167], 1.0
	v_mul_f64 v[176:177], v[174:175], v[172:173]
	v_fma_f64 v[168:169], -v[168:169], v[176:177], v[174:175]
	v_div_fmas_f64 v[168:169], v[168:169], v[172:173], v[176:177]
	v_div_fixup_f64 v[172:173], v[168:169], v[166:167], 1.0
                                        ; implicit-def: $vgpr166_vgpr167
	v_mul_f64 v[170:171], v[170:171], v[172:173]
	v_xor_b32_e32 v173, 0x80000000, v173
.LBB81_167:
	s_andn2_saveexec_b32 s1, s1
	s_cbranch_execz .LBB81_169
; %bb.168:
	v_div_scale_f64 v[170:171], null, v[166:167], v[166:167], v[168:169]
	v_div_scale_f64 v[176:177], vcc_lo, v[168:169], v[166:167], v[168:169]
	v_rcp_f64_e32 v[172:173], v[170:171]
	v_fma_f64 v[174:175], -v[170:171], v[172:173], 1.0
	v_fma_f64 v[172:173], v[172:173], v[174:175], v[172:173]
	v_fma_f64 v[174:175], -v[170:171], v[172:173], 1.0
	v_fma_f64 v[172:173], v[172:173], v[174:175], v[172:173]
	v_mul_f64 v[174:175], v[176:177], v[172:173]
	v_fma_f64 v[170:171], -v[170:171], v[174:175], v[176:177]
	v_div_fmas_f64 v[170:171], v[170:171], v[172:173], v[174:175]
	v_div_fixup_f64 v[172:173], v[170:171], v[166:167], v[168:169]
	v_fma_f64 v[166:167], v[168:169], v[172:173], v[166:167]
	v_div_scale_f64 v[168:169], null, v[166:167], v[166:167], 1.0
	v_rcp_f64_e32 v[170:171], v[168:169]
	v_fma_f64 v[174:175], -v[168:169], v[170:171], 1.0
	v_fma_f64 v[170:171], v[170:171], v[174:175], v[170:171]
	v_fma_f64 v[174:175], -v[168:169], v[170:171], 1.0
	v_fma_f64 v[170:171], v[170:171], v[174:175], v[170:171]
	v_div_scale_f64 v[174:175], vcc_lo, 1.0, v[166:167], 1.0
	v_mul_f64 v[176:177], v[174:175], v[170:171]
	v_fma_f64 v[168:169], -v[168:169], v[176:177], v[174:175]
	v_div_fmas_f64 v[168:169], v[168:169], v[170:171], v[176:177]
	v_div_fixup_f64 v[170:171], v[168:169], v[166:167], 1.0
	v_mul_f64 v[172:173], v[172:173], -v[170:171]
.LBB81_169:
	s_or_b32 exec_lo, exec_lo, s1
	ds_write2_b64 v1, v[170:171], v[172:173] offset1:1
.LBB81_170:
	s_or_b32 exec_lo, exec_lo, s2
	s_waitcnt lgkmcnt(0)
	s_barrier
	buffer_gl0_inv
	ds_read2_b64 v[166:169], v1 offset1:1
	s_mov_b32 s1, exec_lo
	s_waitcnt lgkmcnt(0)
	buffer_store_dword v166, off, s[16:19], 0 offset:576 ; 4-byte Folded Spill
	buffer_store_dword v167, off, s[16:19], 0 offset:580 ; 4-byte Folded Spill
	;; [unrolled: 1-line block ×4, first 2 shown]
	v_cmpx_lt_u32_e32 18, v0
	s_cbranch_execz .LBB81_172
; %bb.171:
	s_clause 0x3
	buffer_load_dword v168, off, s[16:19], 0 offset:576
	buffer_load_dword v169, off, s[16:19], 0 offset:580
	;; [unrolled: 1-line block ×4, first 2 shown]
	s_waitcnt vmcnt(0)
	v_mul_f64 v[166:167], v[170:171], v[92:93]
	v_mul_f64 v[92:93], v[168:169], v[92:93]
	v_fma_f64 v[166:167], v[168:169], v[90:91], -v[166:167]
	v_fma_f64 v[92:93], v[170:171], v[90:91], v[92:93]
	ds_read2_b64 v[168:171], v254 offset0:38 offset1:39
	s_waitcnt lgkmcnt(0)
	v_mul_f64 v[90:91], v[170:171], v[92:93]
	v_fma_f64 v[90:91], v[168:169], v[166:167], -v[90:91]
	v_mul_f64 v[168:169], v[168:169], v[92:93]
	v_add_f64 v[86:87], v[86:87], -v[90:91]
	v_fma_f64 v[168:169], v[170:171], v[166:167], v[168:169]
	v_add_f64 v[88:89], v[88:89], -v[168:169]
	ds_read2_b64 v[168:171], v254 offset0:40 offset1:41
	s_waitcnt lgkmcnt(0)
	v_mul_f64 v[90:91], v[170:171], v[92:93]
	v_fma_f64 v[90:91], v[168:169], v[166:167], -v[90:91]
	v_mul_f64 v[168:169], v[168:169], v[92:93]
	v_add_f64 v[82:83], v[82:83], -v[90:91]
	v_fma_f64 v[168:169], v[170:171], v[166:167], v[168:169]
	v_add_f64 v[84:85], v[84:85], -v[168:169]
	;; [unrolled: 8-line block ×21, first 2 shown]
	ds_read2_b64 v[168:171], v254 offset0:80 offset1:81
	s_waitcnt lgkmcnt(0)
	v_mul_f64 v[90:91], v[170:171], v[92:93]
	v_fma_f64 v[90:91], v[168:169], v[166:167], -v[90:91]
	v_mul_f64 v[168:169], v[168:169], v[92:93]
	v_add_f64 v[2:3], v[2:3], -v[90:91]
	v_fma_f64 v[168:169], v[170:171], v[166:167], v[168:169]
	v_mov_b32_e32 v90, v166
	v_mov_b32_e32 v91, v167
	v_add_f64 v[4:5], v[4:5], -v[168:169]
.LBB81_172:
	s_or_b32 exec_lo, exec_lo, s1
	s_mov_b32 s2, exec_lo
	s_waitcnt_vscnt null, 0x0
	s_barrier
	buffer_gl0_inv
	v_cmpx_eq_u32_e32 19, v0
	s_cbranch_execz .LBB81_179
; %bb.173:
	ds_write2_b64 v1, v[86:87], v[88:89] offset1:1
	ds_write2_b64 v254, v[82:83], v[84:85] offset0:40 offset1:41
	ds_write2_b64 v254, v[78:79], v[80:81] offset0:42 offset1:43
	ds_write2_b64 v254, v[74:75], v[76:77] offset0:44 offset1:45
	ds_write2_b64 v254, v[70:71], v[72:73] offset0:46 offset1:47
	ds_write2_b64 v254, v[66:67], v[68:69] offset0:48 offset1:49
	ds_write2_b64 v254, v[62:63], v[64:65] offset0:50 offset1:51
	ds_write2_b64 v254, v[58:59], v[60:61] offset0:52 offset1:53
	ds_write2_b64 v254, v[54:55], v[56:57] offset0:54 offset1:55
	ds_write2_b64 v254, v[50:51], v[52:53] offset0:56 offset1:57
	ds_write2_b64 v254, v[46:47], v[48:49] offset0:58 offset1:59
	ds_write2_b64 v254, v[42:43], v[44:45] offset0:60 offset1:61
	ds_write2_b64 v254, v[38:39], v[40:41] offset0:62 offset1:63
	ds_write2_b64 v254, v[34:35], v[36:37] offset0:64 offset1:65
	ds_write2_b64 v254, v[30:31], v[32:33] offset0:66 offset1:67
	ds_write2_b64 v254, v[26:27], v[28:29] offset0:68 offset1:69
	ds_write2_b64 v254, v[22:23], v[24:25] offset0:70 offset1:71
	ds_write2_b64 v254, v[18:19], v[20:21] offset0:72 offset1:73
	ds_write2_b64 v254, v[14:15], v[16:17] offset0:74 offset1:75
	ds_write2_b64 v254, v[10:11], v[12:13] offset0:76 offset1:77
	ds_write2_b64 v254, v[6:7], v[8:9] offset0:78 offset1:79
	ds_write2_b64 v254, v[2:3], v[4:5] offset0:80 offset1:81
	ds_read2_b64 v[166:169], v1 offset1:1
	s_waitcnt lgkmcnt(0)
	v_cmp_neq_f64_e32 vcc_lo, 0, v[166:167]
	v_cmp_neq_f64_e64 s1, 0, v[168:169]
	s_or_b32 s1, vcc_lo, s1
	s_and_b32 exec_lo, exec_lo, s1
	s_cbranch_execz .LBB81_179
; %bb.174:
	v_cmp_ngt_f64_e64 s1, |v[166:167]|, |v[168:169]|
                                        ; implicit-def: $vgpr170_vgpr171
	s_and_saveexec_b32 s3, s1
	s_xor_b32 s1, exec_lo, s3
                                        ; implicit-def: $vgpr172_vgpr173
	s_cbranch_execz .LBB81_176
; %bb.175:
	v_div_scale_f64 v[170:171], null, v[168:169], v[168:169], v[166:167]
	v_div_scale_f64 v[176:177], vcc_lo, v[166:167], v[168:169], v[166:167]
	v_rcp_f64_e32 v[172:173], v[170:171]
	v_fma_f64 v[174:175], -v[170:171], v[172:173], 1.0
	v_fma_f64 v[172:173], v[172:173], v[174:175], v[172:173]
	v_fma_f64 v[174:175], -v[170:171], v[172:173], 1.0
	v_fma_f64 v[172:173], v[172:173], v[174:175], v[172:173]
	v_mul_f64 v[174:175], v[176:177], v[172:173]
	v_fma_f64 v[170:171], -v[170:171], v[174:175], v[176:177]
	v_div_fmas_f64 v[170:171], v[170:171], v[172:173], v[174:175]
	v_div_fixup_f64 v[170:171], v[170:171], v[168:169], v[166:167]
	v_fma_f64 v[166:167], v[166:167], v[170:171], v[168:169]
	v_div_scale_f64 v[168:169], null, v[166:167], v[166:167], 1.0
	v_rcp_f64_e32 v[172:173], v[168:169]
	v_fma_f64 v[174:175], -v[168:169], v[172:173], 1.0
	v_fma_f64 v[172:173], v[172:173], v[174:175], v[172:173]
	v_fma_f64 v[174:175], -v[168:169], v[172:173], 1.0
	v_fma_f64 v[172:173], v[172:173], v[174:175], v[172:173]
	v_div_scale_f64 v[174:175], vcc_lo, 1.0, v[166:167], 1.0
	v_mul_f64 v[176:177], v[174:175], v[172:173]
	v_fma_f64 v[168:169], -v[168:169], v[176:177], v[174:175]
	v_div_fmas_f64 v[168:169], v[168:169], v[172:173], v[176:177]
	v_div_fixup_f64 v[172:173], v[168:169], v[166:167], 1.0
                                        ; implicit-def: $vgpr166_vgpr167
	v_mul_f64 v[170:171], v[170:171], v[172:173]
	v_xor_b32_e32 v173, 0x80000000, v173
.LBB81_176:
	s_andn2_saveexec_b32 s1, s1
	s_cbranch_execz .LBB81_178
; %bb.177:
	v_div_scale_f64 v[170:171], null, v[166:167], v[166:167], v[168:169]
	v_div_scale_f64 v[176:177], vcc_lo, v[168:169], v[166:167], v[168:169]
	v_rcp_f64_e32 v[172:173], v[170:171]
	v_fma_f64 v[174:175], -v[170:171], v[172:173], 1.0
	v_fma_f64 v[172:173], v[172:173], v[174:175], v[172:173]
	v_fma_f64 v[174:175], -v[170:171], v[172:173], 1.0
	v_fma_f64 v[172:173], v[172:173], v[174:175], v[172:173]
	v_mul_f64 v[174:175], v[176:177], v[172:173]
	v_fma_f64 v[170:171], -v[170:171], v[174:175], v[176:177]
	v_div_fmas_f64 v[170:171], v[170:171], v[172:173], v[174:175]
	v_div_fixup_f64 v[172:173], v[170:171], v[166:167], v[168:169]
	v_fma_f64 v[166:167], v[168:169], v[172:173], v[166:167]
	v_div_scale_f64 v[168:169], null, v[166:167], v[166:167], 1.0
	v_rcp_f64_e32 v[170:171], v[168:169]
	v_fma_f64 v[174:175], -v[168:169], v[170:171], 1.0
	v_fma_f64 v[170:171], v[170:171], v[174:175], v[170:171]
	v_fma_f64 v[174:175], -v[168:169], v[170:171], 1.0
	v_fma_f64 v[170:171], v[170:171], v[174:175], v[170:171]
	v_div_scale_f64 v[174:175], vcc_lo, 1.0, v[166:167], 1.0
	v_mul_f64 v[176:177], v[174:175], v[170:171]
	v_fma_f64 v[168:169], -v[168:169], v[176:177], v[174:175]
	v_div_fmas_f64 v[168:169], v[168:169], v[170:171], v[176:177]
	v_div_fixup_f64 v[170:171], v[168:169], v[166:167], 1.0
	v_mul_f64 v[172:173], v[172:173], -v[170:171]
.LBB81_178:
	s_or_b32 exec_lo, exec_lo, s1
	ds_write2_b64 v1, v[170:171], v[172:173] offset1:1
.LBB81_179:
	s_or_b32 exec_lo, exec_lo, s2
	s_waitcnt lgkmcnt(0)
	s_barrier
	buffer_gl0_inv
	ds_read2_b64 v[166:169], v1 offset1:1
	s_mov_b32 s1, exec_lo
	s_waitcnt lgkmcnt(0)
	buffer_store_dword v166, off, s[16:19], 0 offset:592 ; 4-byte Folded Spill
	buffer_store_dword v167, off, s[16:19], 0 offset:596 ; 4-byte Folded Spill
	;; [unrolled: 1-line block ×4, first 2 shown]
	v_cmpx_lt_u32_e32 19, v0
	s_cbranch_execz .LBB81_181
; %bb.180:
	s_clause 0x3
	buffer_load_dword v168, off, s[16:19], 0 offset:592
	buffer_load_dword v169, off, s[16:19], 0 offset:596
	;; [unrolled: 1-line block ×4, first 2 shown]
	s_waitcnt vmcnt(0)
	v_mul_f64 v[166:167], v[170:171], v[88:89]
	v_mul_f64 v[88:89], v[168:169], v[88:89]
	v_fma_f64 v[166:167], v[168:169], v[86:87], -v[166:167]
	v_fma_f64 v[88:89], v[170:171], v[86:87], v[88:89]
	ds_read2_b64 v[168:171], v254 offset0:40 offset1:41
	s_waitcnt lgkmcnt(0)
	v_mul_f64 v[86:87], v[170:171], v[88:89]
	v_fma_f64 v[86:87], v[168:169], v[166:167], -v[86:87]
	v_mul_f64 v[168:169], v[168:169], v[88:89]
	v_add_f64 v[82:83], v[82:83], -v[86:87]
	v_fma_f64 v[168:169], v[170:171], v[166:167], v[168:169]
	v_add_f64 v[84:85], v[84:85], -v[168:169]
	ds_read2_b64 v[168:171], v254 offset0:42 offset1:43
	s_waitcnt lgkmcnt(0)
	v_mul_f64 v[86:87], v[170:171], v[88:89]
	v_fma_f64 v[86:87], v[168:169], v[166:167], -v[86:87]
	v_mul_f64 v[168:169], v[168:169], v[88:89]
	v_add_f64 v[78:79], v[78:79], -v[86:87]
	v_fma_f64 v[168:169], v[170:171], v[166:167], v[168:169]
	v_add_f64 v[80:81], v[80:81], -v[168:169]
	;; [unrolled: 8-line block ×20, first 2 shown]
	ds_read2_b64 v[168:171], v254 offset0:80 offset1:81
	s_waitcnt lgkmcnt(0)
	v_mul_f64 v[86:87], v[170:171], v[88:89]
	v_fma_f64 v[86:87], v[168:169], v[166:167], -v[86:87]
	v_mul_f64 v[168:169], v[168:169], v[88:89]
	v_add_f64 v[2:3], v[2:3], -v[86:87]
	v_fma_f64 v[168:169], v[170:171], v[166:167], v[168:169]
	v_mov_b32_e32 v86, v166
	v_mov_b32_e32 v87, v167
	v_add_f64 v[4:5], v[4:5], -v[168:169]
.LBB81_181:
	s_or_b32 exec_lo, exec_lo, s1
	s_mov_b32 s2, exec_lo
	s_waitcnt_vscnt null, 0x0
	s_barrier
	buffer_gl0_inv
	v_cmpx_eq_u32_e32 20, v0
	s_cbranch_execz .LBB81_188
; %bb.182:
	ds_write2_b64 v1, v[82:83], v[84:85] offset1:1
	ds_write2_b64 v254, v[78:79], v[80:81] offset0:42 offset1:43
	ds_write2_b64 v254, v[74:75], v[76:77] offset0:44 offset1:45
	;; [unrolled: 1-line block ×20, first 2 shown]
	ds_read2_b64 v[166:169], v1 offset1:1
	s_waitcnt lgkmcnt(0)
	v_cmp_neq_f64_e32 vcc_lo, 0, v[166:167]
	v_cmp_neq_f64_e64 s1, 0, v[168:169]
	s_or_b32 s1, vcc_lo, s1
	s_and_b32 exec_lo, exec_lo, s1
	s_cbranch_execz .LBB81_188
; %bb.183:
	v_cmp_ngt_f64_e64 s1, |v[166:167]|, |v[168:169]|
                                        ; implicit-def: $vgpr170_vgpr171
	s_and_saveexec_b32 s3, s1
	s_xor_b32 s1, exec_lo, s3
                                        ; implicit-def: $vgpr172_vgpr173
	s_cbranch_execz .LBB81_185
; %bb.184:
	v_div_scale_f64 v[170:171], null, v[168:169], v[168:169], v[166:167]
	v_div_scale_f64 v[176:177], vcc_lo, v[166:167], v[168:169], v[166:167]
	v_rcp_f64_e32 v[172:173], v[170:171]
	v_fma_f64 v[174:175], -v[170:171], v[172:173], 1.0
	v_fma_f64 v[172:173], v[172:173], v[174:175], v[172:173]
	v_fma_f64 v[174:175], -v[170:171], v[172:173], 1.0
	v_fma_f64 v[172:173], v[172:173], v[174:175], v[172:173]
	v_mul_f64 v[174:175], v[176:177], v[172:173]
	v_fma_f64 v[170:171], -v[170:171], v[174:175], v[176:177]
	v_div_fmas_f64 v[170:171], v[170:171], v[172:173], v[174:175]
	v_div_fixup_f64 v[170:171], v[170:171], v[168:169], v[166:167]
	v_fma_f64 v[166:167], v[166:167], v[170:171], v[168:169]
	v_div_scale_f64 v[168:169], null, v[166:167], v[166:167], 1.0
	v_rcp_f64_e32 v[172:173], v[168:169]
	v_fma_f64 v[174:175], -v[168:169], v[172:173], 1.0
	v_fma_f64 v[172:173], v[172:173], v[174:175], v[172:173]
	v_fma_f64 v[174:175], -v[168:169], v[172:173], 1.0
	v_fma_f64 v[172:173], v[172:173], v[174:175], v[172:173]
	v_div_scale_f64 v[174:175], vcc_lo, 1.0, v[166:167], 1.0
	v_mul_f64 v[176:177], v[174:175], v[172:173]
	v_fma_f64 v[168:169], -v[168:169], v[176:177], v[174:175]
	v_div_fmas_f64 v[168:169], v[168:169], v[172:173], v[176:177]
	v_div_fixup_f64 v[172:173], v[168:169], v[166:167], 1.0
                                        ; implicit-def: $vgpr166_vgpr167
	v_mul_f64 v[170:171], v[170:171], v[172:173]
	v_xor_b32_e32 v173, 0x80000000, v173
.LBB81_185:
	s_andn2_saveexec_b32 s1, s1
	s_cbranch_execz .LBB81_187
; %bb.186:
	v_div_scale_f64 v[170:171], null, v[166:167], v[166:167], v[168:169]
	v_div_scale_f64 v[176:177], vcc_lo, v[168:169], v[166:167], v[168:169]
	v_rcp_f64_e32 v[172:173], v[170:171]
	v_fma_f64 v[174:175], -v[170:171], v[172:173], 1.0
	v_fma_f64 v[172:173], v[172:173], v[174:175], v[172:173]
	v_fma_f64 v[174:175], -v[170:171], v[172:173], 1.0
	v_fma_f64 v[172:173], v[172:173], v[174:175], v[172:173]
	v_mul_f64 v[174:175], v[176:177], v[172:173]
	v_fma_f64 v[170:171], -v[170:171], v[174:175], v[176:177]
	v_div_fmas_f64 v[170:171], v[170:171], v[172:173], v[174:175]
	v_div_fixup_f64 v[172:173], v[170:171], v[166:167], v[168:169]
	v_fma_f64 v[166:167], v[168:169], v[172:173], v[166:167]
	v_div_scale_f64 v[168:169], null, v[166:167], v[166:167], 1.0
	v_rcp_f64_e32 v[170:171], v[168:169]
	v_fma_f64 v[174:175], -v[168:169], v[170:171], 1.0
	v_fma_f64 v[170:171], v[170:171], v[174:175], v[170:171]
	v_fma_f64 v[174:175], -v[168:169], v[170:171], 1.0
	v_fma_f64 v[170:171], v[170:171], v[174:175], v[170:171]
	v_div_scale_f64 v[174:175], vcc_lo, 1.0, v[166:167], 1.0
	v_mul_f64 v[176:177], v[174:175], v[170:171]
	v_fma_f64 v[168:169], -v[168:169], v[176:177], v[174:175]
	v_div_fmas_f64 v[168:169], v[168:169], v[170:171], v[176:177]
	v_div_fixup_f64 v[170:171], v[168:169], v[166:167], 1.0
	v_mul_f64 v[172:173], v[172:173], -v[170:171]
.LBB81_187:
	s_or_b32 exec_lo, exec_lo, s1
	ds_write2_b64 v1, v[170:171], v[172:173] offset1:1
.LBB81_188:
	s_or_b32 exec_lo, exec_lo, s2
	s_waitcnt lgkmcnt(0)
	s_barrier
	buffer_gl0_inv
	ds_read2_b64 v[166:169], v1 offset1:1
	s_mov_b32 s1, exec_lo
	s_waitcnt lgkmcnt(0)
	buffer_store_dword v166, off, s[16:19], 0 offset:608 ; 4-byte Folded Spill
	buffer_store_dword v167, off, s[16:19], 0 offset:612 ; 4-byte Folded Spill
	;; [unrolled: 1-line block ×4, first 2 shown]
	v_cmpx_lt_u32_e32 20, v0
	s_cbranch_execz .LBB81_190
; %bb.189:
	s_clause 0x3
	buffer_load_dword v168, off, s[16:19], 0 offset:608
	buffer_load_dword v169, off, s[16:19], 0 offset:612
	;; [unrolled: 1-line block ×4, first 2 shown]
	s_waitcnt vmcnt(0)
	v_mul_f64 v[166:167], v[170:171], v[84:85]
	v_mul_f64 v[84:85], v[168:169], v[84:85]
	v_fma_f64 v[166:167], v[168:169], v[82:83], -v[166:167]
	v_fma_f64 v[84:85], v[170:171], v[82:83], v[84:85]
	ds_read2_b64 v[168:171], v254 offset0:42 offset1:43
	s_waitcnt lgkmcnt(0)
	v_mul_f64 v[82:83], v[170:171], v[84:85]
	v_fma_f64 v[82:83], v[168:169], v[166:167], -v[82:83]
	v_mul_f64 v[168:169], v[168:169], v[84:85]
	v_add_f64 v[78:79], v[78:79], -v[82:83]
	v_fma_f64 v[168:169], v[170:171], v[166:167], v[168:169]
	v_add_f64 v[80:81], v[80:81], -v[168:169]
	ds_read2_b64 v[168:171], v254 offset0:44 offset1:45
	s_waitcnt lgkmcnt(0)
	v_mul_f64 v[82:83], v[170:171], v[84:85]
	v_fma_f64 v[82:83], v[168:169], v[166:167], -v[82:83]
	v_mul_f64 v[168:169], v[168:169], v[84:85]
	v_add_f64 v[74:75], v[74:75], -v[82:83]
	v_fma_f64 v[168:169], v[170:171], v[166:167], v[168:169]
	v_add_f64 v[76:77], v[76:77], -v[168:169]
	;; [unrolled: 8-line block ×19, first 2 shown]
	ds_read2_b64 v[168:171], v254 offset0:80 offset1:81
	s_waitcnt lgkmcnt(0)
	v_mul_f64 v[82:83], v[170:171], v[84:85]
	v_fma_f64 v[82:83], v[168:169], v[166:167], -v[82:83]
	v_mul_f64 v[168:169], v[168:169], v[84:85]
	v_add_f64 v[2:3], v[2:3], -v[82:83]
	v_fma_f64 v[168:169], v[170:171], v[166:167], v[168:169]
	v_mov_b32_e32 v82, v166
	v_mov_b32_e32 v83, v167
	v_add_f64 v[4:5], v[4:5], -v[168:169]
.LBB81_190:
	s_or_b32 exec_lo, exec_lo, s1
	s_mov_b32 s2, exec_lo
	s_waitcnt_vscnt null, 0x0
	s_barrier
	buffer_gl0_inv
	v_cmpx_eq_u32_e32 21, v0
	s_cbranch_execz .LBB81_197
; %bb.191:
	ds_write2_b64 v1, v[78:79], v[80:81] offset1:1
	ds_write2_b64 v254, v[74:75], v[76:77] offset0:44 offset1:45
	ds_write2_b64 v254, v[70:71], v[72:73] offset0:46 offset1:47
	;; [unrolled: 1-line block ×19, first 2 shown]
	ds_read2_b64 v[166:169], v1 offset1:1
	s_waitcnt lgkmcnt(0)
	v_cmp_neq_f64_e32 vcc_lo, 0, v[166:167]
	v_cmp_neq_f64_e64 s1, 0, v[168:169]
	s_or_b32 s1, vcc_lo, s1
	s_and_b32 exec_lo, exec_lo, s1
	s_cbranch_execz .LBB81_197
; %bb.192:
	v_cmp_ngt_f64_e64 s1, |v[166:167]|, |v[168:169]|
                                        ; implicit-def: $vgpr170_vgpr171
	s_and_saveexec_b32 s3, s1
	s_xor_b32 s1, exec_lo, s3
                                        ; implicit-def: $vgpr172_vgpr173
	s_cbranch_execz .LBB81_194
; %bb.193:
	v_div_scale_f64 v[170:171], null, v[168:169], v[168:169], v[166:167]
	v_div_scale_f64 v[176:177], vcc_lo, v[166:167], v[168:169], v[166:167]
	v_rcp_f64_e32 v[172:173], v[170:171]
	v_fma_f64 v[174:175], -v[170:171], v[172:173], 1.0
	v_fma_f64 v[172:173], v[172:173], v[174:175], v[172:173]
	v_fma_f64 v[174:175], -v[170:171], v[172:173], 1.0
	v_fma_f64 v[172:173], v[172:173], v[174:175], v[172:173]
	v_mul_f64 v[174:175], v[176:177], v[172:173]
	v_fma_f64 v[170:171], -v[170:171], v[174:175], v[176:177]
	v_div_fmas_f64 v[170:171], v[170:171], v[172:173], v[174:175]
	v_div_fixup_f64 v[170:171], v[170:171], v[168:169], v[166:167]
	v_fma_f64 v[166:167], v[166:167], v[170:171], v[168:169]
	v_div_scale_f64 v[168:169], null, v[166:167], v[166:167], 1.0
	v_rcp_f64_e32 v[172:173], v[168:169]
	v_fma_f64 v[174:175], -v[168:169], v[172:173], 1.0
	v_fma_f64 v[172:173], v[172:173], v[174:175], v[172:173]
	v_fma_f64 v[174:175], -v[168:169], v[172:173], 1.0
	v_fma_f64 v[172:173], v[172:173], v[174:175], v[172:173]
	v_div_scale_f64 v[174:175], vcc_lo, 1.0, v[166:167], 1.0
	v_mul_f64 v[176:177], v[174:175], v[172:173]
	v_fma_f64 v[168:169], -v[168:169], v[176:177], v[174:175]
	v_div_fmas_f64 v[168:169], v[168:169], v[172:173], v[176:177]
	v_div_fixup_f64 v[172:173], v[168:169], v[166:167], 1.0
                                        ; implicit-def: $vgpr166_vgpr167
	v_mul_f64 v[170:171], v[170:171], v[172:173]
	v_xor_b32_e32 v173, 0x80000000, v173
.LBB81_194:
	s_andn2_saveexec_b32 s1, s1
	s_cbranch_execz .LBB81_196
; %bb.195:
	v_div_scale_f64 v[170:171], null, v[166:167], v[166:167], v[168:169]
	v_div_scale_f64 v[176:177], vcc_lo, v[168:169], v[166:167], v[168:169]
	v_rcp_f64_e32 v[172:173], v[170:171]
	v_fma_f64 v[174:175], -v[170:171], v[172:173], 1.0
	v_fma_f64 v[172:173], v[172:173], v[174:175], v[172:173]
	v_fma_f64 v[174:175], -v[170:171], v[172:173], 1.0
	v_fma_f64 v[172:173], v[172:173], v[174:175], v[172:173]
	v_mul_f64 v[174:175], v[176:177], v[172:173]
	v_fma_f64 v[170:171], -v[170:171], v[174:175], v[176:177]
	v_div_fmas_f64 v[170:171], v[170:171], v[172:173], v[174:175]
	v_div_fixup_f64 v[172:173], v[170:171], v[166:167], v[168:169]
	v_fma_f64 v[166:167], v[168:169], v[172:173], v[166:167]
	v_div_scale_f64 v[168:169], null, v[166:167], v[166:167], 1.0
	v_rcp_f64_e32 v[170:171], v[168:169]
	v_fma_f64 v[174:175], -v[168:169], v[170:171], 1.0
	v_fma_f64 v[170:171], v[170:171], v[174:175], v[170:171]
	v_fma_f64 v[174:175], -v[168:169], v[170:171], 1.0
	v_fma_f64 v[170:171], v[170:171], v[174:175], v[170:171]
	v_div_scale_f64 v[174:175], vcc_lo, 1.0, v[166:167], 1.0
	v_mul_f64 v[176:177], v[174:175], v[170:171]
	v_fma_f64 v[168:169], -v[168:169], v[176:177], v[174:175]
	v_div_fmas_f64 v[168:169], v[168:169], v[170:171], v[176:177]
	v_div_fixup_f64 v[170:171], v[168:169], v[166:167], 1.0
	v_mul_f64 v[172:173], v[172:173], -v[170:171]
.LBB81_196:
	s_or_b32 exec_lo, exec_lo, s1
	ds_write2_b64 v1, v[170:171], v[172:173] offset1:1
.LBB81_197:
	s_or_b32 exec_lo, exec_lo, s2
	s_waitcnt lgkmcnt(0)
	s_barrier
	buffer_gl0_inv
	ds_read2_b64 v[166:169], v1 offset1:1
	s_mov_b32 s1, exec_lo
	s_waitcnt lgkmcnt(0)
	buffer_store_dword v166, off, s[16:19], 0 offset:624 ; 4-byte Folded Spill
	buffer_store_dword v167, off, s[16:19], 0 offset:628 ; 4-byte Folded Spill
	;; [unrolled: 1-line block ×4, first 2 shown]
	v_cmpx_lt_u32_e32 21, v0
	s_cbranch_execz .LBB81_199
; %bb.198:
	s_clause 0x3
	buffer_load_dword v168, off, s[16:19], 0 offset:624
	buffer_load_dword v169, off, s[16:19], 0 offset:628
	buffer_load_dword v170, off, s[16:19], 0 offset:632
	buffer_load_dword v171, off, s[16:19], 0 offset:636
	s_waitcnt vmcnt(0)
	v_mul_f64 v[166:167], v[170:171], v[80:81]
	v_mul_f64 v[80:81], v[168:169], v[80:81]
	v_fma_f64 v[166:167], v[168:169], v[78:79], -v[166:167]
	v_fma_f64 v[80:81], v[170:171], v[78:79], v[80:81]
	ds_read2_b64 v[168:171], v254 offset0:44 offset1:45
	s_waitcnt lgkmcnt(0)
	v_mul_f64 v[78:79], v[170:171], v[80:81]
	v_fma_f64 v[78:79], v[168:169], v[166:167], -v[78:79]
	v_mul_f64 v[168:169], v[168:169], v[80:81]
	v_add_f64 v[74:75], v[74:75], -v[78:79]
	v_fma_f64 v[168:169], v[170:171], v[166:167], v[168:169]
	v_add_f64 v[76:77], v[76:77], -v[168:169]
	ds_read2_b64 v[168:171], v254 offset0:46 offset1:47
	s_waitcnt lgkmcnt(0)
	v_mul_f64 v[78:79], v[170:171], v[80:81]
	v_fma_f64 v[78:79], v[168:169], v[166:167], -v[78:79]
	v_mul_f64 v[168:169], v[168:169], v[80:81]
	v_add_f64 v[70:71], v[70:71], -v[78:79]
	v_fma_f64 v[168:169], v[170:171], v[166:167], v[168:169]
	v_add_f64 v[72:73], v[72:73], -v[168:169]
	;; [unrolled: 8-line block ×18, first 2 shown]
	ds_read2_b64 v[168:171], v254 offset0:80 offset1:81
	s_waitcnt lgkmcnt(0)
	v_mul_f64 v[78:79], v[170:171], v[80:81]
	v_fma_f64 v[78:79], v[168:169], v[166:167], -v[78:79]
	v_mul_f64 v[168:169], v[168:169], v[80:81]
	v_add_f64 v[2:3], v[2:3], -v[78:79]
	v_fma_f64 v[168:169], v[170:171], v[166:167], v[168:169]
	v_mov_b32_e32 v78, v166
	v_mov_b32_e32 v79, v167
	v_add_f64 v[4:5], v[4:5], -v[168:169]
.LBB81_199:
	s_or_b32 exec_lo, exec_lo, s1
	s_mov_b32 s2, exec_lo
	s_waitcnt_vscnt null, 0x0
	s_barrier
	buffer_gl0_inv
	v_cmpx_eq_u32_e32 22, v0
	s_cbranch_execz .LBB81_206
; %bb.200:
	ds_write2_b64 v1, v[74:75], v[76:77] offset1:1
	ds_write2_b64 v254, v[70:71], v[72:73] offset0:46 offset1:47
	ds_write2_b64 v254, v[66:67], v[68:69] offset0:48 offset1:49
	;; [unrolled: 1-line block ×18, first 2 shown]
	ds_read2_b64 v[166:169], v1 offset1:1
	s_waitcnt lgkmcnt(0)
	v_cmp_neq_f64_e32 vcc_lo, 0, v[166:167]
	v_cmp_neq_f64_e64 s1, 0, v[168:169]
	s_or_b32 s1, vcc_lo, s1
	s_and_b32 exec_lo, exec_lo, s1
	s_cbranch_execz .LBB81_206
; %bb.201:
	v_cmp_ngt_f64_e64 s1, |v[166:167]|, |v[168:169]|
                                        ; implicit-def: $vgpr170_vgpr171
	s_and_saveexec_b32 s3, s1
	s_xor_b32 s1, exec_lo, s3
                                        ; implicit-def: $vgpr172_vgpr173
	s_cbranch_execz .LBB81_203
; %bb.202:
	v_div_scale_f64 v[170:171], null, v[168:169], v[168:169], v[166:167]
	v_div_scale_f64 v[176:177], vcc_lo, v[166:167], v[168:169], v[166:167]
	v_rcp_f64_e32 v[172:173], v[170:171]
	v_fma_f64 v[174:175], -v[170:171], v[172:173], 1.0
	v_fma_f64 v[172:173], v[172:173], v[174:175], v[172:173]
	v_fma_f64 v[174:175], -v[170:171], v[172:173], 1.0
	v_fma_f64 v[172:173], v[172:173], v[174:175], v[172:173]
	v_mul_f64 v[174:175], v[176:177], v[172:173]
	v_fma_f64 v[170:171], -v[170:171], v[174:175], v[176:177]
	v_div_fmas_f64 v[170:171], v[170:171], v[172:173], v[174:175]
	v_div_fixup_f64 v[170:171], v[170:171], v[168:169], v[166:167]
	v_fma_f64 v[166:167], v[166:167], v[170:171], v[168:169]
	v_div_scale_f64 v[168:169], null, v[166:167], v[166:167], 1.0
	v_rcp_f64_e32 v[172:173], v[168:169]
	v_fma_f64 v[174:175], -v[168:169], v[172:173], 1.0
	v_fma_f64 v[172:173], v[172:173], v[174:175], v[172:173]
	v_fma_f64 v[174:175], -v[168:169], v[172:173], 1.0
	v_fma_f64 v[172:173], v[172:173], v[174:175], v[172:173]
	v_div_scale_f64 v[174:175], vcc_lo, 1.0, v[166:167], 1.0
	v_mul_f64 v[176:177], v[174:175], v[172:173]
	v_fma_f64 v[168:169], -v[168:169], v[176:177], v[174:175]
	v_div_fmas_f64 v[168:169], v[168:169], v[172:173], v[176:177]
	v_div_fixup_f64 v[172:173], v[168:169], v[166:167], 1.0
                                        ; implicit-def: $vgpr166_vgpr167
	v_mul_f64 v[170:171], v[170:171], v[172:173]
	v_xor_b32_e32 v173, 0x80000000, v173
.LBB81_203:
	s_andn2_saveexec_b32 s1, s1
	s_cbranch_execz .LBB81_205
; %bb.204:
	v_div_scale_f64 v[170:171], null, v[166:167], v[166:167], v[168:169]
	v_div_scale_f64 v[176:177], vcc_lo, v[168:169], v[166:167], v[168:169]
	v_rcp_f64_e32 v[172:173], v[170:171]
	v_fma_f64 v[174:175], -v[170:171], v[172:173], 1.0
	v_fma_f64 v[172:173], v[172:173], v[174:175], v[172:173]
	v_fma_f64 v[174:175], -v[170:171], v[172:173], 1.0
	v_fma_f64 v[172:173], v[172:173], v[174:175], v[172:173]
	v_mul_f64 v[174:175], v[176:177], v[172:173]
	v_fma_f64 v[170:171], -v[170:171], v[174:175], v[176:177]
	v_div_fmas_f64 v[170:171], v[170:171], v[172:173], v[174:175]
	v_div_fixup_f64 v[172:173], v[170:171], v[166:167], v[168:169]
	v_fma_f64 v[166:167], v[168:169], v[172:173], v[166:167]
	v_div_scale_f64 v[168:169], null, v[166:167], v[166:167], 1.0
	v_rcp_f64_e32 v[170:171], v[168:169]
	v_fma_f64 v[174:175], -v[168:169], v[170:171], 1.0
	v_fma_f64 v[170:171], v[170:171], v[174:175], v[170:171]
	v_fma_f64 v[174:175], -v[168:169], v[170:171], 1.0
	v_fma_f64 v[170:171], v[170:171], v[174:175], v[170:171]
	v_div_scale_f64 v[174:175], vcc_lo, 1.0, v[166:167], 1.0
	v_mul_f64 v[176:177], v[174:175], v[170:171]
	v_fma_f64 v[168:169], -v[168:169], v[176:177], v[174:175]
	v_div_fmas_f64 v[168:169], v[168:169], v[170:171], v[176:177]
	v_div_fixup_f64 v[170:171], v[168:169], v[166:167], 1.0
	v_mul_f64 v[172:173], v[172:173], -v[170:171]
.LBB81_205:
	s_or_b32 exec_lo, exec_lo, s1
	ds_write2_b64 v1, v[170:171], v[172:173] offset1:1
.LBB81_206:
	s_or_b32 exec_lo, exec_lo, s2
	s_waitcnt lgkmcnt(0)
	s_barrier
	buffer_gl0_inv
	ds_read2_b64 v[166:169], v1 offset1:1
	s_mov_b32 s1, exec_lo
	s_waitcnt lgkmcnt(0)
	buffer_store_dword v166, off, s[16:19], 0 offset:640 ; 4-byte Folded Spill
	buffer_store_dword v167, off, s[16:19], 0 offset:644 ; 4-byte Folded Spill
	;; [unrolled: 1-line block ×4, first 2 shown]
	v_cmpx_lt_u32_e32 22, v0
	s_cbranch_execz .LBB81_208
; %bb.207:
	s_clause 0x3
	buffer_load_dword v166, off, s[16:19], 0 offset:640
	buffer_load_dword v167, off, s[16:19], 0 offset:644
	;; [unrolled: 1-line block ×4, first 2 shown]
	ds_read2_b64 v[172:175], v254 offset0:46 offset1:47
	s_waitcnt vmcnt(0)
	v_mul_f64 v[170:171], v[168:169], v[76:77]
	v_mul_f64 v[76:77], v[166:167], v[76:77]
	v_fma_f64 v[170:171], v[166:167], v[74:75], -v[170:171]
	v_fma_f64 v[76:77], v[168:169], v[74:75], v[76:77]
	s_waitcnt lgkmcnt(0)
	v_mul_f64 v[74:75], v[174:175], v[76:77]
	v_fma_f64 v[74:75], v[172:173], v[170:171], -v[74:75]
	v_mul_f64 v[172:173], v[172:173], v[76:77]
	v_add_f64 v[70:71], v[70:71], -v[74:75]
	v_fma_f64 v[172:173], v[174:175], v[170:171], v[172:173]
	v_add_f64 v[72:73], v[72:73], -v[172:173]
	ds_read2_b64 v[172:175], v254 offset0:48 offset1:49
	s_waitcnt lgkmcnt(0)
	v_mul_f64 v[74:75], v[174:175], v[76:77]
	v_fma_f64 v[74:75], v[172:173], v[170:171], -v[74:75]
	v_mul_f64 v[172:173], v[172:173], v[76:77]
	v_add_f64 v[66:67], v[66:67], -v[74:75]
	v_fma_f64 v[172:173], v[174:175], v[170:171], v[172:173]
	v_add_f64 v[68:69], v[68:69], -v[172:173]
	ds_read2_b64 v[172:175], v254 offset0:50 offset1:51
	;; [unrolled: 8-line block ×17, first 2 shown]
	s_waitcnt lgkmcnt(0)
	v_mul_f64 v[74:75], v[174:175], v[76:77]
	v_fma_f64 v[74:75], v[172:173], v[170:171], -v[74:75]
	v_mul_f64 v[172:173], v[172:173], v[76:77]
	v_add_f64 v[2:3], v[2:3], -v[74:75]
	v_fma_f64 v[172:173], v[174:175], v[170:171], v[172:173]
	v_mov_b32_e32 v74, v170
	v_mov_b32_e32 v75, v171
	v_add_f64 v[4:5], v[4:5], -v[172:173]
.LBB81_208:
	s_or_b32 exec_lo, exec_lo, s1
	s_mov_b32 s2, exec_lo
	s_waitcnt_vscnt null, 0x0
	s_barrier
	buffer_gl0_inv
	v_cmpx_eq_u32_e32 23, v0
	s_cbranch_execz .LBB81_215
; %bb.209:
	ds_write2_b64 v1, v[70:71], v[72:73] offset1:1
	ds_write2_b64 v254, v[66:67], v[68:69] offset0:48 offset1:49
	ds_write2_b64 v254, v[62:63], v[64:65] offset0:50 offset1:51
	;; [unrolled: 1-line block ×17, first 2 shown]
	ds_read2_b64 v[170:173], v1 offset1:1
	s_waitcnt lgkmcnt(0)
	v_cmp_neq_f64_e32 vcc_lo, 0, v[170:171]
	v_cmp_neq_f64_e64 s1, 0, v[172:173]
	s_or_b32 s1, vcc_lo, s1
	s_and_b32 exec_lo, exec_lo, s1
	s_cbranch_execz .LBB81_215
; %bb.210:
	v_cmp_ngt_f64_e64 s1, |v[170:171]|, |v[172:173]|
                                        ; implicit-def: $vgpr174_vgpr175
	s_and_saveexec_b32 s3, s1
	s_xor_b32 s1, exec_lo, s3
                                        ; implicit-def: $vgpr176_vgpr177
	s_cbranch_execz .LBB81_212
; %bb.211:
	v_div_scale_f64 v[174:175], null, v[172:173], v[172:173], v[170:171]
	v_div_scale_f64 v[180:181], vcc_lo, v[170:171], v[172:173], v[170:171]
	v_rcp_f64_e32 v[176:177], v[174:175]
	v_fma_f64 v[178:179], -v[174:175], v[176:177], 1.0
	v_fma_f64 v[176:177], v[176:177], v[178:179], v[176:177]
	v_fma_f64 v[178:179], -v[174:175], v[176:177], 1.0
	v_fma_f64 v[176:177], v[176:177], v[178:179], v[176:177]
	v_mul_f64 v[178:179], v[180:181], v[176:177]
	v_fma_f64 v[174:175], -v[174:175], v[178:179], v[180:181]
	v_div_fmas_f64 v[174:175], v[174:175], v[176:177], v[178:179]
	v_div_fixup_f64 v[174:175], v[174:175], v[172:173], v[170:171]
	v_fma_f64 v[170:171], v[170:171], v[174:175], v[172:173]
	v_div_scale_f64 v[172:173], null, v[170:171], v[170:171], 1.0
	v_rcp_f64_e32 v[176:177], v[172:173]
	v_fma_f64 v[178:179], -v[172:173], v[176:177], 1.0
	v_fma_f64 v[176:177], v[176:177], v[178:179], v[176:177]
	v_fma_f64 v[178:179], -v[172:173], v[176:177], 1.0
	v_fma_f64 v[176:177], v[176:177], v[178:179], v[176:177]
	v_div_scale_f64 v[178:179], vcc_lo, 1.0, v[170:171], 1.0
	v_mul_f64 v[180:181], v[178:179], v[176:177]
	v_fma_f64 v[172:173], -v[172:173], v[180:181], v[178:179]
	v_div_fmas_f64 v[172:173], v[172:173], v[176:177], v[180:181]
	v_div_fixup_f64 v[176:177], v[172:173], v[170:171], 1.0
                                        ; implicit-def: $vgpr170_vgpr171
	v_mul_f64 v[174:175], v[174:175], v[176:177]
	v_xor_b32_e32 v177, 0x80000000, v177
.LBB81_212:
	s_andn2_saveexec_b32 s1, s1
	s_cbranch_execz .LBB81_214
; %bb.213:
	v_div_scale_f64 v[174:175], null, v[170:171], v[170:171], v[172:173]
	v_div_scale_f64 v[180:181], vcc_lo, v[172:173], v[170:171], v[172:173]
	v_rcp_f64_e32 v[176:177], v[174:175]
	v_fma_f64 v[178:179], -v[174:175], v[176:177], 1.0
	v_fma_f64 v[176:177], v[176:177], v[178:179], v[176:177]
	v_fma_f64 v[178:179], -v[174:175], v[176:177], 1.0
	v_fma_f64 v[176:177], v[176:177], v[178:179], v[176:177]
	v_mul_f64 v[178:179], v[180:181], v[176:177]
	v_fma_f64 v[174:175], -v[174:175], v[178:179], v[180:181]
	v_div_fmas_f64 v[174:175], v[174:175], v[176:177], v[178:179]
	v_div_fixup_f64 v[176:177], v[174:175], v[170:171], v[172:173]
	v_fma_f64 v[170:171], v[172:173], v[176:177], v[170:171]
	v_div_scale_f64 v[172:173], null, v[170:171], v[170:171], 1.0
	v_rcp_f64_e32 v[174:175], v[172:173]
	v_fma_f64 v[178:179], -v[172:173], v[174:175], 1.0
	v_fma_f64 v[174:175], v[174:175], v[178:179], v[174:175]
	v_fma_f64 v[178:179], -v[172:173], v[174:175], 1.0
	v_fma_f64 v[174:175], v[174:175], v[178:179], v[174:175]
	v_div_scale_f64 v[178:179], vcc_lo, 1.0, v[170:171], 1.0
	v_mul_f64 v[180:181], v[178:179], v[174:175]
	v_fma_f64 v[172:173], -v[172:173], v[180:181], v[178:179]
	v_div_fmas_f64 v[172:173], v[172:173], v[174:175], v[180:181]
	v_div_fixup_f64 v[174:175], v[172:173], v[170:171], 1.0
	v_mul_f64 v[176:177], v[176:177], -v[174:175]
.LBB81_214:
	s_or_b32 exec_lo, exec_lo, s1
	ds_write2_b64 v1, v[174:175], v[176:177] offset1:1
.LBB81_215:
	s_or_b32 exec_lo, exec_lo, s2
	s_waitcnt lgkmcnt(0)
	s_barrier
	buffer_gl0_inv
	ds_read2_b64 v[170:173], v1 offset1:1
	s_mov_b32 s1, exec_lo
	v_cmpx_lt_u32_e32 23, v0
	s_cbranch_execz .LBB81_217
; %bb.216:
	s_waitcnt lgkmcnt(0)
	v_mul_f64 v[174:175], v[172:173], v[72:73]
	v_mul_f64 v[72:73], v[170:171], v[72:73]
	ds_read2_b64 v[176:179], v254 offset0:48 offset1:49
	v_fma_f64 v[174:175], v[170:171], v[70:71], -v[174:175]
	v_fma_f64 v[72:73], v[172:173], v[70:71], v[72:73]
	s_waitcnt lgkmcnt(0)
	v_mul_f64 v[70:71], v[178:179], v[72:73]
	v_fma_f64 v[70:71], v[176:177], v[174:175], -v[70:71]
	v_mul_f64 v[176:177], v[176:177], v[72:73]
	v_add_f64 v[66:67], v[66:67], -v[70:71]
	v_fma_f64 v[176:177], v[178:179], v[174:175], v[176:177]
	v_add_f64 v[68:69], v[68:69], -v[176:177]
	ds_read2_b64 v[176:179], v254 offset0:50 offset1:51
	s_waitcnt lgkmcnt(0)
	v_mul_f64 v[70:71], v[178:179], v[72:73]
	v_fma_f64 v[70:71], v[176:177], v[174:175], -v[70:71]
	v_mul_f64 v[176:177], v[176:177], v[72:73]
	v_add_f64 v[62:63], v[62:63], -v[70:71]
	v_fma_f64 v[176:177], v[178:179], v[174:175], v[176:177]
	v_add_f64 v[64:65], v[64:65], -v[176:177]
	ds_read2_b64 v[176:179], v254 offset0:52 offset1:53
	;; [unrolled: 8-line block ×16, first 2 shown]
	s_waitcnt lgkmcnt(0)
	v_mul_f64 v[70:71], v[178:179], v[72:73]
	v_fma_f64 v[70:71], v[176:177], v[174:175], -v[70:71]
	v_mul_f64 v[176:177], v[176:177], v[72:73]
	v_add_f64 v[2:3], v[2:3], -v[70:71]
	v_fma_f64 v[176:177], v[178:179], v[174:175], v[176:177]
	v_mov_b32_e32 v70, v174
	v_mov_b32_e32 v71, v175
	v_add_f64 v[4:5], v[4:5], -v[176:177]
.LBB81_217:
	s_or_b32 exec_lo, exec_lo, s1
	s_mov_b32 s2, exec_lo
	s_waitcnt lgkmcnt(0)
	s_barrier
	buffer_gl0_inv
	v_cmpx_eq_u32_e32 24, v0
	s_cbranch_execz .LBB81_224
; %bb.218:
	ds_write2_b64 v1, v[66:67], v[68:69] offset1:1
	ds_write2_b64 v254, v[62:63], v[64:65] offset0:50 offset1:51
	ds_write2_b64 v254, v[58:59], v[60:61] offset0:52 offset1:53
	;; [unrolled: 1-line block ×16, first 2 shown]
	ds_read2_b64 v[174:177], v1 offset1:1
	s_waitcnt lgkmcnt(0)
	v_cmp_neq_f64_e32 vcc_lo, 0, v[174:175]
	v_cmp_neq_f64_e64 s1, 0, v[176:177]
	s_or_b32 s1, vcc_lo, s1
	s_and_b32 exec_lo, exec_lo, s1
	s_cbranch_execz .LBB81_224
; %bb.219:
	v_cmp_ngt_f64_e64 s1, |v[174:175]|, |v[176:177]|
                                        ; implicit-def: $vgpr178_vgpr179
	s_and_saveexec_b32 s3, s1
	s_xor_b32 s1, exec_lo, s3
                                        ; implicit-def: $vgpr180_vgpr181
	s_cbranch_execz .LBB81_221
; %bb.220:
	v_div_scale_f64 v[178:179], null, v[176:177], v[176:177], v[174:175]
	v_div_scale_f64 v[184:185], vcc_lo, v[174:175], v[176:177], v[174:175]
	v_rcp_f64_e32 v[180:181], v[178:179]
	v_fma_f64 v[182:183], -v[178:179], v[180:181], 1.0
	v_fma_f64 v[180:181], v[180:181], v[182:183], v[180:181]
	v_fma_f64 v[182:183], -v[178:179], v[180:181], 1.0
	v_fma_f64 v[180:181], v[180:181], v[182:183], v[180:181]
	v_mul_f64 v[182:183], v[184:185], v[180:181]
	v_fma_f64 v[178:179], -v[178:179], v[182:183], v[184:185]
	v_div_fmas_f64 v[178:179], v[178:179], v[180:181], v[182:183]
	v_div_fixup_f64 v[178:179], v[178:179], v[176:177], v[174:175]
	v_fma_f64 v[174:175], v[174:175], v[178:179], v[176:177]
	v_div_scale_f64 v[176:177], null, v[174:175], v[174:175], 1.0
	v_rcp_f64_e32 v[180:181], v[176:177]
	v_fma_f64 v[182:183], -v[176:177], v[180:181], 1.0
	v_fma_f64 v[180:181], v[180:181], v[182:183], v[180:181]
	v_fma_f64 v[182:183], -v[176:177], v[180:181], 1.0
	v_fma_f64 v[180:181], v[180:181], v[182:183], v[180:181]
	v_div_scale_f64 v[182:183], vcc_lo, 1.0, v[174:175], 1.0
	v_mul_f64 v[184:185], v[182:183], v[180:181]
	v_fma_f64 v[176:177], -v[176:177], v[184:185], v[182:183]
	v_div_fmas_f64 v[176:177], v[176:177], v[180:181], v[184:185]
	v_div_fixup_f64 v[180:181], v[176:177], v[174:175], 1.0
                                        ; implicit-def: $vgpr174_vgpr175
	v_mul_f64 v[178:179], v[178:179], v[180:181]
	v_xor_b32_e32 v181, 0x80000000, v181
.LBB81_221:
	s_andn2_saveexec_b32 s1, s1
	s_cbranch_execz .LBB81_223
; %bb.222:
	v_div_scale_f64 v[178:179], null, v[174:175], v[174:175], v[176:177]
	v_div_scale_f64 v[184:185], vcc_lo, v[176:177], v[174:175], v[176:177]
	v_rcp_f64_e32 v[180:181], v[178:179]
	v_fma_f64 v[182:183], -v[178:179], v[180:181], 1.0
	v_fma_f64 v[180:181], v[180:181], v[182:183], v[180:181]
	v_fma_f64 v[182:183], -v[178:179], v[180:181], 1.0
	v_fma_f64 v[180:181], v[180:181], v[182:183], v[180:181]
	v_mul_f64 v[182:183], v[184:185], v[180:181]
	v_fma_f64 v[178:179], -v[178:179], v[182:183], v[184:185]
	v_div_fmas_f64 v[178:179], v[178:179], v[180:181], v[182:183]
	v_div_fixup_f64 v[180:181], v[178:179], v[174:175], v[176:177]
	v_fma_f64 v[174:175], v[176:177], v[180:181], v[174:175]
	v_div_scale_f64 v[176:177], null, v[174:175], v[174:175], 1.0
	v_rcp_f64_e32 v[178:179], v[176:177]
	v_fma_f64 v[182:183], -v[176:177], v[178:179], 1.0
	v_fma_f64 v[178:179], v[178:179], v[182:183], v[178:179]
	v_fma_f64 v[182:183], -v[176:177], v[178:179], 1.0
	v_fma_f64 v[178:179], v[178:179], v[182:183], v[178:179]
	v_div_scale_f64 v[182:183], vcc_lo, 1.0, v[174:175], 1.0
	v_mul_f64 v[184:185], v[182:183], v[178:179]
	v_fma_f64 v[176:177], -v[176:177], v[184:185], v[182:183]
	v_div_fmas_f64 v[176:177], v[176:177], v[178:179], v[184:185]
	v_div_fixup_f64 v[178:179], v[176:177], v[174:175], 1.0
	v_mul_f64 v[180:181], v[180:181], -v[178:179]
.LBB81_223:
	s_or_b32 exec_lo, exec_lo, s1
	ds_write2_b64 v1, v[178:179], v[180:181] offset1:1
.LBB81_224:
	s_or_b32 exec_lo, exec_lo, s2
	s_waitcnt lgkmcnt(0)
	s_barrier
	buffer_gl0_inv
	ds_read2_b64 v[174:177], v1 offset1:1
	s_mov_b32 s1, exec_lo
	v_cmpx_lt_u32_e32 24, v0
	s_cbranch_execz .LBB81_226
; %bb.225:
	s_waitcnt lgkmcnt(0)
	v_mul_f64 v[178:179], v[174:175], v[68:69]
	v_mul_f64 v[68:69], v[176:177], v[68:69]
	ds_read2_b64 v[180:183], v254 offset0:50 offset1:51
	v_fma_f64 v[178:179], v[176:177], v[66:67], v[178:179]
	v_fma_f64 v[66:67], v[174:175], v[66:67], -v[68:69]
	s_waitcnt lgkmcnt(0)
	v_mul_f64 v[68:69], v[182:183], v[178:179]
	v_fma_f64 v[68:69], v[180:181], v[66:67], -v[68:69]
	v_mul_f64 v[180:181], v[180:181], v[178:179]
	v_add_f64 v[62:63], v[62:63], -v[68:69]
	v_fma_f64 v[180:181], v[182:183], v[66:67], v[180:181]
	v_add_f64 v[64:65], v[64:65], -v[180:181]
	ds_read2_b64 v[180:183], v254 offset0:52 offset1:53
	s_waitcnt lgkmcnt(0)
	v_mul_f64 v[68:69], v[182:183], v[178:179]
	v_fma_f64 v[68:69], v[180:181], v[66:67], -v[68:69]
	v_mul_f64 v[180:181], v[180:181], v[178:179]
	v_add_f64 v[58:59], v[58:59], -v[68:69]
	v_fma_f64 v[180:181], v[182:183], v[66:67], v[180:181]
	v_add_f64 v[60:61], v[60:61], -v[180:181]
	ds_read2_b64 v[180:183], v254 offset0:54 offset1:55
	s_waitcnt lgkmcnt(0)
	v_mul_f64 v[68:69], v[182:183], v[178:179]
	v_fma_f64 v[68:69], v[180:181], v[66:67], -v[68:69]
	v_mul_f64 v[180:181], v[180:181], v[178:179]
	v_add_f64 v[54:55], v[54:55], -v[68:69]
	v_fma_f64 v[180:181], v[182:183], v[66:67], v[180:181]
	v_add_f64 v[56:57], v[56:57], -v[180:181]
	ds_read2_b64 v[180:183], v254 offset0:56 offset1:57
	s_waitcnt lgkmcnt(0)
	v_mul_f64 v[68:69], v[182:183], v[178:179]
	v_fma_f64 v[68:69], v[180:181], v[66:67], -v[68:69]
	v_mul_f64 v[180:181], v[180:181], v[178:179]
	v_add_f64 v[50:51], v[50:51], -v[68:69]
	v_fma_f64 v[180:181], v[182:183], v[66:67], v[180:181]
	v_add_f64 v[52:53], v[52:53], -v[180:181]
	ds_read2_b64 v[180:183], v254 offset0:58 offset1:59
	s_waitcnt lgkmcnt(0)
	v_mul_f64 v[68:69], v[182:183], v[178:179]
	v_fma_f64 v[68:69], v[180:181], v[66:67], -v[68:69]
	v_mul_f64 v[180:181], v[180:181], v[178:179]
	v_add_f64 v[46:47], v[46:47], -v[68:69]
	v_fma_f64 v[180:181], v[182:183], v[66:67], v[180:181]
	v_add_f64 v[48:49], v[48:49], -v[180:181]
	ds_read2_b64 v[180:183], v254 offset0:60 offset1:61
	s_waitcnt lgkmcnt(0)
	v_mul_f64 v[68:69], v[182:183], v[178:179]
	v_fma_f64 v[68:69], v[180:181], v[66:67], -v[68:69]
	v_mul_f64 v[180:181], v[180:181], v[178:179]
	v_add_f64 v[42:43], v[42:43], -v[68:69]
	v_fma_f64 v[180:181], v[182:183], v[66:67], v[180:181]
	v_add_f64 v[44:45], v[44:45], -v[180:181]
	ds_read2_b64 v[180:183], v254 offset0:62 offset1:63
	s_waitcnt lgkmcnt(0)
	v_mul_f64 v[68:69], v[182:183], v[178:179]
	v_fma_f64 v[68:69], v[180:181], v[66:67], -v[68:69]
	v_mul_f64 v[180:181], v[180:181], v[178:179]
	v_add_f64 v[38:39], v[38:39], -v[68:69]
	v_fma_f64 v[180:181], v[182:183], v[66:67], v[180:181]
	v_add_f64 v[40:41], v[40:41], -v[180:181]
	ds_read2_b64 v[180:183], v254 offset0:64 offset1:65
	s_waitcnt lgkmcnt(0)
	v_mul_f64 v[68:69], v[182:183], v[178:179]
	v_fma_f64 v[68:69], v[180:181], v[66:67], -v[68:69]
	v_mul_f64 v[180:181], v[180:181], v[178:179]
	v_add_f64 v[34:35], v[34:35], -v[68:69]
	v_fma_f64 v[180:181], v[182:183], v[66:67], v[180:181]
	v_add_f64 v[36:37], v[36:37], -v[180:181]
	ds_read2_b64 v[180:183], v254 offset0:66 offset1:67
	s_waitcnt lgkmcnt(0)
	v_mul_f64 v[68:69], v[182:183], v[178:179]
	v_fma_f64 v[68:69], v[180:181], v[66:67], -v[68:69]
	v_mul_f64 v[180:181], v[180:181], v[178:179]
	v_add_f64 v[30:31], v[30:31], -v[68:69]
	v_fma_f64 v[180:181], v[182:183], v[66:67], v[180:181]
	v_add_f64 v[32:33], v[32:33], -v[180:181]
	ds_read2_b64 v[180:183], v254 offset0:68 offset1:69
	s_waitcnt lgkmcnt(0)
	v_mul_f64 v[68:69], v[182:183], v[178:179]
	v_fma_f64 v[68:69], v[180:181], v[66:67], -v[68:69]
	v_mul_f64 v[180:181], v[180:181], v[178:179]
	v_add_f64 v[26:27], v[26:27], -v[68:69]
	v_fma_f64 v[180:181], v[182:183], v[66:67], v[180:181]
	v_add_f64 v[28:29], v[28:29], -v[180:181]
	ds_read2_b64 v[180:183], v254 offset0:70 offset1:71
	s_waitcnt lgkmcnt(0)
	v_mul_f64 v[68:69], v[182:183], v[178:179]
	v_fma_f64 v[68:69], v[180:181], v[66:67], -v[68:69]
	v_mul_f64 v[180:181], v[180:181], v[178:179]
	v_add_f64 v[22:23], v[22:23], -v[68:69]
	v_fma_f64 v[180:181], v[182:183], v[66:67], v[180:181]
	v_add_f64 v[24:25], v[24:25], -v[180:181]
	ds_read2_b64 v[180:183], v254 offset0:72 offset1:73
	s_waitcnt lgkmcnt(0)
	v_mul_f64 v[68:69], v[182:183], v[178:179]
	v_fma_f64 v[68:69], v[180:181], v[66:67], -v[68:69]
	v_mul_f64 v[180:181], v[180:181], v[178:179]
	v_add_f64 v[18:19], v[18:19], -v[68:69]
	v_fma_f64 v[180:181], v[182:183], v[66:67], v[180:181]
	v_add_f64 v[20:21], v[20:21], -v[180:181]
	ds_read2_b64 v[180:183], v254 offset0:74 offset1:75
	s_waitcnt lgkmcnt(0)
	v_mul_f64 v[68:69], v[182:183], v[178:179]
	v_fma_f64 v[68:69], v[180:181], v[66:67], -v[68:69]
	v_mul_f64 v[180:181], v[180:181], v[178:179]
	v_add_f64 v[14:15], v[14:15], -v[68:69]
	v_fma_f64 v[180:181], v[182:183], v[66:67], v[180:181]
	v_add_f64 v[16:17], v[16:17], -v[180:181]
	ds_read2_b64 v[180:183], v254 offset0:76 offset1:77
	s_waitcnt lgkmcnt(0)
	v_mul_f64 v[68:69], v[182:183], v[178:179]
	v_fma_f64 v[68:69], v[180:181], v[66:67], -v[68:69]
	v_mul_f64 v[180:181], v[180:181], v[178:179]
	v_add_f64 v[10:11], v[10:11], -v[68:69]
	v_fma_f64 v[180:181], v[182:183], v[66:67], v[180:181]
	v_add_f64 v[12:13], v[12:13], -v[180:181]
	ds_read2_b64 v[180:183], v254 offset0:78 offset1:79
	s_waitcnt lgkmcnt(0)
	v_mul_f64 v[68:69], v[182:183], v[178:179]
	v_fma_f64 v[68:69], v[180:181], v[66:67], -v[68:69]
	v_mul_f64 v[180:181], v[180:181], v[178:179]
	v_add_f64 v[6:7], v[6:7], -v[68:69]
	v_fma_f64 v[180:181], v[182:183], v[66:67], v[180:181]
	v_add_f64 v[8:9], v[8:9], -v[180:181]
	ds_read2_b64 v[180:183], v254 offset0:80 offset1:81
	s_waitcnt lgkmcnt(0)
	v_mul_f64 v[68:69], v[182:183], v[178:179]
	v_fma_f64 v[68:69], v[180:181], v[66:67], -v[68:69]
	v_mul_f64 v[180:181], v[180:181], v[178:179]
	v_add_f64 v[2:3], v[2:3], -v[68:69]
	v_fma_f64 v[180:181], v[182:183], v[66:67], v[180:181]
	v_mov_b32_e32 v68, v178
	v_mov_b32_e32 v69, v179
	v_add_f64 v[4:5], v[4:5], -v[180:181]
.LBB81_226:
	s_or_b32 exec_lo, exec_lo, s1
	s_mov_b32 s2, exec_lo
	s_waitcnt lgkmcnt(0)
	s_barrier
	buffer_gl0_inv
	v_cmpx_eq_u32_e32 25, v0
	s_cbranch_execz .LBB81_233
; %bb.227:
	ds_write2_b64 v1, v[62:63], v[64:65] offset1:1
	ds_write2_b64 v254, v[58:59], v[60:61] offset0:52 offset1:53
	ds_write2_b64 v254, v[54:55], v[56:57] offset0:54 offset1:55
	;; [unrolled: 1-line block ×15, first 2 shown]
	ds_read2_b64 v[178:181], v1 offset1:1
	s_waitcnt lgkmcnt(0)
	v_cmp_neq_f64_e32 vcc_lo, 0, v[178:179]
	v_cmp_neq_f64_e64 s1, 0, v[180:181]
	s_or_b32 s1, vcc_lo, s1
	s_and_b32 exec_lo, exec_lo, s1
	s_cbranch_execz .LBB81_233
; %bb.228:
	v_cmp_ngt_f64_e64 s1, |v[178:179]|, |v[180:181]|
                                        ; implicit-def: $vgpr182_vgpr183
	s_and_saveexec_b32 s3, s1
	s_xor_b32 s1, exec_lo, s3
                                        ; implicit-def: $vgpr184_vgpr185
	s_cbranch_execz .LBB81_230
; %bb.229:
	v_div_scale_f64 v[182:183], null, v[180:181], v[180:181], v[178:179]
	v_div_scale_f64 v[188:189], vcc_lo, v[178:179], v[180:181], v[178:179]
	v_rcp_f64_e32 v[184:185], v[182:183]
	v_fma_f64 v[186:187], -v[182:183], v[184:185], 1.0
	v_fma_f64 v[184:185], v[184:185], v[186:187], v[184:185]
	v_fma_f64 v[186:187], -v[182:183], v[184:185], 1.0
	v_fma_f64 v[184:185], v[184:185], v[186:187], v[184:185]
	v_mul_f64 v[186:187], v[188:189], v[184:185]
	v_fma_f64 v[182:183], -v[182:183], v[186:187], v[188:189]
	v_div_fmas_f64 v[182:183], v[182:183], v[184:185], v[186:187]
	v_div_fixup_f64 v[182:183], v[182:183], v[180:181], v[178:179]
	v_fma_f64 v[178:179], v[178:179], v[182:183], v[180:181]
	v_div_scale_f64 v[180:181], null, v[178:179], v[178:179], 1.0
	v_rcp_f64_e32 v[184:185], v[180:181]
	v_fma_f64 v[186:187], -v[180:181], v[184:185], 1.0
	v_fma_f64 v[184:185], v[184:185], v[186:187], v[184:185]
	v_fma_f64 v[186:187], -v[180:181], v[184:185], 1.0
	v_fma_f64 v[184:185], v[184:185], v[186:187], v[184:185]
	v_div_scale_f64 v[186:187], vcc_lo, 1.0, v[178:179], 1.0
	v_mul_f64 v[188:189], v[186:187], v[184:185]
	v_fma_f64 v[180:181], -v[180:181], v[188:189], v[186:187]
	v_div_fmas_f64 v[180:181], v[180:181], v[184:185], v[188:189]
	v_div_fixup_f64 v[184:185], v[180:181], v[178:179], 1.0
                                        ; implicit-def: $vgpr178_vgpr179
	v_mul_f64 v[182:183], v[182:183], v[184:185]
	v_xor_b32_e32 v185, 0x80000000, v185
.LBB81_230:
	s_andn2_saveexec_b32 s1, s1
	s_cbranch_execz .LBB81_232
; %bb.231:
	v_div_scale_f64 v[182:183], null, v[178:179], v[178:179], v[180:181]
	v_div_scale_f64 v[188:189], vcc_lo, v[180:181], v[178:179], v[180:181]
	v_rcp_f64_e32 v[184:185], v[182:183]
	v_fma_f64 v[186:187], -v[182:183], v[184:185], 1.0
	v_fma_f64 v[184:185], v[184:185], v[186:187], v[184:185]
	v_fma_f64 v[186:187], -v[182:183], v[184:185], 1.0
	v_fma_f64 v[184:185], v[184:185], v[186:187], v[184:185]
	v_mul_f64 v[186:187], v[188:189], v[184:185]
	v_fma_f64 v[182:183], -v[182:183], v[186:187], v[188:189]
	v_div_fmas_f64 v[182:183], v[182:183], v[184:185], v[186:187]
	v_div_fixup_f64 v[184:185], v[182:183], v[178:179], v[180:181]
	v_fma_f64 v[178:179], v[180:181], v[184:185], v[178:179]
	v_div_scale_f64 v[180:181], null, v[178:179], v[178:179], 1.0
	v_rcp_f64_e32 v[182:183], v[180:181]
	v_fma_f64 v[186:187], -v[180:181], v[182:183], 1.0
	v_fma_f64 v[182:183], v[182:183], v[186:187], v[182:183]
	v_fma_f64 v[186:187], -v[180:181], v[182:183], 1.0
	v_fma_f64 v[182:183], v[182:183], v[186:187], v[182:183]
	v_div_scale_f64 v[186:187], vcc_lo, 1.0, v[178:179], 1.0
	v_mul_f64 v[188:189], v[186:187], v[182:183]
	v_fma_f64 v[180:181], -v[180:181], v[188:189], v[186:187]
	v_div_fmas_f64 v[180:181], v[180:181], v[182:183], v[188:189]
	v_div_fixup_f64 v[182:183], v[180:181], v[178:179], 1.0
	v_mul_f64 v[184:185], v[184:185], -v[182:183]
.LBB81_232:
	s_or_b32 exec_lo, exec_lo, s1
	ds_write2_b64 v1, v[182:183], v[184:185] offset1:1
.LBB81_233:
	s_or_b32 exec_lo, exec_lo, s2
	s_waitcnt lgkmcnt(0)
	s_barrier
	buffer_gl0_inv
	ds_read2_b64 v[178:181], v1 offset1:1
	s_mov_b32 s1, exec_lo
	v_cmpx_lt_u32_e32 25, v0
	s_cbranch_execz .LBB81_235
; %bb.234:
	s_waitcnt lgkmcnt(0)
	v_mul_f64 v[182:183], v[178:179], v[64:65]
	v_mul_f64 v[64:65], v[180:181], v[64:65]
	ds_read2_b64 v[184:187], v254 offset0:52 offset1:53
	v_fma_f64 v[182:183], v[180:181], v[62:63], v[182:183]
	v_fma_f64 v[62:63], v[178:179], v[62:63], -v[64:65]
	s_waitcnt lgkmcnt(0)
	v_mul_f64 v[64:65], v[186:187], v[182:183]
	v_fma_f64 v[64:65], v[184:185], v[62:63], -v[64:65]
	v_mul_f64 v[184:185], v[184:185], v[182:183]
	v_add_f64 v[58:59], v[58:59], -v[64:65]
	v_fma_f64 v[184:185], v[186:187], v[62:63], v[184:185]
	v_add_f64 v[60:61], v[60:61], -v[184:185]
	ds_read2_b64 v[184:187], v254 offset0:54 offset1:55
	s_waitcnt lgkmcnt(0)
	v_mul_f64 v[64:65], v[186:187], v[182:183]
	v_fma_f64 v[64:65], v[184:185], v[62:63], -v[64:65]
	v_mul_f64 v[184:185], v[184:185], v[182:183]
	v_add_f64 v[54:55], v[54:55], -v[64:65]
	v_fma_f64 v[184:185], v[186:187], v[62:63], v[184:185]
	v_add_f64 v[56:57], v[56:57], -v[184:185]
	ds_read2_b64 v[184:187], v254 offset0:56 offset1:57
	s_waitcnt lgkmcnt(0)
	v_mul_f64 v[64:65], v[186:187], v[182:183]
	v_fma_f64 v[64:65], v[184:185], v[62:63], -v[64:65]
	v_mul_f64 v[184:185], v[184:185], v[182:183]
	v_add_f64 v[50:51], v[50:51], -v[64:65]
	v_fma_f64 v[184:185], v[186:187], v[62:63], v[184:185]
	v_add_f64 v[52:53], v[52:53], -v[184:185]
	ds_read2_b64 v[184:187], v254 offset0:58 offset1:59
	s_waitcnt lgkmcnt(0)
	v_mul_f64 v[64:65], v[186:187], v[182:183]
	v_fma_f64 v[64:65], v[184:185], v[62:63], -v[64:65]
	v_mul_f64 v[184:185], v[184:185], v[182:183]
	v_add_f64 v[46:47], v[46:47], -v[64:65]
	v_fma_f64 v[184:185], v[186:187], v[62:63], v[184:185]
	v_add_f64 v[48:49], v[48:49], -v[184:185]
	ds_read2_b64 v[184:187], v254 offset0:60 offset1:61
	s_waitcnt lgkmcnt(0)
	v_mul_f64 v[64:65], v[186:187], v[182:183]
	v_fma_f64 v[64:65], v[184:185], v[62:63], -v[64:65]
	v_mul_f64 v[184:185], v[184:185], v[182:183]
	v_add_f64 v[42:43], v[42:43], -v[64:65]
	v_fma_f64 v[184:185], v[186:187], v[62:63], v[184:185]
	v_add_f64 v[44:45], v[44:45], -v[184:185]
	ds_read2_b64 v[184:187], v254 offset0:62 offset1:63
	s_waitcnt lgkmcnt(0)
	v_mul_f64 v[64:65], v[186:187], v[182:183]
	v_fma_f64 v[64:65], v[184:185], v[62:63], -v[64:65]
	v_mul_f64 v[184:185], v[184:185], v[182:183]
	v_add_f64 v[38:39], v[38:39], -v[64:65]
	v_fma_f64 v[184:185], v[186:187], v[62:63], v[184:185]
	v_add_f64 v[40:41], v[40:41], -v[184:185]
	ds_read2_b64 v[184:187], v254 offset0:64 offset1:65
	s_waitcnt lgkmcnt(0)
	v_mul_f64 v[64:65], v[186:187], v[182:183]
	v_fma_f64 v[64:65], v[184:185], v[62:63], -v[64:65]
	v_mul_f64 v[184:185], v[184:185], v[182:183]
	v_add_f64 v[34:35], v[34:35], -v[64:65]
	v_fma_f64 v[184:185], v[186:187], v[62:63], v[184:185]
	v_add_f64 v[36:37], v[36:37], -v[184:185]
	ds_read2_b64 v[184:187], v254 offset0:66 offset1:67
	s_waitcnt lgkmcnt(0)
	v_mul_f64 v[64:65], v[186:187], v[182:183]
	v_fma_f64 v[64:65], v[184:185], v[62:63], -v[64:65]
	v_mul_f64 v[184:185], v[184:185], v[182:183]
	v_add_f64 v[30:31], v[30:31], -v[64:65]
	v_fma_f64 v[184:185], v[186:187], v[62:63], v[184:185]
	v_add_f64 v[32:33], v[32:33], -v[184:185]
	ds_read2_b64 v[184:187], v254 offset0:68 offset1:69
	s_waitcnt lgkmcnt(0)
	v_mul_f64 v[64:65], v[186:187], v[182:183]
	v_fma_f64 v[64:65], v[184:185], v[62:63], -v[64:65]
	v_mul_f64 v[184:185], v[184:185], v[182:183]
	v_add_f64 v[26:27], v[26:27], -v[64:65]
	v_fma_f64 v[184:185], v[186:187], v[62:63], v[184:185]
	v_add_f64 v[28:29], v[28:29], -v[184:185]
	ds_read2_b64 v[184:187], v254 offset0:70 offset1:71
	s_waitcnt lgkmcnt(0)
	v_mul_f64 v[64:65], v[186:187], v[182:183]
	v_fma_f64 v[64:65], v[184:185], v[62:63], -v[64:65]
	v_mul_f64 v[184:185], v[184:185], v[182:183]
	v_add_f64 v[22:23], v[22:23], -v[64:65]
	v_fma_f64 v[184:185], v[186:187], v[62:63], v[184:185]
	v_add_f64 v[24:25], v[24:25], -v[184:185]
	ds_read2_b64 v[184:187], v254 offset0:72 offset1:73
	s_waitcnt lgkmcnt(0)
	v_mul_f64 v[64:65], v[186:187], v[182:183]
	v_fma_f64 v[64:65], v[184:185], v[62:63], -v[64:65]
	v_mul_f64 v[184:185], v[184:185], v[182:183]
	v_add_f64 v[18:19], v[18:19], -v[64:65]
	v_fma_f64 v[184:185], v[186:187], v[62:63], v[184:185]
	v_add_f64 v[20:21], v[20:21], -v[184:185]
	ds_read2_b64 v[184:187], v254 offset0:74 offset1:75
	s_waitcnt lgkmcnt(0)
	v_mul_f64 v[64:65], v[186:187], v[182:183]
	v_fma_f64 v[64:65], v[184:185], v[62:63], -v[64:65]
	v_mul_f64 v[184:185], v[184:185], v[182:183]
	v_add_f64 v[14:15], v[14:15], -v[64:65]
	v_fma_f64 v[184:185], v[186:187], v[62:63], v[184:185]
	v_add_f64 v[16:17], v[16:17], -v[184:185]
	ds_read2_b64 v[184:187], v254 offset0:76 offset1:77
	s_waitcnt lgkmcnt(0)
	v_mul_f64 v[64:65], v[186:187], v[182:183]
	v_fma_f64 v[64:65], v[184:185], v[62:63], -v[64:65]
	v_mul_f64 v[184:185], v[184:185], v[182:183]
	v_add_f64 v[10:11], v[10:11], -v[64:65]
	v_fma_f64 v[184:185], v[186:187], v[62:63], v[184:185]
	v_add_f64 v[12:13], v[12:13], -v[184:185]
	ds_read2_b64 v[184:187], v254 offset0:78 offset1:79
	s_waitcnt lgkmcnt(0)
	v_mul_f64 v[64:65], v[186:187], v[182:183]
	v_fma_f64 v[64:65], v[184:185], v[62:63], -v[64:65]
	v_mul_f64 v[184:185], v[184:185], v[182:183]
	v_add_f64 v[6:7], v[6:7], -v[64:65]
	v_fma_f64 v[184:185], v[186:187], v[62:63], v[184:185]
	v_add_f64 v[8:9], v[8:9], -v[184:185]
	ds_read2_b64 v[184:187], v254 offset0:80 offset1:81
	s_waitcnt lgkmcnt(0)
	v_mul_f64 v[64:65], v[186:187], v[182:183]
	v_fma_f64 v[64:65], v[184:185], v[62:63], -v[64:65]
	v_mul_f64 v[184:185], v[184:185], v[182:183]
	v_add_f64 v[2:3], v[2:3], -v[64:65]
	v_fma_f64 v[184:185], v[186:187], v[62:63], v[184:185]
	v_mov_b32_e32 v64, v182
	v_mov_b32_e32 v65, v183
	v_add_f64 v[4:5], v[4:5], -v[184:185]
.LBB81_235:
	s_or_b32 exec_lo, exec_lo, s1
	s_mov_b32 s2, exec_lo
	s_waitcnt lgkmcnt(0)
	s_barrier
	buffer_gl0_inv
	v_cmpx_eq_u32_e32 26, v0
	s_cbranch_execz .LBB81_242
; %bb.236:
	ds_write2_b64 v1, v[58:59], v[60:61] offset1:1
	ds_write2_b64 v254, v[54:55], v[56:57] offset0:54 offset1:55
	ds_write2_b64 v254, v[50:51], v[52:53] offset0:56 offset1:57
	;; [unrolled: 1-line block ×14, first 2 shown]
	ds_read2_b64 v[182:185], v1 offset1:1
	s_waitcnt lgkmcnt(0)
	v_cmp_neq_f64_e32 vcc_lo, 0, v[182:183]
	v_cmp_neq_f64_e64 s1, 0, v[184:185]
	s_or_b32 s1, vcc_lo, s1
	s_and_b32 exec_lo, exec_lo, s1
	s_cbranch_execz .LBB81_242
; %bb.237:
	v_cmp_ngt_f64_e64 s1, |v[182:183]|, |v[184:185]|
                                        ; implicit-def: $vgpr186_vgpr187
	s_and_saveexec_b32 s3, s1
	s_xor_b32 s1, exec_lo, s3
                                        ; implicit-def: $vgpr188_vgpr189
	s_cbranch_execz .LBB81_239
; %bb.238:
	v_div_scale_f64 v[186:187], null, v[184:185], v[184:185], v[182:183]
	v_div_scale_f64 v[192:193], vcc_lo, v[182:183], v[184:185], v[182:183]
	v_rcp_f64_e32 v[188:189], v[186:187]
	v_fma_f64 v[190:191], -v[186:187], v[188:189], 1.0
	v_fma_f64 v[188:189], v[188:189], v[190:191], v[188:189]
	v_fma_f64 v[190:191], -v[186:187], v[188:189], 1.0
	v_fma_f64 v[188:189], v[188:189], v[190:191], v[188:189]
	v_mul_f64 v[190:191], v[192:193], v[188:189]
	v_fma_f64 v[186:187], -v[186:187], v[190:191], v[192:193]
	v_div_fmas_f64 v[186:187], v[186:187], v[188:189], v[190:191]
	v_div_fixup_f64 v[186:187], v[186:187], v[184:185], v[182:183]
	v_fma_f64 v[182:183], v[182:183], v[186:187], v[184:185]
	v_div_scale_f64 v[184:185], null, v[182:183], v[182:183], 1.0
	v_rcp_f64_e32 v[188:189], v[184:185]
	v_fma_f64 v[190:191], -v[184:185], v[188:189], 1.0
	v_fma_f64 v[188:189], v[188:189], v[190:191], v[188:189]
	v_fma_f64 v[190:191], -v[184:185], v[188:189], 1.0
	v_fma_f64 v[188:189], v[188:189], v[190:191], v[188:189]
	v_div_scale_f64 v[190:191], vcc_lo, 1.0, v[182:183], 1.0
	v_mul_f64 v[192:193], v[190:191], v[188:189]
	v_fma_f64 v[184:185], -v[184:185], v[192:193], v[190:191]
	v_div_fmas_f64 v[184:185], v[184:185], v[188:189], v[192:193]
	v_div_fixup_f64 v[188:189], v[184:185], v[182:183], 1.0
                                        ; implicit-def: $vgpr182_vgpr183
	v_mul_f64 v[186:187], v[186:187], v[188:189]
	v_xor_b32_e32 v189, 0x80000000, v189
.LBB81_239:
	s_andn2_saveexec_b32 s1, s1
	s_cbranch_execz .LBB81_241
; %bb.240:
	v_div_scale_f64 v[186:187], null, v[182:183], v[182:183], v[184:185]
	v_div_scale_f64 v[192:193], vcc_lo, v[184:185], v[182:183], v[184:185]
	v_rcp_f64_e32 v[188:189], v[186:187]
	v_fma_f64 v[190:191], -v[186:187], v[188:189], 1.0
	v_fma_f64 v[188:189], v[188:189], v[190:191], v[188:189]
	v_fma_f64 v[190:191], -v[186:187], v[188:189], 1.0
	v_fma_f64 v[188:189], v[188:189], v[190:191], v[188:189]
	v_mul_f64 v[190:191], v[192:193], v[188:189]
	v_fma_f64 v[186:187], -v[186:187], v[190:191], v[192:193]
	v_div_fmas_f64 v[186:187], v[186:187], v[188:189], v[190:191]
	v_div_fixup_f64 v[188:189], v[186:187], v[182:183], v[184:185]
	v_fma_f64 v[182:183], v[184:185], v[188:189], v[182:183]
	v_div_scale_f64 v[184:185], null, v[182:183], v[182:183], 1.0
	v_rcp_f64_e32 v[186:187], v[184:185]
	v_fma_f64 v[190:191], -v[184:185], v[186:187], 1.0
	v_fma_f64 v[186:187], v[186:187], v[190:191], v[186:187]
	v_fma_f64 v[190:191], -v[184:185], v[186:187], 1.0
	v_fma_f64 v[186:187], v[186:187], v[190:191], v[186:187]
	v_div_scale_f64 v[190:191], vcc_lo, 1.0, v[182:183], 1.0
	v_mul_f64 v[192:193], v[190:191], v[186:187]
	v_fma_f64 v[184:185], -v[184:185], v[192:193], v[190:191]
	v_div_fmas_f64 v[184:185], v[184:185], v[186:187], v[192:193]
	v_div_fixup_f64 v[186:187], v[184:185], v[182:183], 1.0
	v_mul_f64 v[188:189], v[188:189], -v[186:187]
.LBB81_241:
	s_or_b32 exec_lo, exec_lo, s1
	ds_write2_b64 v1, v[186:187], v[188:189] offset1:1
.LBB81_242:
	s_or_b32 exec_lo, exec_lo, s2
	s_waitcnt lgkmcnt(0)
	s_barrier
	buffer_gl0_inv
	ds_read2_b64 v[182:185], v1 offset1:1
	s_mov_b32 s1, exec_lo
	v_cmpx_lt_u32_e32 26, v0
	s_cbranch_execz .LBB81_244
; %bb.243:
	s_waitcnt lgkmcnt(0)
	v_mul_f64 v[186:187], v[182:183], v[60:61]
	v_mul_f64 v[60:61], v[184:185], v[60:61]
	ds_read2_b64 v[188:191], v254 offset0:54 offset1:55
	v_fma_f64 v[186:187], v[184:185], v[58:59], v[186:187]
	v_fma_f64 v[58:59], v[182:183], v[58:59], -v[60:61]
	s_waitcnt lgkmcnt(0)
	v_mul_f64 v[60:61], v[190:191], v[186:187]
	v_fma_f64 v[60:61], v[188:189], v[58:59], -v[60:61]
	v_mul_f64 v[188:189], v[188:189], v[186:187]
	v_add_f64 v[54:55], v[54:55], -v[60:61]
	v_fma_f64 v[188:189], v[190:191], v[58:59], v[188:189]
	v_add_f64 v[56:57], v[56:57], -v[188:189]
	ds_read2_b64 v[188:191], v254 offset0:56 offset1:57
	s_waitcnt lgkmcnt(0)
	v_mul_f64 v[60:61], v[190:191], v[186:187]
	v_fma_f64 v[60:61], v[188:189], v[58:59], -v[60:61]
	v_mul_f64 v[188:189], v[188:189], v[186:187]
	v_add_f64 v[50:51], v[50:51], -v[60:61]
	v_fma_f64 v[188:189], v[190:191], v[58:59], v[188:189]
	v_add_f64 v[52:53], v[52:53], -v[188:189]
	ds_read2_b64 v[188:191], v254 offset0:58 offset1:59
	;; [unrolled: 8-line block ×13, first 2 shown]
	s_waitcnt lgkmcnt(0)
	v_mul_f64 v[60:61], v[190:191], v[186:187]
	v_fma_f64 v[60:61], v[188:189], v[58:59], -v[60:61]
	v_mul_f64 v[188:189], v[188:189], v[186:187]
	v_add_f64 v[2:3], v[2:3], -v[60:61]
	v_fma_f64 v[188:189], v[190:191], v[58:59], v[188:189]
	v_mov_b32_e32 v60, v186
	v_mov_b32_e32 v61, v187
	v_add_f64 v[4:5], v[4:5], -v[188:189]
.LBB81_244:
	s_or_b32 exec_lo, exec_lo, s1
	s_mov_b32 s2, exec_lo
	s_waitcnt lgkmcnt(0)
	s_barrier
	buffer_gl0_inv
	v_cmpx_eq_u32_e32 27, v0
	s_cbranch_execz .LBB81_251
; %bb.245:
	ds_write2_b64 v1, v[54:55], v[56:57] offset1:1
	ds_write2_b64 v254, v[50:51], v[52:53] offset0:56 offset1:57
	ds_write2_b64 v254, v[46:47], v[48:49] offset0:58 offset1:59
	;; [unrolled: 1-line block ×13, first 2 shown]
	ds_read2_b64 v[186:189], v1 offset1:1
	s_waitcnt lgkmcnt(0)
	v_cmp_neq_f64_e32 vcc_lo, 0, v[186:187]
	v_cmp_neq_f64_e64 s1, 0, v[188:189]
	s_or_b32 s1, vcc_lo, s1
	s_and_b32 exec_lo, exec_lo, s1
	s_cbranch_execz .LBB81_251
; %bb.246:
	v_cmp_ngt_f64_e64 s1, |v[186:187]|, |v[188:189]|
                                        ; implicit-def: $vgpr190_vgpr191
	s_and_saveexec_b32 s3, s1
	s_xor_b32 s1, exec_lo, s3
                                        ; implicit-def: $vgpr192_vgpr193
	s_cbranch_execz .LBB81_248
; %bb.247:
	v_div_scale_f64 v[190:191], null, v[188:189], v[188:189], v[186:187]
	v_div_scale_f64 v[196:197], vcc_lo, v[186:187], v[188:189], v[186:187]
	v_rcp_f64_e32 v[192:193], v[190:191]
	v_fma_f64 v[194:195], -v[190:191], v[192:193], 1.0
	v_fma_f64 v[192:193], v[192:193], v[194:195], v[192:193]
	v_fma_f64 v[194:195], -v[190:191], v[192:193], 1.0
	v_fma_f64 v[192:193], v[192:193], v[194:195], v[192:193]
	v_mul_f64 v[194:195], v[196:197], v[192:193]
	v_fma_f64 v[190:191], -v[190:191], v[194:195], v[196:197]
	v_div_fmas_f64 v[190:191], v[190:191], v[192:193], v[194:195]
	v_div_fixup_f64 v[190:191], v[190:191], v[188:189], v[186:187]
	v_fma_f64 v[186:187], v[186:187], v[190:191], v[188:189]
	v_div_scale_f64 v[188:189], null, v[186:187], v[186:187], 1.0
	v_rcp_f64_e32 v[192:193], v[188:189]
	v_fma_f64 v[194:195], -v[188:189], v[192:193], 1.0
	v_fma_f64 v[192:193], v[192:193], v[194:195], v[192:193]
	v_fma_f64 v[194:195], -v[188:189], v[192:193], 1.0
	v_fma_f64 v[192:193], v[192:193], v[194:195], v[192:193]
	v_div_scale_f64 v[194:195], vcc_lo, 1.0, v[186:187], 1.0
	v_mul_f64 v[196:197], v[194:195], v[192:193]
	v_fma_f64 v[188:189], -v[188:189], v[196:197], v[194:195]
	v_div_fmas_f64 v[188:189], v[188:189], v[192:193], v[196:197]
	v_div_fixup_f64 v[192:193], v[188:189], v[186:187], 1.0
                                        ; implicit-def: $vgpr186_vgpr187
	v_mul_f64 v[190:191], v[190:191], v[192:193]
	v_xor_b32_e32 v193, 0x80000000, v193
.LBB81_248:
	s_andn2_saveexec_b32 s1, s1
	s_cbranch_execz .LBB81_250
; %bb.249:
	v_div_scale_f64 v[190:191], null, v[186:187], v[186:187], v[188:189]
	v_div_scale_f64 v[196:197], vcc_lo, v[188:189], v[186:187], v[188:189]
	v_rcp_f64_e32 v[192:193], v[190:191]
	v_fma_f64 v[194:195], -v[190:191], v[192:193], 1.0
	v_fma_f64 v[192:193], v[192:193], v[194:195], v[192:193]
	v_fma_f64 v[194:195], -v[190:191], v[192:193], 1.0
	v_fma_f64 v[192:193], v[192:193], v[194:195], v[192:193]
	v_mul_f64 v[194:195], v[196:197], v[192:193]
	v_fma_f64 v[190:191], -v[190:191], v[194:195], v[196:197]
	v_div_fmas_f64 v[190:191], v[190:191], v[192:193], v[194:195]
	v_div_fixup_f64 v[192:193], v[190:191], v[186:187], v[188:189]
	v_fma_f64 v[186:187], v[188:189], v[192:193], v[186:187]
	v_div_scale_f64 v[188:189], null, v[186:187], v[186:187], 1.0
	v_rcp_f64_e32 v[190:191], v[188:189]
	v_fma_f64 v[194:195], -v[188:189], v[190:191], 1.0
	v_fma_f64 v[190:191], v[190:191], v[194:195], v[190:191]
	v_fma_f64 v[194:195], -v[188:189], v[190:191], 1.0
	v_fma_f64 v[190:191], v[190:191], v[194:195], v[190:191]
	v_div_scale_f64 v[194:195], vcc_lo, 1.0, v[186:187], 1.0
	v_mul_f64 v[196:197], v[194:195], v[190:191]
	v_fma_f64 v[188:189], -v[188:189], v[196:197], v[194:195]
	v_div_fmas_f64 v[188:189], v[188:189], v[190:191], v[196:197]
	v_div_fixup_f64 v[190:191], v[188:189], v[186:187], 1.0
	v_mul_f64 v[192:193], v[192:193], -v[190:191]
.LBB81_250:
	s_or_b32 exec_lo, exec_lo, s1
	ds_write2_b64 v1, v[190:191], v[192:193] offset1:1
.LBB81_251:
	s_or_b32 exec_lo, exec_lo, s2
	s_waitcnt lgkmcnt(0)
	s_barrier
	buffer_gl0_inv
	ds_read2_b64 v[186:189], v1 offset1:1
	s_mov_b32 s1, exec_lo
	v_cmpx_lt_u32_e32 27, v0
	s_cbranch_execz .LBB81_253
; %bb.252:
	s_waitcnt lgkmcnt(0)
	v_mul_f64 v[190:191], v[186:187], v[56:57]
	v_mul_f64 v[56:57], v[188:189], v[56:57]
	ds_read2_b64 v[192:195], v254 offset0:56 offset1:57
	v_fma_f64 v[190:191], v[188:189], v[54:55], v[190:191]
	v_fma_f64 v[54:55], v[186:187], v[54:55], -v[56:57]
	s_waitcnt lgkmcnt(0)
	v_mul_f64 v[56:57], v[194:195], v[190:191]
	v_fma_f64 v[56:57], v[192:193], v[54:55], -v[56:57]
	v_mul_f64 v[192:193], v[192:193], v[190:191]
	v_add_f64 v[50:51], v[50:51], -v[56:57]
	v_fma_f64 v[192:193], v[194:195], v[54:55], v[192:193]
	v_add_f64 v[52:53], v[52:53], -v[192:193]
	ds_read2_b64 v[192:195], v254 offset0:58 offset1:59
	s_waitcnt lgkmcnt(0)
	v_mul_f64 v[56:57], v[194:195], v[190:191]
	v_fma_f64 v[56:57], v[192:193], v[54:55], -v[56:57]
	v_mul_f64 v[192:193], v[192:193], v[190:191]
	v_add_f64 v[46:47], v[46:47], -v[56:57]
	v_fma_f64 v[192:193], v[194:195], v[54:55], v[192:193]
	v_add_f64 v[48:49], v[48:49], -v[192:193]
	ds_read2_b64 v[192:195], v254 offset0:60 offset1:61
	;; [unrolled: 8-line block ×12, first 2 shown]
	s_waitcnt lgkmcnt(0)
	v_mul_f64 v[56:57], v[194:195], v[190:191]
	v_fma_f64 v[56:57], v[192:193], v[54:55], -v[56:57]
	v_mul_f64 v[192:193], v[192:193], v[190:191]
	v_add_f64 v[2:3], v[2:3], -v[56:57]
	v_fma_f64 v[192:193], v[194:195], v[54:55], v[192:193]
	v_mov_b32_e32 v56, v190
	v_mov_b32_e32 v57, v191
	v_add_f64 v[4:5], v[4:5], -v[192:193]
.LBB81_253:
	s_or_b32 exec_lo, exec_lo, s1
	s_mov_b32 s2, exec_lo
	s_waitcnt lgkmcnt(0)
	s_barrier
	buffer_gl0_inv
	v_cmpx_eq_u32_e32 28, v0
	s_cbranch_execz .LBB81_260
; %bb.254:
	ds_write2_b64 v1, v[50:51], v[52:53] offset1:1
	ds_write2_b64 v254, v[46:47], v[48:49] offset0:58 offset1:59
	ds_write2_b64 v254, v[42:43], v[44:45] offset0:60 offset1:61
	;; [unrolled: 1-line block ×12, first 2 shown]
	ds_read2_b64 v[190:193], v1 offset1:1
	s_waitcnt lgkmcnt(0)
	v_cmp_neq_f64_e32 vcc_lo, 0, v[190:191]
	v_cmp_neq_f64_e64 s1, 0, v[192:193]
	s_or_b32 s1, vcc_lo, s1
	s_and_b32 exec_lo, exec_lo, s1
	s_cbranch_execz .LBB81_260
; %bb.255:
	v_cmp_ngt_f64_e64 s1, |v[190:191]|, |v[192:193]|
                                        ; implicit-def: $vgpr194_vgpr195
	s_and_saveexec_b32 s3, s1
	s_xor_b32 s1, exec_lo, s3
                                        ; implicit-def: $vgpr196_vgpr197
	s_cbranch_execz .LBB81_257
; %bb.256:
	v_div_scale_f64 v[194:195], null, v[192:193], v[192:193], v[190:191]
	v_div_scale_f64 v[200:201], vcc_lo, v[190:191], v[192:193], v[190:191]
	v_rcp_f64_e32 v[196:197], v[194:195]
	v_fma_f64 v[198:199], -v[194:195], v[196:197], 1.0
	v_fma_f64 v[196:197], v[196:197], v[198:199], v[196:197]
	v_fma_f64 v[198:199], -v[194:195], v[196:197], 1.0
	v_fma_f64 v[196:197], v[196:197], v[198:199], v[196:197]
	v_mul_f64 v[198:199], v[200:201], v[196:197]
	v_fma_f64 v[194:195], -v[194:195], v[198:199], v[200:201]
	v_div_fmas_f64 v[194:195], v[194:195], v[196:197], v[198:199]
	v_div_fixup_f64 v[194:195], v[194:195], v[192:193], v[190:191]
	v_fma_f64 v[190:191], v[190:191], v[194:195], v[192:193]
	v_div_scale_f64 v[192:193], null, v[190:191], v[190:191], 1.0
	v_rcp_f64_e32 v[196:197], v[192:193]
	v_fma_f64 v[198:199], -v[192:193], v[196:197], 1.0
	v_fma_f64 v[196:197], v[196:197], v[198:199], v[196:197]
	v_fma_f64 v[198:199], -v[192:193], v[196:197], 1.0
	v_fma_f64 v[196:197], v[196:197], v[198:199], v[196:197]
	v_div_scale_f64 v[198:199], vcc_lo, 1.0, v[190:191], 1.0
	v_mul_f64 v[200:201], v[198:199], v[196:197]
	v_fma_f64 v[192:193], -v[192:193], v[200:201], v[198:199]
	v_div_fmas_f64 v[192:193], v[192:193], v[196:197], v[200:201]
	v_div_fixup_f64 v[196:197], v[192:193], v[190:191], 1.0
                                        ; implicit-def: $vgpr190_vgpr191
	v_mul_f64 v[194:195], v[194:195], v[196:197]
	v_xor_b32_e32 v197, 0x80000000, v197
.LBB81_257:
	s_andn2_saveexec_b32 s1, s1
	s_cbranch_execz .LBB81_259
; %bb.258:
	v_div_scale_f64 v[194:195], null, v[190:191], v[190:191], v[192:193]
	v_div_scale_f64 v[200:201], vcc_lo, v[192:193], v[190:191], v[192:193]
	v_rcp_f64_e32 v[196:197], v[194:195]
	v_fma_f64 v[198:199], -v[194:195], v[196:197], 1.0
	v_fma_f64 v[196:197], v[196:197], v[198:199], v[196:197]
	v_fma_f64 v[198:199], -v[194:195], v[196:197], 1.0
	v_fma_f64 v[196:197], v[196:197], v[198:199], v[196:197]
	v_mul_f64 v[198:199], v[200:201], v[196:197]
	v_fma_f64 v[194:195], -v[194:195], v[198:199], v[200:201]
	v_div_fmas_f64 v[194:195], v[194:195], v[196:197], v[198:199]
	v_div_fixup_f64 v[196:197], v[194:195], v[190:191], v[192:193]
	v_fma_f64 v[190:191], v[192:193], v[196:197], v[190:191]
	v_div_scale_f64 v[192:193], null, v[190:191], v[190:191], 1.0
	v_rcp_f64_e32 v[194:195], v[192:193]
	v_fma_f64 v[198:199], -v[192:193], v[194:195], 1.0
	v_fma_f64 v[194:195], v[194:195], v[198:199], v[194:195]
	v_fma_f64 v[198:199], -v[192:193], v[194:195], 1.0
	v_fma_f64 v[194:195], v[194:195], v[198:199], v[194:195]
	v_div_scale_f64 v[198:199], vcc_lo, 1.0, v[190:191], 1.0
	v_mul_f64 v[200:201], v[198:199], v[194:195]
	v_fma_f64 v[192:193], -v[192:193], v[200:201], v[198:199]
	v_div_fmas_f64 v[192:193], v[192:193], v[194:195], v[200:201]
	v_div_fixup_f64 v[194:195], v[192:193], v[190:191], 1.0
	v_mul_f64 v[196:197], v[196:197], -v[194:195]
.LBB81_259:
	s_or_b32 exec_lo, exec_lo, s1
	ds_write2_b64 v1, v[194:195], v[196:197] offset1:1
.LBB81_260:
	s_or_b32 exec_lo, exec_lo, s2
	s_waitcnt lgkmcnt(0)
	s_barrier
	buffer_gl0_inv
	ds_read2_b64 v[190:193], v1 offset1:1
	s_mov_b32 s1, exec_lo
	v_cmpx_lt_u32_e32 28, v0
	s_cbranch_execz .LBB81_262
; %bb.261:
	s_waitcnt lgkmcnt(0)
	v_mul_f64 v[194:195], v[190:191], v[52:53]
	v_mul_f64 v[52:53], v[192:193], v[52:53]
	ds_read2_b64 v[196:199], v254 offset0:58 offset1:59
	v_fma_f64 v[194:195], v[192:193], v[50:51], v[194:195]
	v_fma_f64 v[50:51], v[190:191], v[50:51], -v[52:53]
	s_waitcnt lgkmcnt(0)
	v_mul_f64 v[52:53], v[198:199], v[194:195]
	v_fma_f64 v[52:53], v[196:197], v[50:51], -v[52:53]
	v_mul_f64 v[196:197], v[196:197], v[194:195]
	v_add_f64 v[46:47], v[46:47], -v[52:53]
	v_fma_f64 v[196:197], v[198:199], v[50:51], v[196:197]
	v_add_f64 v[48:49], v[48:49], -v[196:197]
	ds_read2_b64 v[196:199], v254 offset0:60 offset1:61
	s_waitcnt lgkmcnt(0)
	v_mul_f64 v[52:53], v[198:199], v[194:195]
	v_fma_f64 v[52:53], v[196:197], v[50:51], -v[52:53]
	v_mul_f64 v[196:197], v[196:197], v[194:195]
	v_add_f64 v[42:43], v[42:43], -v[52:53]
	v_fma_f64 v[196:197], v[198:199], v[50:51], v[196:197]
	v_add_f64 v[44:45], v[44:45], -v[196:197]
	ds_read2_b64 v[196:199], v254 offset0:62 offset1:63
	;; [unrolled: 8-line block ×11, first 2 shown]
	s_waitcnt lgkmcnt(0)
	v_mul_f64 v[52:53], v[198:199], v[194:195]
	v_fma_f64 v[52:53], v[196:197], v[50:51], -v[52:53]
	v_mul_f64 v[196:197], v[196:197], v[194:195]
	v_add_f64 v[2:3], v[2:3], -v[52:53]
	v_fma_f64 v[196:197], v[198:199], v[50:51], v[196:197]
	v_mov_b32_e32 v52, v194
	v_mov_b32_e32 v53, v195
	v_add_f64 v[4:5], v[4:5], -v[196:197]
.LBB81_262:
	s_or_b32 exec_lo, exec_lo, s1
	s_mov_b32 s2, exec_lo
	s_waitcnt lgkmcnt(0)
	s_barrier
	buffer_gl0_inv
	v_cmpx_eq_u32_e32 29, v0
	s_cbranch_execz .LBB81_269
; %bb.263:
	ds_write2_b64 v1, v[46:47], v[48:49] offset1:1
	ds_write2_b64 v254, v[42:43], v[44:45] offset0:60 offset1:61
	ds_write2_b64 v254, v[38:39], v[40:41] offset0:62 offset1:63
	ds_write2_b64 v254, v[34:35], v[36:37] offset0:64 offset1:65
	ds_write2_b64 v254, v[30:31], v[32:33] offset0:66 offset1:67
	ds_write2_b64 v254, v[26:27], v[28:29] offset0:68 offset1:69
	ds_write2_b64 v254, v[22:23], v[24:25] offset0:70 offset1:71
	ds_write2_b64 v254, v[18:19], v[20:21] offset0:72 offset1:73
	ds_write2_b64 v254, v[14:15], v[16:17] offset0:74 offset1:75
	ds_write2_b64 v254, v[10:11], v[12:13] offset0:76 offset1:77
	ds_write2_b64 v254, v[6:7], v[8:9] offset0:78 offset1:79
	ds_write2_b64 v254, v[2:3], v[4:5] offset0:80 offset1:81
	ds_read2_b64 v[194:197], v1 offset1:1
	s_waitcnt lgkmcnt(0)
	v_cmp_neq_f64_e32 vcc_lo, 0, v[194:195]
	v_cmp_neq_f64_e64 s1, 0, v[196:197]
	s_or_b32 s1, vcc_lo, s1
	s_and_b32 exec_lo, exec_lo, s1
	s_cbranch_execz .LBB81_269
; %bb.264:
	v_cmp_ngt_f64_e64 s1, |v[194:195]|, |v[196:197]|
                                        ; implicit-def: $vgpr198_vgpr199
	s_and_saveexec_b32 s3, s1
	s_xor_b32 s1, exec_lo, s3
                                        ; implicit-def: $vgpr200_vgpr201
	s_cbranch_execz .LBB81_266
; %bb.265:
	v_div_scale_f64 v[198:199], null, v[196:197], v[196:197], v[194:195]
	v_div_scale_f64 v[204:205], vcc_lo, v[194:195], v[196:197], v[194:195]
	v_rcp_f64_e32 v[200:201], v[198:199]
	v_fma_f64 v[202:203], -v[198:199], v[200:201], 1.0
	v_fma_f64 v[200:201], v[200:201], v[202:203], v[200:201]
	v_fma_f64 v[202:203], -v[198:199], v[200:201], 1.0
	v_fma_f64 v[200:201], v[200:201], v[202:203], v[200:201]
	v_mul_f64 v[202:203], v[204:205], v[200:201]
	v_fma_f64 v[198:199], -v[198:199], v[202:203], v[204:205]
	v_div_fmas_f64 v[198:199], v[198:199], v[200:201], v[202:203]
	v_div_fixup_f64 v[198:199], v[198:199], v[196:197], v[194:195]
	v_fma_f64 v[194:195], v[194:195], v[198:199], v[196:197]
	v_div_scale_f64 v[196:197], null, v[194:195], v[194:195], 1.0
	v_rcp_f64_e32 v[200:201], v[196:197]
	v_fma_f64 v[202:203], -v[196:197], v[200:201], 1.0
	v_fma_f64 v[200:201], v[200:201], v[202:203], v[200:201]
	v_fma_f64 v[202:203], -v[196:197], v[200:201], 1.0
	v_fma_f64 v[200:201], v[200:201], v[202:203], v[200:201]
	v_div_scale_f64 v[202:203], vcc_lo, 1.0, v[194:195], 1.0
	v_mul_f64 v[204:205], v[202:203], v[200:201]
	v_fma_f64 v[196:197], -v[196:197], v[204:205], v[202:203]
	v_div_fmas_f64 v[196:197], v[196:197], v[200:201], v[204:205]
	v_div_fixup_f64 v[200:201], v[196:197], v[194:195], 1.0
                                        ; implicit-def: $vgpr194_vgpr195
	v_mul_f64 v[198:199], v[198:199], v[200:201]
	v_xor_b32_e32 v201, 0x80000000, v201
.LBB81_266:
	s_andn2_saveexec_b32 s1, s1
	s_cbranch_execz .LBB81_268
; %bb.267:
	v_div_scale_f64 v[198:199], null, v[194:195], v[194:195], v[196:197]
	v_div_scale_f64 v[204:205], vcc_lo, v[196:197], v[194:195], v[196:197]
	v_rcp_f64_e32 v[200:201], v[198:199]
	v_fma_f64 v[202:203], -v[198:199], v[200:201], 1.0
	v_fma_f64 v[200:201], v[200:201], v[202:203], v[200:201]
	v_fma_f64 v[202:203], -v[198:199], v[200:201], 1.0
	v_fma_f64 v[200:201], v[200:201], v[202:203], v[200:201]
	v_mul_f64 v[202:203], v[204:205], v[200:201]
	v_fma_f64 v[198:199], -v[198:199], v[202:203], v[204:205]
	v_div_fmas_f64 v[198:199], v[198:199], v[200:201], v[202:203]
	v_div_fixup_f64 v[200:201], v[198:199], v[194:195], v[196:197]
	v_fma_f64 v[194:195], v[196:197], v[200:201], v[194:195]
	v_div_scale_f64 v[196:197], null, v[194:195], v[194:195], 1.0
	v_rcp_f64_e32 v[198:199], v[196:197]
	v_fma_f64 v[202:203], -v[196:197], v[198:199], 1.0
	v_fma_f64 v[198:199], v[198:199], v[202:203], v[198:199]
	v_fma_f64 v[202:203], -v[196:197], v[198:199], 1.0
	v_fma_f64 v[198:199], v[198:199], v[202:203], v[198:199]
	v_div_scale_f64 v[202:203], vcc_lo, 1.0, v[194:195], 1.0
	v_mul_f64 v[204:205], v[202:203], v[198:199]
	v_fma_f64 v[196:197], -v[196:197], v[204:205], v[202:203]
	v_div_fmas_f64 v[196:197], v[196:197], v[198:199], v[204:205]
	v_div_fixup_f64 v[198:199], v[196:197], v[194:195], 1.0
	v_mul_f64 v[200:201], v[200:201], -v[198:199]
.LBB81_268:
	s_or_b32 exec_lo, exec_lo, s1
	ds_write2_b64 v1, v[198:199], v[200:201] offset1:1
.LBB81_269:
	s_or_b32 exec_lo, exec_lo, s2
	s_waitcnt lgkmcnt(0)
	s_barrier
	buffer_gl0_inv
	ds_read2_b64 v[194:197], v1 offset1:1
	s_mov_b32 s1, exec_lo
	v_cmpx_lt_u32_e32 29, v0
	s_cbranch_execz .LBB81_271
; %bb.270:
	s_waitcnt lgkmcnt(0)
	v_mul_f64 v[198:199], v[194:195], v[48:49]
	v_mul_f64 v[48:49], v[196:197], v[48:49]
	ds_read2_b64 v[200:203], v254 offset0:60 offset1:61
	v_fma_f64 v[198:199], v[196:197], v[46:47], v[198:199]
	v_fma_f64 v[46:47], v[194:195], v[46:47], -v[48:49]
	s_waitcnt lgkmcnt(0)
	v_mul_f64 v[48:49], v[202:203], v[198:199]
	v_fma_f64 v[48:49], v[200:201], v[46:47], -v[48:49]
	v_mul_f64 v[200:201], v[200:201], v[198:199]
	v_add_f64 v[42:43], v[42:43], -v[48:49]
	v_fma_f64 v[200:201], v[202:203], v[46:47], v[200:201]
	v_add_f64 v[44:45], v[44:45], -v[200:201]
	ds_read2_b64 v[200:203], v254 offset0:62 offset1:63
	s_waitcnt lgkmcnt(0)
	v_mul_f64 v[48:49], v[202:203], v[198:199]
	v_fma_f64 v[48:49], v[200:201], v[46:47], -v[48:49]
	v_mul_f64 v[200:201], v[200:201], v[198:199]
	v_add_f64 v[38:39], v[38:39], -v[48:49]
	v_fma_f64 v[200:201], v[202:203], v[46:47], v[200:201]
	v_add_f64 v[40:41], v[40:41], -v[200:201]
	ds_read2_b64 v[200:203], v254 offset0:64 offset1:65
	;; [unrolled: 8-line block ×10, first 2 shown]
	s_waitcnt lgkmcnt(0)
	v_mul_f64 v[48:49], v[202:203], v[198:199]
	v_fma_f64 v[48:49], v[200:201], v[46:47], -v[48:49]
	v_mul_f64 v[200:201], v[200:201], v[198:199]
	v_add_f64 v[2:3], v[2:3], -v[48:49]
	v_fma_f64 v[200:201], v[202:203], v[46:47], v[200:201]
	v_mov_b32_e32 v48, v198
	v_mov_b32_e32 v49, v199
	v_add_f64 v[4:5], v[4:5], -v[200:201]
.LBB81_271:
	s_or_b32 exec_lo, exec_lo, s1
	s_mov_b32 s2, exec_lo
	s_waitcnt lgkmcnt(0)
	s_barrier
	buffer_gl0_inv
	v_cmpx_eq_u32_e32 30, v0
	s_cbranch_execz .LBB81_278
; %bb.272:
	ds_write2_b64 v1, v[42:43], v[44:45] offset1:1
	ds_write2_b64 v254, v[38:39], v[40:41] offset0:62 offset1:63
	ds_write2_b64 v254, v[34:35], v[36:37] offset0:64 offset1:65
	;; [unrolled: 1-line block ×10, first 2 shown]
	ds_read2_b64 v[198:201], v1 offset1:1
	s_waitcnt lgkmcnt(0)
	v_cmp_neq_f64_e32 vcc_lo, 0, v[198:199]
	v_cmp_neq_f64_e64 s1, 0, v[200:201]
	s_or_b32 s1, vcc_lo, s1
	s_and_b32 exec_lo, exec_lo, s1
	s_cbranch_execz .LBB81_278
; %bb.273:
	v_cmp_ngt_f64_e64 s1, |v[198:199]|, |v[200:201]|
                                        ; implicit-def: $vgpr202_vgpr203
	s_and_saveexec_b32 s3, s1
	s_xor_b32 s1, exec_lo, s3
                                        ; implicit-def: $vgpr204_vgpr205
	s_cbranch_execz .LBB81_275
; %bb.274:
	v_div_scale_f64 v[202:203], null, v[200:201], v[200:201], v[198:199]
	v_div_scale_f64 v[208:209], vcc_lo, v[198:199], v[200:201], v[198:199]
	v_rcp_f64_e32 v[204:205], v[202:203]
	v_fma_f64 v[206:207], -v[202:203], v[204:205], 1.0
	v_fma_f64 v[204:205], v[204:205], v[206:207], v[204:205]
	v_fma_f64 v[206:207], -v[202:203], v[204:205], 1.0
	v_fma_f64 v[204:205], v[204:205], v[206:207], v[204:205]
	v_mul_f64 v[206:207], v[208:209], v[204:205]
	v_fma_f64 v[202:203], -v[202:203], v[206:207], v[208:209]
	v_div_fmas_f64 v[202:203], v[202:203], v[204:205], v[206:207]
	v_div_fixup_f64 v[202:203], v[202:203], v[200:201], v[198:199]
	v_fma_f64 v[198:199], v[198:199], v[202:203], v[200:201]
	v_div_scale_f64 v[200:201], null, v[198:199], v[198:199], 1.0
	v_rcp_f64_e32 v[204:205], v[200:201]
	v_fma_f64 v[206:207], -v[200:201], v[204:205], 1.0
	v_fma_f64 v[204:205], v[204:205], v[206:207], v[204:205]
	v_fma_f64 v[206:207], -v[200:201], v[204:205], 1.0
	v_fma_f64 v[204:205], v[204:205], v[206:207], v[204:205]
	v_div_scale_f64 v[206:207], vcc_lo, 1.0, v[198:199], 1.0
	v_mul_f64 v[208:209], v[206:207], v[204:205]
	v_fma_f64 v[200:201], -v[200:201], v[208:209], v[206:207]
	v_div_fmas_f64 v[200:201], v[200:201], v[204:205], v[208:209]
	v_div_fixup_f64 v[204:205], v[200:201], v[198:199], 1.0
                                        ; implicit-def: $vgpr198_vgpr199
	v_mul_f64 v[202:203], v[202:203], v[204:205]
	v_xor_b32_e32 v205, 0x80000000, v205
.LBB81_275:
	s_andn2_saveexec_b32 s1, s1
	s_cbranch_execz .LBB81_277
; %bb.276:
	v_div_scale_f64 v[202:203], null, v[198:199], v[198:199], v[200:201]
	v_div_scale_f64 v[208:209], vcc_lo, v[200:201], v[198:199], v[200:201]
	v_rcp_f64_e32 v[204:205], v[202:203]
	v_fma_f64 v[206:207], -v[202:203], v[204:205], 1.0
	v_fma_f64 v[204:205], v[204:205], v[206:207], v[204:205]
	v_fma_f64 v[206:207], -v[202:203], v[204:205], 1.0
	v_fma_f64 v[204:205], v[204:205], v[206:207], v[204:205]
	v_mul_f64 v[206:207], v[208:209], v[204:205]
	v_fma_f64 v[202:203], -v[202:203], v[206:207], v[208:209]
	v_div_fmas_f64 v[202:203], v[202:203], v[204:205], v[206:207]
	v_div_fixup_f64 v[204:205], v[202:203], v[198:199], v[200:201]
	v_fma_f64 v[198:199], v[200:201], v[204:205], v[198:199]
	v_div_scale_f64 v[200:201], null, v[198:199], v[198:199], 1.0
	v_rcp_f64_e32 v[202:203], v[200:201]
	v_fma_f64 v[206:207], -v[200:201], v[202:203], 1.0
	v_fma_f64 v[202:203], v[202:203], v[206:207], v[202:203]
	v_fma_f64 v[206:207], -v[200:201], v[202:203], 1.0
	v_fma_f64 v[202:203], v[202:203], v[206:207], v[202:203]
	v_div_scale_f64 v[206:207], vcc_lo, 1.0, v[198:199], 1.0
	v_mul_f64 v[208:209], v[206:207], v[202:203]
	v_fma_f64 v[200:201], -v[200:201], v[208:209], v[206:207]
	v_div_fmas_f64 v[200:201], v[200:201], v[202:203], v[208:209]
	v_div_fixup_f64 v[202:203], v[200:201], v[198:199], 1.0
	v_mul_f64 v[204:205], v[204:205], -v[202:203]
.LBB81_277:
	s_or_b32 exec_lo, exec_lo, s1
	ds_write2_b64 v1, v[202:203], v[204:205] offset1:1
.LBB81_278:
	s_or_b32 exec_lo, exec_lo, s2
	s_waitcnt lgkmcnt(0)
	s_barrier
	buffer_gl0_inv
	ds_read2_b64 v[198:201], v1 offset1:1
	s_mov_b32 s1, exec_lo
	v_cmpx_lt_u32_e32 30, v0
	s_cbranch_execz .LBB81_280
; %bb.279:
	s_waitcnt lgkmcnt(0)
	v_mul_f64 v[202:203], v[198:199], v[44:45]
	v_mul_f64 v[44:45], v[200:201], v[44:45]
	v_fma_f64 v[206:207], v[200:201], v[42:43], v[202:203]
	ds_read2_b64 v[202:205], v254 offset0:62 offset1:63
	v_fma_f64 v[42:43], v[198:199], v[42:43], -v[44:45]
	s_waitcnt lgkmcnt(0)
	v_mul_f64 v[44:45], v[204:205], v[206:207]
	v_fma_f64 v[44:45], v[202:203], v[42:43], -v[44:45]
	v_mul_f64 v[202:203], v[202:203], v[206:207]
	v_add_f64 v[38:39], v[38:39], -v[44:45]
	v_fma_f64 v[202:203], v[204:205], v[42:43], v[202:203]
	v_add_f64 v[40:41], v[40:41], -v[202:203]
	ds_read2_b64 v[202:205], v254 offset0:64 offset1:65
	s_waitcnt lgkmcnt(0)
	v_mul_f64 v[44:45], v[204:205], v[206:207]
	v_fma_f64 v[44:45], v[202:203], v[42:43], -v[44:45]
	v_mul_f64 v[202:203], v[202:203], v[206:207]
	v_add_f64 v[34:35], v[34:35], -v[44:45]
	v_fma_f64 v[202:203], v[204:205], v[42:43], v[202:203]
	v_add_f64 v[36:37], v[36:37], -v[202:203]
	ds_read2_b64 v[202:205], v254 offset0:66 offset1:67
	;; [unrolled: 8-line block ×9, first 2 shown]
	s_waitcnt lgkmcnt(0)
	v_mul_f64 v[44:45], v[204:205], v[206:207]
	v_fma_f64 v[44:45], v[202:203], v[42:43], -v[44:45]
	v_mul_f64 v[202:203], v[202:203], v[206:207]
	v_add_f64 v[2:3], v[2:3], -v[44:45]
	v_fma_f64 v[202:203], v[204:205], v[42:43], v[202:203]
	v_mov_b32_e32 v44, v206
	v_mov_b32_e32 v45, v207
	v_add_f64 v[4:5], v[4:5], -v[202:203]
.LBB81_280:
	s_or_b32 exec_lo, exec_lo, s1
	s_mov_b32 s2, exec_lo
	s_waitcnt lgkmcnt(0)
	s_barrier
	buffer_gl0_inv
	v_cmpx_eq_u32_e32 31, v0
	s_cbranch_execz .LBB81_287
; %bb.281:
	ds_write2_b64 v1, v[38:39], v[40:41] offset1:1
	ds_write2_b64 v254, v[34:35], v[36:37] offset0:64 offset1:65
	ds_write2_b64 v254, v[30:31], v[32:33] offset0:66 offset1:67
	;; [unrolled: 1-line block ×9, first 2 shown]
	ds_read2_b64 v[202:205], v1 offset1:1
	s_waitcnt lgkmcnt(0)
	v_cmp_neq_f64_e32 vcc_lo, 0, v[202:203]
	v_cmp_neq_f64_e64 s1, 0, v[204:205]
	s_or_b32 s1, vcc_lo, s1
	s_and_b32 exec_lo, exec_lo, s1
	s_cbranch_execz .LBB81_287
; %bb.282:
	v_cmp_ngt_f64_e64 s1, |v[202:203]|, |v[204:205]|
                                        ; implicit-def: $vgpr206_vgpr207
	s_and_saveexec_b32 s3, s1
	s_xor_b32 s1, exec_lo, s3
                                        ; implicit-def: $vgpr208_vgpr209
	s_cbranch_execz .LBB81_284
; %bb.283:
	v_div_scale_f64 v[206:207], null, v[204:205], v[204:205], v[202:203]
	v_div_scale_f64 v[212:213], vcc_lo, v[202:203], v[204:205], v[202:203]
	v_rcp_f64_e32 v[208:209], v[206:207]
	v_fma_f64 v[210:211], -v[206:207], v[208:209], 1.0
	v_fma_f64 v[208:209], v[208:209], v[210:211], v[208:209]
	v_fma_f64 v[210:211], -v[206:207], v[208:209], 1.0
	v_fma_f64 v[208:209], v[208:209], v[210:211], v[208:209]
	v_mul_f64 v[210:211], v[212:213], v[208:209]
	v_fma_f64 v[206:207], -v[206:207], v[210:211], v[212:213]
	v_div_fmas_f64 v[206:207], v[206:207], v[208:209], v[210:211]
	v_div_fixup_f64 v[206:207], v[206:207], v[204:205], v[202:203]
	v_fma_f64 v[202:203], v[202:203], v[206:207], v[204:205]
	v_div_scale_f64 v[204:205], null, v[202:203], v[202:203], 1.0
	v_rcp_f64_e32 v[208:209], v[204:205]
	v_fma_f64 v[210:211], -v[204:205], v[208:209], 1.0
	v_fma_f64 v[208:209], v[208:209], v[210:211], v[208:209]
	v_fma_f64 v[210:211], -v[204:205], v[208:209], 1.0
	v_fma_f64 v[208:209], v[208:209], v[210:211], v[208:209]
	v_div_scale_f64 v[210:211], vcc_lo, 1.0, v[202:203], 1.0
	v_mul_f64 v[212:213], v[210:211], v[208:209]
	v_fma_f64 v[204:205], -v[204:205], v[212:213], v[210:211]
	v_div_fmas_f64 v[204:205], v[204:205], v[208:209], v[212:213]
	v_div_fixup_f64 v[208:209], v[204:205], v[202:203], 1.0
                                        ; implicit-def: $vgpr202_vgpr203
	v_mul_f64 v[206:207], v[206:207], v[208:209]
	v_xor_b32_e32 v209, 0x80000000, v209
.LBB81_284:
	s_andn2_saveexec_b32 s1, s1
	s_cbranch_execz .LBB81_286
; %bb.285:
	v_div_scale_f64 v[206:207], null, v[202:203], v[202:203], v[204:205]
	v_div_scale_f64 v[212:213], vcc_lo, v[204:205], v[202:203], v[204:205]
	v_rcp_f64_e32 v[208:209], v[206:207]
	v_fma_f64 v[210:211], -v[206:207], v[208:209], 1.0
	v_fma_f64 v[208:209], v[208:209], v[210:211], v[208:209]
	v_fma_f64 v[210:211], -v[206:207], v[208:209], 1.0
	v_fma_f64 v[208:209], v[208:209], v[210:211], v[208:209]
	v_mul_f64 v[210:211], v[212:213], v[208:209]
	v_fma_f64 v[206:207], -v[206:207], v[210:211], v[212:213]
	v_div_fmas_f64 v[206:207], v[206:207], v[208:209], v[210:211]
	v_div_fixup_f64 v[208:209], v[206:207], v[202:203], v[204:205]
	v_fma_f64 v[202:203], v[204:205], v[208:209], v[202:203]
	v_div_scale_f64 v[204:205], null, v[202:203], v[202:203], 1.0
	v_rcp_f64_e32 v[206:207], v[204:205]
	v_fma_f64 v[210:211], -v[204:205], v[206:207], 1.0
	v_fma_f64 v[206:207], v[206:207], v[210:211], v[206:207]
	v_fma_f64 v[210:211], -v[204:205], v[206:207], 1.0
	v_fma_f64 v[206:207], v[206:207], v[210:211], v[206:207]
	v_div_scale_f64 v[210:211], vcc_lo, 1.0, v[202:203], 1.0
	v_mul_f64 v[212:213], v[210:211], v[206:207]
	v_fma_f64 v[204:205], -v[204:205], v[212:213], v[210:211]
	v_div_fmas_f64 v[204:205], v[204:205], v[206:207], v[212:213]
	v_div_fixup_f64 v[206:207], v[204:205], v[202:203], 1.0
	v_mul_f64 v[208:209], v[208:209], -v[206:207]
.LBB81_286:
	s_or_b32 exec_lo, exec_lo, s1
	ds_write2_b64 v1, v[206:207], v[208:209] offset1:1
.LBB81_287:
	s_or_b32 exec_lo, exec_lo, s2
	s_waitcnt lgkmcnt(0)
	s_barrier
	buffer_gl0_inv
	ds_read2_b64 v[202:205], v1 offset1:1
	s_mov_b32 s1, exec_lo
	v_cmpx_lt_u32_e32 31, v0
	s_cbranch_execz .LBB81_289
; %bb.288:
	s_waitcnt lgkmcnt(0)
	v_mul_f64 v[206:207], v[202:203], v[40:41]
	v_mul_f64 v[40:41], v[204:205], v[40:41]
	v_fma_f64 v[210:211], v[204:205], v[38:39], v[206:207]
	ds_read2_b64 v[206:209], v254 offset0:64 offset1:65
	v_fma_f64 v[38:39], v[202:203], v[38:39], -v[40:41]
	s_waitcnt lgkmcnt(0)
	v_mul_f64 v[40:41], v[208:209], v[210:211]
	v_fma_f64 v[40:41], v[206:207], v[38:39], -v[40:41]
	v_mul_f64 v[206:207], v[206:207], v[210:211]
	v_add_f64 v[34:35], v[34:35], -v[40:41]
	v_fma_f64 v[206:207], v[208:209], v[38:39], v[206:207]
	v_add_f64 v[36:37], v[36:37], -v[206:207]
	ds_read2_b64 v[206:209], v254 offset0:66 offset1:67
	s_waitcnt lgkmcnt(0)
	v_mul_f64 v[40:41], v[208:209], v[210:211]
	v_fma_f64 v[40:41], v[206:207], v[38:39], -v[40:41]
	v_mul_f64 v[206:207], v[206:207], v[210:211]
	v_add_f64 v[30:31], v[30:31], -v[40:41]
	v_fma_f64 v[206:207], v[208:209], v[38:39], v[206:207]
	v_add_f64 v[32:33], v[32:33], -v[206:207]
	ds_read2_b64 v[206:209], v254 offset0:68 offset1:69
	;; [unrolled: 8-line block ×8, first 2 shown]
	s_waitcnt lgkmcnt(0)
	v_mul_f64 v[40:41], v[208:209], v[210:211]
	v_fma_f64 v[40:41], v[206:207], v[38:39], -v[40:41]
	v_mul_f64 v[206:207], v[206:207], v[210:211]
	v_add_f64 v[2:3], v[2:3], -v[40:41]
	v_fma_f64 v[206:207], v[208:209], v[38:39], v[206:207]
	v_mov_b32_e32 v40, v210
	v_mov_b32_e32 v41, v211
	v_add_f64 v[4:5], v[4:5], -v[206:207]
.LBB81_289:
	s_or_b32 exec_lo, exec_lo, s1
	s_mov_b32 s2, exec_lo
	s_waitcnt lgkmcnt(0)
	s_barrier
	buffer_gl0_inv
	v_cmpx_eq_u32_e32 32, v0
	s_cbranch_execz .LBB81_296
; %bb.290:
	ds_write2_b64 v1, v[34:35], v[36:37] offset1:1
	ds_write2_b64 v254, v[30:31], v[32:33] offset0:66 offset1:67
	ds_write2_b64 v254, v[26:27], v[28:29] offset0:68 offset1:69
	;; [unrolled: 1-line block ×8, first 2 shown]
	ds_read2_b64 v[206:209], v1 offset1:1
	s_waitcnt lgkmcnt(0)
	v_cmp_neq_f64_e32 vcc_lo, 0, v[206:207]
	v_cmp_neq_f64_e64 s1, 0, v[208:209]
	s_or_b32 s1, vcc_lo, s1
	s_and_b32 exec_lo, exec_lo, s1
	s_cbranch_execz .LBB81_296
; %bb.291:
	v_cmp_ngt_f64_e64 s1, |v[206:207]|, |v[208:209]|
                                        ; implicit-def: $vgpr210_vgpr211
	s_and_saveexec_b32 s3, s1
	s_xor_b32 s1, exec_lo, s3
                                        ; implicit-def: $vgpr212_vgpr213
	s_cbranch_execz .LBB81_293
; %bb.292:
	v_div_scale_f64 v[210:211], null, v[208:209], v[208:209], v[206:207]
	v_div_scale_f64 v[216:217], vcc_lo, v[206:207], v[208:209], v[206:207]
	v_rcp_f64_e32 v[212:213], v[210:211]
	v_fma_f64 v[214:215], -v[210:211], v[212:213], 1.0
	v_fma_f64 v[212:213], v[212:213], v[214:215], v[212:213]
	v_fma_f64 v[214:215], -v[210:211], v[212:213], 1.0
	v_fma_f64 v[212:213], v[212:213], v[214:215], v[212:213]
	v_mul_f64 v[214:215], v[216:217], v[212:213]
	v_fma_f64 v[210:211], -v[210:211], v[214:215], v[216:217]
	v_div_fmas_f64 v[210:211], v[210:211], v[212:213], v[214:215]
	v_div_fixup_f64 v[210:211], v[210:211], v[208:209], v[206:207]
	v_fma_f64 v[206:207], v[206:207], v[210:211], v[208:209]
	v_div_scale_f64 v[208:209], null, v[206:207], v[206:207], 1.0
	v_rcp_f64_e32 v[212:213], v[208:209]
	v_fma_f64 v[214:215], -v[208:209], v[212:213], 1.0
	v_fma_f64 v[212:213], v[212:213], v[214:215], v[212:213]
	v_fma_f64 v[214:215], -v[208:209], v[212:213], 1.0
	v_fma_f64 v[212:213], v[212:213], v[214:215], v[212:213]
	v_div_scale_f64 v[214:215], vcc_lo, 1.0, v[206:207], 1.0
	v_mul_f64 v[216:217], v[214:215], v[212:213]
	v_fma_f64 v[208:209], -v[208:209], v[216:217], v[214:215]
	v_div_fmas_f64 v[208:209], v[208:209], v[212:213], v[216:217]
	v_div_fixup_f64 v[212:213], v[208:209], v[206:207], 1.0
                                        ; implicit-def: $vgpr206_vgpr207
	v_mul_f64 v[210:211], v[210:211], v[212:213]
	v_xor_b32_e32 v213, 0x80000000, v213
.LBB81_293:
	s_andn2_saveexec_b32 s1, s1
	s_cbranch_execz .LBB81_295
; %bb.294:
	v_div_scale_f64 v[210:211], null, v[206:207], v[206:207], v[208:209]
	v_div_scale_f64 v[216:217], vcc_lo, v[208:209], v[206:207], v[208:209]
	v_rcp_f64_e32 v[212:213], v[210:211]
	v_fma_f64 v[214:215], -v[210:211], v[212:213], 1.0
	v_fma_f64 v[212:213], v[212:213], v[214:215], v[212:213]
	v_fma_f64 v[214:215], -v[210:211], v[212:213], 1.0
	v_fma_f64 v[212:213], v[212:213], v[214:215], v[212:213]
	v_mul_f64 v[214:215], v[216:217], v[212:213]
	v_fma_f64 v[210:211], -v[210:211], v[214:215], v[216:217]
	v_div_fmas_f64 v[210:211], v[210:211], v[212:213], v[214:215]
	v_div_fixup_f64 v[212:213], v[210:211], v[206:207], v[208:209]
	v_fma_f64 v[206:207], v[208:209], v[212:213], v[206:207]
	v_div_scale_f64 v[208:209], null, v[206:207], v[206:207], 1.0
	v_rcp_f64_e32 v[210:211], v[208:209]
	v_fma_f64 v[214:215], -v[208:209], v[210:211], 1.0
	v_fma_f64 v[210:211], v[210:211], v[214:215], v[210:211]
	v_fma_f64 v[214:215], -v[208:209], v[210:211], 1.0
	v_fma_f64 v[210:211], v[210:211], v[214:215], v[210:211]
	v_div_scale_f64 v[214:215], vcc_lo, 1.0, v[206:207], 1.0
	v_mul_f64 v[216:217], v[214:215], v[210:211]
	v_fma_f64 v[208:209], -v[208:209], v[216:217], v[214:215]
	v_div_fmas_f64 v[208:209], v[208:209], v[210:211], v[216:217]
	v_div_fixup_f64 v[210:211], v[208:209], v[206:207], 1.0
	v_mul_f64 v[212:213], v[212:213], -v[210:211]
.LBB81_295:
	s_or_b32 exec_lo, exec_lo, s1
	ds_write2_b64 v1, v[210:211], v[212:213] offset1:1
.LBB81_296:
	s_or_b32 exec_lo, exec_lo, s2
	s_waitcnt lgkmcnt(0)
	s_barrier
	buffer_gl0_inv
	ds_read2_b64 v[206:209], v1 offset1:1
	s_mov_b32 s1, exec_lo
	v_cmpx_lt_u32_e32 32, v0
	s_cbranch_execz .LBB81_298
; %bb.297:
	s_waitcnt lgkmcnt(0)
	v_mul_f64 v[210:211], v[206:207], v[36:37]
	v_mul_f64 v[36:37], v[208:209], v[36:37]
	v_fma_f64 v[214:215], v[208:209], v[34:35], v[210:211]
	ds_read2_b64 v[210:213], v254 offset0:66 offset1:67
	v_fma_f64 v[34:35], v[206:207], v[34:35], -v[36:37]
	s_waitcnt lgkmcnt(0)
	v_mul_f64 v[36:37], v[212:213], v[214:215]
	v_fma_f64 v[36:37], v[210:211], v[34:35], -v[36:37]
	v_mul_f64 v[210:211], v[210:211], v[214:215]
	v_add_f64 v[30:31], v[30:31], -v[36:37]
	v_fma_f64 v[210:211], v[212:213], v[34:35], v[210:211]
	v_add_f64 v[32:33], v[32:33], -v[210:211]
	ds_read2_b64 v[210:213], v254 offset0:68 offset1:69
	s_waitcnt lgkmcnt(0)
	v_mul_f64 v[36:37], v[212:213], v[214:215]
	v_fma_f64 v[36:37], v[210:211], v[34:35], -v[36:37]
	v_mul_f64 v[210:211], v[210:211], v[214:215]
	v_add_f64 v[26:27], v[26:27], -v[36:37]
	v_fma_f64 v[210:211], v[212:213], v[34:35], v[210:211]
	v_add_f64 v[28:29], v[28:29], -v[210:211]
	ds_read2_b64 v[210:213], v254 offset0:70 offset1:71
	;; [unrolled: 8-line block ×7, first 2 shown]
	s_waitcnt lgkmcnt(0)
	v_mul_f64 v[36:37], v[212:213], v[214:215]
	v_fma_f64 v[36:37], v[210:211], v[34:35], -v[36:37]
	v_mul_f64 v[210:211], v[210:211], v[214:215]
	v_add_f64 v[2:3], v[2:3], -v[36:37]
	v_fma_f64 v[210:211], v[212:213], v[34:35], v[210:211]
	v_mov_b32_e32 v36, v214
	v_mov_b32_e32 v37, v215
	v_add_f64 v[4:5], v[4:5], -v[210:211]
.LBB81_298:
	s_or_b32 exec_lo, exec_lo, s1
	s_mov_b32 s2, exec_lo
	s_waitcnt lgkmcnt(0)
	s_barrier
	buffer_gl0_inv
	v_cmpx_eq_u32_e32 33, v0
	s_cbranch_execz .LBB81_305
; %bb.299:
	ds_write2_b64 v1, v[30:31], v[32:33] offset1:1
	ds_write2_b64 v254, v[26:27], v[28:29] offset0:68 offset1:69
	ds_write2_b64 v254, v[22:23], v[24:25] offset0:70 offset1:71
	;; [unrolled: 1-line block ×7, first 2 shown]
	ds_read2_b64 v[210:213], v1 offset1:1
	s_waitcnt lgkmcnt(0)
	v_cmp_neq_f64_e32 vcc_lo, 0, v[210:211]
	v_cmp_neq_f64_e64 s1, 0, v[212:213]
	s_or_b32 s1, vcc_lo, s1
	s_and_b32 exec_lo, exec_lo, s1
	s_cbranch_execz .LBB81_305
; %bb.300:
	v_cmp_ngt_f64_e64 s1, |v[210:211]|, |v[212:213]|
                                        ; implicit-def: $vgpr214_vgpr215
	s_and_saveexec_b32 s3, s1
	s_xor_b32 s1, exec_lo, s3
                                        ; implicit-def: $vgpr216_vgpr217
	s_cbranch_execz .LBB81_302
; %bb.301:
	v_div_scale_f64 v[214:215], null, v[212:213], v[212:213], v[210:211]
	v_div_scale_f64 v[220:221], vcc_lo, v[210:211], v[212:213], v[210:211]
	v_rcp_f64_e32 v[216:217], v[214:215]
	v_fma_f64 v[218:219], -v[214:215], v[216:217], 1.0
	v_fma_f64 v[216:217], v[216:217], v[218:219], v[216:217]
	v_fma_f64 v[218:219], -v[214:215], v[216:217], 1.0
	v_fma_f64 v[216:217], v[216:217], v[218:219], v[216:217]
	v_mul_f64 v[218:219], v[220:221], v[216:217]
	v_fma_f64 v[214:215], -v[214:215], v[218:219], v[220:221]
	v_div_fmas_f64 v[214:215], v[214:215], v[216:217], v[218:219]
	v_div_fixup_f64 v[214:215], v[214:215], v[212:213], v[210:211]
	v_fma_f64 v[210:211], v[210:211], v[214:215], v[212:213]
	v_div_scale_f64 v[212:213], null, v[210:211], v[210:211], 1.0
	v_rcp_f64_e32 v[216:217], v[212:213]
	v_fma_f64 v[218:219], -v[212:213], v[216:217], 1.0
	v_fma_f64 v[216:217], v[216:217], v[218:219], v[216:217]
	v_fma_f64 v[218:219], -v[212:213], v[216:217], 1.0
	v_fma_f64 v[216:217], v[216:217], v[218:219], v[216:217]
	v_div_scale_f64 v[218:219], vcc_lo, 1.0, v[210:211], 1.0
	v_mul_f64 v[220:221], v[218:219], v[216:217]
	v_fma_f64 v[212:213], -v[212:213], v[220:221], v[218:219]
	v_div_fmas_f64 v[212:213], v[212:213], v[216:217], v[220:221]
	v_div_fixup_f64 v[216:217], v[212:213], v[210:211], 1.0
                                        ; implicit-def: $vgpr210_vgpr211
	v_mul_f64 v[214:215], v[214:215], v[216:217]
	v_xor_b32_e32 v217, 0x80000000, v217
.LBB81_302:
	s_andn2_saveexec_b32 s1, s1
	s_cbranch_execz .LBB81_304
; %bb.303:
	v_div_scale_f64 v[214:215], null, v[210:211], v[210:211], v[212:213]
	v_div_scale_f64 v[220:221], vcc_lo, v[212:213], v[210:211], v[212:213]
	v_rcp_f64_e32 v[216:217], v[214:215]
	v_fma_f64 v[218:219], -v[214:215], v[216:217], 1.0
	v_fma_f64 v[216:217], v[216:217], v[218:219], v[216:217]
	v_fma_f64 v[218:219], -v[214:215], v[216:217], 1.0
	v_fma_f64 v[216:217], v[216:217], v[218:219], v[216:217]
	v_mul_f64 v[218:219], v[220:221], v[216:217]
	v_fma_f64 v[214:215], -v[214:215], v[218:219], v[220:221]
	v_div_fmas_f64 v[214:215], v[214:215], v[216:217], v[218:219]
	v_div_fixup_f64 v[216:217], v[214:215], v[210:211], v[212:213]
	v_fma_f64 v[210:211], v[212:213], v[216:217], v[210:211]
	v_div_scale_f64 v[212:213], null, v[210:211], v[210:211], 1.0
	v_rcp_f64_e32 v[214:215], v[212:213]
	v_fma_f64 v[218:219], -v[212:213], v[214:215], 1.0
	v_fma_f64 v[214:215], v[214:215], v[218:219], v[214:215]
	v_fma_f64 v[218:219], -v[212:213], v[214:215], 1.0
	v_fma_f64 v[214:215], v[214:215], v[218:219], v[214:215]
	v_div_scale_f64 v[218:219], vcc_lo, 1.0, v[210:211], 1.0
	v_mul_f64 v[220:221], v[218:219], v[214:215]
	v_fma_f64 v[212:213], -v[212:213], v[220:221], v[218:219]
	v_div_fmas_f64 v[212:213], v[212:213], v[214:215], v[220:221]
	v_div_fixup_f64 v[214:215], v[212:213], v[210:211], 1.0
	v_mul_f64 v[216:217], v[216:217], -v[214:215]
.LBB81_304:
	s_or_b32 exec_lo, exec_lo, s1
	ds_write2_b64 v1, v[214:215], v[216:217] offset1:1
.LBB81_305:
	s_or_b32 exec_lo, exec_lo, s2
	s_waitcnt lgkmcnt(0)
	s_barrier
	buffer_gl0_inv
	ds_read2_b64 v[210:213], v1 offset1:1
	s_mov_b32 s1, exec_lo
	v_cmpx_lt_u32_e32 33, v0
	s_cbranch_execz .LBB81_307
; %bb.306:
	s_waitcnt lgkmcnt(0)
	v_mul_f64 v[214:215], v[210:211], v[32:33]
	v_mul_f64 v[32:33], v[212:213], v[32:33]
	v_fma_f64 v[218:219], v[212:213], v[30:31], v[214:215]
	ds_read2_b64 v[214:217], v254 offset0:68 offset1:69
	v_fma_f64 v[30:31], v[210:211], v[30:31], -v[32:33]
	s_waitcnt lgkmcnt(0)
	v_mul_f64 v[32:33], v[216:217], v[218:219]
	v_fma_f64 v[32:33], v[214:215], v[30:31], -v[32:33]
	v_mul_f64 v[214:215], v[214:215], v[218:219]
	v_add_f64 v[26:27], v[26:27], -v[32:33]
	v_fma_f64 v[214:215], v[216:217], v[30:31], v[214:215]
	v_add_f64 v[28:29], v[28:29], -v[214:215]
	ds_read2_b64 v[214:217], v254 offset0:70 offset1:71
	s_waitcnt lgkmcnt(0)
	v_mul_f64 v[32:33], v[216:217], v[218:219]
	v_fma_f64 v[32:33], v[214:215], v[30:31], -v[32:33]
	v_mul_f64 v[214:215], v[214:215], v[218:219]
	v_add_f64 v[22:23], v[22:23], -v[32:33]
	v_fma_f64 v[214:215], v[216:217], v[30:31], v[214:215]
	v_add_f64 v[24:25], v[24:25], -v[214:215]
	ds_read2_b64 v[214:217], v254 offset0:72 offset1:73
	s_waitcnt lgkmcnt(0)
	v_mul_f64 v[32:33], v[216:217], v[218:219]
	v_fma_f64 v[32:33], v[214:215], v[30:31], -v[32:33]
	v_mul_f64 v[214:215], v[214:215], v[218:219]
	v_add_f64 v[18:19], v[18:19], -v[32:33]
	v_fma_f64 v[214:215], v[216:217], v[30:31], v[214:215]
	v_add_f64 v[20:21], v[20:21], -v[214:215]
	ds_read2_b64 v[214:217], v254 offset0:74 offset1:75
	s_waitcnt lgkmcnt(0)
	v_mul_f64 v[32:33], v[216:217], v[218:219]
	v_fma_f64 v[32:33], v[214:215], v[30:31], -v[32:33]
	v_mul_f64 v[214:215], v[214:215], v[218:219]
	v_add_f64 v[14:15], v[14:15], -v[32:33]
	v_fma_f64 v[214:215], v[216:217], v[30:31], v[214:215]
	v_add_f64 v[16:17], v[16:17], -v[214:215]
	ds_read2_b64 v[214:217], v254 offset0:76 offset1:77
	s_waitcnt lgkmcnt(0)
	v_mul_f64 v[32:33], v[216:217], v[218:219]
	v_fma_f64 v[32:33], v[214:215], v[30:31], -v[32:33]
	v_mul_f64 v[214:215], v[214:215], v[218:219]
	v_add_f64 v[10:11], v[10:11], -v[32:33]
	v_fma_f64 v[214:215], v[216:217], v[30:31], v[214:215]
	v_add_f64 v[12:13], v[12:13], -v[214:215]
	ds_read2_b64 v[214:217], v254 offset0:78 offset1:79
	s_waitcnt lgkmcnt(0)
	v_mul_f64 v[32:33], v[216:217], v[218:219]
	v_fma_f64 v[32:33], v[214:215], v[30:31], -v[32:33]
	v_mul_f64 v[214:215], v[214:215], v[218:219]
	v_add_f64 v[6:7], v[6:7], -v[32:33]
	v_fma_f64 v[214:215], v[216:217], v[30:31], v[214:215]
	v_add_f64 v[8:9], v[8:9], -v[214:215]
	ds_read2_b64 v[214:217], v254 offset0:80 offset1:81
	s_waitcnt lgkmcnt(0)
	v_mul_f64 v[32:33], v[216:217], v[218:219]
	v_fma_f64 v[32:33], v[214:215], v[30:31], -v[32:33]
	v_mul_f64 v[214:215], v[214:215], v[218:219]
	v_add_f64 v[2:3], v[2:3], -v[32:33]
	v_fma_f64 v[214:215], v[216:217], v[30:31], v[214:215]
	v_mov_b32_e32 v32, v218
	v_mov_b32_e32 v33, v219
	v_add_f64 v[4:5], v[4:5], -v[214:215]
.LBB81_307:
	s_or_b32 exec_lo, exec_lo, s1
	s_mov_b32 s2, exec_lo
	s_waitcnt lgkmcnt(0)
	s_barrier
	buffer_gl0_inv
	v_cmpx_eq_u32_e32 34, v0
	s_cbranch_execz .LBB81_314
; %bb.308:
	ds_write2_b64 v1, v[26:27], v[28:29] offset1:1
	ds_write2_b64 v254, v[22:23], v[24:25] offset0:70 offset1:71
	ds_write2_b64 v254, v[18:19], v[20:21] offset0:72 offset1:73
	;; [unrolled: 1-line block ×6, first 2 shown]
	ds_read2_b64 v[214:217], v1 offset1:1
	s_waitcnt lgkmcnt(0)
	v_cmp_neq_f64_e32 vcc_lo, 0, v[214:215]
	v_cmp_neq_f64_e64 s1, 0, v[216:217]
	s_or_b32 s1, vcc_lo, s1
	s_and_b32 exec_lo, exec_lo, s1
	s_cbranch_execz .LBB81_314
; %bb.309:
	v_cmp_ngt_f64_e64 s1, |v[214:215]|, |v[216:217]|
                                        ; implicit-def: $vgpr218_vgpr219
	s_and_saveexec_b32 s3, s1
	s_xor_b32 s1, exec_lo, s3
                                        ; implicit-def: $vgpr220_vgpr221
	s_cbranch_execz .LBB81_311
; %bb.310:
	v_div_scale_f64 v[218:219], null, v[216:217], v[216:217], v[214:215]
	v_div_scale_f64 v[224:225], vcc_lo, v[214:215], v[216:217], v[214:215]
	v_rcp_f64_e32 v[220:221], v[218:219]
	v_fma_f64 v[222:223], -v[218:219], v[220:221], 1.0
	v_fma_f64 v[220:221], v[220:221], v[222:223], v[220:221]
	v_fma_f64 v[222:223], -v[218:219], v[220:221], 1.0
	v_fma_f64 v[220:221], v[220:221], v[222:223], v[220:221]
	v_mul_f64 v[222:223], v[224:225], v[220:221]
	v_fma_f64 v[218:219], -v[218:219], v[222:223], v[224:225]
	v_div_fmas_f64 v[218:219], v[218:219], v[220:221], v[222:223]
	v_div_fixup_f64 v[218:219], v[218:219], v[216:217], v[214:215]
	v_fma_f64 v[214:215], v[214:215], v[218:219], v[216:217]
	v_div_scale_f64 v[216:217], null, v[214:215], v[214:215], 1.0
	v_rcp_f64_e32 v[220:221], v[216:217]
	v_fma_f64 v[222:223], -v[216:217], v[220:221], 1.0
	v_fma_f64 v[220:221], v[220:221], v[222:223], v[220:221]
	v_fma_f64 v[222:223], -v[216:217], v[220:221], 1.0
	v_fma_f64 v[220:221], v[220:221], v[222:223], v[220:221]
	v_div_scale_f64 v[222:223], vcc_lo, 1.0, v[214:215], 1.0
	v_mul_f64 v[224:225], v[222:223], v[220:221]
	v_fma_f64 v[216:217], -v[216:217], v[224:225], v[222:223]
	v_div_fmas_f64 v[216:217], v[216:217], v[220:221], v[224:225]
	v_div_fixup_f64 v[220:221], v[216:217], v[214:215], 1.0
                                        ; implicit-def: $vgpr214_vgpr215
	v_mul_f64 v[218:219], v[218:219], v[220:221]
	v_xor_b32_e32 v221, 0x80000000, v221
.LBB81_311:
	s_andn2_saveexec_b32 s1, s1
	s_cbranch_execz .LBB81_313
; %bb.312:
	v_div_scale_f64 v[218:219], null, v[214:215], v[214:215], v[216:217]
	v_div_scale_f64 v[224:225], vcc_lo, v[216:217], v[214:215], v[216:217]
	v_rcp_f64_e32 v[220:221], v[218:219]
	v_fma_f64 v[222:223], -v[218:219], v[220:221], 1.0
	v_fma_f64 v[220:221], v[220:221], v[222:223], v[220:221]
	v_fma_f64 v[222:223], -v[218:219], v[220:221], 1.0
	v_fma_f64 v[220:221], v[220:221], v[222:223], v[220:221]
	v_mul_f64 v[222:223], v[224:225], v[220:221]
	v_fma_f64 v[218:219], -v[218:219], v[222:223], v[224:225]
	v_div_fmas_f64 v[218:219], v[218:219], v[220:221], v[222:223]
	v_div_fixup_f64 v[220:221], v[218:219], v[214:215], v[216:217]
	v_fma_f64 v[214:215], v[216:217], v[220:221], v[214:215]
	v_div_scale_f64 v[216:217], null, v[214:215], v[214:215], 1.0
	v_rcp_f64_e32 v[218:219], v[216:217]
	v_fma_f64 v[222:223], -v[216:217], v[218:219], 1.0
	v_fma_f64 v[218:219], v[218:219], v[222:223], v[218:219]
	v_fma_f64 v[222:223], -v[216:217], v[218:219], 1.0
	v_fma_f64 v[218:219], v[218:219], v[222:223], v[218:219]
	v_div_scale_f64 v[222:223], vcc_lo, 1.0, v[214:215], 1.0
	v_mul_f64 v[224:225], v[222:223], v[218:219]
	v_fma_f64 v[216:217], -v[216:217], v[224:225], v[222:223]
	v_div_fmas_f64 v[216:217], v[216:217], v[218:219], v[224:225]
	v_div_fixup_f64 v[218:219], v[216:217], v[214:215], 1.0
	v_mul_f64 v[220:221], v[220:221], -v[218:219]
.LBB81_313:
	s_or_b32 exec_lo, exec_lo, s1
	ds_write2_b64 v1, v[218:219], v[220:221] offset1:1
.LBB81_314:
	s_or_b32 exec_lo, exec_lo, s2
	s_waitcnt lgkmcnt(0)
	s_barrier
	buffer_gl0_inv
	ds_read2_b64 v[214:217], v1 offset1:1
	s_mov_b32 s1, exec_lo
	v_cmpx_lt_u32_e32 34, v0
	s_cbranch_execz .LBB81_316
; %bb.315:
	s_waitcnt lgkmcnt(0)
	v_mul_f64 v[218:219], v[214:215], v[28:29]
	v_mul_f64 v[28:29], v[216:217], v[28:29]
	v_fma_f64 v[222:223], v[216:217], v[26:27], v[218:219]
	ds_read2_b64 v[218:221], v254 offset0:70 offset1:71
	v_fma_f64 v[26:27], v[214:215], v[26:27], -v[28:29]
	s_waitcnt lgkmcnt(0)
	v_mul_f64 v[28:29], v[220:221], v[222:223]
	v_fma_f64 v[28:29], v[218:219], v[26:27], -v[28:29]
	v_mul_f64 v[218:219], v[218:219], v[222:223]
	v_add_f64 v[22:23], v[22:23], -v[28:29]
	v_fma_f64 v[218:219], v[220:221], v[26:27], v[218:219]
	v_add_f64 v[24:25], v[24:25], -v[218:219]
	ds_read2_b64 v[218:221], v254 offset0:72 offset1:73
	s_waitcnt lgkmcnt(0)
	v_mul_f64 v[28:29], v[220:221], v[222:223]
	v_fma_f64 v[28:29], v[218:219], v[26:27], -v[28:29]
	v_mul_f64 v[218:219], v[218:219], v[222:223]
	v_add_f64 v[18:19], v[18:19], -v[28:29]
	v_fma_f64 v[218:219], v[220:221], v[26:27], v[218:219]
	v_add_f64 v[20:21], v[20:21], -v[218:219]
	ds_read2_b64 v[218:221], v254 offset0:74 offset1:75
	s_waitcnt lgkmcnt(0)
	v_mul_f64 v[28:29], v[220:221], v[222:223]
	v_fma_f64 v[28:29], v[218:219], v[26:27], -v[28:29]
	v_mul_f64 v[218:219], v[218:219], v[222:223]
	v_add_f64 v[14:15], v[14:15], -v[28:29]
	v_fma_f64 v[218:219], v[220:221], v[26:27], v[218:219]
	v_add_f64 v[16:17], v[16:17], -v[218:219]
	ds_read2_b64 v[218:221], v254 offset0:76 offset1:77
	s_waitcnt lgkmcnt(0)
	v_mul_f64 v[28:29], v[220:221], v[222:223]
	v_fma_f64 v[28:29], v[218:219], v[26:27], -v[28:29]
	v_mul_f64 v[218:219], v[218:219], v[222:223]
	v_add_f64 v[10:11], v[10:11], -v[28:29]
	v_fma_f64 v[218:219], v[220:221], v[26:27], v[218:219]
	v_add_f64 v[12:13], v[12:13], -v[218:219]
	ds_read2_b64 v[218:221], v254 offset0:78 offset1:79
	s_waitcnt lgkmcnt(0)
	v_mul_f64 v[28:29], v[220:221], v[222:223]
	v_fma_f64 v[28:29], v[218:219], v[26:27], -v[28:29]
	v_mul_f64 v[218:219], v[218:219], v[222:223]
	v_add_f64 v[6:7], v[6:7], -v[28:29]
	v_fma_f64 v[218:219], v[220:221], v[26:27], v[218:219]
	v_add_f64 v[8:9], v[8:9], -v[218:219]
	ds_read2_b64 v[218:221], v254 offset0:80 offset1:81
	s_waitcnt lgkmcnt(0)
	v_mul_f64 v[28:29], v[220:221], v[222:223]
	v_fma_f64 v[28:29], v[218:219], v[26:27], -v[28:29]
	v_mul_f64 v[218:219], v[218:219], v[222:223]
	v_add_f64 v[2:3], v[2:3], -v[28:29]
	v_fma_f64 v[218:219], v[220:221], v[26:27], v[218:219]
	v_mov_b32_e32 v28, v222
	v_mov_b32_e32 v29, v223
	v_add_f64 v[4:5], v[4:5], -v[218:219]
.LBB81_316:
	s_or_b32 exec_lo, exec_lo, s1
	s_mov_b32 s2, exec_lo
	s_waitcnt lgkmcnt(0)
	s_barrier
	buffer_gl0_inv
	v_cmpx_eq_u32_e32 35, v0
	s_cbranch_execz .LBB81_323
; %bb.317:
	ds_write2_b64 v1, v[22:23], v[24:25] offset1:1
	ds_write2_b64 v254, v[18:19], v[20:21] offset0:72 offset1:73
	ds_write2_b64 v254, v[14:15], v[16:17] offset0:74 offset1:75
	;; [unrolled: 1-line block ×5, first 2 shown]
	ds_read2_b64 v[218:221], v1 offset1:1
	s_waitcnt lgkmcnt(0)
	v_cmp_neq_f64_e32 vcc_lo, 0, v[218:219]
	v_cmp_neq_f64_e64 s1, 0, v[220:221]
	s_or_b32 s1, vcc_lo, s1
	s_and_b32 exec_lo, exec_lo, s1
	s_cbranch_execz .LBB81_323
; %bb.318:
	v_cmp_ngt_f64_e64 s1, |v[218:219]|, |v[220:221]|
                                        ; implicit-def: $vgpr222_vgpr223
	s_and_saveexec_b32 s3, s1
	s_xor_b32 s1, exec_lo, s3
                                        ; implicit-def: $vgpr224_vgpr225
	s_cbranch_execz .LBB81_320
; %bb.319:
	v_div_scale_f64 v[222:223], null, v[220:221], v[220:221], v[218:219]
	v_div_scale_f64 v[228:229], vcc_lo, v[218:219], v[220:221], v[218:219]
	v_rcp_f64_e32 v[224:225], v[222:223]
	v_fma_f64 v[226:227], -v[222:223], v[224:225], 1.0
	v_fma_f64 v[224:225], v[224:225], v[226:227], v[224:225]
	v_fma_f64 v[226:227], -v[222:223], v[224:225], 1.0
	v_fma_f64 v[224:225], v[224:225], v[226:227], v[224:225]
	v_mul_f64 v[226:227], v[228:229], v[224:225]
	v_fma_f64 v[222:223], -v[222:223], v[226:227], v[228:229]
	v_div_fmas_f64 v[222:223], v[222:223], v[224:225], v[226:227]
	v_div_fixup_f64 v[222:223], v[222:223], v[220:221], v[218:219]
	v_fma_f64 v[218:219], v[218:219], v[222:223], v[220:221]
	v_div_scale_f64 v[220:221], null, v[218:219], v[218:219], 1.0
	v_rcp_f64_e32 v[224:225], v[220:221]
	v_fma_f64 v[226:227], -v[220:221], v[224:225], 1.0
	v_fma_f64 v[224:225], v[224:225], v[226:227], v[224:225]
	v_fma_f64 v[226:227], -v[220:221], v[224:225], 1.0
	v_fma_f64 v[224:225], v[224:225], v[226:227], v[224:225]
	v_div_scale_f64 v[226:227], vcc_lo, 1.0, v[218:219], 1.0
	v_mul_f64 v[228:229], v[226:227], v[224:225]
	v_fma_f64 v[220:221], -v[220:221], v[228:229], v[226:227]
	v_div_fmas_f64 v[220:221], v[220:221], v[224:225], v[228:229]
	v_div_fixup_f64 v[224:225], v[220:221], v[218:219], 1.0
                                        ; implicit-def: $vgpr218_vgpr219
	v_mul_f64 v[222:223], v[222:223], v[224:225]
	v_xor_b32_e32 v225, 0x80000000, v225
.LBB81_320:
	s_andn2_saveexec_b32 s1, s1
	s_cbranch_execz .LBB81_322
; %bb.321:
	v_div_scale_f64 v[222:223], null, v[218:219], v[218:219], v[220:221]
	v_div_scale_f64 v[228:229], vcc_lo, v[220:221], v[218:219], v[220:221]
	v_rcp_f64_e32 v[224:225], v[222:223]
	v_fma_f64 v[226:227], -v[222:223], v[224:225], 1.0
	v_fma_f64 v[224:225], v[224:225], v[226:227], v[224:225]
	v_fma_f64 v[226:227], -v[222:223], v[224:225], 1.0
	v_fma_f64 v[224:225], v[224:225], v[226:227], v[224:225]
	v_mul_f64 v[226:227], v[228:229], v[224:225]
	v_fma_f64 v[222:223], -v[222:223], v[226:227], v[228:229]
	v_div_fmas_f64 v[222:223], v[222:223], v[224:225], v[226:227]
	v_div_fixup_f64 v[224:225], v[222:223], v[218:219], v[220:221]
	v_fma_f64 v[218:219], v[220:221], v[224:225], v[218:219]
	v_div_scale_f64 v[220:221], null, v[218:219], v[218:219], 1.0
	v_rcp_f64_e32 v[222:223], v[220:221]
	v_fma_f64 v[226:227], -v[220:221], v[222:223], 1.0
	v_fma_f64 v[222:223], v[222:223], v[226:227], v[222:223]
	v_fma_f64 v[226:227], -v[220:221], v[222:223], 1.0
	v_fma_f64 v[222:223], v[222:223], v[226:227], v[222:223]
	v_div_scale_f64 v[226:227], vcc_lo, 1.0, v[218:219], 1.0
	v_mul_f64 v[228:229], v[226:227], v[222:223]
	v_fma_f64 v[220:221], -v[220:221], v[228:229], v[226:227]
	v_div_fmas_f64 v[220:221], v[220:221], v[222:223], v[228:229]
	v_div_fixup_f64 v[222:223], v[220:221], v[218:219], 1.0
	v_mul_f64 v[224:225], v[224:225], -v[222:223]
.LBB81_322:
	s_or_b32 exec_lo, exec_lo, s1
	ds_write2_b64 v1, v[222:223], v[224:225] offset1:1
.LBB81_323:
	s_or_b32 exec_lo, exec_lo, s2
	s_waitcnt lgkmcnt(0)
	s_barrier
	buffer_gl0_inv
	ds_read2_b64 v[218:221], v1 offset1:1
	s_mov_b32 s1, exec_lo
	v_cmpx_lt_u32_e32 35, v0
	s_cbranch_execz .LBB81_325
; %bb.324:
	s_waitcnt lgkmcnt(0)
	v_mul_f64 v[222:223], v[218:219], v[24:25]
	v_mul_f64 v[24:25], v[220:221], v[24:25]
	v_fma_f64 v[226:227], v[220:221], v[22:23], v[222:223]
	ds_read2_b64 v[222:225], v254 offset0:72 offset1:73
	v_fma_f64 v[22:23], v[218:219], v[22:23], -v[24:25]
	s_waitcnt lgkmcnt(0)
	v_mul_f64 v[24:25], v[224:225], v[226:227]
	v_fma_f64 v[24:25], v[222:223], v[22:23], -v[24:25]
	v_mul_f64 v[222:223], v[222:223], v[226:227]
	v_add_f64 v[18:19], v[18:19], -v[24:25]
	v_fma_f64 v[222:223], v[224:225], v[22:23], v[222:223]
	v_add_f64 v[20:21], v[20:21], -v[222:223]
	ds_read2_b64 v[222:225], v254 offset0:74 offset1:75
	s_waitcnt lgkmcnt(0)
	v_mul_f64 v[24:25], v[224:225], v[226:227]
	v_fma_f64 v[24:25], v[222:223], v[22:23], -v[24:25]
	v_mul_f64 v[222:223], v[222:223], v[226:227]
	v_add_f64 v[14:15], v[14:15], -v[24:25]
	v_fma_f64 v[222:223], v[224:225], v[22:23], v[222:223]
	v_add_f64 v[16:17], v[16:17], -v[222:223]
	ds_read2_b64 v[222:225], v254 offset0:76 offset1:77
	;; [unrolled: 8-line block ×4, first 2 shown]
	s_waitcnt lgkmcnt(0)
	v_mul_f64 v[24:25], v[224:225], v[226:227]
	v_fma_f64 v[24:25], v[222:223], v[22:23], -v[24:25]
	v_mul_f64 v[222:223], v[222:223], v[226:227]
	v_add_f64 v[2:3], v[2:3], -v[24:25]
	v_fma_f64 v[222:223], v[224:225], v[22:23], v[222:223]
	v_mov_b32_e32 v24, v226
	v_mov_b32_e32 v25, v227
	v_add_f64 v[4:5], v[4:5], -v[222:223]
.LBB81_325:
	s_or_b32 exec_lo, exec_lo, s1
	s_mov_b32 s2, exec_lo
	s_waitcnt lgkmcnt(0)
	s_barrier
	buffer_gl0_inv
	v_cmpx_eq_u32_e32 36, v0
	s_cbranch_execz .LBB81_332
; %bb.326:
	ds_write2_b64 v1, v[18:19], v[20:21] offset1:1
	ds_write2_b64 v254, v[14:15], v[16:17] offset0:74 offset1:75
	ds_write2_b64 v254, v[10:11], v[12:13] offset0:76 offset1:77
	;; [unrolled: 1-line block ×4, first 2 shown]
	ds_read2_b64 v[222:225], v1 offset1:1
	s_waitcnt lgkmcnt(0)
	v_cmp_neq_f64_e32 vcc_lo, 0, v[222:223]
	v_cmp_neq_f64_e64 s1, 0, v[224:225]
	s_or_b32 s1, vcc_lo, s1
	s_and_b32 exec_lo, exec_lo, s1
	s_cbranch_execz .LBB81_332
; %bb.327:
	v_cmp_ngt_f64_e64 s1, |v[222:223]|, |v[224:225]|
                                        ; implicit-def: $vgpr226_vgpr227
	s_and_saveexec_b32 s3, s1
	s_xor_b32 s1, exec_lo, s3
                                        ; implicit-def: $vgpr228_vgpr229
	s_cbranch_execz .LBB81_329
; %bb.328:
	v_div_scale_f64 v[226:227], null, v[224:225], v[224:225], v[222:223]
	v_div_scale_f64 v[232:233], vcc_lo, v[222:223], v[224:225], v[222:223]
	v_rcp_f64_e32 v[228:229], v[226:227]
	v_fma_f64 v[230:231], -v[226:227], v[228:229], 1.0
	v_fma_f64 v[228:229], v[228:229], v[230:231], v[228:229]
	v_fma_f64 v[230:231], -v[226:227], v[228:229], 1.0
	v_fma_f64 v[228:229], v[228:229], v[230:231], v[228:229]
	v_mul_f64 v[230:231], v[232:233], v[228:229]
	v_fma_f64 v[226:227], -v[226:227], v[230:231], v[232:233]
	v_div_fmas_f64 v[226:227], v[226:227], v[228:229], v[230:231]
	v_div_fixup_f64 v[226:227], v[226:227], v[224:225], v[222:223]
	v_fma_f64 v[222:223], v[222:223], v[226:227], v[224:225]
	v_div_scale_f64 v[224:225], null, v[222:223], v[222:223], 1.0
	v_rcp_f64_e32 v[228:229], v[224:225]
	v_fma_f64 v[230:231], -v[224:225], v[228:229], 1.0
	v_fma_f64 v[228:229], v[228:229], v[230:231], v[228:229]
	v_fma_f64 v[230:231], -v[224:225], v[228:229], 1.0
	v_fma_f64 v[228:229], v[228:229], v[230:231], v[228:229]
	v_div_scale_f64 v[230:231], vcc_lo, 1.0, v[222:223], 1.0
	v_mul_f64 v[232:233], v[230:231], v[228:229]
	v_fma_f64 v[224:225], -v[224:225], v[232:233], v[230:231]
	v_div_fmas_f64 v[224:225], v[224:225], v[228:229], v[232:233]
	v_div_fixup_f64 v[228:229], v[224:225], v[222:223], 1.0
                                        ; implicit-def: $vgpr222_vgpr223
	v_mul_f64 v[226:227], v[226:227], v[228:229]
	v_xor_b32_e32 v229, 0x80000000, v229
.LBB81_329:
	s_andn2_saveexec_b32 s1, s1
	s_cbranch_execz .LBB81_331
; %bb.330:
	v_div_scale_f64 v[226:227], null, v[222:223], v[222:223], v[224:225]
	v_div_scale_f64 v[232:233], vcc_lo, v[224:225], v[222:223], v[224:225]
	v_rcp_f64_e32 v[228:229], v[226:227]
	v_fma_f64 v[230:231], -v[226:227], v[228:229], 1.0
	v_fma_f64 v[228:229], v[228:229], v[230:231], v[228:229]
	v_fma_f64 v[230:231], -v[226:227], v[228:229], 1.0
	v_fma_f64 v[228:229], v[228:229], v[230:231], v[228:229]
	v_mul_f64 v[230:231], v[232:233], v[228:229]
	v_fma_f64 v[226:227], -v[226:227], v[230:231], v[232:233]
	v_div_fmas_f64 v[226:227], v[226:227], v[228:229], v[230:231]
	v_div_fixup_f64 v[228:229], v[226:227], v[222:223], v[224:225]
	v_fma_f64 v[222:223], v[224:225], v[228:229], v[222:223]
	v_div_scale_f64 v[224:225], null, v[222:223], v[222:223], 1.0
	v_rcp_f64_e32 v[226:227], v[224:225]
	v_fma_f64 v[230:231], -v[224:225], v[226:227], 1.0
	v_fma_f64 v[226:227], v[226:227], v[230:231], v[226:227]
	v_fma_f64 v[230:231], -v[224:225], v[226:227], 1.0
	v_fma_f64 v[226:227], v[226:227], v[230:231], v[226:227]
	v_div_scale_f64 v[230:231], vcc_lo, 1.0, v[222:223], 1.0
	v_mul_f64 v[232:233], v[230:231], v[226:227]
	v_fma_f64 v[224:225], -v[224:225], v[232:233], v[230:231]
	v_div_fmas_f64 v[224:225], v[224:225], v[226:227], v[232:233]
	v_div_fixup_f64 v[226:227], v[224:225], v[222:223], 1.0
	v_mul_f64 v[228:229], v[228:229], -v[226:227]
.LBB81_331:
	s_or_b32 exec_lo, exec_lo, s1
	ds_write2_b64 v1, v[226:227], v[228:229] offset1:1
.LBB81_332:
	s_or_b32 exec_lo, exec_lo, s2
	s_waitcnt lgkmcnt(0)
	s_barrier
	buffer_gl0_inv
	ds_read2_b64 v[222:225], v1 offset1:1
	s_mov_b32 s1, exec_lo
	v_cmpx_lt_u32_e32 36, v0
	s_cbranch_execz .LBB81_334
; %bb.333:
	s_waitcnt lgkmcnt(0)
	v_mul_f64 v[226:227], v[222:223], v[20:21]
	v_mul_f64 v[20:21], v[224:225], v[20:21]
	v_fma_f64 v[230:231], v[224:225], v[18:19], v[226:227]
	ds_read2_b64 v[226:229], v254 offset0:74 offset1:75
	v_fma_f64 v[18:19], v[222:223], v[18:19], -v[20:21]
	s_waitcnt lgkmcnt(0)
	v_mul_f64 v[20:21], v[228:229], v[230:231]
	v_fma_f64 v[20:21], v[226:227], v[18:19], -v[20:21]
	v_mul_f64 v[226:227], v[226:227], v[230:231]
	v_add_f64 v[14:15], v[14:15], -v[20:21]
	v_fma_f64 v[226:227], v[228:229], v[18:19], v[226:227]
	v_add_f64 v[16:17], v[16:17], -v[226:227]
	ds_read2_b64 v[226:229], v254 offset0:76 offset1:77
	s_waitcnt lgkmcnt(0)
	v_mul_f64 v[20:21], v[228:229], v[230:231]
	v_fma_f64 v[20:21], v[226:227], v[18:19], -v[20:21]
	v_mul_f64 v[226:227], v[226:227], v[230:231]
	v_add_f64 v[10:11], v[10:11], -v[20:21]
	v_fma_f64 v[226:227], v[228:229], v[18:19], v[226:227]
	v_add_f64 v[12:13], v[12:13], -v[226:227]
	ds_read2_b64 v[226:229], v254 offset0:78 offset1:79
	;; [unrolled: 8-line block ×3, first 2 shown]
	s_waitcnt lgkmcnt(0)
	v_mul_f64 v[20:21], v[228:229], v[230:231]
	v_fma_f64 v[20:21], v[226:227], v[18:19], -v[20:21]
	v_mul_f64 v[226:227], v[226:227], v[230:231]
	v_add_f64 v[2:3], v[2:3], -v[20:21]
	v_fma_f64 v[226:227], v[228:229], v[18:19], v[226:227]
	v_mov_b32_e32 v20, v230
	v_mov_b32_e32 v21, v231
	v_add_f64 v[4:5], v[4:5], -v[226:227]
.LBB81_334:
	s_or_b32 exec_lo, exec_lo, s1
	s_mov_b32 s2, exec_lo
	s_waitcnt lgkmcnt(0)
	s_barrier
	buffer_gl0_inv
	v_cmpx_eq_u32_e32 37, v0
	s_cbranch_execz .LBB81_341
; %bb.335:
	ds_write2_b64 v1, v[14:15], v[16:17] offset1:1
	ds_write2_b64 v254, v[10:11], v[12:13] offset0:76 offset1:77
	ds_write2_b64 v254, v[6:7], v[8:9] offset0:78 offset1:79
	;; [unrolled: 1-line block ×3, first 2 shown]
	ds_read2_b64 v[226:229], v1 offset1:1
	s_waitcnt lgkmcnt(0)
	v_cmp_neq_f64_e32 vcc_lo, 0, v[226:227]
	v_cmp_neq_f64_e64 s1, 0, v[228:229]
	s_or_b32 s1, vcc_lo, s1
	s_and_b32 exec_lo, exec_lo, s1
	s_cbranch_execz .LBB81_341
; %bb.336:
	v_cmp_ngt_f64_e64 s1, |v[226:227]|, |v[228:229]|
                                        ; implicit-def: $vgpr230_vgpr231
	s_and_saveexec_b32 s3, s1
	s_xor_b32 s1, exec_lo, s3
                                        ; implicit-def: $vgpr232_vgpr233
	s_cbranch_execz .LBB81_338
; %bb.337:
	v_div_scale_f64 v[230:231], null, v[228:229], v[228:229], v[226:227]
	v_div_scale_f64 v[236:237], vcc_lo, v[226:227], v[228:229], v[226:227]
	v_rcp_f64_e32 v[232:233], v[230:231]
	v_fma_f64 v[234:235], -v[230:231], v[232:233], 1.0
	v_fma_f64 v[232:233], v[232:233], v[234:235], v[232:233]
	v_fma_f64 v[234:235], -v[230:231], v[232:233], 1.0
	v_fma_f64 v[232:233], v[232:233], v[234:235], v[232:233]
	v_mul_f64 v[234:235], v[236:237], v[232:233]
	v_fma_f64 v[230:231], -v[230:231], v[234:235], v[236:237]
	v_div_fmas_f64 v[230:231], v[230:231], v[232:233], v[234:235]
	v_div_fixup_f64 v[230:231], v[230:231], v[228:229], v[226:227]
	v_fma_f64 v[226:227], v[226:227], v[230:231], v[228:229]
	v_div_scale_f64 v[228:229], null, v[226:227], v[226:227], 1.0
	v_rcp_f64_e32 v[232:233], v[228:229]
	v_fma_f64 v[234:235], -v[228:229], v[232:233], 1.0
	v_fma_f64 v[232:233], v[232:233], v[234:235], v[232:233]
	v_fma_f64 v[234:235], -v[228:229], v[232:233], 1.0
	v_fma_f64 v[232:233], v[232:233], v[234:235], v[232:233]
	v_div_scale_f64 v[234:235], vcc_lo, 1.0, v[226:227], 1.0
	v_mul_f64 v[236:237], v[234:235], v[232:233]
	v_fma_f64 v[228:229], -v[228:229], v[236:237], v[234:235]
	v_div_fmas_f64 v[228:229], v[228:229], v[232:233], v[236:237]
	v_div_fixup_f64 v[232:233], v[228:229], v[226:227], 1.0
                                        ; implicit-def: $vgpr226_vgpr227
	v_mul_f64 v[230:231], v[230:231], v[232:233]
	v_xor_b32_e32 v233, 0x80000000, v233
.LBB81_338:
	s_andn2_saveexec_b32 s1, s1
	s_cbranch_execz .LBB81_340
; %bb.339:
	v_div_scale_f64 v[230:231], null, v[226:227], v[226:227], v[228:229]
	v_div_scale_f64 v[236:237], vcc_lo, v[228:229], v[226:227], v[228:229]
	v_rcp_f64_e32 v[232:233], v[230:231]
	v_fma_f64 v[234:235], -v[230:231], v[232:233], 1.0
	v_fma_f64 v[232:233], v[232:233], v[234:235], v[232:233]
	v_fma_f64 v[234:235], -v[230:231], v[232:233], 1.0
	v_fma_f64 v[232:233], v[232:233], v[234:235], v[232:233]
	v_mul_f64 v[234:235], v[236:237], v[232:233]
	v_fma_f64 v[230:231], -v[230:231], v[234:235], v[236:237]
	v_div_fmas_f64 v[230:231], v[230:231], v[232:233], v[234:235]
	v_div_fixup_f64 v[232:233], v[230:231], v[226:227], v[228:229]
	v_fma_f64 v[226:227], v[228:229], v[232:233], v[226:227]
	v_div_scale_f64 v[228:229], null, v[226:227], v[226:227], 1.0
	v_rcp_f64_e32 v[230:231], v[228:229]
	v_fma_f64 v[234:235], -v[228:229], v[230:231], 1.0
	v_fma_f64 v[230:231], v[230:231], v[234:235], v[230:231]
	v_fma_f64 v[234:235], -v[228:229], v[230:231], 1.0
	v_fma_f64 v[230:231], v[230:231], v[234:235], v[230:231]
	v_div_scale_f64 v[234:235], vcc_lo, 1.0, v[226:227], 1.0
	v_mul_f64 v[236:237], v[234:235], v[230:231]
	v_fma_f64 v[228:229], -v[228:229], v[236:237], v[234:235]
	v_div_fmas_f64 v[228:229], v[228:229], v[230:231], v[236:237]
	v_div_fixup_f64 v[230:231], v[228:229], v[226:227], 1.0
	v_mul_f64 v[232:233], v[232:233], -v[230:231]
.LBB81_340:
	s_or_b32 exec_lo, exec_lo, s1
	ds_write2_b64 v1, v[230:231], v[232:233] offset1:1
.LBB81_341:
	s_or_b32 exec_lo, exec_lo, s2
	s_waitcnt lgkmcnt(0)
	s_barrier
	buffer_gl0_inv
	ds_read2_b64 v[226:229], v1 offset1:1
	s_mov_b32 s1, exec_lo
	v_cmpx_lt_u32_e32 37, v0
	s_cbranch_execz .LBB81_343
; %bb.342:
	s_waitcnt lgkmcnt(0)
	v_mul_f64 v[230:231], v[226:227], v[16:17]
	v_mul_f64 v[16:17], v[228:229], v[16:17]
	v_fma_f64 v[234:235], v[228:229], v[14:15], v[230:231]
	ds_read2_b64 v[230:233], v254 offset0:76 offset1:77
	v_fma_f64 v[14:15], v[226:227], v[14:15], -v[16:17]
	s_waitcnt lgkmcnt(0)
	v_mul_f64 v[16:17], v[232:233], v[234:235]
	v_fma_f64 v[16:17], v[230:231], v[14:15], -v[16:17]
	v_mul_f64 v[230:231], v[230:231], v[234:235]
	v_add_f64 v[10:11], v[10:11], -v[16:17]
	v_fma_f64 v[230:231], v[232:233], v[14:15], v[230:231]
	v_add_f64 v[12:13], v[12:13], -v[230:231]
	ds_read2_b64 v[230:233], v254 offset0:78 offset1:79
	s_waitcnt lgkmcnt(0)
	v_mul_f64 v[16:17], v[232:233], v[234:235]
	v_fma_f64 v[16:17], v[230:231], v[14:15], -v[16:17]
	v_mul_f64 v[230:231], v[230:231], v[234:235]
	v_add_f64 v[6:7], v[6:7], -v[16:17]
	v_fma_f64 v[230:231], v[232:233], v[14:15], v[230:231]
	v_add_f64 v[8:9], v[8:9], -v[230:231]
	ds_read2_b64 v[230:233], v254 offset0:80 offset1:81
	s_waitcnt lgkmcnt(0)
	v_mul_f64 v[16:17], v[232:233], v[234:235]
	v_fma_f64 v[16:17], v[230:231], v[14:15], -v[16:17]
	v_mul_f64 v[230:231], v[230:231], v[234:235]
	v_add_f64 v[2:3], v[2:3], -v[16:17]
	v_fma_f64 v[230:231], v[232:233], v[14:15], v[230:231]
	v_mov_b32_e32 v16, v234
	v_mov_b32_e32 v17, v235
	v_add_f64 v[4:5], v[4:5], -v[230:231]
.LBB81_343:
	s_or_b32 exec_lo, exec_lo, s1
	s_mov_b32 s2, exec_lo
	s_waitcnt lgkmcnt(0)
	s_barrier
	buffer_gl0_inv
	v_cmpx_eq_u32_e32 38, v0
	s_cbranch_execz .LBB81_350
; %bb.344:
	ds_write2_b64 v1, v[10:11], v[12:13] offset1:1
	ds_write2_b64 v254, v[6:7], v[8:9] offset0:78 offset1:79
	ds_write2_b64 v254, v[2:3], v[4:5] offset0:80 offset1:81
	ds_read2_b64 v[230:233], v1 offset1:1
	s_waitcnt lgkmcnt(0)
	v_cmp_neq_f64_e32 vcc_lo, 0, v[230:231]
	v_cmp_neq_f64_e64 s1, 0, v[232:233]
	s_or_b32 s1, vcc_lo, s1
	s_and_b32 exec_lo, exec_lo, s1
	s_cbranch_execz .LBB81_350
; %bb.345:
	v_cmp_ngt_f64_e64 s1, |v[230:231]|, |v[232:233]|
                                        ; implicit-def: $vgpr234_vgpr235
	s_and_saveexec_b32 s3, s1
	s_xor_b32 s1, exec_lo, s3
                                        ; implicit-def: $vgpr236_vgpr237
	s_cbranch_execz .LBB81_347
; %bb.346:
	v_div_scale_f64 v[234:235], null, v[232:233], v[232:233], v[230:231]
	v_div_scale_f64 v[240:241], vcc_lo, v[230:231], v[232:233], v[230:231]
	v_rcp_f64_e32 v[236:237], v[234:235]
	v_fma_f64 v[238:239], -v[234:235], v[236:237], 1.0
	v_fma_f64 v[236:237], v[236:237], v[238:239], v[236:237]
	v_fma_f64 v[238:239], -v[234:235], v[236:237], 1.0
	v_fma_f64 v[236:237], v[236:237], v[238:239], v[236:237]
	v_mul_f64 v[238:239], v[240:241], v[236:237]
	v_fma_f64 v[234:235], -v[234:235], v[238:239], v[240:241]
	v_div_fmas_f64 v[234:235], v[234:235], v[236:237], v[238:239]
	v_div_fixup_f64 v[234:235], v[234:235], v[232:233], v[230:231]
	v_fma_f64 v[230:231], v[230:231], v[234:235], v[232:233]
	v_div_scale_f64 v[232:233], null, v[230:231], v[230:231], 1.0
	v_rcp_f64_e32 v[236:237], v[232:233]
	v_fma_f64 v[238:239], -v[232:233], v[236:237], 1.0
	v_fma_f64 v[236:237], v[236:237], v[238:239], v[236:237]
	v_fma_f64 v[238:239], -v[232:233], v[236:237], 1.0
	v_fma_f64 v[236:237], v[236:237], v[238:239], v[236:237]
	v_div_scale_f64 v[238:239], vcc_lo, 1.0, v[230:231], 1.0
	v_mul_f64 v[240:241], v[238:239], v[236:237]
	v_fma_f64 v[232:233], -v[232:233], v[240:241], v[238:239]
	v_div_fmas_f64 v[232:233], v[232:233], v[236:237], v[240:241]
	v_div_fixup_f64 v[236:237], v[232:233], v[230:231], 1.0
                                        ; implicit-def: $vgpr230_vgpr231
	v_mul_f64 v[234:235], v[234:235], v[236:237]
	v_xor_b32_e32 v237, 0x80000000, v237
.LBB81_347:
	s_andn2_saveexec_b32 s1, s1
	s_cbranch_execz .LBB81_349
; %bb.348:
	v_div_scale_f64 v[234:235], null, v[230:231], v[230:231], v[232:233]
	v_div_scale_f64 v[240:241], vcc_lo, v[232:233], v[230:231], v[232:233]
	v_rcp_f64_e32 v[236:237], v[234:235]
	v_fma_f64 v[238:239], -v[234:235], v[236:237], 1.0
	v_fma_f64 v[236:237], v[236:237], v[238:239], v[236:237]
	v_fma_f64 v[238:239], -v[234:235], v[236:237], 1.0
	v_fma_f64 v[236:237], v[236:237], v[238:239], v[236:237]
	v_mul_f64 v[238:239], v[240:241], v[236:237]
	v_fma_f64 v[234:235], -v[234:235], v[238:239], v[240:241]
	v_div_fmas_f64 v[234:235], v[234:235], v[236:237], v[238:239]
	v_div_fixup_f64 v[236:237], v[234:235], v[230:231], v[232:233]
	v_fma_f64 v[230:231], v[232:233], v[236:237], v[230:231]
	v_div_scale_f64 v[232:233], null, v[230:231], v[230:231], 1.0
	v_rcp_f64_e32 v[234:235], v[232:233]
	v_fma_f64 v[238:239], -v[232:233], v[234:235], 1.0
	v_fma_f64 v[234:235], v[234:235], v[238:239], v[234:235]
	v_fma_f64 v[238:239], -v[232:233], v[234:235], 1.0
	v_fma_f64 v[234:235], v[234:235], v[238:239], v[234:235]
	v_div_scale_f64 v[238:239], vcc_lo, 1.0, v[230:231], 1.0
	v_mul_f64 v[240:241], v[238:239], v[234:235]
	v_fma_f64 v[232:233], -v[232:233], v[240:241], v[238:239]
	v_div_fmas_f64 v[232:233], v[232:233], v[234:235], v[240:241]
	v_div_fixup_f64 v[234:235], v[232:233], v[230:231], 1.0
	v_mul_f64 v[236:237], v[236:237], -v[234:235]
.LBB81_349:
	s_or_b32 exec_lo, exec_lo, s1
	ds_write2_b64 v1, v[234:235], v[236:237] offset1:1
.LBB81_350:
	s_or_b32 exec_lo, exec_lo, s2
	s_waitcnt lgkmcnt(0)
	s_barrier
	buffer_gl0_inv
	ds_read2_b64 v[230:233], v1 offset1:1
	s_mov_b32 s1, exec_lo
	v_cmpx_lt_u32_e32 38, v0
	s_cbranch_execz .LBB81_352
; %bb.351:
	s_waitcnt lgkmcnt(0)
	v_mul_f64 v[234:235], v[230:231], v[12:13]
	v_mul_f64 v[12:13], v[232:233], v[12:13]
	v_fma_f64 v[238:239], v[232:233], v[10:11], v[234:235]
	ds_read2_b64 v[234:237], v254 offset0:78 offset1:79
	v_fma_f64 v[10:11], v[230:231], v[10:11], -v[12:13]
	s_waitcnt lgkmcnt(0)
	v_mul_f64 v[12:13], v[236:237], v[238:239]
	v_fma_f64 v[12:13], v[234:235], v[10:11], -v[12:13]
	v_mul_f64 v[234:235], v[234:235], v[238:239]
	v_add_f64 v[6:7], v[6:7], -v[12:13]
	v_fma_f64 v[234:235], v[236:237], v[10:11], v[234:235]
	v_add_f64 v[8:9], v[8:9], -v[234:235]
	ds_read2_b64 v[234:237], v254 offset0:80 offset1:81
	s_waitcnt lgkmcnt(0)
	v_mul_f64 v[12:13], v[236:237], v[238:239]
	v_fma_f64 v[12:13], v[234:235], v[10:11], -v[12:13]
	v_mul_f64 v[234:235], v[234:235], v[238:239]
	v_add_f64 v[2:3], v[2:3], -v[12:13]
	v_fma_f64 v[234:235], v[236:237], v[10:11], v[234:235]
	v_mov_b32_e32 v12, v238
	v_mov_b32_e32 v13, v239
	v_add_f64 v[4:5], v[4:5], -v[234:235]
.LBB81_352:
	s_or_b32 exec_lo, exec_lo, s1
	s_mov_b32 s2, exec_lo
	s_waitcnt lgkmcnt(0)
	s_barrier
	buffer_gl0_inv
	v_cmpx_eq_u32_e32 39, v0
	s_cbranch_execz .LBB81_359
; %bb.353:
	ds_write2_b64 v1, v[6:7], v[8:9] offset1:1
	ds_write2_b64 v254, v[2:3], v[4:5] offset0:80 offset1:81
	ds_read2_b64 v[234:237], v1 offset1:1
	s_waitcnt lgkmcnt(0)
	v_cmp_neq_f64_e32 vcc_lo, 0, v[234:235]
	v_cmp_neq_f64_e64 s1, 0, v[236:237]
	s_or_b32 s1, vcc_lo, s1
	s_and_b32 exec_lo, exec_lo, s1
	s_cbranch_execz .LBB81_359
; %bb.354:
	v_cmp_ngt_f64_e64 s1, |v[234:235]|, |v[236:237]|
                                        ; implicit-def: $vgpr238_vgpr239
	s_and_saveexec_b32 s3, s1
	s_xor_b32 s1, exec_lo, s3
                                        ; implicit-def: $vgpr240_vgpr241
	s_cbranch_execz .LBB81_356
; %bb.355:
	v_div_scale_f64 v[238:239], null, v[236:237], v[236:237], v[234:235]
	v_mov_b32_e32 v166, v244
	v_mov_b32_e32 v167, v245
	v_div_scale_f64 v[244:245], vcc_lo, v[234:235], v[236:237], v[234:235]
	v_rcp_f64_e32 v[240:241], v[238:239]
	v_fma_f64 v[242:243], -v[238:239], v[240:241], 1.0
	v_fma_f64 v[240:241], v[240:241], v[242:243], v[240:241]
	v_fma_f64 v[242:243], -v[238:239], v[240:241], 1.0
	v_fma_f64 v[240:241], v[240:241], v[242:243], v[240:241]
	v_mul_f64 v[242:243], v[244:245], v[240:241]
	v_fma_f64 v[238:239], -v[238:239], v[242:243], v[244:245]
	v_div_fmas_f64 v[238:239], v[238:239], v[240:241], v[242:243]
	v_div_fixup_f64 v[238:239], v[238:239], v[236:237], v[234:235]
	v_fma_f64 v[234:235], v[234:235], v[238:239], v[236:237]
	v_div_scale_f64 v[236:237], null, v[234:235], v[234:235], 1.0
	v_rcp_f64_e32 v[240:241], v[236:237]
	v_fma_f64 v[242:243], -v[236:237], v[240:241], 1.0
	v_fma_f64 v[240:241], v[240:241], v[242:243], v[240:241]
	v_fma_f64 v[242:243], -v[236:237], v[240:241], 1.0
	v_fma_f64 v[240:241], v[240:241], v[242:243], v[240:241]
	v_div_scale_f64 v[242:243], vcc_lo, 1.0, v[234:235], 1.0
	v_mul_f64 v[244:245], v[242:243], v[240:241]
	v_fma_f64 v[236:237], -v[236:237], v[244:245], v[242:243]
	v_div_fmas_f64 v[236:237], v[236:237], v[240:241], v[244:245]
	v_mov_b32_e32 v245, v167
	v_mov_b32_e32 v244, v166
	v_div_fixup_f64 v[240:241], v[236:237], v[234:235], 1.0
                                        ; implicit-def: $vgpr234_vgpr235
	v_mul_f64 v[238:239], v[238:239], v[240:241]
	v_xor_b32_e32 v241, 0x80000000, v241
.LBB81_356:
	s_andn2_saveexec_b32 s1, s1
	s_cbranch_execz .LBB81_358
; %bb.357:
	v_div_scale_f64 v[238:239], null, v[234:235], v[234:235], v[236:237]
	v_mov_b32_e32 v166, v244
	v_mov_b32_e32 v167, v245
	v_div_scale_f64 v[244:245], vcc_lo, v[236:237], v[234:235], v[236:237]
	v_rcp_f64_e32 v[240:241], v[238:239]
	v_fma_f64 v[242:243], -v[238:239], v[240:241], 1.0
	v_fma_f64 v[240:241], v[240:241], v[242:243], v[240:241]
	v_fma_f64 v[242:243], -v[238:239], v[240:241], 1.0
	v_fma_f64 v[240:241], v[240:241], v[242:243], v[240:241]
	v_mul_f64 v[242:243], v[244:245], v[240:241]
	v_fma_f64 v[238:239], -v[238:239], v[242:243], v[244:245]
	v_div_fmas_f64 v[238:239], v[238:239], v[240:241], v[242:243]
	v_div_fixup_f64 v[240:241], v[238:239], v[234:235], v[236:237]
	v_fma_f64 v[234:235], v[236:237], v[240:241], v[234:235]
	v_div_scale_f64 v[236:237], null, v[234:235], v[234:235], 1.0
	v_rcp_f64_e32 v[238:239], v[236:237]
	v_fma_f64 v[242:243], -v[236:237], v[238:239], 1.0
	v_fma_f64 v[238:239], v[238:239], v[242:243], v[238:239]
	v_fma_f64 v[242:243], -v[236:237], v[238:239], 1.0
	v_fma_f64 v[238:239], v[238:239], v[242:243], v[238:239]
	v_div_scale_f64 v[242:243], vcc_lo, 1.0, v[234:235], 1.0
	v_mul_f64 v[244:245], v[242:243], v[238:239]
	v_fma_f64 v[236:237], -v[236:237], v[244:245], v[242:243]
	v_div_fmas_f64 v[236:237], v[236:237], v[238:239], v[244:245]
	v_mov_b32_e32 v245, v167
	v_mov_b32_e32 v244, v166
	v_div_fixup_f64 v[238:239], v[236:237], v[234:235], 1.0
	v_mul_f64 v[240:241], v[240:241], -v[238:239]
.LBB81_358:
	s_or_b32 exec_lo, exec_lo, s1
	ds_write2_b64 v1, v[238:239], v[240:241] offset1:1
.LBB81_359:
	s_or_b32 exec_lo, exec_lo, s2
	s_waitcnt lgkmcnt(0)
	s_barrier
	buffer_gl0_inv
	ds_read2_b64 v[234:237], v1 offset1:1
	s_mov_b32 s1, exec_lo
	v_cmpx_lt_u32_e32 39, v0
	s_cbranch_execz .LBB81_361
; %bb.360:
	s_waitcnt lgkmcnt(0)
	v_mul_f64 v[238:239], v[234:235], v[8:9]
	v_mul_f64 v[8:9], v[236:237], v[8:9]
	v_fma_f64 v[242:243], v[236:237], v[6:7], v[238:239]
	ds_read2_b64 v[238:241], v254 offset0:80 offset1:81
	v_fma_f64 v[6:7], v[234:235], v[6:7], -v[8:9]
	s_waitcnt lgkmcnt(0)
	v_mul_f64 v[8:9], v[240:241], v[242:243]
	v_fma_f64 v[8:9], v[238:239], v[6:7], -v[8:9]
	v_mul_f64 v[238:239], v[238:239], v[242:243]
	v_add_f64 v[2:3], v[2:3], -v[8:9]
	v_fma_f64 v[238:239], v[240:241], v[6:7], v[238:239]
	v_mov_b32_e32 v8, v242
	v_mov_b32_e32 v9, v243
	v_add_f64 v[4:5], v[4:5], -v[238:239]
.LBB81_361:
	s_or_b32 exec_lo, exec_lo, s1
	s_mov_b32 s2, exec_lo
	s_waitcnt lgkmcnt(0)
	s_barrier
	buffer_gl0_inv
	v_cmpx_eq_u32_e32 40, v0
	s_cbranch_execz .LBB81_368
; %bb.362:
	v_cmp_neq_f64_e32 vcc_lo, 0, v[2:3]
	v_cmp_neq_f64_e64 s1, 0, v[4:5]
	ds_write2_b64 v1, v[2:3], v[4:5] offset1:1
	s_or_b32 s1, vcc_lo, s1
	s_and_b32 exec_lo, exec_lo, s1
	s_cbranch_execz .LBB81_368
; %bb.363:
	v_cmp_ngt_f64_e64 s1, |v[2:3]|, |v[4:5]|
                                        ; implicit-def: $vgpr238_vgpr239
	s_and_saveexec_b32 s3, s1
	s_xor_b32 s1, exec_lo, s3
                                        ; implicit-def: $vgpr240_vgpr241
	s_cbranch_execz .LBB81_365
; %bb.364:
	v_div_scale_f64 v[238:239], null, v[4:5], v[4:5], v[2:3]
	v_mov_b32_e32 v168, v244
	v_mov_b32_e32 v169, v245
	v_div_scale_f64 v[244:245], vcc_lo, v[2:3], v[4:5], v[2:3]
	v_mov_b32_e32 v166, v252
	v_mov_b32_e32 v167, v253
	;; [unrolled: 1-line block ×6, first 2 shown]
	v_rcp_f64_e32 v[240:241], v[238:239]
	v_fma_f64 v[242:243], -v[238:239], v[240:241], 1.0
	v_fma_f64 v[240:241], v[240:241], v[242:243], v[240:241]
	v_fma_f64 v[242:243], -v[238:239], v[240:241], 1.0
	v_fma_f64 v[240:241], v[240:241], v[242:243], v[240:241]
	v_mul_f64 v[242:243], v[244:245], v[240:241]
	v_fma_f64 v[238:239], -v[238:239], v[242:243], v[244:245]
	v_div_fmas_f64 v[238:239], v[238:239], v[240:241], v[242:243]
	v_div_fixup_f64 v[238:239], v[238:239], v[4:5], v[2:3]
	v_fma_f64 v[240:241], v[2:3], v[238:239], v[4:5]
	v_div_scale_f64 v[242:243], null, v[240:241], v[240:241], 1.0
	v_rcp_f64_e32 v[244:245], v[242:243]
	v_fma_f64 v[254:255], -v[242:243], v[244:245], 1.0
	v_fma_f64 v[244:245], v[244:245], v[254:255], v[244:245]
	v_fma_f64 v[254:255], -v[242:243], v[244:245], 1.0
	v_fma_f64 v[244:245], v[244:245], v[254:255], v[244:245]
	v_div_scale_f64 v[254:255], vcc_lo, 1.0, v[240:241], 1.0
	v_mul_f64 v[246:247], v[254:255], v[244:245]
	v_fma_f64 v[242:243], -v[242:243], v[246:247], v[254:255]
	v_div_fmas_f64 v[242:243], v[242:243], v[244:245], v[246:247]
	v_mov_b32_e32 v246, v250
	v_mov_b32_e32 v247, v251
	;; [unrolled: 1-line block ×8, first 2 shown]
	v_div_fixup_f64 v[240:241], v[242:243], v[240:241], 1.0
	v_mul_f64 v[238:239], v[238:239], v[240:241]
	v_xor_b32_e32 v241, 0x80000000, v241
.LBB81_365:
	s_andn2_saveexec_b32 s1, s1
	s_cbranch_execz .LBB81_367
; %bb.366:
	v_div_scale_f64 v[238:239], null, v[2:3], v[2:3], v[4:5]
	v_mov_b32_e32 v168, v244
	v_mov_b32_e32 v169, v245
	v_div_scale_f64 v[244:245], vcc_lo, v[4:5], v[2:3], v[4:5]
	v_mov_b32_e32 v166, v252
	v_mov_b32_e32 v167, v253
	v_mov_b32_e32 v253, v251
	v_mov_b32_e32 v252, v250
	v_mov_b32_e32 v251, v247
	v_mov_b32_e32 v250, v246
	v_mov_b32_e32 v255, v249
	v_mov_b32_e32 v254, v248
	v_rcp_f64_e32 v[240:241], v[238:239]
	v_fma_f64 v[242:243], -v[238:239], v[240:241], 1.0
	v_fma_f64 v[240:241], v[240:241], v[242:243], v[240:241]
	v_fma_f64 v[242:243], -v[238:239], v[240:241], 1.0
	v_fma_f64 v[240:241], v[240:241], v[242:243], v[240:241]
	v_mul_f64 v[242:243], v[244:245], v[240:241]
	v_fma_f64 v[238:239], -v[238:239], v[242:243], v[244:245]
	v_div_fmas_f64 v[238:239], v[238:239], v[240:241], v[242:243]
	v_div_fixup_f64 v[240:241], v[238:239], v[2:3], v[4:5]
	v_fma_f64 v[238:239], v[4:5], v[240:241], v[2:3]
	v_div_scale_f64 v[242:243], null, v[238:239], v[238:239], 1.0
	v_rcp_f64_e32 v[244:245], v[242:243]
	v_fma_f64 v[246:247], -v[242:243], v[244:245], 1.0
	v_fma_f64 v[244:245], v[244:245], v[246:247], v[244:245]
	v_fma_f64 v[246:247], -v[242:243], v[244:245], 1.0
	v_fma_f64 v[244:245], v[244:245], v[246:247], v[244:245]
	v_div_scale_f64 v[246:247], vcc_lo, 1.0, v[238:239], 1.0
	v_mul_f64 v[248:249], v[246:247], v[244:245]
	v_fma_f64 v[242:243], -v[242:243], v[248:249], v[246:247]
	v_mov_b32_e32 v246, v250
	v_mov_b32_e32 v247, v251
	;; [unrolled: 1-line block ×6, first 2 shown]
	v_div_fmas_f64 v[242:243], v[242:243], v[244:245], v[248:249]
	v_mov_b32_e32 v245, v169
	v_mov_b32_e32 v248, v254
	;; [unrolled: 1-line block ×4, first 2 shown]
	v_div_fixup_f64 v[238:239], v[242:243], v[238:239], 1.0
	v_mul_f64 v[240:241], v[240:241], -v[238:239]
.LBB81_367:
	s_or_b32 exec_lo, exec_lo, s1
	ds_write2_b64 v1, v[238:239], v[240:241] offset1:1
.LBB81_368:
	s_or_b32 exec_lo, exec_lo, s2
	s_waitcnt lgkmcnt(0)
	s_barrier
	buffer_gl0_inv
	ds_read2_b64 v[238:241], v1 offset1:1
	s_mov_b32 s1, exec_lo
	v_cmpx_lt_u32_e32 40, v0
	s_cbranch_execz .LBB81_370
; %bb.369:
	s_waitcnt lgkmcnt(0)
	v_mul_f64 v[0:1], v[240:241], v[4:5]
	v_mul_f64 v[4:5], v[238:239], v[4:5]
	v_fma_f64 v[0:1], v[238:239], v[2:3], -v[0:1]
	v_fma_f64 v[4:5], v[240:241], v[2:3], v[4:5]
	v_mov_b32_e32 v3, v1
	v_mov_b32_e32 v2, v0
.LBB81_370:
	s_or_b32 exec_lo, exec_lo, s1
	s_waitcnt lgkmcnt(0)
	s_barrier
	buffer_gl0_inv
	s_and_saveexec_b32 s6, s0
	s_cbranch_execz .LBB81_373
; %bb.371:
	s_clause 0x3
	buffer_load_dword v166, off, s[16:19], 0 offset:288
	buffer_load_dword v167, off, s[16:19], 0 offset:292
	;; [unrolled: 1-line block ×4, first 2 shown]
	s_waitcnt vmcnt(2)
	v_cmp_eq_f64_e32 vcc_lo, 0, v[166:167]
	s_waitcnt vmcnt(0)
	v_cmp_eq_f64_e64 s0, 0, v[168:169]
	s_clause 0x3
	buffer_load_dword v166, off, s[16:19], 0 offset:304
	buffer_load_dword v167, off, s[16:19], 0 offset:308
	;; [unrolled: 1-line block ×4, first 2 shown]
	s_and_b32 s0, vcc_lo, s0
	v_cndmask_b32_e64 v0, 0, 1, s0
	s_waitcnt vmcnt(2)
	v_cmp_neq_f64_e64 s1, 0, v[166:167]
	s_waitcnt vmcnt(0)
	v_cmp_neq_f64_e64 s2, 0, v[168:169]
	s_clause 0x3
	buffer_load_dword v166, off, s[16:19], 0 offset:320
	buffer_load_dword v167, off, s[16:19], 0 offset:324
	;; [unrolled: 1-line block ×4, first 2 shown]
	s_or_b32 s1, s1, s2
	s_or_b32 s0, s1, s0
	v_cndmask_b32_e64 v0, 2, v0, s0
	v_cmp_eq_u32_e64 s0, 0, v0
	s_waitcnt vmcnt(2)
	v_cmp_eq_f64_e64 s3, 0, v[166:167]
	s_waitcnt vmcnt(0)
	v_cmp_eq_f64_e64 s4, 0, v[168:169]
	s_clause 0x3
	buffer_load_dword v166, off, s[16:19], 0 offset:336
	buffer_load_dword v167, off, s[16:19], 0 offset:340
	;; [unrolled: 1-line block ×4, first 2 shown]
	s_and_b32 s3, s3, s4
	s_and_b32 s0, s3, s0
	v_cndmask_b32_e64 v0, v0, 3, s0
	v_cmp_eq_u32_e64 s0, 0, v0
	s_waitcnt vmcnt(2)
	v_cmp_eq_f64_e64 s5, 0, v[166:167]
	s_waitcnt vmcnt(0)
	v_cmp_eq_f64_e32 vcc_lo, 0, v[168:169]
	s_clause 0x3
	buffer_load_dword v166, off, s[16:19], 0 offset:352
	buffer_load_dword v167, off, s[16:19], 0 offset:356
	;; [unrolled: 1-line block ×4, first 2 shown]
	s_and_b32 s5, s5, vcc_lo
	s_and_b32 s0, s5, s0
	v_cndmask_b32_e64 v0, v0, 4, s0
	v_cmp_eq_u32_e32 vcc_lo, 0, v0
	s_waitcnt vmcnt(2)
	v_cmp_eq_f64_e64 s1, 0, v[166:167]
	s_waitcnt vmcnt(0)
	v_cmp_eq_f64_e64 s2, 0, v[168:169]
	s_clause 0x3
	buffer_load_dword v166, off, s[16:19], 0 offset:368
	buffer_load_dword v167, off, s[16:19], 0 offset:372
	buffer_load_dword v168, off, s[16:19], 0 offset:376
	buffer_load_dword v169, off, s[16:19], 0 offset:380
	s_and_b32 s1, s1, s2
	s_and_b32 s1, s1, vcc_lo
	v_cndmask_b32_e64 v0, v0, 5, s1
	v_cmp_eq_u32_e32 vcc_lo, 0, v0
	s_waitcnt vmcnt(2)
	v_cmp_eq_f64_e64 s3, 0, v[166:167]
	s_waitcnt vmcnt(0)
	v_cmp_eq_f64_e64 s4, 0, v[168:169]
	s_clause 0x3
	buffer_load_dword v166, off, s[16:19], 0 offset:384
	buffer_load_dword v167, off, s[16:19], 0 offset:388
	buffer_load_dword v168, off, s[16:19], 0 offset:392
	buffer_load_dword v169, off, s[16:19], 0 offset:396
	s_and_b32 s3, s3, s4
	s_and_b32 s3, s3, vcc_lo
	v_cndmask_b32_e64 v0, v0, 6, s3
	v_cmp_eq_u32_e32 vcc_lo, 0, v0
	s_waitcnt vmcnt(2)
	v_cmp_eq_f64_e64 s0, 0, v[166:167]
	s_waitcnt vmcnt(0)
	v_cmp_eq_f64_e64 s5, 0, v[168:169]
	s_clause 0x3
	buffer_load_dword v166, off, s[16:19], 0 offset:400
	buffer_load_dword v167, off, s[16:19], 0 offset:404
	buffer_load_dword v168, off, s[16:19], 0 offset:408
	buffer_load_dword v169, off, s[16:19], 0 offset:412
	s_and_b32 s0, s0, s5
	s_and_b32 s0, s0, vcc_lo
	v_cndmask_b32_e64 v0, v0, 7, s0
	v_cmp_eq_u32_e32 vcc_lo, 0, v0
	s_waitcnt vmcnt(2)
	v_cmp_eq_f64_e64 s1, 0, v[166:167]
	s_waitcnt vmcnt(0)
	v_cmp_eq_f64_e64 s2, 0, v[168:169]
	s_clause 0x3
	buffer_load_dword v166, off, s[16:19], 0 offset:416
	buffer_load_dword v167, off, s[16:19], 0 offset:420
	buffer_load_dword v168, off, s[16:19], 0 offset:424
	buffer_load_dword v169, off, s[16:19], 0 offset:428
	s_and_b32 s1, s1, s2
	s_and_b32 s1, s1, vcc_lo
	v_cndmask_b32_e64 v0, v0, 8, s1
	v_cmp_eq_u32_e32 vcc_lo, 0, v0
	s_waitcnt vmcnt(2)
	v_cmp_eq_f64_e64 s3, 0, v[166:167]
	s_waitcnt vmcnt(0)
	v_cmp_eq_f64_e64 s4, 0, v[168:169]
	s_clause 0x3
	buffer_load_dword v166, off, s[16:19], 0 offset:432
	buffer_load_dword v167, off, s[16:19], 0 offset:436
	buffer_load_dword v168, off, s[16:19], 0 offset:440
	buffer_load_dword v169, off, s[16:19], 0 offset:444
	s_and_b32 s3, s3, s4
	s_and_b32 s3, s3, vcc_lo
	v_cndmask_b32_e64 v0, v0, 9, s3
	v_cmp_eq_u32_e32 vcc_lo, 0, v0
	s_waitcnt vmcnt(2)
	v_cmp_eq_f64_e64 s0, 0, v[166:167]
	s_waitcnt vmcnt(0)
	v_cmp_eq_f64_e64 s5, 0, v[168:169]
	s_clause 0x3
	buffer_load_dword v166, off, s[16:19], 0 offset:448
	buffer_load_dword v167, off, s[16:19], 0 offset:452
	buffer_load_dword v168, off, s[16:19], 0 offset:456
	buffer_load_dword v169, off, s[16:19], 0 offset:460
	s_and_b32 s0, s0, s5
	s_and_b32 s0, s0, vcc_lo
	v_cndmask_b32_e64 v0, v0, 10, s0
	v_cmp_eq_u32_e64 s5, 0, v0
	s_waitcnt vmcnt(2)
	v_cmp_eq_f64_e64 s1, 0, v[166:167]
	s_waitcnt vmcnt(0)
	v_cmp_eq_f64_e64 s2, 0, v[168:169]
	s_clause 0x3
	buffer_load_dword v166, off, s[16:19], 0 offset:464
	buffer_load_dword v167, off, s[16:19], 0 offset:468
	;; [unrolled: 1-line block ×4, first 2 shown]
	s_and_b32 s1, s1, s2
	s_and_b32 s1, s1, s5
	v_cndmask_b32_e64 v242, v0, 11, s1
	s_waitcnt vmcnt(2)
	v_cmp_eq_f64_e64 s3, 0, v[166:167]
	s_waitcnt vmcnt(0)
	v_cmp_eq_f64_e64 s4, 0, v[168:169]
	s_clause 0x5
	buffer_load_dword v166, off, s[16:19], 0 offset:480
	buffer_load_dword v167, off, s[16:19], 0 offset:484
	;; [unrolled: 1-line block ×6, first 2 shown]
	s_and_b32 s5, s3, s4
	v_cmp_eq_u32_e64 s3, 0, v242
	s_and_b32 s3, s5, s3
	v_cndmask_b32_e64 v242, v242, 12, s3
	v_cmp_eq_u32_e64 s3, 0, v242
	s_waitcnt vmcnt(4)
	v_cmp_eq_f64_e32 vcc_lo, 0, v[166:167]
	s_waitcnt vmcnt(2)
	v_cmp_eq_f64_e64 s0, 0, v[168:169]
	s_clause 0x3
	buffer_load_dword v166, off, s[16:19], 0 offset:496
	buffer_load_dword v167, off, s[16:19], 0 offset:500
	;; [unrolled: 1-line block ×4, first 2 shown]
	s_waitcnt vmcnt(4)
	v_lshlrev_b64 v[0:1], 2, v[0:1]
	v_add_co_u32 v0, s4, s10, v0
	v_add_co_ci_u32_e64 v1, null, s11, v1, s4
	global_load_dword v243, v[0:1], off
	s_and_b32 s0, vcc_lo, s0
	s_and_b32 s0, s0, s3
	v_cndmask_b32_e64 v242, v242, 13, s0
	v_cmp_eq_u32_e32 vcc_lo, 0, v242
	s_waitcnt vmcnt(3)
	v_cmp_eq_f64_e64 s1, 0, v[166:167]
	s_waitcnt vmcnt(1)
	v_cmp_eq_f64_e64 s2, 0, v[168:169]
	s_clause 0x3
	buffer_load_dword v166, off, s[16:19], 0 offset:512
	buffer_load_dword v167, off, s[16:19], 0 offset:516
	buffer_load_dword v168, off, s[16:19], 0 offset:520
	buffer_load_dword v169, off, s[16:19], 0 offset:524
	s_and_b32 s1, s1, s2
	s_and_b32 s1, s1, vcc_lo
	v_cndmask_b32_e64 v242, v242, 14, s1
	v_cmp_eq_u32_e32 vcc_lo, 0, v242
	s_waitcnt vmcnt(2)
	v_cmp_eq_f64_e64 s4, 0, v[166:167]
	s_waitcnt vmcnt(0)
	v_cmp_eq_f64_e64 s5, 0, v[168:169]
	s_clause 0x3
	buffer_load_dword v166, off, s[16:19], 0 offset:528
	buffer_load_dword v167, off, s[16:19], 0 offset:532
	buffer_load_dword v168, off, s[16:19], 0 offset:536
	buffer_load_dword v169, off, s[16:19], 0 offset:540
	s_and_b32 s4, s4, s5
	s_and_b32 s4, s4, vcc_lo
	;; [unrolled: 13-line block ×7, first 2 shown]
	v_cndmask_b32_e64 v242, v242, 20, s1
	v_cmp_eq_u32_e32 vcc_lo, 0, v242
	s_waitcnt vmcnt(2)
	v_cmp_eq_f64_e64 s4, 0, v[166:167]
	s_waitcnt vmcnt(0)
	v_cmp_eq_f64_e64 s5, 0, v[168:169]
	s_clause 0x3
	buffer_load_dword v166, off, s[16:19], 0 offset:624
	buffer_load_dword v167, off, s[16:19], 0 offset:628
	;; [unrolled: 1-line block ×4, first 2 shown]
	s_and_b32 s4, s4, s5
	v_cmp_eq_f64_e64 s5, 0, v[172:173]
	s_and_b32 s4, s4, vcc_lo
	s_waitcnt vmcnt(2)
	v_cmp_eq_f64_e64 s0, 0, v[166:167]
	s_waitcnt vmcnt(0)
	v_cmp_eq_f64_e64 s3, 0, v[168:169]
	s_clause 0x3
	buffer_load_dword v166, off, s[16:19], 0 offset:640
	buffer_load_dword v167, off, s[16:19], 0 offset:644
	;; [unrolled: 1-line block ×4, first 2 shown]
	s_and_b32 s0, s0, s3
	v_cmp_eq_f64_e64 s3, 0, v[176:177]
	s_waitcnt vmcnt(2)
	v_cmp_eq_f64_e64 s1, 0, v[166:167]
	v_cndmask_b32_e64 v166, v242, 21, s4
	s_waitcnt vmcnt(0)
	v_cmp_eq_f64_e64 s2, 0, v[168:169]
	v_cmp_eq_f64_e64 s4, 0, v[170:171]
	v_cmp_eq_u32_e32 vcc_lo, 0, v166
	s_and_b32 s0, s0, vcc_lo
	v_cndmask_b32_e64 v166, v166, 22, s0
	v_cmp_eq_f64_e64 s0, 0, v[174:175]
	v_cmp_eq_u32_e32 vcc_lo, 0, v166
	s_and_b32 s1, s1, s2
	s_and_b32 s4, s4, s5
	s_and_b32 s1, s1, vcc_lo
	v_cmp_eq_f64_e64 s2, 0, v[180:181]
	v_cndmask_b32_e64 v166, v166, 23, s1
	v_cmp_eq_f64_e64 s1, 0, v[178:179]
	v_cmp_eq_f64_e64 s5, 0, v[184:185]
	v_cmp_eq_u32_e32 vcc_lo, 0, v166
	s_and_b32 s0, s0, s3
	v_cmp_eq_f64_e64 s3, 0, v[188:189]
	s_and_b32 s4, s4, vcc_lo
	v_cndmask_b32_e64 v166, v166, 24, s4
	v_cmp_eq_f64_e64 s4, 0, v[182:183]
	v_cmp_eq_u32_e32 vcc_lo, 0, v166
	s_and_b32 s0, s0, vcc_lo
	s_and_b32 s1, s1, s2
	v_cndmask_b32_e64 v166, v166, 25, s0
	v_cmp_eq_f64_e64 s0, 0, v[186:187]
	v_cmp_eq_f64_e64 s2, 0, v[192:193]
	v_cmp_eq_u32_e32 vcc_lo, 0, v166
	s_and_b32 s1, s1, vcc_lo
	s_and_b32 s4, s4, s5
	v_cndmask_b32_e64 v166, v166, 26, s1
	v_cmp_eq_f64_e64 s1, 0, v[190:191]
	;; [unrolled: 6-line block ×14, first 2 shown]
	v_cmp_eq_u32_e32 vcc_lo, 0, v166
	s_and_b32 s4, s4, vcc_lo
	s_and_b32 s0, s0, s3
	v_cndmask_b32_e64 v166, v166, 39, s4
	v_cmp_eq_u32_e32 vcc_lo, 0, v166
	s_and_b32 s0, s0, vcc_lo
	v_cndmask_b32_e64 v166, v166, 40, s0
	s_and_b32 s0, s1, s2
	v_cmp_eq_u32_e32 vcc_lo, 0, v166
	s_and_b32 s0, s0, vcc_lo
	v_cmp_eq_u32_e32 vcc_lo, 0, v243
	v_cndmask_b32_e64 v166, v166, 41, s0
	v_cmp_ne_u32_e64 s0, 0, v166
	s_and_b32 s0, vcc_lo, s0
	s_and_b32 exec_lo, exec_lo, s0
	s_cbranch_execz .LBB81_373
; %bb.372:
	v_add_nc_u32_e32 v166, s13, v166
	global_store_dword v[0:1], v166, off
.LBB81_373:
	s_or_b32 exec_lo, exec_lo, s6
	s_clause 0x1
	buffer_load_dword v0, off, s[16:19], 0 offset:280
	buffer_load_dword v1, off, s[16:19], 0 offset:284
	s_waitcnt vmcnt(0)
	global_store_dwordx4 v[0:1], v[162:165], off
	s_clause 0x1
	buffer_load_dword v0, off, s[16:19], 0 offset:272
	buffer_load_dword v1, off, s[16:19], 0 offset:276
	s_waitcnt vmcnt(0)
	global_store_dwordx4 v[0:1], v[158:161], off
	global_store_dwordx4 v[252:253], v[154:157], off
	global_store_dwordx4 v[246:247], v[150:153], off
	global_store_dwordx4 v[248:249], v[146:149], off
	global_store_dwordx4 v[250:251], v[142:145], off
	global_store_dwordx4 v[244:245], v[138:141], off
	s_clause 0x1
	buffer_load_dword v0, off, s[16:19], 0
	buffer_load_dword v1, off, s[16:19], 0 offset:4
	s_waitcnt vmcnt(0)
	global_store_dwordx4 v[0:1], v[134:137], off
	s_clause 0x1
	buffer_load_dword v0, off, s[16:19], 0 offset:8
	buffer_load_dword v1, off, s[16:19], 0 offset:12
	s_waitcnt vmcnt(0)
	global_store_dwordx4 v[0:1], v[130:133], off
	s_clause 0x1
	buffer_load_dword v0, off, s[16:19], 0 offset:16
	;; [unrolled: 5-line block ×33, first 2 shown]
	buffer_load_dword v1, off, s[16:19], 0 offset:268
	s_waitcnt vmcnt(0)
	global_store_dwordx4 v[0:1], v[2:5], off
.LBB81_374:
	s_endpgm
	.section	.rodata,"a",@progbits
	.p2align	6, 0x0
	.amdhsa_kernel _ZN9rocsolver6v33100L23getf2_npvt_small_kernelILi41E19rocblas_complex_numIdEiiPS3_EEvT1_T3_lS5_lPT2_S5_S5_
		.amdhsa_group_segment_fixed_size 0
		.amdhsa_private_segment_fixed_size 668
		.amdhsa_kernarg_size 312
		.amdhsa_user_sgpr_count 6
		.amdhsa_user_sgpr_private_segment_buffer 1
		.amdhsa_user_sgpr_dispatch_ptr 0
		.amdhsa_user_sgpr_queue_ptr 0
		.amdhsa_user_sgpr_kernarg_segment_ptr 1
		.amdhsa_user_sgpr_dispatch_id 0
		.amdhsa_user_sgpr_flat_scratch_init 0
		.amdhsa_user_sgpr_private_segment_size 0
		.amdhsa_wavefront_size32 1
		.amdhsa_uses_dynamic_stack 0
		.amdhsa_system_sgpr_private_segment_wavefront_offset 1
		.amdhsa_system_sgpr_workgroup_id_x 1
		.amdhsa_system_sgpr_workgroup_id_y 1
		.amdhsa_system_sgpr_workgroup_id_z 0
		.amdhsa_system_sgpr_workgroup_info 0
		.amdhsa_system_vgpr_workitem_id 1
		.amdhsa_next_free_vgpr 256
		.amdhsa_next_free_sgpr 20
		.amdhsa_reserve_vcc 1
		.amdhsa_reserve_flat_scratch 0
		.amdhsa_float_round_mode_32 0
		.amdhsa_float_round_mode_16_64 0
		.amdhsa_float_denorm_mode_32 3
		.amdhsa_float_denorm_mode_16_64 3
		.amdhsa_dx10_clamp 1
		.amdhsa_ieee_mode 1
		.amdhsa_fp16_overflow 0
		.amdhsa_workgroup_processor_mode 1
		.amdhsa_memory_ordered 1
		.amdhsa_forward_progress 1
		.amdhsa_shared_vgpr_count 0
		.amdhsa_exception_fp_ieee_invalid_op 0
		.amdhsa_exception_fp_denorm_src 0
		.amdhsa_exception_fp_ieee_div_zero 0
		.amdhsa_exception_fp_ieee_overflow 0
		.amdhsa_exception_fp_ieee_underflow 0
		.amdhsa_exception_fp_ieee_inexact 0
		.amdhsa_exception_int_div_zero 0
	.end_amdhsa_kernel
	.section	.text._ZN9rocsolver6v33100L23getf2_npvt_small_kernelILi41E19rocblas_complex_numIdEiiPS3_EEvT1_T3_lS5_lPT2_S5_S5_,"axG",@progbits,_ZN9rocsolver6v33100L23getf2_npvt_small_kernelILi41E19rocblas_complex_numIdEiiPS3_EEvT1_T3_lS5_lPT2_S5_S5_,comdat
.Lfunc_end81:
	.size	_ZN9rocsolver6v33100L23getf2_npvt_small_kernelILi41E19rocblas_complex_numIdEiiPS3_EEvT1_T3_lS5_lPT2_S5_S5_, .Lfunc_end81-_ZN9rocsolver6v33100L23getf2_npvt_small_kernelILi41E19rocblas_complex_numIdEiiPS3_EEvT1_T3_lS5_lPT2_S5_S5_
                                        ; -- End function
	.set _ZN9rocsolver6v33100L23getf2_npvt_small_kernelILi41E19rocblas_complex_numIdEiiPS3_EEvT1_T3_lS5_lPT2_S5_S5_.num_vgpr, 256
	.set _ZN9rocsolver6v33100L23getf2_npvt_small_kernelILi41E19rocblas_complex_numIdEiiPS3_EEvT1_T3_lS5_lPT2_S5_S5_.num_agpr, 0
	.set _ZN9rocsolver6v33100L23getf2_npvt_small_kernelILi41E19rocblas_complex_numIdEiiPS3_EEvT1_T3_lS5_lPT2_S5_S5_.numbered_sgpr, 20
	.set _ZN9rocsolver6v33100L23getf2_npvt_small_kernelILi41E19rocblas_complex_numIdEiiPS3_EEvT1_T3_lS5_lPT2_S5_S5_.num_named_barrier, 0
	.set _ZN9rocsolver6v33100L23getf2_npvt_small_kernelILi41E19rocblas_complex_numIdEiiPS3_EEvT1_T3_lS5_lPT2_S5_S5_.private_seg_size, 668
	.set _ZN9rocsolver6v33100L23getf2_npvt_small_kernelILi41E19rocblas_complex_numIdEiiPS3_EEvT1_T3_lS5_lPT2_S5_S5_.uses_vcc, 1
	.set _ZN9rocsolver6v33100L23getf2_npvt_small_kernelILi41E19rocblas_complex_numIdEiiPS3_EEvT1_T3_lS5_lPT2_S5_S5_.uses_flat_scratch, 0
	.set _ZN9rocsolver6v33100L23getf2_npvt_small_kernelILi41E19rocblas_complex_numIdEiiPS3_EEvT1_T3_lS5_lPT2_S5_S5_.has_dyn_sized_stack, 0
	.set _ZN9rocsolver6v33100L23getf2_npvt_small_kernelILi41E19rocblas_complex_numIdEiiPS3_EEvT1_T3_lS5_lPT2_S5_S5_.has_recursion, 0
	.set _ZN9rocsolver6v33100L23getf2_npvt_small_kernelILi41E19rocblas_complex_numIdEiiPS3_EEvT1_T3_lS5_lPT2_S5_S5_.has_indirect_call, 0
	.section	.AMDGPU.csdata,"",@progbits
; Kernel info:
; codeLenInByte = 87580
; TotalNumSgprs: 22
; NumVgprs: 256
; ScratchSize: 668
; MemoryBound: 1
; FloatMode: 240
; IeeeMode: 1
; LDSByteSize: 0 bytes/workgroup (compile time only)
; SGPRBlocks: 0
; VGPRBlocks: 31
; NumSGPRsForWavesPerEU: 22
; NumVGPRsForWavesPerEU: 256
; Occupancy: 4
; WaveLimiterHint : 0
; COMPUTE_PGM_RSRC2:SCRATCH_EN: 1
; COMPUTE_PGM_RSRC2:USER_SGPR: 6
; COMPUTE_PGM_RSRC2:TRAP_HANDLER: 0
; COMPUTE_PGM_RSRC2:TGID_X_EN: 1
; COMPUTE_PGM_RSRC2:TGID_Y_EN: 1
; COMPUTE_PGM_RSRC2:TGID_Z_EN: 0
; COMPUTE_PGM_RSRC2:TIDIG_COMP_CNT: 1
	.section	.text._ZN9rocsolver6v33100L18getf2_small_kernelILi42E19rocblas_complex_numIdEiiPS3_EEvT1_T3_lS5_lPS5_llPT2_S5_S5_S7_l,"axG",@progbits,_ZN9rocsolver6v33100L18getf2_small_kernelILi42E19rocblas_complex_numIdEiiPS3_EEvT1_T3_lS5_lPS5_llPT2_S5_S5_S7_l,comdat
	.globl	_ZN9rocsolver6v33100L18getf2_small_kernelILi42E19rocblas_complex_numIdEiiPS3_EEvT1_T3_lS5_lPS5_llPT2_S5_S5_S7_l ; -- Begin function _ZN9rocsolver6v33100L18getf2_small_kernelILi42E19rocblas_complex_numIdEiiPS3_EEvT1_T3_lS5_lPS5_llPT2_S5_S5_S7_l
	.p2align	8
	.type	_ZN9rocsolver6v33100L18getf2_small_kernelILi42E19rocblas_complex_numIdEiiPS3_EEvT1_T3_lS5_lPS5_llPT2_S5_S5_S7_l,@function
_ZN9rocsolver6v33100L18getf2_small_kernelILi42E19rocblas_complex_numIdEiiPS3_EEvT1_T3_lS5_lPS5_llPT2_S5_S5_S7_l: ; @_ZN9rocsolver6v33100L18getf2_small_kernelILi42E19rocblas_complex_numIdEiiPS3_EEvT1_T3_lS5_lPS5_llPT2_S5_S5_S7_l
; %bb.0:
	s_clause 0x1
	s_load_dword s0, s[4:5], 0x6c
	s_load_dwordx2 s[16:17], s[4:5], 0x48
	s_waitcnt lgkmcnt(0)
	s_lshr_b32 s0, s0, 16
	v_mad_u64_u32 v[174:175], null, s7, s0, v[1:2]
	s_mov_b32 s0, exec_lo
	v_cmpx_gt_i32_e64 s16, v174
	s_cbranch_execz .LBB82_885
; %bb.1:
	s_load_dwordx4 s[0:3], s[4:5], 0x50
	v_mov_b32_e32 v176, 0
	v_ashrrev_i32_e32 v175, 31, v174
	v_mov_b32_e32 v177, 0
	s_waitcnt lgkmcnt(0)
	s_cmp_eq_u64 s[0:1], 0
	s_cselect_b32 s16, -1, 0
	s_and_b32 vcc_lo, exec_lo, s16
	s_cbranch_vccnz .LBB82_3
; %bb.2:
	v_mul_lo_u32 v4, s3, v174
	v_mul_lo_u32 v5, s2, v175
	v_mad_u64_u32 v[2:3], null, s2, v174, 0
	v_add3_u32 v3, v3, v5, v4
	v_lshlrev_b64 v[2:3], 2, v[2:3]
	v_add_co_u32 v176, vcc_lo, s0, v2
	v_add_co_ci_u32_e64 v177, null, s1, v3, vcc_lo
.LBB82_3:
	s_clause 0x2
	s_load_dwordx8 s[8:15], s[4:5], 0x20
	s_load_dword s6, s[4:5], 0x18
	s_load_dwordx4 s[0:3], s[4:5], 0x8
	v_lshlrev_b32_e32 v180, 4, v0
	s_clause 0x1
	s_load_dword s18, s[4:5], 0x0
	s_load_dwordx2 s[4:5], s[4:5], 0x40
	s_waitcnt lgkmcnt(0)
	v_mul_lo_u32 v5, s9, v174
	v_mul_lo_u32 v7, s8, v175
	v_mad_u64_u32 v[2:3], null, s8, v174, 0
	v_add3_u32 v4, s6, s6, v0
	s_lshl_b64 s[2:3], s[2:3], 4
	s_ashr_i32 s7, s6, 31
	s_lshl_b64 s[8:9], s[6:7], 4
	v_add_nc_u32_e32 v6, s6, v4
	v_add3_u32 v3, v3, v7, v5
	v_ashrrev_i32_e32 v5, 31, v4
	v_add_nc_u32_e32 v8, s6, v6
	v_lshlrev_b64 v[2:3], 4, v[2:3]
	v_ashrrev_i32_e32 v7, 31, v6
	v_lshlrev_b64 v[4:5], 4, v[4:5]
	v_ashrrev_i32_e32 v9, 31, v8
	v_add_nc_u32_e32 v10, s6, v8
	v_add_co_u32 v12, vcc_lo, s0, v2
	v_add_co_ci_u32_e64 v13, null, s1, v3, vcc_lo
	v_lshlrev_b64 v[2:3], 4, v[8:9]
	v_add_nc_u32_e32 v8, s6, v10
	v_add_co_u32 v181, vcc_lo, v12, s2
	v_ashrrev_i32_e32 v11, 31, v10
	v_lshlrev_b64 v[6:7], 4, v[6:7]
	v_add_nc_u32_e32 v12, s6, v8
	v_add_co_ci_u32_e64 v182, null, s3, v13, vcc_lo
	v_ashrrev_i32_e32 v9, 31, v8
	v_lshlrev_b64 v[10:11], 4, v[10:11]
	v_add_nc_u32_e32 v14, s6, v12
	v_ashrrev_i32_e32 v13, 31, v12
	v_add_co_u32 v4, vcc_lo, v181, v4
	v_add_co_ci_u32_e64 v5, null, v182, v5, vcc_lo
	v_add_nc_u32_e32 v16, s6, v14
	v_ashrrev_i32_e32 v15, 31, v14
	v_add_co_u32 v6, vcc_lo, v181, v6
	v_lshlrev_b64 v[8:9], 4, v[8:9]
	v_add_nc_u32_e32 v18, s6, v16
	v_ashrrev_i32_e32 v17, 31, v16
	v_add_co_ci_u32_e64 v7, null, v182, v7, vcc_lo
	v_add_co_u32 v2, vcc_lo, v181, v2
	v_add_nc_u32_e32 v20, s6, v18
	v_lshlrev_b64 v[12:13], 4, v[12:13]
	v_ashrrev_i32_e32 v19, 31, v18
	v_add_co_ci_u32_e64 v3, null, v182, v3, vcc_lo
	v_add_nc_u32_e32 v22, s6, v20
	v_add_co_u32 v10, vcc_lo, v181, v10
	v_lshlrev_b64 v[14:15], 4, v[14:15]
	v_ashrrev_i32_e32 v21, 31, v20
	v_add_nc_u32_e32 v24, s6, v22
	v_add_co_ci_u32_e64 v11, null, v182, v11, vcc_lo
	v_add_co_u32 v8, vcc_lo, v181, v8
	v_add_nc_u32_e32 v26, s6, v24
	v_lshlrev_b64 v[16:17], 4, v[16:17]
	v_ashrrev_i32_e32 v23, 31, v22
	v_add_co_ci_u32_e64 v9, null, v182, v9, vcc_lo
	v_add_nc_u32_e32 v28, s6, v26
	v_add_co_u32 v12, vcc_lo, v181, v12
	v_lshlrev_b64 v[18:19], 4, v[18:19]
	v_ashrrev_i32_e32 v25, 31, v24
	v_add_nc_u32_e32 v30, s6, v28
	;; [unrolled: 11-line block ×5, first 2 shown]
	v_add_co_ci_u32_e64 v25, null, v182, v25, vcc_lo
	v_add_co_u32 v26, vcc_lo, v181, v26
	v_add_nc_u32_e32 v50, s6, v48
	v_lshlrev_b64 v[32:33], 4, v[32:33]
	v_ashrrev_i32_e32 v39, 31, v38
	v_add_co_ci_u32_e64 v27, null, v182, v27, vcc_lo
	v_add_co_u32 v28, vcc_lo, v181, v28
	v_lshlrev_b64 v[34:35], 4, v[34:35]
	v_add_nc_u32_e32 v52, s6, v50
	v_ashrrev_i32_e32 v41, 31, v40
	v_add_co_ci_u32_e64 v29, null, v182, v29, vcc_lo
	v_add_co_u32 v30, vcc_lo, v181, v30
	v_lshlrev_b64 v[36:37], 4, v[36:37]
	v_ashrrev_i32_e32 v43, 31, v42
	v_add_co_ci_u32_e64 v31, null, v182, v31, vcc_lo
	v_add_co_u32 v32, vcc_lo, v181, v32
	v_lshlrev_b64 v[38:39], 4, v[38:39]
	v_ashrrev_i32_e32 v45, 31, v44
	v_add_nc_u32_e32 v54, s6, v52
	v_add_co_ci_u32_e64 v33, null, v182, v33, vcc_lo
	v_add_co_u32 v34, vcc_lo, v181, v34
	v_lshlrev_b64 v[40:41], 4, v[40:41]
	v_ashrrev_i32_e32 v47, 31, v46
	v_add_co_ci_u32_e64 v35, null, v182, v35, vcc_lo
	v_add_co_u32 v36, vcc_lo, v181, v36
	v_lshlrev_b64 v[42:43], 4, v[42:43]
	v_ashrrev_i32_e32 v49, 31, v48
	v_add_co_ci_u32_e64 v37, null, v182, v37, vcc_lo
	v_add_co_u32 v38, vcc_lo, v181, v38
	v_lshlrev_b64 v[44:45], 4, v[44:45]
	v_add_nc_u32_e32 v56, s6, v54
	v_ashrrev_i32_e32 v51, 31, v50
	v_add_co_ci_u32_e64 v39, null, v182, v39, vcc_lo
	v_add_co_u32 v40, vcc_lo, v181, v40
	v_lshlrev_b64 v[46:47], 4, v[46:47]
	v_ashrrev_i32_e32 v53, 31, v52
	v_add_co_ci_u32_e64 v41, null, v182, v41, vcc_lo
	v_add_co_u32 v42, vcc_lo, v181, v42
	v_lshlrev_b64 v[48:49], 4, v[48:49]
	v_ashrrev_i32_e32 v55, 31, v54
	v_add_nc_u32_e32 v58, s6, v56
	v_add_co_ci_u32_e64 v43, null, v182, v43, vcc_lo
	v_add_co_u32 v44, vcc_lo, v181, v44
	v_lshlrev_b64 v[50:51], 4, v[50:51]
	v_ashrrev_i32_e32 v57, 31, v56
	v_add_co_ci_u32_e64 v45, null, v182, v45, vcc_lo
	v_add_co_u32 v46, vcc_lo, v181, v46
	v_lshlrev_b64 v[52:53], 4, v[52:53]
	v_add_co_ci_u32_e64 v47, null, v182, v47, vcc_lo
	v_add_co_u32 v48, vcc_lo, v181, v48
	v_lshlrev_b64 v[54:55], 4, v[54:55]
	v_add_nc_u32_e32 v60, s6, v58
	v_add_co_ci_u32_e64 v49, null, v182, v49, vcc_lo
	v_add_co_u32 v50, vcc_lo, v181, v50
	v_lshlrev_b64 v[56:57], 4, v[56:57]
	v_ashrrev_i32_e32 v59, 31, v58
	v_add_co_ci_u32_e64 v51, null, v182, v51, vcc_lo
	v_add_co_u32 v52, vcc_lo, v181, v52
	v_ashrrev_i32_e32 v61, 31, v60
	v_add_nc_u32_e32 v62, s6, v60
	v_add_co_ci_u32_e64 v53, null, v182, v53, vcc_lo
	v_add_co_u32 v54, vcc_lo, v181, v54
	v_lshlrev_b64 v[58:59], 4, v[58:59]
	v_add_co_ci_u32_e64 v55, null, v182, v55, vcc_lo
	v_add_co_u32 v170, vcc_lo, v181, v56
	v_add_co_ci_u32_e64 v171, null, v182, v57, vcc_lo
	v_lshlrev_b64 v[56:57], 4, v[60:61]
	v_ashrrev_i32_e32 v63, 31, v62
	v_add_nc_u32_e32 v60, s6, v62
	v_add_co_u32 v172, vcc_lo, v181, v58
	v_add_co_ci_u32_e64 v173, null, v182, v59, vcc_lo
	v_lshlrev_b64 v[58:59], 4, v[62:63]
	v_ashrrev_i32_e32 v61, 31, v60
	v_add_nc_u32_e32 v62, s6, v60
	;; [unrolled: 5-line block ×7, first 2 shown]
	v_add_co_u32 v191, vcc_lo, v181, v58
	v_add_co_ci_u32_e64 v192, null, v182, v59, vcc_lo
	v_lshlrev_b64 v[58:59], 4, v[62:63]
	v_add_nc_u32_e32 v62, s6, v60
	v_ashrrev_i32_e32 v61, 31, v60
	v_add_co_u32 v193, vcc_lo, v181, v56
	v_add_co_ci_u32_e64 v194, null, v182, v57, vcc_lo
	v_ashrrev_i32_e32 v63, 31, v62
	v_lshlrev_b64 v[56:57], 4, v[60:61]
	v_add_co_u32 v195, vcc_lo, v181, v58
	v_add_co_ci_u32_e64 v196, null, v182, v59, vcc_lo
	v_lshlrev_b64 v[58:59], 4, v[62:63]
	v_add_nc_u32_e32 v60, s6, v62
	v_add_co_u32 v197, vcc_lo, v181, v56
	v_add_co_ci_u32_e64 v198, null, v182, v57, vcc_lo
	v_ashrrev_i32_e32 v61, 31, v60
	v_add_co_u32 v199, vcc_lo, v181, v58
	v_add_co_ci_u32_e64 v200, null, v182, v59, vcc_lo
	v_add_co_u32 v58, vcc_lo, v181, v180
	v_add_co_ci_u32_e64 v59, null, 0, v182, vcc_lo
	v_lshlrev_b64 v[56:57], 4, v[60:61]
	v_add_co_u32 v60, vcc_lo, v58, s8
	v_add_co_ci_u32_e64 v61, null, s9, v59, vcc_lo
	s_max_i32 s0, s18, 42
	v_add_co_u32 v201, vcc_lo, v181, v56
	v_add_co_ci_u32_e64 v202, null, v182, v57, vcc_lo
	s_clause 0x29
	global_load_dwordx4 v[162:165], v[58:59], off
	global_load_dwordx4 v[166:169], v[60:61], off
	;; [unrolled: 1-line block ×42, first 2 shown]
	v_mul_lo_u32 v178, s0, v1
	s_cmp_lt_i32 s18, 2
	v_lshl_add_u32 v1, v178, 4, 0
	v_add_nc_u32_e32 v170, v1, v180
	v_lshlrev_b32_e32 v180, 4, v178
	v_mov_b32_e32 v178, 0
	s_waitcnt vmcnt(41)
	ds_write2_b64 v170, v[162:163], v[164:165] offset1:1
	s_waitcnt vmcnt(0) lgkmcnt(0)
	s_barrier
	buffer_gl0_inv
	ds_read2_b64 v[170:173], v1 offset1:1
	s_cbranch_scc1 .LBB82_6
; %bb.4:
	v_add3_u32 v179, v180, 0, 16
	v_mov_b32_e32 v178, 0
	s_mov_b32 s3, 1
	s_inst_prefetch 0x1
	.p2align	6
.LBB82_5:                               ; =>This Inner Loop Header: Depth=1
	ds_read2_b64 v[183:186], v179 offset1:1
	s_waitcnt lgkmcnt(1)
	v_cmp_gt_f64_e32 vcc_lo, 0, v[170:171]
	v_cmp_gt_f64_e64 s0, 0, v[172:173]
	v_xor_b32_e32 v188, 0x80000000, v171
	v_xor_b32_e32 v190, 0x80000000, v173
	v_mov_b32_e32 v187, v170
	v_mov_b32_e32 v189, v172
	v_add_nc_u32_e32 v179, 16, v179
	s_waitcnt lgkmcnt(0)
	v_cmp_gt_f64_e64 s1, 0, v[183:184]
	v_cmp_gt_f64_e64 s2, 0, v[185:186]
	v_xor_b32_e32 v192, 0x80000000, v184
	v_xor_b32_e32 v194, 0x80000000, v186
	v_mov_b32_e32 v191, v183
	v_mov_b32_e32 v193, v185
	v_cndmask_b32_e32 v188, v171, v188, vcc_lo
	v_cndmask_b32_e64 v190, v173, v190, s0
	v_add_f64 v[187:188], v[187:188], v[189:190]
	v_cndmask_b32_e64 v192, v184, v192, s1
	v_cndmask_b32_e64 v194, v186, v194, s2
	v_add_f64 v[189:190], v[191:192], v[193:194]
	v_cmp_lt_f64_e32 vcc_lo, v[187:188], v[189:190]
	v_cndmask_b32_e32 v171, v171, v184, vcc_lo
	v_cndmask_b32_e32 v170, v170, v183, vcc_lo
	;; [unrolled: 1-line block ×4, first 2 shown]
	v_cndmask_b32_e64 v178, v178, s3, vcc_lo
	s_add_i32 s3, s3, 1
	s_cmp_eq_u32 s18, s3
	s_cbranch_scc0 .LBB82_5
.LBB82_6:
	s_inst_prefetch 0x2
	s_waitcnt lgkmcnt(0)
	v_cmp_neq_f64_e32 vcc_lo, 0, v[170:171]
	v_cmp_neq_f64_e64 s0, 0, v[172:173]
	v_mov_b32_e32 v183, 1
	v_mov_b32_e32 v185, 1
	s_or_b32 s1, vcc_lo, s0
	s_and_saveexec_b32 s0, s1
	s_cbranch_execz .LBB82_12
; %bb.7:
	v_cmp_ngt_f64_e64 s1, |v[170:171]|, |v[172:173]|
	s_and_saveexec_b32 s2, s1
	s_xor_b32 s1, exec_lo, s2
	s_cbranch_execz .LBB82_9
; %bb.8:
	v_div_scale_f64 v[183:184], null, v[172:173], v[172:173], v[170:171]
	v_div_scale_f64 v[189:190], vcc_lo, v[170:171], v[172:173], v[170:171]
	v_rcp_f64_e32 v[185:186], v[183:184]
	v_fma_f64 v[187:188], -v[183:184], v[185:186], 1.0
	v_fma_f64 v[185:186], v[185:186], v[187:188], v[185:186]
	v_fma_f64 v[187:188], -v[183:184], v[185:186], 1.0
	v_fma_f64 v[185:186], v[185:186], v[187:188], v[185:186]
	v_mul_f64 v[187:188], v[189:190], v[185:186]
	v_fma_f64 v[183:184], -v[183:184], v[187:188], v[189:190]
	v_div_fmas_f64 v[183:184], v[183:184], v[185:186], v[187:188]
	v_div_fixup_f64 v[183:184], v[183:184], v[172:173], v[170:171]
	v_fma_f64 v[170:171], v[170:171], v[183:184], v[172:173]
	v_div_scale_f64 v[172:173], null, v[170:171], v[170:171], 1.0
	v_rcp_f64_e32 v[185:186], v[172:173]
	v_fma_f64 v[187:188], -v[172:173], v[185:186], 1.0
	v_fma_f64 v[185:186], v[185:186], v[187:188], v[185:186]
	v_fma_f64 v[187:188], -v[172:173], v[185:186], 1.0
	v_fma_f64 v[185:186], v[185:186], v[187:188], v[185:186]
	v_div_scale_f64 v[187:188], vcc_lo, 1.0, v[170:171], 1.0
	v_mul_f64 v[189:190], v[187:188], v[185:186]
	v_fma_f64 v[172:173], -v[172:173], v[189:190], v[187:188]
	v_div_fmas_f64 v[172:173], v[172:173], v[185:186], v[189:190]
	v_div_fixup_f64 v[172:173], v[172:173], v[170:171], 1.0
	v_mul_f64 v[170:171], v[183:184], v[172:173]
	v_xor_b32_e32 v173, 0x80000000, v173
.LBB82_9:
	s_andn2_saveexec_b32 s1, s1
	s_cbranch_execz .LBB82_11
; %bb.10:
	v_div_scale_f64 v[183:184], null, v[170:171], v[170:171], v[172:173]
	v_div_scale_f64 v[189:190], vcc_lo, v[172:173], v[170:171], v[172:173]
	v_rcp_f64_e32 v[185:186], v[183:184]
	v_fma_f64 v[187:188], -v[183:184], v[185:186], 1.0
	v_fma_f64 v[185:186], v[185:186], v[187:188], v[185:186]
	v_fma_f64 v[187:188], -v[183:184], v[185:186], 1.0
	v_fma_f64 v[185:186], v[185:186], v[187:188], v[185:186]
	v_mul_f64 v[187:188], v[189:190], v[185:186]
	v_fma_f64 v[183:184], -v[183:184], v[187:188], v[189:190]
	v_div_fmas_f64 v[183:184], v[183:184], v[185:186], v[187:188]
	v_div_fixup_f64 v[183:184], v[183:184], v[170:171], v[172:173]
	v_fma_f64 v[170:171], v[172:173], v[183:184], v[170:171]
	v_div_scale_f64 v[172:173], null, v[170:171], v[170:171], 1.0
	v_rcp_f64_e32 v[185:186], v[172:173]
	v_fma_f64 v[187:188], -v[172:173], v[185:186], 1.0
	v_fma_f64 v[185:186], v[185:186], v[187:188], v[185:186]
	v_fma_f64 v[187:188], -v[172:173], v[185:186], 1.0
	v_fma_f64 v[185:186], v[185:186], v[187:188], v[185:186]
	v_div_scale_f64 v[187:188], vcc_lo, 1.0, v[170:171], 1.0
	v_mul_f64 v[189:190], v[187:188], v[185:186]
	v_fma_f64 v[172:173], -v[172:173], v[189:190], v[187:188]
	v_div_fmas_f64 v[172:173], v[172:173], v[185:186], v[189:190]
	v_div_fixup_f64 v[170:171], v[172:173], v[170:171], 1.0
	v_mul_f64 v[172:173], v[183:184], -v[170:171]
.LBB82_11:
	s_or_b32 exec_lo, exec_lo, s1
	v_mov_b32_e32 v185, 0
	v_mov_b32_e32 v183, 2
.LBB82_12:
	s_or_b32 exec_lo, exec_lo, s0
	s_mov_b32 s0, exec_lo
	v_cmpx_ne_u32_e64 v0, v178
	s_xor_b32 s0, exec_lo, s0
	s_cbranch_execz .LBB82_18
; %bb.13:
	s_mov_b32 s1, exec_lo
	v_cmpx_eq_u32_e32 0, v0
	s_cbranch_execz .LBB82_17
; %bb.14:
	v_cmp_ne_u32_e32 vcc_lo, 0, v178
	s_xor_b32 s2, s16, -1
	s_and_b32 s3, s2, vcc_lo
	s_and_saveexec_b32 s2, s3
	s_cbranch_execz .LBB82_16
; %bb.15:
	v_ashrrev_i32_e32 v179, 31, v178
	v_lshlrev_b64 v[186:187], 2, v[178:179]
	v_add_co_u32 v186, vcc_lo, v176, v186
	v_add_co_ci_u32_e64 v187, null, v177, v187, vcc_lo
	s_clause 0x1
	global_load_dword v0, v[186:187], off
	global_load_dword v179, v[176:177], off
	s_waitcnt vmcnt(1)
	global_store_dword v[176:177], v0, off
	s_waitcnt vmcnt(0)
	global_store_dword v[186:187], v179, off
.LBB82_16:
	s_or_b32 exec_lo, exec_lo, s2
	v_mov_b32_e32 v0, v178
.LBB82_17:
	s_or_b32 exec_lo, exec_lo, s1
.LBB82_18:
	s_or_saveexec_b32 s0, s0
	v_mov_b32_e32 v184, v0
	s_xor_b32 exec_lo, exec_lo, s0
	s_cbranch_execz .LBB82_20
; %bb.19:
	v_mov_b32_e32 v184, 0
	ds_write2_b64 v1, v[166:167], v[168:169] offset0:2 offset1:3
	ds_write2_b64 v1, v[158:159], v[160:161] offset0:4 offset1:5
	;; [unrolled: 1-line block ×41, first 2 shown]
.LBB82_20:
	s_or_b32 exec_lo, exec_lo, s0
	s_mov_b32 s0, exec_lo
	s_waitcnt lgkmcnt(0)
	s_waitcnt_vscnt null, 0x0
	s_barrier
	buffer_gl0_inv
	v_cmpx_lt_i32_e32 0, v184
	s_cbranch_execz .LBB82_22
; %bb.21:
	v_mul_f64 v[178:179], v[172:173], v[164:165]
	v_mul_f64 v[164:165], v[170:171], v[164:165]
	v_fma_f64 v[178:179], v[170:171], v[162:163], -v[178:179]
	v_fma_f64 v[164:165], v[172:173], v[162:163], v[164:165]
	ds_read2_b64 v[170:173], v1 offset0:2 offset1:3
	s_waitcnt lgkmcnt(0)
	v_mul_f64 v[162:163], v[172:173], v[164:165]
	v_fma_f64 v[162:163], v[170:171], v[178:179], -v[162:163]
	v_mul_f64 v[170:171], v[170:171], v[164:165]
	v_add_f64 v[166:167], v[166:167], -v[162:163]
	v_fma_f64 v[170:171], v[172:173], v[178:179], v[170:171]
	v_add_f64 v[168:169], v[168:169], -v[170:171]
	ds_read2_b64 v[170:173], v1 offset0:4 offset1:5
	s_waitcnt lgkmcnt(0)
	v_mul_f64 v[162:163], v[172:173], v[164:165]
	v_fma_f64 v[162:163], v[170:171], v[178:179], -v[162:163]
	v_mul_f64 v[170:171], v[170:171], v[164:165]
	v_add_f64 v[158:159], v[158:159], -v[162:163]
	v_fma_f64 v[170:171], v[172:173], v[178:179], v[170:171]
	v_add_f64 v[160:161], v[160:161], -v[170:171]
	;; [unrolled: 8-line block ×40, first 2 shown]
	ds_read2_b64 v[170:173], v1 offset0:82 offset1:83
	s_waitcnt lgkmcnt(0)
	v_mul_f64 v[162:163], v[172:173], v[164:165]
	v_fma_f64 v[162:163], v[170:171], v[178:179], -v[162:163]
	v_mul_f64 v[170:171], v[170:171], v[164:165]
	v_add_f64 v[2:3], v[2:3], -v[162:163]
	v_fma_f64 v[170:171], v[172:173], v[178:179], v[170:171]
	v_mov_b32_e32 v162, v178
	v_mov_b32_e32 v163, v179
	v_add_f64 v[4:5], v[4:5], -v[170:171]
.LBB82_22:
	s_or_b32 exec_lo, exec_lo, s0
	v_lshl_add_u32 v170, v184, 4, v1
	s_barrier
	buffer_gl0_inv
	v_mov_b32_e32 v178, 1
	ds_write2_b64 v170, v[166:167], v[168:169] offset1:1
	s_waitcnt lgkmcnt(0)
	s_barrier
	buffer_gl0_inv
	ds_read2_b64 v[170:173], v1 offset0:2 offset1:3
	s_cmp_lt_i32 s18, 3
	s_cbranch_scc1 .LBB82_25
; %bb.23:
	v_add3_u32 v179, v180, 0, 32
	v_mov_b32_e32 v178, 1
	s_mov_b32 s1, 2
	s_inst_prefetch 0x1
	.p2align	6
.LBB82_24:                              ; =>This Inner Loop Header: Depth=1
	s_waitcnt lgkmcnt(0)
	v_cmp_gt_f64_e32 vcc_lo, 0, v[172:173]
	v_cmp_gt_f64_e64 s0, 0, v[170:171]
	ds_read2_b64 v[186:189], v179 offset1:1
	v_xor_b32_e32 v191, 0x80000000, v171
	v_xor_b32_e32 v193, 0x80000000, v173
	v_mov_b32_e32 v190, v170
	v_mov_b32_e32 v192, v172
	v_add_nc_u32_e32 v179, 16, v179
	s_waitcnt lgkmcnt(0)
	v_xor_b32_e32 v195, 0x80000000, v189
	v_cndmask_b32_e64 v191, v171, v191, s0
	v_cndmask_b32_e32 v193, v173, v193, vcc_lo
	v_cmp_gt_f64_e32 vcc_lo, 0, v[188:189]
	v_cmp_gt_f64_e64 s0, 0, v[186:187]
	v_mov_b32_e32 v194, v188
	v_add_f64 v[190:191], v[190:191], v[192:193]
	v_xor_b32_e32 v193, 0x80000000, v187
	v_mov_b32_e32 v192, v186
	v_cndmask_b32_e32 v195, v189, v195, vcc_lo
	v_cndmask_b32_e64 v193, v187, v193, s0
	v_add_f64 v[192:193], v[192:193], v[194:195]
	v_cmp_lt_f64_e32 vcc_lo, v[190:191], v[192:193]
	v_cndmask_b32_e32 v171, v171, v187, vcc_lo
	v_cndmask_b32_e32 v170, v170, v186, vcc_lo
	;; [unrolled: 1-line block ×4, first 2 shown]
	v_cndmask_b32_e64 v178, v178, s1, vcc_lo
	s_add_i32 s1, s1, 1
	s_cmp_lg_u32 s18, s1
	s_cbranch_scc1 .LBB82_24
.LBB82_25:
	s_inst_prefetch 0x2
	s_waitcnt lgkmcnt(0)
	v_cmp_neq_f64_e32 vcc_lo, 0, v[170:171]
	v_cmp_neq_f64_e64 s0, 0, v[172:173]
	s_or_b32 s1, vcc_lo, s0
	s_and_saveexec_b32 s0, s1
	s_cbranch_execz .LBB82_31
; %bb.26:
	v_cmp_ngt_f64_e64 s1, |v[170:171]|, |v[172:173]|
	s_and_saveexec_b32 s2, s1
	s_xor_b32 s1, exec_lo, s2
	s_cbranch_execz .LBB82_28
; %bb.27:
	v_div_scale_f64 v[186:187], null, v[172:173], v[172:173], v[170:171]
	v_div_scale_f64 v[192:193], vcc_lo, v[170:171], v[172:173], v[170:171]
	v_rcp_f64_e32 v[188:189], v[186:187]
	v_fma_f64 v[190:191], -v[186:187], v[188:189], 1.0
	v_fma_f64 v[188:189], v[188:189], v[190:191], v[188:189]
	v_fma_f64 v[190:191], -v[186:187], v[188:189], 1.0
	v_fma_f64 v[188:189], v[188:189], v[190:191], v[188:189]
	v_mul_f64 v[190:191], v[192:193], v[188:189]
	v_fma_f64 v[186:187], -v[186:187], v[190:191], v[192:193]
	v_div_fmas_f64 v[186:187], v[186:187], v[188:189], v[190:191]
	v_div_fixup_f64 v[186:187], v[186:187], v[172:173], v[170:171]
	v_fma_f64 v[170:171], v[170:171], v[186:187], v[172:173]
	v_div_scale_f64 v[172:173], null, v[170:171], v[170:171], 1.0
	v_rcp_f64_e32 v[188:189], v[172:173]
	v_fma_f64 v[190:191], -v[172:173], v[188:189], 1.0
	v_fma_f64 v[188:189], v[188:189], v[190:191], v[188:189]
	v_fma_f64 v[190:191], -v[172:173], v[188:189], 1.0
	v_fma_f64 v[188:189], v[188:189], v[190:191], v[188:189]
	v_div_scale_f64 v[190:191], vcc_lo, 1.0, v[170:171], 1.0
	v_mul_f64 v[192:193], v[190:191], v[188:189]
	v_fma_f64 v[172:173], -v[172:173], v[192:193], v[190:191]
	v_div_fmas_f64 v[172:173], v[172:173], v[188:189], v[192:193]
	v_div_fixup_f64 v[172:173], v[172:173], v[170:171], 1.0
	v_mul_f64 v[170:171], v[186:187], v[172:173]
	v_xor_b32_e32 v173, 0x80000000, v173
.LBB82_28:
	s_andn2_saveexec_b32 s1, s1
	s_cbranch_execz .LBB82_30
; %bb.29:
	v_div_scale_f64 v[186:187], null, v[170:171], v[170:171], v[172:173]
	v_div_scale_f64 v[192:193], vcc_lo, v[172:173], v[170:171], v[172:173]
	v_rcp_f64_e32 v[188:189], v[186:187]
	v_fma_f64 v[190:191], -v[186:187], v[188:189], 1.0
	v_fma_f64 v[188:189], v[188:189], v[190:191], v[188:189]
	v_fma_f64 v[190:191], -v[186:187], v[188:189], 1.0
	v_fma_f64 v[188:189], v[188:189], v[190:191], v[188:189]
	v_mul_f64 v[190:191], v[192:193], v[188:189]
	v_fma_f64 v[186:187], -v[186:187], v[190:191], v[192:193]
	v_div_fmas_f64 v[186:187], v[186:187], v[188:189], v[190:191]
	v_div_fixup_f64 v[186:187], v[186:187], v[170:171], v[172:173]
	v_fma_f64 v[170:171], v[172:173], v[186:187], v[170:171]
	v_div_scale_f64 v[172:173], null, v[170:171], v[170:171], 1.0
	v_rcp_f64_e32 v[188:189], v[172:173]
	v_fma_f64 v[190:191], -v[172:173], v[188:189], 1.0
	v_fma_f64 v[188:189], v[188:189], v[190:191], v[188:189]
	v_fma_f64 v[190:191], -v[172:173], v[188:189], 1.0
	v_fma_f64 v[188:189], v[188:189], v[190:191], v[188:189]
	v_div_scale_f64 v[190:191], vcc_lo, 1.0, v[170:171], 1.0
	v_mul_f64 v[192:193], v[190:191], v[188:189]
	v_fma_f64 v[172:173], -v[172:173], v[192:193], v[190:191]
	v_div_fmas_f64 v[172:173], v[172:173], v[188:189], v[192:193]
	v_div_fixup_f64 v[170:171], v[172:173], v[170:171], 1.0
	v_mul_f64 v[172:173], v[186:187], -v[170:171]
.LBB82_30:
	s_or_b32 exec_lo, exec_lo, s1
	v_mov_b32_e32 v183, v185
.LBB82_31:
	s_or_b32 exec_lo, exec_lo, s0
	s_mov_b32 s0, exec_lo
	v_cmpx_ne_u32_e64 v184, v178
	s_xor_b32 s0, exec_lo, s0
	s_cbranch_execz .LBB82_37
; %bb.32:
	s_mov_b32 s1, exec_lo
	v_cmpx_eq_u32_e32 1, v184
	s_cbranch_execz .LBB82_36
; %bb.33:
	v_cmp_ne_u32_e32 vcc_lo, 1, v178
	s_xor_b32 s2, s16, -1
	s_and_b32 s3, s2, vcc_lo
	s_and_saveexec_b32 s2, s3
	s_cbranch_execz .LBB82_35
; %bb.34:
	v_ashrrev_i32_e32 v179, 31, v178
	v_lshlrev_b64 v[184:185], 2, v[178:179]
	v_add_co_u32 v184, vcc_lo, v176, v184
	v_add_co_ci_u32_e64 v185, null, v177, v185, vcc_lo
	s_clause 0x1
	global_load_dword v0, v[184:185], off
	global_load_dword v179, v[176:177], off offset:4
	s_waitcnt vmcnt(1)
	global_store_dword v[176:177], v0, off offset:4
	s_waitcnt vmcnt(0)
	global_store_dword v[184:185], v179, off
.LBB82_35:
	s_or_b32 exec_lo, exec_lo, s2
	v_mov_b32_e32 v184, v178
	v_mov_b32_e32 v0, v178
.LBB82_36:
	s_or_b32 exec_lo, exec_lo, s1
.LBB82_37:
	s_andn2_saveexec_b32 s0, s0
	s_cbranch_execz .LBB82_39
; %bb.38:
	v_mov_b32_e32 v184, 1
	ds_write2_b64 v1, v[158:159], v[160:161] offset0:4 offset1:5
	ds_write2_b64 v1, v[154:155], v[156:157] offset0:6 offset1:7
	ds_write2_b64 v1, v[150:151], v[152:153] offset0:8 offset1:9
	ds_write2_b64 v1, v[146:147], v[148:149] offset0:10 offset1:11
	ds_write2_b64 v1, v[142:143], v[144:145] offset0:12 offset1:13
	ds_write2_b64 v1, v[138:139], v[140:141] offset0:14 offset1:15
	ds_write2_b64 v1, v[134:135], v[136:137] offset0:16 offset1:17
	ds_write2_b64 v1, v[130:131], v[132:133] offset0:18 offset1:19
	ds_write2_b64 v1, v[126:127], v[128:129] offset0:20 offset1:21
	ds_write2_b64 v1, v[122:123], v[124:125] offset0:22 offset1:23
	ds_write2_b64 v1, v[118:119], v[120:121] offset0:24 offset1:25
	ds_write2_b64 v1, v[114:115], v[116:117] offset0:26 offset1:27
	ds_write2_b64 v1, v[110:111], v[112:113] offset0:28 offset1:29
	ds_write2_b64 v1, v[106:107], v[108:109] offset0:30 offset1:31
	ds_write2_b64 v1, v[102:103], v[104:105] offset0:32 offset1:33
	ds_write2_b64 v1, v[98:99], v[100:101] offset0:34 offset1:35
	ds_write2_b64 v1, v[94:95], v[96:97] offset0:36 offset1:37
	ds_write2_b64 v1, v[90:91], v[92:93] offset0:38 offset1:39
	ds_write2_b64 v1, v[86:87], v[88:89] offset0:40 offset1:41
	ds_write2_b64 v1, v[82:83], v[84:85] offset0:42 offset1:43
	ds_write2_b64 v1, v[78:79], v[80:81] offset0:44 offset1:45
	ds_write2_b64 v1, v[74:75], v[76:77] offset0:46 offset1:47
	ds_write2_b64 v1, v[70:71], v[72:73] offset0:48 offset1:49
	ds_write2_b64 v1, v[66:67], v[68:69] offset0:50 offset1:51
	ds_write2_b64 v1, v[62:63], v[64:65] offset0:52 offset1:53
	ds_write2_b64 v1, v[58:59], v[60:61] offset0:54 offset1:55
	ds_write2_b64 v1, v[54:55], v[56:57] offset0:56 offset1:57
	ds_write2_b64 v1, v[50:51], v[52:53] offset0:58 offset1:59
	ds_write2_b64 v1, v[46:47], v[48:49] offset0:60 offset1:61
	ds_write2_b64 v1, v[42:43], v[44:45] offset0:62 offset1:63
	ds_write2_b64 v1, v[38:39], v[40:41] offset0:64 offset1:65
	ds_write2_b64 v1, v[34:35], v[36:37] offset0:66 offset1:67
	ds_write2_b64 v1, v[30:31], v[32:33] offset0:68 offset1:69
	ds_write2_b64 v1, v[26:27], v[28:29] offset0:70 offset1:71
	ds_write2_b64 v1, v[22:23], v[24:25] offset0:72 offset1:73
	ds_write2_b64 v1, v[18:19], v[20:21] offset0:74 offset1:75
	ds_write2_b64 v1, v[14:15], v[16:17] offset0:76 offset1:77
	ds_write2_b64 v1, v[10:11], v[12:13] offset0:78 offset1:79
	ds_write2_b64 v1, v[6:7], v[8:9] offset0:80 offset1:81
	ds_write2_b64 v1, v[2:3], v[4:5] offset0:82 offset1:83
.LBB82_39:
	s_or_b32 exec_lo, exec_lo, s0
	s_mov_b32 s0, exec_lo
	s_waitcnt lgkmcnt(0)
	s_waitcnt_vscnt null, 0x0
	s_barrier
	buffer_gl0_inv
	v_cmpx_lt_i32_e32 1, v184
	s_cbranch_execz .LBB82_41
; %bb.40:
	v_mul_f64 v[178:179], v[172:173], v[168:169]
	v_mul_f64 v[168:169], v[170:171], v[168:169]
	v_fma_f64 v[178:179], v[170:171], v[166:167], -v[178:179]
	v_fma_f64 v[168:169], v[172:173], v[166:167], v[168:169]
	ds_read2_b64 v[170:173], v1 offset0:4 offset1:5
	s_waitcnt lgkmcnt(0)
	v_mul_f64 v[166:167], v[172:173], v[168:169]
	v_fma_f64 v[166:167], v[170:171], v[178:179], -v[166:167]
	v_mul_f64 v[170:171], v[170:171], v[168:169]
	v_add_f64 v[158:159], v[158:159], -v[166:167]
	v_fma_f64 v[170:171], v[172:173], v[178:179], v[170:171]
	v_add_f64 v[160:161], v[160:161], -v[170:171]
	ds_read2_b64 v[170:173], v1 offset0:6 offset1:7
	s_waitcnt lgkmcnt(0)
	v_mul_f64 v[166:167], v[172:173], v[168:169]
	v_fma_f64 v[166:167], v[170:171], v[178:179], -v[166:167]
	v_mul_f64 v[170:171], v[170:171], v[168:169]
	v_add_f64 v[154:155], v[154:155], -v[166:167]
	v_fma_f64 v[170:171], v[172:173], v[178:179], v[170:171]
	v_add_f64 v[156:157], v[156:157], -v[170:171]
	;; [unrolled: 8-line block ×39, first 2 shown]
	ds_read2_b64 v[170:173], v1 offset0:82 offset1:83
	s_waitcnt lgkmcnt(0)
	v_mul_f64 v[166:167], v[172:173], v[168:169]
	v_fma_f64 v[166:167], v[170:171], v[178:179], -v[166:167]
	v_mul_f64 v[170:171], v[170:171], v[168:169]
	v_add_f64 v[2:3], v[2:3], -v[166:167]
	v_fma_f64 v[170:171], v[172:173], v[178:179], v[170:171]
	v_mov_b32_e32 v166, v178
	v_mov_b32_e32 v167, v179
	v_add_f64 v[4:5], v[4:5], -v[170:171]
.LBB82_41:
	s_or_b32 exec_lo, exec_lo, s0
	v_lshl_add_u32 v170, v184, 4, v1
	s_barrier
	buffer_gl0_inv
	v_mov_b32_e32 v178, 2
	ds_write2_b64 v170, v[158:159], v[160:161] offset1:1
	s_waitcnt lgkmcnt(0)
	s_barrier
	buffer_gl0_inv
	ds_read2_b64 v[170:173], v1 offset0:4 offset1:5
	s_cmp_lt_i32 s18, 4
	s_cbranch_scc1 .LBB82_44
; %bb.42:
	v_add3_u32 v179, v180, 0, 48
	v_mov_b32_e32 v178, 2
	s_mov_b32 s1, 3
	s_inst_prefetch 0x1
	.p2align	6
.LBB82_43:                              ; =>This Inner Loop Header: Depth=1
	s_waitcnt lgkmcnt(0)
	v_cmp_gt_f64_e32 vcc_lo, 0, v[172:173]
	v_cmp_gt_f64_e64 s0, 0, v[170:171]
	ds_read2_b64 v[185:188], v179 offset1:1
	v_xor_b32_e32 v190, 0x80000000, v171
	v_xor_b32_e32 v192, 0x80000000, v173
	v_mov_b32_e32 v189, v170
	v_mov_b32_e32 v191, v172
	v_add_nc_u32_e32 v179, 16, v179
	s_waitcnt lgkmcnt(0)
	v_xor_b32_e32 v194, 0x80000000, v188
	v_cndmask_b32_e64 v190, v171, v190, s0
	v_cndmask_b32_e32 v192, v173, v192, vcc_lo
	v_cmp_gt_f64_e32 vcc_lo, 0, v[187:188]
	v_cmp_gt_f64_e64 s0, 0, v[185:186]
	v_mov_b32_e32 v193, v187
	v_add_f64 v[189:190], v[189:190], v[191:192]
	v_xor_b32_e32 v192, 0x80000000, v186
	v_mov_b32_e32 v191, v185
	v_cndmask_b32_e32 v194, v188, v194, vcc_lo
	v_cndmask_b32_e64 v192, v186, v192, s0
	v_add_f64 v[191:192], v[191:192], v[193:194]
	v_cmp_lt_f64_e32 vcc_lo, v[189:190], v[191:192]
	v_cndmask_b32_e32 v171, v171, v186, vcc_lo
	v_cndmask_b32_e32 v170, v170, v185, vcc_lo
	;; [unrolled: 1-line block ×4, first 2 shown]
	v_cndmask_b32_e64 v178, v178, s1, vcc_lo
	s_add_i32 s1, s1, 1
	s_cmp_lg_u32 s18, s1
	s_cbranch_scc1 .LBB82_43
.LBB82_44:
	s_inst_prefetch 0x2
	s_waitcnt lgkmcnt(0)
	v_cmp_eq_f64_e32 vcc_lo, 0, v[170:171]
	v_cmp_eq_f64_e64 s0, 0, v[172:173]
	s_and_b32 s0, vcc_lo, s0
	s_and_saveexec_b32 s1, s0
	s_xor_b32 s0, exec_lo, s1
; %bb.45:
	v_cmp_ne_u32_e32 vcc_lo, 0, v183
	v_cndmask_b32_e32 v183, 3, v183, vcc_lo
; %bb.46:
	s_andn2_saveexec_b32 s0, s0
	s_cbranch_execz .LBB82_52
; %bb.47:
	v_cmp_ngt_f64_e64 s1, |v[170:171]|, |v[172:173]|
	s_and_saveexec_b32 s2, s1
	s_xor_b32 s1, exec_lo, s2
	s_cbranch_execz .LBB82_49
; %bb.48:
	v_div_scale_f64 v[185:186], null, v[172:173], v[172:173], v[170:171]
	v_div_scale_f64 v[191:192], vcc_lo, v[170:171], v[172:173], v[170:171]
	v_rcp_f64_e32 v[187:188], v[185:186]
	v_fma_f64 v[189:190], -v[185:186], v[187:188], 1.0
	v_fma_f64 v[187:188], v[187:188], v[189:190], v[187:188]
	v_fma_f64 v[189:190], -v[185:186], v[187:188], 1.0
	v_fma_f64 v[187:188], v[187:188], v[189:190], v[187:188]
	v_mul_f64 v[189:190], v[191:192], v[187:188]
	v_fma_f64 v[185:186], -v[185:186], v[189:190], v[191:192]
	v_div_fmas_f64 v[185:186], v[185:186], v[187:188], v[189:190]
	v_div_fixup_f64 v[185:186], v[185:186], v[172:173], v[170:171]
	v_fma_f64 v[170:171], v[170:171], v[185:186], v[172:173]
	v_div_scale_f64 v[172:173], null, v[170:171], v[170:171], 1.0
	v_rcp_f64_e32 v[187:188], v[172:173]
	v_fma_f64 v[189:190], -v[172:173], v[187:188], 1.0
	v_fma_f64 v[187:188], v[187:188], v[189:190], v[187:188]
	v_fma_f64 v[189:190], -v[172:173], v[187:188], 1.0
	v_fma_f64 v[187:188], v[187:188], v[189:190], v[187:188]
	v_div_scale_f64 v[189:190], vcc_lo, 1.0, v[170:171], 1.0
	v_mul_f64 v[191:192], v[189:190], v[187:188]
	v_fma_f64 v[172:173], -v[172:173], v[191:192], v[189:190]
	v_div_fmas_f64 v[172:173], v[172:173], v[187:188], v[191:192]
	v_div_fixup_f64 v[172:173], v[172:173], v[170:171], 1.0
	v_mul_f64 v[170:171], v[185:186], v[172:173]
	v_xor_b32_e32 v173, 0x80000000, v173
.LBB82_49:
	s_andn2_saveexec_b32 s1, s1
	s_cbranch_execz .LBB82_51
; %bb.50:
	v_div_scale_f64 v[185:186], null, v[170:171], v[170:171], v[172:173]
	v_div_scale_f64 v[191:192], vcc_lo, v[172:173], v[170:171], v[172:173]
	v_rcp_f64_e32 v[187:188], v[185:186]
	v_fma_f64 v[189:190], -v[185:186], v[187:188], 1.0
	v_fma_f64 v[187:188], v[187:188], v[189:190], v[187:188]
	v_fma_f64 v[189:190], -v[185:186], v[187:188], 1.0
	v_fma_f64 v[187:188], v[187:188], v[189:190], v[187:188]
	v_mul_f64 v[189:190], v[191:192], v[187:188]
	v_fma_f64 v[185:186], -v[185:186], v[189:190], v[191:192]
	v_div_fmas_f64 v[185:186], v[185:186], v[187:188], v[189:190]
	v_div_fixup_f64 v[185:186], v[185:186], v[170:171], v[172:173]
	v_fma_f64 v[170:171], v[172:173], v[185:186], v[170:171]
	v_div_scale_f64 v[172:173], null, v[170:171], v[170:171], 1.0
	v_rcp_f64_e32 v[187:188], v[172:173]
	v_fma_f64 v[189:190], -v[172:173], v[187:188], 1.0
	v_fma_f64 v[187:188], v[187:188], v[189:190], v[187:188]
	v_fma_f64 v[189:190], -v[172:173], v[187:188], 1.0
	v_fma_f64 v[187:188], v[187:188], v[189:190], v[187:188]
	v_div_scale_f64 v[189:190], vcc_lo, 1.0, v[170:171], 1.0
	v_mul_f64 v[191:192], v[189:190], v[187:188]
	v_fma_f64 v[172:173], -v[172:173], v[191:192], v[189:190]
	v_div_fmas_f64 v[172:173], v[172:173], v[187:188], v[191:192]
	v_div_fixup_f64 v[170:171], v[172:173], v[170:171], 1.0
	v_mul_f64 v[172:173], v[185:186], -v[170:171]
.LBB82_51:
	s_or_b32 exec_lo, exec_lo, s1
.LBB82_52:
	s_or_b32 exec_lo, exec_lo, s0
	s_mov_b32 s0, exec_lo
	v_cmpx_ne_u32_e64 v184, v178
	s_xor_b32 s0, exec_lo, s0
	s_cbranch_execz .LBB82_58
; %bb.53:
	s_mov_b32 s1, exec_lo
	v_cmpx_eq_u32_e32 2, v184
	s_cbranch_execz .LBB82_57
; %bb.54:
	v_cmp_ne_u32_e32 vcc_lo, 2, v178
	s_xor_b32 s2, s16, -1
	s_and_b32 s3, s2, vcc_lo
	s_and_saveexec_b32 s2, s3
	s_cbranch_execz .LBB82_56
; %bb.55:
	v_ashrrev_i32_e32 v179, 31, v178
	v_lshlrev_b64 v[184:185], 2, v[178:179]
	v_add_co_u32 v184, vcc_lo, v176, v184
	v_add_co_ci_u32_e64 v185, null, v177, v185, vcc_lo
	s_clause 0x1
	global_load_dword v0, v[184:185], off
	global_load_dword v179, v[176:177], off offset:8
	s_waitcnt vmcnt(1)
	global_store_dword v[176:177], v0, off offset:8
	s_waitcnt vmcnt(0)
	global_store_dword v[184:185], v179, off
.LBB82_56:
	s_or_b32 exec_lo, exec_lo, s2
	v_mov_b32_e32 v184, v178
	v_mov_b32_e32 v0, v178
.LBB82_57:
	s_or_b32 exec_lo, exec_lo, s1
.LBB82_58:
	s_andn2_saveexec_b32 s0, s0
	s_cbranch_execz .LBB82_60
; %bb.59:
	v_mov_b32_e32 v184, 2
	ds_write2_b64 v1, v[154:155], v[156:157] offset0:6 offset1:7
	ds_write2_b64 v1, v[150:151], v[152:153] offset0:8 offset1:9
	;; [unrolled: 1-line block ×39, first 2 shown]
.LBB82_60:
	s_or_b32 exec_lo, exec_lo, s0
	s_mov_b32 s0, exec_lo
	s_waitcnt lgkmcnt(0)
	s_waitcnt_vscnt null, 0x0
	s_barrier
	buffer_gl0_inv
	v_cmpx_lt_i32_e32 2, v184
	s_cbranch_execz .LBB82_62
; %bb.61:
	v_mul_f64 v[178:179], v[172:173], v[160:161]
	v_mul_f64 v[160:161], v[170:171], v[160:161]
	v_fma_f64 v[178:179], v[170:171], v[158:159], -v[178:179]
	v_fma_f64 v[160:161], v[172:173], v[158:159], v[160:161]
	ds_read2_b64 v[170:173], v1 offset0:6 offset1:7
	s_waitcnt lgkmcnt(0)
	v_mul_f64 v[158:159], v[172:173], v[160:161]
	v_fma_f64 v[158:159], v[170:171], v[178:179], -v[158:159]
	v_mul_f64 v[170:171], v[170:171], v[160:161]
	v_add_f64 v[154:155], v[154:155], -v[158:159]
	v_fma_f64 v[170:171], v[172:173], v[178:179], v[170:171]
	v_add_f64 v[156:157], v[156:157], -v[170:171]
	ds_read2_b64 v[170:173], v1 offset0:8 offset1:9
	s_waitcnt lgkmcnt(0)
	v_mul_f64 v[158:159], v[172:173], v[160:161]
	v_fma_f64 v[158:159], v[170:171], v[178:179], -v[158:159]
	v_mul_f64 v[170:171], v[170:171], v[160:161]
	v_add_f64 v[150:151], v[150:151], -v[158:159]
	v_fma_f64 v[170:171], v[172:173], v[178:179], v[170:171]
	v_add_f64 v[152:153], v[152:153], -v[170:171]
	;; [unrolled: 8-line block ×38, first 2 shown]
	ds_read2_b64 v[170:173], v1 offset0:82 offset1:83
	s_waitcnt lgkmcnt(0)
	v_mul_f64 v[158:159], v[172:173], v[160:161]
	v_fma_f64 v[158:159], v[170:171], v[178:179], -v[158:159]
	v_mul_f64 v[170:171], v[170:171], v[160:161]
	v_add_f64 v[2:3], v[2:3], -v[158:159]
	v_fma_f64 v[170:171], v[172:173], v[178:179], v[170:171]
	v_mov_b32_e32 v158, v178
	v_mov_b32_e32 v159, v179
	v_add_f64 v[4:5], v[4:5], -v[170:171]
.LBB82_62:
	s_or_b32 exec_lo, exec_lo, s0
	v_lshl_add_u32 v170, v184, 4, v1
	s_barrier
	buffer_gl0_inv
	v_mov_b32_e32 v178, 3
	ds_write2_b64 v170, v[154:155], v[156:157] offset1:1
	s_waitcnt lgkmcnt(0)
	s_barrier
	buffer_gl0_inv
	ds_read2_b64 v[170:173], v1 offset0:6 offset1:7
	s_cmp_lt_i32 s18, 5
	s_mov_b32 s1, 4
	s_cbranch_scc1 .LBB82_65
; %bb.63:
	v_add3_u32 v179, v180, 0, 64
	v_mov_b32_e32 v178, 3
	s_inst_prefetch 0x1
	.p2align	6
.LBB82_64:                              ; =>This Inner Loop Header: Depth=1
	s_waitcnt lgkmcnt(0)
	v_cmp_gt_f64_e32 vcc_lo, 0, v[172:173]
	v_cmp_gt_f64_e64 s0, 0, v[170:171]
	ds_read2_b64 v[185:188], v179 offset1:1
	v_xor_b32_e32 v190, 0x80000000, v171
	v_xor_b32_e32 v192, 0x80000000, v173
	v_mov_b32_e32 v189, v170
	v_mov_b32_e32 v191, v172
	v_add_nc_u32_e32 v179, 16, v179
	s_waitcnt lgkmcnt(0)
	v_xor_b32_e32 v194, 0x80000000, v188
	v_cndmask_b32_e64 v190, v171, v190, s0
	v_cndmask_b32_e32 v192, v173, v192, vcc_lo
	v_cmp_gt_f64_e32 vcc_lo, 0, v[187:188]
	v_cmp_gt_f64_e64 s0, 0, v[185:186]
	v_mov_b32_e32 v193, v187
	v_add_f64 v[189:190], v[189:190], v[191:192]
	v_xor_b32_e32 v192, 0x80000000, v186
	v_mov_b32_e32 v191, v185
	v_cndmask_b32_e32 v194, v188, v194, vcc_lo
	v_cndmask_b32_e64 v192, v186, v192, s0
	v_add_f64 v[191:192], v[191:192], v[193:194]
	v_cmp_lt_f64_e32 vcc_lo, v[189:190], v[191:192]
	v_cndmask_b32_e32 v171, v171, v186, vcc_lo
	v_cndmask_b32_e32 v170, v170, v185, vcc_lo
	;; [unrolled: 1-line block ×4, first 2 shown]
	v_cndmask_b32_e64 v178, v178, s1, vcc_lo
	s_add_i32 s1, s1, 1
	s_cmp_lg_u32 s18, s1
	s_cbranch_scc1 .LBB82_64
.LBB82_65:
	s_inst_prefetch 0x2
	s_waitcnt lgkmcnt(0)
	v_cmp_eq_f64_e32 vcc_lo, 0, v[170:171]
	v_cmp_eq_f64_e64 s0, 0, v[172:173]
	s_and_b32 s0, vcc_lo, s0
	s_and_saveexec_b32 s1, s0
	s_xor_b32 s0, exec_lo, s1
; %bb.66:
	v_cmp_ne_u32_e32 vcc_lo, 0, v183
	v_cndmask_b32_e32 v183, 4, v183, vcc_lo
; %bb.67:
	s_andn2_saveexec_b32 s0, s0
	s_cbranch_execz .LBB82_73
; %bb.68:
	v_cmp_ngt_f64_e64 s1, |v[170:171]|, |v[172:173]|
	s_and_saveexec_b32 s2, s1
	s_xor_b32 s1, exec_lo, s2
	s_cbranch_execz .LBB82_70
; %bb.69:
	v_div_scale_f64 v[185:186], null, v[172:173], v[172:173], v[170:171]
	v_div_scale_f64 v[191:192], vcc_lo, v[170:171], v[172:173], v[170:171]
	v_rcp_f64_e32 v[187:188], v[185:186]
	v_fma_f64 v[189:190], -v[185:186], v[187:188], 1.0
	v_fma_f64 v[187:188], v[187:188], v[189:190], v[187:188]
	v_fma_f64 v[189:190], -v[185:186], v[187:188], 1.0
	v_fma_f64 v[187:188], v[187:188], v[189:190], v[187:188]
	v_mul_f64 v[189:190], v[191:192], v[187:188]
	v_fma_f64 v[185:186], -v[185:186], v[189:190], v[191:192]
	v_div_fmas_f64 v[185:186], v[185:186], v[187:188], v[189:190]
	v_div_fixup_f64 v[185:186], v[185:186], v[172:173], v[170:171]
	v_fma_f64 v[170:171], v[170:171], v[185:186], v[172:173]
	v_div_scale_f64 v[172:173], null, v[170:171], v[170:171], 1.0
	v_rcp_f64_e32 v[187:188], v[172:173]
	v_fma_f64 v[189:190], -v[172:173], v[187:188], 1.0
	v_fma_f64 v[187:188], v[187:188], v[189:190], v[187:188]
	v_fma_f64 v[189:190], -v[172:173], v[187:188], 1.0
	v_fma_f64 v[187:188], v[187:188], v[189:190], v[187:188]
	v_div_scale_f64 v[189:190], vcc_lo, 1.0, v[170:171], 1.0
	v_mul_f64 v[191:192], v[189:190], v[187:188]
	v_fma_f64 v[172:173], -v[172:173], v[191:192], v[189:190]
	v_div_fmas_f64 v[172:173], v[172:173], v[187:188], v[191:192]
	v_div_fixup_f64 v[172:173], v[172:173], v[170:171], 1.0
	v_mul_f64 v[170:171], v[185:186], v[172:173]
	v_xor_b32_e32 v173, 0x80000000, v173
.LBB82_70:
	s_andn2_saveexec_b32 s1, s1
	s_cbranch_execz .LBB82_72
; %bb.71:
	v_div_scale_f64 v[185:186], null, v[170:171], v[170:171], v[172:173]
	v_div_scale_f64 v[191:192], vcc_lo, v[172:173], v[170:171], v[172:173]
	v_rcp_f64_e32 v[187:188], v[185:186]
	v_fma_f64 v[189:190], -v[185:186], v[187:188], 1.0
	v_fma_f64 v[187:188], v[187:188], v[189:190], v[187:188]
	v_fma_f64 v[189:190], -v[185:186], v[187:188], 1.0
	v_fma_f64 v[187:188], v[187:188], v[189:190], v[187:188]
	v_mul_f64 v[189:190], v[191:192], v[187:188]
	v_fma_f64 v[185:186], -v[185:186], v[189:190], v[191:192]
	v_div_fmas_f64 v[185:186], v[185:186], v[187:188], v[189:190]
	v_div_fixup_f64 v[185:186], v[185:186], v[170:171], v[172:173]
	v_fma_f64 v[170:171], v[172:173], v[185:186], v[170:171]
	v_div_scale_f64 v[172:173], null, v[170:171], v[170:171], 1.0
	v_rcp_f64_e32 v[187:188], v[172:173]
	v_fma_f64 v[189:190], -v[172:173], v[187:188], 1.0
	v_fma_f64 v[187:188], v[187:188], v[189:190], v[187:188]
	v_fma_f64 v[189:190], -v[172:173], v[187:188], 1.0
	v_fma_f64 v[187:188], v[187:188], v[189:190], v[187:188]
	v_div_scale_f64 v[189:190], vcc_lo, 1.0, v[170:171], 1.0
	v_mul_f64 v[191:192], v[189:190], v[187:188]
	v_fma_f64 v[172:173], -v[172:173], v[191:192], v[189:190]
	v_div_fmas_f64 v[172:173], v[172:173], v[187:188], v[191:192]
	v_div_fixup_f64 v[170:171], v[172:173], v[170:171], 1.0
	v_mul_f64 v[172:173], v[185:186], -v[170:171]
.LBB82_72:
	s_or_b32 exec_lo, exec_lo, s1
.LBB82_73:
	s_or_b32 exec_lo, exec_lo, s0
	s_mov_b32 s0, exec_lo
	v_cmpx_ne_u32_e64 v184, v178
	s_xor_b32 s0, exec_lo, s0
	s_cbranch_execz .LBB82_79
; %bb.74:
	s_mov_b32 s1, exec_lo
	v_cmpx_eq_u32_e32 3, v184
	s_cbranch_execz .LBB82_78
; %bb.75:
	v_cmp_ne_u32_e32 vcc_lo, 3, v178
	s_xor_b32 s2, s16, -1
	s_and_b32 s3, s2, vcc_lo
	s_and_saveexec_b32 s2, s3
	s_cbranch_execz .LBB82_77
; %bb.76:
	v_ashrrev_i32_e32 v179, 31, v178
	v_lshlrev_b64 v[184:185], 2, v[178:179]
	v_add_co_u32 v184, vcc_lo, v176, v184
	v_add_co_ci_u32_e64 v185, null, v177, v185, vcc_lo
	s_clause 0x1
	global_load_dword v0, v[184:185], off
	global_load_dword v179, v[176:177], off offset:12
	s_waitcnt vmcnt(1)
	global_store_dword v[176:177], v0, off offset:12
	s_waitcnt vmcnt(0)
	global_store_dword v[184:185], v179, off
.LBB82_77:
	s_or_b32 exec_lo, exec_lo, s2
	v_mov_b32_e32 v184, v178
	v_mov_b32_e32 v0, v178
.LBB82_78:
	s_or_b32 exec_lo, exec_lo, s1
.LBB82_79:
	s_andn2_saveexec_b32 s0, s0
	s_cbranch_execz .LBB82_81
; %bb.80:
	v_mov_b32_e32 v184, 3
	ds_write2_b64 v1, v[150:151], v[152:153] offset0:8 offset1:9
	ds_write2_b64 v1, v[146:147], v[148:149] offset0:10 offset1:11
	;; [unrolled: 1-line block ×38, first 2 shown]
.LBB82_81:
	s_or_b32 exec_lo, exec_lo, s0
	s_mov_b32 s0, exec_lo
	s_waitcnt lgkmcnt(0)
	s_waitcnt_vscnt null, 0x0
	s_barrier
	buffer_gl0_inv
	v_cmpx_lt_i32_e32 3, v184
	s_cbranch_execz .LBB82_83
; %bb.82:
	v_mul_f64 v[178:179], v[172:173], v[156:157]
	v_mul_f64 v[156:157], v[170:171], v[156:157]
	v_fma_f64 v[178:179], v[170:171], v[154:155], -v[178:179]
	v_fma_f64 v[156:157], v[172:173], v[154:155], v[156:157]
	ds_read2_b64 v[170:173], v1 offset0:8 offset1:9
	s_waitcnt lgkmcnt(0)
	v_mul_f64 v[154:155], v[172:173], v[156:157]
	v_fma_f64 v[154:155], v[170:171], v[178:179], -v[154:155]
	v_mul_f64 v[170:171], v[170:171], v[156:157]
	v_add_f64 v[150:151], v[150:151], -v[154:155]
	v_fma_f64 v[170:171], v[172:173], v[178:179], v[170:171]
	v_add_f64 v[152:153], v[152:153], -v[170:171]
	ds_read2_b64 v[170:173], v1 offset0:10 offset1:11
	s_waitcnt lgkmcnt(0)
	v_mul_f64 v[154:155], v[172:173], v[156:157]
	v_fma_f64 v[154:155], v[170:171], v[178:179], -v[154:155]
	v_mul_f64 v[170:171], v[170:171], v[156:157]
	v_add_f64 v[146:147], v[146:147], -v[154:155]
	v_fma_f64 v[170:171], v[172:173], v[178:179], v[170:171]
	v_add_f64 v[148:149], v[148:149], -v[170:171]
	;; [unrolled: 8-line block ×37, first 2 shown]
	ds_read2_b64 v[170:173], v1 offset0:82 offset1:83
	s_waitcnt lgkmcnt(0)
	v_mul_f64 v[154:155], v[172:173], v[156:157]
	v_fma_f64 v[154:155], v[170:171], v[178:179], -v[154:155]
	v_mul_f64 v[170:171], v[170:171], v[156:157]
	v_add_f64 v[2:3], v[2:3], -v[154:155]
	v_fma_f64 v[170:171], v[172:173], v[178:179], v[170:171]
	v_mov_b32_e32 v154, v178
	v_mov_b32_e32 v155, v179
	v_add_f64 v[4:5], v[4:5], -v[170:171]
.LBB82_83:
	s_or_b32 exec_lo, exec_lo, s0
	v_lshl_add_u32 v170, v184, 4, v1
	s_barrier
	buffer_gl0_inv
	v_mov_b32_e32 v178, 4
	ds_write2_b64 v170, v[150:151], v[152:153] offset1:1
	s_waitcnt lgkmcnt(0)
	s_barrier
	buffer_gl0_inv
	ds_read2_b64 v[170:173], v1 offset0:8 offset1:9
	s_cmp_lt_i32 s18, 6
	s_cbranch_scc1 .LBB82_86
; %bb.84:
	v_mov_b32_e32 v178, 4
	v_add3_u32 v179, v180, 0, 0x50
	s_mov_b32 s1, 5
	s_inst_prefetch 0x1
	.p2align	6
.LBB82_85:                              ; =>This Inner Loop Header: Depth=1
	s_waitcnt lgkmcnt(0)
	v_cmp_gt_f64_e32 vcc_lo, 0, v[172:173]
	v_cmp_gt_f64_e64 s0, 0, v[170:171]
	ds_read2_b64 v[185:188], v179 offset1:1
	v_xor_b32_e32 v190, 0x80000000, v171
	v_xor_b32_e32 v192, 0x80000000, v173
	v_mov_b32_e32 v189, v170
	v_mov_b32_e32 v191, v172
	v_add_nc_u32_e32 v179, 16, v179
	s_waitcnt lgkmcnt(0)
	v_xor_b32_e32 v194, 0x80000000, v188
	v_cndmask_b32_e64 v190, v171, v190, s0
	v_cndmask_b32_e32 v192, v173, v192, vcc_lo
	v_cmp_gt_f64_e32 vcc_lo, 0, v[187:188]
	v_cmp_gt_f64_e64 s0, 0, v[185:186]
	v_mov_b32_e32 v193, v187
	v_add_f64 v[189:190], v[189:190], v[191:192]
	v_xor_b32_e32 v192, 0x80000000, v186
	v_mov_b32_e32 v191, v185
	v_cndmask_b32_e32 v194, v188, v194, vcc_lo
	v_cndmask_b32_e64 v192, v186, v192, s0
	v_add_f64 v[191:192], v[191:192], v[193:194]
	v_cmp_lt_f64_e32 vcc_lo, v[189:190], v[191:192]
	v_cndmask_b32_e32 v171, v171, v186, vcc_lo
	v_cndmask_b32_e32 v170, v170, v185, vcc_lo
	;; [unrolled: 1-line block ×4, first 2 shown]
	v_cndmask_b32_e64 v178, v178, s1, vcc_lo
	s_add_i32 s1, s1, 1
	s_cmp_lg_u32 s18, s1
	s_cbranch_scc1 .LBB82_85
.LBB82_86:
	s_inst_prefetch 0x2
	s_waitcnt lgkmcnt(0)
	v_cmp_eq_f64_e32 vcc_lo, 0, v[170:171]
	v_cmp_eq_f64_e64 s0, 0, v[172:173]
	s_and_b32 s0, vcc_lo, s0
	s_and_saveexec_b32 s1, s0
	s_xor_b32 s0, exec_lo, s1
; %bb.87:
	v_cmp_ne_u32_e32 vcc_lo, 0, v183
	v_cndmask_b32_e32 v183, 5, v183, vcc_lo
; %bb.88:
	s_andn2_saveexec_b32 s0, s0
	s_cbranch_execz .LBB82_94
; %bb.89:
	v_cmp_ngt_f64_e64 s1, |v[170:171]|, |v[172:173]|
	s_and_saveexec_b32 s2, s1
	s_xor_b32 s1, exec_lo, s2
	s_cbranch_execz .LBB82_91
; %bb.90:
	v_div_scale_f64 v[185:186], null, v[172:173], v[172:173], v[170:171]
	v_div_scale_f64 v[191:192], vcc_lo, v[170:171], v[172:173], v[170:171]
	v_rcp_f64_e32 v[187:188], v[185:186]
	v_fma_f64 v[189:190], -v[185:186], v[187:188], 1.0
	v_fma_f64 v[187:188], v[187:188], v[189:190], v[187:188]
	v_fma_f64 v[189:190], -v[185:186], v[187:188], 1.0
	v_fma_f64 v[187:188], v[187:188], v[189:190], v[187:188]
	v_mul_f64 v[189:190], v[191:192], v[187:188]
	v_fma_f64 v[185:186], -v[185:186], v[189:190], v[191:192]
	v_div_fmas_f64 v[185:186], v[185:186], v[187:188], v[189:190]
	v_div_fixup_f64 v[185:186], v[185:186], v[172:173], v[170:171]
	v_fma_f64 v[170:171], v[170:171], v[185:186], v[172:173]
	v_div_scale_f64 v[172:173], null, v[170:171], v[170:171], 1.0
	v_rcp_f64_e32 v[187:188], v[172:173]
	v_fma_f64 v[189:190], -v[172:173], v[187:188], 1.0
	v_fma_f64 v[187:188], v[187:188], v[189:190], v[187:188]
	v_fma_f64 v[189:190], -v[172:173], v[187:188], 1.0
	v_fma_f64 v[187:188], v[187:188], v[189:190], v[187:188]
	v_div_scale_f64 v[189:190], vcc_lo, 1.0, v[170:171], 1.0
	v_mul_f64 v[191:192], v[189:190], v[187:188]
	v_fma_f64 v[172:173], -v[172:173], v[191:192], v[189:190]
	v_div_fmas_f64 v[172:173], v[172:173], v[187:188], v[191:192]
	v_div_fixup_f64 v[172:173], v[172:173], v[170:171], 1.0
	v_mul_f64 v[170:171], v[185:186], v[172:173]
	v_xor_b32_e32 v173, 0x80000000, v173
.LBB82_91:
	s_andn2_saveexec_b32 s1, s1
	s_cbranch_execz .LBB82_93
; %bb.92:
	v_div_scale_f64 v[185:186], null, v[170:171], v[170:171], v[172:173]
	v_div_scale_f64 v[191:192], vcc_lo, v[172:173], v[170:171], v[172:173]
	v_rcp_f64_e32 v[187:188], v[185:186]
	v_fma_f64 v[189:190], -v[185:186], v[187:188], 1.0
	v_fma_f64 v[187:188], v[187:188], v[189:190], v[187:188]
	v_fma_f64 v[189:190], -v[185:186], v[187:188], 1.0
	v_fma_f64 v[187:188], v[187:188], v[189:190], v[187:188]
	v_mul_f64 v[189:190], v[191:192], v[187:188]
	v_fma_f64 v[185:186], -v[185:186], v[189:190], v[191:192]
	v_div_fmas_f64 v[185:186], v[185:186], v[187:188], v[189:190]
	v_div_fixup_f64 v[185:186], v[185:186], v[170:171], v[172:173]
	v_fma_f64 v[170:171], v[172:173], v[185:186], v[170:171]
	v_div_scale_f64 v[172:173], null, v[170:171], v[170:171], 1.0
	v_rcp_f64_e32 v[187:188], v[172:173]
	v_fma_f64 v[189:190], -v[172:173], v[187:188], 1.0
	v_fma_f64 v[187:188], v[187:188], v[189:190], v[187:188]
	v_fma_f64 v[189:190], -v[172:173], v[187:188], 1.0
	v_fma_f64 v[187:188], v[187:188], v[189:190], v[187:188]
	v_div_scale_f64 v[189:190], vcc_lo, 1.0, v[170:171], 1.0
	v_mul_f64 v[191:192], v[189:190], v[187:188]
	v_fma_f64 v[172:173], -v[172:173], v[191:192], v[189:190]
	v_div_fmas_f64 v[172:173], v[172:173], v[187:188], v[191:192]
	v_div_fixup_f64 v[170:171], v[172:173], v[170:171], 1.0
	v_mul_f64 v[172:173], v[185:186], -v[170:171]
.LBB82_93:
	s_or_b32 exec_lo, exec_lo, s1
.LBB82_94:
	s_or_b32 exec_lo, exec_lo, s0
	s_mov_b32 s0, exec_lo
	v_cmpx_ne_u32_e64 v184, v178
	s_xor_b32 s0, exec_lo, s0
	s_cbranch_execz .LBB82_100
; %bb.95:
	s_mov_b32 s1, exec_lo
	v_cmpx_eq_u32_e32 4, v184
	s_cbranch_execz .LBB82_99
; %bb.96:
	v_cmp_ne_u32_e32 vcc_lo, 4, v178
	s_xor_b32 s2, s16, -1
	s_and_b32 s3, s2, vcc_lo
	s_and_saveexec_b32 s2, s3
	s_cbranch_execz .LBB82_98
; %bb.97:
	v_ashrrev_i32_e32 v179, 31, v178
	v_lshlrev_b64 v[184:185], 2, v[178:179]
	v_add_co_u32 v184, vcc_lo, v176, v184
	v_add_co_ci_u32_e64 v185, null, v177, v185, vcc_lo
	s_clause 0x1
	global_load_dword v0, v[184:185], off
	global_load_dword v179, v[176:177], off offset:16
	s_waitcnt vmcnt(1)
	global_store_dword v[176:177], v0, off offset:16
	s_waitcnt vmcnt(0)
	global_store_dword v[184:185], v179, off
.LBB82_98:
	s_or_b32 exec_lo, exec_lo, s2
	v_mov_b32_e32 v184, v178
	v_mov_b32_e32 v0, v178
.LBB82_99:
	s_or_b32 exec_lo, exec_lo, s1
.LBB82_100:
	s_andn2_saveexec_b32 s0, s0
	s_cbranch_execz .LBB82_102
; %bb.101:
	v_mov_b32_e32 v184, 4
	ds_write2_b64 v1, v[146:147], v[148:149] offset0:10 offset1:11
	ds_write2_b64 v1, v[142:143], v[144:145] offset0:12 offset1:13
	;; [unrolled: 1-line block ×37, first 2 shown]
.LBB82_102:
	s_or_b32 exec_lo, exec_lo, s0
	s_mov_b32 s0, exec_lo
	s_waitcnt lgkmcnt(0)
	s_waitcnt_vscnt null, 0x0
	s_barrier
	buffer_gl0_inv
	v_cmpx_lt_i32_e32 4, v184
	s_cbranch_execz .LBB82_104
; %bb.103:
	v_mul_f64 v[178:179], v[172:173], v[152:153]
	v_mul_f64 v[152:153], v[170:171], v[152:153]
	v_fma_f64 v[178:179], v[170:171], v[150:151], -v[178:179]
	v_fma_f64 v[152:153], v[172:173], v[150:151], v[152:153]
	ds_read2_b64 v[170:173], v1 offset0:10 offset1:11
	s_waitcnt lgkmcnt(0)
	v_mul_f64 v[150:151], v[172:173], v[152:153]
	v_fma_f64 v[150:151], v[170:171], v[178:179], -v[150:151]
	v_mul_f64 v[170:171], v[170:171], v[152:153]
	v_add_f64 v[146:147], v[146:147], -v[150:151]
	v_fma_f64 v[170:171], v[172:173], v[178:179], v[170:171]
	v_add_f64 v[148:149], v[148:149], -v[170:171]
	ds_read2_b64 v[170:173], v1 offset0:12 offset1:13
	s_waitcnt lgkmcnt(0)
	v_mul_f64 v[150:151], v[172:173], v[152:153]
	v_fma_f64 v[150:151], v[170:171], v[178:179], -v[150:151]
	v_mul_f64 v[170:171], v[170:171], v[152:153]
	v_add_f64 v[142:143], v[142:143], -v[150:151]
	v_fma_f64 v[170:171], v[172:173], v[178:179], v[170:171]
	v_add_f64 v[144:145], v[144:145], -v[170:171]
	;; [unrolled: 8-line block ×36, first 2 shown]
	ds_read2_b64 v[170:173], v1 offset0:82 offset1:83
	s_waitcnt lgkmcnt(0)
	v_mul_f64 v[150:151], v[172:173], v[152:153]
	v_fma_f64 v[150:151], v[170:171], v[178:179], -v[150:151]
	v_mul_f64 v[170:171], v[170:171], v[152:153]
	v_add_f64 v[2:3], v[2:3], -v[150:151]
	v_fma_f64 v[170:171], v[172:173], v[178:179], v[170:171]
	v_mov_b32_e32 v150, v178
	v_mov_b32_e32 v151, v179
	v_add_f64 v[4:5], v[4:5], -v[170:171]
.LBB82_104:
	s_or_b32 exec_lo, exec_lo, s0
	v_lshl_add_u32 v170, v184, 4, v1
	s_barrier
	buffer_gl0_inv
	v_mov_b32_e32 v178, 5
	ds_write2_b64 v170, v[146:147], v[148:149] offset1:1
	s_waitcnt lgkmcnt(0)
	s_barrier
	buffer_gl0_inv
	ds_read2_b64 v[170:173], v1 offset0:10 offset1:11
	s_cmp_lt_i32 s18, 7
	s_cbranch_scc1 .LBB82_107
; %bb.105:
	v_add3_u32 v179, v180, 0, 0x60
	v_mov_b32_e32 v178, 5
	s_mov_b32 s1, 6
	s_inst_prefetch 0x1
	.p2align	6
.LBB82_106:                             ; =>This Inner Loop Header: Depth=1
	s_waitcnt lgkmcnt(0)
	v_cmp_gt_f64_e32 vcc_lo, 0, v[172:173]
	v_cmp_gt_f64_e64 s0, 0, v[170:171]
	ds_read2_b64 v[185:188], v179 offset1:1
	v_xor_b32_e32 v190, 0x80000000, v171
	v_xor_b32_e32 v192, 0x80000000, v173
	v_mov_b32_e32 v189, v170
	v_mov_b32_e32 v191, v172
	v_add_nc_u32_e32 v179, 16, v179
	s_waitcnt lgkmcnt(0)
	v_xor_b32_e32 v194, 0x80000000, v188
	v_cndmask_b32_e64 v190, v171, v190, s0
	v_cndmask_b32_e32 v192, v173, v192, vcc_lo
	v_cmp_gt_f64_e32 vcc_lo, 0, v[187:188]
	v_cmp_gt_f64_e64 s0, 0, v[185:186]
	v_mov_b32_e32 v193, v187
	v_add_f64 v[189:190], v[189:190], v[191:192]
	v_xor_b32_e32 v192, 0x80000000, v186
	v_mov_b32_e32 v191, v185
	v_cndmask_b32_e32 v194, v188, v194, vcc_lo
	v_cndmask_b32_e64 v192, v186, v192, s0
	v_add_f64 v[191:192], v[191:192], v[193:194]
	v_cmp_lt_f64_e32 vcc_lo, v[189:190], v[191:192]
	v_cndmask_b32_e32 v171, v171, v186, vcc_lo
	v_cndmask_b32_e32 v170, v170, v185, vcc_lo
	v_cndmask_b32_e32 v173, v173, v188, vcc_lo
	v_cndmask_b32_e32 v172, v172, v187, vcc_lo
	v_cndmask_b32_e64 v178, v178, s1, vcc_lo
	s_add_i32 s1, s1, 1
	s_cmp_lg_u32 s18, s1
	s_cbranch_scc1 .LBB82_106
.LBB82_107:
	s_inst_prefetch 0x2
	s_waitcnt lgkmcnt(0)
	v_cmp_eq_f64_e32 vcc_lo, 0, v[170:171]
	v_cmp_eq_f64_e64 s0, 0, v[172:173]
	s_and_b32 s0, vcc_lo, s0
	s_and_saveexec_b32 s1, s0
	s_xor_b32 s0, exec_lo, s1
; %bb.108:
	v_cmp_ne_u32_e32 vcc_lo, 0, v183
	v_cndmask_b32_e32 v183, 6, v183, vcc_lo
; %bb.109:
	s_andn2_saveexec_b32 s0, s0
	s_cbranch_execz .LBB82_115
; %bb.110:
	v_cmp_ngt_f64_e64 s1, |v[170:171]|, |v[172:173]|
	s_and_saveexec_b32 s2, s1
	s_xor_b32 s1, exec_lo, s2
	s_cbranch_execz .LBB82_112
; %bb.111:
	v_div_scale_f64 v[185:186], null, v[172:173], v[172:173], v[170:171]
	v_div_scale_f64 v[191:192], vcc_lo, v[170:171], v[172:173], v[170:171]
	v_rcp_f64_e32 v[187:188], v[185:186]
	v_fma_f64 v[189:190], -v[185:186], v[187:188], 1.0
	v_fma_f64 v[187:188], v[187:188], v[189:190], v[187:188]
	v_fma_f64 v[189:190], -v[185:186], v[187:188], 1.0
	v_fma_f64 v[187:188], v[187:188], v[189:190], v[187:188]
	v_mul_f64 v[189:190], v[191:192], v[187:188]
	v_fma_f64 v[185:186], -v[185:186], v[189:190], v[191:192]
	v_div_fmas_f64 v[185:186], v[185:186], v[187:188], v[189:190]
	v_div_fixup_f64 v[185:186], v[185:186], v[172:173], v[170:171]
	v_fma_f64 v[170:171], v[170:171], v[185:186], v[172:173]
	v_div_scale_f64 v[172:173], null, v[170:171], v[170:171], 1.0
	v_rcp_f64_e32 v[187:188], v[172:173]
	v_fma_f64 v[189:190], -v[172:173], v[187:188], 1.0
	v_fma_f64 v[187:188], v[187:188], v[189:190], v[187:188]
	v_fma_f64 v[189:190], -v[172:173], v[187:188], 1.0
	v_fma_f64 v[187:188], v[187:188], v[189:190], v[187:188]
	v_div_scale_f64 v[189:190], vcc_lo, 1.0, v[170:171], 1.0
	v_mul_f64 v[191:192], v[189:190], v[187:188]
	v_fma_f64 v[172:173], -v[172:173], v[191:192], v[189:190]
	v_div_fmas_f64 v[172:173], v[172:173], v[187:188], v[191:192]
	v_div_fixup_f64 v[172:173], v[172:173], v[170:171], 1.0
	v_mul_f64 v[170:171], v[185:186], v[172:173]
	v_xor_b32_e32 v173, 0x80000000, v173
.LBB82_112:
	s_andn2_saveexec_b32 s1, s1
	s_cbranch_execz .LBB82_114
; %bb.113:
	v_div_scale_f64 v[185:186], null, v[170:171], v[170:171], v[172:173]
	v_div_scale_f64 v[191:192], vcc_lo, v[172:173], v[170:171], v[172:173]
	v_rcp_f64_e32 v[187:188], v[185:186]
	v_fma_f64 v[189:190], -v[185:186], v[187:188], 1.0
	v_fma_f64 v[187:188], v[187:188], v[189:190], v[187:188]
	v_fma_f64 v[189:190], -v[185:186], v[187:188], 1.0
	v_fma_f64 v[187:188], v[187:188], v[189:190], v[187:188]
	v_mul_f64 v[189:190], v[191:192], v[187:188]
	v_fma_f64 v[185:186], -v[185:186], v[189:190], v[191:192]
	v_div_fmas_f64 v[185:186], v[185:186], v[187:188], v[189:190]
	v_div_fixup_f64 v[185:186], v[185:186], v[170:171], v[172:173]
	v_fma_f64 v[170:171], v[172:173], v[185:186], v[170:171]
	v_div_scale_f64 v[172:173], null, v[170:171], v[170:171], 1.0
	v_rcp_f64_e32 v[187:188], v[172:173]
	v_fma_f64 v[189:190], -v[172:173], v[187:188], 1.0
	v_fma_f64 v[187:188], v[187:188], v[189:190], v[187:188]
	v_fma_f64 v[189:190], -v[172:173], v[187:188], 1.0
	v_fma_f64 v[187:188], v[187:188], v[189:190], v[187:188]
	v_div_scale_f64 v[189:190], vcc_lo, 1.0, v[170:171], 1.0
	v_mul_f64 v[191:192], v[189:190], v[187:188]
	v_fma_f64 v[172:173], -v[172:173], v[191:192], v[189:190]
	v_div_fmas_f64 v[172:173], v[172:173], v[187:188], v[191:192]
	v_div_fixup_f64 v[170:171], v[172:173], v[170:171], 1.0
	v_mul_f64 v[172:173], v[185:186], -v[170:171]
.LBB82_114:
	s_or_b32 exec_lo, exec_lo, s1
.LBB82_115:
	s_or_b32 exec_lo, exec_lo, s0
	s_mov_b32 s0, exec_lo
	v_cmpx_ne_u32_e64 v184, v178
	s_xor_b32 s0, exec_lo, s0
	s_cbranch_execz .LBB82_121
; %bb.116:
	s_mov_b32 s1, exec_lo
	v_cmpx_eq_u32_e32 5, v184
	s_cbranch_execz .LBB82_120
; %bb.117:
	v_cmp_ne_u32_e32 vcc_lo, 5, v178
	s_xor_b32 s2, s16, -1
	s_and_b32 s3, s2, vcc_lo
	s_and_saveexec_b32 s2, s3
	s_cbranch_execz .LBB82_119
; %bb.118:
	v_ashrrev_i32_e32 v179, 31, v178
	v_lshlrev_b64 v[184:185], 2, v[178:179]
	v_add_co_u32 v184, vcc_lo, v176, v184
	v_add_co_ci_u32_e64 v185, null, v177, v185, vcc_lo
	s_clause 0x1
	global_load_dword v0, v[184:185], off
	global_load_dword v179, v[176:177], off offset:20
	s_waitcnt vmcnt(1)
	global_store_dword v[176:177], v0, off offset:20
	s_waitcnt vmcnt(0)
	global_store_dword v[184:185], v179, off
.LBB82_119:
	s_or_b32 exec_lo, exec_lo, s2
	v_mov_b32_e32 v184, v178
	v_mov_b32_e32 v0, v178
.LBB82_120:
	s_or_b32 exec_lo, exec_lo, s1
.LBB82_121:
	s_andn2_saveexec_b32 s0, s0
	s_cbranch_execz .LBB82_123
; %bb.122:
	v_mov_b32_e32 v184, 5
	ds_write2_b64 v1, v[142:143], v[144:145] offset0:12 offset1:13
	ds_write2_b64 v1, v[138:139], v[140:141] offset0:14 offset1:15
	;; [unrolled: 1-line block ×36, first 2 shown]
.LBB82_123:
	s_or_b32 exec_lo, exec_lo, s0
	s_mov_b32 s0, exec_lo
	s_waitcnt lgkmcnt(0)
	s_waitcnt_vscnt null, 0x0
	s_barrier
	buffer_gl0_inv
	v_cmpx_lt_i32_e32 5, v184
	s_cbranch_execz .LBB82_125
; %bb.124:
	v_mul_f64 v[178:179], v[172:173], v[148:149]
	v_mul_f64 v[148:149], v[170:171], v[148:149]
	v_fma_f64 v[178:179], v[170:171], v[146:147], -v[178:179]
	v_fma_f64 v[148:149], v[172:173], v[146:147], v[148:149]
	ds_read2_b64 v[170:173], v1 offset0:12 offset1:13
	s_waitcnt lgkmcnt(0)
	v_mul_f64 v[146:147], v[172:173], v[148:149]
	v_fma_f64 v[146:147], v[170:171], v[178:179], -v[146:147]
	v_mul_f64 v[170:171], v[170:171], v[148:149]
	v_add_f64 v[142:143], v[142:143], -v[146:147]
	v_fma_f64 v[170:171], v[172:173], v[178:179], v[170:171]
	v_add_f64 v[144:145], v[144:145], -v[170:171]
	ds_read2_b64 v[170:173], v1 offset0:14 offset1:15
	s_waitcnt lgkmcnt(0)
	v_mul_f64 v[146:147], v[172:173], v[148:149]
	v_fma_f64 v[146:147], v[170:171], v[178:179], -v[146:147]
	v_mul_f64 v[170:171], v[170:171], v[148:149]
	v_add_f64 v[138:139], v[138:139], -v[146:147]
	v_fma_f64 v[170:171], v[172:173], v[178:179], v[170:171]
	v_add_f64 v[140:141], v[140:141], -v[170:171]
	;; [unrolled: 8-line block ×35, first 2 shown]
	ds_read2_b64 v[170:173], v1 offset0:82 offset1:83
	s_waitcnt lgkmcnt(0)
	v_mul_f64 v[146:147], v[172:173], v[148:149]
	v_fma_f64 v[146:147], v[170:171], v[178:179], -v[146:147]
	v_mul_f64 v[170:171], v[170:171], v[148:149]
	v_add_f64 v[2:3], v[2:3], -v[146:147]
	v_fma_f64 v[170:171], v[172:173], v[178:179], v[170:171]
	v_mov_b32_e32 v146, v178
	v_mov_b32_e32 v147, v179
	v_add_f64 v[4:5], v[4:5], -v[170:171]
.LBB82_125:
	s_or_b32 exec_lo, exec_lo, s0
	v_lshl_add_u32 v170, v184, 4, v1
	s_barrier
	buffer_gl0_inv
	v_mov_b32_e32 v178, 6
	ds_write2_b64 v170, v[142:143], v[144:145] offset1:1
	s_waitcnt lgkmcnt(0)
	s_barrier
	buffer_gl0_inv
	ds_read2_b64 v[170:173], v1 offset0:12 offset1:13
	s_cmp_lt_i32 s18, 8
	s_cbranch_scc1 .LBB82_128
; %bb.126:
	v_add3_u32 v179, v180, 0, 0x70
	v_mov_b32_e32 v178, 6
	s_mov_b32 s1, 7
	s_inst_prefetch 0x1
	.p2align	6
.LBB82_127:                             ; =>This Inner Loop Header: Depth=1
	s_waitcnt lgkmcnt(0)
	v_cmp_gt_f64_e32 vcc_lo, 0, v[172:173]
	v_cmp_gt_f64_e64 s0, 0, v[170:171]
	ds_read2_b64 v[185:188], v179 offset1:1
	v_xor_b32_e32 v190, 0x80000000, v171
	v_xor_b32_e32 v192, 0x80000000, v173
	v_mov_b32_e32 v189, v170
	v_mov_b32_e32 v191, v172
	v_add_nc_u32_e32 v179, 16, v179
	s_waitcnt lgkmcnt(0)
	v_xor_b32_e32 v194, 0x80000000, v188
	v_cndmask_b32_e64 v190, v171, v190, s0
	v_cndmask_b32_e32 v192, v173, v192, vcc_lo
	v_cmp_gt_f64_e32 vcc_lo, 0, v[187:188]
	v_cmp_gt_f64_e64 s0, 0, v[185:186]
	v_mov_b32_e32 v193, v187
	v_add_f64 v[189:190], v[189:190], v[191:192]
	v_xor_b32_e32 v192, 0x80000000, v186
	v_mov_b32_e32 v191, v185
	v_cndmask_b32_e32 v194, v188, v194, vcc_lo
	v_cndmask_b32_e64 v192, v186, v192, s0
	v_add_f64 v[191:192], v[191:192], v[193:194]
	v_cmp_lt_f64_e32 vcc_lo, v[189:190], v[191:192]
	v_cndmask_b32_e32 v171, v171, v186, vcc_lo
	v_cndmask_b32_e32 v170, v170, v185, vcc_lo
	;; [unrolled: 1-line block ×4, first 2 shown]
	v_cndmask_b32_e64 v178, v178, s1, vcc_lo
	s_add_i32 s1, s1, 1
	s_cmp_lg_u32 s18, s1
	s_cbranch_scc1 .LBB82_127
.LBB82_128:
	s_inst_prefetch 0x2
	s_waitcnt lgkmcnt(0)
	v_cmp_eq_f64_e32 vcc_lo, 0, v[170:171]
	v_cmp_eq_f64_e64 s0, 0, v[172:173]
	s_and_b32 s0, vcc_lo, s0
	s_and_saveexec_b32 s1, s0
	s_xor_b32 s0, exec_lo, s1
; %bb.129:
	v_cmp_ne_u32_e32 vcc_lo, 0, v183
	v_cndmask_b32_e32 v183, 7, v183, vcc_lo
; %bb.130:
	s_andn2_saveexec_b32 s0, s0
	s_cbranch_execz .LBB82_136
; %bb.131:
	v_cmp_ngt_f64_e64 s1, |v[170:171]|, |v[172:173]|
	s_and_saveexec_b32 s2, s1
	s_xor_b32 s1, exec_lo, s2
	s_cbranch_execz .LBB82_133
; %bb.132:
	v_div_scale_f64 v[185:186], null, v[172:173], v[172:173], v[170:171]
	v_div_scale_f64 v[191:192], vcc_lo, v[170:171], v[172:173], v[170:171]
	v_rcp_f64_e32 v[187:188], v[185:186]
	v_fma_f64 v[189:190], -v[185:186], v[187:188], 1.0
	v_fma_f64 v[187:188], v[187:188], v[189:190], v[187:188]
	v_fma_f64 v[189:190], -v[185:186], v[187:188], 1.0
	v_fma_f64 v[187:188], v[187:188], v[189:190], v[187:188]
	v_mul_f64 v[189:190], v[191:192], v[187:188]
	v_fma_f64 v[185:186], -v[185:186], v[189:190], v[191:192]
	v_div_fmas_f64 v[185:186], v[185:186], v[187:188], v[189:190]
	v_div_fixup_f64 v[185:186], v[185:186], v[172:173], v[170:171]
	v_fma_f64 v[170:171], v[170:171], v[185:186], v[172:173]
	v_div_scale_f64 v[172:173], null, v[170:171], v[170:171], 1.0
	v_rcp_f64_e32 v[187:188], v[172:173]
	v_fma_f64 v[189:190], -v[172:173], v[187:188], 1.0
	v_fma_f64 v[187:188], v[187:188], v[189:190], v[187:188]
	v_fma_f64 v[189:190], -v[172:173], v[187:188], 1.0
	v_fma_f64 v[187:188], v[187:188], v[189:190], v[187:188]
	v_div_scale_f64 v[189:190], vcc_lo, 1.0, v[170:171], 1.0
	v_mul_f64 v[191:192], v[189:190], v[187:188]
	v_fma_f64 v[172:173], -v[172:173], v[191:192], v[189:190]
	v_div_fmas_f64 v[172:173], v[172:173], v[187:188], v[191:192]
	v_div_fixup_f64 v[172:173], v[172:173], v[170:171], 1.0
	v_mul_f64 v[170:171], v[185:186], v[172:173]
	v_xor_b32_e32 v173, 0x80000000, v173
.LBB82_133:
	s_andn2_saveexec_b32 s1, s1
	s_cbranch_execz .LBB82_135
; %bb.134:
	v_div_scale_f64 v[185:186], null, v[170:171], v[170:171], v[172:173]
	v_div_scale_f64 v[191:192], vcc_lo, v[172:173], v[170:171], v[172:173]
	v_rcp_f64_e32 v[187:188], v[185:186]
	v_fma_f64 v[189:190], -v[185:186], v[187:188], 1.0
	v_fma_f64 v[187:188], v[187:188], v[189:190], v[187:188]
	v_fma_f64 v[189:190], -v[185:186], v[187:188], 1.0
	v_fma_f64 v[187:188], v[187:188], v[189:190], v[187:188]
	v_mul_f64 v[189:190], v[191:192], v[187:188]
	v_fma_f64 v[185:186], -v[185:186], v[189:190], v[191:192]
	v_div_fmas_f64 v[185:186], v[185:186], v[187:188], v[189:190]
	v_div_fixup_f64 v[185:186], v[185:186], v[170:171], v[172:173]
	v_fma_f64 v[170:171], v[172:173], v[185:186], v[170:171]
	v_div_scale_f64 v[172:173], null, v[170:171], v[170:171], 1.0
	v_rcp_f64_e32 v[187:188], v[172:173]
	v_fma_f64 v[189:190], -v[172:173], v[187:188], 1.0
	v_fma_f64 v[187:188], v[187:188], v[189:190], v[187:188]
	v_fma_f64 v[189:190], -v[172:173], v[187:188], 1.0
	v_fma_f64 v[187:188], v[187:188], v[189:190], v[187:188]
	v_div_scale_f64 v[189:190], vcc_lo, 1.0, v[170:171], 1.0
	v_mul_f64 v[191:192], v[189:190], v[187:188]
	v_fma_f64 v[172:173], -v[172:173], v[191:192], v[189:190]
	v_div_fmas_f64 v[172:173], v[172:173], v[187:188], v[191:192]
	v_div_fixup_f64 v[170:171], v[172:173], v[170:171], 1.0
	v_mul_f64 v[172:173], v[185:186], -v[170:171]
.LBB82_135:
	s_or_b32 exec_lo, exec_lo, s1
.LBB82_136:
	s_or_b32 exec_lo, exec_lo, s0
	s_mov_b32 s0, exec_lo
	v_cmpx_ne_u32_e64 v184, v178
	s_xor_b32 s0, exec_lo, s0
	s_cbranch_execz .LBB82_142
; %bb.137:
	s_mov_b32 s1, exec_lo
	v_cmpx_eq_u32_e32 6, v184
	s_cbranch_execz .LBB82_141
; %bb.138:
	v_cmp_ne_u32_e32 vcc_lo, 6, v178
	s_xor_b32 s2, s16, -1
	s_and_b32 s3, s2, vcc_lo
	s_and_saveexec_b32 s2, s3
	s_cbranch_execz .LBB82_140
; %bb.139:
	v_ashrrev_i32_e32 v179, 31, v178
	v_lshlrev_b64 v[184:185], 2, v[178:179]
	v_add_co_u32 v184, vcc_lo, v176, v184
	v_add_co_ci_u32_e64 v185, null, v177, v185, vcc_lo
	s_clause 0x1
	global_load_dword v0, v[184:185], off
	global_load_dword v179, v[176:177], off offset:24
	s_waitcnt vmcnt(1)
	global_store_dword v[176:177], v0, off offset:24
	s_waitcnt vmcnt(0)
	global_store_dword v[184:185], v179, off
.LBB82_140:
	s_or_b32 exec_lo, exec_lo, s2
	v_mov_b32_e32 v184, v178
	v_mov_b32_e32 v0, v178
.LBB82_141:
	s_or_b32 exec_lo, exec_lo, s1
.LBB82_142:
	s_andn2_saveexec_b32 s0, s0
	s_cbranch_execz .LBB82_144
; %bb.143:
	v_mov_b32_e32 v184, 6
	ds_write2_b64 v1, v[138:139], v[140:141] offset0:14 offset1:15
	ds_write2_b64 v1, v[134:135], v[136:137] offset0:16 offset1:17
	ds_write2_b64 v1, v[130:131], v[132:133] offset0:18 offset1:19
	ds_write2_b64 v1, v[126:127], v[128:129] offset0:20 offset1:21
	ds_write2_b64 v1, v[122:123], v[124:125] offset0:22 offset1:23
	ds_write2_b64 v1, v[118:119], v[120:121] offset0:24 offset1:25
	ds_write2_b64 v1, v[114:115], v[116:117] offset0:26 offset1:27
	ds_write2_b64 v1, v[110:111], v[112:113] offset0:28 offset1:29
	ds_write2_b64 v1, v[106:107], v[108:109] offset0:30 offset1:31
	ds_write2_b64 v1, v[102:103], v[104:105] offset0:32 offset1:33
	ds_write2_b64 v1, v[98:99], v[100:101] offset0:34 offset1:35
	ds_write2_b64 v1, v[94:95], v[96:97] offset0:36 offset1:37
	ds_write2_b64 v1, v[90:91], v[92:93] offset0:38 offset1:39
	ds_write2_b64 v1, v[86:87], v[88:89] offset0:40 offset1:41
	ds_write2_b64 v1, v[82:83], v[84:85] offset0:42 offset1:43
	ds_write2_b64 v1, v[78:79], v[80:81] offset0:44 offset1:45
	ds_write2_b64 v1, v[74:75], v[76:77] offset0:46 offset1:47
	ds_write2_b64 v1, v[70:71], v[72:73] offset0:48 offset1:49
	ds_write2_b64 v1, v[66:67], v[68:69] offset0:50 offset1:51
	ds_write2_b64 v1, v[62:63], v[64:65] offset0:52 offset1:53
	ds_write2_b64 v1, v[58:59], v[60:61] offset0:54 offset1:55
	ds_write2_b64 v1, v[54:55], v[56:57] offset0:56 offset1:57
	ds_write2_b64 v1, v[50:51], v[52:53] offset0:58 offset1:59
	ds_write2_b64 v1, v[46:47], v[48:49] offset0:60 offset1:61
	ds_write2_b64 v1, v[42:43], v[44:45] offset0:62 offset1:63
	ds_write2_b64 v1, v[38:39], v[40:41] offset0:64 offset1:65
	ds_write2_b64 v1, v[34:35], v[36:37] offset0:66 offset1:67
	ds_write2_b64 v1, v[30:31], v[32:33] offset0:68 offset1:69
	ds_write2_b64 v1, v[26:27], v[28:29] offset0:70 offset1:71
	ds_write2_b64 v1, v[22:23], v[24:25] offset0:72 offset1:73
	ds_write2_b64 v1, v[18:19], v[20:21] offset0:74 offset1:75
	ds_write2_b64 v1, v[14:15], v[16:17] offset0:76 offset1:77
	ds_write2_b64 v1, v[10:11], v[12:13] offset0:78 offset1:79
	ds_write2_b64 v1, v[6:7], v[8:9] offset0:80 offset1:81
	ds_write2_b64 v1, v[2:3], v[4:5] offset0:82 offset1:83
.LBB82_144:
	s_or_b32 exec_lo, exec_lo, s0
	s_mov_b32 s0, exec_lo
	s_waitcnt lgkmcnt(0)
	s_waitcnt_vscnt null, 0x0
	s_barrier
	buffer_gl0_inv
	v_cmpx_lt_i32_e32 6, v184
	s_cbranch_execz .LBB82_146
; %bb.145:
	v_mul_f64 v[178:179], v[172:173], v[144:145]
	v_mul_f64 v[144:145], v[170:171], v[144:145]
	v_fma_f64 v[178:179], v[170:171], v[142:143], -v[178:179]
	v_fma_f64 v[144:145], v[172:173], v[142:143], v[144:145]
	ds_read2_b64 v[170:173], v1 offset0:14 offset1:15
	s_waitcnt lgkmcnt(0)
	v_mul_f64 v[142:143], v[172:173], v[144:145]
	v_fma_f64 v[142:143], v[170:171], v[178:179], -v[142:143]
	v_mul_f64 v[170:171], v[170:171], v[144:145]
	v_add_f64 v[138:139], v[138:139], -v[142:143]
	v_fma_f64 v[170:171], v[172:173], v[178:179], v[170:171]
	v_add_f64 v[140:141], v[140:141], -v[170:171]
	ds_read2_b64 v[170:173], v1 offset0:16 offset1:17
	s_waitcnt lgkmcnt(0)
	v_mul_f64 v[142:143], v[172:173], v[144:145]
	v_fma_f64 v[142:143], v[170:171], v[178:179], -v[142:143]
	v_mul_f64 v[170:171], v[170:171], v[144:145]
	v_add_f64 v[134:135], v[134:135], -v[142:143]
	v_fma_f64 v[170:171], v[172:173], v[178:179], v[170:171]
	v_add_f64 v[136:137], v[136:137], -v[170:171]
	;; [unrolled: 8-line block ×34, first 2 shown]
	ds_read2_b64 v[170:173], v1 offset0:82 offset1:83
	s_waitcnt lgkmcnt(0)
	v_mul_f64 v[142:143], v[172:173], v[144:145]
	v_fma_f64 v[142:143], v[170:171], v[178:179], -v[142:143]
	v_mul_f64 v[170:171], v[170:171], v[144:145]
	v_add_f64 v[2:3], v[2:3], -v[142:143]
	v_fma_f64 v[170:171], v[172:173], v[178:179], v[170:171]
	v_mov_b32_e32 v142, v178
	v_mov_b32_e32 v143, v179
	v_add_f64 v[4:5], v[4:5], -v[170:171]
.LBB82_146:
	s_or_b32 exec_lo, exec_lo, s0
	v_lshl_add_u32 v170, v184, 4, v1
	s_barrier
	buffer_gl0_inv
	v_mov_b32_e32 v178, 7
	ds_write2_b64 v170, v[138:139], v[140:141] offset1:1
	s_waitcnt lgkmcnt(0)
	s_barrier
	buffer_gl0_inv
	ds_read2_b64 v[170:173], v1 offset0:14 offset1:15
	s_cmp_lt_i32 s18, 9
	s_cbranch_scc1 .LBB82_149
; %bb.147:
	v_add3_u32 v179, v180, 0, 0x80
	v_mov_b32_e32 v178, 7
	s_mov_b32 s1, 8
	s_inst_prefetch 0x1
	.p2align	6
.LBB82_148:                             ; =>This Inner Loop Header: Depth=1
	s_waitcnt lgkmcnt(0)
	v_cmp_gt_f64_e32 vcc_lo, 0, v[172:173]
	v_cmp_gt_f64_e64 s0, 0, v[170:171]
	ds_read2_b64 v[185:188], v179 offset1:1
	v_xor_b32_e32 v190, 0x80000000, v171
	v_xor_b32_e32 v192, 0x80000000, v173
	v_mov_b32_e32 v189, v170
	v_mov_b32_e32 v191, v172
	v_add_nc_u32_e32 v179, 16, v179
	s_waitcnt lgkmcnt(0)
	v_xor_b32_e32 v194, 0x80000000, v188
	v_cndmask_b32_e64 v190, v171, v190, s0
	v_cndmask_b32_e32 v192, v173, v192, vcc_lo
	v_cmp_gt_f64_e32 vcc_lo, 0, v[187:188]
	v_cmp_gt_f64_e64 s0, 0, v[185:186]
	v_mov_b32_e32 v193, v187
	v_add_f64 v[189:190], v[189:190], v[191:192]
	v_xor_b32_e32 v192, 0x80000000, v186
	v_mov_b32_e32 v191, v185
	v_cndmask_b32_e32 v194, v188, v194, vcc_lo
	v_cndmask_b32_e64 v192, v186, v192, s0
	v_add_f64 v[191:192], v[191:192], v[193:194]
	v_cmp_lt_f64_e32 vcc_lo, v[189:190], v[191:192]
	v_cndmask_b32_e32 v171, v171, v186, vcc_lo
	v_cndmask_b32_e32 v170, v170, v185, vcc_lo
	;; [unrolled: 1-line block ×4, first 2 shown]
	v_cndmask_b32_e64 v178, v178, s1, vcc_lo
	s_add_i32 s1, s1, 1
	s_cmp_lg_u32 s18, s1
	s_cbranch_scc1 .LBB82_148
.LBB82_149:
	s_inst_prefetch 0x2
	s_waitcnt lgkmcnt(0)
	v_cmp_eq_f64_e32 vcc_lo, 0, v[170:171]
	v_cmp_eq_f64_e64 s0, 0, v[172:173]
	s_and_b32 s0, vcc_lo, s0
	s_and_saveexec_b32 s1, s0
	s_xor_b32 s0, exec_lo, s1
; %bb.150:
	v_cmp_ne_u32_e32 vcc_lo, 0, v183
	v_cndmask_b32_e32 v183, 8, v183, vcc_lo
; %bb.151:
	s_andn2_saveexec_b32 s0, s0
	s_cbranch_execz .LBB82_157
; %bb.152:
	v_cmp_ngt_f64_e64 s1, |v[170:171]|, |v[172:173]|
	s_and_saveexec_b32 s2, s1
	s_xor_b32 s1, exec_lo, s2
	s_cbranch_execz .LBB82_154
; %bb.153:
	v_div_scale_f64 v[185:186], null, v[172:173], v[172:173], v[170:171]
	v_div_scale_f64 v[191:192], vcc_lo, v[170:171], v[172:173], v[170:171]
	v_rcp_f64_e32 v[187:188], v[185:186]
	v_fma_f64 v[189:190], -v[185:186], v[187:188], 1.0
	v_fma_f64 v[187:188], v[187:188], v[189:190], v[187:188]
	v_fma_f64 v[189:190], -v[185:186], v[187:188], 1.0
	v_fma_f64 v[187:188], v[187:188], v[189:190], v[187:188]
	v_mul_f64 v[189:190], v[191:192], v[187:188]
	v_fma_f64 v[185:186], -v[185:186], v[189:190], v[191:192]
	v_div_fmas_f64 v[185:186], v[185:186], v[187:188], v[189:190]
	v_div_fixup_f64 v[185:186], v[185:186], v[172:173], v[170:171]
	v_fma_f64 v[170:171], v[170:171], v[185:186], v[172:173]
	v_div_scale_f64 v[172:173], null, v[170:171], v[170:171], 1.0
	v_rcp_f64_e32 v[187:188], v[172:173]
	v_fma_f64 v[189:190], -v[172:173], v[187:188], 1.0
	v_fma_f64 v[187:188], v[187:188], v[189:190], v[187:188]
	v_fma_f64 v[189:190], -v[172:173], v[187:188], 1.0
	v_fma_f64 v[187:188], v[187:188], v[189:190], v[187:188]
	v_div_scale_f64 v[189:190], vcc_lo, 1.0, v[170:171], 1.0
	v_mul_f64 v[191:192], v[189:190], v[187:188]
	v_fma_f64 v[172:173], -v[172:173], v[191:192], v[189:190]
	v_div_fmas_f64 v[172:173], v[172:173], v[187:188], v[191:192]
	v_div_fixup_f64 v[172:173], v[172:173], v[170:171], 1.0
	v_mul_f64 v[170:171], v[185:186], v[172:173]
	v_xor_b32_e32 v173, 0x80000000, v173
.LBB82_154:
	s_andn2_saveexec_b32 s1, s1
	s_cbranch_execz .LBB82_156
; %bb.155:
	v_div_scale_f64 v[185:186], null, v[170:171], v[170:171], v[172:173]
	v_div_scale_f64 v[191:192], vcc_lo, v[172:173], v[170:171], v[172:173]
	v_rcp_f64_e32 v[187:188], v[185:186]
	v_fma_f64 v[189:190], -v[185:186], v[187:188], 1.0
	v_fma_f64 v[187:188], v[187:188], v[189:190], v[187:188]
	v_fma_f64 v[189:190], -v[185:186], v[187:188], 1.0
	v_fma_f64 v[187:188], v[187:188], v[189:190], v[187:188]
	v_mul_f64 v[189:190], v[191:192], v[187:188]
	v_fma_f64 v[185:186], -v[185:186], v[189:190], v[191:192]
	v_div_fmas_f64 v[185:186], v[185:186], v[187:188], v[189:190]
	v_div_fixup_f64 v[185:186], v[185:186], v[170:171], v[172:173]
	v_fma_f64 v[170:171], v[172:173], v[185:186], v[170:171]
	v_div_scale_f64 v[172:173], null, v[170:171], v[170:171], 1.0
	v_rcp_f64_e32 v[187:188], v[172:173]
	v_fma_f64 v[189:190], -v[172:173], v[187:188], 1.0
	v_fma_f64 v[187:188], v[187:188], v[189:190], v[187:188]
	v_fma_f64 v[189:190], -v[172:173], v[187:188], 1.0
	v_fma_f64 v[187:188], v[187:188], v[189:190], v[187:188]
	v_div_scale_f64 v[189:190], vcc_lo, 1.0, v[170:171], 1.0
	v_mul_f64 v[191:192], v[189:190], v[187:188]
	v_fma_f64 v[172:173], -v[172:173], v[191:192], v[189:190]
	v_div_fmas_f64 v[172:173], v[172:173], v[187:188], v[191:192]
	v_div_fixup_f64 v[170:171], v[172:173], v[170:171], 1.0
	v_mul_f64 v[172:173], v[185:186], -v[170:171]
.LBB82_156:
	s_or_b32 exec_lo, exec_lo, s1
.LBB82_157:
	s_or_b32 exec_lo, exec_lo, s0
	s_mov_b32 s0, exec_lo
	v_cmpx_ne_u32_e64 v184, v178
	s_xor_b32 s0, exec_lo, s0
	s_cbranch_execz .LBB82_163
; %bb.158:
	s_mov_b32 s1, exec_lo
	v_cmpx_eq_u32_e32 7, v184
	s_cbranch_execz .LBB82_162
; %bb.159:
	v_cmp_ne_u32_e32 vcc_lo, 7, v178
	s_xor_b32 s2, s16, -1
	s_and_b32 s3, s2, vcc_lo
	s_and_saveexec_b32 s2, s3
	s_cbranch_execz .LBB82_161
; %bb.160:
	v_ashrrev_i32_e32 v179, 31, v178
	v_lshlrev_b64 v[184:185], 2, v[178:179]
	v_add_co_u32 v184, vcc_lo, v176, v184
	v_add_co_ci_u32_e64 v185, null, v177, v185, vcc_lo
	s_clause 0x1
	global_load_dword v0, v[184:185], off
	global_load_dword v179, v[176:177], off offset:28
	s_waitcnt vmcnt(1)
	global_store_dword v[176:177], v0, off offset:28
	s_waitcnt vmcnt(0)
	global_store_dword v[184:185], v179, off
.LBB82_161:
	s_or_b32 exec_lo, exec_lo, s2
	v_mov_b32_e32 v184, v178
	v_mov_b32_e32 v0, v178
.LBB82_162:
	s_or_b32 exec_lo, exec_lo, s1
.LBB82_163:
	s_andn2_saveexec_b32 s0, s0
	s_cbranch_execz .LBB82_165
; %bb.164:
	v_mov_b32_e32 v184, 7
	ds_write2_b64 v1, v[134:135], v[136:137] offset0:16 offset1:17
	ds_write2_b64 v1, v[130:131], v[132:133] offset0:18 offset1:19
	;; [unrolled: 1-line block ×34, first 2 shown]
.LBB82_165:
	s_or_b32 exec_lo, exec_lo, s0
	s_mov_b32 s0, exec_lo
	s_waitcnt lgkmcnt(0)
	s_waitcnt_vscnt null, 0x0
	s_barrier
	buffer_gl0_inv
	v_cmpx_lt_i32_e32 7, v184
	s_cbranch_execz .LBB82_167
; %bb.166:
	v_mul_f64 v[178:179], v[172:173], v[140:141]
	v_mul_f64 v[140:141], v[170:171], v[140:141]
	v_fma_f64 v[178:179], v[170:171], v[138:139], -v[178:179]
	v_fma_f64 v[140:141], v[172:173], v[138:139], v[140:141]
	ds_read2_b64 v[170:173], v1 offset0:16 offset1:17
	s_waitcnt lgkmcnt(0)
	v_mul_f64 v[138:139], v[172:173], v[140:141]
	v_fma_f64 v[138:139], v[170:171], v[178:179], -v[138:139]
	v_mul_f64 v[170:171], v[170:171], v[140:141]
	v_add_f64 v[134:135], v[134:135], -v[138:139]
	v_fma_f64 v[170:171], v[172:173], v[178:179], v[170:171]
	v_add_f64 v[136:137], v[136:137], -v[170:171]
	ds_read2_b64 v[170:173], v1 offset0:18 offset1:19
	s_waitcnt lgkmcnt(0)
	v_mul_f64 v[138:139], v[172:173], v[140:141]
	v_fma_f64 v[138:139], v[170:171], v[178:179], -v[138:139]
	v_mul_f64 v[170:171], v[170:171], v[140:141]
	v_add_f64 v[130:131], v[130:131], -v[138:139]
	v_fma_f64 v[170:171], v[172:173], v[178:179], v[170:171]
	v_add_f64 v[132:133], v[132:133], -v[170:171]
	;; [unrolled: 8-line block ×33, first 2 shown]
	ds_read2_b64 v[170:173], v1 offset0:82 offset1:83
	s_waitcnt lgkmcnt(0)
	v_mul_f64 v[138:139], v[172:173], v[140:141]
	v_fma_f64 v[138:139], v[170:171], v[178:179], -v[138:139]
	v_mul_f64 v[170:171], v[170:171], v[140:141]
	v_add_f64 v[2:3], v[2:3], -v[138:139]
	v_fma_f64 v[170:171], v[172:173], v[178:179], v[170:171]
	v_mov_b32_e32 v138, v178
	v_mov_b32_e32 v139, v179
	v_add_f64 v[4:5], v[4:5], -v[170:171]
.LBB82_167:
	s_or_b32 exec_lo, exec_lo, s0
	v_lshl_add_u32 v170, v184, 4, v1
	s_barrier
	buffer_gl0_inv
	v_mov_b32_e32 v178, 8
	ds_write2_b64 v170, v[134:135], v[136:137] offset1:1
	s_waitcnt lgkmcnt(0)
	s_barrier
	buffer_gl0_inv
	ds_read2_b64 v[170:173], v1 offset0:16 offset1:17
	s_cmp_lt_i32 s18, 10
	s_cbranch_scc1 .LBB82_170
; %bb.168:
	v_add3_u32 v179, v180, 0, 0x90
	v_mov_b32_e32 v178, 8
	s_mov_b32 s1, 9
	s_inst_prefetch 0x1
	.p2align	6
.LBB82_169:                             ; =>This Inner Loop Header: Depth=1
	s_waitcnt lgkmcnt(0)
	v_cmp_gt_f64_e32 vcc_lo, 0, v[172:173]
	v_cmp_gt_f64_e64 s0, 0, v[170:171]
	ds_read2_b64 v[185:188], v179 offset1:1
	v_xor_b32_e32 v190, 0x80000000, v171
	v_xor_b32_e32 v192, 0x80000000, v173
	v_mov_b32_e32 v189, v170
	v_mov_b32_e32 v191, v172
	v_add_nc_u32_e32 v179, 16, v179
	s_waitcnt lgkmcnt(0)
	v_xor_b32_e32 v194, 0x80000000, v188
	v_cndmask_b32_e64 v190, v171, v190, s0
	v_cndmask_b32_e32 v192, v173, v192, vcc_lo
	v_cmp_gt_f64_e32 vcc_lo, 0, v[187:188]
	v_cmp_gt_f64_e64 s0, 0, v[185:186]
	v_mov_b32_e32 v193, v187
	v_add_f64 v[189:190], v[189:190], v[191:192]
	v_xor_b32_e32 v192, 0x80000000, v186
	v_mov_b32_e32 v191, v185
	v_cndmask_b32_e32 v194, v188, v194, vcc_lo
	v_cndmask_b32_e64 v192, v186, v192, s0
	v_add_f64 v[191:192], v[191:192], v[193:194]
	v_cmp_lt_f64_e32 vcc_lo, v[189:190], v[191:192]
	v_cndmask_b32_e32 v171, v171, v186, vcc_lo
	v_cndmask_b32_e32 v170, v170, v185, vcc_lo
	;; [unrolled: 1-line block ×4, first 2 shown]
	v_cndmask_b32_e64 v178, v178, s1, vcc_lo
	s_add_i32 s1, s1, 1
	s_cmp_lg_u32 s18, s1
	s_cbranch_scc1 .LBB82_169
.LBB82_170:
	s_inst_prefetch 0x2
	s_waitcnt lgkmcnt(0)
	v_cmp_eq_f64_e32 vcc_lo, 0, v[170:171]
	v_cmp_eq_f64_e64 s0, 0, v[172:173]
	s_and_b32 s0, vcc_lo, s0
	s_and_saveexec_b32 s1, s0
	s_xor_b32 s0, exec_lo, s1
; %bb.171:
	v_cmp_ne_u32_e32 vcc_lo, 0, v183
	v_cndmask_b32_e32 v183, 9, v183, vcc_lo
; %bb.172:
	s_andn2_saveexec_b32 s0, s0
	s_cbranch_execz .LBB82_178
; %bb.173:
	v_cmp_ngt_f64_e64 s1, |v[170:171]|, |v[172:173]|
	s_and_saveexec_b32 s2, s1
	s_xor_b32 s1, exec_lo, s2
	s_cbranch_execz .LBB82_175
; %bb.174:
	v_div_scale_f64 v[185:186], null, v[172:173], v[172:173], v[170:171]
	v_div_scale_f64 v[191:192], vcc_lo, v[170:171], v[172:173], v[170:171]
	v_rcp_f64_e32 v[187:188], v[185:186]
	v_fma_f64 v[189:190], -v[185:186], v[187:188], 1.0
	v_fma_f64 v[187:188], v[187:188], v[189:190], v[187:188]
	v_fma_f64 v[189:190], -v[185:186], v[187:188], 1.0
	v_fma_f64 v[187:188], v[187:188], v[189:190], v[187:188]
	v_mul_f64 v[189:190], v[191:192], v[187:188]
	v_fma_f64 v[185:186], -v[185:186], v[189:190], v[191:192]
	v_div_fmas_f64 v[185:186], v[185:186], v[187:188], v[189:190]
	v_div_fixup_f64 v[185:186], v[185:186], v[172:173], v[170:171]
	v_fma_f64 v[170:171], v[170:171], v[185:186], v[172:173]
	v_div_scale_f64 v[172:173], null, v[170:171], v[170:171], 1.0
	v_rcp_f64_e32 v[187:188], v[172:173]
	v_fma_f64 v[189:190], -v[172:173], v[187:188], 1.0
	v_fma_f64 v[187:188], v[187:188], v[189:190], v[187:188]
	v_fma_f64 v[189:190], -v[172:173], v[187:188], 1.0
	v_fma_f64 v[187:188], v[187:188], v[189:190], v[187:188]
	v_div_scale_f64 v[189:190], vcc_lo, 1.0, v[170:171], 1.0
	v_mul_f64 v[191:192], v[189:190], v[187:188]
	v_fma_f64 v[172:173], -v[172:173], v[191:192], v[189:190]
	v_div_fmas_f64 v[172:173], v[172:173], v[187:188], v[191:192]
	v_div_fixup_f64 v[172:173], v[172:173], v[170:171], 1.0
	v_mul_f64 v[170:171], v[185:186], v[172:173]
	v_xor_b32_e32 v173, 0x80000000, v173
.LBB82_175:
	s_andn2_saveexec_b32 s1, s1
	s_cbranch_execz .LBB82_177
; %bb.176:
	v_div_scale_f64 v[185:186], null, v[170:171], v[170:171], v[172:173]
	v_div_scale_f64 v[191:192], vcc_lo, v[172:173], v[170:171], v[172:173]
	v_rcp_f64_e32 v[187:188], v[185:186]
	v_fma_f64 v[189:190], -v[185:186], v[187:188], 1.0
	v_fma_f64 v[187:188], v[187:188], v[189:190], v[187:188]
	v_fma_f64 v[189:190], -v[185:186], v[187:188], 1.0
	v_fma_f64 v[187:188], v[187:188], v[189:190], v[187:188]
	v_mul_f64 v[189:190], v[191:192], v[187:188]
	v_fma_f64 v[185:186], -v[185:186], v[189:190], v[191:192]
	v_div_fmas_f64 v[185:186], v[185:186], v[187:188], v[189:190]
	v_div_fixup_f64 v[185:186], v[185:186], v[170:171], v[172:173]
	v_fma_f64 v[170:171], v[172:173], v[185:186], v[170:171]
	v_div_scale_f64 v[172:173], null, v[170:171], v[170:171], 1.0
	v_rcp_f64_e32 v[187:188], v[172:173]
	v_fma_f64 v[189:190], -v[172:173], v[187:188], 1.0
	v_fma_f64 v[187:188], v[187:188], v[189:190], v[187:188]
	v_fma_f64 v[189:190], -v[172:173], v[187:188], 1.0
	v_fma_f64 v[187:188], v[187:188], v[189:190], v[187:188]
	v_div_scale_f64 v[189:190], vcc_lo, 1.0, v[170:171], 1.0
	v_mul_f64 v[191:192], v[189:190], v[187:188]
	v_fma_f64 v[172:173], -v[172:173], v[191:192], v[189:190]
	v_div_fmas_f64 v[172:173], v[172:173], v[187:188], v[191:192]
	v_div_fixup_f64 v[170:171], v[172:173], v[170:171], 1.0
	v_mul_f64 v[172:173], v[185:186], -v[170:171]
.LBB82_177:
	s_or_b32 exec_lo, exec_lo, s1
.LBB82_178:
	s_or_b32 exec_lo, exec_lo, s0
	s_mov_b32 s0, exec_lo
	v_cmpx_ne_u32_e64 v184, v178
	s_xor_b32 s0, exec_lo, s0
	s_cbranch_execz .LBB82_184
; %bb.179:
	s_mov_b32 s1, exec_lo
	v_cmpx_eq_u32_e32 8, v184
	s_cbranch_execz .LBB82_183
; %bb.180:
	v_cmp_ne_u32_e32 vcc_lo, 8, v178
	s_xor_b32 s2, s16, -1
	s_and_b32 s3, s2, vcc_lo
	s_and_saveexec_b32 s2, s3
	s_cbranch_execz .LBB82_182
; %bb.181:
	v_ashrrev_i32_e32 v179, 31, v178
	v_lshlrev_b64 v[184:185], 2, v[178:179]
	v_add_co_u32 v184, vcc_lo, v176, v184
	v_add_co_ci_u32_e64 v185, null, v177, v185, vcc_lo
	s_clause 0x1
	global_load_dword v0, v[184:185], off
	global_load_dword v179, v[176:177], off offset:32
	s_waitcnt vmcnt(1)
	global_store_dword v[176:177], v0, off offset:32
	s_waitcnt vmcnt(0)
	global_store_dword v[184:185], v179, off
.LBB82_182:
	s_or_b32 exec_lo, exec_lo, s2
	v_mov_b32_e32 v184, v178
	v_mov_b32_e32 v0, v178
.LBB82_183:
	s_or_b32 exec_lo, exec_lo, s1
.LBB82_184:
	s_andn2_saveexec_b32 s0, s0
	s_cbranch_execz .LBB82_186
; %bb.185:
	v_mov_b32_e32 v184, 8
	ds_write2_b64 v1, v[130:131], v[132:133] offset0:18 offset1:19
	ds_write2_b64 v1, v[126:127], v[128:129] offset0:20 offset1:21
	;; [unrolled: 1-line block ×33, first 2 shown]
.LBB82_186:
	s_or_b32 exec_lo, exec_lo, s0
	s_mov_b32 s0, exec_lo
	s_waitcnt lgkmcnt(0)
	s_waitcnt_vscnt null, 0x0
	s_barrier
	buffer_gl0_inv
	v_cmpx_lt_i32_e32 8, v184
	s_cbranch_execz .LBB82_188
; %bb.187:
	v_mul_f64 v[178:179], v[172:173], v[136:137]
	v_mul_f64 v[136:137], v[170:171], v[136:137]
	v_fma_f64 v[178:179], v[170:171], v[134:135], -v[178:179]
	v_fma_f64 v[136:137], v[172:173], v[134:135], v[136:137]
	ds_read2_b64 v[170:173], v1 offset0:18 offset1:19
	s_waitcnt lgkmcnt(0)
	v_mul_f64 v[134:135], v[172:173], v[136:137]
	v_fma_f64 v[134:135], v[170:171], v[178:179], -v[134:135]
	v_mul_f64 v[170:171], v[170:171], v[136:137]
	v_add_f64 v[130:131], v[130:131], -v[134:135]
	v_fma_f64 v[170:171], v[172:173], v[178:179], v[170:171]
	v_add_f64 v[132:133], v[132:133], -v[170:171]
	ds_read2_b64 v[170:173], v1 offset0:20 offset1:21
	s_waitcnt lgkmcnt(0)
	v_mul_f64 v[134:135], v[172:173], v[136:137]
	v_fma_f64 v[134:135], v[170:171], v[178:179], -v[134:135]
	v_mul_f64 v[170:171], v[170:171], v[136:137]
	v_add_f64 v[126:127], v[126:127], -v[134:135]
	v_fma_f64 v[170:171], v[172:173], v[178:179], v[170:171]
	v_add_f64 v[128:129], v[128:129], -v[170:171]
	;; [unrolled: 8-line block ×32, first 2 shown]
	ds_read2_b64 v[170:173], v1 offset0:82 offset1:83
	s_waitcnt lgkmcnt(0)
	v_mul_f64 v[134:135], v[172:173], v[136:137]
	v_fma_f64 v[134:135], v[170:171], v[178:179], -v[134:135]
	v_mul_f64 v[170:171], v[170:171], v[136:137]
	v_add_f64 v[2:3], v[2:3], -v[134:135]
	v_fma_f64 v[170:171], v[172:173], v[178:179], v[170:171]
	v_mov_b32_e32 v134, v178
	v_mov_b32_e32 v135, v179
	v_add_f64 v[4:5], v[4:5], -v[170:171]
.LBB82_188:
	s_or_b32 exec_lo, exec_lo, s0
	v_lshl_add_u32 v170, v184, 4, v1
	s_barrier
	buffer_gl0_inv
	v_mov_b32_e32 v178, 9
	ds_write2_b64 v170, v[130:131], v[132:133] offset1:1
	s_waitcnt lgkmcnt(0)
	s_barrier
	buffer_gl0_inv
	ds_read2_b64 v[170:173], v1 offset0:18 offset1:19
	s_cmp_lt_i32 s18, 11
	s_cbranch_scc1 .LBB82_191
; %bb.189:
	v_add3_u32 v179, v180, 0, 0xa0
	v_mov_b32_e32 v178, 9
	s_mov_b32 s1, 10
	s_inst_prefetch 0x1
	.p2align	6
.LBB82_190:                             ; =>This Inner Loop Header: Depth=1
	s_waitcnt lgkmcnt(0)
	v_cmp_gt_f64_e32 vcc_lo, 0, v[172:173]
	v_cmp_gt_f64_e64 s0, 0, v[170:171]
	ds_read2_b64 v[185:188], v179 offset1:1
	v_xor_b32_e32 v190, 0x80000000, v171
	v_xor_b32_e32 v192, 0x80000000, v173
	v_mov_b32_e32 v189, v170
	v_mov_b32_e32 v191, v172
	v_add_nc_u32_e32 v179, 16, v179
	s_waitcnt lgkmcnt(0)
	v_xor_b32_e32 v194, 0x80000000, v188
	v_cndmask_b32_e64 v190, v171, v190, s0
	v_cndmask_b32_e32 v192, v173, v192, vcc_lo
	v_cmp_gt_f64_e32 vcc_lo, 0, v[187:188]
	v_cmp_gt_f64_e64 s0, 0, v[185:186]
	v_mov_b32_e32 v193, v187
	v_add_f64 v[189:190], v[189:190], v[191:192]
	v_xor_b32_e32 v192, 0x80000000, v186
	v_mov_b32_e32 v191, v185
	v_cndmask_b32_e32 v194, v188, v194, vcc_lo
	v_cndmask_b32_e64 v192, v186, v192, s0
	v_add_f64 v[191:192], v[191:192], v[193:194]
	v_cmp_lt_f64_e32 vcc_lo, v[189:190], v[191:192]
	v_cndmask_b32_e32 v171, v171, v186, vcc_lo
	v_cndmask_b32_e32 v170, v170, v185, vcc_lo
	;; [unrolled: 1-line block ×4, first 2 shown]
	v_cndmask_b32_e64 v178, v178, s1, vcc_lo
	s_add_i32 s1, s1, 1
	s_cmp_lg_u32 s18, s1
	s_cbranch_scc1 .LBB82_190
.LBB82_191:
	s_inst_prefetch 0x2
	s_waitcnt lgkmcnt(0)
	v_cmp_eq_f64_e32 vcc_lo, 0, v[170:171]
	v_cmp_eq_f64_e64 s0, 0, v[172:173]
	s_and_b32 s0, vcc_lo, s0
	s_and_saveexec_b32 s1, s0
	s_xor_b32 s0, exec_lo, s1
; %bb.192:
	v_cmp_ne_u32_e32 vcc_lo, 0, v183
	v_cndmask_b32_e32 v183, 10, v183, vcc_lo
; %bb.193:
	s_andn2_saveexec_b32 s0, s0
	s_cbranch_execz .LBB82_199
; %bb.194:
	v_cmp_ngt_f64_e64 s1, |v[170:171]|, |v[172:173]|
	s_and_saveexec_b32 s2, s1
	s_xor_b32 s1, exec_lo, s2
	s_cbranch_execz .LBB82_196
; %bb.195:
	v_div_scale_f64 v[185:186], null, v[172:173], v[172:173], v[170:171]
	v_div_scale_f64 v[191:192], vcc_lo, v[170:171], v[172:173], v[170:171]
	v_rcp_f64_e32 v[187:188], v[185:186]
	v_fma_f64 v[189:190], -v[185:186], v[187:188], 1.0
	v_fma_f64 v[187:188], v[187:188], v[189:190], v[187:188]
	v_fma_f64 v[189:190], -v[185:186], v[187:188], 1.0
	v_fma_f64 v[187:188], v[187:188], v[189:190], v[187:188]
	v_mul_f64 v[189:190], v[191:192], v[187:188]
	v_fma_f64 v[185:186], -v[185:186], v[189:190], v[191:192]
	v_div_fmas_f64 v[185:186], v[185:186], v[187:188], v[189:190]
	v_div_fixup_f64 v[185:186], v[185:186], v[172:173], v[170:171]
	v_fma_f64 v[170:171], v[170:171], v[185:186], v[172:173]
	v_div_scale_f64 v[172:173], null, v[170:171], v[170:171], 1.0
	v_rcp_f64_e32 v[187:188], v[172:173]
	v_fma_f64 v[189:190], -v[172:173], v[187:188], 1.0
	v_fma_f64 v[187:188], v[187:188], v[189:190], v[187:188]
	v_fma_f64 v[189:190], -v[172:173], v[187:188], 1.0
	v_fma_f64 v[187:188], v[187:188], v[189:190], v[187:188]
	v_div_scale_f64 v[189:190], vcc_lo, 1.0, v[170:171], 1.0
	v_mul_f64 v[191:192], v[189:190], v[187:188]
	v_fma_f64 v[172:173], -v[172:173], v[191:192], v[189:190]
	v_div_fmas_f64 v[172:173], v[172:173], v[187:188], v[191:192]
	v_div_fixup_f64 v[172:173], v[172:173], v[170:171], 1.0
	v_mul_f64 v[170:171], v[185:186], v[172:173]
	v_xor_b32_e32 v173, 0x80000000, v173
.LBB82_196:
	s_andn2_saveexec_b32 s1, s1
	s_cbranch_execz .LBB82_198
; %bb.197:
	v_div_scale_f64 v[185:186], null, v[170:171], v[170:171], v[172:173]
	v_div_scale_f64 v[191:192], vcc_lo, v[172:173], v[170:171], v[172:173]
	v_rcp_f64_e32 v[187:188], v[185:186]
	v_fma_f64 v[189:190], -v[185:186], v[187:188], 1.0
	v_fma_f64 v[187:188], v[187:188], v[189:190], v[187:188]
	v_fma_f64 v[189:190], -v[185:186], v[187:188], 1.0
	v_fma_f64 v[187:188], v[187:188], v[189:190], v[187:188]
	v_mul_f64 v[189:190], v[191:192], v[187:188]
	v_fma_f64 v[185:186], -v[185:186], v[189:190], v[191:192]
	v_div_fmas_f64 v[185:186], v[185:186], v[187:188], v[189:190]
	v_div_fixup_f64 v[185:186], v[185:186], v[170:171], v[172:173]
	v_fma_f64 v[170:171], v[172:173], v[185:186], v[170:171]
	v_div_scale_f64 v[172:173], null, v[170:171], v[170:171], 1.0
	v_rcp_f64_e32 v[187:188], v[172:173]
	v_fma_f64 v[189:190], -v[172:173], v[187:188], 1.0
	v_fma_f64 v[187:188], v[187:188], v[189:190], v[187:188]
	v_fma_f64 v[189:190], -v[172:173], v[187:188], 1.0
	v_fma_f64 v[187:188], v[187:188], v[189:190], v[187:188]
	v_div_scale_f64 v[189:190], vcc_lo, 1.0, v[170:171], 1.0
	v_mul_f64 v[191:192], v[189:190], v[187:188]
	v_fma_f64 v[172:173], -v[172:173], v[191:192], v[189:190]
	v_div_fmas_f64 v[172:173], v[172:173], v[187:188], v[191:192]
	v_div_fixup_f64 v[170:171], v[172:173], v[170:171], 1.0
	v_mul_f64 v[172:173], v[185:186], -v[170:171]
.LBB82_198:
	s_or_b32 exec_lo, exec_lo, s1
.LBB82_199:
	s_or_b32 exec_lo, exec_lo, s0
	s_mov_b32 s0, exec_lo
	v_cmpx_ne_u32_e64 v184, v178
	s_xor_b32 s0, exec_lo, s0
	s_cbranch_execz .LBB82_205
; %bb.200:
	s_mov_b32 s1, exec_lo
	v_cmpx_eq_u32_e32 9, v184
	s_cbranch_execz .LBB82_204
; %bb.201:
	v_cmp_ne_u32_e32 vcc_lo, 9, v178
	s_xor_b32 s2, s16, -1
	s_and_b32 s3, s2, vcc_lo
	s_and_saveexec_b32 s2, s3
	s_cbranch_execz .LBB82_203
; %bb.202:
	v_ashrrev_i32_e32 v179, 31, v178
	v_lshlrev_b64 v[184:185], 2, v[178:179]
	v_add_co_u32 v184, vcc_lo, v176, v184
	v_add_co_ci_u32_e64 v185, null, v177, v185, vcc_lo
	s_clause 0x1
	global_load_dword v0, v[184:185], off
	global_load_dword v179, v[176:177], off offset:36
	s_waitcnt vmcnt(1)
	global_store_dword v[176:177], v0, off offset:36
	s_waitcnt vmcnt(0)
	global_store_dword v[184:185], v179, off
.LBB82_203:
	s_or_b32 exec_lo, exec_lo, s2
	v_mov_b32_e32 v184, v178
	v_mov_b32_e32 v0, v178
.LBB82_204:
	s_or_b32 exec_lo, exec_lo, s1
.LBB82_205:
	s_andn2_saveexec_b32 s0, s0
	s_cbranch_execz .LBB82_207
; %bb.206:
	v_mov_b32_e32 v184, 9
	ds_write2_b64 v1, v[126:127], v[128:129] offset0:20 offset1:21
	ds_write2_b64 v1, v[122:123], v[124:125] offset0:22 offset1:23
	ds_write2_b64 v1, v[118:119], v[120:121] offset0:24 offset1:25
	ds_write2_b64 v1, v[114:115], v[116:117] offset0:26 offset1:27
	ds_write2_b64 v1, v[110:111], v[112:113] offset0:28 offset1:29
	ds_write2_b64 v1, v[106:107], v[108:109] offset0:30 offset1:31
	ds_write2_b64 v1, v[102:103], v[104:105] offset0:32 offset1:33
	ds_write2_b64 v1, v[98:99], v[100:101] offset0:34 offset1:35
	ds_write2_b64 v1, v[94:95], v[96:97] offset0:36 offset1:37
	ds_write2_b64 v1, v[90:91], v[92:93] offset0:38 offset1:39
	ds_write2_b64 v1, v[86:87], v[88:89] offset0:40 offset1:41
	ds_write2_b64 v1, v[82:83], v[84:85] offset0:42 offset1:43
	ds_write2_b64 v1, v[78:79], v[80:81] offset0:44 offset1:45
	ds_write2_b64 v1, v[74:75], v[76:77] offset0:46 offset1:47
	ds_write2_b64 v1, v[70:71], v[72:73] offset0:48 offset1:49
	ds_write2_b64 v1, v[66:67], v[68:69] offset0:50 offset1:51
	ds_write2_b64 v1, v[62:63], v[64:65] offset0:52 offset1:53
	ds_write2_b64 v1, v[58:59], v[60:61] offset0:54 offset1:55
	ds_write2_b64 v1, v[54:55], v[56:57] offset0:56 offset1:57
	ds_write2_b64 v1, v[50:51], v[52:53] offset0:58 offset1:59
	ds_write2_b64 v1, v[46:47], v[48:49] offset0:60 offset1:61
	ds_write2_b64 v1, v[42:43], v[44:45] offset0:62 offset1:63
	ds_write2_b64 v1, v[38:39], v[40:41] offset0:64 offset1:65
	ds_write2_b64 v1, v[34:35], v[36:37] offset0:66 offset1:67
	ds_write2_b64 v1, v[30:31], v[32:33] offset0:68 offset1:69
	ds_write2_b64 v1, v[26:27], v[28:29] offset0:70 offset1:71
	ds_write2_b64 v1, v[22:23], v[24:25] offset0:72 offset1:73
	ds_write2_b64 v1, v[18:19], v[20:21] offset0:74 offset1:75
	ds_write2_b64 v1, v[14:15], v[16:17] offset0:76 offset1:77
	ds_write2_b64 v1, v[10:11], v[12:13] offset0:78 offset1:79
	ds_write2_b64 v1, v[6:7], v[8:9] offset0:80 offset1:81
	ds_write2_b64 v1, v[2:3], v[4:5] offset0:82 offset1:83
.LBB82_207:
	s_or_b32 exec_lo, exec_lo, s0
	s_mov_b32 s0, exec_lo
	s_waitcnt lgkmcnt(0)
	s_waitcnt_vscnt null, 0x0
	s_barrier
	buffer_gl0_inv
	v_cmpx_lt_i32_e32 9, v184
	s_cbranch_execz .LBB82_209
; %bb.208:
	v_mul_f64 v[178:179], v[172:173], v[132:133]
	v_mul_f64 v[132:133], v[170:171], v[132:133]
	v_fma_f64 v[178:179], v[170:171], v[130:131], -v[178:179]
	v_fma_f64 v[132:133], v[172:173], v[130:131], v[132:133]
	ds_read2_b64 v[170:173], v1 offset0:20 offset1:21
	s_waitcnt lgkmcnt(0)
	v_mul_f64 v[130:131], v[172:173], v[132:133]
	v_fma_f64 v[130:131], v[170:171], v[178:179], -v[130:131]
	v_mul_f64 v[170:171], v[170:171], v[132:133]
	v_add_f64 v[126:127], v[126:127], -v[130:131]
	v_fma_f64 v[170:171], v[172:173], v[178:179], v[170:171]
	v_add_f64 v[128:129], v[128:129], -v[170:171]
	ds_read2_b64 v[170:173], v1 offset0:22 offset1:23
	s_waitcnt lgkmcnt(0)
	v_mul_f64 v[130:131], v[172:173], v[132:133]
	v_fma_f64 v[130:131], v[170:171], v[178:179], -v[130:131]
	v_mul_f64 v[170:171], v[170:171], v[132:133]
	v_add_f64 v[122:123], v[122:123], -v[130:131]
	v_fma_f64 v[170:171], v[172:173], v[178:179], v[170:171]
	v_add_f64 v[124:125], v[124:125], -v[170:171]
	;; [unrolled: 8-line block ×31, first 2 shown]
	ds_read2_b64 v[170:173], v1 offset0:82 offset1:83
	s_waitcnt lgkmcnt(0)
	v_mul_f64 v[130:131], v[172:173], v[132:133]
	v_fma_f64 v[130:131], v[170:171], v[178:179], -v[130:131]
	v_mul_f64 v[170:171], v[170:171], v[132:133]
	v_add_f64 v[2:3], v[2:3], -v[130:131]
	v_fma_f64 v[170:171], v[172:173], v[178:179], v[170:171]
	v_mov_b32_e32 v130, v178
	v_mov_b32_e32 v131, v179
	v_add_f64 v[4:5], v[4:5], -v[170:171]
.LBB82_209:
	s_or_b32 exec_lo, exec_lo, s0
	v_lshl_add_u32 v170, v184, 4, v1
	s_barrier
	buffer_gl0_inv
	v_mov_b32_e32 v178, 10
	ds_write2_b64 v170, v[126:127], v[128:129] offset1:1
	s_waitcnt lgkmcnt(0)
	s_barrier
	buffer_gl0_inv
	ds_read2_b64 v[170:173], v1 offset0:20 offset1:21
	s_cmp_lt_i32 s18, 12
	s_cbranch_scc1 .LBB82_212
; %bb.210:
	v_add3_u32 v179, v180, 0, 0xb0
	v_mov_b32_e32 v178, 10
	s_mov_b32 s1, 11
	s_inst_prefetch 0x1
	.p2align	6
.LBB82_211:                             ; =>This Inner Loop Header: Depth=1
	s_waitcnt lgkmcnt(0)
	v_cmp_gt_f64_e32 vcc_lo, 0, v[172:173]
	v_cmp_gt_f64_e64 s0, 0, v[170:171]
	ds_read2_b64 v[185:188], v179 offset1:1
	v_xor_b32_e32 v190, 0x80000000, v171
	v_xor_b32_e32 v192, 0x80000000, v173
	v_mov_b32_e32 v189, v170
	v_mov_b32_e32 v191, v172
	v_add_nc_u32_e32 v179, 16, v179
	s_waitcnt lgkmcnt(0)
	v_xor_b32_e32 v194, 0x80000000, v188
	v_cndmask_b32_e64 v190, v171, v190, s0
	v_cndmask_b32_e32 v192, v173, v192, vcc_lo
	v_cmp_gt_f64_e32 vcc_lo, 0, v[187:188]
	v_cmp_gt_f64_e64 s0, 0, v[185:186]
	v_mov_b32_e32 v193, v187
	v_add_f64 v[189:190], v[189:190], v[191:192]
	v_xor_b32_e32 v192, 0x80000000, v186
	v_mov_b32_e32 v191, v185
	v_cndmask_b32_e32 v194, v188, v194, vcc_lo
	v_cndmask_b32_e64 v192, v186, v192, s0
	v_add_f64 v[191:192], v[191:192], v[193:194]
	v_cmp_lt_f64_e32 vcc_lo, v[189:190], v[191:192]
	v_cndmask_b32_e32 v171, v171, v186, vcc_lo
	v_cndmask_b32_e32 v170, v170, v185, vcc_lo
	;; [unrolled: 1-line block ×4, first 2 shown]
	v_cndmask_b32_e64 v178, v178, s1, vcc_lo
	s_add_i32 s1, s1, 1
	s_cmp_lg_u32 s18, s1
	s_cbranch_scc1 .LBB82_211
.LBB82_212:
	s_inst_prefetch 0x2
	s_waitcnt lgkmcnt(0)
	v_cmp_eq_f64_e32 vcc_lo, 0, v[170:171]
	v_cmp_eq_f64_e64 s0, 0, v[172:173]
	s_and_b32 s0, vcc_lo, s0
	s_and_saveexec_b32 s1, s0
	s_xor_b32 s0, exec_lo, s1
; %bb.213:
	v_cmp_ne_u32_e32 vcc_lo, 0, v183
	v_cndmask_b32_e32 v183, 11, v183, vcc_lo
; %bb.214:
	s_andn2_saveexec_b32 s0, s0
	s_cbranch_execz .LBB82_220
; %bb.215:
	v_cmp_ngt_f64_e64 s1, |v[170:171]|, |v[172:173]|
	s_and_saveexec_b32 s2, s1
	s_xor_b32 s1, exec_lo, s2
	s_cbranch_execz .LBB82_217
; %bb.216:
	v_div_scale_f64 v[185:186], null, v[172:173], v[172:173], v[170:171]
	v_div_scale_f64 v[191:192], vcc_lo, v[170:171], v[172:173], v[170:171]
	v_rcp_f64_e32 v[187:188], v[185:186]
	v_fma_f64 v[189:190], -v[185:186], v[187:188], 1.0
	v_fma_f64 v[187:188], v[187:188], v[189:190], v[187:188]
	v_fma_f64 v[189:190], -v[185:186], v[187:188], 1.0
	v_fma_f64 v[187:188], v[187:188], v[189:190], v[187:188]
	v_mul_f64 v[189:190], v[191:192], v[187:188]
	v_fma_f64 v[185:186], -v[185:186], v[189:190], v[191:192]
	v_div_fmas_f64 v[185:186], v[185:186], v[187:188], v[189:190]
	v_div_fixup_f64 v[185:186], v[185:186], v[172:173], v[170:171]
	v_fma_f64 v[170:171], v[170:171], v[185:186], v[172:173]
	v_div_scale_f64 v[172:173], null, v[170:171], v[170:171], 1.0
	v_rcp_f64_e32 v[187:188], v[172:173]
	v_fma_f64 v[189:190], -v[172:173], v[187:188], 1.0
	v_fma_f64 v[187:188], v[187:188], v[189:190], v[187:188]
	v_fma_f64 v[189:190], -v[172:173], v[187:188], 1.0
	v_fma_f64 v[187:188], v[187:188], v[189:190], v[187:188]
	v_div_scale_f64 v[189:190], vcc_lo, 1.0, v[170:171], 1.0
	v_mul_f64 v[191:192], v[189:190], v[187:188]
	v_fma_f64 v[172:173], -v[172:173], v[191:192], v[189:190]
	v_div_fmas_f64 v[172:173], v[172:173], v[187:188], v[191:192]
	v_div_fixup_f64 v[172:173], v[172:173], v[170:171], 1.0
	v_mul_f64 v[170:171], v[185:186], v[172:173]
	v_xor_b32_e32 v173, 0x80000000, v173
.LBB82_217:
	s_andn2_saveexec_b32 s1, s1
	s_cbranch_execz .LBB82_219
; %bb.218:
	v_div_scale_f64 v[185:186], null, v[170:171], v[170:171], v[172:173]
	v_div_scale_f64 v[191:192], vcc_lo, v[172:173], v[170:171], v[172:173]
	v_rcp_f64_e32 v[187:188], v[185:186]
	v_fma_f64 v[189:190], -v[185:186], v[187:188], 1.0
	v_fma_f64 v[187:188], v[187:188], v[189:190], v[187:188]
	v_fma_f64 v[189:190], -v[185:186], v[187:188], 1.0
	v_fma_f64 v[187:188], v[187:188], v[189:190], v[187:188]
	v_mul_f64 v[189:190], v[191:192], v[187:188]
	v_fma_f64 v[185:186], -v[185:186], v[189:190], v[191:192]
	v_div_fmas_f64 v[185:186], v[185:186], v[187:188], v[189:190]
	v_div_fixup_f64 v[185:186], v[185:186], v[170:171], v[172:173]
	v_fma_f64 v[170:171], v[172:173], v[185:186], v[170:171]
	v_div_scale_f64 v[172:173], null, v[170:171], v[170:171], 1.0
	v_rcp_f64_e32 v[187:188], v[172:173]
	v_fma_f64 v[189:190], -v[172:173], v[187:188], 1.0
	v_fma_f64 v[187:188], v[187:188], v[189:190], v[187:188]
	v_fma_f64 v[189:190], -v[172:173], v[187:188], 1.0
	v_fma_f64 v[187:188], v[187:188], v[189:190], v[187:188]
	v_div_scale_f64 v[189:190], vcc_lo, 1.0, v[170:171], 1.0
	v_mul_f64 v[191:192], v[189:190], v[187:188]
	v_fma_f64 v[172:173], -v[172:173], v[191:192], v[189:190]
	v_div_fmas_f64 v[172:173], v[172:173], v[187:188], v[191:192]
	v_div_fixup_f64 v[170:171], v[172:173], v[170:171], 1.0
	v_mul_f64 v[172:173], v[185:186], -v[170:171]
.LBB82_219:
	s_or_b32 exec_lo, exec_lo, s1
.LBB82_220:
	s_or_b32 exec_lo, exec_lo, s0
	s_mov_b32 s0, exec_lo
	v_cmpx_ne_u32_e64 v184, v178
	s_xor_b32 s0, exec_lo, s0
	s_cbranch_execz .LBB82_226
; %bb.221:
	s_mov_b32 s1, exec_lo
	v_cmpx_eq_u32_e32 10, v184
	s_cbranch_execz .LBB82_225
; %bb.222:
	v_cmp_ne_u32_e32 vcc_lo, 10, v178
	s_xor_b32 s2, s16, -1
	s_and_b32 s3, s2, vcc_lo
	s_and_saveexec_b32 s2, s3
	s_cbranch_execz .LBB82_224
; %bb.223:
	v_ashrrev_i32_e32 v179, 31, v178
	v_lshlrev_b64 v[184:185], 2, v[178:179]
	v_add_co_u32 v184, vcc_lo, v176, v184
	v_add_co_ci_u32_e64 v185, null, v177, v185, vcc_lo
	s_clause 0x1
	global_load_dword v0, v[184:185], off
	global_load_dword v179, v[176:177], off offset:40
	s_waitcnt vmcnt(1)
	global_store_dword v[176:177], v0, off offset:40
	s_waitcnt vmcnt(0)
	global_store_dword v[184:185], v179, off
.LBB82_224:
	s_or_b32 exec_lo, exec_lo, s2
	v_mov_b32_e32 v184, v178
	v_mov_b32_e32 v0, v178
.LBB82_225:
	s_or_b32 exec_lo, exec_lo, s1
.LBB82_226:
	s_andn2_saveexec_b32 s0, s0
	s_cbranch_execz .LBB82_228
; %bb.227:
	v_mov_b32_e32 v184, 10
	ds_write2_b64 v1, v[122:123], v[124:125] offset0:22 offset1:23
	ds_write2_b64 v1, v[118:119], v[120:121] offset0:24 offset1:25
	ds_write2_b64 v1, v[114:115], v[116:117] offset0:26 offset1:27
	ds_write2_b64 v1, v[110:111], v[112:113] offset0:28 offset1:29
	ds_write2_b64 v1, v[106:107], v[108:109] offset0:30 offset1:31
	ds_write2_b64 v1, v[102:103], v[104:105] offset0:32 offset1:33
	ds_write2_b64 v1, v[98:99], v[100:101] offset0:34 offset1:35
	ds_write2_b64 v1, v[94:95], v[96:97] offset0:36 offset1:37
	ds_write2_b64 v1, v[90:91], v[92:93] offset0:38 offset1:39
	ds_write2_b64 v1, v[86:87], v[88:89] offset0:40 offset1:41
	ds_write2_b64 v1, v[82:83], v[84:85] offset0:42 offset1:43
	ds_write2_b64 v1, v[78:79], v[80:81] offset0:44 offset1:45
	ds_write2_b64 v1, v[74:75], v[76:77] offset0:46 offset1:47
	ds_write2_b64 v1, v[70:71], v[72:73] offset0:48 offset1:49
	ds_write2_b64 v1, v[66:67], v[68:69] offset0:50 offset1:51
	ds_write2_b64 v1, v[62:63], v[64:65] offset0:52 offset1:53
	ds_write2_b64 v1, v[58:59], v[60:61] offset0:54 offset1:55
	ds_write2_b64 v1, v[54:55], v[56:57] offset0:56 offset1:57
	ds_write2_b64 v1, v[50:51], v[52:53] offset0:58 offset1:59
	ds_write2_b64 v1, v[46:47], v[48:49] offset0:60 offset1:61
	ds_write2_b64 v1, v[42:43], v[44:45] offset0:62 offset1:63
	ds_write2_b64 v1, v[38:39], v[40:41] offset0:64 offset1:65
	ds_write2_b64 v1, v[34:35], v[36:37] offset0:66 offset1:67
	ds_write2_b64 v1, v[30:31], v[32:33] offset0:68 offset1:69
	ds_write2_b64 v1, v[26:27], v[28:29] offset0:70 offset1:71
	ds_write2_b64 v1, v[22:23], v[24:25] offset0:72 offset1:73
	ds_write2_b64 v1, v[18:19], v[20:21] offset0:74 offset1:75
	ds_write2_b64 v1, v[14:15], v[16:17] offset0:76 offset1:77
	ds_write2_b64 v1, v[10:11], v[12:13] offset0:78 offset1:79
	ds_write2_b64 v1, v[6:7], v[8:9] offset0:80 offset1:81
	ds_write2_b64 v1, v[2:3], v[4:5] offset0:82 offset1:83
.LBB82_228:
	s_or_b32 exec_lo, exec_lo, s0
	s_mov_b32 s0, exec_lo
	s_waitcnt lgkmcnt(0)
	s_waitcnt_vscnt null, 0x0
	s_barrier
	buffer_gl0_inv
	v_cmpx_lt_i32_e32 10, v184
	s_cbranch_execz .LBB82_230
; %bb.229:
	v_mul_f64 v[178:179], v[172:173], v[128:129]
	v_mul_f64 v[128:129], v[170:171], v[128:129]
	v_fma_f64 v[178:179], v[170:171], v[126:127], -v[178:179]
	v_fma_f64 v[128:129], v[172:173], v[126:127], v[128:129]
	ds_read2_b64 v[170:173], v1 offset0:22 offset1:23
	s_waitcnt lgkmcnt(0)
	v_mul_f64 v[126:127], v[172:173], v[128:129]
	v_fma_f64 v[126:127], v[170:171], v[178:179], -v[126:127]
	v_mul_f64 v[170:171], v[170:171], v[128:129]
	v_add_f64 v[122:123], v[122:123], -v[126:127]
	v_fma_f64 v[170:171], v[172:173], v[178:179], v[170:171]
	v_add_f64 v[124:125], v[124:125], -v[170:171]
	ds_read2_b64 v[170:173], v1 offset0:24 offset1:25
	s_waitcnt lgkmcnt(0)
	v_mul_f64 v[126:127], v[172:173], v[128:129]
	v_fma_f64 v[126:127], v[170:171], v[178:179], -v[126:127]
	v_mul_f64 v[170:171], v[170:171], v[128:129]
	v_add_f64 v[118:119], v[118:119], -v[126:127]
	v_fma_f64 v[170:171], v[172:173], v[178:179], v[170:171]
	v_add_f64 v[120:121], v[120:121], -v[170:171]
	ds_read2_b64 v[170:173], v1 offset0:26 offset1:27
	s_waitcnt lgkmcnt(0)
	v_mul_f64 v[126:127], v[172:173], v[128:129]
	v_fma_f64 v[126:127], v[170:171], v[178:179], -v[126:127]
	v_mul_f64 v[170:171], v[170:171], v[128:129]
	v_add_f64 v[114:115], v[114:115], -v[126:127]
	v_fma_f64 v[170:171], v[172:173], v[178:179], v[170:171]
	v_add_f64 v[116:117], v[116:117], -v[170:171]
	ds_read2_b64 v[170:173], v1 offset0:28 offset1:29
	s_waitcnt lgkmcnt(0)
	v_mul_f64 v[126:127], v[172:173], v[128:129]
	v_fma_f64 v[126:127], v[170:171], v[178:179], -v[126:127]
	v_mul_f64 v[170:171], v[170:171], v[128:129]
	v_add_f64 v[110:111], v[110:111], -v[126:127]
	v_fma_f64 v[170:171], v[172:173], v[178:179], v[170:171]
	v_add_f64 v[112:113], v[112:113], -v[170:171]
	ds_read2_b64 v[170:173], v1 offset0:30 offset1:31
	s_waitcnt lgkmcnt(0)
	v_mul_f64 v[126:127], v[172:173], v[128:129]
	v_fma_f64 v[126:127], v[170:171], v[178:179], -v[126:127]
	v_mul_f64 v[170:171], v[170:171], v[128:129]
	v_add_f64 v[106:107], v[106:107], -v[126:127]
	v_fma_f64 v[170:171], v[172:173], v[178:179], v[170:171]
	v_add_f64 v[108:109], v[108:109], -v[170:171]
	ds_read2_b64 v[170:173], v1 offset0:32 offset1:33
	s_waitcnt lgkmcnt(0)
	v_mul_f64 v[126:127], v[172:173], v[128:129]
	v_fma_f64 v[126:127], v[170:171], v[178:179], -v[126:127]
	v_mul_f64 v[170:171], v[170:171], v[128:129]
	v_add_f64 v[102:103], v[102:103], -v[126:127]
	v_fma_f64 v[170:171], v[172:173], v[178:179], v[170:171]
	v_add_f64 v[104:105], v[104:105], -v[170:171]
	ds_read2_b64 v[170:173], v1 offset0:34 offset1:35
	s_waitcnt lgkmcnt(0)
	v_mul_f64 v[126:127], v[172:173], v[128:129]
	v_fma_f64 v[126:127], v[170:171], v[178:179], -v[126:127]
	v_mul_f64 v[170:171], v[170:171], v[128:129]
	v_add_f64 v[98:99], v[98:99], -v[126:127]
	v_fma_f64 v[170:171], v[172:173], v[178:179], v[170:171]
	v_add_f64 v[100:101], v[100:101], -v[170:171]
	ds_read2_b64 v[170:173], v1 offset0:36 offset1:37
	s_waitcnt lgkmcnt(0)
	v_mul_f64 v[126:127], v[172:173], v[128:129]
	v_fma_f64 v[126:127], v[170:171], v[178:179], -v[126:127]
	v_mul_f64 v[170:171], v[170:171], v[128:129]
	v_add_f64 v[94:95], v[94:95], -v[126:127]
	v_fma_f64 v[170:171], v[172:173], v[178:179], v[170:171]
	v_add_f64 v[96:97], v[96:97], -v[170:171]
	ds_read2_b64 v[170:173], v1 offset0:38 offset1:39
	s_waitcnt lgkmcnt(0)
	v_mul_f64 v[126:127], v[172:173], v[128:129]
	v_fma_f64 v[126:127], v[170:171], v[178:179], -v[126:127]
	v_mul_f64 v[170:171], v[170:171], v[128:129]
	v_add_f64 v[90:91], v[90:91], -v[126:127]
	v_fma_f64 v[170:171], v[172:173], v[178:179], v[170:171]
	v_add_f64 v[92:93], v[92:93], -v[170:171]
	ds_read2_b64 v[170:173], v1 offset0:40 offset1:41
	s_waitcnt lgkmcnt(0)
	v_mul_f64 v[126:127], v[172:173], v[128:129]
	v_fma_f64 v[126:127], v[170:171], v[178:179], -v[126:127]
	v_mul_f64 v[170:171], v[170:171], v[128:129]
	v_add_f64 v[86:87], v[86:87], -v[126:127]
	v_fma_f64 v[170:171], v[172:173], v[178:179], v[170:171]
	v_add_f64 v[88:89], v[88:89], -v[170:171]
	ds_read2_b64 v[170:173], v1 offset0:42 offset1:43
	s_waitcnt lgkmcnt(0)
	v_mul_f64 v[126:127], v[172:173], v[128:129]
	v_fma_f64 v[126:127], v[170:171], v[178:179], -v[126:127]
	v_mul_f64 v[170:171], v[170:171], v[128:129]
	v_add_f64 v[82:83], v[82:83], -v[126:127]
	v_fma_f64 v[170:171], v[172:173], v[178:179], v[170:171]
	v_add_f64 v[84:85], v[84:85], -v[170:171]
	ds_read2_b64 v[170:173], v1 offset0:44 offset1:45
	s_waitcnt lgkmcnt(0)
	v_mul_f64 v[126:127], v[172:173], v[128:129]
	v_fma_f64 v[126:127], v[170:171], v[178:179], -v[126:127]
	v_mul_f64 v[170:171], v[170:171], v[128:129]
	v_add_f64 v[78:79], v[78:79], -v[126:127]
	v_fma_f64 v[170:171], v[172:173], v[178:179], v[170:171]
	v_add_f64 v[80:81], v[80:81], -v[170:171]
	ds_read2_b64 v[170:173], v1 offset0:46 offset1:47
	s_waitcnt lgkmcnt(0)
	v_mul_f64 v[126:127], v[172:173], v[128:129]
	v_fma_f64 v[126:127], v[170:171], v[178:179], -v[126:127]
	v_mul_f64 v[170:171], v[170:171], v[128:129]
	v_add_f64 v[74:75], v[74:75], -v[126:127]
	v_fma_f64 v[170:171], v[172:173], v[178:179], v[170:171]
	v_add_f64 v[76:77], v[76:77], -v[170:171]
	ds_read2_b64 v[170:173], v1 offset0:48 offset1:49
	s_waitcnt lgkmcnt(0)
	v_mul_f64 v[126:127], v[172:173], v[128:129]
	v_fma_f64 v[126:127], v[170:171], v[178:179], -v[126:127]
	v_mul_f64 v[170:171], v[170:171], v[128:129]
	v_add_f64 v[70:71], v[70:71], -v[126:127]
	v_fma_f64 v[170:171], v[172:173], v[178:179], v[170:171]
	v_add_f64 v[72:73], v[72:73], -v[170:171]
	ds_read2_b64 v[170:173], v1 offset0:50 offset1:51
	s_waitcnt lgkmcnt(0)
	v_mul_f64 v[126:127], v[172:173], v[128:129]
	v_fma_f64 v[126:127], v[170:171], v[178:179], -v[126:127]
	v_mul_f64 v[170:171], v[170:171], v[128:129]
	v_add_f64 v[66:67], v[66:67], -v[126:127]
	v_fma_f64 v[170:171], v[172:173], v[178:179], v[170:171]
	v_add_f64 v[68:69], v[68:69], -v[170:171]
	ds_read2_b64 v[170:173], v1 offset0:52 offset1:53
	s_waitcnt lgkmcnt(0)
	v_mul_f64 v[126:127], v[172:173], v[128:129]
	v_fma_f64 v[126:127], v[170:171], v[178:179], -v[126:127]
	v_mul_f64 v[170:171], v[170:171], v[128:129]
	v_add_f64 v[62:63], v[62:63], -v[126:127]
	v_fma_f64 v[170:171], v[172:173], v[178:179], v[170:171]
	v_add_f64 v[64:65], v[64:65], -v[170:171]
	ds_read2_b64 v[170:173], v1 offset0:54 offset1:55
	s_waitcnt lgkmcnt(0)
	v_mul_f64 v[126:127], v[172:173], v[128:129]
	v_fma_f64 v[126:127], v[170:171], v[178:179], -v[126:127]
	v_mul_f64 v[170:171], v[170:171], v[128:129]
	v_add_f64 v[58:59], v[58:59], -v[126:127]
	v_fma_f64 v[170:171], v[172:173], v[178:179], v[170:171]
	v_add_f64 v[60:61], v[60:61], -v[170:171]
	ds_read2_b64 v[170:173], v1 offset0:56 offset1:57
	s_waitcnt lgkmcnt(0)
	v_mul_f64 v[126:127], v[172:173], v[128:129]
	v_fma_f64 v[126:127], v[170:171], v[178:179], -v[126:127]
	v_mul_f64 v[170:171], v[170:171], v[128:129]
	v_add_f64 v[54:55], v[54:55], -v[126:127]
	v_fma_f64 v[170:171], v[172:173], v[178:179], v[170:171]
	v_add_f64 v[56:57], v[56:57], -v[170:171]
	ds_read2_b64 v[170:173], v1 offset0:58 offset1:59
	s_waitcnt lgkmcnt(0)
	v_mul_f64 v[126:127], v[172:173], v[128:129]
	v_fma_f64 v[126:127], v[170:171], v[178:179], -v[126:127]
	v_mul_f64 v[170:171], v[170:171], v[128:129]
	v_add_f64 v[50:51], v[50:51], -v[126:127]
	v_fma_f64 v[170:171], v[172:173], v[178:179], v[170:171]
	v_add_f64 v[52:53], v[52:53], -v[170:171]
	ds_read2_b64 v[170:173], v1 offset0:60 offset1:61
	s_waitcnt lgkmcnt(0)
	v_mul_f64 v[126:127], v[172:173], v[128:129]
	v_fma_f64 v[126:127], v[170:171], v[178:179], -v[126:127]
	v_mul_f64 v[170:171], v[170:171], v[128:129]
	v_add_f64 v[46:47], v[46:47], -v[126:127]
	v_fma_f64 v[170:171], v[172:173], v[178:179], v[170:171]
	v_add_f64 v[48:49], v[48:49], -v[170:171]
	ds_read2_b64 v[170:173], v1 offset0:62 offset1:63
	s_waitcnt lgkmcnt(0)
	v_mul_f64 v[126:127], v[172:173], v[128:129]
	v_fma_f64 v[126:127], v[170:171], v[178:179], -v[126:127]
	v_mul_f64 v[170:171], v[170:171], v[128:129]
	v_add_f64 v[42:43], v[42:43], -v[126:127]
	v_fma_f64 v[170:171], v[172:173], v[178:179], v[170:171]
	v_add_f64 v[44:45], v[44:45], -v[170:171]
	ds_read2_b64 v[170:173], v1 offset0:64 offset1:65
	s_waitcnt lgkmcnt(0)
	v_mul_f64 v[126:127], v[172:173], v[128:129]
	v_fma_f64 v[126:127], v[170:171], v[178:179], -v[126:127]
	v_mul_f64 v[170:171], v[170:171], v[128:129]
	v_add_f64 v[38:39], v[38:39], -v[126:127]
	v_fma_f64 v[170:171], v[172:173], v[178:179], v[170:171]
	v_add_f64 v[40:41], v[40:41], -v[170:171]
	ds_read2_b64 v[170:173], v1 offset0:66 offset1:67
	s_waitcnt lgkmcnt(0)
	v_mul_f64 v[126:127], v[172:173], v[128:129]
	v_fma_f64 v[126:127], v[170:171], v[178:179], -v[126:127]
	v_mul_f64 v[170:171], v[170:171], v[128:129]
	v_add_f64 v[34:35], v[34:35], -v[126:127]
	v_fma_f64 v[170:171], v[172:173], v[178:179], v[170:171]
	v_add_f64 v[36:37], v[36:37], -v[170:171]
	ds_read2_b64 v[170:173], v1 offset0:68 offset1:69
	s_waitcnt lgkmcnt(0)
	v_mul_f64 v[126:127], v[172:173], v[128:129]
	v_fma_f64 v[126:127], v[170:171], v[178:179], -v[126:127]
	v_mul_f64 v[170:171], v[170:171], v[128:129]
	v_add_f64 v[30:31], v[30:31], -v[126:127]
	v_fma_f64 v[170:171], v[172:173], v[178:179], v[170:171]
	v_add_f64 v[32:33], v[32:33], -v[170:171]
	ds_read2_b64 v[170:173], v1 offset0:70 offset1:71
	s_waitcnt lgkmcnt(0)
	v_mul_f64 v[126:127], v[172:173], v[128:129]
	v_fma_f64 v[126:127], v[170:171], v[178:179], -v[126:127]
	v_mul_f64 v[170:171], v[170:171], v[128:129]
	v_add_f64 v[26:27], v[26:27], -v[126:127]
	v_fma_f64 v[170:171], v[172:173], v[178:179], v[170:171]
	v_add_f64 v[28:29], v[28:29], -v[170:171]
	ds_read2_b64 v[170:173], v1 offset0:72 offset1:73
	s_waitcnt lgkmcnt(0)
	v_mul_f64 v[126:127], v[172:173], v[128:129]
	v_fma_f64 v[126:127], v[170:171], v[178:179], -v[126:127]
	v_mul_f64 v[170:171], v[170:171], v[128:129]
	v_add_f64 v[22:23], v[22:23], -v[126:127]
	v_fma_f64 v[170:171], v[172:173], v[178:179], v[170:171]
	v_add_f64 v[24:25], v[24:25], -v[170:171]
	ds_read2_b64 v[170:173], v1 offset0:74 offset1:75
	s_waitcnt lgkmcnt(0)
	v_mul_f64 v[126:127], v[172:173], v[128:129]
	v_fma_f64 v[126:127], v[170:171], v[178:179], -v[126:127]
	v_mul_f64 v[170:171], v[170:171], v[128:129]
	v_add_f64 v[18:19], v[18:19], -v[126:127]
	v_fma_f64 v[170:171], v[172:173], v[178:179], v[170:171]
	v_add_f64 v[20:21], v[20:21], -v[170:171]
	ds_read2_b64 v[170:173], v1 offset0:76 offset1:77
	s_waitcnt lgkmcnt(0)
	v_mul_f64 v[126:127], v[172:173], v[128:129]
	v_fma_f64 v[126:127], v[170:171], v[178:179], -v[126:127]
	v_mul_f64 v[170:171], v[170:171], v[128:129]
	v_add_f64 v[14:15], v[14:15], -v[126:127]
	v_fma_f64 v[170:171], v[172:173], v[178:179], v[170:171]
	v_add_f64 v[16:17], v[16:17], -v[170:171]
	ds_read2_b64 v[170:173], v1 offset0:78 offset1:79
	s_waitcnt lgkmcnt(0)
	v_mul_f64 v[126:127], v[172:173], v[128:129]
	v_fma_f64 v[126:127], v[170:171], v[178:179], -v[126:127]
	v_mul_f64 v[170:171], v[170:171], v[128:129]
	v_add_f64 v[10:11], v[10:11], -v[126:127]
	v_fma_f64 v[170:171], v[172:173], v[178:179], v[170:171]
	v_add_f64 v[12:13], v[12:13], -v[170:171]
	ds_read2_b64 v[170:173], v1 offset0:80 offset1:81
	s_waitcnt lgkmcnt(0)
	v_mul_f64 v[126:127], v[172:173], v[128:129]
	v_fma_f64 v[126:127], v[170:171], v[178:179], -v[126:127]
	v_mul_f64 v[170:171], v[170:171], v[128:129]
	v_add_f64 v[6:7], v[6:7], -v[126:127]
	v_fma_f64 v[170:171], v[172:173], v[178:179], v[170:171]
	v_add_f64 v[8:9], v[8:9], -v[170:171]
	ds_read2_b64 v[170:173], v1 offset0:82 offset1:83
	s_waitcnt lgkmcnt(0)
	v_mul_f64 v[126:127], v[172:173], v[128:129]
	v_fma_f64 v[126:127], v[170:171], v[178:179], -v[126:127]
	v_mul_f64 v[170:171], v[170:171], v[128:129]
	v_add_f64 v[2:3], v[2:3], -v[126:127]
	v_fma_f64 v[170:171], v[172:173], v[178:179], v[170:171]
	v_mov_b32_e32 v126, v178
	v_mov_b32_e32 v127, v179
	v_add_f64 v[4:5], v[4:5], -v[170:171]
.LBB82_230:
	s_or_b32 exec_lo, exec_lo, s0
	v_lshl_add_u32 v170, v184, 4, v1
	s_barrier
	buffer_gl0_inv
	v_mov_b32_e32 v178, 11
	ds_write2_b64 v170, v[122:123], v[124:125] offset1:1
	s_waitcnt lgkmcnt(0)
	s_barrier
	buffer_gl0_inv
	ds_read2_b64 v[170:173], v1 offset0:22 offset1:23
	s_cmp_lt_i32 s18, 13
	s_cbranch_scc1 .LBB82_233
; %bb.231:
	v_add3_u32 v179, v180, 0, 0xc0
	v_mov_b32_e32 v178, 11
	s_mov_b32 s1, 12
	s_inst_prefetch 0x1
	.p2align	6
.LBB82_232:                             ; =>This Inner Loop Header: Depth=1
	s_waitcnt lgkmcnt(0)
	v_cmp_gt_f64_e32 vcc_lo, 0, v[172:173]
	v_cmp_gt_f64_e64 s0, 0, v[170:171]
	ds_read2_b64 v[185:188], v179 offset1:1
	v_xor_b32_e32 v190, 0x80000000, v171
	v_xor_b32_e32 v192, 0x80000000, v173
	v_mov_b32_e32 v189, v170
	v_mov_b32_e32 v191, v172
	v_add_nc_u32_e32 v179, 16, v179
	s_waitcnt lgkmcnt(0)
	v_xor_b32_e32 v194, 0x80000000, v188
	v_cndmask_b32_e64 v190, v171, v190, s0
	v_cndmask_b32_e32 v192, v173, v192, vcc_lo
	v_cmp_gt_f64_e32 vcc_lo, 0, v[187:188]
	v_cmp_gt_f64_e64 s0, 0, v[185:186]
	v_mov_b32_e32 v193, v187
	v_add_f64 v[189:190], v[189:190], v[191:192]
	v_xor_b32_e32 v192, 0x80000000, v186
	v_mov_b32_e32 v191, v185
	v_cndmask_b32_e32 v194, v188, v194, vcc_lo
	v_cndmask_b32_e64 v192, v186, v192, s0
	v_add_f64 v[191:192], v[191:192], v[193:194]
	v_cmp_lt_f64_e32 vcc_lo, v[189:190], v[191:192]
	v_cndmask_b32_e32 v171, v171, v186, vcc_lo
	v_cndmask_b32_e32 v170, v170, v185, vcc_lo
	v_cndmask_b32_e32 v173, v173, v188, vcc_lo
	v_cndmask_b32_e32 v172, v172, v187, vcc_lo
	v_cndmask_b32_e64 v178, v178, s1, vcc_lo
	s_add_i32 s1, s1, 1
	s_cmp_lg_u32 s18, s1
	s_cbranch_scc1 .LBB82_232
.LBB82_233:
	s_inst_prefetch 0x2
	s_waitcnt lgkmcnt(0)
	v_cmp_eq_f64_e32 vcc_lo, 0, v[170:171]
	v_cmp_eq_f64_e64 s0, 0, v[172:173]
	s_and_b32 s0, vcc_lo, s0
	s_and_saveexec_b32 s1, s0
	s_xor_b32 s0, exec_lo, s1
; %bb.234:
	v_cmp_ne_u32_e32 vcc_lo, 0, v183
	v_cndmask_b32_e32 v183, 12, v183, vcc_lo
; %bb.235:
	s_andn2_saveexec_b32 s0, s0
	s_cbranch_execz .LBB82_241
; %bb.236:
	v_cmp_ngt_f64_e64 s1, |v[170:171]|, |v[172:173]|
	s_and_saveexec_b32 s2, s1
	s_xor_b32 s1, exec_lo, s2
	s_cbranch_execz .LBB82_238
; %bb.237:
	v_div_scale_f64 v[185:186], null, v[172:173], v[172:173], v[170:171]
	v_div_scale_f64 v[191:192], vcc_lo, v[170:171], v[172:173], v[170:171]
	v_rcp_f64_e32 v[187:188], v[185:186]
	v_fma_f64 v[189:190], -v[185:186], v[187:188], 1.0
	v_fma_f64 v[187:188], v[187:188], v[189:190], v[187:188]
	v_fma_f64 v[189:190], -v[185:186], v[187:188], 1.0
	v_fma_f64 v[187:188], v[187:188], v[189:190], v[187:188]
	v_mul_f64 v[189:190], v[191:192], v[187:188]
	v_fma_f64 v[185:186], -v[185:186], v[189:190], v[191:192]
	v_div_fmas_f64 v[185:186], v[185:186], v[187:188], v[189:190]
	v_div_fixup_f64 v[185:186], v[185:186], v[172:173], v[170:171]
	v_fma_f64 v[170:171], v[170:171], v[185:186], v[172:173]
	v_div_scale_f64 v[172:173], null, v[170:171], v[170:171], 1.0
	v_rcp_f64_e32 v[187:188], v[172:173]
	v_fma_f64 v[189:190], -v[172:173], v[187:188], 1.0
	v_fma_f64 v[187:188], v[187:188], v[189:190], v[187:188]
	v_fma_f64 v[189:190], -v[172:173], v[187:188], 1.0
	v_fma_f64 v[187:188], v[187:188], v[189:190], v[187:188]
	v_div_scale_f64 v[189:190], vcc_lo, 1.0, v[170:171], 1.0
	v_mul_f64 v[191:192], v[189:190], v[187:188]
	v_fma_f64 v[172:173], -v[172:173], v[191:192], v[189:190]
	v_div_fmas_f64 v[172:173], v[172:173], v[187:188], v[191:192]
	v_div_fixup_f64 v[172:173], v[172:173], v[170:171], 1.0
	v_mul_f64 v[170:171], v[185:186], v[172:173]
	v_xor_b32_e32 v173, 0x80000000, v173
.LBB82_238:
	s_andn2_saveexec_b32 s1, s1
	s_cbranch_execz .LBB82_240
; %bb.239:
	v_div_scale_f64 v[185:186], null, v[170:171], v[170:171], v[172:173]
	v_div_scale_f64 v[191:192], vcc_lo, v[172:173], v[170:171], v[172:173]
	v_rcp_f64_e32 v[187:188], v[185:186]
	v_fma_f64 v[189:190], -v[185:186], v[187:188], 1.0
	v_fma_f64 v[187:188], v[187:188], v[189:190], v[187:188]
	v_fma_f64 v[189:190], -v[185:186], v[187:188], 1.0
	v_fma_f64 v[187:188], v[187:188], v[189:190], v[187:188]
	v_mul_f64 v[189:190], v[191:192], v[187:188]
	v_fma_f64 v[185:186], -v[185:186], v[189:190], v[191:192]
	v_div_fmas_f64 v[185:186], v[185:186], v[187:188], v[189:190]
	v_div_fixup_f64 v[185:186], v[185:186], v[170:171], v[172:173]
	v_fma_f64 v[170:171], v[172:173], v[185:186], v[170:171]
	v_div_scale_f64 v[172:173], null, v[170:171], v[170:171], 1.0
	v_rcp_f64_e32 v[187:188], v[172:173]
	v_fma_f64 v[189:190], -v[172:173], v[187:188], 1.0
	v_fma_f64 v[187:188], v[187:188], v[189:190], v[187:188]
	v_fma_f64 v[189:190], -v[172:173], v[187:188], 1.0
	v_fma_f64 v[187:188], v[187:188], v[189:190], v[187:188]
	v_div_scale_f64 v[189:190], vcc_lo, 1.0, v[170:171], 1.0
	v_mul_f64 v[191:192], v[189:190], v[187:188]
	v_fma_f64 v[172:173], -v[172:173], v[191:192], v[189:190]
	v_div_fmas_f64 v[172:173], v[172:173], v[187:188], v[191:192]
	v_div_fixup_f64 v[170:171], v[172:173], v[170:171], 1.0
	v_mul_f64 v[172:173], v[185:186], -v[170:171]
.LBB82_240:
	s_or_b32 exec_lo, exec_lo, s1
.LBB82_241:
	s_or_b32 exec_lo, exec_lo, s0
	s_mov_b32 s0, exec_lo
	v_cmpx_ne_u32_e64 v184, v178
	s_xor_b32 s0, exec_lo, s0
	s_cbranch_execz .LBB82_247
; %bb.242:
	s_mov_b32 s1, exec_lo
	v_cmpx_eq_u32_e32 11, v184
	s_cbranch_execz .LBB82_246
; %bb.243:
	v_cmp_ne_u32_e32 vcc_lo, 11, v178
	s_xor_b32 s2, s16, -1
	s_and_b32 s3, s2, vcc_lo
	s_and_saveexec_b32 s2, s3
	s_cbranch_execz .LBB82_245
; %bb.244:
	v_ashrrev_i32_e32 v179, 31, v178
	v_lshlrev_b64 v[184:185], 2, v[178:179]
	v_add_co_u32 v184, vcc_lo, v176, v184
	v_add_co_ci_u32_e64 v185, null, v177, v185, vcc_lo
	s_clause 0x1
	global_load_dword v0, v[184:185], off
	global_load_dword v179, v[176:177], off offset:44
	s_waitcnt vmcnt(1)
	global_store_dword v[176:177], v0, off offset:44
	s_waitcnt vmcnt(0)
	global_store_dword v[184:185], v179, off
.LBB82_245:
	s_or_b32 exec_lo, exec_lo, s2
	v_mov_b32_e32 v184, v178
	v_mov_b32_e32 v0, v178
.LBB82_246:
	s_or_b32 exec_lo, exec_lo, s1
.LBB82_247:
	s_andn2_saveexec_b32 s0, s0
	s_cbranch_execz .LBB82_249
; %bb.248:
	v_mov_b32_e32 v184, 11
	ds_write2_b64 v1, v[118:119], v[120:121] offset0:24 offset1:25
	ds_write2_b64 v1, v[114:115], v[116:117] offset0:26 offset1:27
	;; [unrolled: 1-line block ×30, first 2 shown]
.LBB82_249:
	s_or_b32 exec_lo, exec_lo, s0
	s_mov_b32 s0, exec_lo
	s_waitcnt lgkmcnt(0)
	s_waitcnt_vscnt null, 0x0
	s_barrier
	buffer_gl0_inv
	v_cmpx_lt_i32_e32 11, v184
	s_cbranch_execz .LBB82_251
; %bb.250:
	v_mul_f64 v[178:179], v[172:173], v[124:125]
	v_mul_f64 v[124:125], v[170:171], v[124:125]
	v_fma_f64 v[178:179], v[170:171], v[122:123], -v[178:179]
	v_fma_f64 v[124:125], v[172:173], v[122:123], v[124:125]
	ds_read2_b64 v[170:173], v1 offset0:24 offset1:25
	s_waitcnt lgkmcnt(0)
	v_mul_f64 v[122:123], v[172:173], v[124:125]
	v_fma_f64 v[122:123], v[170:171], v[178:179], -v[122:123]
	v_mul_f64 v[170:171], v[170:171], v[124:125]
	v_add_f64 v[118:119], v[118:119], -v[122:123]
	v_fma_f64 v[170:171], v[172:173], v[178:179], v[170:171]
	v_add_f64 v[120:121], v[120:121], -v[170:171]
	ds_read2_b64 v[170:173], v1 offset0:26 offset1:27
	s_waitcnt lgkmcnt(0)
	v_mul_f64 v[122:123], v[172:173], v[124:125]
	v_fma_f64 v[122:123], v[170:171], v[178:179], -v[122:123]
	v_mul_f64 v[170:171], v[170:171], v[124:125]
	v_add_f64 v[114:115], v[114:115], -v[122:123]
	v_fma_f64 v[170:171], v[172:173], v[178:179], v[170:171]
	v_add_f64 v[116:117], v[116:117], -v[170:171]
	;; [unrolled: 8-line block ×29, first 2 shown]
	ds_read2_b64 v[170:173], v1 offset0:82 offset1:83
	s_waitcnt lgkmcnt(0)
	v_mul_f64 v[122:123], v[172:173], v[124:125]
	v_fma_f64 v[122:123], v[170:171], v[178:179], -v[122:123]
	v_mul_f64 v[170:171], v[170:171], v[124:125]
	v_add_f64 v[2:3], v[2:3], -v[122:123]
	v_fma_f64 v[170:171], v[172:173], v[178:179], v[170:171]
	v_mov_b32_e32 v122, v178
	v_mov_b32_e32 v123, v179
	v_add_f64 v[4:5], v[4:5], -v[170:171]
.LBB82_251:
	s_or_b32 exec_lo, exec_lo, s0
	v_lshl_add_u32 v170, v184, 4, v1
	s_barrier
	buffer_gl0_inv
	v_mov_b32_e32 v178, 12
	ds_write2_b64 v170, v[118:119], v[120:121] offset1:1
	s_waitcnt lgkmcnt(0)
	s_barrier
	buffer_gl0_inv
	ds_read2_b64 v[170:173], v1 offset0:24 offset1:25
	s_cmp_lt_i32 s18, 14
	s_cbranch_scc1 .LBB82_254
; %bb.252:
	v_add3_u32 v179, v180, 0, 0xd0
	v_mov_b32_e32 v178, 12
	s_mov_b32 s1, 13
	s_inst_prefetch 0x1
	.p2align	6
.LBB82_253:                             ; =>This Inner Loop Header: Depth=1
	s_waitcnt lgkmcnt(0)
	v_cmp_gt_f64_e32 vcc_lo, 0, v[172:173]
	v_cmp_gt_f64_e64 s0, 0, v[170:171]
	ds_read2_b64 v[185:188], v179 offset1:1
	v_xor_b32_e32 v190, 0x80000000, v171
	v_xor_b32_e32 v192, 0x80000000, v173
	v_mov_b32_e32 v189, v170
	v_mov_b32_e32 v191, v172
	v_add_nc_u32_e32 v179, 16, v179
	s_waitcnt lgkmcnt(0)
	v_xor_b32_e32 v194, 0x80000000, v188
	v_cndmask_b32_e64 v190, v171, v190, s0
	v_cndmask_b32_e32 v192, v173, v192, vcc_lo
	v_cmp_gt_f64_e32 vcc_lo, 0, v[187:188]
	v_cmp_gt_f64_e64 s0, 0, v[185:186]
	v_mov_b32_e32 v193, v187
	v_add_f64 v[189:190], v[189:190], v[191:192]
	v_xor_b32_e32 v192, 0x80000000, v186
	v_mov_b32_e32 v191, v185
	v_cndmask_b32_e32 v194, v188, v194, vcc_lo
	v_cndmask_b32_e64 v192, v186, v192, s0
	v_add_f64 v[191:192], v[191:192], v[193:194]
	v_cmp_lt_f64_e32 vcc_lo, v[189:190], v[191:192]
	v_cndmask_b32_e32 v171, v171, v186, vcc_lo
	v_cndmask_b32_e32 v170, v170, v185, vcc_lo
	;; [unrolled: 1-line block ×4, first 2 shown]
	v_cndmask_b32_e64 v178, v178, s1, vcc_lo
	s_add_i32 s1, s1, 1
	s_cmp_lg_u32 s18, s1
	s_cbranch_scc1 .LBB82_253
.LBB82_254:
	s_inst_prefetch 0x2
	s_waitcnt lgkmcnt(0)
	v_cmp_eq_f64_e32 vcc_lo, 0, v[170:171]
	v_cmp_eq_f64_e64 s0, 0, v[172:173]
	s_and_b32 s0, vcc_lo, s0
	s_and_saveexec_b32 s1, s0
	s_xor_b32 s0, exec_lo, s1
; %bb.255:
	v_cmp_ne_u32_e32 vcc_lo, 0, v183
	v_cndmask_b32_e32 v183, 13, v183, vcc_lo
; %bb.256:
	s_andn2_saveexec_b32 s0, s0
	s_cbranch_execz .LBB82_262
; %bb.257:
	v_cmp_ngt_f64_e64 s1, |v[170:171]|, |v[172:173]|
	s_and_saveexec_b32 s2, s1
	s_xor_b32 s1, exec_lo, s2
	s_cbranch_execz .LBB82_259
; %bb.258:
	v_div_scale_f64 v[185:186], null, v[172:173], v[172:173], v[170:171]
	v_div_scale_f64 v[191:192], vcc_lo, v[170:171], v[172:173], v[170:171]
	v_rcp_f64_e32 v[187:188], v[185:186]
	v_fma_f64 v[189:190], -v[185:186], v[187:188], 1.0
	v_fma_f64 v[187:188], v[187:188], v[189:190], v[187:188]
	v_fma_f64 v[189:190], -v[185:186], v[187:188], 1.0
	v_fma_f64 v[187:188], v[187:188], v[189:190], v[187:188]
	v_mul_f64 v[189:190], v[191:192], v[187:188]
	v_fma_f64 v[185:186], -v[185:186], v[189:190], v[191:192]
	v_div_fmas_f64 v[185:186], v[185:186], v[187:188], v[189:190]
	v_div_fixup_f64 v[185:186], v[185:186], v[172:173], v[170:171]
	v_fma_f64 v[170:171], v[170:171], v[185:186], v[172:173]
	v_div_scale_f64 v[172:173], null, v[170:171], v[170:171], 1.0
	v_rcp_f64_e32 v[187:188], v[172:173]
	v_fma_f64 v[189:190], -v[172:173], v[187:188], 1.0
	v_fma_f64 v[187:188], v[187:188], v[189:190], v[187:188]
	v_fma_f64 v[189:190], -v[172:173], v[187:188], 1.0
	v_fma_f64 v[187:188], v[187:188], v[189:190], v[187:188]
	v_div_scale_f64 v[189:190], vcc_lo, 1.0, v[170:171], 1.0
	v_mul_f64 v[191:192], v[189:190], v[187:188]
	v_fma_f64 v[172:173], -v[172:173], v[191:192], v[189:190]
	v_div_fmas_f64 v[172:173], v[172:173], v[187:188], v[191:192]
	v_div_fixup_f64 v[172:173], v[172:173], v[170:171], 1.0
	v_mul_f64 v[170:171], v[185:186], v[172:173]
	v_xor_b32_e32 v173, 0x80000000, v173
.LBB82_259:
	s_andn2_saveexec_b32 s1, s1
	s_cbranch_execz .LBB82_261
; %bb.260:
	v_div_scale_f64 v[185:186], null, v[170:171], v[170:171], v[172:173]
	v_div_scale_f64 v[191:192], vcc_lo, v[172:173], v[170:171], v[172:173]
	v_rcp_f64_e32 v[187:188], v[185:186]
	v_fma_f64 v[189:190], -v[185:186], v[187:188], 1.0
	v_fma_f64 v[187:188], v[187:188], v[189:190], v[187:188]
	v_fma_f64 v[189:190], -v[185:186], v[187:188], 1.0
	v_fma_f64 v[187:188], v[187:188], v[189:190], v[187:188]
	v_mul_f64 v[189:190], v[191:192], v[187:188]
	v_fma_f64 v[185:186], -v[185:186], v[189:190], v[191:192]
	v_div_fmas_f64 v[185:186], v[185:186], v[187:188], v[189:190]
	v_div_fixup_f64 v[185:186], v[185:186], v[170:171], v[172:173]
	v_fma_f64 v[170:171], v[172:173], v[185:186], v[170:171]
	v_div_scale_f64 v[172:173], null, v[170:171], v[170:171], 1.0
	v_rcp_f64_e32 v[187:188], v[172:173]
	v_fma_f64 v[189:190], -v[172:173], v[187:188], 1.0
	v_fma_f64 v[187:188], v[187:188], v[189:190], v[187:188]
	v_fma_f64 v[189:190], -v[172:173], v[187:188], 1.0
	v_fma_f64 v[187:188], v[187:188], v[189:190], v[187:188]
	v_div_scale_f64 v[189:190], vcc_lo, 1.0, v[170:171], 1.0
	v_mul_f64 v[191:192], v[189:190], v[187:188]
	v_fma_f64 v[172:173], -v[172:173], v[191:192], v[189:190]
	v_div_fmas_f64 v[172:173], v[172:173], v[187:188], v[191:192]
	v_div_fixup_f64 v[170:171], v[172:173], v[170:171], 1.0
	v_mul_f64 v[172:173], v[185:186], -v[170:171]
.LBB82_261:
	s_or_b32 exec_lo, exec_lo, s1
.LBB82_262:
	s_or_b32 exec_lo, exec_lo, s0
	s_mov_b32 s0, exec_lo
	v_cmpx_ne_u32_e64 v184, v178
	s_xor_b32 s0, exec_lo, s0
	s_cbranch_execz .LBB82_268
; %bb.263:
	s_mov_b32 s1, exec_lo
	v_cmpx_eq_u32_e32 12, v184
	s_cbranch_execz .LBB82_267
; %bb.264:
	v_cmp_ne_u32_e32 vcc_lo, 12, v178
	s_xor_b32 s2, s16, -1
	s_and_b32 s3, s2, vcc_lo
	s_and_saveexec_b32 s2, s3
	s_cbranch_execz .LBB82_266
; %bb.265:
	v_ashrrev_i32_e32 v179, 31, v178
	v_lshlrev_b64 v[184:185], 2, v[178:179]
	v_add_co_u32 v184, vcc_lo, v176, v184
	v_add_co_ci_u32_e64 v185, null, v177, v185, vcc_lo
	s_clause 0x1
	global_load_dword v0, v[184:185], off
	global_load_dword v179, v[176:177], off offset:48
	s_waitcnt vmcnt(1)
	global_store_dword v[176:177], v0, off offset:48
	s_waitcnt vmcnt(0)
	global_store_dword v[184:185], v179, off
.LBB82_266:
	s_or_b32 exec_lo, exec_lo, s2
	v_mov_b32_e32 v184, v178
	v_mov_b32_e32 v0, v178
.LBB82_267:
	s_or_b32 exec_lo, exec_lo, s1
.LBB82_268:
	s_andn2_saveexec_b32 s0, s0
	s_cbranch_execz .LBB82_270
; %bb.269:
	v_mov_b32_e32 v184, 12
	ds_write2_b64 v1, v[114:115], v[116:117] offset0:26 offset1:27
	ds_write2_b64 v1, v[110:111], v[112:113] offset0:28 offset1:29
	;; [unrolled: 1-line block ×29, first 2 shown]
.LBB82_270:
	s_or_b32 exec_lo, exec_lo, s0
	s_mov_b32 s0, exec_lo
	s_waitcnt lgkmcnt(0)
	s_waitcnt_vscnt null, 0x0
	s_barrier
	buffer_gl0_inv
	v_cmpx_lt_i32_e32 12, v184
	s_cbranch_execz .LBB82_272
; %bb.271:
	v_mul_f64 v[178:179], v[172:173], v[120:121]
	v_mul_f64 v[120:121], v[170:171], v[120:121]
	v_fma_f64 v[178:179], v[170:171], v[118:119], -v[178:179]
	v_fma_f64 v[120:121], v[172:173], v[118:119], v[120:121]
	ds_read2_b64 v[170:173], v1 offset0:26 offset1:27
	s_waitcnt lgkmcnt(0)
	v_mul_f64 v[118:119], v[172:173], v[120:121]
	v_fma_f64 v[118:119], v[170:171], v[178:179], -v[118:119]
	v_mul_f64 v[170:171], v[170:171], v[120:121]
	v_add_f64 v[114:115], v[114:115], -v[118:119]
	v_fma_f64 v[170:171], v[172:173], v[178:179], v[170:171]
	v_add_f64 v[116:117], v[116:117], -v[170:171]
	ds_read2_b64 v[170:173], v1 offset0:28 offset1:29
	s_waitcnt lgkmcnt(0)
	v_mul_f64 v[118:119], v[172:173], v[120:121]
	v_fma_f64 v[118:119], v[170:171], v[178:179], -v[118:119]
	v_mul_f64 v[170:171], v[170:171], v[120:121]
	v_add_f64 v[110:111], v[110:111], -v[118:119]
	v_fma_f64 v[170:171], v[172:173], v[178:179], v[170:171]
	v_add_f64 v[112:113], v[112:113], -v[170:171]
	;; [unrolled: 8-line block ×28, first 2 shown]
	ds_read2_b64 v[170:173], v1 offset0:82 offset1:83
	s_waitcnt lgkmcnt(0)
	v_mul_f64 v[118:119], v[172:173], v[120:121]
	v_fma_f64 v[118:119], v[170:171], v[178:179], -v[118:119]
	v_mul_f64 v[170:171], v[170:171], v[120:121]
	v_add_f64 v[2:3], v[2:3], -v[118:119]
	v_fma_f64 v[170:171], v[172:173], v[178:179], v[170:171]
	v_mov_b32_e32 v118, v178
	v_mov_b32_e32 v119, v179
	v_add_f64 v[4:5], v[4:5], -v[170:171]
.LBB82_272:
	s_or_b32 exec_lo, exec_lo, s0
	v_lshl_add_u32 v170, v184, 4, v1
	s_barrier
	buffer_gl0_inv
	v_mov_b32_e32 v178, 13
	ds_write2_b64 v170, v[114:115], v[116:117] offset1:1
	s_waitcnt lgkmcnt(0)
	s_barrier
	buffer_gl0_inv
	ds_read2_b64 v[170:173], v1 offset0:26 offset1:27
	s_cmp_lt_i32 s18, 15
	s_cbranch_scc1 .LBB82_275
; %bb.273:
	v_add3_u32 v179, v180, 0, 0xe0
	v_mov_b32_e32 v178, 13
	s_mov_b32 s1, 14
	s_inst_prefetch 0x1
	.p2align	6
.LBB82_274:                             ; =>This Inner Loop Header: Depth=1
	s_waitcnt lgkmcnt(0)
	v_cmp_gt_f64_e32 vcc_lo, 0, v[172:173]
	v_cmp_gt_f64_e64 s0, 0, v[170:171]
	ds_read2_b64 v[185:188], v179 offset1:1
	v_xor_b32_e32 v190, 0x80000000, v171
	v_xor_b32_e32 v192, 0x80000000, v173
	v_mov_b32_e32 v189, v170
	v_mov_b32_e32 v191, v172
	v_add_nc_u32_e32 v179, 16, v179
	s_waitcnt lgkmcnt(0)
	v_xor_b32_e32 v194, 0x80000000, v188
	v_cndmask_b32_e64 v190, v171, v190, s0
	v_cndmask_b32_e32 v192, v173, v192, vcc_lo
	v_cmp_gt_f64_e32 vcc_lo, 0, v[187:188]
	v_cmp_gt_f64_e64 s0, 0, v[185:186]
	v_mov_b32_e32 v193, v187
	v_add_f64 v[189:190], v[189:190], v[191:192]
	v_xor_b32_e32 v192, 0x80000000, v186
	v_mov_b32_e32 v191, v185
	v_cndmask_b32_e32 v194, v188, v194, vcc_lo
	v_cndmask_b32_e64 v192, v186, v192, s0
	v_add_f64 v[191:192], v[191:192], v[193:194]
	v_cmp_lt_f64_e32 vcc_lo, v[189:190], v[191:192]
	v_cndmask_b32_e32 v171, v171, v186, vcc_lo
	v_cndmask_b32_e32 v170, v170, v185, vcc_lo
	;; [unrolled: 1-line block ×4, first 2 shown]
	v_cndmask_b32_e64 v178, v178, s1, vcc_lo
	s_add_i32 s1, s1, 1
	s_cmp_lg_u32 s18, s1
	s_cbranch_scc1 .LBB82_274
.LBB82_275:
	s_inst_prefetch 0x2
	s_waitcnt lgkmcnt(0)
	v_cmp_eq_f64_e32 vcc_lo, 0, v[170:171]
	v_cmp_eq_f64_e64 s0, 0, v[172:173]
	s_and_b32 s0, vcc_lo, s0
	s_and_saveexec_b32 s1, s0
	s_xor_b32 s0, exec_lo, s1
; %bb.276:
	v_cmp_ne_u32_e32 vcc_lo, 0, v183
	v_cndmask_b32_e32 v183, 14, v183, vcc_lo
; %bb.277:
	s_andn2_saveexec_b32 s0, s0
	s_cbranch_execz .LBB82_283
; %bb.278:
	v_cmp_ngt_f64_e64 s1, |v[170:171]|, |v[172:173]|
	s_and_saveexec_b32 s2, s1
	s_xor_b32 s1, exec_lo, s2
	s_cbranch_execz .LBB82_280
; %bb.279:
	v_div_scale_f64 v[185:186], null, v[172:173], v[172:173], v[170:171]
	v_div_scale_f64 v[191:192], vcc_lo, v[170:171], v[172:173], v[170:171]
	v_rcp_f64_e32 v[187:188], v[185:186]
	v_fma_f64 v[189:190], -v[185:186], v[187:188], 1.0
	v_fma_f64 v[187:188], v[187:188], v[189:190], v[187:188]
	v_fma_f64 v[189:190], -v[185:186], v[187:188], 1.0
	v_fma_f64 v[187:188], v[187:188], v[189:190], v[187:188]
	v_mul_f64 v[189:190], v[191:192], v[187:188]
	v_fma_f64 v[185:186], -v[185:186], v[189:190], v[191:192]
	v_div_fmas_f64 v[185:186], v[185:186], v[187:188], v[189:190]
	v_div_fixup_f64 v[185:186], v[185:186], v[172:173], v[170:171]
	v_fma_f64 v[170:171], v[170:171], v[185:186], v[172:173]
	v_div_scale_f64 v[172:173], null, v[170:171], v[170:171], 1.0
	v_rcp_f64_e32 v[187:188], v[172:173]
	v_fma_f64 v[189:190], -v[172:173], v[187:188], 1.0
	v_fma_f64 v[187:188], v[187:188], v[189:190], v[187:188]
	v_fma_f64 v[189:190], -v[172:173], v[187:188], 1.0
	v_fma_f64 v[187:188], v[187:188], v[189:190], v[187:188]
	v_div_scale_f64 v[189:190], vcc_lo, 1.0, v[170:171], 1.0
	v_mul_f64 v[191:192], v[189:190], v[187:188]
	v_fma_f64 v[172:173], -v[172:173], v[191:192], v[189:190]
	v_div_fmas_f64 v[172:173], v[172:173], v[187:188], v[191:192]
	v_div_fixup_f64 v[172:173], v[172:173], v[170:171], 1.0
	v_mul_f64 v[170:171], v[185:186], v[172:173]
	v_xor_b32_e32 v173, 0x80000000, v173
.LBB82_280:
	s_andn2_saveexec_b32 s1, s1
	s_cbranch_execz .LBB82_282
; %bb.281:
	v_div_scale_f64 v[185:186], null, v[170:171], v[170:171], v[172:173]
	v_div_scale_f64 v[191:192], vcc_lo, v[172:173], v[170:171], v[172:173]
	v_rcp_f64_e32 v[187:188], v[185:186]
	v_fma_f64 v[189:190], -v[185:186], v[187:188], 1.0
	v_fma_f64 v[187:188], v[187:188], v[189:190], v[187:188]
	v_fma_f64 v[189:190], -v[185:186], v[187:188], 1.0
	v_fma_f64 v[187:188], v[187:188], v[189:190], v[187:188]
	v_mul_f64 v[189:190], v[191:192], v[187:188]
	v_fma_f64 v[185:186], -v[185:186], v[189:190], v[191:192]
	v_div_fmas_f64 v[185:186], v[185:186], v[187:188], v[189:190]
	v_div_fixup_f64 v[185:186], v[185:186], v[170:171], v[172:173]
	v_fma_f64 v[170:171], v[172:173], v[185:186], v[170:171]
	v_div_scale_f64 v[172:173], null, v[170:171], v[170:171], 1.0
	v_rcp_f64_e32 v[187:188], v[172:173]
	v_fma_f64 v[189:190], -v[172:173], v[187:188], 1.0
	v_fma_f64 v[187:188], v[187:188], v[189:190], v[187:188]
	v_fma_f64 v[189:190], -v[172:173], v[187:188], 1.0
	v_fma_f64 v[187:188], v[187:188], v[189:190], v[187:188]
	v_div_scale_f64 v[189:190], vcc_lo, 1.0, v[170:171], 1.0
	v_mul_f64 v[191:192], v[189:190], v[187:188]
	v_fma_f64 v[172:173], -v[172:173], v[191:192], v[189:190]
	v_div_fmas_f64 v[172:173], v[172:173], v[187:188], v[191:192]
	v_div_fixup_f64 v[170:171], v[172:173], v[170:171], 1.0
	v_mul_f64 v[172:173], v[185:186], -v[170:171]
.LBB82_282:
	s_or_b32 exec_lo, exec_lo, s1
.LBB82_283:
	s_or_b32 exec_lo, exec_lo, s0
	s_mov_b32 s0, exec_lo
	v_cmpx_ne_u32_e64 v184, v178
	s_xor_b32 s0, exec_lo, s0
	s_cbranch_execz .LBB82_289
; %bb.284:
	s_mov_b32 s1, exec_lo
	v_cmpx_eq_u32_e32 13, v184
	s_cbranch_execz .LBB82_288
; %bb.285:
	v_cmp_ne_u32_e32 vcc_lo, 13, v178
	s_xor_b32 s2, s16, -1
	s_and_b32 s3, s2, vcc_lo
	s_and_saveexec_b32 s2, s3
	s_cbranch_execz .LBB82_287
; %bb.286:
	v_ashrrev_i32_e32 v179, 31, v178
	v_lshlrev_b64 v[184:185], 2, v[178:179]
	v_add_co_u32 v184, vcc_lo, v176, v184
	v_add_co_ci_u32_e64 v185, null, v177, v185, vcc_lo
	s_clause 0x1
	global_load_dword v0, v[184:185], off
	global_load_dword v179, v[176:177], off offset:52
	s_waitcnt vmcnt(1)
	global_store_dword v[176:177], v0, off offset:52
	s_waitcnt vmcnt(0)
	global_store_dword v[184:185], v179, off
.LBB82_287:
	s_or_b32 exec_lo, exec_lo, s2
	v_mov_b32_e32 v184, v178
	v_mov_b32_e32 v0, v178
.LBB82_288:
	s_or_b32 exec_lo, exec_lo, s1
.LBB82_289:
	s_andn2_saveexec_b32 s0, s0
	s_cbranch_execz .LBB82_291
; %bb.290:
	v_mov_b32_e32 v184, 13
	ds_write2_b64 v1, v[110:111], v[112:113] offset0:28 offset1:29
	ds_write2_b64 v1, v[106:107], v[108:109] offset0:30 offset1:31
	;; [unrolled: 1-line block ×28, first 2 shown]
.LBB82_291:
	s_or_b32 exec_lo, exec_lo, s0
	s_mov_b32 s0, exec_lo
	s_waitcnt lgkmcnt(0)
	s_waitcnt_vscnt null, 0x0
	s_barrier
	buffer_gl0_inv
	v_cmpx_lt_i32_e32 13, v184
	s_cbranch_execz .LBB82_293
; %bb.292:
	v_mul_f64 v[178:179], v[172:173], v[116:117]
	v_mul_f64 v[116:117], v[170:171], v[116:117]
	v_fma_f64 v[178:179], v[170:171], v[114:115], -v[178:179]
	v_fma_f64 v[116:117], v[172:173], v[114:115], v[116:117]
	ds_read2_b64 v[170:173], v1 offset0:28 offset1:29
	s_waitcnt lgkmcnt(0)
	v_mul_f64 v[114:115], v[172:173], v[116:117]
	v_fma_f64 v[114:115], v[170:171], v[178:179], -v[114:115]
	v_mul_f64 v[170:171], v[170:171], v[116:117]
	v_add_f64 v[110:111], v[110:111], -v[114:115]
	v_fma_f64 v[170:171], v[172:173], v[178:179], v[170:171]
	v_add_f64 v[112:113], v[112:113], -v[170:171]
	ds_read2_b64 v[170:173], v1 offset0:30 offset1:31
	s_waitcnt lgkmcnt(0)
	v_mul_f64 v[114:115], v[172:173], v[116:117]
	v_fma_f64 v[114:115], v[170:171], v[178:179], -v[114:115]
	v_mul_f64 v[170:171], v[170:171], v[116:117]
	v_add_f64 v[106:107], v[106:107], -v[114:115]
	v_fma_f64 v[170:171], v[172:173], v[178:179], v[170:171]
	v_add_f64 v[108:109], v[108:109], -v[170:171]
	;; [unrolled: 8-line block ×27, first 2 shown]
	ds_read2_b64 v[170:173], v1 offset0:82 offset1:83
	s_waitcnt lgkmcnt(0)
	v_mul_f64 v[114:115], v[172:173], v[116:117]
	v_fma_f64 v[114:115], v[170:171], v[178:179], -v[114:115]
	v_mul_f64 v[170:171], v[170:171], v[116:117]
	v_add_f64 v[2:3], v[2:3], -v[114:115]
	v_fma_f64 v[170:171], v[172:173], v[178:179], v[170:171]
	v_mov_b32_e32 v114, v178
	v_mov_b32_e32 v115, v179
	v_add_f64 v[4:5], v[4:5], -v[170:171]
.LBB82_293:
	s_or_b32 exec_lo, exec_lo, s0
	v_lshl_add_u32 v170, v184, 4, v1
	s_barrier
	buffer_gl0_inv
	v_mov_b32_e32 v178, 14
	ds_write2_b64 v170, v[110:111], v[112:113] offset1:1
	s_waitcnt lgkmcnt(0)
	s_barrier
	buffer_gl0_inv
	ds_read2_b64 v[170:173], v1 offset0:28 offset1:29
	s_cmp_lt_i32 s18, 16
	s_cbranch_scc1 .LBB82_296
; %bb.294:
	v_add3_u32 v179, v180, 0, 0xf0
	v_mov_b32_e32 v178, 14
	s_mov_b32 s1, 15
	s_inst_prefetch 0x1
	.p2align	6
.LBB82_295:                             ; =>This Inner Loop Header: Depth=1
	s_waitcnt lgkmcnt(0)
	v_cmp_gt_f64_e32 vcc_lo, 0, v[172:173]
	v_cmp_gt_f64_e64 s0, 0, v[170:171]
	ds_read2_b64 v[185:188], v179 offset1:1
	v_xor_b32_e32 v190, 0x80000000, v171
	v_xor_b32_e32 v192, 0x80000000, v173
	v_mov_b32_e32 v189, v170
	v_mov_b32_e32 v191, v172
	v_add_nc_u32_e32 v179, 16, v179
	s_waitcnt lgkmcnt(0)
	v_xor_b32_e32 v194, 0x80000000, v188
	v_cndmask_b32_e64 v190, v171, v190, s0
	v_cndmask_b32_e32 v192, v173, v192, vcc_lo
	v_cmp_gt_f64_e32 vcc_lo, 0, v[187:188]
	v_cmp_gt_f64_e64 s0, 0, v[185:186]
	v_mov_b32_e32 v193, v187
	v_add_f64 v[189:190], v[189:190], v[191:192]
	v_xor_b32_e32 v192, 0x80000000, v186
	v_mov_b32_e32 v191, v185
	v_cndmask_b32_e32 v194, v188, v194, vcc_lo
	v_cndmask_b32_e64 v192, v186, v192, s0
	v_add_f64 v[191:192], v[191:192], v[193:194]
	v_cmp_lt_f64_e32 vcc_lo, v[189:190], v[191:192]
	v_cndmask_b32_e32 v171, v171, v186, vcc_lo
	v_cndmask_b32_e32 v170, v170, v185, vcc_lo
	v_cndmask_b32_e32 v173, v173, v188, vcc_lo
	v_cndmask_b32_e32 v172, v172, v187, vcc_lo
	v_cndmask_b32_e64 v178, v178, s1, vcc_lo
	s_add_i32 s1, s1, 1
	s_cmp_lg_u32 s18, s1
	s_cbranch_scc1 .LBB82_295
.LBB82_296:
	s_inst_prefetch 0x2
	s_waitcnt lgkmcnt(0)
	v_cmp_eq_f64_e32 vcc_lo, 0, v[170:171]
	v_cmp_eq_f64_e64 s0, 0, v[172:173]
	s_and_b32 s0, vcc_lo, s0
	s_and_saveexec_b32 s1, s0
	s_xor_b32 s0, exec_lo, s1
; %bb.297:
	v_cmp_ne_u32_e32 vcc_lo, 0, v183
	v_cndmask_b32_e32 v183, 15, v183, vcc_lo
; %bb.298:
	s_andn2_saveexec_b32 s0, s0
	s_cbranch_execz .LBB82_304
; %bb.299:
	v_cmp_ngt_f64_e64 s1, |v[170:171]|, |v[172:173]|
	s_and_saveexec_b32 s2, s1
	s_xor_b32 s1, exec_lo, s2
	s_cbranch_execz .LBB82_301
; %bb.300:
	v_div_scale_f64 v[185:186], null, v[172:173], v[172:173], v[170:171]
	v_div_scale_f64 v[191:192], vcc_lo, v[170:171], v[172:173], v[170:171]
	v_rcp_f64_e32 v[187:188], v[185:186]
	v_fma_f64 v[189:190], -v[185:186], v[187:188], 1.0
	v_fma_f64 v[187:188], v[187:188], v[189:190], v[187:188]
	v_fma_f64 v[189:190], -v[185:186], v[187:188], 1.0
	v_fma_f64 v[187:188], v[187:188], v[189:190], v[187:188]
	v_mul_f64 v[189:190], v[191:192], v[187:188]
	v_fma_f64 v[185:186], -v[185:186], v[189:190], v[191:192]
	v_div_fmas_f64 v[185:186], v[185:186], v[187:188], v[189:190]
	v_div_fixup_f64 v[185:186], v[185:186], v[172:173], v[170:171]
	v_fma_f64 v[170:171], v[170:171], v[185:186], v[172:173]
	v_div_scale_f64 v[172:173], null, v[170:171], v[170:171], 1.0
	v_rcp_f64_e32 v[187:188], v[172:173]
	v_fma_f64 v[189:190], -v[172:173], v[187:188], 1.0
	v_fma_f64 v[187:188], v[187:188], v[189:190], v[187:188]
	v_fma_f64 v[189:190], -v[172:173], v[187:188], 1.0
	v_fma_f64 v[187:188], v[187:188], v[189:190], v[187:188]
	v_div_scale_f64 v[189:190], vcc_lo, 1.0, v[170:171], 1.0
	v_mul_f64 v[191:192], v[189:190], v[187:188]
	v_fma_f64 v[172:173], -v[172:173], v[191:192], v[189:190]
	v_div_fmas_f64 v[172:173], v[172:173], v[187:188], v[191:192]
	v_div_fixup_f64 v[172:173], v[172:173], v[170:171], 1.0
	v_mul_f64 v[170:171], v[185:186], v[172:173]
	v_xor_b32_e32 v173, 0x80000000, v173
.LBB82_301:
	s_andn2_saveexec_b32 s1, s1
	s_cbranch_execz .LBB82_303
; %bb.302:
	v_div_scale_f64 v[185:186], null, v[170:171], v[170:171], v[172:173]
	v_div_scale_f64 v[191:192], vcc_lo, v[172:173], v[170:171], v[172:173]
	v_rcp_f64_e32 v[187:188], v[185:186]
	v_fma_f64 v[189:190], -v[185:186], v[187:188], 1.0
	v_fma_f64 v[187:188], v[187:188], v[189:190], v[187:188]
	v_fma_f64 v[189:190], -v[185:186], v[187:188], 1.0
	v_fma_f64 v[187:188], v[187:188], v[189:190], v[187:188]
	v_mul_f64 v[189:190], v[191:192], v[187:188]
	v_fma_f64 v[185:186], -v[185:186], v[189:190], v[191:192]
	v_div_fmas_f64 v[185:186], v[185:186], v[187:188], v[189:190]
	v_div_fixup_f64 v[185:186], v[185:186], v[170:171], v[172:173]
	v_fma_f64 v[170:171], v[172:173], v[185:186], v[170:171]
	v_div_scale_f64 v[172:173], null, v[170:171], v[170:171], 1.0
	v_rcp_f64_e32 v[187:188], v[172:173]
	v_fma_f64 v[189:190], -v[172:173], v[187:188], 1.0
	v_fma_f64 v[187:188], v[187:188], v[189:190], v[187:188]
	v_fma_f64 v[189:190], -v[172:173], v[187:188], 1.0
	v_fma_f64 v[187:188], v[187:188], v[189:190], v[187:188]
	v_div_scale_f64 v[189:190], vcc_lo, 1.0, v[170:171], 1.0
	v_mul_f64 v[191:192], v[189:190], v[187:188]
	v_fma_f64 v[172:173], -v[172:173], v[191:192], v[189:190]
	v_div_fmas_f64 v[172:173], v[172:173], v[187:188], v[191:192]
	v_div_fixup_f64 v[170:171], v[172:173], v[170:171], 1.0
	v_mul_f64 v[172:173], v[185:186], -v[170:171]
.LBB82_303:
	s_or_b32 exec_lo, exec_lo, s1
.LBB82_304:
	s_or_b32 exec_lo, exec_lo, s0
	s_mov_b32 s0, exec_lo
	v_cmpx_ne_u32_e64 v184, v178
	s_xor_b32 s0, exec_lo, s0
	s_cbranch_execz .LBB82_310
; %bb.305:
	s_mov_b32 s1, exec_lo
	v_cmpx_eq_u32_e32 14, v184
	s_cbranch_execz .LBB82_309
; %bb.306:
	v_cmp_ne_u32_e32 vcc_lo, 14, v178
	s_xor_b32 s2, s16, -1
	s_and_b32 s3, s2, vcc_lo
	s_and_saveexec_b32 s2, s3
	s_cbranch_execz .LBB82_308
; %bb.307:
	v_ashrrev_i32_e32 v179, 31, v178
	v_lshlrev_b64 v[184:185], 2, v[178:179]
	v_add_co_u32 v184, vcc_lo, v176, v184
	v_add_co_ci_u32_e64 v185, null, v177, v185, vcc_lo
	s_clause 0x1
	global_load_dword v0, v[184:185], off
	global_load_dword v179, v[176:177], off offset:56
	s_waitcnt vmcnt(1)
	global_store_dword v[176:177], v0, off offset:56
	s_waitcnt vmcnt(0)
	global_store_dword v[184:185], v179, off
.LBB82_308:
	s_or_b32 exec_lo, exec_lo, s2
	v_mov_b32_e32 v184, v178
	v_mov_b32_e32 v0, v178
.LBB82_309:
	s_or_b32 exec_lo, exec_lo, s1
.LBB82_310:
	s_andn2_saveexec_b32 s0, s0
	s_cbranch_execz .LBB82_312
; %bb.311:
	v_mov_b32_e32 v184, 14
	ds_write2_b64 v1, v[106:107], v[108:109] offset0:30 offset1:31
	ds_write2_b64 v1, v[102:103], v[104:105] offset0:32 offset1:33
	;; [unrolled: 1-line block ×27, first 2 shown]
.LBB82_312:
	s_or_b32 exec_lo, exec_lo, s0
	s_mov_b32 s0, exec_lo
	s_waitcnt lgkmcnt(0)
	s_waitcnt_vscnt null, 0x0
	s_barrier
	buffer_gl0_inv
	v_cmpx_lt_i32_e32 14, v184
	s_cbranch_execz .LBB82_314
; %bb.313:
	v_mul_f64 v[178:179], v[172:173], v[112:113]
	v_mul_f64 v[112:113], v[170:171], v[112:113]
	v_fma_f64 v[178:179], v[170:171], v[110:111], -v[178:179]
	v_fma_f64 v[112:113], v[172:173], v[110:111], v[112:113]
	ds_read2_b64 v[170:173], v1 offset0:30 offset1:31
	s_waitcnt lgkmcnt(0)
	v_mul_f64 v[110:111], v[172:173], v[112:113]
	v_fma_f64 v[110:111], v[170:171], v[178:179], -v[110:111]
	v_mul_f64 v[170:171], v[170:171], v[112:113]
	v_add_f64 v[106:107], v[106:107], -v[110:111]
	v_fma_f64 v[170:171], v[172:173], v[178:179], v[170:171]
	v_add_f64 v[108:109], v[108:109], -v[170:171]
	ds_read2_b64 v[170:173], v1 offset0:32 offset1:33
	s_waitcnt lgkmcnt(0)
	v_mul_f64 v[110:111], v[172:173], v[112:113]
	v_fma_f64 v[110:111], v[170:171], v[178:179], -v[110:111]
	v_mul_f64 v[170:171], v[170:171], v[112:113]
	v_add_f64 v[102:103], v[102:103], -v[110:111]
	v_fma_f64 v[170:171], v[172:173], v[178:179], v[170:171]
	v_add_f64 v[104:105], v[104:105], -v[170:171]
	;; [unrolled: 8-line block ×26, first 2 shown]
	ds_read2_b64 v[170:173], v1 offset0:82 offset1:83
	s_waitcnt lgkmcnt(0)
	v_mul_f64 v[110:111], v[172:173], v[112:113]
	v_fma_f64 v[110:111], v[170:171], v[178:179], -v[110:111]
	v_mul_f64 v[170:171], v[170:171], v[112:113]
	v_add_f64 v[2:3], v[2:3], -v[110:111]
	v_fma_f64 v[170:171], v[172:173], v[178:179], v[170:171]
	v_mov_b32_e32 v110, v178
	v_mov_b32_e32 v111, v179
	v_add_f64 v[4:5], v[4:5], -v[170:171]
.LBB82_314:
	s_or_b32 exec_lo, exec_lo, s0
	v_lshl_add_u32 v170, v184, 4, v1
	s_barrier
	buffer_gl0_inv
	v_mov_b32_e32 v178, 15
	ds_write2_b64 v170, v[106:107], v[108:109] offset1:1
	s_waitcnt lgkmcnt(0)
	s_barrier
	buffer_gl0_inv
	ds_read2_b64 v[170:173], v1 offset0:30 offset1:31
	s_cmp_lt_i32 s18, 17
	s_cbranch_scc1 .LBB82_317
; %bb.315:
	v_add3_u32 v179, v180, 0, 0x100
	v_mov_b32_e32 v178, 15
	s_mov_b32 s1, 16
	s_inst_prefetch 0x1
	.p2align	6
.LBB82_316:                             ; =>This Inner Loop Header: Depth=1
	s_waitcnt lgkmcnt(0)
	v_cmp_gt_f64_e32 vcc_lo, 0, v[172:173]
	v_cmp_gt_f64_e64 s0, 0, v[170:171]
	ds_read2_b64 v[185:188], v179 offset1:1
	v_xor_b32_e32 v190, 0x80000000, v171
	v_xor_b32_e32 v192, 0x80000000, v173
	v_mov_b32_e32 v189, v170
	v_mov_b32_e32 v191, v172
	v_add_nc_u32_e32 v179, 16, v179
	s_waitcnt lgkmcnt(0)
	v_xor_b32_e32 v194, 0x80000000, v188
	v_cndmask_b32_e64 v190, v171, v190, s0
	v_cndmask_b32_e32 v192, v173, v192, vcc_lo
	v_cmp_gt_f64_e32 vcc_lo, 0, v[187:188]
	v_cmp_gt_f64_e64 s0, 0, v[185:186]
	v_mov_b32_e32 v193, v187
	v_add_f64 v[189:190], v[189:190], v[191:192]
	v_xor_b32_e32 v192, 0x80000000, v186
	v_mov_b32_e32 v191, v185
	v_cndmask_b32_e32 v194, v188, v194, vcc_lo
	v_cndmask_b32_e64 v192, v186, v192, s0
	v_add_f64 v[191:192], v[191:192], v[193:194]
	v_cmp_lt_f64_e32 vcc_lo, v[189:190], v[191:192]
	v_cndmask_b32_e32 v171, v171, v186, vcc_lo
	v_cndmask_b32_e32 v170, v170, v185, vcc_lo
	;; [unrolled: 1-line block ×4, first 2 shown]
	v_cndmask_b32_e64 v178, v178, s1, vcc_lo
	s_add_i32 s1, s1, 1
	s_cmp_lg_u32 s18, s1
	s_cbranch_scc1 .LBB82_316
.LBB82_317:
	s_inst_prefetch 0x2
	s_waitcnt lgkmcnt(0)
	v_cmp_eq_f64_e32 vcc_lo, 0, v[170:171]
	v_cmp_eq_f64_e64 s0, 0, v[172:173]
	s_and_b32 s0, vcc_lo, s0
	s_and_saveexec_b32 s1, s0
	s_xor_b32 s0, exec_lo, s1
; %bb.318:
	v_cmp_ne_u32_e32 vcc_lo, 0, v183
	v_cndmask_b32_e32 v183, 16, v183, vcc_lo
; %bb.319:
	s_andn2_saveexec_b32 s0, s0
	s_cbranch_execz .LBB82_325
; %bb.320:
	v_cmp_ngt_f64_e64 s1, |v[170:171]|, |v[172:173]|
	s_and_saveexec_b32 s2, s1
	s_xor_b32 s1, exec_lo, s2
	s_cbranch_execz .LBB82_322
; %bb.321:
	v_div_scale_f64 v[185:186], null, v[172:173], v[172:173], v[170:171]
	v_div_scale_f64 v[191:192], vcc_lo, v[170:171], v[172:173], v[170:171]
	v_rcp_f64_e32 v[187:188], v[185:186]
	v_fma_f64 v[189:190], -v[185:186], v[187:188], 1.0
	v_fma_f64 v[187:188], v[187:188], v[189:190], v[187:188]
	v_fma_f64 v[189:190], -v[185:186], v[187:188], 1.0
	v_fma_f64 v[187:188], v[187:188], v[189:190], v[187:188]
	v_mul_f64 v[189:190], v[191:192], v[187:188]
	v_fma_f64 v[185:186], -v[185:186], v[189:190], v[191:192]
	v_div_fmas_f64 v[185:186], v[185:186], v[187:188], v[189:190]
	v_div_fixup_f64 v[185:186], v[185:186], v[172:173], v[170:171]
	v_fma_f64 v[170:171], v[170:171], v[185:186], v[172:173]
	v_div_scale_f64 v[172:173], null, v[170:171], v[170:171], 1.0
	v_rcp_f64_e32 v[187:188], v[172:173]
	v_fma_f64 v[189:190], -v[172:173], v[187:188], 1.0
	v_fma_f64 v[187:188], v[187:188], v[189:190], v[187:188]
	v_fma_f64 v[189:190], -v[172:173], v[187:188], 1.0
	v_fma_f64 v[187:188], v[187:188], v[189:190], v[187:188]
	v_div_scale_f64 v[189:190], vcc_lo, 1.0, v[170:171], 1.0
	v_mul_f64 v[191:192], v[189:190], v[187:188]
	v_fma_f64 v[172:173], -v[172:173], v[191:192], v[189:190]
	v_div_fmas_f64 v[172:173], v[172:173], v[187:188], v[191:192]
	v_div_fixup_f64 v[172:173], v[172:173], v[170:171], 1.0
	v_mul_f64 v[170:171], v[185:186], v[172:173]
	v_xor_b32_e32 v173, 0x80000000, v173
.LBB82_322:
	s_andn2_saveexec_b32 s1, s1
	s_cbranch_execz .LBB82_324
; %bb.323:
	v_div_scale_f64 v[185:186], null, v[170:171], v[170:171], v[172:173]
	v_div_scale_f64 v[191:192], vcc_lo, v[172:173], v[170:171], v[172:173]
	v_rcp_f64_e32 v[187:188], v[185:186]
	v_fma_f64 v[189:190], -v[185:186], v[187:188], 1.0
	v_fma_f64 v[187:188], v[187:188], v[189:190], v[187:188]
	v_fma_f64 v[189:190], -v[185:186], v[187:188], 1.0
	v_fma_f64 v[187:188], v[187:188], v[189:190], v[187:188]
	v_mul_f64 v[189:190], v[191:192], v[187:188]
	v_fma_f64 v[185:186], -v[185:186], v[189:190], v[191:192]
	v_div_fmas_f64 v[185:186], v[185:186], v[187:188], v[189:190]
	v_div_fixup_f64 v[185:186], v[185:186], v[170:171], v[172:173]
	v_fma_f64 v[170:171], v[172:173], v[185:186], v[170:171]
	v_div_scale_f64 v[172:173], null, v[170:171], v[170:171], 1.0
	v_rcp_f64_e32 v[187:188], v[172:173]
	v_fma_f64 v[189:190], -v[172:173], v[187:188], 1.0
	v_fma_f64 v[187:188], v[187:188], v[189:190], v[187:188]
	v_fma_f64 v[189:190], -v[172:173], v[187:188], 1.0
	v_fma_f64 v[187:188], v[187:188], v[189:190], v[187:188]
	v_div_scale_f64 v[189:190], vcc_lo, 1.0, v[170:171], 1.0
	v_mul_f64 v[191:192], v[189:190], v[187:188]
	v_fma_f64 v[172:173], -v[172:173], v[191:192], v[189:190]
	v_div_fmas_f64 v[172:173], v[172:173], v[187:188], v[191:192]
	v_div_fixup_f64 v[170:171], v[172:173], v[170:171], 1.0
	v_mul_f64 v[172:173], v[185:186], -v[170:171]
.LBB82_324:
	s_or_b32 exec_lo, exec_lo, s1
.LBB82_325:
	s_or_b32 exec_lo, exec_lo, s0
	s_mov_b32 s0, exec_lo
	v_cmpx_ne_u32_e64 v184, v178
	s_xor_b32 s0, exec_lo, s0
	s_cbranch_execz .LBB82_331
; %bb.326:
	s_mov_b32 s1, exec_lo
	v_cmpx_eq_u32_e32 15, v184
	s_cbranch_execz .LBB82_330
; %bb.327:
	v_cmp_ne_u32_e32 vcc_lo, 15, v178
	s_xor_b32 s2, s16, -1
	s_and_b32 s3, s2, vcc_lo
	s_and_saveexec_b32 s2, s3
	s_cbranch_execz .LBB82_329
; %bb.328:
	v_ashrrev_i32_e32 v179, 31, v178
	v_lshlrev_b64 v[184:185], 2, v[178:179]
	v_add_co_u32 v184, vcc_lo, v176, v184
	v_add_co_ci_u32_e64 v185, null, v177, v185, vcc_lo
	s_clause 0x1
	global_load_dword v0, v[184:185], off
	global_load_dword v179, v[176:177], off offset:60
	s_waitcnt vmcnt(1)
	global_store_dword v[176:177], v0, off offset:60
	s_waitcnt vmcnt(0)
	global_store_dword v[184:185], v179, off
.LBB82_329:
	s_or_b32 exec_lo, exec_lo, s2
	v_mov_b32_e32 v184, v178
	v_mov_b32_e32 v0, v178
.LBB82_330:
	s_or_b32 exec_lo, exec_lo, s1
.LBB82_331:
	s_andn2_saveexec_b32 s0, s0
	s_cbranch_execz .LBB82_333
; %bb.332:
	v_mov_b32_e32 v184, 15
	ds_write2_b64 v1, v[102:103], v[104:105] offset0:32 offset1:33
	ds_write2_b64 v1, v[98:99], v[100:101] offset0:34 offset1:35
	;; [unrolled: 1-line block ×26, first 2 shown]
.LBB82_333:
	s_or_b32 exec_lo, exec_lo, s0
	s_mov_b32 s0, exec_lo
	s_waitcnt lgkmcnt(0)
	s_waitcnt_vscnt null, 0x0
	s_barrier
	buffer_gl0_inv
	v_cmpx_lt_i32_e32 15, v184
	s_cbranch_execz .LBB82_335
; %bb.334:
	v_mul_f64 v[178:179], v[172:173], v[108:109]
	v_mul_f64 v[108:109], v[170:171], v[108:109]
	v_fma_f64 v[178:179], v[170:171], v[106:107], -v[178:179]
	v_fma_f64 v[108:109], v[172:173], v[106:107], v[108:109]
	ds_read2_b64 v[170:173], v1 offset0:32 offset1:33
	s_waitcnt lgkmcnt(0)
	v_mul_f64 v[106:107], v[172:173], v[108:109]
	v_fma_f64 v[106:107], v[170:171], v[178:179], -v[106:107]
	v_mul_f64 v[170:171], v[170:171], v[108:109]
	v_add_f64 v[102:103], v[102:103], -v[106:107]
	v_fma_f64 v[170:171], v[172:173], v[178:179], v[170:171]
	v_add_f64 v[104:105], v[104:105], -v[170:171]
	ds_read2_b64 v[170:173], v1 offset0:34 offset1:35
	s_waitcnt lgkmcnt(0)
	v_mul_f64 v[106:107], v[172:173], v[108:109]
	v_fma_f64 v[106:107], v[170:171], v[178:179], -v[106:107]
	v_mul_f64 v[170:171], v[170:171], v[108:109]
	v_add_f64 v[98:99], v[98:99], -v[106:107]
	v_fma_f64 v[170:171], v[172:173], v[178:179], v[170:171]
	v_add_f64 v[100:101], v[100:101], -v[170:171]
	;; [unrolled: 8-line block ×25, first 2 shown]
	ds_read2_b64 v[170:173], v1 offset0:82 offset1:83
	s_waitcnt lgkmcnt(0)
	v_mul_f64 v[106:107], v[172:173], v[108:109]
	v_fma_f64 v[106:107], v[170:171], v[178:179], -v[106:107]
	v_mul_f64 v[170:171], v[170:171], v[108:109]
	v_add_f64 v[2:3], v[2:3], -v[106:107]
	v_fma_f64 v[170:171], v[172:173], v[178:179], v[170:171]
	v_mov_b32_e32 v106, v178
	v_mov_b32_e32 v107, v179
	v_add_f64 v[4:5], v[4:5], -v[170:171]
.LBB82_335:
	s_or_b32 exec_lo, exec_lo, s0
	v_lshl_add_u32 v170, v184, 4, v1
	s_barrier
	buffer_gl0_inv
	v_mov_b32_e32 v178, 16
	ds_write2_b64 v170, v[102:103], v[104:105] offset1:1
	s_waitcnt lgkmcnt(0)
	s_barrier
	buffer_gl0_inv
	ds_read2_b64 v[170:173], v1 offset0:32 offset1:33
	s_cmp_lt_i32 s18, 18
	s_cbranch_scc1 .LBB82_338
; %bb.336:
	v_add3_u32 v179, v180, 0, 0x110
	v_mov_b32_e32 v178, 16
	s_mov_b32 s1, 17
	s_inst_prefetch 0x1
	.p2align	6
.LBB82_337:                             ; =>This Inner Loop Header: Depth=1
	s_waitcnt lgkmcnt(0)
	v_cmp_gt_f64_e32 vcc_lo, 0, v[172:173]
	v_cmp_gt_f64_e64 s0, 0, v[170:171]
	ds_read2_b64 v[185:188], v179 offset1:1
	v_xor_b32_e32 v190, 0x80000000, v171
	v_xor_b32_e32 v192, 0x80000000, v173
	v_mov_b32_e32 v189, v170
	v_mov_b32_e32 v191, v172
	v_add_nc_u32_e32 v179, 16, v179
	s_waitcnt lgkmcnt(0)
	v_xor_b32_e32 v194, 0x80000000, v188
	v_cndmask_b32_e64 v190, v171, v190, s0
	v_cndmask_b32_e32 v192, v173, v192, vcc_lo
	v_cmp_gt_f64_e32 vcc_lo, 0, v[187:188]
	v_cmp_gt_f64_e64 s0, 0, v[185:186]
	v_mov_b32_e32 v193, v187
	v_add_f64 v[189:190], v[189:190], v[191:192]
	v_xor_b32_e32 v192, 0x80000000, v186
	v_mov_b32_e32 v191, v185
	v_cndmask_b32_e32 v194, v188, v194, vcc_lo
	v_cndmask_b32_e64 v192, v186, v192, s0
	v_add_f64 v[191:192], v[191:192], v[193:194]
	v_cmp_lt_f64_e32 vcc_lo, v[189:190], v[191:192]
	v_cndmask_b32_e32 v171, v171, v186, vcc_lo
	v_cndmask_b32_e32 v170, v170, v185, vcc_lo
	v_cndmask_b32_e32 v173, v173, v188, vcc_lo
	v_cndmask_b32_e32 v172, v172, v187, vcc_lo
	v_cndmask_b32_e64 v178, v178, s1, vcc_lo
	s_add_i32 s1, s1, 1
	s_cmp_lg_u32 s18, s1
	s_cbranch_scc1 .LBB82_337
.LBB82_338:
	s_inst_prefetch 0x2
	s_waitcnt lgkmcnt(0)
	v_cmp_eq_f64_e32 vcc_lo, 0, v[170:171]
	v_cmp_eq_f64_e64 s0, 0, v[172:173]
	s_and_b32 s0, vcc_lo, s0
	s_and_saveexec_b32 s1, s0
	s_xor_b32 s0, exec_lo, s1
; %bb.339:
	v_cmp_ne_u32_e32 vcc_lo, 0, v183
	v_cndmask_b32_e32 v183, 17, v183, vcc_lo
; %bb.340:
	s_andn2_saveexec_b32 s0, s0
	s_cbranch_execz .LBB82_346
; %bb.341:
	v_cmp_ngt_f64_e64 s1, |v[170:171]|, |v[172:173]|
	s_and_saveexec_b32 s2, s1
	s_xor_b32 s1, exec_lo, s2
	s_cbranch_execz .LBB82_343
; %bb.342:
	v_div_scale_f64 v[185:186], null, v[172:173], v[172:173], v[170:171]
	v_div_scale_f64 v[191:192], vcc_lo, v[170:171], v[172:173], v[170:171]
	v_rcp_f64_e32 v[187:188], v[185:186]
	v_fma_f64 v[189:190], -v[185:186], v[187:188], 1.0
	v_fma_f64 v[187:188], v[187:188], v[189:190], v[187:188]
	v_fma_f64 v[189:190], -v[185:186], v[187:188], 1.0
	v_fma_f64 v[187:188], v[187:188], v[189:190], v[187:188]
	v_mul_f64 v[189:190], v[191:192], v[187:188]
	v_fma_f64 v[185:186], -v[185:186], v[189:190], v[191:192]
	v_div_fmas_f64 v[185:186], v[185:186], v[187:188], v[189:190]
	v_div_fixup_f64 v[185:186], v[185:186], v[172:173], v[170:171]
	v_fma_f64 v[170:171], v[170:171], v[185:186], v[172:173]
	v_div_scale_f64 v[172:173], null, v[170:171], v[170:171], 1.0
	v_rcp_f64_e32 v[187:188], v[172:173]
	v_fma_f64 v[189:190], -v[172:173], v[187:188], 1.0
	v_fma_f64 v[187:188], v[187:188], v[189:190], v[187:188]
	v_fma_f64 v[189:190], -v[172:173], v[187:188], 1.0
	v_fma_f64 v[187:188], v[187:188], v[189:190], v[187:188]
	v_div_scale_f64 v[189:190], vcc_lo, 1.0, v[170:171], 1.0
	v_mul_f64 v[191:192], v[189:190], v[187:188]
	v_fma_f64 v[172:173], -v[172:173], v[191:192], v[189:190]
	v_div_fmas_f64 v[172:173], v[172:173], v[187:188], v[191:192]
	v_div_fixup_f64 v[172:173], v[172:173], v[170:171], 1.0
	v_mul_f64 v[170:171], v[185:186], v[172:173]
	v_xor_b32_e32 v173, 0x80000000, v173
.LBB82_343:
	s_andn2_saveexec_b32 s1, s1
	s_cbranch_execz .LBB82_345
; %bb.344:
	v_div_scale_f64 v[185:186], null, v[170:171], v[170:171], v[172:173]
	v_div_scale_f64 v[191:192], vcc_lo, v[172:173], v[170:171], v[172:173]
	v_rcp_f64_e32 v[187:188], v[185:186]
	v_fma_f64 v[189:190], -v[185:186], v[187:188], 1.0
	v_fma_f64 v[187:188], v[187:188], v[189:190], v[187:188]
	v_fma_f64 v[189:190], -v[185:186], v[187:188], 1.0
	v_fma_f64 v[187:188], v[187:188], v[189:190], v[187:188]
	v_mul_f64 v[189:190], v[191:192], v[187:188]
	v_fma_f64 v[185:186], -v[185:186], v[189:190], v[191:192]
	v_div_fmas_f64 v[185:186], v[185:186], v[187:188], v[189:190]
	v_div_fixup_f64 v[185:186], v[185:186], v[170:171], v[172:173]
	v_fma_f64 v[170:171], v[172:173], v[185:186], v[170:171]
	v_div_scale_f64 v[172:173], null, v[170:171], v[170:171], 1.0
	v_rcp_f64_e32 v[187:188], v[172:173]
	v_fma_f64 v[189:190], -v[172:173], v[187:188], 1.0
	v_fma_f64 v[187:188], v[187:188], v[189:190], v[187:188]
	v_fma_f64 v[189:190], -v[172:173], v[187:188], 1.0
	v_fma_f64 v[187:188], v[187:188], v[189:190], v[187:188]
	v_div_scale_f64 v[189:190], vcc_lo, 1.0, v[170:171], 1.0
	v_mul_f64 v[191:192], v[189:190], v[187:188]
	v_fma_f64 v[172:173], -v[172:173], v[191:192], v[189:190]
	v_div_fmas_f64 v[172:173], v[172:173], v[187:188], v[191:192]
	v_div_fixup_f64 v[170:171], v[172:173], v[170:171], 1.0
	v_mul_f64 v[172:173], v[185:186], -v[170:171]
.LBB82_345:
	s_or_b32 exec_lo, exec_lo, s1
.LBB82_346:
	s_or_b32 exec_lo, exec_lo, s0
	s_mov_b32 s0, exec_lo
	v_cmpx_ne_u32_e64 v184, v178
	s_xor_b32 s0, exec_lo, s0
	s_cbranch_execz .LBB82_352
; %bb.347:
	s_mov_b32 s1, exec_lo
	v_cmpx_eq_u32_e32 16, v184
	s_cbranch_execz .LBB82_351
; %bb.348:
	v_cmp_ne_u32_e32 vcc_lo, 16, v178
	s_xor_b32 s2, s16, -1
	s_and_b32 s3, s2, vcc_lo
	s_and_saveexec_b32 s2, s3
	s_cbranch_execz .LBB82_350
; %bb.349:
	v_ashrrev_i32_e32 v179, 31, v178
	v_lshlrev_b64 v[184:185], 2, v[178:179]
	v_add_co_u32 v184, vcc_lo, v176, v184
	v_add_co_ci_u32_e64 v185, null, v177, v185, vcc_lo
	s_clause 0x1
	global_load_dword v0, v[184:185], off
	global_load_dword v179, v[176:177], off offset:64
	s_waitcnt vmcnt(1)
	global_store_dword v[176:177], v0, off offset:64
	s_waitcnt vmcnt(0)
	global_store_dword v[184:185], v179, off
.LBB82_350:
	s_or_b32 exec_lo, exec_lo, s2
	v_mov_b32_e32 v184, v178
	v_mov_b32_e32 v0, v178
.LBB82_351:
	s_or_b32 exec_lo, exec_lo, s1
.LBB82_352:
	s_andn2_saveexec_b32 s0, s0
	s_cbranch_execz .LBB82_354
; %bb.353:
	v_mov_b32_e32 v184, 16
	ds_write2_b64 v1, v[98:99], v[100:101] offset0:34 offset1:35
	ds_write2_b64 v1, v[94:95], v[96:97] offset0:36 offset1:37
	;; [unrolled: 1-line block ×25, first 2 shown]
.LBB82_354:
	s_or_b32 exec_lo, exec_lo, s0
	s_mov_b32 s0, exec_lo
	s_waitcnt lgkmcnt(0)
	s_waitcnt_vscnt null, 0x0
	s_barrier
	buffer_gl0_inv
	v_cmpx_lt_i32_e32 16, v184
	s_cbranch_execz .LBB82_356
; %bb.355:
	v_mul_f64 v[178:179], v[172:173], v[104:105]
	v_mul_f64 v[104:105], v[170:171], v[104:105]
	v_fma_f64 v[178:179], v[170:171], v[102:103], -v[178:179]
	v_fma_f64 v[104:105], v[172:173], v[102:103], v[104:105]
	ds_read2_b64 v[170:173], v1 offset0:34 offset1:35
	s_waitcnt lgkmcnt(0)
	v_mul_f64 v[102:103], v[172:173], v[104:105]
	v_fma_f64 v[102:103], v[170:171], v[178:179], -v[102:103]
	v_mul_f64 v[170:171], v[170:171], v[104:105]
	v_add_f64 v[98:99], v[98:99], -v[102:103]
	v_fma_f64 v[170:171], v[172:173], v[178:179], v[170:171]
	v_add_f64 v[100:101], v[100:101], -v[170:171]
	ds_read2_b64 v[170:173], v1 offset0:36 offset1:37
	s_waitcnt lgkmcnt(0)
	v_mul_f64 v[102:103], v[172:173], v[104:105]
	v_fma_f64 v[102:103], v[170:171], v[178:179], -v[102:103]
	v_mul_f64 v[170:171], v[170:171], v[104:105]
	v_add_f64 v[94:95], v[94:95], -v[102:103]
	v_fma_f64 v[170:171], v[172:173], v[178:179], v[170:171]
	v_add_f64 v[96:97], v[96:97], -v[170:171]
	ds_read2_b64 v[170:173], v1 offset0:38 offset1:39
	s_waitcnt lgkmcnt(0)
	v_mul_f64 v[102:103], v[172:173], v[104:105]
	v_fma_f64 v[102:103], v[170:171], v[178:179], -v[102:103]
	v_mul_f64 v[170:171], v[170:171], v[104:105]
	v_add_f64 v[90:91], v[90:91], -v[102:103]
	v_fma_f64 v[170:171], v[172:173], v[178:179], v[170:171]
	v_add_f64 v[92:93], v[92:93], -v[170:171]
	ds_read2_b64 v[170:173], v1 offset0:40 offset1:41
	s_waitcnt lgkmcnt(0)
	v_mul_f64 v[102:103], v[172:173], v[104:105]
	v_fma_f64 v[102:103], v[170:171], v[178:179], -v[102:103]
	v_mul_f64 v[170:171], v[170:171], v[104:105]
	v_add_f64 v[86:87], v[86:87], -v[102:103]
	v_fma_f64 v[170:171], v[172:173], v[178:179], v[170:171]
	v_add_f64 v[88:89], v[88:89], -v[170:171]
	ds_read2_b64 v[170:173], v1 offset0:42 offset1:43
	s_waitcnt lgkmcnt(0)
	v_mul_f64 v[102:103], v[172:173], v[104:105]
	v_fma_f64 v[102:103], v[170:171], v[178:179], -v[102:103]
	v_mul_f64 v[170:171], v[170:171], v[104:105]
	v_add_f64 v[82:83], v[82:83], -v[102:103]
	v_fma_f64 v[170:171], v[172:173], v[178:179], v[170:171]
	v_add_f64 v[84:85], v[84:85], -v[170:171]
	ds_read2_b64 v[170:173], v1 offset0:44 offset1:45
	s_waitcnt lgkmcnt(0)
	v_mul_f64 v[102:103], v[172:173], v[104:105]
	v_fma_f64 v[102:103], v[170:171], v[178:179], -v[102:103]
	v_mul_f64 v[170:171], v[170:171], v[104:105]
	v_add_f64 v[78:79], v[78:79], -v[102:103]
	v_fma_f64 v[170:171], v[172:173], v[178:179], v[170:171]
	v_add_f64 v[80:81], v[80:81], -v[170:171]
	ds_read2_b64 v[170:173], v1 offset0:46 offset1:47
	s_waitcnt lgkmcnt(0)
	v_mul_f64 v[102:103], v[172:173], v[104:105]
	v_fma_f64 v[102:103], v[170:171], v[178:179], -v[102:103]
	v_mul_f64 v[170:171], v[170:171], v[104:105]
	v_add_f64 v[74:75], v[74:75], -v[102:103]
	v_fma_f64 v[170:171], v[172:173], v[178:179], v[170:171]
	v_add_f64 v[76:77], v[76:77], -v[170:171]
	ds_read2_b64 v[170:173], v1 offset0:48 offset1:49
	s_waitcnt lgkmcnt(0)
	v_mul_f64 v[102:103], v[172:173], v[104:105]
	v_fma_f64 v[102:103], v[170:171], v[178:179], -v[102:103]
	v_mul_f64 v[170:171], v[170:171], v[104:105]
	v_add_f64 v[70:71], v[70:71], -v[102:103]
	v_fma_f64 v[170:171], v[172:173], v[178:179], v[170:171]
	v_add_f64 v[72:73], v[72:73], -v[170:171]
	ds_read2_b64 v[170:173], v1 offset0:50 offset1:51
	s_waitcnt lgkmcnt(0)
	v_mul_f64 v[102:103], v[172:173], v[104:105]
	v_fma_f64 v[102:103], v[170:171], v[178:179], -v[102:103]
	v_mul_f64 v[170:171], v[170:171], v[104:105]
	v_add_f64 v[66:67], v[66:67], -v[102:103]
	v_fma_f64 v[170:171], v[172:173], v[178:179], v[170:171]
	v_add_f64 v[68:69], v[68:69], -v[170:171]
	ds_read2_b64 v[170:173], v1 offset0:52 offset1:53
	s_waitcnt lgkmcnt(0)
	v_mul_f64 v[102:103], v[172:173], v[104:105]
	v_fma_f64 v[102:103], v[170:171], v[178:179], -v[102:103]
	v_mul_f64 v[170:171], v[170:171], v[104:105]
	v_add_f64 v[62:63], v[62:63], -v[102:103]
	v_fma_f64 v[170:171], v[172:173], v[178:179], v[170:171]
	v_add_f64 v[64:65], v[64:65], -v[170:171]
	ds_read2_b64 v[170:173], v1 offset0:54 offset1:55
	s_waitcnt lgkmcnt(0)
	v_mul_f64 v[102:103], v[172:173], v[104:105]
	v_fma_f64 v[102:103], v[170:171], v[178:179], -v[102:103]
	v_mul_f64 v[170:171], v[170:171], v[104:105]
	v_add_f64 v[58:59], v[58:59], -v[102:103]
	v_fma_f64 v[170:171], v[172:173], v[178:179], v[170:171]
	v_add_f64 v[60:61], v[60:61], -v[170:171]
	ds_read2_b64 v[170:173], v1 offset0:56 offset1:57
	s_waitcnt lgkmcnt(0)
	v_mul_f64 v[102:103], v[172:173], v[104:105]
	v_fma_f64 v[102:103], v[170:171], v[178:179], -v[102:103]
	v_mul_f64 v[170:171], v[170:171], v[104:105]
	v_add_f64 v[54:55], v[54:55], -v[102:103]
	v_fma_f64 v[170:171], v[172:173], v[178:179], v[170:171]
	v_add_f64 v[56:57], v[56:57], -v[170:171]
	ds_read2_b64 v[170:173], v1 offset0:58 offset1:59
	s_waitcnt lgkmcnt(0)
	v_mul_f64 v[102:103], v[172:173], v[104:105]
	v_fma_f64 v[102:103], v[170:171], v[178:179], -v[102:103]
	v_mul_f64 v[170:171], v[170:171], v[104:105]
	v_add_f64 v[50:51], v[50:51], -v[102:103]
	v_fma_f64 v[170:171], v[172:173], v[178:179], v[170:171]
	v_add_f64 v[52:53], v[52:53], -v[170:171]
	ds_read2_b64 v[170:173], v1 offset0:60 offset1:61
	s_waitcnt lgkmcnt(0)
	v_mul_f64 v[102:103], v[172:173], v[104:105]
	v_fma_f64 v[102:103], v[170:171], v[178:179], -v[102:103]
	v_mul_f64 v[170:171], v[170:171], v[104:105]
	v_add_f64 v[46:47], v[46:47], -v[102:103]
	v_fma_f64 v[170:171], v[172:173], v[178:179], v[170:171]
	v_add_f64 v[48:49], v[48:49], -v[170:171]
	ds_read2_b64 v[170:173], v1 offset0:62 offset1:63
	s_waitcnt lgkmcnt(0)
	v_mul_f64 v[102:103], v[172:173], v[104:105]
	v_fma_f64 v[102:103], v[170:171], v[178:179], -v[102:103]
	v_mul_f64 v[170:171], v[170:171], v[104:105]
	v_add_f64 v[42:43], v[42:43], -v[102:103]
	v_fma_f64 v[170:171], v[172:173], v[178:179], v[170:171]
	v_add_f64 v[44:45], v[44:45], -v[170:171]
	ds_read2_b64 v[170:173], v1 offset0:64 offset1:65
	s_waitcnt lgkmcnt(0)
	v_mul_f64 v[102:103], v[172:173], v[104:105]
	v_fma_f64 v[102:103], v[170:171], v[178:179], -v[102:103]
	v_mul_f64 v[170:171], v[170:171], v[104:105]
	v_add_f64 v[38:39], v[38:39], -v[102:103]
	v_fma_f64 v[170:171], v[172:173], v[178:179], v[170:171]
	v_add_f64 v[40:41], v[40:41], -v[170:171]
	ds_read2_b64 v[170:173], v1 offset0:66 offset1:67
	s_waitcnt lgkmcnt(0)
	v_mul_f64 v[102:103], v[172:173], v[104:105]
	v_fma_f64 v[102:103], v[170:171], v[178:179], -v[102:103]
	v_mul_f64 v[170:171], v[170:171], v[104:105]
	v_add_f64 v[34:35], v[34:35], -v[102:103]
	v_fma_f64 v[170:171], v[172:173], v[178:179], v[170:171]
	v_add_f64 v[36:37], v[36:37], -v[170:171]
	ds_read2_b64 v[170:173], v1 offset0:68 offset1:69
	s_waitcnt lgkmcnt(0)
	v_mul_f64 v[102:103], v[172:173], v[104:105]
	v_fma_f64 v[102:103], v[170:171], v[178:179], -v[102:103]
	v_mul_f64 v[170:171], v[170:171], v[104:105]
	v_add_f64 v[30:31], v[30:31], -v[102:103]
	v_fma_f64 v[170:171], v[172:173], v[178:179], v[170:171]
	v_add_f64 v[32:33], v[32:33], -v[170:171]
	ds_read2_b64 v[170:173], v1 offset0:70 offset1:71
	s_waitcnt lgkmcnt(0)
	v_mul_f64 v[102:103], v[172:173], v[104:105]
	v_fma_f64 v[102:103], v[170:171], v[178:179], -v[102:103]
	v_mul_f64 v[170:171], v[170:171], v[104:105]
	v_add_f64 v[26:27], v[26:27], -v[102:103]
	v_fma_f64 v[170:171], v[172:173], v[178:179], v[170:171]
	v_add_f64 v[28:29], v[28:29], -v[170:171]
	ds_read2_b64 v[170:173], v1 offset0:72 offset1:73
	s_waitcnt lgkmcnt(0)
	v_mul_f64 v[102:103], v[172:173], v[104:105]
	v_fma_f64 v[102:103], v[170:171], v[178:179], -v[102:103]
	v_mul_f64 v[170:171], v[170:171], v[104:105]
	v_add_f64 v[22:23], v[22:23], -v[102:103]
	v_fma_f64 v[170:171], v[172:173], v[178:179], v[170:171]
	v_add_f64 v[24:25], v[24:25], -v[170:171]
	ds_read2_b64 v[170:173], v1 offset0:74 offset1:75
	s_waitcnt lgkmcnt(0)
	v_mul_f64 v[102:103], v[172:173], v[104:105]
	v_fma_f64 v[102:103], v[170:171], v[178:179], -v[102:103]
	v_mul_f64 v[170:171], v[170:171], v[104:105]
	v_add_f64 v[18:19], v[18:19], -v[102:103]
	v_fma_f64 v[170:171], v[172:173], v[178:179], v[170:171]
	v_add_f64 v[20:21], v[20:21], -v[170:171]
	ds_read2_b64 v[170:173], v1 offset0:76 offset1:77
	s_waitcnt lgkmcnt(0)
	v_mul_f64 v[102:103], v[172:173], v[104:105]
	v_fma_f64 v[102:103], v[170:171], v[178:179], -v[102:103]
	v_mul_f64 v[170:171], v[170:171], v[104:105]
	v_add_f64 v[14:15], v[14:15], -v[102:103]
	v_fma_f64 v[170:171], v[172:173], v[178:179], v[170:171]
	v_add_f64 v[16:17], v[16:17], -v[170:171]
	ds_read2_b64 v[170:173], v1 offset0:78 offset1:79
	s_waitcnt lgkmcnt(0)
	v_mul_f64 v[102:103], v[172:173], v[104:105]
	v_fma_f64 v[102:103], v[170:171], v[178:179], -v[102:103]
	v_mul_f64 v[170:171], v[170:171], v[104:105]
	v_add_f64 v[10:11], v[10:11], -v[102:103]
	v_fma_f64 v[170:171], v[172:173], v[178:179], v[170:171]
	v_add_f64 v[12:13], v[12:13], -v[170:171]
	ds_read2_b64 v[170:173], v1 offset0:80 offset1:81
	s_waitcnt lgkmcnt(0)
	v_mul_f64 v[102:103], v[172:173], v[104:105]
	v_fma_f64 v[102:103], v[170:171], v[178:179], -v[102:103]
	v_mul_f64 v[170:171], v[170:171], v[104:105]
	v_add_f64 v[6:7], v[6:7], -v[102:103]
	v_fma_f64 v[170:171], v[172:173], v[178:179], v[170:171]
	v_add_f64 v[8:9], v[8:9], -v[170:171]
	ds_read2_b64 v[170:173], v1 offset0:82 offset1:83
	s_waitcnt lgkmcnt(0)
	v_mul_f64 v[102:103], v[172:173], v[104:105]
	v_fma_f64 v[102:103], v[170:171], v[178:179], -v[102:103]
	v_mul_f64 v[170:171], v[170:171], v[104:105]
	v_add_f64 v[2:3], v[2:3], -v[102:103]
	v_fma_f64 v[170:171], v[172:173], v[178:179], v[170:171]
	v_mov_b32_e32 v102, v178
	v_mov_b32_e32 v103, v179
	v_add_f64 v[4:5], v[4:5], -v[170:171]
.LBB82_356:
	s_or_b32 exec_lo, exec_lo, s0
	v_lshl_add_u32 v170, v184, 4, v1
	s_barrier
	buffer_gl0_inv
	v_mov_b32_e32 v178, 17
	ds_write2_b64 v170, v[98:99], v[100:101] offset1:1
	s_waitcnt lgkmcnt(0)
	s_barrier
	buffer_gl0_inv
	ds_read2_b64 v[170:173], v1 offset0:34 offset1:35
	s_cmp_lt_i32 s18, 19
	s_cbranch_scc1 .LBB82_359
; %bb.357:
	v_add3_u32 v179, v180, 0, 0x120
	v_mov_b32_e32 v178, 17
	s_mov_b32 s1, 18
	s_inst_prefetch 0x1
	.p2align	6
.LBB82_358:                             ; =>This Inner Loop Header: Depth=1
	s_waitcnt lgkmcnt(0)
	v_cmp_gt_f64_e32 vcc_lo, 0, v[172:173]
	v_cmp_gt_f64_e64 s0, 0, v[170:171]
	ds_read2_b64 v[185:188], v179 offset1:1
	v_xor_b32_e32 v190, 0x80000000, v171
	v_xor_b32_e32 v192, 0x80000000, v173
	v_mov_b32_e32 v189, v170
	v_mov_b32_e32 v191, v172
	v_add_nc_u32_e32 v179, 16, v179
	s_waitcnt lgkmcnt(0)
	v_xor_b32_e32 v194, 0x80000000, v188
	v_cndmask_b32_e64 v190, v171, v190, s0
	v_cndmask_b32_e32 v192, v173, v192, vcc_lo
	v_cmp_gt_f64_e32 vcc_lo, 0, v[187:188]
	v_cmp_gt_f64_e64 s0, 0, v[185:186]
	v_mov_b32_e32 v193, v187
	v_add_f64 v[189:190], v[189:190], v[191:192]
	v_xor_b32_e32 v192, 0x80000000, v186
	v_mov_b32_e32 v191, v185
	v_cndmask_b32_e32 v194, v188, v194, vcc_lo
	v_cndmask_b32_e64 v192, v186, v192, s0
	v_add_f64 v[191:192], v[191:192], v[193:194]
	v_cmp_lt_f64_e32 vcc_lo, v[189:190], v[191:192]
	v_cndmask_b32_e32 v171, v171, v186, vcc_lo
	v_cndmask_b32_e32 v170, v170, v185, vcc_lo
	;; [unrolled: 1-line block ×4, first 2 shown]
	v_cndmask_b32_e64 v178, v178, s1, vcc_lo
	s_add_i32 s1, s1, 1
	s_cmp_lg_u32 s18, s1
	s_cbranch_scc1 .LBB82_358
.LBB82_359:
	s_inst_prefetch 0x2
	s_waitcnt lgkmcnt(0)
	v_cmp_eq_f64_e32 vcc_lo, 0, v[170:171]
	v_cmp_eq_f64_e64 s0, 0, v[172:173]
	s_and_b32 s0, vcc_lo, s0
	s_and_saveexec_b32 s1, s0
	s_xor_b32 s0, exec_lo, s1
; %bb.360:
	v_cmp_ne_u32_e32 vcc_lo, 0, v183
	v_cndmask_b32_e32 v183, 18, v183, vcc_lo
; %bb.361:
	s_andn2_saveexec_b32 s0, s0
	s_cbranch_execz .LBB82_367
; %bb.362:
	v_cmp_ngt_f64_e64 s1, |v[170:171]|, |v[172:173]|
	s_and_saveexec_b32 s2, s1
	s_xor_b32 s1, exec_lo, s2
	s_cbranch_execz .LBB82_364
; %bb.363:
	v_div_scale_f64 v[185:186], null, v[172:173], v[172:173], v[170:171]
	v_div_scale_f64 v[191:192], vcc_lo, v[170:171], v[172:173], v[170:171]
	v_rcp_f64_e32 v[187:188], v[185:186]
	v_fma_f64 v[189:190], -v[185:186], v[187:188], 1.0
	v_fma_f64 v[187:188], v[187:188], v[189:190], v[187:188]
	v_fma_f64 v[189:190], -v[185:186], v[187:188], 1.0
	v_fma_f64 v[187:188], v[187:188], v[189:190], v[187:188]
	v_mul_f64 v[189:190], v[191:192], v[187:188]
	v_fma_f64 v[185:186], -v[185:186], v[189:190], v[191:192]
	v_div_fmas_f64 v[185:186], v[185:186], v[187:188], v[189:190]
	v_div_fixup_f64 v[185:186], v[185:186], v[172:173], v[170:171]
	v_fma_f64 v[170:171], v[170:171], v[185:186], v[172:173]
	v_div_scale_f64 v[172:173], null, v[170:171], v[170:171], 1.0
	v_rcp_f64_e32 v[187:188], v[172:173]
	v_fma_f64 v[189:190], -v[172:173], v[187:188], 1.0
	v_fma_f64 v[187:188], v[187:188], v[189:190], v[187:188]
	v_fma_f64 v[189:190], -v[172:173], v[187:188], 1.0
	v_fma_f64 v[187:188], v[187:188], v[189:190], v[187:188]
	v_div_scale_f64 v[189:190], vcc_lo, 1.0, v[170:171], 1.0
	v_mul_f64 v[191:192], v[189:190], v[187:188]
	v_fma_f64 v[172:173], -v[172:173], v[191:192], v[189:190]
	v_div_fmas_f64 v[172:173], v[172:173], v[187:188], v[191:192]
	v_div_fixup_f64 v[172:173], v[172:173], v[170:171], 1.0
	v_mul_f64 v[170:171], v[185:186], v[172:173]
	v_xor_b32_e32 v173, 0x80000000, v173
.LBB82_364:
	s_andn2_saveexec_b32 s1, s1
	s_cbranch_execz .LBB82_366
; %bb.365:
	v_div_scale_f64 v[185:186], null, v[170:171], v[170:171], v[172:173]
	v_div_scale_f64 v[191:192], vcc_lo, v[172:173], v[170:171], v[172:173]
	v_rcp_f64_e32 v[187:188], v[185:186]
	v_fma_f64 v[189:190], -v[185:186], v[187:188], 1.0
	v_fma_f64 v[187:188], v[187:188], v[189:190], v[187:188]
	v_fma_f64 v[189:190], -v[185:186], v[187:188], 1.0
	v_fma_f64 v[187:188], v[187:188], v[189:190], v[187:188]
	v_mul_f64 v[189:190], v[191:192], v[187:188]
	v_fma_f64 v[185:186], -v[185:186], v[189:190], v[191:192]
	v_div_fmas_f64 v[185:186], v[185:186], v[187:188], v[189:190]
	v_div_fixup_f64 v[185:186], v[185:186], v[170:171], v[172:173]
	v_fma_f64 v[170:171], v[172:173], v[185:186], v[170:171]
	v_div_scale_f64 v[172:173], null, v[170:171], v[170:171], 1.0
	v_rcp_f64_e32 v[187:188], v[172:173]
	v_fma_f64 v[189:190], -v[172:173], v[187:188], 1.0
	v_fma_f64 v[187:188], v[187:188], v[189:190], v[187:188]
	v_fma_f64 v[189:190], -v[172:173], v[187:188], 1.0
	v_fma_f64 v[187:188], v[187:188], v[189:190], v[187:188]
	v_div_scale_f64 v[189:190], vcc_lo, 1.0, v[170:171], 1.0
	v_mul_f64 v[191:192], v[189:190], v[187:188]
	v_fma_f64 v[172:173], -v[172:173], v[191:192], v[189:190]
	v_div_fmas_f64 v[172:173], v[172:173], v[187:188], v[191:192]
	v_div_fixup_f64 v[170:171], v[172:173], v[170:171], 1.0
	v_mul_f64 v[172:173], v[185:186], -v[170:171]
.LBB82_366:
	s_or_b32 exec_lo, exec_lo, s1
.LBB82_367:
	s_or_b32 exec_lo, exec_lo, s0
	s_mov_b32 s0, exec_lo
	v_cmpx_ne_u32_e64 v184, v178
	s_xor_b32 s0, exec_lo, s0
	s_cbranch_execz .LBB82_373
; %bb.368:
	s_mov_b32 s1, exec_lo
	v_cmpx_eq_u32_e32 17, v184
	s_cbranch_execz .LBB82_372
; %bb.369:
	v_cmp_ne_u32_e32 vcc_lo, 17, v178
	s_xor_b32 s2, s16, -1
	s_and_b32 s3, s2, vcc_lo
	s_and_saveexec_b32 s2, s3
	s_cbranch_execz .LBB82_371
; %bb.370:
	v_ashrrev_i32_e32 v179, 31, v178
	v_lshlrev_b64 v[184:185], 2, v[178:179]
	v_add_co_u32 v184, vcc_lo, v176, v184
	v_add_co_ci_u32_e64 v185, null, v177, v185, vcc_lo
	s_clause 0x1
	global_load_dword v0, v[184:185], off
	global_load_dword v179, v[176:177], off offset:68
	s_waitcnt vmcnt(1)
	global_store_dword v[176:177], v0, off offset:68
	s_waitcnt vmcnt(0)
	global_store_dword v[184:185], v179, off
.LBB82_371:
	s_or_b32 exec_lo, exec_lo, s2
	v_mov_b32_e32 v184, v178
	v_mov_b32_e32 v0, v178
.LBB82_372:
	s_or_b32 exec_lo, exec_lo, s1
.LBB82_373:
	s_andn2_saveexec_b32 s0, s0
	s_cbranch_execz .LBB82_375
; %bb.374:
	v_mov_b32_e32 v184, 17
	ds_write2_b64 v1, v[94:95], v[96:97] offset0:36 offset1:37
	ds_write2_b64 v1, v[90:91], v[92:93] offset0:38 offset1:39
	;; [unrolled: 1-line block ×24, first 2 shown]
.LBB82_375:
	s_or_b32 exec_lo, exec_lo, s0
	s_mov_b32 s0, exec_lo
	s_waitcnt lgkmcnt(0)
	s_waitcnt_vscnt null, 0x0
	s_barrier
	buffer_gl0_inv
	v_cmpx_lt_i32_e32 17, v184
	s_cbranch_execz .LBB82_377
; %bb.376:
	v_mul_f64 v[178:179], v[172:173], v[100:101]
	v_mul_f64 v[100:101], v[170:171], v[100:101]
	v_fma_f64 v[178:179], v[170:171], v[98:99], -v[178:179]
	v_fma_f64 v[100:101], v[172:173], v[98:99], v[100:101]
	ds_read2_b64 v[170:173], v1 offset0:36 offset1:37
	s_waitcnt lgkmcnt(0)
	v_mul_f64 v[98:99], v[172:173], v[100:101]
	v_fma_f64 v[98:99], v[170:171], v[178:179], -v[98:99]
	v_mul_f64 v[170:171], v[170:171], v[100:101]
	v_add_f64 v[94:95], v[94:95], -v[98:99]
	v_fma_f64 v[170:171], v[172:173], v[178:179], v[170:171]
	v_add_f64 v[96:97], v[96:97], -v[170:171]
	ds_read2_b64 v[170:173], v1 offset0:38 offset1:39
	s_waitcnt lgkmcnt(0)
	v_mul_f64 v[98:99], v[172:173], v[100:101]
	v_fma_f64 v[98:99], v[170:171], v[178:179], -v[98:99]
	v_mul_f64 v[170:171], v[170:171], v[100:101]
	v_add_f64 v[90:91], v[90:91], -v[98:99]
	v_fma_f64 v[170:171], v[172:173], v[178:179], v[170:171]
	v_add_f64 v[92:93], v[92:93], -v[170:171]
	;; [unrolled: 8-line block ×23, first 2 shown]
	ds_read2_b64 v[170:173], v1 offset0:82 offset1:83
	s_waitcnt lgkmcnt(0)
	v_mul_f64 v[98:99], v[172:173], v[100:101]
	v_fma_f64 v[98:99], v[170:171], v[178:179], -v[98:99]
	v_mul_f64 v[170:171], v[170:171], v[100:101]
	v_add_f64 v[2:3], v[2:3], -v[98:99]
	v_fma_f64 v[170:171], v[172:173], v[178:179], v[170:171]
	v_mov_b32_e32 v98, v178
	v_mov_b32_e32 v99, v179
	v_add_f64 v[4:5], v[4:5], -v[170:171]
.LBB82_377:
	s_or_b32 exec_lo, exec_lo, s0
	v_lshl_add_u32 v170, v184, 4, v1
	s_barrier
	buffer_gl0_inv
	v_mov_b32_e32 v178, 18
	ds_write2_b64 v170, v[94:95], v[96:97] offset1:1
	s_waitcnt lgkmcnt(0)
	s_barrier
	buffer_gl0_inv
	ds_read2_b64 v[170:173], v1 offset0:36 offset1:37
	s_cmp_lt_i32 s18, 20
	s_cbranch_scc1 .LBB82_380
; %bb.378:
	v_add3_u32 v179, v180, 0, 0x130
	v_mov_b32_e32 v178, 18
	s_mov_b32 s1, 19
	s_inst_prefetch 0x1
	.p2align	6
.LBB82_379:                             ; =>This Inner Loop Header: Depth=1
	s_waitcnt lgkmcnt(0)
	v_cmp_gt_f64_e32 vcc_lo, 0, v[172:173]
	v_cmp_gt_f64_e64 s0, 0, v[170:171]
	ds_read2_b64 v[185:188], v179 offset1:1
	v_xor_b32_e32 v190, 0x80000000, v171
	v_xor_b32_e32 v192, 0x80000000, v173
	v_mov_b32_e32 v189, v170
	v_mov_b32_e32 v191, v172
	v_add_nc_u32_e32 v179, 16, v179
	s_waitcnt lgkmcnt(0)
	v_xor_b32_e32 v194, 0x80000000, v188
	v_cndmask_b32_e64 v190, v171, v190, s0
	v_cndmask_b32_e32 v192, v173, v192, vcc_lo
	v_cmp_gt_f64_e32 vcc_lo, 0, v[187:188]
	v_cmp_gt_f64_e64 s0, 0, v[185:186]
	v_mov_b32_e32 v193, v187
	v_add_f64 v[189:190], v[189:190], v[191:192]
	v_xor_b32_e32 v192, 0x80000000, v186
	v_mov_b32_e32 v191, v185
	v_cndmask_b32_e32 v194, v188, v194, vcc_lo
	v_cndmask_b32_e64 v192, v186, v192, s0
	v_add_f64 v[191:192], v[191:192], v[193:194]
	v_cmp_lt_f64_e32 vcc_lo, v[189:190], v[191:192]
	v_cndmask_b32_e32 v171, v171, v186, vcc_lo
	v_cndmask_b32_e32 v170, v170, v185, vcc_lo
	v_cndmask_b32_e32 v173, v173, v188, vcc_lo
	v_cndmask_b32_e32 v172, v172, v187, vcc_lo
	v_cndmask_b32_e64 v178, v178, s1, vcc_lo
	s_add_i32 s1, s1, 1
	s_cmp_lg_u32 s18, s1
	s_cbranch_scc1 .LBB82_379
.LBB82_380:
	s_inst_prefetch 0x2
	s_waitcnt lgkmcnt(0)
	v_cmp_eq_f64_e32 vcc_lo, 0, v[170:171]
	v_cmp_eq_f64_e64 s0, 0, v[172:173]
	s_and_b32 s0, vcc_lo, s0
	s_and_saveexec_b32 s1, s0
	s_xor_b32 s0, exec_lo, s1
; %bb.381:
	v_cmp_ne_u32_e32 vcc_lo, 0, v183
	v_cndmask_b32_e32 v183, 19, v183, vcc_lo
; %bb.382:
	s_andn2_saveexec_b32 s0, s0
	s_cbranch_execz .LBB82_388
; %bb.383:
	v_cmp_ngt_f64_e64 s1, |v[170:171]|, |v[172:173]|
	s_and_saveexec_b32 s2, s1
	s_xor_b32 s1, exec_lo, s2
	s_cbranch_execz .LBB82_385
; %bb.384:
	v_div_scale_f64 v[185:186], null, v[172:173], v[172:173], v[170:171]
	v_div_scale_f64 v[191:192], vcc_lo, v[170:171], v[172:173], v[170:171]
	v_rcp_f64_e32 v[187:188], v[185:186]
	v_fma_f64 v[189:190], -v[185:186], v[187:188], 1.0
	v_fma_f64 v[187:188], v[187:188], v[189:190], v[187:188]
	v_fma_f64 v[189:190], -v[185:186], v[187:188], 1.0
	v_fma_f64 v[187:188], v[187:188], v[189:190], v[187:188]
	v_mul_f64 v[189:190], v[191:192], v[187:188]
	v_fma_f64 v[185:186], -v[185:186], v[189:190], v[191:192]
	v_div_fmas_f64 v[185:186], v[185:186], v[187:188], v[189:190]
	v_div_fixup_f64 v[185:186], v[185:186], v[172:173], v[170:171]
	v_fma_f64 v[170:171], v[170:171], v[185:186], v[172:173]
	v_div_scale_f64 v[172:173], null, v[170:171], v[170:171], 1.0
	v_rcp_f64_e32 v[187:188], v[172:173]
	v_fma_f64 v[189:190], -v[172:173], v[187:188], 1.0
	v_fma_f64 v[187:188], v[187:188], v[189:190], v[187:188]
	v_fma_f64 v[189:190], -v[172:173], v[187:188], 1.0
	v_fma_f64 v[187:188], v[187:188], v[189:190], v[187:188]
	v_div_scale_f64 v[189:190], vcc_lo, 1.0, v[170:171], 1.0
	v_mul_f64 v[191:192], v[189:190], v[187:188]
	v_fma_f64 v[172:173], -v[172:173], v[191:192], v[189:190]
	v_div_fmas_f64 v[172:173], v[172:173], v[187:188], v[191:192]
	v_div_fixup_f64 v[172:173], v[172:173], v[170:171], 1.0
	v_mul_f64 v[170:171], v[185:186], v[172:173]
	v_xor_b32_e32 v173, 0x80000000, v173
.LBB82_385:
	s_andn2_saveexec_b32 s1, s1
	s_cbranch_execz .LBB82_387
; %bb.386:
	v_div_scale_f64 v[185:186], null, v[170:171], v[170:171], v[172:173]
	v_div_scale_f64 v[191:192], vcc_lo, v[172:173], v[170:171], v[172:173]
	v_rcp_f64_e32 v[187:188], v[185:186]
	v_fma_f64 v[189:190], -v[185:186], v[187:188], 1.0
	v_fma_f64 v[187:188], v[187:188], v[189:190], v[187:188]
	v_fma_f64 v[189:190], -v[185:186], v[187:188], 1.0
	v_fma_f64 v[187:188], v[187:188], v[189:190], v[187:188]
	v_mul_f64 v[189:190], v[191:192], v[187:188]
	v_fma_f64 v[185:186], -v[185:186], v[189:190], v[191:192]
	v_div_fmas_f64 v[185:186], v[185:186], v[187:188], v[189:190]
	v_div_fixup_f64 v[185:186], v[185:186], v[170:171], v[172:173]
	v_fma_f64 v[170:171], v[172:173], v[185:186], v[170:171]
	v_div_scale_f64 v[172:173], null, v[170:171], v[170:171], 1.0
	v_rcp_f64_e32 v[187:188], v[172:173]
	v_fma_f64 v[189:190], -v[172:173], v[187:188], 1.0
	v_fma_f64 v[187:188], v[187:188], v[189:190], v[187:188]
	v_fma_f64 v[189:190], -v[172:173], v[187:188], 1.0
	v_fma_f64 v[187:188], v[187:188], v[189:190], v[187:188]
	v_div_scale_f64 v[189:190], vcc_lo, 1.0, v[170:171], 1.0
	v_mul_f64 v[191:192], v[189:190], v[187:188]
	v_fma_f64 v[172:173], -v[172:173], v[191:192], v[189:190]
	v_div_fmas_f64 v[172:173], v[172:173], v[187:188], v[191:192]
	v_div_fixup_f64 v[170:171], v[172:173], v[170:171], 1.0
	v_mul_f64 v[172:173], v[185:186], -v[170:171]
.LBB82_387:
	s_or_b32 exec_lo, exec_lo, s1
.LBB82_388:
	s_or_b32 exec_lo, exec_lo, s0
	s_mov_b32 s0, exec_lo
	v_cmpx_ne_u32_e64 v184, v178
	s_xor_b32 s0, exec_lo, s0
	s_cbranch_execz .LBB82_394
; %bb.389:
	s_mov_b32 s1, exec_lo
	v_cmpx_eq_u32_e32 18, v184
	s_cbranch_execz .LBB82_393
; %bb.390:
	v_cmp_ne_u32_e32 vcc_lo, 18, v178
	s_xor_b32 s2, s16, -1
	s_and_b32 s3, s2, vcc_lo
	s_and_saveexec_b32 s2, s3
	s_cbranch_execz .LBB82_392
; %bb.391:
	v_ashrrev_i32_e32 v179, 31, v178
	v_lshlrev_b64 v[184:185], 2, v[178:179]
	v_add_co_u32 v184, vcc_lo, v176, v184
	v_add_co_ci_u32_e64 v185, null, v177, v185, vcc_lo
	s_clause 0x1
	global_load_dword v0, v[184:185], off
	global_load_dword v179, v[176:177], off offset:72
	s_waitcnt vmcnt(1)
	global_store_dword v[176:177], v0, off offset:72
	s_waitcnt vmcnt(0)
	global_store_dword v[184:185], v179, off
.LBB82_392:
	s_or_b32 exec_lo, exec_lo, s2
	v_mov_b32_e32 v184, v178
	v_mov_b32_e32 v0, v178
.LBB82_393:
	s_or_b32 exec_lo, exec_lo, s1
.LBB82_394:
	s_andn2_saveexec_b32 s0, s0
	s_cbranch_execz .LBB82_396
; %bb.395:
	v_mov_b32_e32 v184, 18
	ds_write2_b64 v1, v[90:91], v[92:93] offset0:38 offset1:39
	ds_write2_b64 v1, v[86:87], v[88:89] offset0:40 offset1:41
	;; [unrolled: 1-line block ×23, first 2 shown]
.LBB82_396:
	s_or_b32 exec_lo, exec_lo, s0
	s_mov_b32 s0, exec_lo
	s_waitcnt lgkmcnt(0)
	s_waitcnt_vscnt null, 0x0
	s_barrier
	buffer_gl0_inv
	v_cmpx_lt_i32_e32 18, v184
	s_cbranch_execz .LBB82_398
; %bb.397:
	v_mul_f64 v[178:179], v[172:173], v[96:97]
	v_mul_f64 v[96:97], v[170:171], v[96:97]
	v_fma_f64 v[178:179], v[170:171], v[94:95], -v[178:179]
	v_fma_f64 v[96:97], v[172:173], v[94:95], v[96:97]
	ds_read2_b64 v[170:173], v1 offset0:38 offset1:39
	s_waitcnt lgkmcnt(0)
	v_mul_f64 v[94:95], v[172:173], v[96:97]
	v_fma_f64 v[94:95], v[170:171], v[178:179], -v[94:95]
	v_mul_f64 v[170:171], v[170:171], v[96:97]
	v_add_f64 v[90:91], v[90:91], -v[94:95]
	v_fma_f64 v[170:171], v[172:173], v[178:179], v[170:171]
	v_add_f64 v[92:93], v[92:93], -v[170:171]
	ds_read2_b64 v[170:173], v1 offset0:40 offset1:41
	s_waitcnt lgkmcnt(0)
	v_mul_f64 v[94:95], v[172:173], v[96:97]
	v_fma_f64 v[94:95], v[170:171], v[178:179], -v[94:95]
	v_mul_f64 v[170:171], v[170:171], v[96:97]
	v_add_f64 v[86:87], v[86:87], -v[94:95]
	v_fma_f64 v[170:171], v[172:173], v[178:179], v[170:171]
	v_add_f64 v[88:89], v[88:89], -v[170:171]
	;; [unrolled: 8-line block ×22, first 2 shown]
	ds_read2_b64 v[170:173], v1 offset0:82 offset1:83
	s_waitcnt lgkmcnt(0)
	v_mul_f64 v[94:95], v[172:173], v[96:97]
	v_fma_f64 v[94:95], v[170:171], v[178:179], -v[94:95]
	v_mul_f64 v[170:171], v[170:171], v[96:97]
	v_add_f64 v[2:3], v[2:3], -v[94:95]
	v_fma_f64 v[170:171], v[172:173], v[178:179], v[170:171]
	v_mov_b32_e32 v94, v178
	v_mov_b32_e32 v95, v179
	v_add_f64 v[4:5], v[4:5], -v[170:171]
.LBB82_398:
	s_or_b32 exec_lo, exec_lo, s0
	v_lshl_add_u32 v170, v184, 4, v1
	s_barrier
	buffer_gl0_inv
	v_mov_b32_e32 v178, 19
	ds_write2_b64 v170, v[90:91], v[92:93] offset1:1
	s_waitcnt lgkmcnt(0)
	s_barrier
	buffer_gl0_inv
	ds_read2_b64 v[170:173], v1 offset0:38 offset1:39
	s_cmp_lt_i32 s18, 21
	s_cbranch_scc1 .LBB82_401
; %bb.399:
	v_add3_u32 v179, v180, 0, 0x140
	v_mov_b32_e32 v178, 19
	s_mov_b32 s1, 20
	s_inst_prefetch 0x1
	.p2align	6
.LBB82_400:                             ; =>This Inner Loop Header: Depth=1
	s_waitcnt lgkmcnt(0)
	v_cmp_gt_f64_e32 vcc_lo, 0, v[172:173]
	v_cmp_gt_f64_e64 s0, 0, v[170:171]
	ds_read2_b64 v[185:188], v179 offset1:1
	v_xor_b32_e32 v190, 0x80000000, v171
	v_xor_b32_e32 v192, 0x80000000, v173
	v_mov_b32_e32 v189, v170
	v_mov_b32_e32 v191, v172
	v_add_nc_u32_e32 v179, 16, v179
	s_waitcnt lgkmcnt(0)
	v_xor_b32_e32 v194, 0x80000000, v188
	v_cndmask_b32_e64 v190, v171, v190, s0
	v_cndmask_b32_e32 v192, v173, v192, vcc_lo
	v_cmp_gt_f64_e32 vcc_lo, 0, v[187:188]
	v_cmp_gt_f64_e64 s0, 0, v[185:186]
	v_mov_b32_e32 v193, v187
	v_add_f64 v[189:190], v[189:190], v[191:192]
	v_xor_b32_e32 v192, 0x80000000, v186
	v_mov_b32_e32 v191, v185
	v_cndmask_b32_e32 v194, v188, v194, vcc_lo
	v_cndmask_b32_e64 v192, v186, v192, s0
	v_add_f64 v[191:192], v[191:192], v[193:194]
	v_cmp_lt_f64_e32 vcc_lo, v[189:190], v[191:192]
	v_cndmask_b32_e32 v171, v171, v186, vcc_lo
	v_cndmask_b32_e32 v170, v170, v185, vcc_lo
	;; [unrolled: 1-line block ×4, first 2 shown]
	v_cndmask_b32_e64 v178, v178, s1, vcc_lo
	s_add_i32 s1, s1, 1
	s_cmp_lg_u32 s18, s1
	s_cbranch_scc1 .LBB82_400
.LBB82_401:
	s_inst_prefetch 0x2
	s_waitcnt lgkmcnt(0)
	v_cmp_eq_f64_e32 vcc_lo, 0, v[170:171]
	v_cmp_eq_f64_e64 s0, 0, v[172:173]
	s_and_b32 s0, vcc_lo, s0
	s_and_saveexec_b32 s1, s0
	s_xor_b32 s0, exec_lo, s1
; %bb.402:
	v_cmp_ne_u32_e32 vcc_lo, 0, v183
	v_cndmask_b32_e32 v183, 20, v183, vcc_lo
; %bb.403:
	s_andn2_saveexec_b32 s0, s0
	s_cbranch_execz .LBB82_409
; %bb.404:
	v_cmp_ngt_f64_e64 s1, |v[170:171]|, |v[172:173]|
	s_and_saveexec_b32 s2, s1
	s_xor_b32 s1, exec_lo, s2
	s_cbranch_execz .LBB82_406
; %bb.405:
	v_div_scale_f64 v[185:186], null, v[172:173], v[172:173], v[170:171]
	v_div_scale_f64 v[191:192], vcc_lo, v[170:171], v[172:173], v[170:171]
	v_rcp_f64_e32 v[187:188], v[185:186]
	v_fma_f64 v[189:190], -v[185:186], v[187:188], 1.0
	v_fma_f64 v[187:188], v[187:188], v[189:190], v[187:188]
	v_fma_f64 v[189:190], -v[185:186], v[187:188], 1.0
	v_fma_f64 v[187:188], v[187:188], v[189:190], v[187:188]
	v_mul_f64 v[189:190], v[191:192], v[187:188]
	v_fma_f64 v[185:186], -v[185:186], v[189:190], v[191:192]
	v_div_fmas_f64 v[185:186], v[185:186], v[187:188], v[189:190]
	v_div_fixup_f64 v[185:186], v[185:186], v[172:173], v[170:171]
	v_fma_f64 v[170:171], v[170:171], v[185:186], v[172:173]
	v_div_scale_f64 v[172:173], null, v[170:171], v[170:171], 1.0
	v_rcp_f64_e32 v[187:188], v[172:173]
	v_fma_f64 v[189:190], -v[172:173], v[187:188], 1.0
	v_fma_f64 v[187:188], v[187:188], v[189:190], v[187:188]
	v_fma_f64 v[189:190], -v[172:173], v[187:188], 1.0
	v_fma_f64 v[187:188], v[187:188], v[189:190], v[187:188]
	v_div_scale_f64 v[189:190], vcc_lo, 1.0, v[170:171], 1.0
	v_mul_f64 v[191:192], v[189:190], v[187:188]
	v_fma_f64 v[172:173], -v[172:173], v[191:192], v[189:190]
	v_div_fmas_f64 v[172:173], v[172:173], v[187:188], v[191:192]
	v_div_fixup_f64 v[172:173], v[172:173], v[170:171], 1.0
	v_mul_f64 v[170:171], v[185:186], v[172:173]
	v_xor_b32_e32 v173, 0x80000000, v173
.LBB82_406:
	s_andn2_saveexec_b32 s1, s1
	s_cbranch_execz .LBB82_408
; %bb.407:
	v_div_scale_f64 v[185:186], null, v[170:171], v[170:171], v[172:173]
	v_div_scale_f64 v[191:192], vcc_lo, v[172:173], v[170:171], v[172:173]
	v_rcp_f64_e32 v[187:188], v[185:186]
	v_fma_f64 v[189:190], -v[185:186], v[187:188], 1.0
	v_fma_f64 v[187:188], v[187:188], v[189:190], v[187:188]
	v_fma_f64 v[189:190], -v[185:186], v[187:188], 1.0
	v_fma_f64 v[187:188], v[187:188], v[189:190], v[187:188]
	v_mul_f64 v[189:190], v[191:192], v[187:188]
	v_fma_f64 v[185:186], -v[185:186], v[189:190], v[191:192]
	v_div_fmas_f64 v[185:186], v[185:186], v[187:188], v[189:190]
	v_div_fixup_f64 v[185:186], v[185:186], v[170:171], v[172:173]
	v_fma_f64 v[170:171], v[172:173], v[185:186], v[170:171]
	v_div_scale_f64 v[172:173], null, v[170:171], v[170:171], 1.0
	v_rcp_f64_e32 v[187:188], v[172:173]
	v_fma_f64 v[189:190], -v[172:173], v[187:188], 1.0
	v_fma_f64 v[187:188], v[187:188], v[189:190], v[187:188]
	v_fma_f64 v[189:190], -v[172:173], v[187:188], 1.0
	v_fma_f64 v[187:188], v[187:188], v[189:190], v[187:188]
	v_div_scale_f64 v[189:190], vcc_lo, 1.0, v[170:171], 1.0
	v_mul_f64 v[191:192], v[189:190], v[187:188]
	v_fma_f64 v[172:173], -v[172:173], v[191:192], v[189:190]
	v_div_fmas_f64 v[172:173], v[172:173], v[187:188], v[191:192]
	v_div_fixup_f64 v[170:171], v[172:173], v[170:171], 1.0
	v_mul_f64 v[172:173], v[185:186], -v[170:171]
.LBB82_408:
	s_or_b32 exec_lo, exec_lo, s1
.LBB82_409:
	s_or_b32 exec_lo, exec_lo, s0
	s_mov_b32 s0, exec_lo
	v_cmpx_ne_u32_e64 v184, v178
	s_xor_b32 s0, exec_lo, s0
	s_cbranch_execz .LBB82_415
; %bb.410:
	s_mov_b32 s1, exec_lo
	v_cmpx_eq_u32_e32 19, v184
	s_cbranch_execz .LBB82_414
; %bb.411:
	v_cmp_ne_u32_e32 vcc_lo, 19, v178
	s_xor_b32 s2, s16, -1
	s_and_b32 s3, s2, vcc_lo
	s_and_saveexec_b32 s2, s3
	s_cbranch_execz .LBB82_413
; %bb.412:
	v_ashrrev_i32_e32 v179, 31, v178
	v_lshlrev_b64 v[184:185], 2, v[178:179]
	v_add_co_u32 v184, vcc_lo, v176, v184
	v_add_co_ci_u32_e64 v185, null, v177, v185, vcc_lo
	s_clause 0x1
	global_load_dword v0, v[184:185], off
	global_load_dword v179, v[176:177], off offset:76
	s_waitcnt vmcnt(1)
	global_store_dword v[176:177], v0, off offset:76
	s_waitcnt vmcnt(0)
	global_store_dword v[184:185], v179, off
.LBB82_413:
	s_or_b32 exec_lo, exec_lo, s2
	v_mov_b32_e32 v184, v178
	v_mov_b32_e32 v0, v178
.LBB82_414:
	s_or_b32 exec_lo, exec_lo, s1
.LBB82_415:
	s_andn2_saveexec_b32 s0, s0
	s_cbranch_execz .LBB82_417
; %bb.416:
	v_mov_b32_e32 v184, 19
	ds_write2_b64 v1, v[86:87], v[88:89] offset0:40 offset1:41
	ds_write2_b64 v1, v[82:83], v[84:85] offset0:42 offset1:43
	;; [unrolled: 1-line block ×22, first 2 shown]
.LBB82_417:
	s_or_b32 exec_lo, exec_lo, s0
	s_mov_b32 s0, exec_lo
	s_waitcnt lgkmcnt(0)
	s_waitcnt_vscnt null, 0x0
	s_barrier
	buffer_gl0_inv
	v_cmpx_lt_i32_e32 19, v184
	s_cbranch_execz .LBB82_419
; %bb.418:
	v_mul_f64 v[178:179], v[172:173], v[92:93]
	v_mul_f64 v[92:93], v[170:171], v[92:93]
	v_fma_f64 v[178:179], v[170:171], v[90:91], -v[178:179]
	v_fma_f64 v[92:93], v[172:173], v[90:91], v[92:93]
	ds_read2_b64 v[170:173], v1 offset0:40 offset1:41
	s_waitcnt lgkmcnt(0)
	v_mul_f64 v[90:91], v[172:173], v[92:93]
	v_fma_f64 v[90:91], v[170:171], v[178:179], -v[90:91]
	v_mul_f64 v[170:171], v[170:171], v[92:93]
	v_add_f64 v[86:87], v[86:87], -v[90:91]
	v_fma_f64 v[170:171], v[172:173], v[178:179], v[170:171]
	v_add_f64 v[88:89], v[88:89], -v[170:171]
	ds_read2_b64 v[170:173], v1 offset0:42 offset1:43
	s_waitcnt lgkmcnt(0)
	v_mul_f64 v[90:91], v[172:173], v[92:93]
	v_fma_f64 v[90:91], v[170:171], v[178:179], -v[90:91]
	v_mul_f64 v[170:171], v[170:171], v[92:93]
	v_add_f64 v[82:83], v[82:83], -v[90:91]
	v_fma_f64 v[170:171], v[172:173], v[178:179], v[170:171]
	v_add_f64 v[84:85], v[84:85], -v[170:171]
	;; [unrolled: 8-line block ×21, first 2 shown]
	ds_read2_b64 v[170:173], v1 offset0:82 offset1:83
	s_waitcnt lgkmcnt(0)
	v_mul_f64 v[90:91], v[172:173], v[92:93]
	v_fma_f64 v[90:91], v[170:171], v[178:179], -v[90:91]
	v_mul_f64 v[170:171], v[170:171], v[92:93]
	v_add_f64 v[2:3], v[2:3], -v[90:91]
	v_fma_f64 v[170:171], v[172:173], v[178:179], v[170:171]
	v_mov_b32_e32 v90, v178
	v_mov_b32_e32 v91, v179
	v_add_f64 v[4:5], v[4:5], -v[170:171]
.LBB82_419:
	s_or_b32 exec_lo, exec_lo, s0
	v_lshl_add_u32 v170, v184, 4, v1
	s_barrier
	buffer_gl0_inv
	v_mov_b32_e32 v178, 20
	ds_write2_b64 v170, v[86:87], v[88:89] offset1:1
	s_waitcnt lgkmcnt(0)
	s_barrier
	buffer_gl0_inv
	ds_read2_b64 v[170:173], v1 offset0:40 offset1:41
	s_cmp_lt_i32 s18, 22
	s_cbranch_scc1 .LBB82_422
; %bb.420:
	v_add3_u32 v179, v180, 0, 0x150
	v_mov_b32_e32 v178, 20
	s_mov_b32 s1, 21
	s_inst_prefetch 0x1
	.p2align	6
.LBB82_421:                             ; =>This Inner Loop Header: Depth=1
	s_waitcnt lgkmcnt(0)
	v_cmp_gt_f64_e32 vcc_lo, 0, v[172:173]
	v_cmp_gt_f64_e64 s0, 0, v[170:171]
	ds_read2_b64 v[185:188], v179 offset1:1
	v_xor_b32_e32 v190, 0x80000000, v171
	v_xor_b32_e32 v192, 0x80000000, v173
	v_mov_b32_e32 v189, v170
	v_mov_b32_e32 v191, v172
	v_add_nc_u32_e32 v179, 16, v179
	s_waitcnt lgkmcnt(0)
	v_xor_b32_e32 v194, 0x80000000, v188
	v_cndmask_b32_e64 v190, v171, v190, s0
	v_cndmask_b32_e32 v192, v173, v192, vcc_lo
	v_cmp_gt_f64_e32 vcc_lo, 0, v[187:188]
	v_cmp_gt_f64_e64 s0, 0, v[185:186]
	v_mov_b32_e32 v193, v187
	v_add_f64 v[189:190], v[189:190], v[191:192]
	v_xor_b32_e32 v192, 0x80000000, v186
	v_mov_b32_e32 v191, v185
	v_cndmask_b32_e32 v194, v188, v194, vcc_lo
	v_cndmask_b32_e64 v192, v186, v192, s0
	v_add_f64 v[191:192], v[191:192], v[193:194]
	v_cmp_lt_f64_e32 vcc_lo, v[189:190], v[191:192]
	v_cndmask_b32_e32 v171, v171, v186, vcc_lo
	v_cndmask_b32_e32 v170, v170, v185, vcc_lo
	;; [unrolled: 1-line block ×4, first 2 shown]
	v_cndmask_b32_e64 v178, v178, s1, vcc_lo
	s_add_i32 s1, s1, 1
	s_cmp_lg_u32 s18, s1
	s_cbranch_scc1 .LBB82_421
.LBB82_422:
	s_inst_prefetch 0x2
	s_waitcnt lgkmcnt(0)
	v_cmp_eq_f64_e32 vcc_lo, 0, v[170:171]
	v_cmp_eq_f64_e64 s0, 0, v[172:173]
	s_and_b32 s0, vcc_lo, s0
	s_and_saveexec_b32 s1, s0
	s_xor_b32 s0, exec_lo, s1
; %bb.423:
	v_cmp_ne_u32_e32 vcc_lo, 0, v183
	v_cndmask_b32_e32 v183, 21, v183, vcc_lo
; %bb.424:
	s_andn2_saveexec_b32 s0, s0
	s_cbranch_execz .LBB82_430
; %bb.425:
	v_cmp_ngt_f64_e64 s1, |v[170:171]|, |v[172:173]|
	s_and_saveexec_b32 s2, s1
	s_xor_b32 s1, exec_lo, s2
	s_cbranch_execz .LBB82_427
; %bb.426:
	v_div_scale_f64 v[185:186], null, v[172:173], v[172:173], v[170:171]
	v_div_scale_f64 v[191:192], vcc_lo, v[170:171], v[172:173], v[170:171]
	v_rcp_f64_e32 v[187:188], v[185:186]
	v_fma_f64 v[189:190], -v[185:186], v[187:188], 1.0
	v_fma_f64 v[187:188], v[187:188], v[189:190], v[187:188]
	v_fma_f64 v[189:190], -v[185:186], v[187:188], 1.0
	v_fma_f64 v[187:188], v[187:188], v[189:190], v[187:188]
	v_mul_f64 v[189:190], v[191:192], v[187:188]
	v_fma_f64 v[185:186], -v[185:186], v[189:190], v[191:192]
	v_div_fmas_f64 v[185:186], v[185:186], v[187:188], v[189:190]
	v_div_fixup_f64 v[185:186], v[185:186], v[172:173], v[170:171]
	v_fma_f64 v[170:171], v[170:171], v[185:186], v[172:173]
	v_div_scale_f64 v[172:173], null, v[170:171], v[170:171], 1.0
	v_rcp_f64_e32 v[187:188], v[172:173]
	v_fma_f64 v[189:190], -v[172:173], v[187:188], 1.0
	v_fma_f64 v[187:188], v[187:188], v[189:190], v[187:188]
	v_fma_f64 v[189:190], -v[172:173], v[187:188], 1.0
	v_fma_f64 v[187:188], v[187:188], v[189:190], v[187:188]
	v_div_scale_f64 v[189:190], vcc_lo, 1.0, v[170:171], 1.0
	v_mul_f64 v[191:192], v[189:190], v[187:188]
	v_fma_f64 v[172:173], -v[172:173], v[191:192], v[189:190]
	v_div_fmas_f64 v[172:173], v[172:173], v[187:188], v[191:192]
	v_div_fixup_f64 v[172:173], v[172:173], v[170:171], 1.0
	v_mul_f64 v[170:171], v[185:186], v[172:173]
	v_xor_b32_e32 v173, 0x80000000, v173
.LBB82_427:
	s_andn2_saveexec_b32 s1, s1
	s_cbranch_execz .LBB82_429
; %bb.428:
	v_div_scale_f64 v[185:186], null, v[170:171], v[170:171], v[172:173]
	v_div_scale_f64 v[191:192], vcc_lo, v[172:173], v[170:171], v[172:173]
	v_rcp_f64_e32 v[187:188], v[185:186]
	v_fma_f64 v[189:190], -v[185:186], v[187:188], 1.0
	v_fma_f64 v[187:188], v[187:188], v[189:190], v[187:188]
	v_fma_f64 v[189:190], -v[185:186], v[187:188], 1.0
	v_fma_f64 v[187:188], v[187:188], v[189:190], v[187:188]
	v_mul_f64 v[189:190], v[191:192], v[187:188]
	v_fma_f64 v[185:186], -v[185:186], v[189:190], v[191:192]
	v_div_fmas_f64 v[185:186], v[185:186], v[187:188], v[189:190]
	v_div_fixup_f64 v[185:186], v[185:186], v[170:171], v[172:173]
	v_fma_f64 v[170:171], v[172:173], v[185:186], v[170:171]
	v_div_scale_f64 v[172:173], null, v[170:171], v[170:171], 1.0
	v_rcp_f64_e32 v[187:188], v[172:173]
	v_fma_f64 v[189:190], -v[172:173], v[187:188], 1.0
	v_fma_f64 v[187:188], v[187:188], v[189:190], v[187:188]
	v_fma_f64 v[189:190], -v[172:173], v[187:188], 1.0
	v_fma_f64 v[187:188], v[187:188], v[189:190], v[187:188]
	v_div_scale_f64 v[189:190], vcc_lo, 1.0, v[170:171], 1.0
	v_mul_f64 v[191:192], v[189:190], v[187:188]
	v_fma_f64 v[172:173], -v[172:173], v[191:192], v[189:190]
	v_div_fmas_f64 v[172:173], v[172:173], v[187:188], v[191:192]
	v_div_fixup_f64 v[170:171], v[172:173], v[170:171], 1.0
	v_mul_f64 v[172:173], v[185:186], -v[170:171]
.LBB82_429:
	s_or_b32 exec_lo, exec_lo, s1
.LBB82_430:
	s_or_b32 exec_lo, exec_lo, s0
	s_mov_b32 s0, exec_lo
	v_cmpx_ne_u32_e64 v184, v178
	s_xor_b32 s0, exec_lo, s0
	s_cbranch_execz .LBB82_436
; %bb.431:
	s_mov_b32 s1, exec_lo
	v_cmpx_eq_u32_e32 20, v184
	s_cbranch_execz .LBB82_435
; %bb.432:
	v_cmp_ne_u32_e32 vcc_lo, 20, v178
	s_xor_b32 s2, s16, -1
	s_and_b32 s3, s2, vcc_lo
	s_and_saveexec_b32 s2, s3
	s_cbranch_execz .LBB82_434
; %bb.433:
	v_ashrrev_i32_e32 v179, 31, v178
	v_lshlrev_b64 v[184:185], 2, v[178:179]
	v_add_co_u32 v184, vcc_lo, v176, v184
	v_add_co_ci_u32_e64 v185, null, v177, v185, vcc_lo
	s_clause 0x1
	global_load_dword v0, v[184:185], off
	global_load_dword v179, v[176:177], off offset:80
	s_waitcnt vmcnt(1)
	global_store_dword v[176:177], v0, off offset:80
	s_waitcnt vmcnt(0)
	global_store_dword v[184:185], v179, off
.LBB82_434:
	s_or_b32 exec_lo, exec_lo, s2
	v_mov_b32_e32 v184, v178
	v_mov_b32_e32 v0, v178
.LBB82_435:
	s_or_b32 exec_lo, exec_lo, s1
.LBB82_436:
	s_andn2_saveexec_b32 s0, s0
	s_cbranch_execz .LBB82_438
; %bb.437:
	v_mov_b32_e32 v184, 20
	ds_write2_b64 v1, v[82:83], v[84:85] offset0:42 offset1:43
	ds_write2_b64 v1, v[78:79], v[80:81] offset0:44 offset1:45
	;; [unrolled: 1-line block ×21, first 2 shown]
.LBB82_438:
	s_or_b32 exec_lo, exec_lo, s0
	s_mov_b32 s0, exec_lo
	s_waitcnt lgkmcnt(0)
	s_waitcnt_vscnt null, 0x0
	s_barrier
	buffer_gl0_inv
	v_cmpx_lt_i32_e32 20, v184
	s_cbranch_execz .LBB82_440
; %bb.439:
	v_mul_f64 v[178:179], v[172:173], v[88:89]
	v_mul_f64 v[88:89], v[170:171], v[88:89]
	v_fma_f64 v[178:179], v[170:171], v[86:87], -v[178:179]
	v_fma_f64 v[88:89], v[172:173], v[86:87], v[88:89]
	ds_read2_b64 v[170:173], v1 offset0:42 offset1:43
	s_waitcnt lgkmcnt(0)
	v_mul_f64 v[86:87], v[172:173], v[88:89]
	v_fma_f64 v[86:87], v[170:171], v[178:179], -v[86:87]
	v_mul_f64 v[170:171], v[170:171], v[88:89]
	v_add_f64 v[82:83], v[82:83], -v[86:87]
	v_fma_f64 v[170:171], v[172:173], v[178:179], v[170:171]
	v_add_f64 v[84:85], v[84:85], -v[170:171]
	ds_read2_b64 v[170:173], v1 offset0:44 offset1:45
	s_waitcnt lgkmcnt(0)
	v_mul_f64 v[86:87], v[172:173], v[88:89]
	v_fma_f64 v[86:87], v[170:171], v[178:179], -v[86:87]
	v_mul_f64 v[170:171], v[170:171], v[88:89]
	v_add_f64 v[78:79], v[78:79], -v[86:87]
	v_fma_f64 v[170:171], v[172:173], v[178:179], v[170:171]
	v_add_f64 v[80:81], v[80:81], -v[170:171]
	;; [unrolled: 8-line block ×20, first 2 shown]
	ds_read2_b64 v[170:173], v1 offset0:82 offset1:83
	s_waitcnt lgkmcnt(0)
	v_mul_f64 v[86:87], v[172:173], v[88:89]
	v_fma_f64 v[86:87], v[170:171], v[178:179], -v[86:87]
	v_mul_f64 v[170:171], v[170:171], v[88:89]
	v_add_f64 v[2:3], v[2:3], -v[86:87]
	v_fma_f64 v[170:171], v[172:173], v[178:179], v[170:171]
	v_mov_b32_e32 v86, v178
	v_mov_b32_e32 v87, v179
	v_add_f64 v[4:5], v[4:5], -v[170:171]
.LBB82_440:
	s_or_b32 exec_lo, exec_lo, s0
	v_lshl_add_u32 v170, v184, 4, v1
	s_barrier
	buffer_gl0_inv
	v_mov_b32_e32 v178, 21
	ds_write2_b64 v170, v[82:83], v[84:85] offset1:1
	s_waitcnt lgkmcnt(0)
	s_barrier
	buffer_gl0_inv
	ds_read2_b64 v[170:173], v1 offset0:42 offset1:43
	s_cmp_lt_i32 s18, 23
	s_cbranch_scc1 .LBB82_443
; %bb.441:
	v_add3_u32 v179, v180, 0, 0x160
	v_mov_b32_e32 v178, 21
	s_mov_b32 s1, 22
	s_inst_prefetch 0x1
	.p2align	6
.LBB82_442:                             ; =>This Inner Loop Header: Depth=1
	s_waitcnt lgkmcnt(0)
	v_cmp_gt_f64_e32 vcc_lo, 0, v[172:173]
	v_cmp_gt_f64_e64 s0, 0, v[170:171]
	ds_read2_b64 v[185:188], v179 offset1:1
	v_xor_b32_e32 v190, 0x80000000, v171
	v_xor_b32_e32 v192, 0x80000000, v173
	v_mov_b32_e32 v189, v170
	v_mov_b32_e32 v191, v172
	v_add_nc_u32_e32 v179, 16, v179
	s_waitcnt lgkmcnt(0)
	v_xor_b32_e32 v194, 0x80000000, v188
	v_cndmask_b32_e64 v190, v171, v190, s0
	v_cndmask_b32_e32 v192, v173, v192, vcc_lo
	v_cmp_gt_f64_e32 vcc_lo, 0, v[187:188]
	v_cmp_gt_f64_e64 s0, 0, v[185:186]
	v_mov_b32_e32 v193, v187
	v_add_f64 v[189:190], v[189:190], v[191:192]
	v_xor_b32_e32 v192, 0x80000000, v186
	v_mov_b32_e32 v191, v185
	v_cndmask_b32_e32 v194, v188, v194, vcc_lo
	v_cndmask_b32_e64 v192, v186, v192, s0
	v_add_f64 v[191:192], v[191:192], v[193:194]
	v_cmp_lt_f64_e32 vcc_lo, v[189:190], v[191:192]
	v_cndmask_b32_e32 v171, v171, v186, vcc_lo
	v_cndmask_b32_e32 v170, v170, v185, vcc_lo
	;; [unrolled: 1-line block ×4, first 2 shown]
	v_cndmask_b32_e64 v178, v178, s1, vcc_lo
	s_add_i32 s1, s1, 1
	s_cmp_lg_u32 s18, s1
	s_cbranch_scc1 .LBB82_442
.LBB82_443:
	s_inst_prefetch 0x2
	s_waitcnt lgkmcnt(0)
	v_cmp_eq_f64_e32 vcc_lo, 0, v[170:171]
	v_cmp_eq_f64_e64 s0, 0, v[172:173]
	s_and_b32 s0, vcc_lo, s0
	s_and_saveexec_b32 s1, s0
	s_xor_b32 s0, exec_lo, s1
; %bb.444:
	v_cmp_ne_u32_e32 vcc_lo, 0, v183
	v_cndmask_b32_e32 v183, 22, v183, vcc_lo
; %bb.445:
	s_andn2_saveexec_b32 s0, s0
	s_cbranch_execz .LBB82_451
; %bb.446:
	v_cmp_ngt_f64_e64 s1, |v[170:171]|, |v[172:173]|
	s_and_saveexec_b32 s2, s1
	s_xor_b32 s1, exec_lo, s2
	s_cbranch_execz .LBB82_448
; %bb.447:
	v_div_scale_f64 v[185:186], null, v[172:173], v[172:173], v[170:171]
	v_div_scale_f64 v[191:192], vcc_lo, v[170:171], v[172:173], v[170:171]
	v_rcp_f64_e32 v[187:188], v[185:186]
	v_fma_f64 v[189:190], -v[185:186], v[187:188], 1.0
	v_fma_f64 v[187:188], v[187:188], v[189:190], v[187:188]
	v_fma_f64 v[189:190], -v[185:186], v[187:188], 1.0
	v_fma_f64 v[187:188], v[187:188], v[189:190], v[187:188]
	v_mul_f64 v[189:190], v[191:192], v[187:188]
	v_fma_f64 v[185:186], -v[185:186], v[189:190], v[191:192]
	v_div_fmas_f64 v[185:186], v[185:186], v[187:188], v[189:190]
	v_div_fixup_f64 v[185:186], v[185:186], v[172:173], v[170:171]
	v_fma_f64 v[170:171], v[170:171], v[185:186], v[172:173]
	v_div_scale_f64 v[172:173], null, v[170:171], v[170:171], 1.0
	v_rcp_f64_e32 v[187:188], v[172:173]
	v_fma_f64 v[189:190], -v[172:173], v[187:188], 1.0
	v_fma_f64 v[187:188], v[187:188], v[189:190], v[187:188]
	v_fma_f64 v[189:190], -v[172:173], v[187:188], 1.0
	v_fma_f64 v[187:188], v[187:188], v[189:190], v[187:188]
	v_div_scale_f64 v[189:190], vcc_lo, 1.0, v[170:171], 1.0
	v_mul_f64 v[191:192], v[189:190], v[187:188]
	v_fma_f64 v[172:173], -v[172:173], v[191:192], v[189:190]
	v_div_fmas_f64 v[172:173], v[172:173], v[187:188], v[191:192]
	v_div_fixup_f64 v[172:173], v[172:173], v[170:171], 1.0
	v_mul_f64 v[170:171], v[185:186], v[172:173]
	v_xor_b32_e32 v173, 0x80000000, v173
.LBB82_448:
	s_andn2_saveexec_b32 s1, s1
	s_cbranch_execz .LBB82_450
; %bb.449:
	v_div_scale_f64 v[185:186], null, v[170:171], v[170:171], v[172:173]
	v_div_scale_f64 v[191:192], vcc_lo, v[172:173], v[170:171], v[172:173]
	v_rcp_f64_e32 v[187:188], v[185:186]
	v_fma_f64 v[189:190], -v[185:186], v[187:188], 1.0
	v_fma_f64 v[187:188], v[187:188], v[189:190], v[187:188]
	v_fma_f64 v[189:190], -v[185:186], v[187:188], 1.0
	v_fma_f64 v[187:188], v[187:188], v[189:190], v[187:188]
	v_mul_f64 v[189:190], v[191:192], v[187:188]
	v_fma_f64 v[185:186], -v[185:186], v[189:190], v[191:192]
	v_div_fmas_f64 v[185:186], v[185:186], v[187:188], v[189:190]
	v_div_fixup_f64 v[185:186], v[185:186], v[170:171], v[172:173]
	v_fma_f64 v[170:171], v[172:173], v[185:186], v[170:171]
	v_div_scale_f64 v[172:173], null, v[170:171], v[170:171], 1.0
	v_rcp_f64_e32 v[187:188], v[172:173]
	v_fma_f64 v[189:190], -v[172:173], v[187:188], 1.0
	v_fma_f64 v[187:188], v[187:188], v[189:190], v[187:188]
	v_fma_f64 v[189:190], -v[172:173], v[187:188], 1.0
	v_fma_f64 v[187:188], v[187:188], v[189:190], v[187:188]
	v_div_scale_f64 v[189:190], vcc_lo, 1.0, v[170:171], 1.0
	v_mul_f64 v[191:192], v[189:190], v[187:188]
	v_fma_f64 v[172:173], -v[172:173], v[191:192], v[189:190]
	v_div_fmas_f64 v[172:173], v[172:173], v[187:188], v[191:192]
	v_div_fixup_f64 v[170:171], v[172:173], v[170:171], 1.0
	v_mul_f64 v[172:173], v[185:186], -v[170:171]
.LBB82_450:
	s_or_b32 exec_lo, exec_lo, s1
.LBB82_451:
	s_or_b32 exec_lo, exec_lo, s0
	s_mov_b32 s0, exec_lo
	v_cmpx_ne_u32_e64 v184, v178
	s_xor_b32 s0, exec_lo, s0
	s_cbranch_execz .LBB82_457
; %bb.452:
	s_mov_b32 s1, exec_lo
	v_cmpx_eq_u32_e32 21, v184
	s_cbranch_execz .LBB82_456
; %bb.453:
	v_cmp_ne_u32_e32 vcc_lo, 21, v178
	s_xor_b32 s2, s16, -1
	s_and_b32 s3, s2, vcc_lo
	s_and_saveexec_b32 s2, s3
	s_cbranch_execz .LBB82_455
; %bb.454:
	v_ashrrev_i32_e32 v179, 31, v178
	v_lshlrev_b64 v[184:185], 2, v[178:179]
	v_add_co_u32 v184, vcc_lo, v176, v184
	v_add_co_ci_u32_e64 v185, null, v177, v185, vcc_lo
	s_clause 0x1
	global_load_dword v0, v[184:185], off
	global_load_dword v179, v[176:177], off offset:84
	s_waitcnt vmcnt(1)
	global_store_dword v[176:177], v0, off offset:84
	s_waitcnt vmcnt(0)
	global_store_dword v[184:185], v179, off
.LBB82_455:
	s_or_b32 exec_lo, exec_lo, s2
	v_mov_b32_e32 v184, v178
	v_mov_b32_e32 v0, v178
.LBB82_456:
	s_or_b32 exec_lo, exec_lo, s1
.LBB82_457:
	s_andn2_saveexec_b32 s0, s0
	s_cbranch_execz .LBB82_459
; %bb.458:
	v_mov_b32_e32 v184, 21
	ds_write2_b64 v1, v[78:79], v[80:81] offset0:44 offset1:45
	ds_write2_b64 v1, v[74:75], v[76:77] offset0:46 offset1:47
	;; [unrolled: 1-line block ×20, first 2 shown]
.LBB82_459:
	s_or_b32 exec_lo, exec_lo, s0
	s_mov_b32 s0, exec_lo
	s_waitcnt lgkmcnt(0)
	s_waitcnt_vscnt null, 0x0
	s_barrier
	buffer_gl0_inv
	v_cmpx_lt_i32_e32 21, v184
	s_cbranch_execz .LBB82_461
; %bb.460:
	v_mul_f64 v[178:179], v[172:173], v[84:85]
	v_mul_f64 v[84:85], v[170:171], v[84:85]
	v_fma_f64 v[178:179], v[170:171], v[82:83], -v[178:179]
	v_fma_f64 v[84:85], v[172:173], v[82:83], v[84:85]
	ds_read2_b64 v[170:173], v1 offset0:44 offset1:45
	s_waitcnt lgkmcnt(0)
	v_mul_f64 v[82:83], v[172:173], v[84:85]
	v_fma_f64 v[82:83], v[170:171], v[178:179], -v[82:83]
	v_mul_f64 v[170:171], v[170:171], v[84:85]
	v_add_f64 v[78:79], v[78:79], -v[82:83]
	v_fma_f64 v[170:171], v[172:173], v[178:179], v[170:171]
	v_add_f64 v[80:81], v[80:81], -v[170:171]
	ds_read2_b64 v[170:173], v1 offset0:46 offset1:47
	s_waitcnt lgkmcnt(0)
	v_mul_f64 v[82:83], v[172:173], v[84:85]
	v_fma_f64 v[82:83], v[170:171], v[178:179], -v[82:83]
	v_mul_f64 v[170:171], v[170:171], v[84:85]
	v_add_f64 v[74:75], v[74:75], -v[82:83]
	v_fma_f64 v[170:171], v[172:173], v[178:179], v[170:171]
	v_add_f64 v[76:77], v[76:77], -v[170:171]
	;; [unrolled: 8-line block ×19, first 2 shown]
	ds_read2_b64 v[170:173], v1 offset0:82 offset1:83
	s_waitcnt lgkmcnt(0)
	v_mul_f64 v[82:83], v[172:173], v[84:85]
	v_fma_f64 v[82:83], v[170:171], v[178:179], -v[82:83]
	v_mul_f64 v[170:171], v[170:171], v[84:85]
	v_add_f64 v[2:3], v[2:3], -v[82:83]
	v_fma_f64 v[170:171], v[172:173], v[178:179], v[170:171]
	v_mov_b32_e32 v82, v178
	v_mov_b32_e32 v83, v179
	v_add_f64 v[4:5], v[4:5], -v[170:171]
.LBB82_461:
	s_or_b32 exec_lo, exec_lo, s0
	v_lshl_add_u32 v170, v184, 4, v1
	s_barrier
	buffer_gl0_inv
	v_mov_b32_e32 v178, 22
	ds_write2_b64 v170, v[78:79], v[80:81] offset1:1
	s_waitcnt lgkmcnt(0)
	s_barrier
	buffer_gl0_inv
	ds_read2_b64 v[170:173], v1 offset0:44 offset1:45
	s_cmp_lt_i32 s18, 24
	s_cbranch_scc1 .LBB82_464
; %bb.462:
	v_add3_u32 v179, v180, 0, 0x170
	v_mov_b32_e32 v178, 22
	s_mov_b32 s1, 23
	s_inst_prefetch 0x1
	.p2align	6
.LBB82_463:                             ; =>This Inner Loop Header: Depth=1
	s_waitcnt lgkmcnt(0)
	v_cmp_gt_f64_e32 vcc_lo, 0, v[172:173]
	v_cmp_gt_f64_e64 s0, 0, v[170:171]
	ds_read2_b64 v[185:188], v179 offset1:1
	v_xor_b32_e32 v190, 0x80000000, v171
	v_xor_b32_e32 v192, 0x80000000, v173
	v_mov_b32_e32 v189, v170
	v_mov_b32_e32 v191, v172
	v_add_nc_u32_e32 v179, 16, v179
	s_waitcnt lgkmcnt(0)
	v_xor_b32_e32 v194, 0x80000000, v188
	v_cndmask_b32_e64 v190, v171, v190, s0
	v_cndmask_b32_e32 v192, v173, v192, vcc_lo
	v_cmp_gt_f64_e32 vcc_lo, 0, v[187:188]
	v_cmp_gt_f64_e64 s0, 0, v[185:186]
	v_mov_b32_e32 v193, v187
	v_add_f64 v[189:190], v[189:190], v[191:192]
	v_xor_b32_e32 v192, 0x80000000, v186
	v_mov_b32_e32 v191, v185
	v_cndmask_b32_e32 v194, v188, v194, vcc_lo
	v_cndmask_b32_e64 v192, v186, v192, s0
	v_add_f64 v[191:192], v[191:192], v[193:194]
	v_cmp_lt_f64_e32 vcc_lo, v[189:190], v[191:192]
	v_cndmask_b32_e32 v171, v171, v186, vcc_lo
	v_cndmask_b32_e32 v170, v170, v185, vcc_lo
	;; [unrolled: 1-line block ×4, first 2 shown]
	v_cndmask_b32_e64 v178, v178, s1, vcc_lo
	s_add_i32 s1, s1, 1
	s_cmp_lg_u32 s18, s1
	s_cbranch_scc1 .LBB82_463
.LBB82_464:
	s_inst_prefetch 0x2
	s_waitcnt lgkmcnt(0)
	v_cmp_eq_f64_e32 vcc_lo, 0, v[170:171]
	v_cmp_eq_f64_e64 s0, 0, v[172:173]
	s_and_b32 s0, vcc_lo, s0
	s_and_saveexec_b32 s1, s0
	s_xor_b32 s0, exec_lo, s1
; %bb.465:
	v_cmp_ne_u32_e32 vcc_lo, 0, v183
	v_cndmask_b32_e32 v183, 23, v183, vcc_lo
; %bb.466:
	s_andn2_saveexec_b32 s0, s0
	s_cbranch_execz .LBB82_472
; %bb.467:
	v_cmp_ngt_f64_e64 s1, |v[170:171]|, |v[172:173]|
	s_and_saveexec_b32 s2, s1
	s_xor_b32 s1, exec_lo, s2
	s_cbranch_execz .LBB82_469
; %bb.468:
	v_div_scale_f64 v[185:186], null, v[172:173], v[172:173], v[170:171]
	v_div_scale_f64 v[191:192], vcc_lo, v[170:171], v[172:173], v[170:171]
	v_rcp_f64_e32 v[187:188], v[185:186]
	v_fma_f64 v[189:190], -v[185:186], v[187:188], 1.0
	v_fma_f64 v[187:188], v[187:188], v[189:190], v[187:188]
	v_fma_f64 v[189:190], -v[185:186], v[187:188], 1.0
	v_fma_f64 v[187:188], v[187:188], v[189:190], v[187:188]
	v_mul_f64 v[189:190], v[191:192], v[187:188]
	v_fma_f64 v[185:186], -v[185:186], v[189:190], v[191:192]
	v_div_fmas_f64 v[185:186], v[185:186], v[187:188], v[189:190]
	v_div_fixup_f64 v[185:186], v[185:186], v[172:173], v[170:171]
	v_fma_f64 v[170:171], v[170:171], v[185:186], v[172:173]
	v_div_scale_f64 v[172:173], null, v[170:171], v[170:171], 1.0
	v_rcp_f64_e32 v[187:188], v[172:173]
	v_fma_f64 v[189:190], -v[172:173], v[187:188], 1.0
	v_fma_f64 v[187:188], v[187:188], v[189:190], v[187:188]
	v_fma_f64 v[189:190], -v[172:173], v[187:188], 1.0
	v_fma_f64 v[187:188], v[187:188], v[189:190], v[187:188]
	v_div_scale_f64 v[189:190], vcc_lo, 1.0, v[170:171], 1.0
	v_mul_f64 v[191:192], v[189:190], v[187:188]
	v_fma_f64 v[172:173], -v[172:173], v[191:192], v[189:190]
	v_div_fmas_f64 v[172:173], v[172:173], v[187:188], v[191:192]
	v_div_fixup_f64 v[172:173], v[172:173], v[170:171], 1.0
	v_mul_f64 v[170:171], v[185:186], v[172:173]
	v_xor_b32_e32 v173, 0x80000000, v173
.LBB82_469:
	s_andn2_saveexec_b32 s1, s1
	s_cbranch_execz .LBB82_471
; %bb.470:
	v_div_scale_f64 v[185:186], null, v[170:171], v[170:171], v[172:173]
	v_div_scale_f64 v[191:192], vcc_lo, v[172:173], v[170:171], v[172:173]
	v_rcp_f64_e32 v[187:188], v[185:186]
	v_fma_f64 v[189:190], -v[185:186], v[187:188], 1.0
	v_fma_f64 v[187:188], v[187:188], v[189:190], v[187:188]
	v_fma_f64 v[189:190], -v[185:186], v[187:188], 1.0
	v_fma_f64 v[187:188], v[187:188], v[189:190], v[187:188]
	v_mul_f64 v[189:190], v[191:192], v[187:188]
	v_fma_f64 v[185:186], -v[185:186], v[189:190], v[191:192]
	v_div_fmas_f64 v[185:186], v[185:186], v[187:188], v[189:190]
	v_div_fixup_f64 v[185:186], v[185:186], v[170:171], v[172:173]
	v_fma_f64 v[170:171], v[172:173], v[185:186], v[170:171]
	v_div_scale_f64 v[172:173], null, v[170:171], v[170:171], 1.0
	v_rcp_f64_e32 v[187:188], v[172:173]
	v_fma_f64 v[189:190], -v[172:173], v[187:188], 1.0
	v_fma_f64 v[187:188], v[187:188], v[189:190], v[187:188]
	v_fma_f64 v[189:190], -v[172:173], v[187:188], 1.0
	v_fma_f64 v[187:188], v[187:188], v[189:190], v[187:188]
	v_div_scale_f64 v[189:190], vcc_lo, 1.0, v[170:171], 1.0
	v_mul_f64 v[191:192], v[189:190], v[187:188]
	v_fma_f64 v[172:173], -v[172:173], v[191:192], v[189:190]
	v_div_fmas_f64 v[172:173], v[172:173], v[187:188], v[191:192]
	v_div_fixup_f64 v[170:171], v[172:173], v[170:171], 1.0
	v_mul_f64 v[172:173], v[185:186], -v[170:171]
.LBB82_471:
	s_or_b32 exec_lo, exec_lo, s1
.LBB82_472:
	s_or_b32 exec_lo, exec_lo, s0
	s_mov_b32 s0, exec_lo
	v_cmpx_ne_u32_e64 v184, v178
	s_xor_b32 s0, exec_lo, s0
	s_cbranch_execz .LBB82_478
; %bb.473:
	s_mov_b32 s1, exec_lo
	v_cmpx_eq_u32_e32 22, v184
	s_cbranch_execz .LBB82_477
; %bb.474:
	v_cmp_ne_u32_e32 vcc_lo, 22, v178
	s_xor_b32 s2, s16, -1
	s_and_b32 s3, s2, vcc_lo
	s_and_saveexec_b32 s2, s3
	s_cbranch_execz .LBB82_476
; %bb.475:
	v_ashrrev_i32_e32 v179, 31, v178
	v_lshlrev_b64 v[184:185], 2, v[178:179]
	v_add_co_u32 v184, vcc_lo, v176, v184
	v_add_co_ci_u32_e64 v185, null, v177, v185, vcc_lo
	s_clause 0x1
	global_load_dword v0, v[184:185], off
	global_load_dword v179, v[176:177], off offset:88
	s_waitcnt vmcnt(1)
	global_store_dword v[176:177], v0, off offset:88
	s_waitcnt vmcnt(0)
	global_store_dword v[184:185], v179, off
.LBB82_476:
	s_or_b32 exec_lo, exec_lo, s2
	v_mov_b32_e32 v184, v178
	v_mov_b32_e32 v0, v178
.LBB82_477:
	s_or_b32 exec_lo, exec_lo, s1
.LBB82_478:
	s_andn2_saveexec_b32 s0, s0
	s_cbranch_execz .LBB82_480
; %bb.479:
	v_mov_b32_e32 v184, 22
	ds_write2_b64 v1, v[74:75], v[76:77] offset0:46 offset1:47
	ds_write2_b64 v1, v[70:71], v[72:73] offset0:48 offset1:49
	;; [unrolled: 1-line block ×19, first 2 shown]
.LBB82_480:
	s_or_b32 exec_lo, exec_lo, s0
	s_mov_b32 s0, exec_lo
	s_waitcnt lgkmcnt(0)
	s_waitcnt_vscnt null, 0x0
	s_barrier
	buffer_gl0_inv
	v_cmpx_lt_i32_e32 22, v184
	s_cbranch_execz .LBB82_482
; %bb.481:
	v_mul_f64 v[178:179], v[172:173], v[80:81]
	v_mul_f64 v[80:81], v[170:171], v[80:81]
	v_fma_f64 v[178:179], v[170:171], v[78:79], -v[178:179]
	v_fma_f64 v[80:81], v[172:173], v[78:79], v[80:81]
	ds_read2_b64 v[170:173], v1 offset0:46 offset1:47
	s_waitcnt lgkmcnt(0)
	v_mul_f64 v[78:79], v[172:173], v[80:81]
	v_fma_f64 v[78:79], v[170:171], v[178:179], -v[78:79]
	v_mul_f64 v[170:171], v[170:171], v[80:81]
	v_add_f64 v[74:75], v[74:75], -v[78:79]
	v_fma_f64 v[170:171], v[172:173], v[178:179], v[170:171]
	v_add_f64 v[76:77], v[76:77], -v[170:171]
	ds_read2_b64 v[170:173], v1 offset0:48 offset1:49
	s_waitcnt lgkmcnt(0)
	v_mul_f64 v[78:79], v[172:173], v[80:81]
	v_fma_f64 v[78:79], v[170:171], v[178:179], -v[78:79]
	v_mul_f64 v[170:171], v[170:171], v[80:81]
	v_add_f64 v[70:71], v[70:71], -v[78:79]
	v_fma_f64 v[170:171], v[172:173], v[178:179], v[170:171]
	v_add_f64 v[72:73], v[72:73], -v[170:171]
	;; [unrolled: 8-line block ×18, first 2 shown]
	ds_read2_b64 v[170:173], v1 offset0:82 offset1:83
	s_waitcnt lgkmcnt(0)
	v_mul_f64 v[78:79], v[172:173], v[80:81]
	v_fma_f64 v[78:79], v[170:171], v[178:179], -v[78:79]
	v_mul_f64 v[170:171], v[170:171], v[80:81]
	v_add_f64 v[2:3], v[2:3], -v[78:79]
	v_fma_f64 v[170:171], v[172:173], v[178:179], v[170:171]
	v_mov_b32_e32 v78, v178
	v_mov_b32_e32 v79, v179
	v_add_f64 v[4:5], v[4:5], -v[170:171]
.LBB82_482:
	s_or_b32 exec_lo, exec_lo, s0
	v_lshl_add_u32 v170, v184, 4, v1
	s_barrier
	buffer_gl0_inv
	v_mov_b32_e32 v178, 23
	ds_write2_b64 v170, v[74:75], v[76:77] offset1:1
	s_waitcnt lgkmcnt(0)
	s_barrier
	buffer_gl0_inv
	ds_read2_b64 v[170:173], v1 offset0:46 offset1:47
	s_cmp_lt_i32 s18, 25
	s_cbranch_scc1 .LBB82_485
; %bb.483:
	v_add3_u32 v179, v180, 0, 0x180
	v_mov_b32_e32 v178, 23
	s_mov_b32 s1, 24
	s_inst_prefetch 0x1
	.p2align	6
.LBB82_484:                             ; =>This Inner Loop Header: Depth=1
	s_waitcnt lgkmcnt(0)
	v_cmp_gt_f64_e32 vcc_lo, 0, v[172:173]
	v_cmp_gt_f64_e64 s0, 0, v[170:171]
	ds_read2_b64 v[185:188], v179 offset1:1
	v_xor_b32_e32 v190, 0x80000000, v171
	v_xor_b32_e32 v192, 0x80000000, v173
	v_mov_b32_e32 v189, v170
	v_mov_b32_e32 v191, v172
	v_add_nc_u32_e32 v179, 16, v179
	s_waitcnt lgkmcnt(0)
	v_xor_b32_e32 v194, 0x80000000, v188
	v_cndmask_b32_e64 v190, v171, v190, s0
	v_cndmask_b32_e32 v192, v173, v192, vcc_lo
	v_cmp_gt_f64_e32 vcc_lo, 0, v[187:188]
	v_cmp_gt_f64_e64 s0, 0, v[185:186]
	v_mov_b32_e32 v193, v187
	v_add_f64 v[189:190], v[189:190], v[191:192]
	v_xor_b32_e32 v192, 0x80000000, v186
	v_mov_b32_e32 v191, v185
	v_cndmask_b32_e32 v194, v188, v194, vcc_lo
	v_cndmask_b32_e64 v192, v186, v192, s0
	v_add_f64 v[191:192], v[191:192], v[193:194]
	v_cmp_lt_f64_e32 vcc_lo, v[189:190], v[191:192]
	v_cndmask_b32_e32 v171, v171, v186, vcc_lo
	v_cndmask_b32_e32 v170, v170, v185, vcc_lo
	;; [unrolled: 1-line block ×4, first 2 shown]
	v_cndmask_b32_e64 v178, v178, s1, vcc_lo
	s_add_i32 s1, s1, 1
	s_cmp_lg_u32 s18, s1
	s_cbranch_scc1 .LBB82_484
.LBB82_485:
	s_inst_prefetch 0x2
	s_waitcnt lgkmcnt(0)
	v_cmp_eq_f64_e32 vcc_lo, 0, v[170:171]
	v_cmp_eq_f64_e64 s0, 0, v[172:173]
	s_and_b32 s0, vcc_lo, s0
	s_and_saveexec_b32 s1, s0
	s_xor_b32 s0, exec_lo, s1
; %bb.486:
	v_cmp_ne_u32_e32 vcc_lo, 0, v183
	v_cndmask_b32_e32 v183, 24, v183, vcc_lo
; %bb.487:
	s_andn2_saveexec_b32 s0, s0
	s_cbranch_execz .LBB82_493
; %bb.488:
	v_cmp_ngt_f64_e64 s1, |v[170:171]|, |v[172:173]|
	s_and_saveexec_b32 s2, s1
	s_xor_b32 s1, exec_lo, s2
	s_cbranch_execz .LBB82_490
; %bb.489:
	v_div_scale_f64 v[185:186], null, v[172:173], v[172:173], v[170:171]
	v_div_scale_f64 v[191:192], vcc_lo, v[170:171], v[172:173], v[170:171]
	v_rcp_f64_e32 v[187:188], v[185:186]
	v_fma_f64 v[189:190], -v[185:186], v[187:188], 1.0
	v_fma_f64 v[187:188], v[187:188], v[189:190], v[187:188]
	v_fma_f64 v[189:190], -v[185:186], v[187:188], 1.0
	v_fma_f64 v[187:188], v[187:188], v[189:190], v[187:188]
	v_mul_f64 v[189:190], v[191:192], v[187:188]
	v_fma_f64 v[185:186], -v[185:186], v[189:190], v[191:192]
	v_div_fmas_f64 v[185:186], v[185:186], v[187:188], v[189:190]
	v_div_fixup_f64 v[185:186], v[185:186], v[172:173], v[170:171]
	v_fma_f64 v[170:171], v[170:171], v[185:186], v[172:173]
	v_div_scale_f64 v[172:173], null, v[170:171], v[170:171], 1.0
	v_rcp_f64_e32 v[187:188], v[172:173]
	v_fma_f64 v[189:190], -v[172:173], v[187:188], 1.0
	v_fma_f64 v[187:188], v[187:188], v[189:190], v[187:188]
	v_fma_f64 v[189:190], -v[172:173], v[187:188], 1.0
	v_fma_f64 v[187:188], v[187:188], v[189:190], v[187:188]
	v_div_scale_f64 v[189:190], vcc_lo, 1.0, v[170:171], 1.0
	v_mul_f64 v[191:192], v[189:190], v[187:188]
	v_fma_f64 v[172:173], -v[172:173], v[191:192], v[189:190]
	v_div_fmas_f64 v[172:173], v[172:173], v[187:188], v[191:192]
	v_div_fixup_f64 v[172:173], v[172:173], v[170:171], 1.0
	v_mul_f64 v[170:171], v[185:186], v[172:173]
	v_xor_b32_e32 v173, 0x80000000, v173
.LBB82_490:
	s_andn2_saveexec_b32 s1, s1
	s_cbranch_execz .LBB82_492
; %bb.491:
	v_div_scale_f64 v[185:186], null, v[170:171], v[170:171], v[172:173]
	v_div_scale_f64 v[191:192], vcc_lo, v[172:173], v[170:171], v[172:173]
	v_rcp_f64_e32 v[187:188], v[185:186]
	v_fma_f64 v[189:190], -v[185:186], v[187:188], 1.0
	v_fma_f64 v[187:188], v[187:188], v[189:190], v[187:188]
	v_fma_f64 v[189:190], -v[185:186], v[187:188], 1.0
	v_fma_f64 v[187:188], v[187:188], v[189:190], v[187:188]
	v_mul_f64 v[189:190], v[191:192], v[187:188]
	v_fma_f64 v[185:186], -v[185:186], v[189:190], v[191:192]
	v_div_fmas_f64 v[185:186], v[185:186], v[187:188], v[189:190]
	v_div_fixup_f64 v[185:186], v[185:186], v[170:171], v[172:173]
	v_fma_f64 v[170:171], v[172:173], v[185:186], v[170:171]
	v_div_scale_f64 v[172:173], null, v[170:171], v[170:171], 1.0
	v_rcp_f64_e32 v[187:188], v[172:173]
	v_fma_f64 v[189:190], -v[172:173], v[187:188], 1.0
	v_fma_f64 v[187:188], v[187:188], v[189:190], v[187:188]
	v_fma_f64 v[189:190], -v[172:173], v[187:188], 1.0
	v_fma_f64 v[187:188], v[187:188], v[189:190], v[187:188]
	v_div_scale_f64 v[189:190], vcc_lo, 1.0, v[170:171], 1.0
	v_mul_f64 v[191:192], v[189:190], v[187:188]
	v_fma_f64 v[172:173], -v[172:173], v[191:192], v[189:190]
	v_div_fmas_f64 v[172:173], v[172:173], v[187:188], v[191:192]
	v_div_fixup_f64 v[170:171], v[172:173], v[170:171], 1.0
	v_mul_f64 v[172:173], v[185:186], -v[170:171]
.LBB82_492:
	s_or_b32 exec_lo, exec_lo, s1
.LBB82_493:
	s_or_b32 exec_lo, exec_lo, s0
	s_mov_b32 s0, exec_lo
	v_cmpx_ne_u32_e64 v184, v178
	s_xor_b32 s0, exec_lo, s0
	s_cbranch_execz .LBB82_499
; %bb.494:
	s_mov_b32 s1, exec_lo
	v_cmpx_eq_u32_e32 23, v184
	s_cbranch_execz .LBB82_498
; %bb.495:
	v_cmp_ne_u32_e32 vcc_lo, 23, v178
	s_xor_b32 s2, s16, -1
	s_and_b32 s3, s2, vcc_lo
	s_and_saveexec_b32 s2, s3
	s_cbranch_execz .LBB82_497
; %bb.496:
	v_ashrrev_i32_e32 v179, 31, v178
	v_lshlrev_b64 v[184:185], 2, v[178:179]
	v_add_co_u32 v184, vcc_lo, v176, v184
	v_add_co_ci_u32_e64 v185, null, v177, v185, vcc_lo
	s_clause 0x1
	global_load_dword v0, v[184:185], off
	global_load_dword v179, v[176:177], off offset:92
	s_waitcnt vmcnt(1)
	global_store_dword v[176:177], v0, off offset:92
	s_waitcnt vmcnt(0)
	global_store_dword v[184:185], v179, off
.LBB82_497:
	s_or_b32 exec_lo, exec_lo, s2
	v_mov_b32_e32 v184, v178
	v_mov_b32_e32 v0, v178
.LBB82_498:
	s_or_b32 exec_lo, exec_lo, s1
.LBB82_499:
	s_andn2_saveexec_b32 s0, s0
	s_cbranch_execz .LBB82_501
; %bb.500:
	v_mov_b32_e32 v184, 23
	ds_write2_b64 v1, v[70:71], v[72:73] offset0:48 offset1:49
	ds_write2_b64 v1, v[66:67], v[68:69] offset0:50 offset1:51
	ds_write2_b64 v1, v[62:63], v[64:65] offset0:52 offset1:53
	ds_write2_b64 v1, v[58:59], v[60:61] offset0:54 offset1:55
	ds_write2_b64 v1, v[54:55], v[56:57] offset0:56 offset1:57
	ds_write2_b64 v1, v[50:51], v[52:53] offset0:58 offset1:59
	ds_write2_b64 v1, v[46:47], v[48:49] offset0:60 offset1:61
	ds_write2_b64 v1, v[42:43], v[44:45] offset0:62 offset1:63
	ds_write2_b64 v1, v[38:39], v[40:41] offset0:64 offset1:65
	ds_write2_b64 v1, v[34:35], v[36:37] offset0:66 offset1:67
	ds_write2_b64 v1, v[30:31], v[32:33] offset0:68 offset1:69
	ds_write2_b64 v1, v[26:27], v[28:29] offset0:70 offset1:71
	ds_write2_b64 v1, v[22:23], v[24:25] offset0:72 offset1:73
	ds_write2_b64 v1, v[18:19], v[20:21] offset0:74 offset1:75
	ds_write2_b64 v1, v[14:15], v[16:17] offset0:76 offset1:77
	ds_write2_b64 v1, v[10:11], v[12:13] offset0:78 offset1:79
	ds_write2_b64 v1, v[6:7], v[8:9] offset0:80 offset1:81
	ds_write2_b64 v1, v[2:3], v[4:5] offset0:82 offset1:83
.LBB82_501:
	s_or_b32 exec_lo, exec_lo, s0
	s_mov_b32 s0, exec_lo
	s_waitcnt lgkmcnt(0)
	s_waitcnt_vscnt null, 0x0
	s_barrier
	buffer_gl0_inv
	v_cmpx_lt_i32_e32 23, v184
	s_cbranch_execz .LBB82_503
; %bb.502:
	v_mul_f64 v[178:179], v[172:173], v[76:77]
	v_mul_f64 v[76:77], v[170:171], v[76:77]
	v_fma_f64 v[178:179], v[170:171], v[74:75], -v[178:179]
	v_fma_f64 v[76:77], v[172:173], v[74:75], v[76:77]
	ds_read2_b64 v[170:173], v1 offset0:48 offset1:49
	s_waitcnt lgkmcnt(0)
	v_mul_f64 v[74:75], v[172:173], v[76:77]
	v_fma_f64 v[74:75], v[170:171], v[178:179], -v[74:75]
	v_mul_f64 v[170:171], v[170:171], v[76:77]
	v_add_f64 v[70:71], v[70:71], -v[74:75]
	v_fma_f64 v[170:171], v[172:173], v[178:179], v[170:171]
	v_add_f64 v[72:73], v[72:73], -v[170:171]
	ds_read2_b64 v[170:173], v1 offset0:50 offset1:51
	s_waitcnt lgkmcnt(0)
	v_mul_f64 v[74:75], v[172:173], v[76:77]
	v_fma_f64 v[74:75], v[170:171], v[178:179], -v[74:75]
	v_mul_f64 v[170:171], v[170:171], v[76:77]
	v_add_f64 v[66:67], v[66:67], -v[74:75]
	v_fma_f64 v[170:171], v[172:173], v[178:179], v[170:171]
	v_add_f64 v[68:69], v[68:69], -v[170:171]
	;; [unrolled: 8-line block ×17, first 2 shown]
	ds_read2_b64 v[170:173], v1 offset0:82 offset1:83
	s_waitcnt lgkmcnt(0)
	v_mul_f64 v[74:75], v[172:173], v[76:77]
	v_fma_f64 v[74:75], v[170:171], v[178:179], -v[74:75]
	v_mul_f64 v[170:171], v[170:171], v[76:77]
	v_add_f64 v[2:3], v[2:3], -v[74:75]
	v_fma_f64 v[170:171], v[172:173], v[178:179], v[170:171]
	v_mov_b32_e32 v74, v178
	v_mov_b32_e32 v75, v179
	v_add_f64 v[4:5], v[4:5], -v[170:171]
.LBB82_503:
	s_or_b32 exec_lo, exec_lo, s0
	v_lshl_add_u32 v170, v184, 4, v1
	s_barrier
	buffer_gl0_inv
	v_mov_b32_e32 v178, 24
	ds_write2_b64 v170, v[70:71], v[72:73] offset1:1
	s_waitcnt lgkmcnt(0)
	s_barrier
	buffer_gl0_inv
	ds_read2_b64 v[170:173], v1 offset0:48 offset1:49
	s_cmp_lt_i32 s18, 26
	s_cbranch_scc1 .LBB82_506
; %bb.504:
	v_add3_u32 v179, v180, 0, 0x190
	v_mov_b32_e32 v178, 24
	s_mov_b32 s1, 25
	s_inst_prefetch 0x1
	.p2align	6
.LBB82_505:                             ; =>This Inner Loop Header: Depth=1
	s_waitcnt lgkmcnt(0)
	v_cmp_gt_f64_e32 vcc_lo, 0, v[172:173]
	v_cmp_gt_f64_e64 s0, 0, v[170:171]
	ds_read2_b64 v[185:188], v179 offset1:1
	v_xor_b32_e32 v190, 0x80000000, v171
	v_xor_b32_e32 v192, 0x80000000, v173
	v_mov_b32_e32 v189, v170
	v_mov_b32_e32 v191, v172
	v_add_nc_u32_e32 v179, 16, v179
	s_waitcnt lgkmcnt(0)
	v_xor_b32_e32 v194, 0x80000000, v188
	v_cndmask_b32_e64 v190, v171, v190, s0
	v_cndmask_b32_e32 v192, v173, v192, vcc_lo
	v_cmp_gt_f64_e32 vcc_lo, 0, v[187:188]
	v_cmp_gt_f64_e64 s0, 0, v[185:186]
	v_mov_b32_e32 v193, v187
	v_add_f64 v[189:190], v[189:190], v[191:192]
	v_xor_b32_e32 v192, 0x80000000, v186
	v_mov_b32_e32 v191, v185
	v_cndmask_b32_e32 v194, v188, v194, vcc_lo
	v_cndmask_b32_e64 v192, v186, v192, s0
	v_add_f64 v[191:192], v[191:192], v[193:194]
	v_cmp_lt_f64_e32 vcc_lo, v[189:190], v[191:192]
	v_cndmask_b32_e32 v171, v171, v186, vcc_lo
	v_cndmask_b32_e32 v170, v170, v185, vcc_lo
	;; [unrolled: 1-line block ×4, first 2 shown]
	v_cndmask_b32_e64 v178, v178, s1, vcc_lo
	s_add_i32 s1, s1, 1
	s_cmp_lg_u32 s18, s1
	s_cbranch_scc1 .LBB82_505
.LBB82_506:
	s_inst_prefetch 0x2
	s_waitcnt lgkmcnt(0)
	v_cmp_eq_f64_e32 vcc_lo, 0, v[170:171]
	v_cmp_eq_f64_e64 s0, 0, v[172:173]
	s_and_b32 s0, vcc_lo, s0
	s_and_saveexec_b32 s1, s0
	s_xor_b32 s0, exec_lo, s1
; %bb.507:
	v_cmp_ne_u32_e32 vcc_lo, 0, v183
	v_cndmask_b32_e32 v183, 25, v183, vcc_lo
; %bb.508:
	s_andn2_saveexec_b32 s0, s0
	s_cbranch_execz .LBB82_514
; %bb.509:
	v_cmp_ngt_f64_e64 s1, |v[170:171]|, |v[172:173]|
	s_and_saveexec_b32 s2, s1
	s_xor_b32 s1, exec_lo, s2
	s_cbranch_execz .LBB82_511
; %bb.510:
	v_div_scale_f64 v[185:186], null, v[172:173], v[172:173], v[170:171]
	v_div_scale_f64 v[191:192], vcc_lo, v[170:171], v[172:173], v[170:171]
	v_rcp_f64_e32 v[187:188], v[185:186]
	v_fma_f64 v[189:190], -v[185:186], v[187:188], 1.0
	v_fma_f64 v[187:188], v[187:188], v[189:190], v[187:188]
	v_fma_f64 v[189:190], -v[185:186], v[187:188], 1.0
	v_fma_f64 v[187:188], v[187:188], v[189:190], v[187:188]
	v_mul_f64 v[189:190], v[191:192], v[187:188]
	v_fma_f64 v[185:186], -v[185:186], v[189:190], v[191:192]
	v_div_fmas_f64 v[185:186], v[185:186], v[187:188], v[189:190]
	v_div_fixup_f64 v[185:186], v[185:186], v[172:173], v[170:171]
	v_fma_f64 v[170:171], v[170:171], v[185:186], v[172:173]
	v_div_scale_f64 v[172:173], null, v[170:171], v[170:171], 1.0
	v_rcp_f64_e32 v[187:188], v[172:173]
	v_fma_f64 v[189:190], -v[172:173], v[187:188], 1.0
	v_fma_f64 v[187:188], v[187:188], v[189:190], v[187:188]
	v_fma_f64 v[189:190], -v[172:173], v[187:188], 1.0
	v_fma_f64 v[187:188], v[187:188], v[189:190], v[187:188]
	v_div_scale_f64 v[189:190], vcc_lo, 1.0, v[170:171], 1.0
	v_mul_f64 v[191:192], v[189:190], v[187:188]
	v_fma_f64 v[172:173], -v[172:173], v[191:192], v[189:190]
	v_div_fmas_f64 v[172:173], v[172:173], v[187:188], v[191:192]
	v_div_fixup_f64 v[172:173], v[172:173], v[170:171], 1.0
	v_mul_f64 v[170:171], v[185:186], v[172:173]
	v_xor_b32_e32 v173, 0x80000000, v173
.LBB82_511:
	s_andn2_saveexec_b32 s1, s1
	s_cbranch_execz .LBB82_513
; %bb.512:
	v_div_scale_f64 v[185:186], null, v[170:171], v[170:171], v[172:173]
	v_div_scale_f64 v[191:192], vcc_lo, v[172:173], v[170:171], v[172:173]
	v_rcp_f64_e32 v[187:188], v[185:186]
	v_fma_f64 v[189:190], -v[185:186], v[187:188], 1.0
	v_fma_f64 v[187:188], v[187:188], v[189:190], v[187:188]
	v_fma_f64 v[189:190], -v[185:186], v[187:188], 1.0
	v_fma_f64 v[187:188], v[187:188], v[189:190], v[187:188]
	v_mul_f64 v[189:190], v[191:192], v[187:188]
	v_fma_f64 v[185:186], -v[185:186], v[189:190], v[191:192]
	v_div_fmas_f64 v[185:186], v[185:186], v[187:188], v[189:190]
	v_div_fixup_f64 v[185:186], v[185:186], v[170:171], v[172:173]
	v_fma_f64 v[170:171], v[172:173], v[185:186], v[170:171]
	v_div_scale_f64 v[172:173], null, v[170:171], v[170:171], 1.0
	v_rcp_f64_e32 v[187:188], v[172:173]
	v_fma_f64 v[189:190], -v[172:173], v[187:188], 1.0
	v_fma_f64 v[187:188], v[187:188], v[189:190], v[187:188]
	v_fma_f64 v[189:190], -v[172:173], v[187:188], 1.0
	v_fma_f64 v[187:188], v[187:188], v[189:190], v[187:188]
	v_div_scale_f64 v[189:190], vcc_lo, 1.0, v[170:171], 1.0
	v_mul_f64 v[191:192], v[189:190], v[187:188]
	v_fma_f64 v[172:173], -v[172:173], v[191:192], v[189:190]
	v_div_fmas_f64 v[172:173], v[172:173], v[187:188], v[191:192]
	v_div_fixup_f64 v[170:171], v[172:173], v[170:171], 1.0
	v_mul_f64 v[172:173], v[185:186], -v[170:171]
.LBB82_513:
	s_or_b32 exec_lo, exec_lo, s1
.LBB82_514:
	s_or_b32 exec_lo, exec_lo, s0
	s_mov_b32 s0, exec_lo
	v_cmpx_ne_u32_e64 v184, v178
	s_xor_b32 s0, exec_lo, s0
	s_cbranch_execz .LBB82_520
; %bb.515:
	s_mov_b32 s1, exec_lo
	v_cmpx_eq_u32_e32 24, v184
	s_cbranch_execz .LBB82_519
; %bb.516:
	v_cmp_ne_u32_e32 vcc_lo, 24, v178
	s_xor_b32 s2, s16, -1
	s_and_b32 s3, s2, vcc_lo
	s_and_saveexec_b32 s2, s3
	s_cbranch_execz .LBB82_518
; %bb.517:
	v_ashrrev_i32_e32 v179, 31, v178
	v_lshlrev_b64 v[184:185], 2, v[178:179]
	v_add_co_u32 v184, vcc_lo, v176, v184
	v_add_co_ci_u32_e64 v185, null, v177, v185, vcc_lo
	s_clause 0x1
	global_load_dword v0, v[184:185], off
	global_load_dword v179, v[176:177], off offset:96
	s_waitcnt vmcnt(1)
	global_store_dword v[176:177], v0, off offset:96
	s_waitcnt vmcnt(0)
	global_store_dword v[184:185], v179, off
.LBB82_518:
	s_or_b32 exec_lo, exec_lo, s2
	v_mov_b32_e32 v184, v178
	v_mov_b32_e32 v0, v178
.LBB82_519:
	s_or_b32 exec_lo, exec_lo, s1
.LBB82_520:
	s_andn2_saveexec_b32 s0, s0
	s_cbranch_execz .LBB82_522
; %bb.521:
	v_mov_b32_e32 v184, 24
	ds_write2_b64 v1, v[66:67], v[68:69] offset0:50 offset1:51
	ds_write2_b64 v1, v[62:63], v[64:65] offset0:52 offset1:53
	;; [unrolled: 1-line block ×17, first 2 shown]
.LBB82_522:
	s_or_b32 exec_lo, exec_lo, s0
	s_mov_b32 s0, exec_lo
	s_waitcnt lgkmcnt(0)
	s_waitcnt_vscnt null, 0x0
	s_barrier
	buffer_gl0_inv
	v_cmpx_lt_i32_e32 24, v184
	s_cbranch_execz .LBB82_524
; %bb.523:
	v_mul_f64 v[178:179], v[172:173], v[72:73]
	v_mul_f64 v[72:73], v[170:171], v[72:73]
	v_fma_f64 v[178:179], v[170:171], v[70:71], -v[178:179]
	v_fma_f64 v[72:73], v[172:173], v[70:71], v[72:73]
	ds_read2_b64 v[170:173], v1 offset0:50 offset1:51
	s_waitcnt lgkmcnt(0)
	v_mul_f64 v[70:71], v[172:173], v[72:73]
	v_fma_f64 v[70:71], v[170:171], v[178:179], -v[70:71]
	v_mul_f64 v[170:171], v[170:171], v[72:73]
	v_add_f64 v[66:67], v[66:67], -v[70:71]
	v_fma_f64 v[170:171], v[172:173], v[178:179], v[170:171]
	v_add_f64 v[68:69], v[68:69], -v[170:171]
	ds_read2_b64 v[170:173], v1 offset0:52 offset1:53
	s_waitcnt lgkmcnt(0)
	v_mul_f64 v[70:71], v[172:173], v[72:73]
	v_fma_f64 v[70:71], v[170:171], v[178:179], -v[70:71]
	v_mul_f64 v[170:171], v[170:171], v[72:73]
	v_add_f64 v[62:63], v[62:63], -v[70:71]
	v_fma_f64 v[170:171], v[172:173], v[178:179], v[170:171]
	v_add_f64 v[64:65], v[64:65], -v[170:171]
	;; [unrolled: 8-line block ×16, first 2 shown]
	ds_read2_b64 v[170:173], v1 offset0:82 offset1:83
	s_waitcnt lgkmcnt(0)
	v_mul_f64 v[70:71], v[172:173], v[72:73]
	v_fma_f64 v[70:71], v[170:171], v[178:179], -v[70:71]
	v_mul_f64 v[170:171], v[170:171], v[72:73]
	v_add_f64 v[2:3], v[2:3], -v[70:71]
	v_fma_f64 v[170:171], v[172:173], v[178:179], v[170:171]
	v_mov_b32_e32 v70, v178
	v_mov_b32_e32 v71, v179
	v_add_f64 v[4:5], v[4:5], -v[170:171]
.LBB82_524:
	s_or_b32 exec_lo, exec_lo, s0
	v_lshl_add_u32 v170, v184, 4, v1
	s_barrier
	buffer_gl0_inv
	v_mov_b32_e32 v178, 25
	ds_write2_b64 v170, v[66:67], v[68:69] offset1:1
	s_waitcnt lgkmcnt(0)
	s_barrier
	buffer_gl0_inv
	ds_read2_b64 v[170:173], v1 offset0:50 offset1:51
	s_cmp_lt_i32 s18, 27
	s_cbranch_scc1 .LBB82_527
; %bb.525:
	v_add3_u32 v179, v180, 0, 0x1a0
	v_mov_b32_e32 v178, 25
	s_mov_b32 s1, 26
	s_inst_prefetch 0x1
	.p2align	6
.LBB82_526:                             ; =>This Inner Loop Header: Depth=1
	s_waitcnt lgkmcnt(0)
	v_cmp_gt_f64_e32 vcc_lo, 0, v[172:173]
	v_cmp_gt_f64_e64 s0, 0, v[170:171]
	ds_read2_b64 v[185:188], v179 offset1:1
	v_xor_b32_e32 v190, 0x80000000, v171
	v_xor_b32_e32 v192, 0x80000000, v173
	v_mov_b32_e32 v189, v170
	v_mov_b32_e32 v191, v172
	v_add_nc_u32_e32 v179, 16, v179
	s_waitcnt lgkmcnt(0)
	v_xor_b32_e32 v194, 0x80000000, v188
	v_cndmask_b32_e64 v190, v171, v190, s0
	v_cndmask_b32_e32 v192, v173, v192, vcc_lo
	v_cmp_gt_f64_e32 vcc_lo, 0, v[187:188]
	v_cmp_gt_f64_e64 s0, 0, v[185:186]
	v_mov_b32_e32 v193, v187
	v_add_f64 v[189:190], v[189:190], v[191:192]
	v_xor_b32_e32 v192, 0x80000000, v186
	v_mov_b32_e32 v191, v185
	v_cndmask_b32_e32 v194, v188, v194, vcc_lo
	v_cndmask_b32_e64 v192, v186, v192, s0
	v_add_f64 v[191:192], v[191:192], v[193:194]
	v_cmp_lt_f64_e32 vcc_lo, v[189:190], v[191:192]
	v_cndmask_b32_e32 v171, v171, v186, vcc_lo
	v_cndmask_b32_e32 v170, v170, v185, vcc_lo
	;; [unrolled: 1-line block ×4, first 2 shown]
	v_cndmask_b32_e64 v178, v178, s1, vcc_lo
	s_add_i32 s1, s1, 1
	s_cmp_lg_u32 s18, s1
	s_cbranch_scc1 .LBB82_526
.LBB82_527:
	s_inst_prefetch 0x2
	s_waitcnt lgkmcnt(0)
	v_cmp_eq_f64_e32 vcc_lo, 0, v[170:171]
	v_cmp_eq_f64_e64 s0, 0, v[172:173]
	s_and_b32 s0, vcc_lo, s0
	s_and_saveexec_b32 s1, s0
	s_xor_b32 s0, exec_lo, s1
; %bb.528:
	v_cmp_ne_u32_e32 vcc_lo, 0, v183
	v_cndmask_b32_e32 v183, 26, v183, vcc_lo
; %bb.529:
	s_andn2_saveexec_b32 s0, s0
	s_cbranch_execz .LBB82_535
; %bb.530:
	v_cmp_ngt_f64_e64 s1, |v[170:171]|, |v[172:173]|
	s_and_saveexec_b32 s2, s1
	s_xor_b32 s1, exec_lo, s2
	s_cbranch_execz .LBB82_532
; %bb.531:
	v_div_scale_f64 v[185:186], null, v[172:173], v[172:173], v[170:171]
	v_div_scale_f64 v[191:192], vcc_lo, v[170:171], v[172:173], v[170:171]
	v_rcp_f64_e32 v[187:188], v[185:186]
	v_fma_f64 v[189:190], -v[185:186], v[187:188], 1.0
	v_fma_f64 v[187:188], v[187:188], v[189:190], v[187:188]
	v_fma_f64 v[189:190], -v[185:186], v[187:188], 1.0
	v_fma_f64 v[187:188], v[187:188], v[189:190], v[187:188]
	v_mul_f64 v[189:190], v[191:192], v[187:188]
	v_fma_f64 v[185:186], -v[185:186], v[189:190], v[191:192]
	v_div_fmas_f64 v[185:186], v[185:186], v[187:188], v[189:190]
	v_div_fixup_f64 v[185:186], v[185:186], v[172:173], v[170:171]
	v_fma_f64 v[170:171], v[170:171], v[185:186], v[172:173]
	v_div_scale_f64 v[172:173], null, v[170:171], v[170:171], 1.0
	v_rcp_f64_e32 v[187:188], v[172:173]
	v_fma_f64 v[189:190], -v[172:173], v[187:188], 1.0
	v_fma_f64 v[187:188], v[187:188], v[189:190], v[187:188]
	v_fma_f64 v[189:190], -v[172:173], v[187:188], 1.0
	v_fma_f64 v[187:188], v[187:188], v[189:190], v[187:188]
	v_div_scale_f64 v[189:190], vcc_lo, 1.0, v[170:171], 1.0
	v_mul_f64 v[191:192], v[189:190], v[187:188]
	v_fma_f64 v[172:173], -v[172:173], v[191:192], v[189:190]
	v_div_fmas_f64 v[172:173], v[172:173], v[187:188], v[191:192]
	v_div_fixup_f64 v[172:173], v[172:173], v[170:171], 1.0
	v_mul_f64 v[170:171], v[185:186], v[172:173]
	v_xor_b32_e32 v173, 0x80000000, v173
.LBB82_532:
	s_andn2_saveexec_b32 s1, s1
	s_cbranch_execz .LBB82_534
; %bb.533:
	v_div_scale_f64 v[185:186], null, v[170:171], v[170:171], v[172:173]
	v_div_scale_f64 v[191:192], vcc_lo, v[172:173], v[170:171], v[172:173]
	v_rcp_f64_e32 v[187:188], v[185:186]
	v_fma_f64 v[189:190], -v[185:186], v[187:188], 1.0
	v_fma_f64 v[187:188], v[187:188], v[189:190], v[187:188]
	v_fma_f64 v[189:190], -v[185:186], v[187:188], 1.0
	v_fma_f64 v[187:188], v[187:188], v[189:190], v[187:188]
	v_mul_f64 v[189:190], v[191:192], v[187:188]
	v_fma_f64 v[185:186], -v[185:186], v[189:190], v[191:192]
	v_div_fmas_f64 v[185:186], v[185:186], v[187:188], v[189:190]
	v_div_fixup_f64 v[185:186], v[185:186], v[170:171], v[172:173]
	v_fma_f64 v[170:171], v[172:173], v[185:186], v[170:171]
	v_div_scale_f64 v[172:173], null, v[170:171], v[170:171], 1.0
	v_rcp_f64_e32 v[187:188], v[172:173]
	v_fma_f64 v[189:190], -v[172:173], v[187:188], 1.0
	v_fma_f64 v[187:188], v[187:188], v[189:190], v[187:188]
	v_fma_f64 v[189:190], -v[172:173], v[187:188], 1.0
	v_fma_f64 v[187:188], v[187:188], v[189:190], v[187:188]
	v_div_scale_f64 v[189:190], vcc_lo, 1.0, v[170:171], 1.0
	v_mul_f64 v[191:192], v[189:190], v[187:188]
	v_fma_f64 v[172:173], -v[172:173], v[191:192], v[189:190]
	v_div_fmas_f64 v[172:173], v[172:173], v[187:188], v[191:192]
	v_div_fixup_f64 v[170:171], v[172:173], v[170:171], 1.0
	v_mul_f64 v[172:173], v[185:186], -v[170:171]
.LBB82_534:
	s_or_b32 exec_lo, exec_lo, s1
.LBB82_535:
	s_or_b32 exec_lo, exec_lo, s0
	s_mov_b32 s0, exec_lo
	v_cmpx_ne_u32_e64 v184, v178
	s_xor_b32 s0, exec_lo, s0
	s_cbranch_execz .LBB82_541
; %bb.536:
	s_mov_b32 s1, exec_lo
	v_cmpx_eq_u32_e32 25, v184
	s_cbranch_execz .LBB82_540
; %bb.537:
	v_cmp_ne_u32_e32 vcc_lo, 25, v178
	s_xor_b32 s2, s16, -1
	s_and_b32 s3, s2, vcc_lo
	s_and_saveexec_b32 s2, s3
	s_cbranch_execz .LBB82_539
; %bb.538:
	v_ashrrev_i32_e32 v179, 31, v178
	v_lshlrev_b64 v[184:185], 2, v[178:179]
	v_add_co_u32 v184, vcc_lo, v176, v184
	v_add_co_ci_u32_e64 v185, null, v177, v185, vcc_lo
	s_clause 0x1
	global_load_dword v0, v[184:185], off
	global_load_dword v179, v[176:177], off offset:100
	s_waitcnt vmcnt(1)
	global_store_dword v[176:177], v0, off offset:100
	s_waitcnt vmcnt(0)
	global_store_dword v[184:185], v179, off
.LBB82_539:
	s_or_b32 exec_lo, exec_lo, s2
	v_mov_b32_e32 v184, v178
	v_mov_b32_e32 v0, v178
.LBB82_540:
	s_or_b32 exec_lo, exec_lo, s1
.LBB82_541:
	s_andn2_saveexec_b32 s0, s0
	s_cbranch_execz .LBB82_543
; %bb.542:
	v_mov_b32_e32 v184, 25
	ds_write2_b64 v1, v[62:63], v[64:65] offset0:52 offset1:53
	ds_write2_b64 v1, v[58:59], v[60:61] offset0:54 offset1:55
	;; [unrolled: 1-line block ×16, first 2 shown]
.LBB82_543:
	s_or_b32 exec_lo, exec_lo, s0
	s_mov_b32 s0, exec_lo
	s_waitcnt lgkmcnt(0)
	s_waitcnt_vscnt null, 0x0
	s_barrier
	buffer_gl0_inv
	v_cmpx_lt_i32_e32 25, v184
	s_cbranch_execz .LBB82_545
; %bb.544:
	v_mul_f64 v[178:179], v[170:171], v[68:69]
	v_mul_f64 v[68:69], v[172:173], v[68:69]
	v_fma_f64 v[178:179], v[172:173], v[66:67], v[178:179]
	v_fma_f64 v[66:67], v[170:171], v[66:67], -v[68:69]
	ds_read2_b64 v[170:173], v1 offset0:52 offset1:53
	s_waitcnt lgkmcnt(0)
	v_mul_f64 v[68:69], v[172:173], v[178:179]
	v_fma_f64 v[68:69], v[170:171], v[66:67], -v[68:69]
	v_mul_f64 v[170:171], v[170:171], v[178:179]
	v_add_f64 v[62:63], v[62:63], -v[68:69]
	v_fma_f64 v[170:171], v[172:173], v[66:67], v[170:171]
	v_add_f64 v[64:65], v[64:65], -v[170:171]
	ds_read2_b64 v[170:173], v1 offset0:54 offset1:55
	s_waitcnt lgkmcnt(0)
	v_mul_f64 v[68:69], v[172:173], v[178:179]
	v_fma_f64 v[68:69], v[170:171], v[66:67], -v[68:69]
	v_mul_f64 v[170:171], v[170:171], v[178:179]
	v_add_f64 v[58:59], v[58:59], -v[68:69]
	v_fma_f64 v[170:171], v[172:173], v[66:67], v[170:171]
	v_add_f64 v[60:61], v[60:61], -v[170:171]
	;; [unrolled: 8-line block ×15, first 2 shown]
	ds_read2_b64 v[170:173], v1 offset0:82 offset1:83
	s_waitcnt lgkmcnt(0)
	v_mul_f64 v[68:69], v[172:173], v[178:179]
	v_fma_f64 v[68:69], v[170:171], v[66:67], -v[68:69]
	v_mul_f64 v[170:171], v[170:171], v[178:179]
	v_add_f64 v[2:3], v[2:3], -v[68:69]
	v_fma_f64 v[170:171], v[172:173], v[66:67], v[170:171]
	v_mov_b32_e32 v68, v178
	v_mov_b32_e32 v69, v179
	v_add_f64 v[4:5], v[4:5], -v[170:171]
.LBB82_545:
	s_or_b32 exec_lo, exec_lo, s0
	v_lshl_add_u32 v170, v184, 4, v1
	s_barrier
	buffer_gl0_inv
	v_mov_b32_e32 v178, 26
	ds_write2_b64 v170, v[62:63], v[64:65] offset1:1
	s_waitcnt lgkmcnt(0)
	s_barrier
	buffer_gl0_inv
	ds_read2_b64 v[170:173], v1 offset0:52 offset1:53
	s_cmp_lt_i32 s18, 28
	s_cbranch_scc1 .LBB82_548
; %bb.546:
	v_add3_u32 v179, v180, 0, 0x1b0
	v_mov_b32_e32 v178, 26
	s_mov_b32 s1, 27
	s_inst_prefetch 0x1
	.p2align	6
.LBB82_547:                             ; =>This Inner Loop Header: Depth=1
	s_waitcnt lgkmcnt(0)
	v_cmp_gt_f64_e32 vcc_lo, 0, v[172:173]
	v_cmp_gt_f64_e64 s0, 0, v[170:171]
	ds_read2_b64 v[185:188], v179 offset1:1
	v_xor_b32_e32 v190, 0x80000000, v171
	v_xor_b32_e32 v192, 0x80000000, v173
	v_mov_b32_e32 v189, v170
	v_mov_b32_e32 v191, v172
	v_add_nc_u32_e32 v179, 16, v179
	s_waitcnt lgkmcnt(0)
	v_xor_b32_e32 v194, 0x80000000, v188
	v_cndmask_b32_e64 v190, v171, v190, s0
	v_cndmask_b32_e32 v192, v173, v192, vcc_lo
	v_cmp_gt_f64_e32 vcc_lo, 0, v[187:188]
	v_cmp_gt_f64_e64 s0, 0, v[185:186]
	v_mov_b32_e32 v193, v187
	v_add_f64 v[189:190], v[189:190], v[191:192]
	v_xor_b32_e32 v192, 0x80000000, v186
	v_mov_b32_e32 v191, v185
	v_cndmask_b32_e32 v194, v188, v194, vcc_lo
	v_cndmask_b32_e64 v192, v186, v192, s0
	v_add_f64 v[191:192], v[191:192], v[193:194]
	v_cmp_lt_f64_e32 vcc_lo, v[189:190], v[191:192]
	v_cndmask_b32_e32 v171, v171, v186, vcc_lo
	v_cndmask_b32_e32 v170, v170, v185, vcc_lo
	v_cndmask_b32_e32 v173, v173, v188, vcc_lo
	v_cndmask_b32_e32 v172, v172, v187, vcc_lo
	v_cndmask_b32_e64 v178, v178, s1, vcc_lo
	s_add_i32 s1, s1, 1
	s_cmp_lg_u32 s18, s1
	s_cbranch_scc1 .LBB82_547
.LBB82_548:
	s_inst_prefetch 0x2
	s_waitcnt lgkmcnt(0)
	v_cmp_eq_f64_e32 vcc_lo, 0, v[170:171]
	v_cmp_eq_f64_e64 s0, 0, v[172:173]
	s_and_b32 s0, vcc_lo, s0
	s_and_saveexec_b32 s1, s0
	s_xor_b32 s0, exec_lo, s1
; %bb.549:
	v_cmp_ne_u32_e32 vcc_lo, 0, v183
	v_cndmask_b32_e32 v183, 27, v183, vcc_lo
; %bb.550:
	s_andn2_saveexec_b32 s0, s0
	s_cbranch_execz .LBB82_556
; %bb.551:
	v_cmp_ngt_f64_e64 s1, |v[170:171]|, |v[172:173]|
	s_and_saveexec_b32 s2, s1
	s_xor_b32 s1, exec_lo, s2
	s_cbranch_execz .LBB82_553
; %bb.552:
	v_div_scale_f64 v[185:186], null, v[172:173], v[172:173], v[170:171]
	v_div_scale_f64 v[191:192], vcc_lo, v[170:171], v[172:173], v[170:171]
	v_rcp_f64_e32 v[187:188], v[185:186]
	v_fma_f64 v[189:190], -v[185:186], v[187:188], 1.0
	v_fma_f64 v[187:188], v[187:188], v[189:190], v[187:188]
	v_fma_f64 v[189:190], -v[185:186], v[187:188], 1.0
	v_fma_f64 v[187:188], v[187:188], v[189:190], v[187:188]
	v_mul_f64 v[189:190], v[191:192], v[187:188]
	v_fma_f64 v[185:186], -v[185:186], v[189:190], v[191:192]
	v_div_fmas_f64 v[185:186], v[185:186], v[187:188], v[189:190]
	v_div_fixup_f64 v[185:186], v[185:186], v[172:173], v[170:171]
	v_fma_f64 v[170:171], v[170:171], v[185:186], v[172:173]
	v_div_scale_f64 v[172:173], null, v[170:171], v[170:171], 1.0
	v_rcp_f64_e32 v[187:188], v[172:173]
	v_fma_f64 v[189:190], -v[172:173], v[187:188], 1.0
	v_fma_f64 v[187:188], v[187:188], v[189:190], v[187:188]
	v_fma_f64 v[189:190], -v[172:173], v[187:188], 1.0
	v_fma_f64 v[187:188], v[187:188], v[189:190], v[187:188]
	v_div_scale_f64 v[189:190], vcc_lo, 1.0, v[170:171], 1.0
	v_mul_f64 v[191:192], v[189:190], v[187:188]
	v_fma_f64 v[172:173], -v[172:173], v[191:192], v[189:190]
	v_div_fmas_f64 v[172:173], v[172:173], v[187:188], v[191:192]
	v_div_fixup_f64 v[172:173], v[172:173], v[170:171], 1.0
	v_mul_f64 v[170:171], v[185:186], v[172:173]
	v_xor_b32_e32 v173, 0x80000000, v173
.LBB82_553:
	s_andn2_saveexec_b32 s1, s1
	s_cbranch_execz .LBB82_555
; %bb.554:
	v_div_scale_f64 v[185:186], null, v[170:171], v[170:171], v[172:173]
	v_div_scale_f64 v[191:192], vcc_lo, v[172:173], v[170:171], v[172:173]
	v_rcp_f64_e32 v[187:188], v[185:186]
	v_fma_f64 v[189:190], -v[185:186], v[187:188], 1.0
	v_fma_f64 v[187:188], v[187:188], v[189:190], v[187:188]
	v_fma_f64 v[189:190], -v[185:186], v[187:188], 1.0
	v_fma_f64 v[187:188], v[187:188], v[189:190], v[187:188]
	v_mul_f64 v[189:190], v[191:192], v[187:188]
	v_fma_f64 v[185:186], -v[185:186], v[189:190], v[191:192]
	v_div_fmas_f64 v[185:186], v[185:186], v[187:188], v[189:190]
	v_div_fixup_f64 v[185:186], v[185:186], v[170:171], v[172:173]
	v_fma_f64 v[170:171], v[172:173], v[185:186], v[170:171]
	v_div_scale_f64 v[172:173], null, v[170:171], v[170:171], 1.0
	v_rcp_f64_e32 v[187:188], v[172:173]
	v_fma_f64 v[189:190], -v[172:173], v[187:188], 1.0
	v_fma_f64 v[187:188], v[187:188], v[189:190], v[187:188]
	v_fma_f64 v[189:190], -v[172:173], v[187:188], 1.0
	v_fma_f64 v[187:188], v[187:188], v[189:190], v[187:188]
	v_div_scale_f64 v[189:190], vcc_lo, 1.0, v[170:171], 1.0
	v_mul_f64 v[191:192], v[189:190], v[187:188]
	v_fma_f64 v[172:173], -v[172:173], v[191:192], v[189:190]
	v_div_fmas_f64 v[172:173], v[172:173], v[187:188], v[191:192]
	v_div_fixup_f64 v[170:171], v[172:173], v[170:171], 1.0
	v_mul_f64 v[172:173], v[185:186], -v[170:171]
.LBB82_555:
	s_or_b32 exec_lo, exec_lo, s1
.LBB82_556:
	s_or_b32 exec_lo, exec_lo, s0
	s_mov_b32 s0, exec_lo
	v_cmpx_ne_u32_e64 v184, v178
	s_xor_b32 s0, exec_lo, s0
	s_cbranch_execz .LBB82_562
; %bb.557:
	s_mov_b32 s1, exec_lo
	v_cmpx_eq_u32_e32 26, v184
	s_cbranch_execz .LBB82_561
; %bb.558:
	v_cmp_ne_u32_e32 vcc_lo, 26, v178
	s_xor_b32 s2, s16, -1
	s_and_b32 s3, s2, vcc_lo
	s_and_saveexec_b32 s2, s3
	s_cbranch_execz .LBB82_560
; %bb.559:
	v_ashrrev_i32_e32 v179, 31, v178
	v_lshlrev_b64 v[184:185], 2, v[178:179]
	v_add_co_u32 v184, vcc_lo, v176, v184
	v_add_co_ci_u32_e64 v185, null, v177, v185, vcc_lo
	s_clause 0x1
	global_load_dword v0, v[184:185], off
	global_load_dword v179, v[176:177], off offset:104
	s_waitcnt vmcnt(1)
	global_store_dword v[176:177], v0, off offset:104
	s_waitcnt vmcnt(0)
	global_store_dword v[184:185], v179, off
.LBB82_560:
	s_or_b32 exec_lo, exec_lo, s2
	v_mov_b32_e32 v184, v178
	v_mov_b32_e32 v0, v178
.LBB82_561:
	s_or_b32 exec_lo, exec_lo, s1
.LBB82_562:
	s_andn2_saveexec_b32 s0, s0
	s_cbranch_execz .LBB82_564
; %bb.563:
	v_mov_b32_e32 v184, 26
	ds_write2_b64 v1, v[58:59], v[60:61] offset0:54 offset1:55
	ds_write2_b64 v1, v[54:55], v[56:57] offset0:56 offset1:57
	;; [unrolled: 1-line block ×15, first 2 shown]
.LBB82_564:
	s_or_b32 exec_lo, exec_lo, s0
	s_mov_b32 s0, exec_lo
	s_waitcnt lgkmcnt(0)
	s_waitcnt_vscnt null, 0x0
	s_barrier
	buffer_gl0_inv
	v_cmpx_lt_i32_e32 26, v184
	s_cbranch_execz .LBB82_566
; %bb.565:
	v_mul_f64 v[178:179], v[170:171], v[64:65]
	v_mul_f64 v[64:65], v[172:173], v[64:65]
	v_fma_f64 v[178:179], v[172:173], v[62:63], v[178:179]
	v_fma_f64 v[62:63], v[170:171], v[62:63], -v[64:65]
	ds_read2_b64 v[170:173], v1 offset0:54 offset1:55
	s_waitcnt lgkmcnt(0)
	v_mul_f64 v[64:65], v[172:173], v[178:179]
	v_fma_f64 v[64:65], v[170:171], v[62:63], -v[64:65]
	v_mul_f64 v[170:171], v[170:171], v[178:179]
	v_add_f64 v[58:59], v[58:59], -v[64:65]
	v_fma_f64 v[170:171], v[172:173], v[62:63], v[170:171]
	v_add_f64 v[60:61], v[60:61], -v[170:171]
	ds_read2_b64 v[170:173], v1 offset0:56 offset1:57
	s_waitcnt lgkmcnt(0)
	v_mul_f64 v[64:65], v[172:173], v[178:179]
	v_fma_f64 v[64:65], v[170:171], v[62:63], -v[64:65]
	v_mul_f64 v[170:171], v[170:171], v[178:179]
	v_add_f64 v[54:55], v[54:55], -v[64:65]
	v_fma_f64 v[170:171], v[172:173], v[62:63], v[170:171]
	v_add_f64 v[56:57], v[56:57], -v[170:171]
	;; [unrolled: 8-line block ×14, first 2 shown]
	ds_read2_b64 v[170:173], v1 offset0:82 offset1:83
	s_waitcnt lgkmcnt(0)
	v_mul_f64 v[64:65], v[172:173], v[178:179]
	v_fma_f64 v[64:65], v[170:171], v[62:63], -v[64:65]
	v_mul_f64 v[170:171], v[170:171], v[178:179]
	v_add_f64 v[2:3], v[2:3], -v[64:65]
	v_fma_f64 v[170:171], v[172:173], v[62:63], v[170:171]
	v_mov_b32_e32 v64, v178
	v_mov_b32_e32 v65, v179
	v_add_f64 v[4:5], v[4:5], -v[170:171]
.LBB82_566:
	s_or_b32 exec_lo, exec_lo, s0
	v_lshl_add_u32 v170, v184, 4, v1
	s_barrier
	buffer_gl0_inv
	v_mov_b32_e32 v178, 27
	ds_write2_b64 v170, v[58:59], v[60:61] offset1:1
	s_waitcnt lgkmcnt(0)
	s_barrier
	buffer_gl0_inv
	ds_read2_b64 v[170:173], v1 offset0:54 offset1:55
	s_cmp_lt_i32 s18, 29
	s_cbranch_scc1 .LBB82_569
; %bb.567:
	v_add3_u32 v179, v180, 0, 0x1c0
	v_mov_b32_e32 v178, 27
	s_mov_b32 s1, 28
	s_inst_prefetch 0x1
	.p2align	6
.LBB82_568:                             ; =>This Inner Loop Header: Depth=1
	s_waitcnt lgkmcnt(0)
	v_cmp_gt_f64_e32 vcc_lo, 0, v[172:173]
	v_cmp_gt_f64_e64 s0, 0, v[170:171]
	ds_read2_b64 v[185:188], v179 offset1:1
	v_xor_b32_e32 v190, 0x80000000, v171
	v_xor_b32_e32 v192, 0x80000000, v173
	v_mov_b32_e32 v189, v170
	v_mov_b32_e32 v191, v172
	v_add_nc_u32_e32 v179, 16, v179
	s_waitcnt lgkmcnt(0)
	v_xor_b32_e32 v194, 0x80000000, v188
	v_cndmask_b32_e64 v190, v171, v190, s0
	v_cndmask_b32_e32 v192, v173, v192, vcc_lo
	v_cmp_gt_f64_e32 vcc_lo, 0, v[187:188]
	v_cmp_gt_f64_e64 s0, 0, v[185:186]
	v_mov_b32_e32 v193, v187
	v_add_f64 v[189:190], v[189:190], v[191:192]
	v_xor_b32_e32 v192, 0x80000000, v186
	v_mov_b32_e32 v191, v185
	v_cndmask_b32_e32 v194, v188, v194, vcc_lo
	v_cndmask_b32_e64 v192, v186, v192, s0
	v_add_f64 v[191:192], v[191:192], v[193:194]
	v_cmp_lt_f64_e32 vcc_lo, v[189:190], v[191:192]
	v_cndmask_b32_e32 v171, v171, v186, vcc_lo
	v_cndmask_b32_e32 v170, v170, v185, vcc_lo
	v_cndmask_b32_e32 v173, v173, v188, vcc_lo
	v_cndmask_b32_e32 v172, v172, v187, vcc_lo
	v_cndmask_b32_e64 v178, v178, s1, vcc_lo
	s_add_i32 s1, s1, 1
	s_cmp_lg_u32 s18, s1
	s_cbranch_scc1 .LBB82_568
.LBB82_569:
	s_inst_prefetch 0x2
	s_waitcnt lgkmcnt(0)
	v_cmp_eq_f64_e32 vcc_lo, 0, v[170:171]
	v_cmp_eq_f64_e64 s0, 0, v[172:173]
	s_and_b32 s0, vcc_lo, s0
	s_and_saveexec_b32 s1, s0
	s_xor_b32 s0, exec_lo, s1
; %bb.570:
	v_cmp_ne_u32_e32 vcc_lo, 0, v183
	v_cndmask_b32_e32 v183, 28, v183, vcc_lo
; %bb.571:
	s_andn2_saveexec_b32 s0, s0
	s_cbranch_execz .LBB82_577
; %bb.572:
	v_cmp_ngt_f64_e64 s1, |v[170:171]|, |v[172:173]|
	s_and_saveexec_b32 s2, s1
	s_xor_b32 s1, exec_lo, s2
	s_cbranch_execz .LBB82_574
; %bb.573:
	v_div_scale_f64 v[185:186], null, v[172:173], v[172:173], v[170:171]
	v_div_scale_f64 v[191:192], vcc_lo, v[170:171], v[172:173], v[170:171]
	v_rcp_f64_e32 v[187:188], v[185:186]
	v_fma_f64 v[189:190], -v[185:186], v[187:188], 1.0
	v_fma_f64 v[187:188], v[187:188], v[189:190], v[187:188]
	v_fma_f64 v[189:190], -v[185:186], v[187:188], 1.0
	v_fma_f64 v[187:188], v[187:188], v[189:190], v[187:188]
	v_mul_f64 v[189:190], v[191:192], v[187:188]
	v_fma_f64 v[185:186], -v[185:186], v[189:190], v[191:192]
	v_div_fmas_f64 v[185:186], v[185:186], v[187:188], v[189:190]
	v_div_fixup_f64 v[185:186], v[185:186], v[172:173], v[170:171]
	v_fma_f64 v[170:171], v[170:171], v[185:186], v[172:173]
	v_div_scale_f64 v[172:173], null, v[170:171], v[170:171], 1.0
	v_rcp_f64_e32 v[187:188], v[172:173]
	v_fma_f64 v[189:190], -v[172:173], v[187:188], 1.0
	v_fma_f64 v[187:188], v[187:188], v[189:190], v[187:188]
	v_fma_f64 v[189:190], -v[172:173], v[187:188], 1.0
	v_fma_f64 v[187:188], v[187:188], v[189:190], v[187:188]
	v_div_scale_f64 v[189:190], vcc_lo, 1.0, v[170:171], 1.0
	v_mul_f64 v[191:192], v[189:190], v[187:188]
	v_fma_f64 v[172:173], -v[172:173], v[191:192], v[189:190]
	v_div_fmas_f64 v[172:173], v[172:173], v[187:188], v[191:192]
	v_div_fixup_f64 v[172:173], v[172:173], v[170:171], 1.0
	v_mul_f64 v[170:171], v[185:186], v[172:173]
	v_xor_b32_e32 v173, 0x80000000, v173
.LBB82_574:
	s_andn2_saveexec_b32 s1, s1
	s_cbranch_execz .LBB82_576
; %bb.575:
	v_div_scale_f64 v[185:186], null, v[170:171], v[170:171], v[172:173]
	v_div_scale_f64 v[191:192], vcc_lo, v[172:173], v[170:171], v[172:173]
	v_rcp_f64_e32 v[187:188], v[185:186]
	v_fma_f64 v[189:190], -v[185:186], v[187:188], 1.0
	v_fma_f64 v[187:188], v[187:188], v[189:190], v[187:188]
	v_fma_f64 v[189:190], -v[185:186], v[187:188], 1.0
	v_fma_f64 v[187:188], v[187:188], v[189:190], v[187:188]
	v_mul_f64 v[189:190], v[191:192], v[187:188]
	v_fma_f64 v[185:186], -v[185:186], v[189:190], v[191:192]
	v_div_fmas_f64 v[185:186], v[185:186], v[187:188], v[189:190]
	v_div_fixup_f64 v[185:186], v[185:186], v[170:171], v[172:173]
	v_fma_f64 v[170:171], v[172:173], v[185:186], v[170:171]
	v_div_scale_f64 v[172:173], null, v[170:171], v[170:171], 1.0
	v_rcp_f64_e32 v[187:188], v[172:173]
	v_fma_f64 v[189:190], -v[172:173], v[187:188], 1.0
	v_fma_f64 v[187:188], v[187:188], v[189:190], v[187:188]
	v_fma_f64 v[189:190], -v[172:173], v[187:188], 1.0
	v_fma_f64 v[187:188], v[187:188], v[189:190], v[187:188]
	v_div_scale_f64 v[189:190], vcc_lo, 1.0, v[170:171], 1.0
	v_mul_f64 v[191:192], v[189:190], v[187:188]
	v_fma_f64 v[172:173], -v[172:173], v[191:192], v[189:190]
	v_div_fmas_f64 v[172:173], v[172:173], v[187:188], v[191:192]
	v_div_fixup_f64 v[170:171], v[172:173], v[170:171], 1.0
	v_mul_f64 v[172:173], v[185:186], -v[170:171]
.LBB82_576:
	s_or_b32 exec_lo, exec_lo, s1
.LBB82_577:
	s_or_b32 exec_lo, exec_lo, s0
	s_mov_b32 s0, exec_lo
	v_cmpx_ne_u32_e64 v184, v178
	s_xor_b32 s0, exec_lo, s0
	s_cbranch_execz .LBB82_583
; %bb.578:
	s_mov_b32 s1, exec_lo
	v_cmpx_eq_u32_e32 27, v184
	s_cbranch_execz .LBB82_582
; %bb.579:
	v_cmp_ne_u32_e32 vcc_lo, 27, v178
	s_xor_b32 s2, s16, -1
	s_and_b32 s3, s2, vcc_lo
	s_and_saveexec_b32 s2, s3
	s_cbranch_execz .LBB82_581
; %bb.580:
	v_ashrrev_i32_e32 v179, 31, v178
	v_lshlrev_b64 v[184:185], 2, v[178:179]
	v_add_co_u32 v184, vcc_lo, v176, v184
	v_add_co_ci_u32_e64 v185, null, v177, v185, vcc_lo
	s_clause 0x1
	global_load_dword v0, v[184:185], off
	global_load_dword v179, v[176:177], off offset:108
	s_waitcnt vmcnt(1)
	global_store_dword v[176:177], v0, off offset:108
	s_waitcnt vmcnt(0)
	global_store_dword v[184:185], v179, off
.LBB82_581:
	s_or_b32 exec_lo, exec_lo, s2
	v_mov_b32_e32 v184, v178
	v_mov_b32_e32 v0, v178
.LBB82_582:
	s_or_b32 exec_lo, exec_lo, s1
.LBB82_583:
	s_andn2_saveexec_b32 s0, s0
	s_cbranch_execz .LBB82_585
; %bb.584:
	v_mov_b32_e32 v184, 27
	ds_write2_b64 v1, v[54:55], v[56:57] offset0:56 offset1:57
	ds_write2_b64 v1, v[50:51], v[52:53] offset0:58 offset1:59
	;; [unrolled: 1-line block ×14, first 2 shown]
.LBB82_585:
	s_or_b32 exec_lo, exec_lo, s0
	s_mov_b32 s0, exec_lo
	s_waitcnt lgkmcnt(0)
	s_waitcnt_vscnt null, 0x0
	s_barrier
	buffer_gl0_inv
	v_cmpx_lt_i32_e32 27, v184
	s_cbranch_execz .LBB82_587
; %bb.586:
	v_mul_f64 v[178:179], v[170:171], v[60:61]
	v_mul_f64 v[60:61], v[172:173], v[60:61]
	v_fma_f64 v[178:179], v[172:173], v[58:59], v[178:179]
	v_fma_f64 v[58:59], v[170:171], v[58:59], -v[60:61]
	ds_read2_b64 v[170:173], v1 offset0:56 offset1:57
	s_waitcnt lgkmcnt(0)
	v_mul_f64 v[60:61], v[172:173], v[178:179]
	v_fma_f64 v[60:61], v[170:171], v[58:59], -v[60:61]
	v_mul_f64 v[170:171], v[170:171], v[178:179]
	v_add_f64 v[54:55], v[54:55], -v[60:61]
	v_fma_f64 v[170:171], v[172:173], v[58:59], v[170:171]
	v_add_f64 v[56:57], v[56:57], -v[170:171]
	ds_read2_b64 v[170:173], v1 offset0:58 offset1:59
	s_waitcnt lgkmcnt(0)
	v_mul_f64 v[60:61], v[172:173], v[178:179]
	v_fma_f64 v[60:61], v[170:171], v[58:59], -v[60:61]
	v_mul_f64 v[170:171], v[170:171], v[178:179]
	v_add_f64 v[50:51], v[50:51], -v[60:61]
	v_fma_f64 v[170:171], v[172:173], v[58:59], v[170:171]
	v_add_f64 v[52:53], v[52:53], -v[170:171]
	ds_read2_b64 v[170:173], v1 offset0:60 offset1:61
	s_waitcnt lgkmcnt(0)
	v_mul_f64 v[60:61], v[172:173], v[178:179]
	v_fma_f64 v[60:61], v[170:171], v[58:59], -v[60:61]
	v_mul_f64 v[170:171], v[170:171], v[178:179]
	v_add_f64 v[46:47], v[46:47], -v[60:61]
	v_fma_f64 v[170:171], v[172:173], v[58:59], v[170:171]
	v_add_f64 v[48:49], v[48:49], -v[170:171]
	ds_read2_b64 v[170:173], v1 offset0:62 offset1:63
	s_waitcnt lgkmcnt(0)
	v_mul_f64 v[60:61], v[172:173], v[178:179]
	v_fma_f64 v[60:61], v[170:171], v[58:59], -v[60:61]
	v_mul_f64 v[170:171], v[170:171], v[178:179]
	v_add_f64 v[42:43], v[42:43], -v[60:61]
	v_fma_f64 v[170:171], v[172:173], v[58:59], v[170:171]
	v_add_f64 v[44:45], v[44:45], -v[170:171]
	ds_read2_b64 v[170:173], v1 offset0:64 offset1:65
	s_waitcnt lgkmcnt(0)
	v_mul_f64 v[60:61], v[172:173], v[178:179]
	v_fma_f64 v[60:61], v[170:171], v[58:59], -v[60:61]
	v_mul_f64 v[170:171], v[170:171], v[178:179]
	v_add_f64 v[38:39], v[38:39], -v[60:61]
	v_fma_f64 v[170:171], v[172:173], v[58:59], v[170:171]
	v_add_f64 v[40:41], v[40:41], -v[170:171]
	ds_read2_b64 v[170:173], v1 offset0:66 offset1:67
	s_waitcnt lgkmcnt(0)
	v_mul_f64 v[60:61], v[172:173], v[178:179]
	v_fma_f64 v[60:61], v[170:171], v[58:59], -v[60:61]
	v_mul_f64 v[170:171], v[170:171], v[178:179]
	v_add_f64 v[34:35], v[34:35], -v[60:61]
	v_fma_f64 v[170:171], v[172:173], v[58:59], v[170:171]
	v_add_f64 v[36:37], v[36:37], -v[170:171]
	ds_read2_b64 v[170:173], v1 offset0:68 offset1:69
	s_waitcnt lgkmcnt(0)
	v_mul_f64 v[60:61], v[172:173], v[178:179]
	v_fma_f64 v[60:61], v[170:171], v[58:59], -v[60:61]
	v_mul_f64 v[170:171], v[170:171], v[178:179]
	v_add_f64 v[30:31], v[30:31], -v[60:61]
	v_fma_f64 v[170:171], v[172:173], v[58:59], v[170:171]
	v_add_f64 v[32:33], v[32:33], -v[170:171]
	ds_read2_b64 v[170:173], v1 offset0:70 offset1:71
	s_waitcnt lgkmcnt(0)
	v_mul_f64 v[60:61], v[172:173], v[178:179]
	v_fma_f64 v[60:61], v[170:171], v[58:59], -v[60:61]
	v_mul_f64 v[170:171], v[170:171], v[178:179]
	v_add_f64 v[26:27], v[26:27], -v[60:61]
	v_fma_f64 v[170:171], v[172:173], v[58:59], v[170:171]
	v_add_f64 v[28:29], v[28:29], -v[170:171]
	ds_read2_b64 v[170:173], v1 offset0:72 offset1:73
	s_waitcnt lgkmcnt(0)
	v_mul_f64 v[60:61], v[172:173], v[178:179]
	v_fma_f64 v[60:61], v[170:171], v[58:59], -v[60:61]
	v_mul_f64 v[170:171], v[170:171], v[178:179]
	v_add_f64 v[22:23], v[22:23], -v[60:61]
	v_fma_f64 v[170:171], v[172:173], v[58:59], v[170:171]
	v_add_f64 v[24:25], v[24:25], -v[170:171]
	ds_read2_b64 v[170:173], v1 offset0:74 offset1:75
	s_waitcnt lgkmcnt(0)
	v_mul_f64 v[60:61], v[172:173], v[178:179]
	v_fma_f64 v[60:61], v[170:171], v[58:59], -v[60:61]
	v_mul_f64 v[170:171], v[170:171], v[178:179]
	v_add_f64 v[18:19], v[18:19], -v[60:61]
	v_fma_f64 v[170:171], v[172:173], v[58:59], v[170:171]
	v_add_f64 v[20:21], v[20:21], -v[170:171]
	ds_read2_b64 v[170:173], v1 offset0:76 offset1:77
	s_waitcnt lgkmcnt(0)
	v_mul_f64 v[60:61], v[172:173], v[178:179]
	v_fma_f64 v[60:61], v[170:171], v[58:59], -v[60:61]
	v_mul_f64 v[170:171], v[170:171], v[178:179]
	v_add_f64 v[14:15], v[14:15], -v[60:61]
	v_fma_f64 v[170:171], v[172:173], v[58:59], v[170:171]
	v_add_f64 v[16:17], v[16:17], -v[170:171]
	ds_read2_b64 v[170:173], v1 offset0:78 offset1:79
	s_waitcnt lgkmcnt(0)
	v_mul_f64 v[60:61], v[172:173], v[178:179]
	v_fma_f64 v[60:61], v[170:171], v[58:59], -v[60:61]
	v_mul_f64 v[170:171], v[170:171], v[178:179]
	v_add_f64 v[10:11], v[10:11], -v[60:61]
	v_fma_f64 v[170:171], v[172:173], v[58:59], v[170:171]
	v_add_f64 v[12:13], v[12:13], -v[170:171]
	ds_read2_b64 v[170:173], v1 offset0:80 offset1:81
	s_waitcnt lgkmcnt(0)
	v_mul_f64 v[60:61], v[172:173], v[178:179]
	v_fma_f64 v[60:61], v[170:171], v[58:59], -v[60:61]
	v_mul_f64 v[170:171], v[170:171], v[178:179]
	v_add_f64 v[6:7], v[6:7], -v[60:61]
	v_fma_f64 v[170:171], v[172:173], v[58:59], v[170:171]
	v_add_f64 v[8:9], v[8:9], -v[170:171]
	ds_read2_b64 v[170:173], v1 offset0:82 offset1:83
	s_waitcnt lgkmcnt(0)
	v_mul_f64 v[60:61], v[172:173], v[178:179]
	v_fma_f64 v[60:61], v[170:171], v[58:59], -v[60:61]
	v_mul_f64 v[170:171], v[170:171], v[178:179]
	v_add_f64 v[2:3], v[2:3], -v[60:61]
	v_fma_f64 v[170:171], v[172:173], v[58:59], v[170:171]
	v_mov_b32_e32 v60, v178
	v_mov_b32_e32 v61, v179
	v_add_f64 v[4:5], v[4:5], -v[170:171]
.LBB82_587:
	s_or_b32 exec_lo, exec_lo, s0
	v_lshl_add_u32 v170, v184, 4, v1
	s_barrier
	buffer_gl0_inv
	v_mov_b32_e32 v178, 28
	ds_write2_b64 v170, v[54:55], v[56:57] offset1:1
	s_waitcnt lgkmcnt(0)
	s_barrier
	buffer_gl0_inv
	ds_read2_b64 v[170:173], v1 offset0:56 offset1:57
	s_cmp_lt_i32 s18, 30
	s_cbranch_scc1 .LBB82_590
; %bb.588:
	v_add3_u32 v179, v180, 0, 0x1d0
	v_mov_b32_e32 v178, 28
	s_mov_b32 s1, 29
	s_inst_prefetch 0x1
	.p2align	6
.LBB82_589:                             ; =>This Inner Loop Header: Depth=1
	s_waitcnt lgkmcnt(0)
	v_cmp_gt_f64_e32 vcc_lo, 0, v[172:173]
	v_cmp_gt_f64_e64 s0, 0, v[170:171]
	ds_read2_b64 v[185:188], v179 offset1:1
	v_xor_b32_e32 v190, 0x80000000, v171
	v_xor_b32_e32 v192, 0x80000000, v173
	v_mov_b32_e32 v189, v170
	v_mov_b32_e32 v191, v172
	v_add_nc_u32_e32 v179, 16, v179
	s_waitcnt lgkmcnt(0)
	v_xor_b32_e32 v194, 0x80000000, v188
	v_cndmask_b32_e64 v190, v171, v190, s0
	v_cndmask_b32_e32 v192, v173, v192, vcc_lo
	v_cmp_gt_f64_e32 vcc_lo, 0, v[187:188]
	v_cmp_gt_f64_e64 s0, 0, v[185:186]
	v_mov_b32_e32 v193, v187
	v_add_f64 v[189:190], v[189:190], v[191:192]
	v_xor_b32_e32 v192, 0x80000000, v186
	v_mov_b32_e32 v191, v185
	v_cndmask_b32_e32 v194, v188, v194, vcc_lo
	v_cndmask_b32_e64 v192, v186, v192, s0
	v_add_f64 v[191:192], v[191:192], v[193:194]
	v_cmp_lt_f64_e32 vcc_lo, v[189:190], v[191:192]
	v_cndmask_b32_e32 v171, v171, v186, vcc_lo
	v_cndmask_b32_e32 v170, v170, v185, vcc_lo
	;; [unrolled: 1-line block ×4, first 2 shown]
	v_cndmask_b32_e64 v178, v178, s1, vcc_lo
	s_add_i32 s1, s1, 1
	s_cmp_lg_u32 s18, s1
	s_cbranch_scc1 .LBB82_589
.LBB82_590:
	s_inst_prefetch 0x2
	s_waitcnt lgkmcnt(0)
	v_cmp_eq_f64_e32 vcc_lo, 0, v[170:171]
	v_cmp_eq_f64_e64 s0, 0, v[172:173]
	s_and_b32 s0, vcc_lo, s0
	s_and_saveexec_b32 s1, s0
	s_xor_b32 s0, exec_lo, s1
; %bb.591:
	v_cmp_ne_u32_e32 vcc_lo, 0, v183
	v_cndmask_b32_e32 v183, 29, v183, vcc_lo
; %bb.592:
	s_andn2_saveexec_b32 s0, s0
	s_cbranch_execz .LBB82_598
; %bb.593:
	v_cmp_ngt_f64_e64 s1, |v[170:171]|, |v[172:173]|
	s_and_saveexec_b32 s2, s1
	s_xor_b32 s1, exec_lo, s2
	s_cbranch_execz .LBB82_595
; %bb.594:
	v_div_scale_f64 v[185:186], null, v[172:173], v[172:173], v[170:171]
	v_div_scale_f64 v[191:192], vcc_lo, v[170:171], v[172:173], v[170:171]
	v_rcp_f64_e32 v[187:188], v[185:186]
	v_fma_f64 v[189:190], -v[185:186], v[187:188], 1.0
	v_fma_f64 v[187:188], v[187:188], v[189:190], v[187:188]
	v_fma_f64 v[189:190], -v[185:186], v[187:188], 1.0
	v_fma_f64 v[187:188], v[187:188], v[189:190], v[187:188]
	v_mul_f64 v[189:190], v[191:192], v[187:188]
	v_fma_f64 v[185:186], -v[185:186], v[189:190], v[191:192]
	v_div_fmas_f64 v[185:186], v[185:186], v[187:188], v[189:190]
	v_div_fixup_f64 v[185:186], v[185:186], v[172:173], v[170:171]
	v_fma_f64 v[170:171], v[170:171], v[185:186], v[172:173]
	v_div_scale_f64 v[172:173], null, v[170:171], v[170:171], 1.0
	v_rcp_f64_e32 v[187:188], v[172:173]
	v_fma_f64 v[189:190], -v[172:173], v[187:188], 1.0
	v_fma_f64 v[187:188], v[187:188], v[189:190], v[187:188]
	v_fma_f64 v[189:190], -v[172:173], v[187:188], 1.0
	v_fma_f64 v[187:188], v[187:188], v[189:190], v[187:188]
	v_div_scale_f64 v[189:190], vcc_lo, 1.0, v[170:171], 1.0
	v_mul_f64 v[191:192], v[189:190], v[187:188]
	v_fma_f64 v[172:173], -v[172:173], v[191:192], v[189:190]
	v_div_fmas_f64 v[172:173], v[172:173], v[187:188], v[191:192]
	v_div_fixup_f64 v[172:173], v[172:173], v[170:171], 1.0
	v_mul_f64 v[170:171], v[185:186], v[172:173]
	v_xor_b32_e32 v173, 0x80000000, v173
.LBB82_595:
	s_andn2_saveexec_b32 s1, s1
	s_cbranch_execz .LBB82_597
; %bb.596:
	v_div_scale_f64 v[185:186], null, v[170:171], v[170:171], v[172:173]
	v_div_scale_f64 v[191:192], vcc_lo, v[172:173], v[170:171], v[172:173]
	v_rcp_f64_e32 v[187:188], v[185:186]
	v_fma_f64 v[189:190], -v[185:186], v[187:188], 1.0
	v_fma_f64 v[187:188], v[187:188], v[189:190], v[187:188]
	v_fma_f64 v[189:190], -v[185:186], v[187:188], 1.0
	v_fma_f64 v[187:188], v[187:188], v[189:190], v[187:188]
	v_mul_f64 v[189:190], v[191:192], v[187:188]
	v_fma_f64 v[185:186], -v[185:186], v[189:190], v[191:192]
	v_div_fmas_f64 v[185:186], v[185:186], v[187:188], v[189:190]
	v_div_fixup_f64 v[185:186], v[185:186], v[170:171], v[172:173]
	v_fma_f64 v[170:171], v[172:173], v[185:186], v[170:171]
	v_div_scale_f64 v[172:173], null, v[170:171], v[170:171], 1.0
	v_rcp_f64_e32 v[187:188], v[172:173]
	v_fma_f64 v[189:190], -v[172:173], v[187:188], 1.0
	v_fma_f64 v[187:188], v[187:188], v[189:190], v[187:188]
	v_fma_f64 v[189:190], -v[172:173], v[187:188], 1.0
	v_fma_f64 v[187:188], v[187:188], v[189:190], v[187:188]
	v_div_scale_f64 v[189:190], vcc_lo, 1.0, v[170:171], 1.0
	v_mul_f64 v[191:192], v[189:190], v[187:188]
	v_fma_f64 v[172:173], -v[172:173], v[191:192], v[189:190]
	v_div_fmas_f64 v[172:173], v[172:173], v[187:188], v[191:192]
	v_div_fixup_f64 v[170:171], v[172:173], v[170:171], 1.0
	v_mul_f64 v[172:173], v[185:186], -v[170:171]
.LBB82_597:
	s_or_b32 exec_lo, exec_lo, s1
.LBB82_598:
	s_or_b32 exec_lo, exec_lo, s0
	s_mov_b32 s0, exec_lo
	v_cmpx_ne_u32_e64 v184, v178
	s_xor_b32 s0, exec_lo, s0
	s_cbranch_execz .LBB82_604
; %bb.599:
	s_mov_b32 s1, exec_lo
	v_cmpx_eq_u32_e32 28, v184
	s_cbranch_execz .LBB82_603
; %bb.600:
	v_cmp_ne_u32_e32 vcc_lo, 28, v178
	s_xor_b32 s2, s16, -1
	s_and_b32 s3, s2, vcc_lo
	s_and_saveexec_b32 s2, s3
	s_cbranch_execz .LBB82_602
; %bb.601:
	v_ashrrev_i32_e32 v179, 31, v178
	v_lshlrev_b64 v[184:185], 2, v[178:179]
	v_add_co_u32 v184, vcc_lo, v176, v184
	v_add_co_ci_u32_e64 v185, null, v177, v185, vcc_lo
	s_clause 0x1
	global_load_dword v0, v[184:185], off
	global_load_dword v179, v[176:177], off offset:112
	s_waitcnt vmcnt(1)
	global_store_dword v[176:177], v0, off offset:112
	s_waitcnt vmcnt(0)
	global_store_dword v[184:185], v179, off
.LBB82_602:
	s_or_b32 exec_lo, exec_lo, s2
	v_mov_b32_e32 v184, v178
	v_mov_b32_e32 v0, v178
.LBB82_603:
	s_or_b32 exec_lo, exec_lo, s1
.LBB82_604:
	s_andn2_saveexec_b32 s0, s0
	s_cbranch_execz .LBB82_606
; %bb.605:
	v_mov_b32_e32 v184, 28
	ds_write2_b64 v1, v[50:51], v[52:53] offset0:58 offset1:59
	ds_write2_b64 v1, v[46:47], v[48:49] offset0:60 offset1:61
	;; [unrolled: 1-line block ×13, first 2 shown]
.LBB82_606:
	s_or_b32 exec_lo, exec_lo, s0
	s_mov_b32 s0, exec_lo
	s_waitcnt lgkmcnt(0)
	s_waitcnt_vscnt null, 0x0
	s_barrier
	buffer_gl0_inv
	v_cmpx_lt_i32_e32 28, v184
	s_cbranch_execz .LBB82_608
; %bb.607:
	v_mul_f64 v[178:179], v[170:171], v[56:57]
	v_mul_f64 v[56:57], v[172:173], v[56:57]
	v_fma_f64 v[178:179], v[172:173], v[54:55], v[178:179]
	v_fma_f64 v[54:55], v[170:171], v[54:55], -v[56:57]
	ds_read2_b64 v[170:173], v1 offset0:58 offset1:59
	s_waitcnt lgkmcnt(0)
	v_mul_f64 v[56:57], v[172:173], v[178:179]
	v_fma_f64 v[56:57], v[170:171], v[54:55], -v[56:57]
	v_mul_f64 v[170:171], v[170:171], v[178:179]
	v_add_f64 v[50:51], v[50:51], -v[56:57]
	v_fma_f64 v[170:171], v[172:173], v[54:55], v[170:171]
	v_add_f64 v[52:53], v[52:53], -v[170:171]
	ds_read2_b64 v[170:173], v1 offset0:60 offset1:61
	s_waitcnt lgkmcnt(0)
	v_mul_f64 v[56:57], v[172:173], v[178:179]
	v_fma_f64 v[56:57], v[170:171], v[54:55], -v[56:57]
	v_mul_f64 v[170:171], v[170:171], v[178:179]
	v_add_f64 v[46:47], v[46:47], -v[56:57]
	v_fma_f64 v[170:171], v[172:173], v[54:55], v[170:171]
	v_add_f64 v[48:49], v[48:49], -v[170:171]
	;; [unrolled: 8-line block ×12, first 2 shown]
	ds_read2_b64 v[170:173], v1 offset0:82 offset1:83
	s_waitcnt lgkmcnt(0)
	v_mul_f64 v[56:57], v[172:173], v[178:179]
	v_fma_f64 v[56:57], v[170:171], v[54:55], -v[56:57]
	v_mul_f64 v[170:171], v[170:171], v[178:179]
	v_add_f64 v[2:3], v[2:3], -v[56:57]
	v_fma_f64 v[170:171], v[172:173], v[54:55], v[170:171]
	v_mov_b32_e32 v56, v178
	v_mov_b32_e32 v57, v179
	v_add_f64 v[4:5], v[4:5], -v[170:171]
.LBB82_608:
	s_or_b32 exec_lo, exec_lo, s0
	v_lshl_add_u32 v170, v184, 4, v1
	s_barrier
	buffer_gl0_inv
	v_mov_b32_e32 v178, 29
	ds_write2_b64 v170, v[50:51], v[52:53] offset1:1
	s_waitcnt lgkmcnt(0)
	s_barrier
	buffer_gl0_inv
	ds_read2_b64 v[170:173], v1 offset0:58 offset1:59
	s_cmp_lt_i32 s18, 31
	s_cbranch_scc1 .LBB82_611
; %bb.609:
	v_add3_u32 v179, v180, 0, 0x1e0
	v_mov_b32_e32 v178, 29
	s_mov_b32 s1, 30
	s_inst_prefetch 0x1
	.p2align	6
.LBB82_610:                             ; =>This Inner Loop Header: Depth=1
	s_waitcnt lgkmcnt(0)
	v_cmp_gt_f64_e32 vcc_lo, 0, v[172:173]
	v_cmp_gt_f64_e64 s0, 0, v[170:171]
	ds_read2_b64 v[185:188], v179 offset1:1
	v_xor_b32_e32 v190, 0x80000000, v171
	v_xor_b32_e32 v192, 0x80000000, v173
	v_mov_b32_e32 v189, v170
	v_mov_b32_e32 v191, v172
	v_add_nc_u32_e32 v179, 16, v179
	s_waitcnt lgkmcnt(0)
	v_xor_b32_e32 v194, 0x80000000, v188
	v_cndmask_b32_e64 v190, v171, v190, s0
	v_cndmask_b32_e32 v192, v173, v192, vcc_lo
	v_cmp_gt_f64_e32 vcc_lo, 0, v[187:188]
	v_cmp_gt_f64_e64 s0, 0, v[185:186]
	v_mov_b32_e32 v193, v187
	v_add_f64 v[189:190], v[189:190], v[191:192]
	v_xor_b32_e32 v192, 0x80000000, v186
	v_mov_b32_e32 v191, v185
	v_cndmask_b32_e32 v194, v188, v194, vcc_lo
	v_cndmask_b32_e64 v192, v186, v192, s0
	v_add_f64 v[191:192], v[191:192], v[193:194]
	v_cmp_lt_f64_e32 vcc_lo, v[189:190], v[191:192]
	v_cndmask_b32_e32 v171, v171, v186, vcc_lo
	v_cndmask_b32_e32 v170, v170, v185, vcc_lo
	;; [unrolled: 1-line block ×4, first 2 shown]
	v_cndmask_b32_e64 v178, v178, s1, vcc_lo
	s_add_i32 s1, s1, 1
	s_cmp_lg_u32 s18, s1
	s_cbranch_scc1 .LBB82_610
.LBB82_611:
	s_inst_prefetch 0x2
	s_waitcnt lgkmcnt(0)
	v_cmp_eq_f64_e32 vcc_lo, 0, v[170:171]
	v_cmp_eq_f64_e64 s0, 0, v[172:173]
	s_and_b32 s0, vcc_lo, s0
	s_and_saveexec_b32 s1, s0
	s_xor_b32 s0, exec_lo, s1
; %bb.612:
	v_cmp_ne_u32_e32 vcc_lo, 0, v183
	v_cndmask_b32_e32 v183, 30, v183, vcc_lo
; %bb.613:
	s_andn2_saveexec_b32 s0, s0
	s_cbranch_execz .LBB82_619
; %bb.614:
	v_cmp_ngt_f64_e64 s1, |v[170:171]|, |v[172:173]|
	s_and_saveexec_b32 s2, s1
	s_xor_b32 s1, exec_lo, s2
	s_cbranch_execz .LBB82_616
; %bb.615:
	v_div_scale_f64 v[185:186], null, v[172:173], v[172:173], v[170:171]
	v_div_scale_f64 v[191:192], vcc_lo, v[170:171], v[172:173], v[170:171]
	v_rcp_f64_e32 v[187:188], v[185:186]
	v_fma_f64 v[189:190], -v[185:186], v[187:188], 1.0
	v_fma_f64 v[187:188], v[187:188], v[189:190], v[187:188]
	v_fma_f64 v[189:190], -v[185:186], v[187:188], 1.0
	v_fma_f64 v[187:188], v[187:188], v[189:190], v[187:188]
	v_mul_f64 v[189:190], v[191:192], v[187:188]
	v_fma_f64 v[185:186], -v[185:186], v[189:190], v[191:192]
	v_div_fmas_f64 v[185:186], v[185:186], v[187:188], v[189:190]
	v_div_fixup_f64 v[185:186], v[185:186], v[172:173], v[170:171]
	v_fma_f64 v[170:171], v[170:171], v[185:186], v[172:173]
	v_div_scale_f64 v[172:173], null, v[170:171], v[170:171], 1.0
	v_rcp_f64_e32 v[187:188], v[172:173]
	v_fma_f64 v[189:190], -v[172:173], v[187:188], 1.0
	v_fma_f64 v[187:188], v[187:188], v[189:190], v[187:188]
	v_fma_f64 v[189:190], -v[172:173], v[187:188], 1.0
	v_fma_f64 v[187:188], v[187:188], v[189:190], v[187:188]
	v_div_scale_f64 v[189:190], vcc_lo, 1.0, v[170:171], 1.0
	v_mul_f64 v[191:192], v[189:190], v[187:188]
	v_fma_f64 v[172:173], -v[172:173], v[191:192], v[189:190]
	v_div_fmas_f64 v[172:173], v[172:173], v[187:188], v[191:192]
	v_div_fixup_f64 v[172:173], v[172:173], v[170:171], 1.0
	v_mul_f64 v[170:171], v[185:186], v[172:173]
	v_xor_b32_e32 v173, 0x80000000, v173
.LBB82_616:
	s_andn2_saveexec_b32 s1, s1
	s_cbranch_execz .LBB82_618
; %bb.617:
	v_div_scale_f64 v[185:186], null, v[170:171], v[170:171], v[172:173]
	v_div_scale_f64 v[191:192], vcc_lo, v[172:173], v[170:171], v[172:173]
	v_rcp_f64_e32 v[187:188], v[185:186]
	v_fma_f64 v[189:190], -v[185:186], v[187:188], 1.0
	v_fma_f64 v[187:188], v[187:188], v[189:190], v[187:188]
	v_fma_f64 v[189:190], -v[185:186], v[187:188], 1.0
	v_fma_f64 v[187:188], v[187:188], v[189:190], v[187:188]
	v_mul_f64 v[189:190], v[191:192], v[187:188]
	v_fma_f64 v[185:186], -v[185:186], v[189:190], v[191:192]
	v_div_fmas_f64 v[185:186], v[185:186], v[187:188], v[189:190]
	v_div_fixup_f64 v[185:186], v[185:186], v[170:171], v[172:173]
	v_fma_f64 v[170:171], v[172:173], v[185:186], v[170:171]
	v_div_scale_f64 v[172:173], null, v[170:171], v[170:171], 1.0
	v_rcp_f64_e32 v[187:188], v[172:173]
	v_fma_f64 v[189:190], -v[172:173], v[187:188], 1.0
	v_fma_f64 v[187:188], v[187:188], v[189:190], v[187:188]
	v_fma_f64 v[189:190], -v[172:173], v[187:188], 1.0
	v_fma_f64 v[187:188], v[187:188], v[189:190], v[187:188]
	v_div_scale_f64 v[189:190], vcc_lo, 1.0, v[170:171], 1.0
	v_mul_f64 v[191:192], v[189:190], v[187:188]
	v_fma_f64 v[172:173], -v[172:173], v[191:192], v[189:190]
	v_div_fmas_f64 v[172:173], v[172:173], v[187:188], v[191:192]
	v_div_fixup_f64 v[170:171], v[172:173], v[170:171], 1.0
	v_mul_f64 v[172:173], v[185:186], -v[170:171]
.LBB82_618:
	s_or_b32 exec_lo, exec_lo, s1
.LBB82_619:
	s_or_b32 exec_lo, exec_lo, s0
	s_mov_b32 s0, exec_lo
	v_cmpx_ne_u32_e64 v184, v178
	s_xor_b32 s0, exec_lo, s0
	s_cbranch_execz .LBB82_625
; %bb.620:
	s_mov_b32 s1, exec_lo
	v_cmpx_eq_u32_e32 29, v184
	s_cbranch_execz .LBB82_624
; %bb.621:
	v_cmp_ne_u32_e32 vcc_lo, 29, v178
	s_xor_b32 s2, s16, -1
	s_and_b32 s3, s2, vcc_lo
	s_and_saveexec_b32 s2, s3
	s_cbranch_execz .LBB82_623
; %bb.622:
	v_ashrrev_i32_e32 v179, 31, v178
	v_lshlrev_b64 v[184:185], 2, v[178:179]
	v_add_co_u32 v184, vcc_lo, v176, v184
	v_add_co_ci_u32_e64 v185, null, v177, v185, vcc_lo
	s_clause 0x1
	global_load_dword v0, v[184:185], off
	global_load_dword v179, v[176:177], off offset:116
	s_waitcnt vmcnt(1)
	global_store_dword v[176:177], v0, off offset:116
	s_waitcnt vmcnt(0)
	global_store_dword v[184:185], v179, off
.LBB82_623:
	s_or_b32 exec_lo, exec_lo, s2
	v_mov_b32_e32 v184, v178
	v_mov_b32_e32 v0, v178
.LBB82_624:
	s_or_b32 exec_lo, exec_lo, s1
.LBB82_625:
	s_andn2_saveexec_b32 s0, s0
	s_cbranch_execz .LBB82_627
; %bb.626:
	v_mov_b32_e32 v184, 29
	ds_write2_b64 v1, v[46:47], v[48:49] offset0:60 offset1:61
	ds_write2_b64 v1, v[42:43], v[44:45] offset0:62 offset1:63
	;; [unrolled: 1-line block ×12, first 2 shown]
.LBB82_627:
	s_or_b32 exec_lo, exec_lo, s0
	s_mov_b32 s0, exec_lo
	s_waitcnt lgkmcnt(0)
	s_waitcnt_vscnt null, 0x0
	s_barrier
	buffer_gl0_inv
	v_cmpx_lt_i32_e32 29, v184
	s_cbranch_execz .LBB82_629
; %bb.628:
	v_mul_f64 v[178:179], v[170:171], v[52:53]
	v_mul_f64 v[52:53], v[172:173], v[52:53]
	v_fma_f64 v[178:179], v[172:173], v[50:51], v[178:179]
	v_fma_f64 v[50:51], v[170:171], v[50:51], -v[52:53]
	ds_read2_b64 v[170:173], v1 offset0:60 offset1:61
	s_waitcnt lgkmcnt(0)
	v_mul_f64 v[52:53], v[172:173], v[178:179]
	v_fma_f64 v[52:53], v[170:171], v[50:51], -v[52:53]
	v_mul_f64 v[170:171], v[170:171], v[178:179]
	v_add_f64 v[46:47], v[46:47], -v[52:53]
	v_fma_f64 v[170:171], v[172:173], v[50:51], v[170:171]
	v_add_f64 v[48:49], v[48:49], -v[170:171]
	ds_read2_b64 v[170:173], v1 offset0:62 offset1:63
	s_waitcnt lgkmcnt(0)
	v_mul_f64 v[52:53], v[172:173], v[178:179]
	v_fma_f64 v[52:53], v[170:171], v[50:51], -v[52:53]
	v_mul_f64 v[170:171], v[170:171], v[178:179]
	v_add_f64 v[42:43], v[42:43], -v[52:53]
	v_fma_f64 v[170:171], v[172:173], v[50:51], v[170:171]
	v_add_f64 v[44:45], v[44:45], -v[170:171]
	;; [unrolled: 8-line block ×11, first 2 shown]
	ds_read2_b64 v[170:173], v1 offset0:82 offset1:83
	s_waitcnt lgkmcnt(0)
	v_mul_f64 v[52:53], v[172:173], v[178:179]
	v_fma_f64 v[52:53], v[170:171], v[50:51], -v[52:53]
	v_mul_f64 v[170:171], v[170:171], v[178:179]
	v_add_f64 v[2:3], v[2:3], -v[52:53]
	v_fma_f64 v[170:171], v[172:173], v[50:51], v[170:171]
	v_mov_b32_e32 v52, v178
	v_mov_b32_e32 v53, v179
	v_add_f64 v[4:5], v[4:5], -v[170:171]
.LBB82_629:
	s_or_b32 exec_lo, exec_lo, s0
	v_lshl_add_u32 v170, v184, 4, v1
	s_barrier
	buffer_gl0_inv
	v_mov_b32_e32 v178, 30
	ds_write2_b64 v170, v[46:47], v[48:49] offset1:1
	s_waitcnt lgkmcnt(0)
	s_barrier
	buffer_gl0_inv
	ds_read2_b64 v[170:173], v1 offset0:60 offset1:61
	s_cmp_lt_i32 s18, 32
	s_cbranch_scc1 .LBB82_632
; %bb.630:
	v_add3_u32 v179, v180, 0, 0x1f0
	v_mov_b32_e32 v178, 30
	s_mov_b32 s1, 31
	s_inst_prefetch 0x1
	.p2align	6
.LBB82_631:                             ; =>This Inner Loop Header: Depth=1
	s_waitcnt lgkmcnt(0)
	v_cmp_gt_f64_e32 vcc_lo, 0, v[172:173]
	v_cmp_gt_f64_e64 s0, 0, v[170:171]
	ds_read2_b64 v[185:188], v179 offset1:1
	v_xor_b32_e32 v190, 0x80000000, v171
	v_xor_b32_e32 v192, 0x80000000, v173
	v_mov_b32_e32 v189, v170
	v_mov_b32_e32 v191, v172
	v_add_nc_u32_e32 v179, 16, v179
	s_waitcnt lgkmcnt(0)
	v_xor_b32_e32 v194, 0x80000000, v188
	v_cndmask_b32_e64 v190, v171, v190, s0
	v_cndmask_b32_e32 v192, v173, v192, vcc_lo
	v_cmp_gt_f64_e32 vcc_lo, 0, v[187:188]
	v_cmp_gt_f64_e64 s0, 0, v[185:186]
	v_mov_b32_e32 v193, v187
	v_add_f64 v[189:190], v[189:190], v[191:192]
	v_xor_b32_e32 v192, 0x80000000, v186
	v_mov_b32_e32 v191, v185
	v_cndmask_b32_e32 v194, v188, v194, vcc_lo
	v_cndmask_b32_e64 v192, v186, v192, s0
	v_add_f64 v[191:192], v[191:192], v[193:194]
	v_cmp_lt_f64_e32 vcc_lo, v[189:190], v[191:192]
	v_cndmask_b32_e32 v171, v171, v186, vcc_lo
	v_cndmask_b32_e32 v170, v170, v185, vcc_lo
	;; [unrolled: 1-line block ×4, first 2 shown]
	v_cndmask_b32_e64 v178, v178, s1, vcc_lo
	s_add_i32 s1, s1, 1
	s_cmp_lg_u32 s18, s1
	s_cbranch_scc1 .LBB82_631
.LBB82_632:
	s_inst_prefetch 0x2
	s_waitcnt lgkmcnt(0)
	v_cmp_eq_f64_e32 vcc_lo, 0, v[170:171]
	v_cmp_eq_f64_e64 s0, 0, v[172:173]
	s_and_b32 s0, vcc_lo, s0
	s_and_saveexec_b32 s1, s0
	s_xor_b32 s0, exec_lo, s1
; %bb.633:
	v_cmp_ne_u32_e32 vcc_lo, 0, v183
	v_cndmask_b32_e32 v183, 31, v183, vcc_lo
; %bb.634:
	s_andn2_saveexec_b32 s0, s0
	s_cbranch_execz .LBB82_640
; %bb.635:
	v_cmp_ngt_f64_e64 s1, |v[170:171]|, |v[172:173]|
	s_and_saveexec_b32 s2, s1
	s_xor_b32 s1, exec_lo, s2
	s_cbranch_execz .LBB82_637
; %bb.636:
	v_div_scale_f64 v[185:186], null, v[172:173], v[172:173], v[170:171]
	v_div_scale_f64 v[191:192], vcc_lo, v[170:171], v[172:173], v[170:171]
	v_rcp_f64_e32 v[187:188], v[185:186]
	v_fma_f64 v[189:190], -v[185:186], v[187:188], 1.0
	v_fma_f64 v[187:188], v[187:188], v[189:190], v[187:188]
	v_fma_f64 v[189:190], -v[185:186], v[187:188], 1.0
	v_fma_f64 v[187:188], v[187:188], v[189:190], v[187:188]
	v_mul_f64 v[189:190], v[191:192], v[187:188]
	v_fma_f64 v[185:186], -v[185:186], v[189:190], v[191:192]
	v_div_fmas_f64 v[185:186], v[185:186], v[187:188], v[189:190]
	v_div_fixup_f64 v[185:186], v[185:186], v[172:173], v[170:171]
	v_fma_f64 v[170:171], v[170:171], v[185:186], v[172:173]
	v_div_scale_f64 v[172:173], null, v[170:171], v[170:171], 1.0
	v_rcp_f64_e32 v[187:188], v[172:173]
	v_fma_f64 v[189:190], -v[172:173], v[187:188], 1.0
	v_fma_f64 v[187:188], v[187:188], v[189:190], v[187:188]
	v_fma_f64 v[189:190], -v[172:173], v[187:188], 1.0
	v_fma_f64 v[187:188], v[187:188], v[189:190], v[187:188]
	v_div_scale_f64 v[189:190], vcc_lo, 1.0, v[170:171], 1.0
	v_mul_f64 v[191:192], v[189:190], v[187:188]
	v_fma_f64 v[172:173], -v[172:173], v[191:192], v[189:190]
	v_div_fmas_f64 v[172:173], v[172:173], v[187:188], v[191:192]
	v_div_fixup_f64 v[172:173], v[172:173], v[170:171], 1.0
	v_mul_f64 v[170:171], v[185:186], v[172:173]
	v_xor_b32_e32 v173, 0x80000000, v173
.LBB82_637:
	s_andn2_saveexec_b32 s1, s1
	s_cbranch_execz .LBB82_639
; %bb.638:
	v_div_scale_f64 v[185:186], null, v[170:171], v[170:171], v[172:173]
	v_div_scale_f64 v[191:192], vcc_lo, v[172:173], v[170:171], v[172:173]
	v_rcp_f64_e32 v[187:188], v[185:186]
	v_fma_f64 v[189:190], -v[185:186], v[187:188], 1.0
	v_fma_f64 v[187:188], v[187:188], v[189:190], v[187:188]
	v_fma_f64 v[189:190], -v[185:186], v[187:188], 1.0
	v_fma_f64 v[187:188], v[187:188], v[189:190], v[187:188]
	v_mul_f64 v[189:190], v[191:192], v[187:188]
	v_fma_f64 v[185:186], -v[185:186], v[189:190], v[191:192]
	v_div_fmas_f64 v[185:186], v[185:186], v[187:188], v[189:190]
	v_div_fixup_f64 v[185:186], v[185:186], v[170:171], v[172:173]
	v_fma_f64 v[170:171], v[172:173], v[185:186], v[170:171]
	v_div_scale_f64 v[172:173], null, v[170:171], v[170:171], 1.0
	v_rcp_f64_e32 v[187:188], v[172:173]
	v_fma_f64 v[189:190], -v[172:173], v[187:188], 1.0
	v_fma_f64 v[187:188], v[187:188], v[189:190], v[187:188]
	v_fma_f64 v[189:190], -v[172:173], v[187:188], 1.0
	v_fma_f64 v[187:188], v[187:188], v[189:190], v[187:188]
	v_div_scale_f64 v[189:190], vcc_lo, 1.0, v[170:171], 1.0
	v_mul_f64 v[191:192], v[189:190], v[187:188]
	v_fma_f64 v[172:173], -v[172:173], v[191:192], v[189:190]
	v_div_fmas_f64 v[172:173], v[172:173], v[187:188], v[191:192]
	v_div_fixup_f64 v[170:171], v[172:173], v[170:171], 1.0
	v_mul_f64 v[172:173], v[185:186], -v[170:171]
.LBB82_639:
	s_or_b32 exec_lo, exec_lo, s1
.LBB82_640:
	s_or_b32 exec_lo, exec_lo, s0
	s_mov_b32 s0, exec_lo
	v_cmpx_ne_u32_e64 v184, v178
	s_xor_b32 s0, exec_lo, s0
	s_cbranch_execz .LBB82_646
; %bb.641:
	s_mov_b32 s1, exec_lo
	v_cmpx_eq_u32_e32 30, v184
	s_cbranch_execz .LBB82_645
; %bb.642:
	v_cmp_ne_u32_e32 vcc_lo, 30, v178
	s_xor_b32 s2, s16, -1
	s_and_b32 s3, s2, vcc_lo
	s_and_saveexec_b32 s2, s3
	s_cbranch_execz .LBB82_644
; %bb.643:
	v_ashrrev_i32_e32 v179, 31, v178
	v_lshlrev_b64 v[184:185], 2, v[178:179]
	v_add_co_u32 v184, vcc_lo, v176, v184
	v_add_co_ci_u32_e64 v185, null, v177, v185, vcc_lo
	s_clause 0x1
	global_load_dword v0, v[184:185], off
	global_load_dword v179, v[176:177], off offset:120
	s_waitcnt vmcnt(1)
	global_store_dword v[176:177], v0, off offset:120
	s_waitcnt vmcnt(0)
	global_store_dword v[184:185], v179, off
.LBB82_644:
	s_or_b32 exec_lo, exec_lo, s2
	v_mov_b32_e32 v184, v178
	v_mov_b32_e32 v0, v178
.LBB82_645:
	s_or_b32 exec_lo, exec_lo, s1
.LBB82_646:
	s_andn2_saveexec_b32 s0, s0
	s_cbranch_execz .LBB82_648
; %bb.647:
	v_mov_b32_e32 v184, 30
	ds_write2_b64 v1, v[42:43], v[44:45] offset0:62 offset1:63
	ds_write2_b64 v1, v[38:39], v[40:41] offset0:64 offset1:65
	;; [unrolled: 1-line block ×11, first 2 shown]
.LBB82_648:
	s_or_b32 exec_lo, exec_lo, s0
	s_mov_b32 s0, exec_lo
	s_waitcnt lgkmcnt(0)
	s_waitcnt_vscnt null, 0x0
	s_barrier
	buffer_gl0_inv
	v_cmpx_lt_i32_e32 30, v184
	s_cbranch_execz .LBB82_650
; %bb.649:
	v_mul_f64 v[178:179], v[170:171], v[48:49]
	v_mul_f64 v[48:49], v[172:173], v[48:49]
	v_fma_f64 v[178:179], v[172:173], v[46:47], v[178:179]
	v_fma_f64 v[46:47], v[170:171], v[46:47], -v[48:49]
	ds_read2_b64 v[170:173], v1 offset0:62 offset1:63
	s_waitcnt lgkmcnt(0)
	v_mul_f64 v[48:49], v[172:173], v[178:179]
	v_fma_f64 v[48:49], v[170:171], v[46:47], -v[48:49]
	v_mul_f64 v[170:171], v[170:171], v[178:179]
	v_add_f64 v[42:43], v[42:43], -v[48:49]
	v_fma_f64 v[170:171], v[172:173], v[46:47], v[170:171]
	v_add_f64 v[44:45], v[44:45], -v[170:171]
	ds_read2_b64 v[170:173], v1 offset0:64 offset1:65
	s_waitcnt lgkmcnt(0)
	v_mul_f64 v[48:49], v[172:173], v[178:179]
	v_fma_f64 v[48:49], v[170:171], v[46:47], -v[48:49]
	v_mul_f64 v[170:171], v[170:171], v[178:179]
	v_add_f64 v[38:39], v[38:39], -v[48:49]
	v_fma_f64 v[170:171], v[172:173], v[46:47], v[170:171]
	v_add_f64 v[40:41], v[40:41], -v[170:171]
	;; [unrolled: 8-line block ×10, first 2 shown]
	ds_read2_b64 v[170:173], v1 offset0:82 offset1:83
	s_waitcnt lgkmcnt(0)
	v_mul_f64 v[48:49], v[172:173], v[178:179]
	v_fma_f64 v[48:49], v[170:171], v[46:47], -v[48:49]
	v_mul_f64 v[170:171], v[170:171], v[178:179]
	v_add_f64 v[2:3], v[2:3], -v[48:49]
	v_fma_f64 v[170:171], v[172:173], v[46:47], v[170:171]
	v_mov_b32_e32 v48, v178
	v_mov_b32_e32 v49, v179
	v_add_f64 v[4:5], v[4:5], -v[170:171]
.LBB82_650:
	s_or_b32 exec_lo, exec_lo, s0
	v_lshl_add_u32 v170, v184, 4, v1
	s_barrier
	buffer_gl0_inv
	v_mov_b32_e32 v178, 31
	ds_write2_b64 v170, v[42:43], v[44:45] offset1:1
	s_waitcnt lgkmcnt(0)
	s_barrier
	buffer_gl0_inv
	ds_read2_b64 v[170:173], v1 offset0:62 offset1:63
	s_cmp_lt_i32 s18, 33
	s_cbranch_scc1 .LBB82_653
; %bb.651:
	v_add3_u32 v179, v180, 0, 0x200
	v_mov_b32_e32 v178, 31
	s_mov_b32 s1, 32
	s_inst_prefetch 0x1
	.p2align	6
.LBB82_652:                             ; =>This Inner Loop Header: Depth=1
	s_waitcnt lgkmcnt(0)
	v_cmp_gt_f64_e32 vcc_lo, 0, v[172:173]
	v_cmp_gt_f64_e64 s0, 0, v[170:171]
	ds_read2_b64 v[185:188], v179 offset1:1
	v_xor_b32_e32 v190, 0x80000000, v171
	v_xor_b32_e32 v192, 0x80000000, v173
	v_mov_b32_e32 v189, v170
	v_mov_b32_e32 v191, v172
	v_add_nc_u32_e32 v179, 16, v179
	s_waitcnt lgkmcnt(0)
	v_xor_b32_e32 v194, 0x80000000, v188
	v_cndmask_b32_e64 v190, v171, v190, s0
	v_cndmask_b32_e32 v192, v173, v192, vcc_lo
	v_cmp_gt_f64_e32 vcc_lo, 0, v[187:188]
	v_cmp_gt_f64_e64 s0, 0, v[185:186]
	v_mov_b32_e32 v193, v187
	v_add_f64 v[189:190], v[189:190], v[191:192]
	v_xor_b32_e32 v192, 0x80000000, v186
	v_mov_b32_e32 v191, v185
	v_cndmask_b32_e32 v194, v188, v194, vcc_lo
	v_cndmask_b32_e64 v192, v186, v192, s0
	v_add_f64 v[191:192], v[191:192], v[193:194]
	v_cmp_lt_f64_e32 vcc_lo, v[189:190], v[191:192]
	v_cndmask_b32_e32 v171, v171, v186, vcc_lo
	v_cndmask_b32_e32 v170, v170, v185, vcc_lo
	;; [unrolled: 1-line block ×4, first 2 shown]
	v_cndmask_b32_e64 v178, v178, s1, vcc_lo
	s_add_i32 s1, s1, 1
	s_cmp_lg_u32 s18, s1
	s_cbranch_scc1 .LBB82_652
.LBB82_653:
	s_inst_prefetch 0x2
	s_waitcnt lgkmcnt(0)
	v_cmp_eq_f64_e32 vcc_lo, 0, v[170:171]
	v_cmp_eq_f64_e64 s0, 0, v[172:173]
	s_and_b32 s0, vcc_lo, s0
	s_and_saveexec_b32 s1, s0
	s_xor_b32 s0, exec_lo, s1
; %bb.654:
	v_cmp_ne_u32_e32 vcc_lo, 0, v183
	v_cndmask_b32_e32 v183, 32, v183, vcc_lo
; %bb.655:
	s_andn2_saveexec_b32 s0, s0
	s_cbranch_execz .LBB82_661
; %bb.656:
	v_cmp_ngt_f64_e64 s1, |v[170:171]|, |v[172:173]|
	s_and_saveexec_b32 s2, s1
	s_xor_b32 s1, exec_lo, s2
	s_cbranch_execz .LBB82_658
; %bb.657:
	v_div_scale_f64 v[185:186], null, v[172:173], v[172:173], v[170:171]
	v_div_scale_f64 v[191:192], vcc_lo, v[170:171], v[172:173], v[170:171]
	v_rcp_f64_e32 v[187:188], v[185:186]
	v_fma_f64 v[189:190], -v[185:186], v[187:188], 1.0
	v_fma_f64 v[187:188], v[187:188], v[189:190], v[187:188]
	v_fma_f64 v[189:190], -v[185:186], v[187:188], 1.0
	v_fma_f64 v[187:188], v[187:188], v[189:190], v[187:188]
	v_mul_f64 v[189:190], v[191:192], v[187:188]
	v_fma_f64 v[185:186], -v[185:186], v[189:190], v[191:192]
	v_div_fmas_f64 v[185:186], v[185:186], v[187:188], v[189:190]
	v_div_fixup_f64 v[185:186], v[185:186], v[172:173], v[170:171]
	v_fma_f64 v[170:171], v[170:171], v[185:186], v[172:173]
	v_div_scale_f64 v[172:173], null, v[170:171], v[170:171], 1.0
	v_rcp_f64_e32 v[187:188], v[172:173]
	v_fma_f64 v[189:190], -v[172:173], v[187:188], 1.0
	v_fma_f64 v[187:188], v[187:188], v[189:190], v[187:188]
	v_fma_f64 v[189:190], -v[172:173], v[187:188], 1.0
	v_fma_f64 v[187:188], v[187:188], v[189:190], v[187:188]
	v_div_scale_f64 v[189:190], vcc_lo, 1.0, v[170:171], 1.0
	v_mul_f64 v[191:192], v[189:190], v[187:188]
	v_fma_f64 v[172:173], -v[172:173], v[191:192], v[189:190]
	v_div_fmas_f64 v[172:173], v[172:173], v[187:188], v[191:192]
	v_div_fixup_f64 v[172:173], v[172:173], v[170:171], 1.0
	v_mul_f64 v[170:171], v[185:186], v[172:173]
	v_xor_b32_e32 v173, 0x80000000, v173
.LBB82_658:
	s_andn2_saveexec_b32 s1, s1
	s_cbranch_execz .LBB82_660
; %bb.659:
	v_div_scale_f64 v[185:186], null, v[170:171], v[170:171], v[172:173]
	v_div_scale_f64 v[191:192], vcc_lo, v[172:173], v[170:171], v[172:173]
	v_rcp_f64_e32 v[187:188], v[185:186]
	v_fma_f64 v[189:190], -v[185:186], v[187:188], 1.0
	v_fma_f64 v[187:188], v[187:188], v[189:190], v[187:188]
	v_fma_f64 v[189:190], -v[185:186], v[187:188], 1.0
	v_fma_f64 v[187:188], v[187:188], v[189:190], v[187:188]
	v_mul_f64 v[189:190], v[191:192], v[187:188]
	v_fma_f64 v[185:186], -v[185:186], v[189:190], v[191:192]
	v_div_fmas_f64 v[185:186], v[185:186], v[187:188], v[189:190]
	v_div_fixup_f64 v[185:186], v[185:186], v[170:171], v[172:173]
	v_fma_f64 v[170:171], v[172:173], v[185:186], v[170:171]
	v_div_scale_f64 v[172:173], null, v[170:171], v[170:171], 1.0
	v_rcp_f64_e32 v[187:188], v[172:173]
	v_fma_f64 v[189:190], -v[172:173], v[187:188], 1.0
	v_fma_f64 v[187:188], v[187:188], v[189:190], v[187:188]
	v_fma_f64 v[189:190], -v[172:173], v[187:188], 1.0
	v_fma_f64 v[187:188], v[187:188], v[189:190], v[187:188]
	v_div_scale_f64 v[189:190], vcc_lo, 1.0, v[170:171], 1.0
	v_mul_f64 v[191:192], v[189:190], v[187:188]
	v_fma_f64 v[172:173], -v[172:173], v[191:192], v[189:190]
	v_div_fmas_f64 v[172:173], v[172:173], v[187:188], v[191:192]
	v_div_fixup_f64 v[170:171], v[172:173], v[170:171], 1.0
	v_mul_f64 v[172:173], v[185:186], -v[170:171]
.LBB82_660:
	s_or_b32 exec_lo, exec_lo, s1
.LBB82_661:
	s_or_b32 exec_lo, exec_lo, s0
	s_mov_b32 s0, exec_lo
	v_cmpx_ne_u32_e64 v184, v178
	s_xor_b32 s0, exec_lo, s0
	s_cbranch_execz .LBB82_667
; %bb.662:
	s_mov_b32 s1, exec_lo
	v_cmpx_eq_u32_e32 31, v184
	s_cbranch_execz .LBB82_666
; %bb.663:
	v_cmp_ne_u32_e32 vcc_lo, 31, v178
	s_xor_b32 s2, s16, -1
	s_and_b32 s3, s2, vcc_lo
	s_and_saveexec_b32 s2, s3
	s_cbranch_execz .LBB82_665
; %bb.664:
	v_ashrrev_i32_e32 v179, 31, v178
	v_lshlrev_b64 v[184:185], 2, v[178:179]
	v_add_co_u32 v184, vcc_lo, v176, v184
	v_add_co_ci_u32_e64 v185, null, v177, v185, vcc_lo
	s_clause 0x1
	global_load_dword v0, v[184:185], off
	global_load_dword v179, v[176:177], off offset:124
	s_waitcnt vmcnt(1)
	global_store_dword v[176:177], v0, off offset:124
	s_waitcnt vmcnt(0)
	global_store_dword v[184:185], v179, off
.LBB82_665:
	s_or_b32 exec_lo, exec_lo, s2
	v_mov_b32_e32 v184, v178
	v_mov_b32_e32 v0, v178
.LBB82_666:
	s_or_b32 exec_lo, exec_lo, s1
.LBB82_667:
	s_andn2_saveexec_b32 s0, s0
	s_cbranch_execz .LBB82_669
; %bb.668:
	v_mov_b32_e32 v184, 31
	ds_write2_b64 v1, v[38:39], v[40:41] offset0:64 offset1:65
	ds_write2_b64 v1, v[34:35], v[36:37] offset0:66 offset1:67
	;; [unrolled: 1-line block ×10, first 2 shown]
.LBB82_669:
	s_or_b32 exec_lo, exec_lo, s0
	s_mov_b32 s0, exec_lo
	s_waitcnt lgkmcnt(0)
	s_waitcnt_vscnt null, 0x0
	s_barrier
	buffer_gl0_inv
	v_cmpx_lt_i32_e32 31, v184
	s_cbranch_execz .LBB82_671
; %bb.670:
	v_mul_f64 v[178:179], v[170:171], v[44:45]
	v_mul_f64 v[44:45], v[172:173], v[44:45]
	v_fma_f64 v[178:179], v[172:173], v[42:43], v[178:179]
	v_fma_f64 v[42:43], v[170:171], v[42:43], -v[44:45]
	ds_read2_b64 v[170:173], v1 offset0:64 offset1:65
	s_waitcnt lgkmcnt(0)
	v_mul_f64 v[44:45], v[172:173], v[178:179]
	v_fma_f64 v[44:45], v[170:171], v[42:43], -v[44:45]
	v_mul_f64 v[170:171], v[170:171], v[178:179]
	v_add_f64 v[38:39], v[38:39], -v[44:45]
	v_fma_f64 v[170:171], v[172:173], v[42:43], v[170:171]
	v_add_f64 v[40:41], v[40:41], -v[170:171]
	ds_read2_b64 v[170:173], v1 offset0:66 offset1:67
	s_waitcnt lgkmcnt(0)
	v_mul_f64 v[44:45], v[172:173], v[178:179]
	v_fma_f64 v[44:45], v[170:171], v[42:43], -v[44:45]
	v_mul_f64 v[170:171], v[170:171], v[178:179]
	v_add_f64 v[34:35], v[34:35], -v[44:45]
	v_fma_f64 v[170:171], v[172:173], v[42:43], v[170:171]
	v_add_f64 v[36:37], v[36:37], -v[170:171]
	ds_read2_b64 v[170:173], v1 offset0:68 offset1:69
	s_waitcnt lgkmcnt(0)
	v_mul_f64 v[44:45], v[172:173], v[178:179]
	v_fma_f64 v[44:45], v[170:171], v[42:43], -v[44:45]
	v_mul_f64 v[170:171], v[170:171], v[178:179]
	v_add_f64 v[30:31], v[30:31], -v[44:45]
	v_fma_f64 v[170:171], v[172:173], v[42:43], v[170:171]
	v_add_f64 v[32:33], v[32:33], -v[170:171]
	ds_read2_b64 v[170:173], v1 offset0:70 offset1:71
	s_waitcnt lgkmcnt(0)
	v_mul_f64 v[44:45], v[172:173], v[178:179]
	v_fma_f64 v[44:45], v[170:171], v[42:43], -v[44:45]
	v_mul_f64 v[170:171], v[170:171], v[178:179]
	v_add_f64 v[26:27], v[26:27], -v[44:45]
	v_fma_f64 v[170:171], v[172:173], v[42:43], v[170:171]
	v_add_f64 v[28:29], v[28:29], -v[170:171]
	ds_read2_b64 v[170:173], v1 offset0:72 offset1:73
	s_waitcnt lgkmcnt(0)
	v_mul_f64 v[44:45], v[172:173], v[178:179]
	v_fma_f64 v[44:45], v[170:171], v[42:43], -v[44:45]
	v_mul_f64 v[170:171], v[170:171], v[178:179]
	v_add_f64 v[22:23], v[22:23], -v[44:45]
	v_fma_f64 v[170:171], v[172:173], v[42:43], v[170:171]
	v_add_f64 v[24:25], v[24:25], -v[170:171]
	ds_read2_b64 v[170:173], v1 offset0:74 offset1:75
	s_waitcnt lgkmcnt(0)
	v_mul_f64 v[44:45], v[172:173], v[178:179]
	v_fma_f64 v[44:45], v[170:171], v[42:43], -v[44:45]
	v_mul_f64 v[170:171], v[170:171], v[178:179]
	v_add_f64 v[18:19], v[18:19], -v[44:45]
	v_fma_f64 v[170:171], v[172:173], v[42:43], v[170:171]
	v_add_f64 v[20:21], v[20:21], -v[170:171]
	ds_read2_b64 v[170:173], v1 offset0:76 offset1:77
	s_waitcnt lgkmcnt(0)
	v_mul_f64 v[44:45], v[172:173], v[178:179]
	v_fma_f64 v[44:45], v[170:171], v[42:43], -v[44:45]
	v_mul_f64 v[170:171], v[170:171], v[178:179]
	v_add_f64 v[14:15], v[14:15], -v[44:45]
	v_fma_f64 v[170:171], v[172:173], v[42:43], v[170:171]
	v_add_f64 v[16:17], v[16:17], -v[170:171]
	ds_read2_b64 v[170:173], v1 offset0:78 offset1:79
	s_waitcnt lgkmcnt(0)
	v_mul_f64 v[44:45], v[172:173], v[178:179]
	v_fma_f64 v[44:45], v[170:171], v[42:43], -v[44:45]
	v_mul_f64 v[170:171], v[170:171], v[178:179]
	v_add_f64 v[10:11], v[10:11], -v[44:45]
	v_fma_f64 v[170:171], v[172:173], v[42:43], v[170:171]
	v_add_f64 v[12:13], v[12:13], -v[170:171]
	ds_read2_b64 v[170:173], v1 offset0:80 offset1:81
	s_waitcnt lgkmcnt(0)
	v_mul_f64 v[44:45], v[172:173], v[178:179]
	v_fma_f64 v[44:45], v[170:171], v[42:43], -v[44:45]
	v_mul_f64 v[170:171], v[170:171], v[178:179]
	v_add_f64 v[6:7], v[6:7], -v[44:45]
	v_fma_f64 v[170:171], v[172:173], v[42:43], v[170:171]
	v_add_f64 v[8:9], v[8:9], -v[170:171]
	ds_read2_b64 v[170:173], v1 offset0:82 offset1:83
	s_waitcnt lgkmcnt(0)
	v_mul_f64 v[44:45], v[172:173], v[178:179]
	v_fma_f64 v[44:45], v[170:171], v[42:43], -v[44:45]
	v_mul_f64 v[170:171], v[170:171], v[178:179]
	v_add_f64 v[2:3], v[2:3], -v[44:45]
	v_fma_f64 v[170:171], v[172:173], v[42:43], v[170:171]
	v_mov_b32_e32 v44, v178
	v_mov_b32_e32 v45, v179
	v_add_f64 v[4:5], v[4:5], -v[170:171]
.LBB82_671:
	s_or_b32 exec_lo, exec_lo, s0
	v_lshl_add_u32 v170, v184, 4, v1
	s_barrier
	buffer_gl0_inv
	v_mov_b32_e32 v178, 32
	ds_write2_b64 v170, v[38:39], v[40:41] offset1:1
	s_waitcnt lgkmcnt(0)
	s_barrier
	buffer_gl0_inv
	ds_read2_b64 v[170:173], v1 offset0:64 offset1:65
	s_cmp_lt_i32 s18, 34
	s_cbranch_scc1 .LBB82_674
; %bb.672:
	v_add3_u32 v179, v180, 0, 0x210
	v_mov_b32_e32 v178, 32
	s_mov_b32 s1, 33
	s_inst_prefetch 0x1
	.p2align	6
.LBB82_673:                             ; =>This Inner Loop Header: Depth=1
	s_waitcnt lgkmcnt(0)
	v_cmp_gt_f64_e32 vcc_lo, 0, v[172:173]
	v_cmp_gt_f64_e64 s0, 0, v[170:171]
	ds_read2_b64 v[185:188], v179 offset1:1
	v_xor_b32_e32 v190, 0x80000000, v171
	v_xor_b32_e32 v192, 0x80000000, v173
	v_mov_b32_e32 v189, v170
	v_mov_b32_e32 v191, v172
	v_add_nc_u32_e32 v179, 16, v179
	s_waitcnt lgkmcnt(0)
	v_xor_b32_e32 v194, 0x80000000, v188
	v_cndmask_b32_e64 v190, v171, v190, s0
	v_cndmask_b32_e32 v192, v173, v192, vcc_lo
	v_cmp_gt_f64_e32 vcc_lo, 0, v[187:188]
	v_cmp_gt_f64_e64 s0, 0, v[185:186]
	v_mov_b32_e32 v193, v187
	v_add_f64 v[189:190], v[189:190], v[191:192]
	v_xor_b32_e32 v192, 0x80000000, v186
	v_mov_b32_e32 v191, v185
	v_cndmask_b32_e32 v194, v188, v194, vcc_lo
	v_cndmask_b32_e64 v192, v186, v192, s0
	v_add_f64 v[191:192], v[191:192], v[193:194]
	v_cmp_lt_f64_e32 vcc_lo, v[189:190], v[191:192]
	v_cndmask_b32_e32 v171, v171, v186, vcc_lo
	v_cndmask_b32_e32 v170, v170, v185, vcc_lo
	;; [unrolled: 1-line block ×4, first 2 shown]
	v_cndmask_b32_e64 v178, v178, s1, vcc_lo
	s_add_i32 s1, s1, 1
	s_cmp_lg_u32 s18, s1
	s_cbranch_scc1 .LBB82_673
.LBB82_674:
	s_inst_prefetch 0x2
	s_waitcnt lgkmcnt(0)
	v_cmp_eq_f64_e32 vcc_lo, 0, v[170:171]
	v_cmp_eq_f64_e64 s0, 0, v[172:173]
	s_and_b32 s0, vcc_lo, s0
	s_and_saveexec_b32 s1, s0
	s_xor_b32 s0, exec_lo, s1
; %bb.675:
	v_cmp_ne_u32_e32 vcc_lo, 0, v183
	v_cndmask_b32_e32 v183, 33, v183, vcc_lo
; %bb.676:
	s_andn2_saveexec_b32 s0, s0
	s_cbranch_execz .LBB82_682
; %bb.677:
	v_cmp_ngt_f64_e64 s1, |v[170:171]|, |v[172:173]|
	s_and_saveexec_b32 s2, s1
	s_xor_b32 s1, exec_lo, s2
	s_cbranch_execz .LBB82_679
; %bb.678:
	v_div_scale_f64 v[185:186], null, v[172:173], v[172:173], v[170:171]
	v_div_scale_f64 v[191:192], vcc_lo, v[170:171], v[172:173], v[170:171]
	v_rcp_f64_e32 v[187:188], v[185:186]
	v_fma_f64 v[189:190], -v[185:186], v[187:188], 1.0
	v_fma_f64 v[187:188], v[187:188], v[189:190], v[187:188]
	v_fma_f64 v[189:190], -v[185:186], v[187:188], 1.0
	v_fma_f64 v[187:188], v[187:188], v[189:190], v[187:188]
	v_mul_f64 v[189:190], v[191:192], v[187:188]
	v_fma_f64 v[185:186], -v[185:186], v[189:190], v[191:192]
	v_div_fmas_f64 v[185:186], v[185:186], v[187:188], v[189:190]
	v_div_fixup_f64 v[185:186], v[185:186], v[172:173], v[170:171]
	v_fma_f64 v[170:171], v[170:171], v[185:186], v[172:173]
	v_div_scale_f64 v[172:173], null, v[170:171], v[170:171], 1.0
	v_rcp_f64_e32 v[187:188], v[172:173]
	v_fma_f64 v[189:190], -v[172:173], v[187:188], 1.0
	v_fma_f64 v[187:188], v[187:188], v[189:190], v[187:188]
	v_fma_f64 v[189:190], -v[172:173], v[187:188], 1.0
	v_fma_f64 v[187:188], v[187:188], v[189:190], v[187:188]
	v_div_scale_f64 v[189:190], vcc_lo, 1.0, v[170:171], 1.0
	v_mul_f64 v[191:192], v[189:190], v[187:188]
	v_fma_f64 v[172:173], -v[172:173], v[191:192], v[189:190]
	v_div_fmas_f64 v[172:173], v[172:173], v[187:188], v[191:192]
	v_div_fixup_f64 v[172:173], v[172:173], v[170:171], 1.0
	v_mul_f64 v[170:171], v[185:186], v[172:173]
	v_xor_b32_e32 v173, 0x80000000, v173
.LBB82_679:
	s_andn2_saveexec_b32 s1, s1
	s_cbranch_execz .LBB82_681
; %bb.680:
	v_div_scale_f64 v[185:186], null, v[170:171], v[170:171], v[172:173]
	v_div_scale_f64 v[191:192], vcc_lo, v[172:173], v[170:171], v[172:173]
	v_rcp_f64_e32 v[187:188], v[185:186]
	v_fma_f64 v[189:190], -v[185:186], v[187:188], 1.0
	v_fma_f64 v[187:188], v[187:188], v[189:190], v[187:188]
	v_fma_f64 v[189:190], -v[185:186], v[187:188], 1.0
	v_fma_f64 v[187:188], v[187:188], v[189:190], v[187:188]
	v_mul_f64 v[189:190], v[191:192], v[187:188]
	v_fma_f64 v[185:186], -v[185:186], v[189:190], v[191:192]
	v_div_fmas_f64 v[185:186], v[185:186], v[187:188], v[189:190]
	v_div_fixup_f64 v[185:186], v[185:186], v[170:171], v[172:173]
	v_fma_f64 v[170:171], v[172:173], v[185:186], v[170:171]
	v_div_scale_f64 v[172:173], null, v[170:171], v[170:171], 1.0
	v_rcp_f64_e32 v[187:188], v[172:173]
	v_fma_f64 v[189:190], -v[172:173], v[187:188], 1.0
	v_fma_f64 v[187:188], v[187:188], v[189:190], v[187:188]
	v_fma_f64 v[189:190], -v[172:173], v[187:188], 1.0
	v_fma_f64 v[187:188], v[187:188], v[189:190], v[187:188]
	v_div_scale_f64 v[189:190], vcc_lo, 1.0, v[170:171], 1.0
	v_mul_f64 v[191:192], v[189:190], v[187:188]
	v_fma_f64 v[172:173], -v[172:173], v[191:192], v[189:190]
	v_div_fmas_f64 v[172:173], v[172:173], v[187:188], v[191:192]
	v_div_fixup_f64 v[170:171], v[172:173], v[170:171], 1.0
	v_mul_f64 v[172:173], v[185:186], -v[170:171]
.LBB82_681:
	s_or_b32 exec_lo, exec_lo, s1
.LBB82_682:
	s_or_b32 exec_lo, exec_lo, s0
	s_mov_b32 s0, exec_lo
	v_cmpx_ne_u32_e64 v184, v178
	s_xor_b32 s0, exec_lo, s0
	s_cbranch_execz .LBB82_688
; %bb.683:
	s_mov_b32 s1, exec_lo
	v_cmpx_eq_u32_e32 32, v184
	s_cbranch_execz .LBB82_687
; %bb.684:
	v_cmp_ne_u32_e32 vcc_lo, 32, v178
	s_xor_b32 s2, s16, -1
	s_and_b32 s3, s2, vcc_lo
	s_and_saveexec_b32 s2, s3
	s_cbranch_execz .LBB82_686
; %bb.685:
	v_ashrrev_i32_e32 v179, 31, v178
	v_lshlrev_b64 v[184:185], 2, v[178:179]
	v_add_co_u32 v184, vcc_lo, v176, v184
	v_add_co_ci_u32_e64 v185, null, v177, v185, vcc_lo
	s_clause 0x1
	global_load_dword v0, v[184:185], off
	global_load_dword v179, v[176:177], off offset:128
	s_waitcnt vmcnt(1)
	global_store_dword v[176:177], v0, off offset:128
	s_waitcnt vmcnt(0)
	global_store_dword v[184:185], v179, off
.LBB82_686:
	s_or_b32 exec_lo, exec_lo, s2
	v_mov_b32_e32 v184, v178
	v_mov_b32_e32 v0, v178
.LBB82_687:
	s_or_b32 exec_lo, exec_lo, s1
.LBB82_688:
	s_andn2_saveexec_b32 s0, s0
	s_cbranch_execz .LBB82_690
; %bb.689:
	v_mov_b32_e32 v184, 32
	ds_write2_b64 v1, v[34:35], v[36:37] offset0:66 offset1:67
	ds_write2_b64 v1, v[30:31], v[32:33] offset0:68 offset1:69
	;; [unrolled: 1-line block ×9, first 2 shown]
.LBB82_690:
	s_or_b32 exec_lo, exec_lo, s0
	s_mov_b32 s0, exec_lo
	s_waitcnt lgkmcnt(0)
	s_waitcnt_vscnt null, 0x0
	s_barrier
	buffer_gl0_inv
	v_cmpx_lt_i32_e32 32, v184
	s_cbranch_execz .LBB82_692
; %bb.691:
	v_mul_f64 v[178:179], v[170:171], v[40:41]
	v_mul_f64 v[40:41], v[172:173], v[40:41]
	ds_read2_b64 v[185:188], v1 offset0:66 offset1:67
	ds_read2_b64 v[189:192], v1 offset0:68 offset1:69
	ds_read2_b64 v[193:196], v1 offset0:70 offset1:71
	ds_read2_b64 v[197:200], v1 offset0:72 offset1:73
	ds_read2_b64 v[201:204], v1 offset0:74 offset1:75
	ds_read2_b64 v[205:208], v1 offset0:76 offset1:77
	ds_read2_b64 v[209:212], v1 offset0:78 offset1:79
	ds_read2_b64 v[213:216], v1 offset0:80 offset1:81
	ds_read2_b64 v[217:220], v1 offset0:82 offset1:83
	v_fma_f64 v[172:173], v[172:173], v[38:39], v[178:179]
	v_fma_f64 v[38:39], v[170:171], v[38:39], -v[40:41]
	s_waitcnt lgkmcnt(8)
	v_mul_f64 v[40:41], v[187:188], v[172:173]
	v_mul_f64 v[170:171], v[185:186], v[172:173]
	s_waitcnt lgkmcnt(7)
	v_mul_f64 v[178:179], v[191:192], v[172:173]
	v_mul_f64 v[221:222], v[189:190], v[172:173]
	s_waitcnt lgkmcnt(6)
	v_mul_f64 v[223:224], v[195:196], v[172:173]
	v_mul_f64 v[225:226], v[193:194], v[172:173]
	s_waitcnt lgkmcnt(5)
	v_mul_f64 v[227:228], v[199:200], v[172:173]
	v_mul_f64 v[229:230], v[197:198], v[172:173]
	s_waitcnt lgkmcnt(4)
	v_mul_f64 v[231:232], v[203:204], v[172:173]
	v_mul_f64 v[233:234], v[201:202], v[172:173]
	s_waitcnt lgkmcnt(3)
	v_mul_f64 v[235:236], v[207:208], v[172:173]
	v_mul_f64 v[237:238], v[205:206], v[172:173]
	s_waitcnt lgkmcnt(2)
	v_mul_f64 v[239:240], v[211:212], v[172:173]
	v_mul_f64 v[241:242], v[209:210], v[172:173]
	s_waitcnt lgkmcnt(1)
	v_mul_f64 v[243:244], v[215:216], v[172:173]
	v_mul_f64 v[245:246], v[213:214], v[172:173]
	s_waitcnt lgkmcnt(0)
	v_mul_f64 v[247:248], v[219:220], v[172:173]
	v_mul_f64 v[249:250], v[217:218], v[172:173]
	v_fma_f64 v[40:41], v[185:186], v[38:39], -v[40:41]
	v_fma_f64 v[170:171], v[187:188], v[38:39], v[170:171]
	v_fma_f64 v[178:179], v[189:190], v[38:39], -v[178:179]
	v_fma_f64 v[185:186], v[191:192], v[38:39], v[221:222]
	;; [unrolled: 2-line block ×9, first 2 shown]
	v_add_f64 v[34:35], v[34:35], -v[40:41]
	v_add_f64 v[36:37], v[36:37], -v[170:171]
	;; [unrolled: 1-line block ×18, first 2 shown]
	v_mov_b32_e32 v40, v172
	v_mov_b32_e32 v41, v173
.LBB82_692:
	s_or_b32 exec_lo, exec_lo, s0
	v_lshl_add_u32 v170, v184, 4, v1
	s_barrier
	buffer_gl0_inv
	v_mov_b32_e32 v178, 33
	ds_write2_b64 v170, v[34:35], v[36:37] offset1:1
	s_waitcnt lgkmcnt(0)
	s_barrier
	buffer_gl0_inv
	ds_read2_b64 v[170:173], v1 offset0:66 offset1:67
	s_cmp_lt_i32 s18, 35
	s_cbranch_scc1 .LBB82_695
; %bb.693:
	v_add3_u32 v179, v180, 0, 0x220
	v_mov_b32_e32 v178, 33
	s_mov_b32 s1, 34
	s_inst_prefetch 0x1
	.p2align	6
.LBB82_694:                             ; =>This Inner Loop Header: Depth=1
	s_waitcnt lgkmcnt(0)
	v_cmp_gt_f64_e32 vcc_lo, 0, v[172:173]
	v_cmp_gt_f64_e64 s0, 0, v[170:171]
	ds_read2_b64 v[185:188], v179 offset1:1
	v_xor_b32_e32 v190, 0x80000000, v171
	v_xor_b32_e32 v192, 0x80000000, v173
	v_mov_b32_e32 v189, v170
	v_mov_b32_e32 v191, v172
	v_add_nc_u32_e32 v179, 16, v179
	s_waitcnt lgkmcnt(0)
	v_xor_b32_e32 v194, 0x80000000, v188
	v_cndmask_b32_e64 v190, v171, v190, s0
	v_cndmask_b32_e32 v192, v173, v192, vcc_lo
	v_cmp_gt_f64_e32 vcc_lo, 0, v[187:188]
	v_cmp_gt_f64_e64 s0, 0, v[185:186]
	v_mov_b32_e32 v193, v187
	v_add_f64 v[189:190], v[189:190], v[191:192]
	v_xor_b32_e32 v192, 0x80000000, v186
	v_mov_b32_e32 v191, v185
	v_cndmask_b32_e32 v194, v188, v194, vcc_lo
	v_cndmask_b32_e64 v192, v186, v192, s0
	v_add_f64 v[191:192], v[191:192], v[193:194]
	v_cmp_lt_f64_e32 vcc_lo, v[189:190], v[191:192]
	v_cndmask_b32_e32 v171, v171, v186, vcc_lo
	v_cndmask_b32_e32 v170, v170, v185, vcc_lo
	;; [unrolled: 1-line block ×4, first 2 shown]
	v_cndmask_b32_e64 v178, v178, s1, vcc_lo
	s_add_i32 s1, s1, 1
	s_cmp_lg_u32 s18, s1
	s_cbranch_scc1 .LBB82_694
.LBB82_695:
	s_inst_prefetch 0x2
	s_waitcnt lgkmcnt(0)
	v_cmp_eq_f64_e32 vcc_lo, 0, v[170:171]
	v_cmp_eq_f64_e64 s0, 0, v[172:173]
	s_and_b32 s0, vcc_lo, s0
	s_and_saveexec_b32 s1, s0
	s_xor_b32 s0, exec_lo, s1
; %bb.696:
	v_cmp_ne_u32_e32 vcc_lo, 0, v183
	v_cndmask_b32_e32 v183, 34, v183, vcc_lo
; %bb.697:
	s_andn2_saveexec_b32 s0, s0
	s_cbranch_execz .LBB82_703
; %bb.698:
	v_cmp_ngt_f64_e64 s1, |v[170:171]|, |v[172:173]|
	s_and_saveexec_b32 s2, s1
	s_xor_b32 s1, exec_lo, s2
	s_cbranch_execz .LBB82_700
; %bb.699:
	v_div_scale_f64 v[185:186], null, v[172:173], v[172:173], v[170:171]
	v_div_scale_f64 v[191:192], vcc_lo, v[170:171], v[172:173], v[170:171]
	v_rcp_f64_e32 v[187:188], v[185:186]
	v_fma_f64 v[189:190], -v[185:186], v[187:188], 1.0
	v_fma_f64 v[187:188], v[187:188], v[189:190], v[187:188]
	v_fma_f64 v[189:190], -v[185:186], v[187:188], 1.0
	v_fma_f64 v[187:188], v[187:188], v[189:190], v[187:188]
	v_mul_f64 v[189:190], v[191:192], v[187:188]
	v_fma_f64 v[185:186], -v[185:186], v[189:190], v[191:192]
	v_div_fmas_f64 v[185:186], v[185:186], v[187:188], v[189:190]
	v_div_fixup_f64 v[185:186], v[185:186], v[172:173], v[170:171]
	v_fma_f64 v[170:171], v[170:171], v[185:186], v[172:173]
	v_div_scale_f64 v[172:173], null, v[170:171], v[170:171], 1.0
	v_rcp_f64_e32 v[187:188], v[172:173]
	v_fma_f64 v[189:190], -v[172:173], v[187:188], 1.0
	v_fma_f64 v[187:188], v[187:188], v[189:190], v[187:188]
	v_fma_f64 v[189:190], -v[172:173], v[187:188], 1.0
	v_fma_f64 v[187:188], v[187:188], v[189:190], v[187:188]
	v_div_scale_f64 v[189:190], vcc_lo, 1.0, v[170:171], 1.0
	v_mul_f64 v[191:192], v[189:190], v[187:188]
	v_fma_f64 v[172:173], -v[172:173], v[191:192], v[189:190]
	v_div_fmas_f64 v[172:173], v[172:173], v[187:188], v[191:192]
	v_div_fixup_f64 v[172:173], v[172:173], v[170:171], 1.0
	v_mul_f64 v[170:171], v[185:186], v[172:173]
	v_xor_b32_e32 v173, 0x80000000, v173
.LBB82_700:
	s_andn2_saveexec_b32 s1, s1
	s_cbranch_execz .LBB82_702
; %bb.701:
	v_div_scale_f64 v[185:186], null, v[170:171], v[170:171], v[172:173]
	v_div_scale_f64 v[191:192], vcc_lo, v[172:173], v[170:171], v[172:173]
	v_rcp_f64_e32 v[187:188], v[185:186]
	v_fma_f64 v[189:190], -v[185:186], v[187:188], 1.0
	v_fma_f64 v[187:188], v[187:188], v[189:190], v[187:188]
	v_fma_f64 v[189:190], -v[185:186], v[187:188], 1.0
	v_fma_f64 v[187:188], v[187:188], v[189:190], v[187:188]
	v_mul_f64 v[189:190], v[191:192], v[187:188]
	v_fma_f64 v[185:186], -v[185:186], v[189:190], v[191:192]
	v_div_fmas_f64 v[185:186], v[185:186], v[187:188], v[189:190]
	v_div_fixup_f64 v[185:186], v[185:186], v[170:171], v[172:173]
	v_fma_f64 v[170:171], v[172:173], v[185:186], v[170:171]
	v_div_scale_f64 v[172:173], null, v[170:171], v[170:171], 1.0
	v_rcp_f64_e32 v[187:188], v[172:173]
	v_fma_f64 v[189:190], -v[172:173], v[187:188], 1.0
	v_fma_f64 v[187:188], v[187:188], v[189:190], v[187:188]
	v_fma_f64 v[189:190], -v[172:173], v[187:188], 1.0
	v_fma_f64 v[187:188], v[187:188], v[189:190], v[187:188]
	v_div_scale_f64 v[189:190], vcc_lo, 1.0, v[170:171], 1.0
	v_mul_f64 v[191:192], v[189:190], v[187:188]
	v_fma_f64 v[172:173], -v[172:173], v[191:192], v[189:190]
	v_div_fmas_f64 v[172:173], v[172:173], v[187:188], v[191:192]
	v_div_fixup_f64 v[170:171], v[172:173], v[170:171], 1.0
	v_mul_f64 v[172:173], v[185:186], -v[170:171]
.LBB82_702:
	s_or_b32 exec_lo, exec_lo, s1
.LBB82_703:
	s_or_b32 exec_lo, exec_lo, s0
	s_mov_b32 s0, exec_lo
	v_cmpx_ne_u32_e64 v184, v178
	s_xor_b32 s0, exec_lo, s0
	s_cbranch_execz .LBB82_709
; %bb.704:
	s_mov_b32 s1, exec_lo
	v_cmpx_eq_u32_e32 33, v184
	s_cbranch_execz .LBB82_708
; %bb.705:
	v_cmp_ne_u32_e32 vcc_lo, 33, v178
	s_xor_b32 s2, s16, -1
	s_and_b32 s3, s2, vcc_lo
	s_and_saveexec_b32 s2, s3
	s_cbranch_execz .LBB82_707
; %bb.706:
	v_ashrrev_i32_e32 v179, 31, v178
	v_lshlrev_b64 v[184:185], 2, v[178:179]
	v_add_co_u32 v184, vcc_lo, v176, v184
	v_add_co_ci_u32_e64 v185, null, v177, v185, vcc_lo
	s_clause 0x1
	global_load_dword v0, v[184:185], off
	global_load_dword v179, v[176:177], off offset:132
	s_waitcnt vmcnt(1)
	global_store_dword v[176:177], v0, off offset:132
	s_waitcnt vmcnt(0)
	global_store_dword v[184:185], v179, off
.LBB82_707:
	s_or_b32 exec_lo, exec_lo, s2
	v_mov_b32_e32 v184, v178
	v_mov_b32_e32 v0, v178
.LBB82_708:
	s_or_b32 exec_lo, exec_lo, s1
.LBB82_709:
	s_andn2_saveexec_b32 s0, s0
	s_cbranch_execz .LBB82_711
; %bb.710:
	v_mov_b32_e32 v184, 33
	ds_write2_b64 v1, v[30:31], v[32:33] offset0:68 offset1:69
	ds_write2_b64 v1, v[26:27], v[28:29] offset0:70 offset1:71
	;; [unrolled: 1-line block ×8, first 2 shown]
.LBB82_711:
	s_or_b32 exec_lo, exec_lo, s0
	s_mov_b32 s0, exec_lo
	s_waitcnt lgkmcnt(0)
	s_waitcnt_vscnt null, 0x0
	s_barrier
	buffer_gl0_inv
	v_cmpx_lt_i32_e32 33, v184
	s_cbranch_execz .LBB82_713
; %bb.712:
	v_mul_f64 v[178:179], v[170:171], v[36:37]
	v_mul_f64 v[36:37], v[172:173], v[36:37]
	ds_read2_b64 v[185:188], v1 offset0:68 offset1:69
	ds_read2_b64 v[189:192], v1 offset0:70 offset1:71
	;; [unrolled: 1-line block ×8, first 2 shown]
	v_fma_f64 v[172:173], v[172:173], v[34:35], v[178:179]
	v_fma_f64 v[34:35], v[170:171], v[34:35], -v[36:37]
	s_waitcnt lgkmcnt(7)
	v_mul_f64 v[36:37], v[187:188], v[172:173]
	v_mul_f64 v[170:171], v[185:186], v[172:173]
	s_waitcnt lgkmcnt(6)
	v_mul_f64 v[178:179], v[191:192], v[172:173]
	v_mul_f64 v[217:218], v[189:190], v[172:173]
	;; [unrolled: 3-line block ×8, first 2 shown]
	v_fma_f64 v[36:37], v[185:186], v[34:35], -v[36:37]
	v_fma_f64 v[170:171], v[187:188], v[34:35], v[170:171]
	v_fma_f64 v[178:179], v[189:190], v[34:35], -v[178:179]
	v_fma_f64 v[185:186], v[191:192], v[34:35], v[217:218]
	;; [unrolled: 2-line block ×8, first 2 shown]
	v_add_f64 v[30:31], v[30:31], -v[36:37]
	v_add_f64 v[32:33], v[32:33], -v[170:171]
	;; [unrolled: 1-line block ×16, first 2 shown]
	v_mov_b32_e32 v36, v172
	v_mov_b32_e32 v37, v173
.LBB82_713:
	s_or_b32 exec_lo, exec_lo, s0
	v_lshl_add_u32 v170, v184, 4, v1
	s_barrier
	buffer_gl0_inv
	v_mov_b32_e32 v178, 34
	ds_write2_b64 v170, v[30:31], v[32:33] offset1:1
	s_waitcnt lgkmcnt(0)
	s_barrier
	buffer_gl0_inv
	ds_read2_b64 v[170:173], v1 offset0:68 offset1:69
	s_cmp_lt_i32 s18, 36
	s_cbranch_scc1 .LBB82_716
; %bb.714:
	v_add3_u32 v179, v180, 0, 0x230
	v_mov_b32_e32 v178, 34
	s_mov_b32 s1, 35
	s_inst_prefetch 0x1
	.p2align	6
.LBB82_715:                             ; =>This Inner Loop Header: Depth=1
	s_waitcnt lgkmcnt(0)
	v_cmp_gt_f64_e32 vcc_lo, 0, v[172:173]
	v_cmp_gt_f64_e64 s0, 0, v[170:171]
	ds_read2_b64 v[185:188], v179 offset1:1
	v_xor_b32_e32 v190, 0x80000000, v171
	v_xor_b32_e32 v192, 0x80000000, v173
	v_mov_b32_e32 v189, v170
	v_mov_b32_e32 v191, v172
	v_add_nc_u32_e32 v179, 16, v179
	s_waitcnt lgkmcnt(0)
	v_xor_b32_e32 v194, 0x80000000, v188
	v_cndmask_b32_e64 v190, v171, v190, s0
	v_cndmask_b32_e32 v192, v173, v192, vcc_lo
	v_cmp_gt_f64_e32 vcc_lo, 0, v[187:188]
	v_cmp_gt_f64_e64 s0, 0, v[185:186]
	v_mov_b32_e32 v193, v187
	v_add_f64 v[189:190], v[189:190], v[191:192]
	v_xor_b32_e32 v192, 0x80000000, v186
	v_mov_b32_e32 v191, v185
	v_cndmask_b32_e32 v194, v188, v194, vcc_lo
	v_cndmask_b32_e64 v192, v186, v192, s0
	v_add_f64 v[191:192], v[191:192], v[193:194]
	v_cmp_lt_f64_e32 vcc_lo, v[189:190], v[191:192]
	v_cndmask_b32_e32 v171, v171, v186, vcc_lo
	v_cndmask_b32_e32 v170, v170, v185, vcc_lo
	;; [unrolled: 1-line block ×4, first 2 shown]
	v_cndmask_b32_e64 v178, v178, s1, vcc_lo
	s_add_i32 s1, s1, 1
	s_cmp_lg_u32 s18, s1
	s_cbranch_scc1 .LBB82_715
.LBB82_716:
	s_inst_prefetch 0x2
	s_waitcnt lgkmcnt(0)
	v_cmp_eq_f64_e32 vcc_lo, 0, v[170:171]
	v_cmp_eq_f64_e64 s0, 0, v[172:173]
	s_and_b32 s0, vcc_lo, s0
	s_and_saveexec_b32 s1, s0
	s_xor_b32 s0, exec_lo, s1
; %bb.717:
	v_cmp_ne_u32_e32 vcc_lo, 0, v183
	v_cndmask_b32_e32 v183, 35, v183, vcc_lo
; %bb.718:
	s_andn2_saveexec_b32 s0, s0
	s_cbranch_execz .LBB82_724
; %bb.719:
	v_cmp_ngt_f64_e64 s1, |v[170:171]|, |v[172:173]|
	s_and_saveexec_b32 s2, s1
	s_xor_b32 s1, exec_lo, s2
	s_cbranch_execz .LBB82_721
; %bb.720:
	v_div_scale_f64 v[185:186], null, v[172:173], v[172:173], v[170:171]
	v_div_scale_f64 v[191:192], vcc_lo, v[170:171], v[172:173], v[170:171]
	v_rcp_f64_e32 v[187:188], v[185:186]
	v_fma_f64 v[189:190], -v[185:186], v[187:188], 1.0
	v_fma_f64 v[187:188], v[187:188], v[189:190], v[187:188]
	v_fma_f64 v[189:190], -v[185:186], v[187:188], 1.0
	v_fma_f64 v[187:188], v[187:188], v[189:190], v[187:188]
	v_mul_f64 v[189:190], v[191:192], v[187:188]
	v_fma_f64 v[185:186], -v[185:186], v[189:190], v[191:192]
	v_div_fmas_f64 v[185:186], v[185:186], v[187:188], v[189:190]
	v_div_fixup_f64 v[185:186], v[185:186], v[172:173], v[170:171]
	v_fma_f64 v[170:171], v[170:171], v[185:186], v[172:173]
	v_div_scale_f64 v[172:173], null, v[170:171], v[170:171], 1.0
	v_rcp_f64_e32 v[187:188], v[172:173]
	v_fma_f64 v[189:190], -v[172:173], v[187:188], 1.0
	v_fma_f64 v[187:188], v[187:188], v[189:190], v[187:188]
	v_fma_f64 v[189:190], -v[172:173], v[187:188], 1.0
	v_fma_f64 v[187:188], v[187:188], v[189:190], v[187:188]
	v_div_scale_f64 v[189:190], vcc_lo, 1.0, v[170:171], 1.0
	v_mul_f64 v[191:192], v[189:190], v[187:188]
	v_fma_f64 v[172:173], -v[172:173], v[191:192], v[189:190]
	v_div_fmas_f64 v[172:173], v[172:173], v[187:188], v[191:192]
	v_div_fixup_f64 v[172:173], v[172:173], v[170:171], 1.0
	v_mul_f64 v[170:171], v[185:186], v[172:173]
	v_xor_b32_e32 v173, 0x80000000, v173
.LBB82_721:
	s_andn2_saveexec_b32 s1, s1
	s_cbranch_execz .LBB82_723
; %bb.722:
	v_div_scale_f64 v[185:186], null, v[170:171], v[170:171], v[172:173]
	v_div_scale_f64 v[191:192], vcc_lo, v[172:173], v[170:171], v[172:173]
	v_rcp_f64_e32 v[187:188], v[185:186]
	v_fma_f64 v[189:190], -v[185:186], v[187:188], 1.0
	v_fma_f64 v[187:188], v[187:188], v[189:190], v[187:188]
	v_fma_f64 v[189:190], -v[185:186], v[187:188], 1.0
	v_fma_f64 v[187:188], v[187:188], v[189:190], v[187:188]
	v_mul_f64 v[189:190], v[191:192], v[187:188]
	v_fma_f64 v[185:186], -v[185:186], v[189:190], v[191:192]
	v_div_fmas_f64 v[185:186], v[185:186], v[187:188], v[189:190]
	v_div_fixup_f64 v[185:186], v[185:186], v[170:171], v[172:173]
	v_fma_f64 v[170:171], v[172:173], v[185:186], v[170:171]
	v_div_scale_f64 v[172:173], null, v[170:171], v[170:171], 1.0
	v_rcp_f64_e32 v[187:188], v[172:173]
	v_fma_f64 v[189:190], -v[172:173], v[187:188], 1.0
	v_fma_f64 v[187:188], v[187:188], v[189:190], v[187:188]
	v_fma_f64 v[189:190], -v[172:173], v[187:188], 1.0
	v_fma_f64 v[187:188], v[187:188], v[189:190], v[187:188]
	v_div_scale_f64 v[189:190], vcc_lo, 1.0, v[170:171], 1.0
	v_mul_f64 v[191:192], v[189:190], v[187:188]
	v_fma_f64 v[172:173], -v[172:173], v[191:192], v[189:190]
	v_div_fmas_f64 v[172:173], v[172:173], v[187:188], v[191:192]
	v_div_fixup_f64 v[170:171], v[172:173], v[170:171], 1.0
	v_mul_f64 v[172:173], v[185:186], -v[170:171]
.LBB82_723:
	s_or_b32 exec_lo, exec_lo, s1
.LBB82_724:
	s_or_b32 exec_lo, exec_lo, s0
	s_mov_b32 s0, exec_lo
	v_cmpx_ne_u32_e64 v184, v178
	s_xor_b32 s0, exec_lo, s0
	s_cbranch_execz .LBB82_730
; %bb.725:
	s_mov_b32 s1, exec_lo
	v_cmpx_eq_u32_e32 34, v184
	s_cbranch_execz .LBB82_729
; %bb.726:
	v_cmp_ne_u32_e32 vcc_lo, 34, v178
	s_xor_b32 s2, s16, -1
	s_and_b32 s3, s2, vcc_lo
	s_and_saveexec_b32 s2, s3
	s_cbranch_execz .LBB82_728
; %bb.727:
	v_ashrrev_i32_e32 v179, 31, v178
	v_lshlrev_b64 v[184:185], 2, v[178:179]
	v_add_co_u32 v184, vcc_lo, v176, v184
	v_add_co_ci_u32_e64 v185, null, v177, v185, vcc_lo
	s_clause 0x1
	global_load_dword v0, v[184:185], off
	global_load_dword v179, v[176:177], off offset:136
	s_waitcnt vmcnt(1)
	global_store_dword v[176:177], v0, off offset:136
	s_waitcnt vmcnt(0)
	global_store_dword v[184:185], v179, off
.LBB82_728:
	s_or_b32 exec_lo, exec_lo, s2
	v_mov_b32_e32 v184, v178
	v_mov_b32_e32 v0, v178
.LBB82_729:
	s_or_b32 exec_lo, exec_lo, s1
.LBB82_730:
	s_andn2_saveexec_b32 s0, s0
	s_cbranch_execz .LBB82_732
; %bb.731:
	v_mov_b32_e32 v184, 34
	ds_write2_b64 v1, v[26:27], v[28:29] offset0:70 offset1:71
	ds_write2_b64 v1, v[22:23], v[24:25] offset0:72 offset1:73
	;; [unrolled: 1-line block ×7, first 2 shown]
.LBB82_732:
	s_or_b32 exec_lo, exec_lo, s0
	s_mov_b32 s0, exec_lo
	s_waitcnt lgkmcnt(0)
	s_waitcnt_vscnt null, 0x0
	s_barrier
	buffer_gl0_inv
	v_cmpx_lt_i32_e32 34, v184
	s_cbranch_execz .LBB82_734
; %bb.733:
	v_mul_f64 v[178:179], v[170:171], v[32:33]
	v_mul_f64 v[32:33], v[172:173], v[32:33]
	ds_read2_b64 v[185:188], v1 offset0:70 offset1:71
	ds_read2_b64 v[189:192], v1 offset0:72 offset1:73
	;; [unrolled: 1-line block ×7, first 2 shown]
	v_fma_f64 v[172:173], v[172:173], v[30:31], v[178:179]
	v_fma_f64 v[30:31], v[170:171], v[30:31], -v[32:33]
	s_waitcnt lgkmcnt(6)
	v_mul_f64 v[32:33], v[187:188], v[172:173]
	v_mul_f64 v[170:171], v[185:186], v[172:173]
	s_waitcnt lgkmcnt(5)
	v_mul_f64 v[178:179], v[191:192], v[172:173]
	v_mul_f64 v[213:214], v[189:190], v[172:173]
	;; [unrolled: 3-line block ×7, first 2 shown]
	v_fma_f64 v[32:33], v[185:186], v[30:31], -v[32:33]
	v_fma_f64 v[170:171], v[187:188], v[30:31], v[170:171]
	v_fma_f64 v[178:179], v[189:190], v[30:31], -v[178:179]
	v_fma_f64 v[185:186], v[191:192], v[30:31], v[213:214]
	;; [unrolled: 2-line block ×7, first 2 shown]
	v_add_f64 v[26:27], v[26:27], -v[32:33]
	v_add_f64 v[28:29], v[28:29], -v[170:171]
	;; [unrolled: 1-line block ×14, first 2 shown]
	v_mov_b32_e32 v32, v172
	v_mov_b32_e32 v33, v173
.LBB82_734:
	s_or_b32 exec_lo, exec_lo, s0
	v_lshl_add_u32 v170, v184, 4, v1
	s_barrier
	buffer_gl0_inv
	v_mov_b32_e32 v178, 35
	ds_write2_b64 v170, v[26:27], v[28:29] offset1:1
	s_waitcnt lgkmcnt(0)
	s_barrier
	buffer_gl0_inv
	ds_read2_b64 v[170:173], v1 offset0:70 offset1:71
	s_cmp_lt_i32 s18, 37
	s_cbranch_scc1 .LBB82_737
; %bb.735:
	v_add3_u32 v179, v180, 0, 0x240
	v_mov_b32_e32 v178, 35
	s_mov_b32 s1, 36
	s_inst_prefetch 0x1
	.p2align	6
.LBB82_736:                             ; =>This Inner Loop Header: Depth=1
	s_waitcnt lgkmcnt(0)
	v_cmp_gt_f64_e32 vcc_lo, 0, v[172:173]
	v_cmp_gt_f64_e64 s0, 0, v[170:171]
	ds_read2_b64 v[185:188], v179 offset1:1
	v_xor_b32_e32 v190, 0x80000000, v171
	v_xor_b32_e32 v192, 0x80000000, v173
	v_mov_b32_e32 v189, v170
	v_mov_b32_e32 v191, v172
	v_add_nc_u32_e32 v179, 16, v179
	s_waitcnt lgkmcnt(0)
	v_xor_b32_e32 v194, 0x80000000, v188
	v_cndmask_b32_e64 v190, v171, v190, s0
	v_cndmask_b32_e32 v192, v173, v192, vcc_lo
	v_cmp_gt_f64_e32 vcc_lo, 0, v[187:188]
	v_cmp_gt_f64_e64 s0, 0, v[185:186]
	v_mov_b32_e32 v193, v187
	v_add_f64 v[189:190], v[189:190], v[191:192]
	v_xor_b32_e32 v192, 0x80000000, v186
	v_mov_b32_e32 v191, v185
	v_cndmask_b32_e32 v194, v188, v194, vcc_lo
	v_cndmask_b32_e64 v192, v186, v192, s0
	v_add_f64 v[191:192], v[191:192], v[193:194]
	v_cmp_lt_f64_e32 vcc_lo, v[189:190], v[191:192]
	v_cndmask_b32_e32 v171, v171, v186, vcc_lo
	v_cndmask_b32_e32 v170, v170, v185, vcc_lo
	;; [unrolled: 1-line block ×4, first 2 shown]
	v_cndmask_b32_e64 v178, v178, s1, vcc_lo
	s_add_i32 s1, s1, 1
	s_cmp_lg_u32 s18, s1
	s_cbranch_scc1 .LBB82_736
.LBB82_737:
	s_inst_prefetch 0x2
	s_waitcnt lgkmcnt(0)
	v_cmp_eq_f64_e32 vcc_lo, 0, v[170:171]
	v_cmp_eq_f64_e64 s0, 0, v[172:173]
	s_and_b32 s0, vcc_lo, s0
	s_and_saveexec_b32 s1, s0
	s_xor_b32 s0, exec_lo, s1
; %bb.738:
	v_cmp_ne_u32_e32 vcc_lo, 0, v183
	v_cndmask_b32_e32 v183, 36, v183, vcc_lo
; %bb.739:
	s_andn2_saveexec_b32 s0, s0
	s_cbranch_execz .LBB82_745
; %bb.740:
	v_cmp_ngt_f64_e64 s1, |v[170:171]|, |v[172:173]|
	s_and_saveexec_b32 s2, s1
	s_xor_b32 s1, exec_lo, s2
	s_cbranch_execz .LBB82_742
; %bb.741:
	v_div_scale_f64 v[185:186], null, v[172:173], v[172:173], v[170:171]
	v_div_scale_f64 v[191:192], vcc_lo, v[170:171], v[172:173], v[170:171]
	v_rcp_f64_e32 v[187:188], v[185:186]
	v_fma_f64 v[189:190], -v[185:186], v[187:188], 1.0
	v_fma_f64 v[187:188], v[187:188], v[189:190], v[187:188]
	v_fma_f64 v[189:190], -v[185:186], v[187:188], 1.0
	v_fma_f64 v[187:188], v[187:188], v[189:190], v[187:188]
	v_mul_f64 v[189:190], v[191:192], v[187:188]
	v_fma_f64 v[185:186], -v[185:186], v[189:190], v[191:192]
	v_div_fmas_f64 v[185:186], v[185:186], v[187:188], v[189:190]
	v_div_fixup_f64 v[185:186], v[185:186], v[172:173], v[170:171]
	v_fma_f64 v[170:171], v[170:171], v[185:186], v[172:173]
	v_div_scale_f64 v[172:173], null, v[170:171], v[170:171], 1.0
	v_rcp_f64_e32 v[187:188], v[172:173]
	v_fma_f64 v[189:190], -v[172:173], v[187:188], 1.0
	v_fma_f64 v[187:188], v[187:188], v[189:190], v[187:188]
	v_fma_f64 v[189:190], -v[172:173], v[187:188], 1.0
	v_fma_f64 v[187:188], v[187:188], v[189:190], v[187:188]
	v_div_scale_f64 v[189:190], vcc_lo, 1.0, v[170:171], 1.0
	v_mul_f64 v[191:192], v[189:190], v[187:188]
	v_fma_f64 v[172:173], -v[172:173], v[191:192], v[189:190]
	v_div_fmas_f64 v[172:173], v[172:173], v[187:188], v[191:192]
	v_div_fixup_f64 v[172:173], v[172:173], v[170:171], 1.0
	v_mul_f64 v[170:171], v[185:186], v[172:173]
	v_xor_b32_e32 v173, 0x80000000, v173
.LBB82_742:
	s_andn2_saveexec_b32 s1, s1
	s_cbranch_execz .LBB82_744
; %bb.743:
	v_div_scale_f64 v[185:186], null, v[170:171], v[170:171], v[172:173]
	v_div_scale_f64 v[191:192], vcc_lo, v[172:173], v[170:171], v[172:173]
	v_rcp_f64_e32 v[187:188], v[185:186]
	v_fma_f64 v[189:190], -v[185:186], v[187:188], 1.0
	v_fma_f64 v[187:188], v[187:188], v[189:190], v[187:188]
	v_fma_f64 v[189:190], -v[185:186], v[187:188], 1.0
	v_fma_f64 v[187:188], v[187:188], v[189:190], v[187:188]
	v_mul_f64 v[189:190], v[191:192], v[187:188]
	v_fma_f64 v[185:186], -v[185:186], v[189:190], v[191:192]
	v_div_fmas_f64 v[185:186], v[185:186], v[187:188], v[189:190]
	v_div_fixup_f64 v[185:186], v[185:186], v[170:171], v[172:173]
	v_fma_f64 v[170:171], v[172:173], v[185:186], v[170:171]
	v_div_scale_f64 v[172:173], null, v[170:171], v[170:171], 1.0
	v_rcp_f64_e32 v[187:188], v[172:173]
	v_fma_f64 v[189:190], -v[172:173], v[187:188], 1.0
	v_fma_f64 v[187:188], v[187:188], v[189:190], v[187:188]
	v_fma_f64 v[189:190], -v[172:173], v[187:188], 1.0
	v_fma_f64 v[187:188], v[187:188], v[189:190], v[187:188]
	v_div_scale_f64 v[189:190], vcc_lo, 1.0, v[170:171], 1.0
	v_mul_f64 v[191:192], v[189:190], v[187:188]
	v_fma_f64 v[172:173], -v[172:173], v[191:192], v[189:190]
	v_div_fmas_f64 v[172:173], v[172:173], v[187:188], v[191:192]
	v_div_fixup_f64 v[170:171], v[172:173], v[170:171], 1.0
	v_mul_f64 v[172:173], v[185:186], -v[170:171]
.LBB82_744:
	s_or_b32 exec_lo, exec_lo, s1
.LBB82_745:
	s_or_b32 exec_lo, exec_lo, s0
	s_mov_b32 s0, exec_lo
	v_cmpx_ne_u32_e64 v184, v178
	s_xor_b32 s0, exec_lo, s0
	s_cbranch_execz .LBB82_751
; %bb.746:
	s_mov_b32 s1, exec_lo
	v_cmpx_eq_u32_e32 35, v184
	s_cbranch_execz .LBB82_750
; %bb.747:
	v_cmp_ne_u32_e32 vcc_lo, 35, v178
	s_xor_b32 s2, s16, -1
	s_and_b32 s3, s2, vcc_lo
	s_and_saveexec_b32 s2, s3
	s_cbranch_execz .LBB82_749
; %bb.748:
	v_ashrrev_i32_e32 v179, 31, v178
	v_lshlrev_b64 v[184:185], 2, v[178:179]
	v_add_co_u32 v184, vcc_lo, v176, v184
	v_add_co_ci_u32_e64 v185, null, v177, v185, vcc_lo
	s_clause 0x1
	global_load_dword v0, v[184:185], off
	global_load_dword v179, v[176:177], off offset:140
	s_waitcnt vmcnt(1)
	global_store_dword v[176:177], v0, off offset:140
	s_waitcnt vmcnt(0)
	global_store_dword v[184:185], v179, off
.LBB82_749:
	s_or_b32 exec_lo, exec_lo, s2
	v_mov_b32_e32 v184, v178
	v_mov_b32_e32 v0, v178
.LBB82_750:
	s_or_b32 exec_lo, exec_lo, s1
.LBB82_751:
	s_andn2_saveexec_b32 s0, s0
	s_cbranch_execz .LBB82_753
; %bb.752:
	v_mov_b32_e32 v184, 35
	ds_write2_b64 v1, v[22:23], v[24:25] offset0:72 offset1:73
	ds_write2_b64 v1, v[18:19], v[20:21] offset0:74 offset1:75
	;; [unrolled: 1-line block ×6, first 2 shown]
.LBB82_753:
	s_or_b32 exec_lo, exec_lo, s0
	s_mov_b32 s0, exec_lo
	s_waitcnt lgkmcnt(0)
	s_waitcnt_vscnt null, 0x0
	s_barrier
	buffer_gl0_inv
	v_cmpx_lt_i32_e32 35, v184
	s_cbranch_execz .LBB82_755
; %bb.754:
	v_mul_f64 v[178:179], v[170:171], v[28:29]
	v_mul_f64 v[28:29], v[172:173], v[28:29]
	ds_read2_b64 v[185:188], v1 offset0:72 offset1:73
	ds_read2_b64 v[189:192], v1 offset0:74 offset1:75
	ds_read2_b64 v[193:196], v1 offset0:76 offset1:77
	ds_read2_b64 v[197:200], v1 offset0:78 offset1:79
	ds_read2_b64 v[201:204], v1 offset0:80 offset1:81
	ds_read2_b64 v[205:208], v1 offset0:82 offset1:83
	v_fma_f64 v[172:173], v[172:173], v[26:27], v[178:179]
	v_fma_f64 v[26:27], v[170:171], v[26:27], -v[28:29]
	s_waitcnt lgkmcnt(5)
	v_mul_f64 v[28:29], v[187:188], v[172:173]
	v_mul_f64 v[170:171], v[185:186], v[172:173]
	s_waitcnt lgkmcnt(4)
	v_mul_f64 v[178:179], v[191:192], v[172:173]
	v_mul_f64 v[209:210], v[189:190], v[172:173]
	;; [unrolled: 3-line block ×6, first 2 shown]
	v_fma_f64 v[28:29], v[185:186], v[26:27], -v[28:29]
	v_fma_f64 v[170:171], v[187:188], v[26:27], v[170:171]
	v_fma_f64 v[178:179], v[189:190], v[26:27], -v[178:179]
	v_fma_f64 v[185:186], v[191:192], v[26:27], v[209:210]
	;; [unrolled: 2-line block ×6, first 2 shown]
	v_add_f64 v[22:23], v[22:23], -v[28:29]
	v_add_f64 v[24:25], v[24:25], -v[170:171]
	;; [unrolled: 1-line block ×12, first 2 shown]
	v_mov_b32_e32 v28, v172
	v_mov_b32_e32 v29, v173
.LBB82_755:
	s_or_b32 exec_lo, exec_lo, s0
	v_lshl_add_u32 v170, v184, 4, v1
	s_barrier
	buffer_gl0_inv
	v_mov_b32_e32 v178, 36
	ds_write2_b64 v170, v[22:23], v[24:25] offset1:1
	s_waitcnt lgkmcnt(0)
	s_barrier
	buffer_gl0_inv
	ds_read2_b64 v[170:173], v1 offset0:72 offset1:73
	s_cmp_lt_i32 s18, 38
	s_cbranch_scc1 .LBB82_758
; %bb.756:
	v_add3_u32 v179, v180, 0, 0x250
	v_mov_b32_e32 v178, 36
	s_mov_b32 s1, 37
	s_inst_prefetch 0x1
	.p2align	6
.LBB82_757:                             ; =>This Inner Loop Header: Depth=1
	s_waitcnt lgkmcnt(0)
	v_cmp_gt_f64_e32 vcc_lo, 0, v[172:173]
	v_cmp_gt_f64_e64 s0, 0, v[170:171]
	ds_read2_b64 v[185:188], v179 offset1:1
	v_xor_b32_e32 v190, 0x80000000, v171
	v_xor_b32_e32 v192, 0x80000000, v173
	v_mov_b32_e32 v189, v170
	v_mov_b32_e32 v191, v172
	v_add_nc_u32_e32 v179, 16, v179
	s_waitcnt lgkmcnt(0)
	v_xor_b32_e32 v194, 0x80000000, v188
	v_cndmask_b32_e64 v190, v171, v190, s0
	v_cndmask_b32_e32 v192, v173, v192, vcc_lo
	v_cmp_gt_f64_e32 vcc_lo, 0, v[187:188]
	v_cmp_gt_f64_e64 s0, 0, v[185:186]
	v_mov_b32_e32 v193, v187
	v_add_f64 v[189:190], v[189:190], v[191:192]
	v_xor_b32_e32 v192, 0x80000000, v186
	v_mov_b32_e32 v191, v185
	v_cndmask_b32_e32 v194, v188, v194, vcc_lo
	v_cndmask_b32_e64 v192, v186, v192, s0
	v_add_f64 v[191:192], v[191:192], v[193:194]
	v_cmp_lt_f64_e32 vcc_lo, v[189:190], v[191:192]
	v_cndmask_b32_e32 v171, v171, v186, vcc_lo
	v_cndmask_b32_e32 v170, v170, v185, vcc_lo
	;; [unrolled: 1-line block ×4, first 2 shown]
	v_cndmask_b32_e64 v178, v178, s1, vcc_lo
	s_add_i32 s1, s1, 1
	s_cmp_lg_u32 s18, s1
	s_cbranch_scc1 .LBB82_757
.LBB82_758:
	s_inst_prefetch 0x2
	s_waitcnt lgkmcnt(0)
	v_cmp_eq_f64_e32 vcc_lo, 0, v[170:171]
	v_cmp_eq_f64_e64 s0, 0, v[172:173]
	s_and_b32 s0, vcc_lo, s0
	s_and_saveexec_b32 s1, s0
	s_xor_b32 s0, exec_lo, s1
; %bb.759:
	v_cmp_ne_u32_e32 vcc_lo, 0, v183
	v_cndmask_b32_e32 v183, 37, v183, vcc_lo
; %bb.760:
	s_andn2_saveexec_b32 s0, s0
	s_cbranch_execz .LBB82_766
; %bb.761:
	v_cmp_ngt_f64_e64 s1, |v[170:171]|, |v[172:173]|
	s_and_saveexec_b32 s2, s1
	s_xor_b32 s1, exec_lo, s2
	s_cbranch_execz .LBB82_763
; %bb.762:
	v_div_scale_f64 v[185:186], null, v[172:173], v[172:173], v[170:171]
	v_div_scale_f64 v[191:192], vcc_lo, v[170:171], v[172:173], v[170:171]
	v_rcp_f64_e32 v[187:188], v[185:186]
	v_fma_f64 v[189:190], -v[185:186], v[187:188], 1.0
	v_fma_f64 v[187:188], v[187:188], v[189:190], v[187:188]
	v_fma_f64 v[189:190], -v[185:186], v[187:188], 1.0
	v_fma_f64 v[187:188], v[187:188], v[189:190], v[187:188]
	v_mul_f64 v[189:190], v[191:192], v[187:188]
	v_fma_f64 v[185:186], -v[185:186], v[189:190], v[191:192]
	v_div_fmas_f64 v[185:186], v[185:186], v[187:188], v[189:190]
	v_div_fixup_f64 v[185:186], v[185:186], v[172:173], v[170:171]
	v_fma_f64 v[170:171], v[170:171], v[185:186], v[172:173]
	v_div_scale_f64 v[172:173], null, v[170:171], v[170:171], 1.0
	v_rcp_f64_e32 v[187:188], v[172:173]
	v_fma_f64 v[189:190], -v[172:173], v[187:188], 1.0
	v_fma_f64 v[187:188], v[187:188], v[189:190], v[187:188]
	v_fma_f64 v[189:190], -v[172:173], v[187:188], 1.0
	v_fma_f64 v[187:188], v[187:188], v[189:190], v[187:188]
	v_div_scale_f64 v[189:190], vcc_lo, 1.0, v[170:171], 1.0
	v_mul_f64 v[191:192], v[189:190], v[187:188]
	v_fma_f64 v[172:173], -v[172:173], v[191:192], v[189:190]
	v_div_fmas_f64 v[172:173], v[172:173], v[187:188], v[191:192]
	v_div_fixup_f64 v[172:173], v[172:173], v[170:171], 1.0
	v_mul_f64 v[170:171], v[185:186], v[172:173]
	v_xor_b32_e32 v173, 0x80000000, v173
.LBB82_763:
	s_andn2_saveexec_b32 s1, s1
	s_cbranch_execz .LBB82_765
; %bb.764:
	v_div_scale_f64 v[185:186], null, v[170:171], v[170:171], v[172:173]
	v_div_scale_f64 v[191:192], vcc_lo, v[172:173], v[170:171], v[172:173]
	v_rcp_f64_e32 v[187:188], v[185:186]
	v_fma_f64 v[189:190], -v[185:186], v[187:188], 1.0
	v_fma_f64 v[187:188], v[187:188], v[189:190], v[187:188]
	v_fma_f64 v[189:190], -v[185:186], v[187:188], 1.0
	v_fma_f64 v[187:188], v[187:188], v[189:190], v[187:188]
	v_mul_f64 v[189:190], v[191:192], v[187:188]
	v_fma_f64 v[185:186], -v[185:186], v[189:190], v[191:192]
	v_div_fmas_f64 v[185:186], v[185:186], v[187:188], v[189:190]
	v_div_fixup_f64 v[185:186], v[185:186], v[170:171], v[172:173]
	v_fma_f64 v[170:171], v[172:173], v[185:186], v[170:171]
	v_div_scale_f64 v[172:173], null, v[170:171], v[170:171], 1.0
	v_rcp_f64_e32 v[187:188], v[172:173]
	v_fma_f64 v[189:190], -v[172:173], v[187:188], 1.0
	v_fma_f64 v[187:188], v[187:188], v[189:190], v[187:188]
	v_fma_f64 v[189:190], -v[172:173], v[187:188], 1.0
	v_fma_f64 v[187:188], v[187:188], v[189:190], v[187:188]
	v_div_scale_f64 v[189:190], vcc_lo, 1.0, v[170:171], 1.0
	v_mul_f64 v[191:192], v[189:190], v[187:188]
	v_fma_f64 v[172:173], -v[172:173], v[191:192], v[189:190]
	v_div_fmas_f64 v[172:173], v[172:173], v[187:188], v[191:192]
	v_div_fixup_f64 v[170:171], v[172:173], v[170:171], 1.0
	v_mul_f64 v[172:173], v[185:186], -v[170:171]
.LBB82_765:
	s_or_b32 exec_lo, exec_lo, s1
.LBB82_766:
	s_or_b32 exec_lo, exec_lo, s0
	s_mov_b32 s0, exec_lo
	v_cmpx_ne_u32_e64 v184, v178
	s_xor_b32 s0, exec_lo, s0
	s_cbranch_execz .LBB82_772
; %bb.767:
	s_mov_b32 s1, exec_lo
	v_cmpx_eq_u32_e32 36, v184
	s_cbranch_execz .LBB82_771
; %bb.768:
	v_cmp_ne_u32_e32 vcc_lo, 36, v178
	s_xor_b32 s2, s16, -1
	s_and_b32 s3, s2, vcc_lo
	s_and_saveexec_b32 s2, s3
	s_cbranch_execz .LBB82_770
; %bb.769:
	v_ashrrev_i32_e32 v179, 31, v178
	v_lshlrev_b64 v[184:185], 2, v[178:179]
	v_add_co_u32 v184, vcc_lo, v176, v184
	v_add_co_ci_u32_e64 v185, null, v177, v185, vcc_lo
	s_clause 0x1
	global_load_dword v0, v[184:185], off
	global_load_dword v179, v[176:177], off offset:144
	s_waitcnt vmcnt(1)
	global_store_dword v[176:177], v0, off offset:144
	s_waitcnt vmcnt(0)
	global_store_dword v[184:185], v179, off
.LBB82_770:
	s_or_b32 exec_lo, exec_lo, s2
	v_mov_b32_e32 v184, v178
	v_mov_b32_e32 v0, v178
.LBB82_771:
	s_or_b32 exec_lo, exec_lo, s1
.LBB82_772:
	s_andn2_saveexec_b32 s0, s0
	s_cbranch_execz .LBB82_774
; %bb.773:
	v_mov_b32_e32 v184, 36
	ds_write2_b64 v1, v[18:19], v[20:21] offset0:74 offset1:75
	ds_write2_b64 v1, v[14:15], v[16:17] offset0:76 offset1:77
	;; [unrolled: 1-line block ×5, first 2 shown]
.LBB82_774:
	s_or_b32 exec_lo, exec_lo, s0
	s_mov_b32 s0, exec_lo
	s_waitcnt lgkmcnt(0)
	s_waitcnt_vscnt null, 0x0
	s_barrier
	buffer_gl0_inv
	v_cmpx_lt_i32_e32 36, v184
	s_cbranch_execz .LBB82_776
; %bb.775:
	v_mul_f64 v[178:179], v[170:171], v[24:25]
	v_mul_f64 v[24:25], v[172:173], v[24:25]
	ds_read2_b64 v[185:188], v1 offset0:74 offset1:75
	ds_read2_b64 v[189:192], v1 offset0:76 offset1:77
	;; [unrolled: 1-line block ×5, first 2 shown]
	v_fma_f64 v[172:173], v[172:173], v[22:23], v[178:179]
	v_fma_f64 v[22:23], v[170:171], v[22:23], -v[24:25]
	s_waitcnt lgkmcnt(4)
	v_mul_f64 v[24:25], v[187:188], v[172:173]
	v_mul_f64 v[170:171], v[185:186], v[172:173]
	s_waitcnt lgkmcnt(3)
	v_mul_f64 v[178:179], v[191:192], v[172:173]
	v_mul_f64 v[205:206], v[189:190], v[172:173]
	;; [unrolled: 3-line block ×5, first 2 shown]
	v_fma_f64 v[24:25], v[185:186], v[22:23], -v[24:25]
	v_fma_f64 v[170:171], v[187:188], v[22:23], v[170:171]
	v_fma_f64 v[178:179], v[189:190], v[22:23], -v[178:179]
	v_fma_f64 v[185:186], v[191:192], v[22:23], v[205:206]
	;; [unrolled: 2-line block ×5, first 2 shown]
	v_add_f64 v[18:19], v[18:19], -v[24:25]
	v_add_f64 v[20:21], v[20:21], -v[170:171]
	;; [unrolled: 1-line block ×10, first 2 shown]
	v_mov_b32_e32 v24, v172
	v_mov_b32_e32 v25, v173
.LBB82_776:
	s_or_b32 exec_lo, exec_lo, s0
	v_lshl_add_u32 v170, v184, 4, v1
	s_barrier
	buffer_gl0_inv
	v_mov_b32_e32 v178, 37
	ds_write2_b64 v170, v[18:19], v[20:21] offset1:1
	s_waitcnt lgkmcnt(0)
	s_barrier
	buffer_gl0_inv
	ds_read2_b64 v[170:173], v1 offset0:74 offset1:75
	s_cmp_lt_i32 s18, 39
	s_cbranch_scc1 .LBB82_779
; %bb.777:
	v_add3_u32 v179, v180, 0, 0x260
	v_mov_b32_e32 v178, 37
	s_mov_b32 s1, 38
	s_inst_prefetch 0x1
	.p2align	6
.LBB82_778:                             ; =>This Inner Loop Header: Depth=1
	s_waitcnt lgkmcnt(0)
	v_cmp_gt_f64_e32 vcc_lo, 0, v[172:173]
	v_cmp_gt_f64_e64 s0, 0, v[170:171]
	ds_read2_b64 v[185:188], v179 offset1:1
	v_xor_b32_e32 v190, 0x80000000, v171
	v_xor_b32_e32 v192, 0x80000000, v173
	v_mov_b32_e32 v189, v170
	v_mov_b32_e32 v191, v172
	v_add_nc_u32_e32 v179, 16, v179
	s_waitcnt lgkmcnt(0)
	v_xor_b32_e32 v194, 0x80000000, v188
	v_cndmask_b32_e64 v190, v171, v190, s0
	v_cndmask_b32_e32 v192, v173, v192, vcc_lo
	v_cmp_gt_f64_e32 vcc_lo, 0, v[187:188]
	v_cmp_gt_f64_e64 s0, 0, v[185:186]
	v_mov_b32_e32 v193, v187
	v_add_f64 v[189:190], v[189:190], v[191:192]
	v_xor_b32_e32 v192, 0x80000000, v186
	v_mov_b32_e32 v191, v185
	v_cndmask_b32_e32 v194, v188, v194, vcc_lo
	v_cndmask_b32_e64 v192, v186, v192, s0
	v_add_f64 v[191:192], v[191:192], v[193:194]
	v_cmp_lt_f64_e32 vcc_lo, v[189:190], v[191:192]
	v_cndmask_b32_e32 v171, v171, v186, vcc_lo
	v_cndmask_b32_e32 v170, v170, v185, vcc_lo
	;; [unrolled: 1-line block ×4, first 2 shown]
	v_cndmask_b32_e64 v178, v178, s1, vcc_lo
	s_add_i32 s1, s1, 1
	s_cmp_lg_u32 s18, s1
	s_cbranch_scc1 .LBB82_778
.LBB82_779:
	s_inst_prefetch 0x2
	s_waitcnt lgkmcnt(0)
	v_cmp_eq_f64_e32 vcc_lo, 0, v[170:171]
	v_cmp_eq_f64_e64 s0, 0, v[172:173]
	s_and_b32 s0, vcc_lo, s0
	s_and_saveexec_b32 s1, s0
	s_xor_b32 s0, exec_lo, s1
; %bb.780:
	v_cmp_ne_u32_e32 vcc_lo, 0, v183
	v_cndmask_b32_e32 v183, 38, v183, vcc_lo
; %bb.781:
	s_andn2_saveexec_b32 s0, s0
	s_cbranch_execz .LBB82_787
; %bb.782:
	v_cmp_ngt_f64_e64 s1, |v[170:171]|, |v[172:173]|
	s_and_saveexec_b32 s2, s1
	s_xor_b32 s1, exec_lo, s2
	s_cbranch_execz .LBB82_784
; %bb.783:
	v_div_scale_f64 v[185:186], null, v[172:173], v[172:173], v[170:171]
	v_div_scale_f64 v[191:192], vcc_lo, v[170:171], v[172:173], v[170:171]
	v_rcp_f64_e32 v[187:188], v[185:186]
	v_fma_f64 v[189:190], -v[185:186], v[187:188], 1.0
	v_fma_f64 v[187:188], v[187:188], v[189:190], v[187:188]
	v_fma_f64 v[189:190], -v[185:186], v[187:188], 1.0
	v_fma_f64 v[187:188], v[187:188], v[189:190], v[187:188]
	v_mul_f64 v[189:190], v[191:192], v[187:188]
	v_fma_f64 v[185:186], -v[185:186], v[189:190], v[191:192]
	v_div_fmas_f64 v[185:186], v[185:186], v[187:188], v[189:190]
	v_div_fixup_f64 v[185:186], v[185:186], v[172:173], v[170:171]
	v_fma_f64 v[170:171], v[170:171], v[185:186], v[172:173]
	v_div_scale_f64 v[172:173], null, v[170:171], v[170:171], 1.0
	v_rcp_f64_e32 v[187:188], v[172:173]
	v_fma_f64 v[189:190], -v[172:173], v[187:188], 1.0
	v_fma_f64 v[187:188], v[187:188], v[189:190], v[187:188]
	v_fma_f64 v[189:190], -v[172:173], v[187:188], 1.0
	v_fma_f64 v[187:188], v[187:188], v[189:190], v[187:188]
	v_div_scale_f64 v[189:190], vcc_lo, 1.0, v[170:171], 1.0
	v_mul_f64 v[191:192], v[189:190], v[187:188]
	v_fma_f64 v[172:173], -v[172:173], v[191:192], v[189:190]
	v_div_fmas_f64 v[172:173], v[172:173], v[187:188], v[191:192]
	v_div_fixup_f64 v[172:173], v[172:173], v[170:171], 1.0
	v_mul_f64 v[170:171], v[185:186], v[172:173]
	v_xor_b32_e32 v173, 0x80000000, v173
.LBB82_784:
	s_andn2_saveexec_b32 s1, s1
	s_cbranch_execz .LBB82_786
; %bb.785:
	v_div_scale_f64 v[185:186], null, v[170:171], v[170:171], v[172:173]
	v_div_scale_f64 v[191:192], vcc_lo, v[172:173], v[170:171], v[172:173]
	v_rcp_f64_e32 v[187:188], v[185:186]
	v_fma_f64 v[189:190], -v[185:186], v[187:188], 1.0
	v_fma_f64 v[187:188], v[187:188], v[189:190], v[187:188]
	v_fma_f64 v[189:190], -v[185:186], v[187:188], 1.0
	v_fma_f64 v[187:188], v[187:188], v[189:190], v[187:188]
	v_mul_f64 v[189:190], v[191:192], v[187:188]
	v_fma_f64 v[185:186], -v[185:186], v[189:190], v[191:192]
	v_div_fmas_f64 v[185:186], v[185:186], v[187:188], v[189:190]
	v_div_fixup_f64 v[185:186], v[185:186], v[170:171], v[172:173]
	v_fma_f64 v[170:171], v[172:173], v[185:186], v[170:171]
	v_div_scale_f64 v[172:173], null, v[170:171], v[170:171], 1.0
	v_rcp_f64_e32 v[187:188], v[172:173]
	v_fma_f64 v[189:190], -v[172:173], v[187:188], 1.0
	v_fma_f64 v[187:188], v[187:188], v[189:190], v[187:188]
	v_fma_f64 v[189:190], -v[172:173], v[187:188], 1.0
	v_fma_f64 v[187:188], v[187:188], v[189:190], v[187:188]
	v_div_scale_f64 v[189:190], vcc_lo, 1.0, v[170:171], 1.0
	v_mul_f64 v[191:192], v[189:190], v[187:188]
	v_fma_f64 v[172:173], -v[172:173], v[191:192], v[189:190]
	v_div_fmas_f64 v[172:173], v[172:173], v[187:188], v[191:192]
	v_div_fixup_f64 v[170:171], v[172:173], v[170:171], 1.0
	v_mul_f64 v[172:173], v[185:186], -v[170:171]
.LBB82_786:
	s_or_b32 exec_lo, exec_lo, s1
.LBB82_787:
	s_or_b32 exec_lo, exec_lo, s0
	s_mov_b32 s0, exec_lo
	v_cmpx_ne_u32_e64 v184, v178
	s_xor_b32 s0, exec_lo, s0
	s_cbranch_execz .LBB82_793
; %bb.788:
	s_mov_b32 s1, exec_lo
	v_cmpx_eq_u32_e32 37, v184
	s_cbranch_execz .LBB82_792
; %bb.789:
	v_cmp_ne_u32_e32 vcc_lo, 37, v178
	s_xor_b32 s2, s16, -1
	s_and_b32 s3, s2, vcc_lo
	s_and_saveexec_b32 s2, s3
	s_cbranch_execz .LBB82_791
; %bb.790:
	v_ashrrev_i32_e32 v179, 31, v178
	v_lshlrev_b64 v[184:185], 2, v[178:179]
	v_add_co_u32 v184, vcc_lo, v176, v184
	v_add_co_ci_u32_e64 v185, null, v177, v185, vcc_lo
	s_clause 0x1
	global_load_dword v0, v[184:185], off
	global_load_dword v179, v[176:177], off offset:148
	s_waitcnt vmcnt(1)
	global_store_dword v[176:177], v0, off offset:148
	s_waitcnt vmcnt(0)
	global_store_dword v[184:185], v179, off
.LBB82_791:
	s_or_b32 exec_lo, exec_lo, s2
	v_mov_b32_e32 v184, v178
	v_mov_b32_e32 v0, v178
.LBB82_792:
	s_or_b32 exec_lo, exec_lo, s1
.LBB82_793:
	s_andn2_saveexec_b32 s0, s0
	s_cbranch_execz .LBB82_795
; %bb.794:
	v_mov_b32_e32 v184, 37
	ds_write2_b64 v1, v[14:15], v[16:17] offset0:76 offset1:77
	ds_write2_b64 v1, v[10:11], v[12:13] offset0:78 offset1:79
	;; [unrolled: 1-line block ×4, first 2 shown]
.LBB82_795:
	s_or_b32 exec_lo, exec_lo, s0
	s_mov_b32 s0, exec_lo
	s_waitcnt lgkmcnt(0)
	s_waitcnt_vscnt null, 0x0
	s_barrier
	buffer_gl0_inv
	v_cmpx_lt_i32_e32 37, v184
	s_cbranch_execz .LBB82_797
; %bb.796:
	v_mul_f64 v[178:179], v[170:171], v[20:21]
	v_mul_f64 v[20:21], v[172:173], v[20:21]
	ds_read2_b64 v[185:188], v1 offset0:76 offset1:77
	ds_read2_b64 v[189:192], v1 offset0:78 offset1:79
	;; [unrolled: 1-line block ×4, first 2 shown]
	v_fma_f64 v[172:173], v[172:173], v[18:19], v[178:179]
	v_fma_f64 v[18:19], v[170:171], v[18:19], -v[20:21]
	s_waitcnt lgkmcnt(3)
	v_mul_f64 v[20:21], v[187:188], v[172:173]
	v_mul_f64 v[170:171], v[185:186], v[172:173]
	s_waitcnt lgkmcnt(2)
	v_mul_f64 v[178:179], v[191:192], v[172:173]
	v_mul_f64 v[201:202], v[189:190], v[172:173]
	;; [unrolled: 3-line block ×4, first 2 shown]
	v_fma_f64 v[20:21], v[185:186], v[18:19], -v[20:21]
	v_fma_f64 v[170:171], v[187:188], v[18:19], v[170:171]
	v_fma_f64 v[178:179], v[189:190], v[18:19], -v[178:179]
	v_fma_f64 v[185:186], v[191:192], v[18:19], v[201:202]
	;; [unrolled: 2-line block ×4, first 2 shown]
	v_add_f64 v[14:15], v[14:15], -v[20:21]
	v_add_f64 v[16:17], v[16:17], -v[170:171]
	;; [unrolled: 1-line block ×8, first 2 shown]
	v_mov_b32_e32 v20, v172
	v_mov_b32_e32 v21, v173
.LBB82_797:
	s_or_b32 exec_lo, exec_lo, s0
	v_lshl_add_u32 v170, v184, 4, v1
	s_barrier
	buffer_gl0_inv
	v_mov_b32_e32 v178, 38
	ds_write2_b64 v170, v[14:15], v[16:17] offset1:1
	s_waitcnt lgkmcnt(0)
	s_barrier
	buffer_gl0_inv
	ds_read2_b64 v[170:173], v1 offset0:76 offset1:77
	s_cmp_lt_i32 s18, 40
	s_cbranch_scc1 .LBB82_800
; %bb.798:
	v_add3_u32 v179, v180, 0, 0x270
	v_mov_b32_e32 v178, 38
	s_mov_b32 s1, 39
	s_inst_prefetch 0x1
	.p2align	6
.LBB82_799:                             ; =>This Inner Loop Header: Depth=1
	s_waitcnt lgkmcnt(0)
	v_cmp_gt_f64_e32 vcc_lo, 0, v[172:173]
	v_cmp_gt_f64_e64 s0, 0, v[170:171]
	ds_read2_b64 v[185:188], v179 offset1:1
	v_xor_b32_e32 v190, 0x80000000, v171
	v_xor_b32_e32 v192, 0x80000000, v173
	v_mov_b32_e32 v189, v170
	v_mov_b32_e32 v191, v172
	v_add_nc_u32_e32 v179, 16, v179
	s_waitcnt lgkmcnt(0)
	v_xor_b32_e32 v194, 0x80000000, v188
	v_cndmask_b32_e64 v190, v171, v190, s0
	v_cndmask_b32_e32 v192, v173, v192, vcc_lo
	v_cmp_gt_f64_e32 vcc_lo, 0, v[187:188]
	v_cmp_gt_f64_e64 s0, 0, v[185:186]
	v_mov_b32_e32 v193, v187
	v_add_f64 v[189:190], v[189:190], v[191:192]
	v_xor_b32_e32 v192, 0x80000000, v186
	v_mov_b32_e32 v191, v185
	v_cndmask_b32_e32 v194, v188, v194, vcc_lo
	v_cndmask_b32_e64 v192, v186, v192, s0
	v_add_f64 v[191:192], v[191:192], v[193:194]
	v_cmp_lt_f64_e32 vcc_lo, v[189:190], v[191:192]
	v_cndmask_b32_e32 v171, v171, v186, vcc_lo
	v_cndmask_b32_e32 v170, v170, v185, vcc_lo
	v_cndmask_b32_e32 v173, v173, v188, vcc_lo
	v_cndmask_b32_e32 v172, v172, v187, vcc_lo
	v_cndmask_b32_e64 v178, v178, s1, vcc_lo
	s_add_i32 s1, s1, 1
	s_cmp_lg_u32 s18, s1
	s_cbranch_scc1 .LBB82_799
.LBB82_800:
	s_inst_prefetch 0x2
	s_waitcnt lgkmcnt(0)
	v_cmp_eq_f64_e32 vcc_lo, 0, v[170:171]
	v_cmp_eq_f64_e64 s0, 0, v[172:173]
	s_and_b32 s0, vcc_lo, s0
	s_and_saveexec_b32 s1, s0
	s_xor_b32 s0, exec_lo, s1
; %bb.801:
	v_cmp_ne_u32_e32 vcc_lo, 0, v183
	v_cndmask_b32_e32 v183, 39, v183, vcc_lo
; %bb.802:
	s_andn2_saveexec_b32 s0, s0
	s_cbranch_execz .LBB82_808
; %bb.803:
	v_cmp_ngt_f64_e64 s1, |v[170:171]|, |v[172:173]|
	s_and_saveexec_b32 s2, s1
	s_xor_b32 s1, exec_lo, s2
	s_cbranch_execz .LBB82_805
; %bb.804:
	v_div_scale_f64 v[185:186], null, v[172:173], v[172:173], v[170:171]
	v_div_scale_f64 v[191:192], vcc_lo, v[170:171], v[172:173], v[170:171]
	v_rcp_f64_e32 v[187:188], v[185:186]
	v_fma_f64 v[189:190], -v[185:186], v[187:188], 1.0
	v_fma_f64 v[187:188], v[187:188], v[189:190], v[187:188]
	v_fma_f64 v[189:190], -v[185:186], v[187:188], 1.0
	v_fma_f64 v[187:188], v[187:188], v[189:190], v[187:188]
	v_mul_f64 v[189:190], v[191:192], v[187:188]
	v_fma_f64 v[185:186], -v[185:186], v[189:190], v[191:192]
	v_div_fmas_f64 v[185:186], v[185:186], v[187:188], v[189:190]
	v_div_fixup_f64 v[185:186], v[185:186], v[172:173], v[170:171]
	v_fma_f64 v[170:171], v[170:171], v[185:186], v[172:173]
	v_div_scale_f64 v[172:173], null, v[170:171], v[170:171], 1.0
	v_rcp_f64_e32 v[187:188], v[172:173]
	v_fma_f64 v[189:190], -v[172:173], v[187:188], 1.0
	v_fma_f64 v[187:188], v[187:188], v[189:190], v[187:188]
	v_fma_f64 v[189:190], -v[172:173], v[187:188], 1.0
	v_fma_f64 v[187:188], v[187:188], v[189:190], v[187:188]
	v_div_scale_f64 v[189:190], vcc_lo, 1.0, v[170:171], 1.0
	v_mul_f64 v[191:192], v[189:190], v[187:188]
	v_fma_f64 v[172:173], -v[172:173], v[191:192], v[189:190]
	v_div_fmas_f64 v[172:173], v[172:173], v[187:188], v[191:192]
	v_div_fixup_f64 v[172:173], v[172:173], v[170:171], 1.0
	v_mul_f64 v[170:171], v[185:186], v[172:173]
	v_xor_b32_e32 v173, 0x80000000, v173
.LBB82_805:
	s_andn2_saveexec_b32 s1, s1
	s_cbranch_execz .LBB82_807
; %bb.806:
	v_div_scale_f64 v[185:186], null, v[170:171], v[170:171], v[172:173]
	v_div_scale_f64 v[191:192], vcc_lo, v[172:173], v[170:171], v[172:173]
	v_rcp_f64_e32 v[187:188], v[185:186]
	v_fma_f64 v[189:190], -v[185:186], v[187:188], 1.0
	v_fma_f64 v[187:188], v[187:188], v[189:190], v[187:188]
	v_fma_f64 v[189:190], -v[185:186], v[187:188], 1.0
	v_fma_f64 v[187:188], v[187:188], v[189:190], v[187:188]
	v_mul_f64 v[189:190], v[191:192], v[187:188]
	v_fma_f64 v[185:186], -v[185:186], v[189:190], v[191:192]
	v_div_fmas_f64 v[185:186], v[185:186], v[187:188], v[189:190]
	v_div_fixup_f64 v[185:186], v[185:186], v[170:171], v[172:173]
	v_fma_f64 v[170:171], v[172:173], v[185:186], v[170:171]
	v_div_scale_f64 v[172:173], null, v[170:171], v[170:171], 1.0
	v_rcp_f64_e32 v[187:188], v[172:173]
	v_fma_f64 v[189:190], -v[172:173], v[187:188], 1.0
	v_fma_f64 v[187:188], v[187:188], v[189:190], v[187:188]
	v_fma_f64 v[189:190], -v[172:173], v[187:188], 1.0
	v_fma_f64 v[187:188], v[187:188], v[189:190], v[187:188]
	v_div_scale_f64 v[189:190], vcc_lo, 1.0, v[170:171], 1.0
	v_mul_f64 v[191:192], v[189:190], v[187:188]
	v_fma_f64 v[172:173], -v[172:173], v[191:192], v[189:190]
	v_div_fmas_f64 v[172:173], v[172:173], v[187:188], v[191:192]
	v_div_fixup_f64 v[170:171], v[172:173], v[170:171], 1.0
	v_mul_f64 v[172:173], v[185:186], -v[170:171]
.LBB82_807:
	s_or_b32 exec_lo, exec_lo, s1
.LBB82_808:
	s_or_b32 exec_lo, exec_lo, s0
	s_mov_b32 s0, exec_lo
	v_cmpx_ne_u32_e64 v184, v178
	s_xor_b32 s0, exec_lo, s0
	s_cbranch_execz .LBB82_814
; %bb.809:
	s_mov_b32 s1, exec_lo
	v_cmpx_eq_u32_e32 38, v184
	s_cbranch_execz .LBB82_813
; %bb.810:
	v_cmp_ne_u32_e32 vcc_lo, 38, v178
	s_xor_b32 s2, s16, -1
	s_and_b32 s3, s2, vcc_lo
	s_and_saveexec_b32 s2, s3
	s_cbranch_execz .LBB82_812
; %bb.811:
	v_ashrrev_i32_e32 v179, 31, v178
	v_lshlrev_b64 v[184:185], 2, v[178:179]
	v_add_co_u32 v184, vcc_lo, v176, v184
	v_add_co_ci_u32_e64 v185, null, v177, v185, vcc_lo
	s_clause 0x1
	global_load_dword v0, v[184:185], off
	global_load_dword v179, v[176:177], off offset:152
	s_waitcnt vmcnt(1)
	global_store_dword v[176:177], v0, off offset:152
	s_waitcnt vmcnt(0)
	global_store_dword v[184:185], v179, off
.LBB82_812:
	s_or_b32 exec_lo, exec_lo, s2
	v_mov_b32_e32 v184, v178
	v_mov_b32_e32 v0, v178
.LBB82_813:
	s_or_b32 exec_lo, exec_lo, s1
.LBB82_814:
	s_andn2_saveexec_b32 s0, s0
	s_cbranch_execz .LBB82_816
; %bb.815:
	v_mov_b32_e32 v184, 38
	ds_write2_b64 v1, v[10:11], v[12:13] offset0:78 offset1:79
	ds_write2_b64 v1, v[6:7], v[8:9] offset0:80 offset1:81
	;; [unrolled: 1-line block ×3, first 2 shown]
.LBB82_816:
	s_or_b32 exec_lo, exec_lo, s0
	s_mov_b32 s0, exec_lo
	s_waitcnt lgkmcnt(0)
	s_waitcnt_vscnt null, 0x0
	s_barrier
	buffer_gl0_inv
	v_cmpx_lt_i32_e32 38, v184
	s_cbranch_execz .LBB82_818
; %bb.817:
	v_mul_f64 v[178:179], v[170:171], v[16:17]
	v_mul_f64 v[16:17], v[172:173], v[16:17]
	ds_read2_b64 v[185:188], v1 offset0:78 offset1:79
	ds_read2_b64 v[189:192], v1 offset0:80 offset1:81
	;; [unrolled: 1-line block ×3, first 2 shown]
	v_fma_f64 v[172:173], v[172:173], v[14:15], v[178:179]
	v_fma_f64 v[14:15], v[170:171], v[14:15], -v[16:17]
	s_waitcnt lgkmcnt(2)
	v_mul_f64 v[16:17], v[187:188], v[172:173]
	v_mul_f64 v[170:171], v[185:186], v[172:173]
	s_waitcnt lgkmcnt(1)
	v_mul_f64 v[178:179], v[191:192], v[172:173]
	v_mul_f64 v[197:198], v[189:190], v[172:173]
	;; [unrolled: 3-line block ×3, first 2 shown]
	v_fma_f64 v[16:17], v[185:186], v[14:15], -v[16:17]
	v_fma_f64 v[170:171], v[187:188], v[14:15], v[170:171]
	v_fma_f64 v[178:179], v[189:190], v[14:15], -v[178:179]
	v_fma_f64 v[185:186], v[191:192], v[14:15], v[197:198]
	;; [unrolled: 2-line block ×3, first 2 shown]
	v_add_f64 v[10:11], v[10:11], -v[16:17]
	v_add_f64 v[12:13], v[12:13], -v[170:171]
	;; [unrolled: 1-line block ×6, first 2 shown]
	v_mov_b32_e32 v16, v172
	v_mov_b32_e32 v17, v173
.LBB82_818:
	s_or_b32 exec_lo, exec_lo, s0
	v_lshl_add_u32 v170, v184, 4, v1
	s_barrier
	buffer_gl0_inv
	v_mov_b32_e32 v178, 39
	ds_write2_b64 v170, v[10:11], v[12:13] offset1:1
	s_waitcnt lgkmcnt(0)
	s_barrier
	buffer_gl0_inv
	ds_read2_b64 v[170:173], v1 offset0:78 offset1:79
	s_cmp_lt_i32 s18, 41
	s_cbranch_scc1 .LBB82_821
; %bb.819:
	v_add3_u32 v179, v180, 0, 0x280
	v_mov_b32_e32 v178, 39
	s_mov_b32 s1, 40
	s_inst_prefetch 0x1
	.p2align	6
.LBB82_820:                             ; =>This Inner Loop Header: Depth=1
	s_waitcnt lgkmcnt(0)
	v_cmp_gt_f64_e32 vcc_lo, 0, v[172:173]
	v_cmp_gt_f64_e64 s0, 0, v[170:171]
	ds_read2_b64 v[185:188], v179 offset1:1
	v_xor_b32_e32 v190, 0x80000000, v171
	v_xor_b32_e32 v192, 0x80000000, v173
	v_mov_b32_e32 v189, v170
	v_mov_b32_e32 v191, v172
	v_add_nc_u32_e32 v179, 16, v179
	s_waitcnt lgkmcnt(0)
	v_xor_b32_e32 v194, 0x80000000, v188
	v_cndmask_b32_e64 v190, v171, v190, s0
	v_cndmask_b32_e32 v192, v173, v192, vcc_lo
	v_cmp_gt_f64_e32 vcc_lo, 0, v[187:188]
	v_cmp_gt_f64_e64 s0, 0, v[185:186]
	v_mov_b32_e32 v193, v187
	v_add_f64 v[189:190], v[189:190], v[191:192]
	v_xor_b32_e32 v192, 0x80000000, v186
	v_mov_b32_e32 v191, v185
	v_cndmask_b32_e32 v194, v188, v194, vcc_lo
	v_cndmask_b32_e64 v192, v186, v192, s0
	v_add_f64 v[191:192], v[191:192], v[193:194]
	v_cmp_lt_f64_e32 vcc_lo, v[189:190], v[191:192]
	v_cndmask_b32_e32 v171, v171, v186, vcc_lo
	v_cndmask_b32_e32 v170, v170, v185, vcc_lo
	;; [unrolled: 1-line block ×4, first 2 shown]
	v_cndmask_b32_e64 v178, v178, s1, vcc_lo
	s_add_i32 s1, s1, 1
	s_cmp_lg_u32 s18, s1
	s_cbranch_scc1 .LBB82_820
.LBB82_821:
	s_inst_prefetch 0x2
	s_waitcnt lgkmcnt(0)
	v_cmp_eq_f64_e32 vcc_lo, 0, v[170:171]
	v_cmp_eq_f64_e64 s0, 0, v[172:173]
	s_and_b32 s0, vcc_lo, s0
	s_and_saveexec_b32 s1, s0
	s_xor_b32 s0, exec_lo, s1
; %bb.822:
	v_cmp_ne_u32_e32 vcc_lo, 0, v183
	v_cndmask_b32_e32 v183, 40, v183, vcc_lo
; %bb.823:
	s_andn2_saveexec_b32 s0, s0
	s_cbranch_execz .LBB82_829
; %bb.824:
	v_cmp_ngt_f64_e64 s1, |v[170:171]|, |v[172:173]|
	s_and_saveexec_b32 s2, s1
	s_xor_b32 s1, exec_lo, s2
	s_cbranch_execz .LBB82_826
; %bb.825:
	v_div_scale_f64 v[185:186], null, v[172:173], v[172:173], v[170:171]
	v_div_scale_f64 v[191:192], vcc_lo, v[170:171], v[172:173], v[170:171]
	v_rcp_f64_e32 v[187:188], v[185:186]
	v_fma_f64 v[189:190], -v[185:186], v[187:188], 1.0
	v_fma_f64 v[187:188], v[187:188], v[189:190], v[187:188]
	v_fma_f64 v[189:190], -v[185:186], v[187:188], 1.0
	v_fma_f64 v[187:188], v[187:188], v[189:190], v[187:188]
	v_mul_f64 v[189:190], v[191:192], v[187:188]
	v_fma_f64 v[185:186], -v[185:186], v[189:190], v[191:192]
	v_div_fmas_f64 v[185:186], v[185:186], v[187:188], v[189:190]
	v_div_fixup_f64 v[185:186], v[185:186], v[172:173], v[170:171]
	v_fma_f64 v[170:171], v[170:171], v[185:186], v[172:173]
	v_div_scale_f64 v[172:173], null, v[170:171], v[170:171], 1.0
	v_rcp_f64_e32 v[187:188], v[172:173]
	v_fma_f64 v[189:190], -v[172:173], v[187:188], 1.0
	v_fma_f64 v[187:188], v[187:188], v[189:190], v[187:188]
	v_fma_f64 v[189:190], -v[172:173], v[187:188], 1.0
	v_fma_f64 v[187:188], v[187:188], v[189:190], v[187:188]
	v_div_scale_f64 v[189:190], vcc_lo, 1.0, v[170:171], 1.0
	v_mul_f64 v[191:192], v[189:190], v[187:188]
	v_fma_f64 v[172:173], -v[172:173], v[191:192], v[189:190]
	v_div_fmas_f64 v[172:173], v[172:173], v[187:188], v[191:192]
	v_div_fixup_f64 v[172:173], v[172:173], v[170:171], 1.0
	v_mul_f64 v[170:171], v[185:186], v[172:173]
	v_xor_b32_e32 v173, 0x80000000, v173
.LBB82_826:
	s_andn2_saveexec_b32 s1, s1
	s_cbranch_execz .LBB82_828
; %bb.827:
	v_div_scale_f64 v[185:186], null, v[170:171], v[170:171], v[172:173]
	v_div_scale_f64 v[191:192], vcc_lo, v[172:173], v[170:171], v[172:173]
	v_rcp_f64_e32 v[187:188], v[185:186]
	v_fma_f64 v[189:190], -v[185:186], v[187:188], 1.0
	v_fma_f64 v[187:188], v[187:188], v[189:190], v[187:188]
	v_fma_f64 v[189:190], -v[185:186], v[187:188], 1.0
	v_fma_f64 v[187:188], v[187:188], v[189:190], v[187:188]
	v_mul_f64 v[189:190], v[191:192], v[187:188]
	v_fma_f64 v[185:186], -v[185:186], v[189:190], v[191:192]
	v_div_fmas_f64 v[185:186], v[185:186], v[187:188], v[189:190]
	v_div_fixup_f64 v[185:186], v[185:186], v[170:171], v[172:173]
	v_fma_f64 v[170:171], v[172:173], v[185:186], v[170:171]
	v_div_scale_f64 v[172:173], null, v[170:171], v[170:171], 1.0
	v_rcp_f64_e32 v[187:188], v[172:173]
	v_fma_f64 v[189:190], -v[172:173], v[187:188], 1.0
	v_fma_f64 v[187:188], v[187:188], v[189:190], v[187:188]
	v_fma_f64 v[189:190], -v[172:173], v[187:188], 1.0
	v_fma_f64 v[187:188], v[187:188], v[189:190], v[187:188]
	v_div_scale_f64 v[189:190], vcc_lo, 1.0, v[170:171], 1.0
	v_mul_f64 v[191:192], v[189:190], v[187:188]
	v_fma_f64 v[172:173], -v[172:173], v[191:192], v[189:190]
	v_div_fmas_f64 v[172:173], v[172:173], v[187:188], v[191:192]
	v_div_fixup_f64 v[170:171], v[172:173], v[170:171], 1.0
	v_mul_f64 v[172:173], v[185:186], -v[170:171]
.LBB82_828:
	s_or_b32 exec_lo, exec_lo, s1
.LBB82_829:
	s_or_b32 exec_lo, exec_lo, s0
	s_mov_b32 s0, exec_lo
	v_cmpx_ne_u32_e64 v184, v178
	s_xor_b32 s0, exec_lo, s0
	s_cbranch_execz .LBB82_835
; %bb.830:
	s_mov_b32 s1, exec_lo
	v_cmpx_eq_u32_e32 39, v184
	s_cbranch_execz .LBB82_834
; %bb.831:
	v_cmp_ne_u32_e32 vcc_lo, 39, v178
	s_xor_b32 s2, s16, -1
	s_and_b32 s3, s2, vcc_lo
	s_and_saveexec_b32 s2, s3
	s_cbranch_execz .LBB82_833
; %bb.832:
	v_ashrrev_i32_e32 v179, 31, v178
	v_lshlrev_b64 v[184:185], 2, v[178:179]
	v_add_co_u32 v184, vcc_lo, v176, v184
	v_add_co_ci_u32_e64 v185, null, v177, v185, vcc_lo
	s_clause 0x1
	global_load_dword v0, v[184:185], off
	global_load_dword v179, v[176:177], off offset:156
	s_waitcnt vmcnt(1)
	global_store_dword v[176:177], v0, off offset:156
	s_waitcnt vmcnt(0)
	global_store_dword v[184:185], v179, off
.LBB82_833:
	s_or_b32 exec_lo, exec_lo, s2
	v_mov_b32_e32 v184, v178
	v_mov_b32_e32 v0, v178
.LBB82_834:
	s_or_b32 exec_lo, exec_lo, s1
.LBB82_835:
	s_andn2_saveexec_b32 s0, s0
	s_cbranch_execz .LBB82_837
; %bb.836:
	v_mov_b32_e32 v184, 39
	ds_write2_b64 v1, v[6:7], v[8:9] offset0:80 offset1:81
	ds_write2_b64 v1, v[2:3], v[4:5] offset0:82 offset1:83
.LBB82_837:
	s_or_b32 exec_lo, exec_lo, s0
	s_mov_b32 s0, exec_lo
	s_waitcnt lgkmcnt(0)
	s_waitcnt_vscnt null, 0x0
	s_barrier
	buffer_gl0_inv
	v_cmpx_lt_i32_e32 39, v184
	s_cbranch_execz .LBB82_839
; %bb.838:
	v_mul_f64 v[178:179], v[170:171], v[12:13]
	v_mul_f64 v[12:13], v[172:173], v[12:13]
	ds_read2_b64 v[185:188], v1 offset0:80 offset1:81
	ds_read2_b64 v[189:192], v1 offset0:82 offset1:83
	v_fma_f64 v[172:173], v[172:173], v[10:11], v[178:179]
	v_fma_f64 v[10:11], v[170:171], v[10:11], -v[12:13]
	s_waitcnt lgkmcnt(1)
	v_mul_f64 v[12:13], v[187:188], v[172:173]
	v_mul_f64 v[170:171], v[185:186], v[172:173]
	s_waitcnt lgkmcnt(0)
	v_mul_f64 v[178:179], v[191:192], v[172:173]
	v_mul_f64 v[193:194], v[189:190], v[172:173]
	v_fma_f64 v[12:13], v[185:186], v[10:11], -v[12:13]
	v_fma_f64 v[170:171], v[187:188], v[10:11], v[170:171]
	v_fma_f64 v[178:179], v[189:190], v[10:11], -v[178:179]
	v_fma_f64 v[185:186], v[191:192], v[10:11], v[193:194]
	v_add_f64 v[6:7], v[6:7], -v[12:13]
	v_add_f64 v[8:9], v[8:9], -v[170:171]
	;; [unrolled: 1-line block ×4, first 2 shown]
	v_mov_b32_e32 v12, v172
	v_mov_b32_e32 v13, v173
.LBB82_839:
	s_or_b32 exec_lo, exec_lo, s0
	v_lshl_add_u32 v170, v184, 4, v1
	s_barrier
	buffer_gl0_inv
	v_mov_b32_e32 v178, 40
	ds_write2_b64 v170, v[6:7], v[8:9] offset1:1
	s_waitcnt lgkmcnt(0)
	s_barrier
	buffer_gl0_inv
	ds_read2_b64 v[170:173], v1 offset0:80 offset1:81
	s_cmp_lt_i32 s18, 42
	s_cbranch_scc1 .LBB82_842
; %bb.840:
	v_add3_u32 v179, v180, 0, 0x290
	v_mov_b32_e32 v178, 40
	s_mov_b32 s1, 41
	s_inst_prefetch 0x1
	.p2align	6
.LBB82_841:                             ; =>This Inner Loop Header: Depth=1
	s_waitcnt lgkmcnt(0)
	v_cmp_gt_f64_e32 vcc_lo, 0, v[172:173]
	v_cmp_gt_f64_e64 s0, 0, v[170:171]
	ds_read2_b64 v[185:188], v179 offset1:1
	v_xor_b32_e32 v190, 0x80000000, v171
	v_xor_b32_e32 v192, 0x80000000, v173
	v_mov_b32_e32 v189, v170
	v_mov_b32_e32 v191, v172
	v_add_nc_u32_e32 v179, 16, v179
	s_waitcnt lgkmcnt(0)
	v_xor_b32_e32 v194, 0x80000000, v188
	v_cndmask_b32_e64 v190, v171, v190, s0
	v_cndmask_b32_e32 v192, v173, v192, vcc_lo
	v_cmp_gt_f64_e32 vcc_lo, 0, v[187:188]
	v_cmp_gt_f64_e64 s0, 0, v[185:186]
	v_mov_b32_e32 v193, v187
	v_add_f64 v[189:190], v[189:190], v[191:192]
	v_xor_b32_e32 v192, 0x80000000, v186
	v_mov_b32_e32 v191, v185
	v_cndmask_b32_e32 v194, v188, v194, vcc_lo
	v_cndmask_b32_e64 v192, v186, v192, s0
	v_add_f64 v[191:192], v[191:192], v[193:194]
	v_cmp_lt_f64_e32 vcc_lo, v[189:190], v[191:192]
	v_cndmask_b32_e32 v171, v171, v186, vcc_lo
	v_cndmask_b32_e32 v170, v170, v185, vcc_lo
	;; [unrolled: 1-line block ×4, first 2 shown]
	v_cndmask_b32_e64 v178, v178, s1, vcc_lo
	s_add_i32 s1, s1, 1
	s_cmp_lg_u32 s18, s1
	s_cbranch_scc1 .LBB82_841
.LBB82_842:
	s_inst_prefetch 0x2
	s_waitcnt lgkmcnt(0)
	v_cmp_eq_f64_e32 vcc_lo, 0, v[170:171]
	v_cmp_eq_f64_e64 s0, 0, v[172:173]
	s_and_b32 s0, vcc_lo, s0
	s_and_saveexec_b32 s1, s0
	s_xor_b32 s0, exec_lo, s1
; %bb.843:
	v_cmp_ne_u32_e32 vcc_lo, 0, v183
	v_cndmask_b32_e32 v183, 41, v183, vcc_lo
; %bb.844:
	s_andn2_saveexec_b32 s0, s0
	s_cbranch_execz .LBB82_850
; %bb.845:
	v_cmp_ngt_f64_e64 s1, |v[170:171]|, |v[172:173]|
	s_and_saveexec_b32 s2, s1
	s_xor_b32 s1, exec_lo, s2
	s_cbranch_execz .LBB82_847
; %bb.846:
	v_div_scale_f64 v[185:186], null, v[172:173], v[172:173], v[170:171]
	v_div_scale_f64 v[191:192], vcc_lo, v[170:171], v[172:173], v[170:171]
	v_rcp_f64_e32 v[187:188], v[185:186]
	v_fma_f64 v[189:190], -v[185:186], v[187:188], 1.0
	v_fma_f64 v[187:188], v[187:188], v[189:190], v[187:188]
	v_fma_f64 v[189:190], -v[185:186], v[187:188], 1.0
	v_fma_f64 v[187:188], v[187:188], v[189:190], v[187:188]
	v_mul_f64 v[189:190], v[191:192], v[187:188]
	v_fma_f64 v[185:186], -v[185:186], v[189:190], v[191:192]
	v_div_fmas_f64 v[185:186], v[185:186], v[187:188], v[189:190]
	v_div_fixup_f64 v[185:186], v[185:186], v[172:173], v[170:171]
	v_fma_f64 v[170:171], v[170:171], v[185:186], v[172:173]
	v_div_scale_f64 v[172:173], null, v[170:171], v[170:171], 1.0
	v_rcp_f64_e32 v[187:188], v[172:173]
	v_fma_f64 v[189:190], -v[172:173], v[187:188], 1.0
	v_fma_f64 v[187:188], v[187:188], v[189:190], v[187:188]
	v_fma_f64 v[189:190], -v[172:173], v[187:188], 1.0
	v_fma_f64 v[187:188], v[187:188], v[189:190], v[187:188]
	v_div_scale_f64 v[189:190], vcc_lo, 1.0, v[170:171], 1.0
	v_mul_f64 v[191:192], v[189:190], v[187:188]
	v_fma_f64 v[172:173], -v[172:173], v[191:192], v[189:190]
	v_div_fmas_f64 v[172:173], v[172:173], v[187:188], v[191:192]
	v_div_fixup_f64 v[172:173], v[172:173], v[170:171], 1.0
	v_mul_f64 v[170:171], v[185:186], v[172:173]
	v_xor_b32_e32 v173, 0x80000000, v173
.LBB82_847:
	s_andn2_saveexec_b32 s1, s1
	s_cbranch_execz .LBB82_849
; %bb.848:
	v_div_scale_f64 v[185:186], null, v[170:171], v[170:171], v[172:173]
	v_div_scale_f64 v[191:192], vcc_lo, v[172:173], v[170:171], v[172:173]
	v_rcp_f64_e32 v[187:188], v[185:186]
	v_fma_f64 v[189:190], -v[185:186], v[187:188], 1.0
	v_fma_f64 v[187:188], v[187:188], v[189:190], v[187:188]
	v_fma_f64 v[189:190], -v[185:186], v[187:188], 1.0
	v_fma_f64 v[187:188], v[187:188], v[189:190], v[187:188]
	v_mul_f64 v[189:190], v[191:192], v[187:188]
	v_fma_f64 v[185:186], -v[185:186], v[189:190], v[191:192]
	v_div_fmas_f64 v[185:186], v[185:186], v[187:188], v[189:190]
	v_div_fixup_f64 v[185:186], v[185:186], v[170:171], v[172:173]
	v_fma_f64 v[170:171], v[172:173], v[185:186], v[170:171]
	v_div_scale_f64 v[172:173], null, v[170:171], v[170:171], 1.0
	v_rcp_f64_e32 v[187:188], v[172:173]
	v_fma_f64 v[189:190], -v[172:173], v[187:188], 1.0
	v_fma_f64 v[187:188], v[187:188], v[189:190], v[187:188]
	v_fma_f64 v[189:190], -v[172:173], v[187:188], 1.0
	v_fma_f64 v[187:188], v[187:188], v[189:190], v[187:188]
	v_div_scale_f64 v[189:190], vcc_lo, 1.0, v[170:171], 1.0
	v_mul_f64 v[191:192], v[189:190], v[187:188]
	v_fma_f64 v[172:173], -v[172:173], v[191:192], v[189:190]
	v_div_fmas_f64 v[172:173], v[172:173], v[187:188], v[191:192]
	v_div_fixup_f64 v[170:171], v[172:173], v[170:171], 1.0
	v_mul_f64 v[172:173], v[185:186], -v[170:171]
.LBB82_849:
	s_or_b32 exec_lo, exec_lo, s1
.LBB82_850:
	s_or_b32 exec_lo, exec_lo, s0
	s_mov_b32 s0, exec_lo
	v_cmpx_ne_u32_e64 v184, v178
	s_xor_b32 s0, exec_lo, s0
	s_cbranch_execz .LBB82_856
; %bb.851:
	s_mov_b32 s1, exec_lo
	v_cmpx_eq_u32_e32 40, v184
	s_cbranch_execz .LBB82_855
; %bb.852:
	v_cmp_ne_u32_e32 vcc_lo, 40, v178
	s_xor_b32 s2, s16, -1
	s_and_b32 s3, s2, vcc_lo
	s_and_saveexec_b32 s2, s3
	s_cbranch_execz .LBB82_854
; %bb.853:
	v_ashrrev_i32_e32 v179, 31, v178
	v_lshlrev_b64 v[184:185], 2, v[178:179]
	v_add_co_u32 v184, vcc_lo, v176, v184
	v_add_co_ci_u32_e64 v185, null, v177, v185, vcc_lo
	s_clause 0x1
	global_load_dword v0, v[184:185], off
	global_load_dword v179, v[176:177], off offset:160
	s_waitcnt vmcnt(1)
	global_store_dword v[176:177], v0, off offset:160
	s_waitcnt vmcnt(0)
	global_store_dword v[184:185], v179, off
.LBB82_854:
	s_or_b32 exec_lo, exec_lo, s2
	v_mov_b32_e32 v184, v178
	v_mov_b32_e32 v0, v178
.LBB82_855:
	s_or_b32 exec_lo, exec_lo, s1
.LBB82_856:
	s_andn2_saveexec_b32 s0, s0
; %bb.857:
	v_mov_b32_e32 v184, 40
	ds_write2_b64 v1, v[2:3], v[4:5] offset0:82 offset1:83
; %bb.858:
	s_or_b32 exec_lo, exec_lo, s0
	s_mov_b32 s0, exec_lo
	s_waitcnt lgkmcnt(0)
	s_waitcnt_vscnt null, 0x0
	s_barrier
	buffer_gl0_inv
	v_cmpx_lt_i32_e32 40, v184
	s_cbranch_execz .LBB82_860
; %bb.859:
	v_mul_f64 v[178:179], v[170:171], v[8:9]
	v_mul_f64 v[8:9], v[172:173], v[8:9]
	ds_read2_b64 v[185:188], v1 offset0:82 offset1:83
	v_fma_f64 v[172:173], v[172:173], v[6:7], v[178:179]
	v_fma_f64 v[6:7], v[170:171], v[6:7], -v[8:9]
	s_waitcnt lgkmcnt(0)
	v_mul_f64 v[8:9], v[187:188], v[172:173]
	v_mul_f64 v[170:171], v[185:186], v[172:173]
	v_fma_f64 v[8:9], v[185:186], v[6:7], -v[8:9]
	v_fma_f64 v[170:171], v[187:188], v[6:7], v[170:171]
	v_add_f64 v[2:3], v[2:3], -v[8:9]
	v_add_f64 v[4:5], v[4:5], -v[170:171]
	v_mov_b32_e32 v8, v172
	v_mov_b32_e32 v9, v173
.LBB82_860:
	s_or_b32 exec_lo, exec_lo, s0
	v_lshl_add_u32 v170, v184, 4, v1
	s_barrier
	buffer_gl0_inv
	v_mov_b32_e32 v178, 41
	ds_write2_b64 v170, v[2:3], v[4:5] offset1:1
	s_waitcnt lgkmcnt(0)
	s_barrier
	buffer_gl0_inv
	ds_read2_b64 v[170:173], v1 offset0:82 offset1:83
	s_cmp_lt_i32 s18, 43
	s_cbranch_scc1 .LBB82_863
; %bb.861:
	v_add3_u32 v1, v180, 0, 0x2a0
	v_mov_b32_e32 v178, 41
	s_mov_b32 s1, 42
	s_inst_prefetch 0x1
	.p2align	6
.LBB82_862:                             ; =>This Inner Loop Header: Depth=1
	s_waitcnt lgkmcnt(0)
	v_cmp_gt_f64_e32 vcc_lo, 0, v[172:173]
	v_cmp_gt_f64_e64 s0, 0, v[170:171]
	ds_read2_b64 v[185:188], v1 offset1:1
	v_xor_b32_e32 v180, 0x80000000, v171
	v_xor_b32_e32 v190, 0x80000000, v173
	v_mov_b32_e32 v179, v170
	v_mov_b32_e32 v189, v172
	v_add_nc_u32_e32 v1, 16, v1
	s_waitcnt lgkmcnt(0)
	v_xor_b32_e32 v192, 0x80000000, v188
	v_cndmask_b32_e64 v180, v171, v180, s0
	v_cndmask_b32_e32 v190, v173, v190, vcc_lo
	v_cmp_gt_f64_e32 vcc_lo, 0, v[187:188]
	v_cmp_gt_f64_e64 s0, 0, v[185:186]
	v_mov_b32_e32 v191, v187
	v_add_f64 v[179:180], v[179:180], v[189:190]
	v_xor_b32_e32 v190, 0x80000000, v186
	v_mov_b32_e32 v189, v185
	v_cndmask_b32_e32 v192, v188, v192, vcc_lo
	v_cndmask_b32_e64 v190, v186, v190, s0
	v_add_f64 v[189:190], v[189:190], v[191:192]
	v_cmp_lt_f64_e32 vcc_lo, v[179:180], v[189:190]
	v_cndmask_b32_e32 v171, v171, v186, vcc_lo
	v_cndmask_b32_e32 v170, v170, v185, vcc_lo
	;; [unrolled: 1-line block ×4, first 2 shown]
	v_cndmask_b32_e64 v178, v178, s1, vcc_lo
	s_add_i32 s1, s1, 1
	s_cmp_lg_u32 s18, s1
	s_cbranch_scc1 .LBB82_862
.LBB82_863:
	s_inst_prefetch 0x2
	s_waitcnt lgkmcnt(0)
	v_cmp_eq_f64_e32 vcc_lo, 0, v[170:171]
	v_cmp_eq_f64_e64 s0, 0, v[172:173]
	s_and_b32 s0, vcc_lo, s0
	s_and_saveexec_b32 s1, s0
	s_xor_b32 s0, exec_lo, s1
; %bb.864:
	v_cmp_ne_u32_e32 vcc_lo, 0, v183
	v_cndmask_b32_e32 v183, 42, v183, vcc_lo
; %bb.865:
	s_andn2_saveexec_b32 s0, s0
	s_cbranch_execz .LBB82_871
; %bb.866:
	v_cmp_ngt_f64_e64 s1, |v[170:171]|, |v[172:173]|
	s_and_saveexec_b32 s2, s1
	s_xor_b32 s1, exec_lo, s2
	s_cbranch_execz .LBB82_868
; %bb.867:
	v_div_scale_f64 v[179:180], null, v[172:173], v[172:173], v[170:171]
	v_div_scale_f64 v[189:190], vcc_lo, v[170:171], v[172:173], v[170:171]
	v_rcp_f64_e32 v[185:186], v[179:180]
	v_fma_f64 v[187:188], -v[179:180], v[185:186], 1.0
	v_fma_f64 v[185:186], v[185:186], v[187:188], v[185:186]
	v_fma_f64 v[187:188], -v[179:180], v[185:186], 1.0
	v_fma_f64 v[185:186], v[185:186], v[187:188], v[185:186]
	v_mul_f64 v[187:188], v[189:190], v[185:186]
	v_fma_f64 v[179:180], -v[179:180], v[187:188], v[189:190]
	v_div_fmas_f64 v[179:180], v[179:180], v[185:186], v[187:188]
	v_div_fixup_f64 v[179:180], v[179:180], v[172:173], v[170:171]
	v_fma_f64 v[170:171], v[170:171], v[179:180], v[172:173]
	v_div_scale_f64 v[172:173], null, v[170:171], v[170:171], 1.0
	v_rcp_f64_e32 v[185:186], v[172:173]
	v_fma_f64 v[187:188], -v[172:173], v[185:186], 1.0
	v_fma_f64 v[185:186], v[185:186], v[187:188], v[185:186]
	v_fma_f64 v[187:188], -v[172:173], v[185:186], 1.0
	v_fma_f64 v[185:186], v[185:186], v[187:188], v[185:186]
	v_div_scale_f64 v[187:188], vcc_lo, 1.0, v[170:171], 1.0
	v_mul_f64 v[189:190], v[187:188], v[185:186]
	v_fma_f64 v[172:173], -v[172:173], v[189:190], v[187:188]
	v_div_fmas_f64 v[172:173], v[172:173], v[185:186], v[189:190]
	v_div_fixup_f64 v[172:173], v[172:173], v[170:171], 1.0
	v_mul_f64 v[170:171], v[179:180], v[172:173]
	v_xor_b32_e32 v173, 0x80000000, v173
.LBB82_868:
	s_andn2_saveexec_b32 s1, s1
	s_cbranch_execz .LBB82_870
; %bb.869:
	v_div_scale_f64 v[179:180], null, v[170:171], v[170:171], v[172:173]
	v_div_scale_f64 v[189:190], vcc_lo, v[172:173], v[170:171], v[172:173]
	v_rcp_f64_e32 v[185:186], v[179:180]
	v_fma_f64 v[187:188], -v[179:180], v[185:186], 1.0
	v_fma_f64 v[185:186], v[185:186], v[187:188], v[185:186]
	v_fma_f64 v[187:188], -v[179:180], v[185:186], 1.0
	v_fma_f64 v[185:186], v[185:186], v[187:188], v[185:186]
	v_mul_f64 v[187:188], v[189:190], v[185:186]
	v_fma_f64 v[179:180], -v[179:180], v[187:188], v[189:190]
	v_div_fmas_f64 v[179:180], v[179:180], v[185:186], v[187:188]
	v_div_fixup_f64 v[179:180], v[179:180], v[170:171], v[172:173]
	v_fma_f64 v[170:171], v[172:173], v[179:180], v[170:171]
	v_div_scale_f64 v[172:173], null, v[170:171], v[170:171], 1.0
	v_rcp_f64_e32 v[185:186], v[172:173]
	v_fma_f64 v[187:188], -v[172:173], v[185:186], 1.0
	v_fma_f64 v[185:186], v[185:186], v[187:188], v[185:186]
	v_fma_f64 v[187:188], -v[172:173], v[185:186], 1.0
	v_fma_f64 v[185:186], v[185:186], v[187:188], v[185:186]
	v_div_scale_f64 v[187:188], vcc_lo, 1.0, v[170:171], 1.0
	v_mul_f64 v[189:190], v[187:188], v[185:186]
	v_fma_f64 v[172:173], -v[172:173], v[189:190], v[187:188]
	v_div_fmas_f64 v[172:173], v[172:173], v[185:186], v[189:190]
	v_div_fixup_f64 v[170:171], v[172:173], v[170:171], 1.0
	v_mul_f64 v[172:173], v[179:180], -v[170:171]
.LBB82_870:
	s_or_b32 exec_lo, exec_lo, s1
.LBB82_871:
	s_or_b32 exec_lo, exec_lo, s0
	v_mov_b32_e32 v179, 41
	s_mov_b32 s0, exec_lo
	v_cmpx_ne_u32_e64 v184, v178
	s_cbranch_execz .LBB82_877
; %bb.872:
	s_mov_b32 s1, exec_lo
	v_cmpx_eq_u32_e32 41, v184
	s_cbranch_execz .LBB82_876
; %bb.873:
	v_cmp_ne_u32_e32 vcc_lo, 41, v178
	s_xor_b32 s2, s16, -1
	s_and_b32 s3, s2, vcc_lo
	s_and_saveexec_b32 s2, s3
	s_cbranch_execz .LBB82_875
; %bb.874:
	v_ashrrev_i32_e32 v179, 31, v178
	v_lshlrev_b64 v[0:1], 2, v[178:179]
	v_add_co_u32 v0, vcc_lo, v176, v0
	v_add_co_ci_u32_e64 v1, null, v177, v1, vcc_lo
	s_clause 0x1
	global_load_dword v179, v[0:1], off
	global_load_dword v180, v[176:177], off offset:164
	s_waitcnt vmcnt(1)
	global_store_dword v[176:177], v179, off offset:164
	s_waitcnt vmcnt(0)
	global_store_dword v[0:1], v180, off
.LBB82_875:
	s_or_b32 exec_lo, exec_lo, s2
	v_mov_b32_e32 v184, v178
	v_mov_b32_e32 v0, v178
.LBB82_876:
	s_or_b32 exec_lo, exec_lo, s1
	v_mov_b32_e32 v179, v184
.LBB82_877:
	s_or_b32 exec_lo, exec_lo, s0
	s_mov_b32 s0, exec_lo
	s_waitcnt_vscnt null, 0x0
	s_barrier
	buffer_gl0_inv
	v_cmpx_lt_i32_e32 41, v179
	s_cbranch_execz .LBB82_879
; %bb.878:
	v_mul_f64 v[176:177], v[172:173], v[4:5]
	v_mul_f64 v[4:5], v[170:171], v[4:5]
	v_fma_f64 v[170:171], v[170:171], v[2:3], -v[176:177]
	v_fma_f64 v[4:5], v[172:173], v[2:3], v[4:5]
	v_mov_b32_e32 v2, v170
	v_mov_b32_e32 v3, v171
.LBB82_879:
	s_or_b32 exec_lo, exec_lo, s0
	v_ashrrev_i32_e32 v180, 31, v179
	s_mov_b32 s0, exec_lo
	s_barrier
	buffer_gl0_inv
	v_cmpx_gt_i32_e32 42, v179
	s_cbranch_execz .LBB82_881
; %bb.880:
	v_mul_lo_u32 v1, s15, v174
	v_mul_lo_u32 v172, s14, v175
	v_mad_u64_u32 v[170:171], null, s14, v174, 0
	s_lshl_b64 s[2:3], s[12:13], 2
	v_add3_u32 v0, v0, s17, 1
	v_add3_u32 v171, v171, v172, v1
	v_lshlrev_b64 v[170:171], 2, v[170:171]
	v_add_co_u32 v1, vcc_lo, s10, v170
	v_add_co_ci_u32_e64 v172, null, s11, v171, vcc_lo
	v_lshlrev_b64 v[170:171], 2, v[179:180]
	v_add_co_u32 v1, vcc_lo, v1, s2
	v_add_co_ci_u32_e64 v172, null, s3, v172, vcc_lo
	v_add_co_u32 v170, vcc_lo, v1, v170
	v_add_co_ci_u32_e64 v171, null, v172, v171, vcc_lo
	global_store_dword v[170:171], v0, off
.LBB82_881:
	s_or_b32 exec_lo, exec_lo, s0
	s_mov_b32 s1, exec_lo
	v_cmpx_eq_u32_e32 0, v179
	s_cbranch_execz .LBB82_884
; %bb.882:
	v_lshlrev_b64 v[0:1], 2, v[174:175]
	v_cmp_ne_u32_e64 s0, 0, v183
	v_add_co_u32 v0, vcc_lo, s4, v0
	v_add_co_ci_u32_e64 v1, null, s5, v1, vcc_lo
	global_load_dword v170, v[0:1], off
	s_waitcnt vmcnt(0)
	v_cmp_eq_u32_e32 vcc_lo, 0, v170
	s_and_b32 s0, vcc_lo, s0
	s_and_b32 exec_lo, exec_lo, s0
	s_cbranch_execz .LBB82_884
; %bb.883:
	v_add_nc_u32_e32 v170, s17, v183
	global_store_dword v[0:1], v170, off
.LBB82_884:
	s_or_b32 exec_lo, exec_lo, s1
	v_add3_u32 v0, s6, s6, v179
	v_lshlrev_b64 v[170:171], 4, v[179:180]
	v_add_nc_u32_e32 v172, s6, v0
	v_ashrrev_i32_e32 v1, 31, v0
	v_add_co_u32 v170, vcc_lo, v181, v170
	v_add_co_ci_u32_e64 v171, null, v182, v171, vcc_lo
	v_add_nc_u32_e32 v176, s6, v172
	v_add_co_u32 v174, vcc_lo, v170, s8
	v_ashrrev_i32_e32 v173, 31, v172
	v_add_co_ci_u32_e64 v175, null, s9, v171, vcc_lo
	v_ashrrev_i32_e32 v177, 31, v176
	v_lshlrev_b64 v[0:1], 4, v[0:1]
	global_store_dwordx4 v[170:171], v[162:165], off
	global_store_dwordx4 v[174:175], v[166:169], off
	v_lshlrev_b64 v[162:163], 4, v[172:173]
	v_add_nc_u32_e32 v166, s6, v176
	v_lshlrev_b64 v[164:165], 4, v[176:177]
	v_add_co_u32 v0, vcc_lo, v181, v0
	v_add_co_ci_u32_e64 v1, null, v182, v1, vcc_lo
	v_add_co_u32 v162, vcc_lo, v181, v162
	v_add_co_ci_u32_e64 v163, null, v182, v163, vcc_lo
	v_add_co_u32 v164, vcc_lo, v181, v164
	v_add_nc_u32_e32 v168, s6, v166
	v_add_co_ci_u32_e64 v165, null, v182, v165, vcc_lo
	v_ashrrev_i32_e32 v167, 31, v166
	global_store_dwordx4 v[0:1], v[158:161], off
	global_store_dwordx4 v[162:163], v[154:157], off
	global_store_dwordx4 v[164:165], v[150:153], off
	v_add_nc_u32_e32 v152, s6, v168
	v_ashrrev_i32_e32 v169, 31, v168
	v_lshlrev_b64 v[0:1], 4, v[166:167]
	v_add_nc_u32_e32 v154, s6, v152
	v_lshlrev_b64 v[150:151], 4, v[168:169]
	v_ashrrev_i32_e32 v153, 31, v152
	v_add_co_u32 v0, vcc_lo, v181, v0
	v_add_nc_u32_e32 v156, s6, v154
	v_add_co_ci_u32_e64 v1, null, v182, v1, vcc_lo
	v_add_co_u32 v150, vcc_lo, v181, v150
	v_ashrrev_i32_e32 v155, 31, v154
	v_add_co_ci_u32_e64 v151, null, v182, v151, vcc_lo
	v_ashrrev_i32_e32 v157, 31, v156
	v_lshlrev_b64 v[152:153], 4, v[152:153]
	global_store_dwordx4 v[0:1], v[146:149], off
	global_store_dwordx4 v[150:151], v[142:145], off
	v_lshlrev_b64 v[0:1], 4, v[154:155]
	v_add_nc_u32_e32 v146, s6, v156
	v_lshlrev_b64 v[144:145], 4, v[156:157]
	v_add_co_u32 v142, vcc_lo, v181, v152
	v_add_co_ci_u32_e64 v143, null, v182, v153, vcc_lo
	v_add_co_u32 v0, vcc_lo, v181, v0
	v_add_co_ci_u32_e64 v1, null, v182, v1, vcc_lo
	v_add_co_u32 v144, vcc_lo, v181, v144
	v_add_nc_u32_e32 v148, s6, v146
	v_add_co_ci_u32_e64 v145, null, v182, v145, vcc_lo
	v_ashrrev_i32_e32 v147, 31, v146
	global_store_dwordx4 v[142:143], v[138:141], off
	global_store_dwordx4 v[0:1], v[134:137], off
	global_store_dwordx4 v[144:145], v[130:133], off
	v_add_nc_u32_e32 v130, s6, v148
	v_ashrrev_i32_e32 v149, 31, v148
	v_lshlrev_b64 v[138:139], 4, v[146:147]
	v_add_nc_u32_e32 v134, s6, v130
	v_lshlrev_b64 v[0:1], 4, v[148:149]
	v_ashrrev_i32_e32 v131, 31, v130
	v_add_co_u32 v132, vcc_lo, v181, v138
	v_add_nc_u32_e32 v136, s6, v134
	v_add_co_ci_u32_e64 v133, null, v182, v139, vcc_lo
	;; [unrolled: 30-line block ×6, first 2 shown]
	v_add_co_u32 v0, vcc_lo, v181, v0
	v_ashrrev_i32_e32 v55, 31, v54
	v_add_co_ci_u32_e64 v1, null, v182, v1, vcc_lo
	v_ashrrev_i32_e32 v57, 31, v56
	v_lshlrev_b64 v[50:51], 4, v[50:51]
	global_store_dwordx4 v[52:53], v[46:49], off
	global_store_dwordx4 v[0:1], v[42:45], off
	v_lshlrev_b64 v[0:1], 4, v[54:55]
	v_add_nc_u32_e32 v46, s6, v56
	v_lshlrev_b64 v[44:45], 4, v[56:57]
	v_add_co_u32 v42, vcc_lo, v181, v50
	v_add_co_ci_u32_e64 v43, null, v182, v51, vcc_lo
	v_add_co_u32 v0, vcc_lo, v181, v0
	v_add_nc_u32_e32 v48, s6, v46
	v_add_co_ci_u32_e64 v1, null, v182, v1, vcc_lo
	v_add_co_u32 v44, vcc_lo, v181, v44
	v_ashrrev_i32_e32 v47, 31, v46
	v_add_co_ci_u32_e64 v45, null, v182, v45, vcc_lo
	v_ashrrev_i32_e32 v49, 31, v48
	global_store_dwordx4 v[42:43], v[38:41], off
	v_lshlrev_b64 v[38:39], 4, v[46:47]
	global_store_dwordx4 v[0:1], v[34:37], off
	global_store_dwordx4 v[44:45], v[30:33], off
	v_add_nc_u32_e32 v30, s6, v48
	v_lshlrev_b64 v[0:1], 4, v[48:49]
	v_add_co_u32 v32, vcc_lo, v181, v38
	v_add_nc_u32_e32 v34, s6, v30
	v_add_co_ci_u32_e64 v33, null, v182, v39, vcc_lo
	v_add_co_u32 v0, vcc_lo, v181, v0
	v_add_co_ci_u32_e64 v1, null, v182, v1, vcc_lo
	v_add_nc_u32_e32 v36, s6, v34
	v_ashrrev_i32_e32 v31, 31, v30
	global_store_dwordx4 v[32:33], v[26:29], off
	global_store_dwordx4 v[0:1], v[22:25], off
	v_ashrrev_i32_e32 v35, 31, v34
	v_add_nc_u32_e32 v22, s6, v36
	v_lshlrev_b64 v[26:27], 4, v[30:31]
	v_ashrrev_i32_e32 v37, 31, v36
	v_lshlrev_b64 v[0:1], 4, v[34:35]
	v_add_nc_u32_e32 v28, s6, v22
	v_ashrrev_i32_e32 v23, 31, v22
	v_add_co_u32 v24, vcc_lo, v181, v26
	v_add_co_ci_u32_e64 v25, null, v182, v27, vcc_lo
	v_ashrrev_i32_e32 v29, 31, v28
	v_lshlrev_b64 v[26:27], 4, v[36:37]
	v_lshlrev_b64 v[22:23], 4, v[22:23]
	v_add_co_u32 v0, vcc_lo, v181, v0
	v_lshlrev_b64 v[28:29], 4, v[28:29]
	v_add_co_ci_u32_e64 v1, null, v182, v1, vcc_lo
	v_add_co_u32 v26, vcc_lo, v181, v26
	v_add_co_ci_u32_e64 v27, null, v182, v27, vcc_lo
	v_add_co_u32 v22, vcc_lo, v181, v22
	;; [unrolled: 2-line block ×3, first 2 shown]
	v_add_co_ci_u32_e64 v29, null, v182, v29, vcc_lo
	global_store_dwordx4 v[24:25], v[18:21], off
	global_store_dwordx4 v[0:1], v[14:17], off
	;; [unrolled: 1-line block ×5, first 2 shown]
.LBB82_885:
	s_endpgm
	.section	.rodata,"a",@progbits
	.p2align	6, 0x0
	.amdhsa_kernel _ZN9rocsolver6v33100L18getf2_small_kernelILi42E19rocblas_complex_numIdEiiPS3_EEvT1_T3_lS5_lPS5_llPT2_S5_S5_S7_l
		.amdhsa_group_segment_fixed_size 0
		.amdhsa_private_segment_fixed_size 0
		.amdhsa_kernarg_size 352
		.amdhsa_user_sgpr_count 6
		.amdhsa_user_sgpr_private_segment_buffer 1
		.amdhsa_user_sgpr_dispatch_ptr 0
		.amdhsa_user_sgpr_queue_ptr 0
		.amdhsa_user_sgpr_kernarg_segment_ptr 1
		.amdhsa_user_sgpr_dispatch_id 0
		.amdhsa_user_sgpr_flat_scratch_init 0
		.amdhsa_user_sgpr_private_segment_size 0
		.amdhsa_wavefront_size32 1
		.amdhsa_uses_dynamic_stack 0
		.amdhsa_system_sgpr_private_segment_wavefront_offset 0
		.amdhsa_system_sgpr_workgroup_id_x 1
		.amdhsa_system_sgpr_workgroup_id_y 1
		.amdhsa_system_sgpr_workgroup_id_z 0
		.amdhsa_system_sgpr_workgroup_info 0
		.amdhsa_system_vgpr_workitem_id 1
		.amdhsa_next_free_vgpr 251
		.amdhsa_next_free_sgpr 19
		.amdhsa_reserve_vcc 1
		.amdhsa_reserve_flat_scratch 0
		.amdhsa_float_round_mode_32 0
		.amdhsa_float_round_mode_16_64 0
		.amdhsa_float_denorm_mode_32 3
		.amdhsa_float_denorm_mode_16_64 3
		.amdhsa_dx10_clamp 1
		.amdhsa_ieee_mode 1
		.amdhsa_fp16_overflow 0
		.amdhsa_workgroup_processor_mode 1
		.amdhsa_memory_ordered 1
		.amdhsa_forward_progress 1
		.amdhsa_shared_vgpr_count 0
		.amdhsa_exception_fp_ieee_invalid_op 0
		.amdhsa_exception_fp_denorm_src 0
		.amdhsa_exception_fp_ieee_div_zero 0
		.amdhsa_exception_fp_ieee_overflow 0
		.amdhsa_exception_fp_ieee_underflow 0
		.amdhsa_exception_fp_ieee_inexact 0
		.amdhsa_exception_int_div_zero 0
	.end_amdhsa_kernel
	.section	.text._ZN9rocsolver6v33100L18getf2_small_kernelILi42E19rocblas_complex_numIdEiiPS3_EEvT1_T3_lS5_lPS5_llPT2_S5_S5_S7_l,"axG",@progbits,_ZN9rocsolver6v33100L18getf2_small_kernelILi42E19rocblas_complex_numIdEiiPS3_EEvT1_T3_lS5_lPS5_llPT2_S5_S5_S7_l,comdat
.Lfunc_end82:
	.size	_ZN9rocsolver6v33100L18getf2_small_kernelILi42E19rocblas_complex_numIdEiiPS3_EEvT1_T3_lS5_lPS5_llPT2_S5_S5_S7_l, .Lfunc_end82-_ZN9rocsolver6v33100L18getf2_small_kernelILi42E19rocblas_complex_numIdEiiPS3_EEvT1_T3_lS5_lPS5_llPT2_S5_S5_S7_l
                                        ; -- End function
	.set _ZN9rocsolver6v33100L18getf2_small_kernelILi42E19rocblas_complex_numIdEiiPS3_EEvT1_T3_lS5_lPS5_llPT2_S5_S5_S7_l.num_vgpr, 251
	.set _ZN9rocsolver6v33100L18getf2_small_kernelILi42E19rocblas_complex_numIdEiiPS3_EEvT1_T3_lS5_lPS5_llPT2_S5_S5_S7_l.num_agpr, 0
	.set _ZN9rocsolver6v33100L18getf2_small_kernelILi42E19rocblas_complex_numIdEiiPS3_EEvT1_T3_lS5_lPS5_llPT2_S5_S5_S7_l.numbered_sgpr, 19
	.set _ZN9rocsolver6v33100L18getf2_small_kernelILi42E19rocblas_complex_numIdEiiPS3_EEvT1_T3_lS5_lPS5_llPT2_S5_S5_S7_l.num_named_barrier, 0
	.set _ZN9rocsolver6v33100L18getf2_small_kernelILi42E19rocblas_complex_numIdEiiPS3_EEvT1_T3_lS5_lPS5_llPT2_S5_S5_S7_l.private_seg_size, 0
	.set _ZN9rocsolver6v33100L18getf2_small_kernelILi42E19rocblas_complex_numIdEiiPS3_EEvT1_T3_lS5_lPS5_llPT2_S5_S5_S7_l.uses_vcc, 1
	.set _ZN9rocsolver6v33100L18getf2_small_kernelILi42E19rocblas_complex_numIdEiiPS3_EEvT1_T3_lS5_lPS5_llPT2_S5_S5_S7_l.uses_flat_scratch, 0
	.set _ZN9rocsolver6v33100L18getf2_small_kernelILi42E19rocblas_complex_numIdEiiPS3_EEvT1_T3_lS5_lPS5_llPT2_S5_S5_S7_l.has_dyn_sized_stack, 0
	.set _ZN9rocsolver6v33100L18getf2_small_kernelILi42E19rocblas_complex_numIdEiiPS3_EEvT1_T3_lS5_lPS5_llPT2_S5_S5_S7_l.has_recursion, 0
	.set _ZN9rocsolver6v33100L18getf2_small_kernelILi42E19rocblas_complex_numIdEiiPS3_EEvT1_T3_lS5_lPS5_llPT2_S5_S5_S7_l.has_indirect_call, 0
	.section	.AMDGPU.csdata,"",@progbits
; Kernel info:
; codeLenInByte = 103680
; TotalNumSgprs: 21
; NumVgprs: 251
; ScratchSize: 0
; MemoryBound: 0
; FloatMode: 240
; IeeeMode: 1
; LDSByteSize: 0 bytes/workgroup (compile time only)
; SGPRBlocks: 0
; VGPRBlocks: 31
; NumSGPRsForWavesPerEU: 21
; NumVGPRsForWavesPerEU: 251
; Occupancy: 4
; WaveLimiterHint : 0
; COMPUTE_PGM_RSRC2:SCRATCH_EN: 0
; COMPUTE_PGM_RSRC2:USER_SGPR: 6
; COMPUTE_PGM_RSRC2:TRAP_HANDLER: 0
; COMPUTE_PGM_RSRC2:TGID_X_EN: 1
; COMPUTE_PGM_RSRC2:TGID_Y_EN: 1
; COMPUTE_PGM_RSRC2:TGID_Z_EN: 0
; COMPUTE_PGM_RSRC2:TIDIG_COMP_CNT: 1
	.section	.text._ZN9rocsolver6v33100L23getf2_npvt_small_kernelILi42E19rocblas_complex_numIdEiiPS3_EEvT1_T3_lS5_lPT2_S5_S5_,"axG",@progbits,_ZN9rocsolver6v33100L23getf2_npvt_small_kernelILi42E19rocblas_complex_numIdEiiPS3_EEvT1_T3_lS5_lPT2_S5_S5_,comdat
	.globl	_ZN9rocsolver6v33100L23getf2_npvt_small_kernelILi42E19rocblas_complex_numIdEiiPS3_EEvT1_T3_lS5_lPT2_S5_S5_ ; -- Begin function _ZN9rocsolver6v33100L23getf2_npvt_small_kernelILi42E19rocblas_complex_numIdEiiPS3_EEvT1_T3_lS5_lPT2_S5_S5_
	.p2align	8
	.type	_ZN9rocsolver6v33100L23getf2_npvt_small_kernelILi42E19rocblas_complex_numIdEiiPS3_EEvT1_T3_lS5_lPT2_S5_S5_,@function
_ZN9rocsolver6v33100L23getf2_npvt_small_kernelILi42E19rocblas_complex_numIdEiiPS3_EEvT1_T3_lS5_lPT2_S5_S5_: ; @_ZN9rocsolver6v33100L23getf2_npvt_small_kernelILi42E19rocblas_complex_numIdEiiPS3_EEvT1_T3_lS5_lPT2_S5_S5_
; %bb.0:
	s_mov_b64 s[18:19], s[2:3]
	s_mov_b64 s[16:17], s[0:1]
	s_clause 0x1
	s_load_dword s0, s[4:5], 0x44
	s_load_dwordx2 s[12:13], s[4:5], 0x30
	s_add_u32 s16, s16, s8
	s_addc_u32 s17, s17, 0
	s_waitcnt lgkmcnt(0)
	s_lshr_b32 s14, s0, 16
	s_mov_b32 s0, exec_lo
	v_mad_u64_u32 v[2:3], null, s7, s14, v[1:2]
	v_cmpx_gt_i32_e64 s12, v2
	s_cbranch_execz .LBB83_383
; %bb.1:
	s_clause 0x2
	s_load_dwordx4 s[8:11], s[4:5], 0x20
	s_load_dword s6, s[4:5], 0x18
	s_load_dwordx4 s[0:3], s[4:5], 0x8
	v_ashrrev_i32_e32 v3, 31, v2
	v_mad_u32_u24 v253, 0x2a0, v1, 0
	v_lshlrev_b32_e32 v1, 4, v1
	s_mulk_i32 s14, 0x2a0
	v_add3_u32 v255, 0, s14, v1
	s_waitcnt lgkmcnt(0)
	v_mul_lo_u32 v5, s9, v2
	v_mul_lo_u32 v7, s8, v3
	buffer_store_dword v2, off, s[16:19], 0 offset:720 ; 4-byte Folded Spill
	buffer_store_dword v3, off, s[16:19], 0 offset:724 ; 4-byte Folded Spill
	v_add3_u32 v4, s6, s6, v0
	s_lshl_b64 s[2:3], s[2:3], 4
	s_ashr_i32 s7, s6, 31
	v_add_nc_u32_e32 v6, s6, v4
	v_add_nc_u32_e32 v8, s6, v6
	;; [unrolled: 1-line block ×3, first 2 shown]
	v_ashrrev_i32_e32 v9, 31, v8
	v_add_nc_u32_e32 v12, s6, v10
	v_ashrrev_i32_e32 v11, 31, v10
	v_lshlrev_b64 v[8:9], 4, v[8:9]
	v_add_nc_u32_e32 v14, s6, v12
	v_ashrrev_i32_e32 v13, 31, v12
	v_lshlrev_b64 v[10:11], 4, v[10:11]
	v_ashrrev_i32_e32 v15, 31, v14
	v_mad_u64_u32 v[2:3], null, s8, v2, 0
	v_add3_u32 v3, v3, v7, v5
	v_ashrrev_i32_e32 v5, 31, v4
	v_ashrrev_i32_e32 v7, 31, v6
	v_lshlrev_b64 v[2:3], 4, v[2:3]
	v_lshlrev_b64 v[4:5], 4, v[4:5]
	;; [unrolled: 1-line block ×3, first 2 shown]
	v_add_co_u32 v2, vcc_lo, s0, v2
	v_add_co_ci_u32_e64 v3, null, s1, v3, vcc_lo
	s_lshl_b64 s[0:1], s[6:7], 4
	v_add_co_u32 v2, vcc_lo, v2, s2
	v_add_co_ci_u32_e64 v3, null, s3, v3, vcc_lo
	v_add_co_u32 v20, vcc_lo, v2, v4
	v_add_co_ci_u32_e64 v21, null, v3, v5, vcc_lo
	v_add_co_u32 v18, vcc_lo, v2, v6
	v_add_nc_u32_e32 v6, s6, v14
	v_lshlrev_b64 v[4:5], 4, v[12:13]
	v_add_co_ci_u32_e64 v19, null, v3, v7, vcc_lo
	v_add_co_u32 v16, vcc_lo, v2, v8
	v_add_co_ci_u32_e64 v17, null, v3, v9, vcc_lo
	v_add_co_u32 v12, vcc_lo, v2, v10
	v_ashrrev_i32_e32 v7, 31, v6
	v_add_nc_u32_e32 v10, s6, v6
	v_lshlrev_b64 v[8:9], 4, v[14:15]
	v_add_co_ci_u32_e64 v13, null, v3, v11, vcc_lo
	v_add_co_u32 v14, vcc_lo, v2, v4
	v_add_co_ci_u32_e64 v15, null, v3, v5, vcc_lo
	v_lshlrev_b64 v[4:5], 4, v[6:7]
	v_ashrrev_i32_e32 v11, 31, v10
	v_add_nc_u32_e32 v6, s6, v10
	v_add_co_u32 v22, vcc_lo, v2, v8
	v_add_co_ci_u32_e64 v23, null, v3, v9, vcc_lo
	v_lshlrev_b64 v[8:9], 4, v[10:11]
	v_ashrrev_i32_e32 v7, 31, v6
	v_add_nc_u32_e32 v10, s6, v6
	;; [unrolled: 5-line block ×31, first 2 shown]
	v_add_co_u32 v189, vcc_lo, v2, v8
	v_add_co_ci_u32_e64 v190, null, v3, v9, vcc_lo
	v_lshlrev_b64 v[8:9], 4, v[10:11]
	v_add_nc_u32_e32 v10, s6, v6
	v_ashrrev_i32_e32 v7, 31, v6
	v_add_co_u32 v195, vcc_lo, v2, v4
	v_add_co_ci_u32_e64 v196, null, v3, v5, vcc_lo
	v_ashrrev_i32_e32 v11, 31, v10
	v_lshlrev_b64 v[4:5], 4, v[6:7]
	v_add_co_u32 v8, vcc_lo, v2, v8
	v_add_co_ci_u32_e64 v9, null, v3, v9, vcc_lo
	v_lshlrev_b64 v[6:7], 4, v[10:11]
	v_add_co_u32 v191, vcc_lo, v2, v4
	v_lshlrev_b32_e32 v4, 4, v0
	v_add_co_ci_u32_e64 v192, null, v3, v5, vcc_lo
	v_add_co_u32 v193, vcc_lo, v2, v6
	v_add_co_ci_u32_e64 v194, null, v3, v7, vcc_lo
	v_add_co_u32 v2, vcc_lo, v2, v4
	;; [unrolled: 2-line block ×3, first 2 shown]
	v_add_co_ci_u32_e64 v5, null, s1, v3, vcc_lo
	buffer_store_dword v2, off, s[16:19], 0 offset:352 ; 4-byte Folded Spill
	buffer_store_dword v3, off, s[16:19], 0 offset:356 ; 4-byte Folded Spill
	v_cmp_ne_u32_e64 s1, 0, v0
	v_cmp_eq_u32_e64 s0, 0, v0
	global_load_dwordx4 v[62:65], v[2:3], off
	s_waitcnt vmcnt(0)
	buffer_store_dword v62, off, s[16:19], 0 offset:16 ; 4-byte Folded Spill
	buffer_store_dword v63, off, s[16:19], 0 offset:20 ; 4-byte Folded Spill
	;; [unrolled: 1-line block ×6, first 2 shown]
	global_load_dwordx4 v[1:4], v[4:5], off
	s_waitcnt vmcnt(0)
	buffer_store_dword v1, off, s[16:19], 0 ; 4-byte Folded Spill
	buffer_store_dword v2, off, s[16:19], 0 offset:4 ; 4-byte Folded Spill
	buffer_store_dword v3, off, s[16:19], 0 offset:8 ; 4-byte Folded Spill
	;; [unrolled: 1-line block ×5, first 2 shown]
	global_load_dwordx4 v[157:160], v[20:21], off
	buffer_store_dword v18, off, s[16:19], 0 offset:40 ; 4-byte Folded Spill
	buffer_store_dword v19, off, s[16:19], 0 offset:44 ; 4-byte Folded Spill
	global_load_dwordx4 v[153:156], v[18:19], off
	buffer_store_dword v16, off, s[16:19], 0 offset:32 ; 4-byte Folded Spill
	buffer_store_dword v17, off, s[16:19], 0 offset:36 ; 4-byte Folded Spill
	;; [unrolled: 3-line block ×39, first 2 shown]
	global_load_dwordx4 v[1:4], v[193:194], off
	s_and_saveexec_b32 s3, s0
	s_cbranch_execz .LBB83_8
; %bb.2:
	s_clause 0x3
	buffer_load_dword v161, off, s[16:19], 0 offset:16
	buffer_load_dword v162, off, s[16:19], 0 offset:20
	;; [unrolled: 1-line block ×4, first 2 shown]
	s_waitcnt vmcnt(0)
	ds_write2_b64 v255, v[161:162], v[163:164] offset1:1
	s_clause 0x3
	buffer_load_dword v161, off, s[16:19], 0
	buffer_load_dword v162, off, s[16:19], 0 offset:4
	buffer_load_dword v163, off, s[16:19], 0 offset:8
	;; [unrolled: 1-line block ×3, first 2 shown]
	s_waitcnt vmcnt(0)
	ds_write2_b64 v253, v[161:162], v[163:164] offset0:2 offset1:3
	ds_write2_b64 v253, v[157:158], v[159:160] offset0:4 offset1:5
	;; [unrolled: 1-line block ×41, first 2 shown]
	ds_read2_b64 v[169:172], v255 offset1:1
	s_waitcnt lgkmcnt(0)
	v_cmp_neq_f64_e32 vcc_lo, 0, v[169:170]
	v_cmp_neq_f64_e64 s2, 0, v[171:172]
	s_or_b32 s2, vcc_lo, s2
	s_and_b32 exec_lo, exec_lo, s2
	s_cbranch_execz .LBB83_8
; %bb.3:
	v_cmp_ngt_f64_e64 s2, |v[169:170]|, |v[171:172]|
                                        ; implicit-def: $vgpr173_vgpr174
	s_and_saveexec_b32 s4, s2
	s_xor_b32 s2, exec_lo, s4
                                        ; implicit-def: $vgpr175_vgpr176
	s_cbranch_execz .LBB83_5
; %bb.4:
	v_div_scale_f64 v[173:174], null, v[171:172], v[171:172], v[169:170]
	v_div_scale_f64 v[179:180], vcc_lo, v[169:170], v[171:172], v[169:170]
	v_rcp_f64_e32 v[175:176], v[173:174]
	v_fma_f64 v[177:178], -v[173:174], v[175:176], 1.0
	v_fma_f64 v[175:176], v[175:176], v[177:178], v[175:176]
	v_fma_f64 v[177:178], -v[173:174], v[175:176], 1.0
	v_fma_f64 v[175:176], v[175:176], v[177:178], v[175:176]
	v_mul_f64 v[177:178], v[179:180], v[175:176]
	v_fma_f64 v[173:174], -v[173:174], v[177:178], v[179:180]
	v_div_fmas_f64 v[173:174], v[173:174], v[175:176], v[177:178]
	v_div_fixup_f64 v[173:174], v[173:174], v[171:172], v[169:170]
	v_fma_f64 v[169:170], v[169:170], v[173:174], v[171:172]
	v_div_scale_f64 v[171:172], null, v[169:170], v[169:170], 1.0
	v_rcp_f64_e32 v[175:176], v[171:172]
	v_fma_f64 v[177:178], -v[171:172], v[175:176], 1.0
	v_fma_f64 v[175:176], v[175:176], v[177:178], v[175:176]
	v_fma_f64 v[177:178], -v[171:172], v[175:176], 1.0
	v_fma_f64 v[175:176], v[175:176], v[177:178], v[175:176]
	v_div_scale_f64 v[177:178], vcc_lo, 1.0, v[169:170], 1.0
	v_mul_f64 v[179:180], v[177:178], v[175:176]
	v_fma_f64 v[171:172], -v[171:172], v[179:180], v[177:178]
	v_div_fmas_f64 v[171:172], v[171:172], v[175:176], v[179:180]
	v_div_fixup_f64 v[175:176], v[171:172], v[169:170], 1.0
                                        ; implicit-def: $vgpr169_vgpr170
	v_mul_f64 v[173:174], v[173:174], v[175:176]
	v_xor_b32_e32 v176, 0x80000000, v176
.LBB83_5:
	s_andn2_saveexec_b32 s2, s2
	s_cbranch_execz .LBB83_7
; %bb.6:
	v_div_scale_f64 v[173:174], null, v[169:170], v[169:170], v[171:172]
	v_div_scale_f64 v[179:180], vcc_lo, v[171:172], v[169:170], v[171:172]
	v_rcp_f64_e32 v[175:176], v[173:174]
	v_fma_f64 v[177:178], -v[173:174], v[175:176], 1.0
	v_fma_f64 v[175:176], v[175:176], v[177:178], v[175:176]
	v_fma_f64 v[177:178], -v[173:174], v[175:176], 1.0
	v_fma_f64 v[175:176], v[175:176], v[177:178], v[175:176]
	v_mul_f64 v[177:178], v[179:180], v[175:176]
	v_fma_f64 v[173:174], -v[173:174], v[177:178], v[179:180]
	v_div_fmas_f64 v[173:174], v[173:174], v[175:176], v[177:178]
	v_div_fixup_f64 v[175:176], v[173:174], v[169:170], v[171:172]
	v_fma_f64 v[169:170], v[171:172], v[175:176], v[169:170]
	v_div_scale_f64 v[171:172], null, v[169:170], v[169:170], 1.0
	v_rcp_f64_e32 v[173:174], v[171:172]
	v_fma_f64 v[177:178], -v[171:172], v[173:174], 1.0
	v_fma_f64 v[173:174], v[173:174], v[177:178], v[173:174]
	v_fma_f64 v[177:178], -v[171:172], v[173:174], 1.0
	v_fma_f64 v[173:174], v[173:174], v[177:178], v[173:174]
	v_div_scale_f64 v[177:178], vcc_lo, 1.0, v[169:170], 1.0
	v_mul_f64 v[179:180], v[177:178], v[173:174]
	v_fma_f64 v[171:172], -v[171:172], v[179:180], v[177:178]
	v_div_fmas_f64 v[171:172], v[171:172], v[173:174], v[179:180]
	v_div_fixup_f64 v[173:174], v[171:172], v[169:170], 1.0
	v_mul_f64 v[175:176], v[175:176], -v[173:174]
.LBB83_7:
	s_or_b32 exec_lo, exec_lo, s2
	ds_write2_b64 v255, v[173:174], v[175:176] offset1:1
.LBB83_8:
	s_or_b32 exec_lo, exec_lo, s3
	s_waitcnt vmcnt(0) lgkmcnt(0)
	s_waitcnt_vscnt null, 0x0
	s_barrier
	buffer_gl0_inv
	ds_read2_b64 v[169:172], v255 offset1:1
	s_waitcnt lgkmcnt(0)
	buffer_store_dword v169, off, s[16:19], 0 offset:368 ; 4-byte Folded Spill
	buffer_store_dword v170, off, s[16:19], 0 offset:372 ; 4-byte Folded Spill
	;; [unrolled: 1-line block ×4, first 2 shown]
	s_and_saveexec_b32 s2, s1
	s_cbranch_execz .LBB83_10
; %bb.9:
	s_clause 0x7
	buffer_load_dword v171, off, s[16:19], 0 offset:368
	buffer_load_dword v172, off, s[16:19], 0 offset:372
	;; [unrolled: 1-line block ×8, first 2 shown]
	s_waitcnt vmcnt(0)
	v_mul_f64 v[169:170], v[173:174], v[167:168]
	v_mul_f64 v[167:168], v[171:172], v[167:168]
	v_fma_f64 v[169:170], v[171:172], v[165:166], -v[169:170]
	v_fma_f64 v[167:168], v[173:174], v[165:166], v[167:168]
	ds_read2_b64 v[171:174], v253 offset0:2 offset1:3
	s_clause 0x3
	buffer_load_dword v161, off, s[16:19], 0
	buffer_load_dword v162, off, s[16:19], 0 offset:4
	buffer_load_dword v163, off, s[16:19], 0 offset:8
	;; [unrolled: 1-line block ×3, first 2 shown]
	s_waitcnt lgkmcnt(0)
	v_mul_f64 v[165:166], v[173:174], v[167:168]
	v_fma_f64 v[165:166], v[171:172], v[169:170], -v[165:166]
	v_mul_f64 v[171:172], v[171:172], v[167:168]
	v_fma_f64 v[171:172], v[173:174], v[169:170], v[171:172]
	s_waitcnt vmcnt(2)
	v_add_f64 v[161:162], v[161:162], -v[165:166]
	s_waitcnt vmcnt(0)
	v_add_f64 v[163:164], v[163:164], -v[171:172]
	buffer_store_dword v161, off, s[16:19], 0 ; 4-byte Folded Spill
	buffer_store_dword v162, off, s[16:19], 0 offset:4 ; 4-byte Folded Spill
	buffer_store_dword v163, off, s[16:19], 0 offset:8 ; 4-byte Folded Spill
	;; [unrolled: 1-line block ×3, first 2 shown]
	ds_read2_b64 v[171:174], v253 offset0:4 offset1:5
	s_waitcnt lgkmcnt(0)
	v_mul_f64 v[165:166], v[173:174], v[167:168]
	v_fma_f64 v[165:166], v[171:172], v[169:170], -v[165:166]
	v_mul_f64 v[171:172], v[171:172], v[167:168]
	v_add_f64 v[157:158], v[157:158], -v[165:166]
	v_fma_f64 v[171:172], v[173:174], v[169:170], v[171:172]
	v_add_f64 v[159:160], v[159:160], -v[171:172]
	ds_read2_b64 v[171:174], v253 offset0:6 offset1:7
	s_waitcnt lgkmcnt(0)
	v_mul_f64 v[165:166], v[173:174], v[167:168]
	v_fma_f64 v[165:166], v[171:172], v[169:170], -v[165:166]
	v_mul_f64 v[171:172], v[171:172], v[167:168]
	v_add_f64 v[153:154], v[153:154], -v[165:166]
	v_fma_f64 v[171:172], v[173:174], v[169:170], v[171:172]
	v_add_f64 v[155:156], v[155:156], -v[171:172]
	;; [unrolled: 8-line block ×39, first 2 shown]
	ds_read2_b64 v[171:174], v253 offset0:82 offset1:83
	s_waitcnt lgkmcnt(0)
	v_mul_f64 v[165:166], v[173:174], v[167:168]
	v_fma_f64 v[165:166], v[171:172], v[169:170], -v[165:166]
	v_mul_f64 v[171:172], v[171:172], v[167:168]
	v_add_f64 v[1:2], v[1:2], -v[165:166]
	v_fma_f64 v[171:172], v[173:174], v[169:170], v[171:172]
	v_mov_b32_e32 v165, v169
	v_mov_b32_e32 v166, v170
	buffer_store_dword v165, off, s[16:19], 0 offset:16 ; 4-byte Folded Spill
	buffer_store_dword v166, off, s[16:19], 0 offset:20 ; 4-byte Folded Spill
	;; [unrolled: 1-line block ×4, first 2 shown]
	v_add_f64 v[3:4], v[3:4], -v[171:172]
.LBB83_10:
	s_or_b32 exec_lo, exec_lo, s2
	s_mov_b32 s2, exec_lo
	s_waitcnt_vscnt null, 0x0
	s_barrier
	buffer_gl0_inv
	v_cmpx_eq_u32_e32 1, v0
	s_cbranch_execz .LBB83_17
; %bb.11:
	s_clause 0x3
	buffer_load_dword v161, off, s[16:19], 0
	buffer_load_dword v162, off, s[16:19], 0 offset:4
	buffer_load_dword v163, off, s[16:19], 0 offset:8
	;; [unrolled: 1-line block ×3, first 2 shown]
	s_waitcnt vmcnt(0)
	ds_write2_b64 v255, v[161:162], v[163:164] offset1:1
	ds_write2_b64 v253, v[157:158], v[159:160] offset0:4 offset1:5
	ds_write2_b64 v253, v[153:154], v[155:156] offset0:6 offset1:7
	;; [unrolled: 1-line block ×40, first 2 shown]
	ds_read2_b64 v[169:172], v255 offset1:1
	s_waitcnt lgkmcnt(0)
	v_cmp_neq_f64_e32 vcc_lo, 0, v[169:170]
	v_cmp_neq_f64_e64 s1, 0, v[171:172]
	s_or_b32 s1, vcc_lo, s1
	s_and_b32 exec_lo, exec_lo, s1
	s_cbranch_execz .LBB83_17
; %bb.12:
	v_cmp_ngt_f64_e64 s1, |v[169:170]|, |v[171:172]|
                                        ; implicit-def: $vgpr173_vgpr174
	s_and_saveexec_b32 s3, s1
	s_xor_b32 s1, exec_lo, s3
                                        ; implicit-def: $vgpr175_vgpr176
	s_cbranch_execz .LBB83_14
; %bb.13:
	v_div_scale_f64 v[173:174], null, v[171:172], v[171:172], v[169:170]
	v_div_scale_f64 v[179:180], vcc_lo, v[169:170], v[171:172], v[169:170]
	v_rcp_f64_e32 v[175:176], v[173:174]
	v_fma_f64 v[177:178], -v[173:174], v[175:176], 1.0
	v_fma_f64 v[175:176], v[175:176], v[177:178], v[175:176]
	v_fma_f64 v[177:178], -v[173:174], v[175:176], 1.0
	v_fma_f64 v[175:176], v[175:176], v[177:178], v[175:176]
	v_mul_f64 v[177:178], v[179:180], v[175:176]
	v_fma_f64 v[173:174], -v[173:174], v[177:178], v[179:180]
	v_div_fmas_f64 v[173:174], v[173:174], v[175:176], v[177:178]
	v_div_fixup_f64 v[173:174], v[173:174], v[171:172], v[169:170]
	v_fma_f64 v[169:170], v[169:170], v[173:174], v[171:172]
	v_div_scale_f64 v[171:172], null, v[169:170], v[169:170], 1.0
	v_rcp_f64_e32 v[175:176], v[171:172]
	v_fma_f64 v[177:178], -v[171:172], v[175:176], 1.0
	v_fma_f64 v[175:176], v[175:176], v[177:178], v[175:176]
	v_fma_f64 v[177:178], -v[171:172], v[175:176], 1.0
	v_fma_f64 v[175:176], v[175:176], v[177:178], v[175:176]
	v_div_scale_f64 v[177:178], vcc_lo, 1.0, v[169:170], 1.0
	v_mul_f64 v[179:180], v[177:178], v[175:176]
	v_fma_f64 v[171:172], -v[171:172], v[179:180], v[177:178]
	v_div_fmas_f64 v[171:172], v[171:172], v[175:176], v[179:180]
	v_div_fixup_f64 v[175:176], v[171:172], v[169:170], 1.0
                                        ; implicit-def: $vgpr169_vgpr170
	v_mul_f64 v[173:174], v[173:174], v[175:176]
	v_xor_b32_e32 v176, 0x80000000, v176
.LBB83_14:
	s_andn2_saveexec_b32 s1, s1
	s_cbranch_execz .LBB83_16
; %bb.15:
	v_div_scale_f64 v[173:174], null, v[169:170], v[169:170], v[171:172]
	v_div_scale_f64 v[179:180], vcc_lo, v[171:172], v[169:170], v[171:172]
	v_rcp_f64_e32 v[175:176], v[173:174]
	v_fma_f64 v[177:178], -v[173:174], v[175:176], 1.0
	v_fma_f64 v[175:176], v[175:176], v[177:178], v[175:176]
	v_fma_f64 v[177:178], -v[173:174], v[175:176], 1.0
	v_fma_f64 v[175:176], v[175:176], v[177:178], v[175:176]
	v_mul_f64 v[177:178], v[179:180], v[175:176]
	v_fma_f64 v[173:174], -v[173:174], v[177:178], v[179:180]
	v_div_fmas_f64 v[173:174], v[173:174], v[175:176], v[177:178]
	v_div_fixup_f64 v[175:176], v[173:174], v[169:170], v[171:172]
	v_fma_f64 v[169:170], v[171:172], v[175:176], v[169:170]
	v_div_scale_f64 v[171:172], null, v[169:170], v[169:170], 1.0
	v_rcp_f64_e32 v[173:174], v[171:172]
	v_fma_f64 v[177:178], -v[171:172], v[173:174], 1.0
	v_fma_f64 v[173:174], v[173:174], v[177:178], v[173:174]
	v_fma_f64 v[177:178], -v[171:172], v[173:174], 1.0
	v_fma_f64 v[173:174], v[173:174], v[177:178], v[173:174]
	v_div_scale_f64 v[177:178], vcc_lo, 1.0, v[169:170], 1.0
	v_mul_f64 v[179:180], v[177:178], v[173:174]
	v_fma_f64 v[171:172], -v[171:172], v[179:180], v[177:178]
	v_div_fmas_f64 v[171:172], v[171:172], v[173:174], v[179:180]
	v_div_fixup_f64 v[173:174], v[171:172], v[169:170], 1.0
	v_mul_f64 v[175:176], v[175:176], -v[173:174]
.LBB83_16:
	s_or_b32 exec_lo, exec_lo, s1
	ds_write2_b64 v255, v[173:174], v[175:176] offset1:1
.LBB83_17:
	s_or_b32 exec_lo, exec_lo, s2
	s_waitcnt lgkmcnt(0)
	s_barrier
	buffer_gl0_inv
	ds_read2_b64 v[169:172], v255 offset1:1
	s_mov_b32 s1, exec_lo
	s_waitcnt lgkmcnt(0)
	buffer_store_dword v169, off, s[16:19], 0 offset:384 ; 4-byte Folded Spill
	buffer_store_dword v170, off, s[16:19], 0 offset:388 ; 4-byte Folded Spill
	;; [unrolled: 1-line block ×4, first 2 shown]
	v_cmpx_lt_u32_e32 1, v0
	s_cbranch_execz .LBB83_19
; %bb.18:
	s_clause 0x7
	buffer_load_dword v171, off, s[16:19], 0 offset:384
	buffer_load_dword v172, off, s[16:19], 0 offset:388
	;; [unrolled: 1-line block ×4, first 2 shown]
	buffer_load_dword v161, off, s[16:19], 0
	buffer_load_dword v162, off, s[16:19], 0 offset:4
	buffer_load_dword v163, off, s[16:19], 0 offset:8
	;; [unrolled: 1-line block ×3, first 2 shown]
	s_waitcnt vmcnt(0)
	v_mul_f64 v[169:170], v[173:174], v[163:164]
	v_mul_f64 v[163:164], v[171:172], v[163:164]
	v_fma_f64 v[169:170], v[171:172], v[161:162], -v[169:170]
	v_fma_f64 v[163:164], v[173:174], v[161:162], v[163:164]
	ds_read2_b64 v[171:174], v253 offset0:4 offset1:5
	s_waitcnt lgkmcnt(0)
	v_mul_f64 v[161:162], v[173:174], v[163:164]
	v_fma_f64 v[161:162], v[171:172], v[169:170], -v[161:162]
	v_mul_f64 v[171:172], v[171:172], v[163:164]
	v_add_f64 v[157:158], v[157:158], -v[161:162]
	v_fma_f64 v[171:172], v[173:174], v[169:170], v[171:172]
	v_add_f64 v[159:160], v[159:160], -v[171:172]
	ds_read2_b64 v[171:174], v253 offset0:6 offset1:7
	s_waitcnt lgkmcnt(0)
	v_mul_f64 v[161:162], v[173:174], v[163:164]
	v_fma_f64 v[161:162], v[171:172], v[169:170], -v[161:162]
	v_mul_f64 v[171:172], v[171:172], v[163:164]
	v_add_f64 v[153:154], v[153:154], -v[161:162]
	v_fma_f64 v[171:172], v[173:174], v[169:170], v[171:172]
	v_add_f64 v[155:156], v[155:156], -v[171:172]
	ds_read2_b64 v[171:174], v253 offset0:8 offset1:9
	s_waitcnt lgkmcnt(0)
	v_mul_f64 v[161:162], v[173:174], v[163:164]
	v_fma_f64 v[161:162], v[171:172], v[169:170], -v[161:162]
	v_mul_f64 v[171:172], v[171:172], v[163:164]
	v_add_f64 v[149:150], v[149:150], -v[161:162]
	v_fma_f64 v[171:172], v[173:174], v[169:170], v[171:172]
	v_add_f64 v[151:152], v[151:152], -v[171:172]
	ds_read2_b64 v[171:174], v253 offset0:10 offset1:11
	s_waitcnt lgkmcnt(0)
	v_mul_f64 v[161:162], v[173:174], v[163:164]
	v_fma_f64 v[161:162], v[171:172], v[169:170], -v[161:162]
	v_mul_f64 v[171:172], v[171:172], v[163:164]
	v_add_f64 v[145:146], v[145:146], -v[161:162]
	v_fma_f64 v[171:172], v[173:174], v[169:170], v[171:172]
	v_add_f64 v[147:148], v[147:148], -v[171:172]
	ds_read2_b64 v[171:174], v253 offset0:12 offset1:13
	s_waitcnt lgkmcnt(0)
	v_mul_f64 v[161:162], v[173:174], v[163:164]
	v_fma_f64 v[161:162], v[171:172], v[169:170], -v[161:162]
	v_mul_f64 v[171:172], v[171:172], v[163:164]
	v_add_f64 v[141:142], v[141:142], -v[161:162]
	v_fma_f64 v[171:172], v[173:174], v[169:170], v[171:172]
	v_add_f64 v[143:144], v[143:144], -v[171:172]
	ds_read2_b64 v[171:174], v253 offset0:14 offset1:15
	s_waitcnt lgkmcnt(0)
	v_mul_f64 v[161:162], v[173:174], v[163:164]
	v_fma_f64 v[161:162], v[171:172], v[169:170], -v[161:162]
	v_mul_f64 v[171:172], v[171:172], v[163:164]
	v_add_f64 v[137:138], v[137:138], -v[161:162]
	v_fma_f64 v[171:172], v[173:174], v[169:170], v[171:172]
	v_add_f64 v[139:140], v[139:140], -v[171:172]
	ds_read2_b64 v[171:174], v253 offset0:16 offset1:17
	s_waitcnt lgkmcnt(0)
	v_mul_f64 v[161:162], v[173:174], v[163:164]
	v_fma_f64 v[161:162], v[171:172], v[169:170], -v[161:162]
	v_mul_f64 v[171:172], v[171:172], v[163:164]
	v_add_f64 v[133:134], v[133:134], -v[161:162]
	v_fma_f64 v[171:172], v[173:174], v[169:170], v[171:172]
	v_add_f64 v[135:136], v[135:136], -v[171:172]
	ds_read2_b64 v[171:174], v253 offset0:18 offset1:19
	s_waitcnt lgkmcnt(0)
	v_mul_f64 v[161:162], v[173:174], v[163:164]
	v_fma_f64 v[161:162], v[171:172], v[169:170], -v[161:162]
	v_mul_f64 v[171:172], v[171:172], v[163:164]
	v_add_f64 v[129:130], v[129:130], -v[161:162]
	v_fma_f64 v[171:172], v[173:174], v[169:170], v[171:172]
	v_add_f64 v[131:132], v[131:132], -v[171:172]
	ds_read2_b64 v[171:174], v253 offset0:20 offset1:21
	s_waitcnt lgkmcnt(0)
	v_mul_f64 v[161:162], v[173:174], v[163:164]
	v_fma_f64 v[161:162], v[171:172], v[169:170], -v[161:162]
	v_mul_f64 v[171:172], v[171:172], v[163:164]
	v_add_f64 v[125:126], v[125:126], -v[161:162]
	v_fma_f64 v[171:172], v[173:174], v[169:170], v[171:172]
	v_add_f64 v[127:128], v[127:128], -v[171:172]
	ds_read2_b64 v[171:174], v253 offset0:22 offset1:23
	s_waitcnt lgkmcnt(0)
	v_mul_f64 v[161:162], v[173:174], v[163:164]
	v_fma_f64 v[161:162], v[171:172], v[169:170], -v[161:162]
	v_mul_f64 v[171:172], v[171:172], v[163:164]
	v_add_f64 v[121:122], v[121:122], -v[161:162]
	v_fma_f64 v[171:172], v[173:174], v[169:170], v[171:172]
	v_add_f64 v[123:124], v[123:124], -v[171:172]
	ds_read2_b64 v[171:174], v253 offset0:24 offset1:25
	s_waitcnt lgkmcnt(0)
	v_mul_f64 v[161:162], v[173:174], v[163:164]
	v_fma_f64 v[161:162], v[171:172], v[169:170], -v[161:162]
	v_mul_f64 v[171:172], v[171:172], v[163:164]
	v_add_f64 v[117:118], v[117:118], -v[161:162]
	v_fma_f64 v[171:172], v[173:174], v[169:170], v[171:172]
	v_add_f64 v[119:120], v[119:120], -v[171:172]
	ds_read2_b64 v[171:174], v253 offset0:26 offset1:27
	s_waitcnt lgkmcnt(0)
	v_mul_f64 v[161:162], v[173:174], v[163:164]
	v_fma_f64 v[161:162], v[171:172], v[169:170], -v[161:162]
	v_mul_f64 v[171:172], v[171:172], v[163:164]
	v_add_f64 v[113:114], v[113:114], -v[161:162]
	v_fma_f64 v[171:172], v[173:174], v[169:170], v[171:172]
	v_add_f64 v[115:116], v[115:116], -v[171:172]
	ds_read2_b64 v[171:174], v253 offset0:28 offset1:29
	s_waitcnt lgkmcnt(0)
	v_mul_f64 v[161:162], v[173:174], v[163:164]
	v_fma_f64 v[161:162], v[171:172], v[169:170], -v[161:162]
	v_mul_f64 v[171:172], v[171:172], v[163:164]
	v_add_f64 v[109:110], v[109:110], -v[161:162]
	v_fma_f64 v[171:172], v[173:174], v[169:170], v[171:172]
	v_add_f64 v[111:112], v[111:112], -v[171:172]
	ds_read2_b64 v[171:174], v253 offset0:30 offset1:31
	s_waitcnt lgkmcnt(0)
	v_mul_f64 v[161:162], v[173:174], v[163:164]
	v_fma_f64 v[161:162], v[171:172], v[169:170], -v[161:162]
	v_mul_f64 v[171:172], v[171:172], v[163:164]
	v_add_f64 v[105:106], v[105:106], -v[161:162]
	v_fma_f64 v[171:172], v[173:174], v[169:170], v[171:172]
	v_add_f64 v[107:108], v[107:108], -v[171:172]
	ds_read2_b64 v[171:174], v253 offset0:32 offset1:33
	s_waitcnt lgkmcnt(0)
	v_mul_f64 v[161:162], v[173:174], v[163:164]
	v_fma_f64 v[161:162], v[171:172], v[169:170], -v[161:162]
	v_mul_f64 v[171:172], v[171:172], v[163:164]
	v_add_f64 v[101:102], v[101:102], -v[161:162]
	v_fma_f64 v[171:172], v[173:174], v[169:170], v[171:172]
	v_add_f64 v[103:104], v[103:104], -v[171:172]
	ds_read2_b64 v[171:174], v253 offset0:34 offset1:35
	s_waitcnt lgkmcnt(0)
	v_mul_f64 v[161:162], v[173:174], v[163:164]
	v_fma_f64 v[161:162], v[171:172], v[169:170], -v[161:162]
	v_mul_f64 v[171:172], v[171:172], v[163:164]
	v_add_f64 v[97:98], v[97:98], -v[161:162]
	v_fma_f64 v[171:172], v[173:174], v[169:170], v[171:172]
	v_add_f64 v[99:100], v[99:100], -v[171:172]
	ds_read2_b64 v[171:174], v253 offset0:36 offset1:37
	s_waitcnt lgkmcnt(0)
	v_mul_f64 v[161:162], v[173:174], v[163:164]
	v_fma_f64 v[161:162], v[171:172], v[169:170], -v[161:162]
	v_mul_f64 v[171:172], v[171:172], v[163:164]
	v_add_f64 v[93:94], v[93:94], -v[161:162]
	v_fma_f64 v[171:172], v[173:174], v[169:170], v[171:172]
	v_add_f64 v[95:96], v[95:96], -v[171:172]
	ds_read2_b64 v[171:174], v253 offset0:38 offset1:39
	s_waitcnt lgkmcnt(0)
	v_mul_f64 v[161:162], v[173:174], v[163:164]
	v_fma_f64 v[161:162], v[171:172], v[169:170], -v[161:162]
	v_mul_f64 v[171:172], v[171:172], v[163:164]
	v_add_f64 v[89:90], v[89:90], -v[161:162]
	v_fma_f64 v[171:172], v[173:174], v[169:170], v[171:172]
	v_add_f64 v[91:92], v[91:92], -v[171:172]
	ds_read2_b64 v[171:174], v253 offset0:40 offset1:41
	s_waitcnt lgkmcnt(0)
	v_mul_f64 v[161:162], v[173:174], v[163:164]
	v_fma_f64 v[161:162], v[171:172], v[169:170], -v[161:162]
	v_mul_f64 v[171:172], v[171:172], v[163:164]
	v_add_f64 v[85:86], v[85:86], -v[161:162]
	v_fma_f64 v[171:172], v[173:174], v[169:170], v[171:172]
	v_add_f64 v[87:88], v[87:88], -v[171:172]
	ds_read2_b64 v[171:174], v253 offset0:42 offset1:43
	s_waitcnt lgkmcnt(0)
	v_mul_f64 v[161:162], v[173:174], v[163:164]
	v_fma_f64 v[161:162], v[171:172], v[169:170], -v[161:162]
	v_mul_f64 v[171:172], v[171:172], v[163:164]
	v_add_f64 v[81:82], v[81:82], -v[161:162]
	v_fma_f64 v[171:172], v[173:174], v[169:170], v[171:172]
	v_add_f64 v[83:84], v[83:84], -v[171:172]
	ds_read2_b64 v[171:174], v253 offset0:44 offset1:45
	s_waitcnt lgkmcnt(0)
	v_mul_f64 v[161:162], v[173:174], v[163:164]
	v_fma_f64 v[161:162], v[171:172], v[169:170], -v[161:162]
	v_mul_f64 v[171:172], v[171:172], v[163:164]
	v_add_f64 v[77:78], v[77:78], -v[161:162]
	v_fma_f64 v[171:172], v[173:174], v[169:170], v[171:172]
	v_add_f64 v[79:80], v[79:80], -v[171:172]
	ds_read2_b64 v[171:174], v253 offset0:46 offset1:47
	s_waitcnt lgkmcnt(0)
	v_mul_f64 v[161:162], v[173:174], v[163:164]
	v_fma_f64 v[161:162], v[171:172], v[169:170], -v[161:162]
	v_mul_f64 v[171:172], v[171:172], v[163:164]
	v_add_f64 v[73:74], v[73:74], -v[161:162]
	v_fma_f64 v[171:172], v[173:174], v[169:170], v[171:172]
	v_add_f64 v[75:76], v[75:76], -v[171:172]
	ds_read2_b64 v[171:174], v253 offset0:48 offset1:49
	s_waitcnt lgkmcnt(0)
	v_mul_f64 v[161:162], v[173:174], v[163:164]
	v_fma_f64 v[161:162], v[171:172], v[169:170], -v[161:162]
	v_mul_f64 v[171:172], v[171:172], v[163:164]
	v_add_f64 v[69:70], v[69:70], -v[161:162]
	v_fma_f64 v[171:172], v[173:174], v[169:170], v[171:172]
	v_add_f64 v[71:72], v[71:72], -v[171:172]
	ds_read2_b64 v[171:174], v253 offset0:50 offset1:51
	s_waitcnt lgkmcnt(0)
	v_mul_f64 v[161:162], v[173:174], v[163:164]
	v_fma_f64 v[161:162], v[171:172], v[169:170], -v[161:162]
	v_mul_f64 v[171:172], v[171:172], v[163:164]
	v_add_f64 v[65:66], v[65:66], -v[161:162]
	v_fma_f64 v[171:172], v[173:174], v[169:170], v[171:172]
	v_add_f64 v[67:68], v[67:68], -v[171:172]
	ds_read2_b64 v[171:174], v253 offset0:52 offset1:53
	s_waitcnt lgkmcnt(0)
	v_mul_f64 v[161:162], v[173:174], v[163:164]
	v_fma_f64 v[161:162], v[171:172], v[169:170], -v[161:162]
	v_mul_f64 v[171:172], v[171:172], v[163:164]
	v_add_f64 v[61:62], v[61:62], -v[161:162]
	v_fma_f64 v[171:172], v[173:174], v[169:170], v[171:172]
	v_add_f64 v[63:64], v[63:64], -v[171:172]
	ds_read2_b64 v[171:174], v253 offset0:54 offset1:55
	s_waitcnt lgkmcnt(0)
	v_mul_f64 v[161:162], v[173:174], v[163:164]
	v_fma_f64 v[161:162], v[171:172], v[169:170], -v[161:162]
	v_mul_f64 v[171:172], v[171:172], v[163:164]
	v_add_f64 v[57:58], v[57:58], -v[161:162]
	v_fma_f64 v[171:172], v[173:174], v[169:170], v[171:172]
	v_add_f64 v[59:60], v[59:60], -v[171:172]
	ds_read2_b64 v[171:174], v253 offset0:56 offset1:57
	s_waitcnt lgkmcnt(0)
	v_mul_f64 v[161:162], v[173:174], v[163:164]
	v_fma_f64 v[161:162], v[171:172], v[169:170], -v[161:162]
	v_mul_f64 v[171:172], v[171:172], v[163:164]
	v_add_f64 v[53:54], v[53:54], -v[161:162]
	v_fma_f64 v[171:172], v[173:174], v[169:170], v[171:172]
	v_add_f64 v[55:56], v[55:56], -v[171:172]
	ds_read2_b64 v[171:174], v253 offset0:58 offset1:59
	s_waitcnt lgkmcnt(0)
	v_mul_f64 v[161:162], v[173:174], v[163:164]
	v_fma_f64 v[161:162], v[171:172], v[169:170], -v[161:162]
	v_mul_f64 v[171:172], v[171:172], v[163:164]
	v_add_f64 v[49:50], v[49:50], -v[161:162]
	v_fma_f64 v[171:172], v[173:174], v[169:170], v[171:172]
	v_add_f64 v[51:52], v[51:52], -v[171:172]
	ds_read2_b64 v[171:174], v253 offset0:60 offset1:61
	s_waitcnt lgkmcnt(0)
	v_mul_f64 v[161:162], v[173:174], v[163:164]
	v_fma_f64 v[161:162], v[171:172], v[169:170], -v[161:162]
	v_mul_f64 v[171:172], v[171:172], v[163:164]
	v_add_f64 v[45:46], v[45:46], -v[161:162]
	v_fma_f64 v[171:172], v[173:174], v[169:170], v[171:172]
	v_add_f64 v[47:48], v[47:48], -v[171:172]
	ds_read2_b64 v[171:174], v253 offset0:62 offset1:63
	s_waitcnt lgkmcnt(0)
	v_mul_f64 v[161:162], v[173:174], v[163:164]
	v_fma_f64 v[161:162], v[171:172], v[169:170], -v[161:162]
	v_mul_f64 v[171:172], v[171:172], v[163:164]
	v_add_f64 v[41:42], v[41:42], -v[161:162]
	v_fma_f64 v[171:172], v[173:174], v[169:170], v[171:172]
	v_add_f64 v[43:44], v[43:44], -v[171:172]
	ds_read2_b64 v[171:174], v253 offset0:64 offset1:65
	s_waitcnt lgkmcnt(0)
	v_mul_f64 v[161:162], v[173:174], v[163:164]
	v_fma_f64 v[161:162], v[171:172], v[169:170], -v[161:162]
	v_mul_f64 v[171:172], v[171:172], v[163:164]
	v_add_f64 v[37:38], v[37:38], -v[161:162]
	v_fma_f64 v[171:172], v[173:174], v[169:170], v[171:172]
	v_add_f64 v[39:40], v[39:40], -v[171:172]
	ds_read2_b64 v[171:174], v253 offset0:66 offset1:67
	s_waitcnt lgkmcnt(0)
	v_mul_f64 v[161:162], v[173:174], v[163:164]
	v_fma_f64 v[161:162], v[171:172], v[169:170], -v[161:162]
	v_mul_f64 v[171:172], v[171:172], v[163:164]
	v_add_f64 v[33:34], v[33:34], -v[161:162]
	v_fma_f64 v[171:172], v[173:174], v[169:170], v[171:172]
	v_add_f64 v[35:36], v[35:36], -v[171:172]
	ds_read2_b64 v[171:174], v253 offset0:68 offset1:69
	s_waitcnt lgkmcnt(0)
	v_mul_f64 v[161:162], v[173:174], v[163:164]
	v_fma_f64 v[161:162], v[171:172], v[169:170], -v[161:162]
	v_mul_f64 v[171:172], v[171:172], v[163:164]
	v_add_f64 v[29:30], v[29:30], -v[161:162]
	v_fma_f64 v[171:172], v[173:174], v[169:170], v[171:172]
	v_add_f64 v[31:32], v[31:32], -v[171:172]
	ds_read2_b64 v[171:174], v253 offset0:70 offset1:71
	s_waitcnt lgkmcnt(0)
	v_mul_f64 v[161:162], v[173:174], v[163:164]
	v_fma_f64 v[161:162], v[171:172], v[169:170], -v[161:162]
	v_mul_f64 v[171:172], v[171:172], v[163:164]
	v_add_f64 v[25:26], v[25:26], -v[161:162]
	v_fma_f64 v[171:172], v[173:174], v[169:170], v[171:172]
	v_add_f64 v[27:28], v[27:28], -v[171:172]
	ds_read2_b64 v[171:174], v253 offset0:72 offset1:73
	s_waitcnt lgkmcnt(0)
	v_mul_f64 v[161:162], v[173:174], v[163:164]
	v_fma_f64 v[161:162], v[171:172], v[169:170], -v[161:162]
	v_mul_f64 v[171:172], v[171:172], v[163:164]
	v_add_f64 v[21:22], v[21:22], -v[161:162]
	v_fma_f64 v[171:172], v[173:174], v[169:170], v[171:172]
	v_add_f64 v[23:24], v[23:24], -v[171:172]
	ds_read2_b64 v[171:174], v253 offset0:74 offset1:75
	s_waitcnt lgkmcnt(0)
	v_mul_f64 v[161:162], v[173:174], v[163:164]
	v_fma_f64 v[161:162], v[171:172], v[169:170], -v[161:162]
	v_mul_f64 v[171:172], v[171:172], v[163:164]
	v_add_f64 v[17:18], v[17:18], -v[161:162]
	v_fma_f64 v[171:172], v[173:174], v[169:170], v[171:172]
	v_add_f64 v[19:20], v[19:20], -v[171:172]
	ds_read2_b64 v[171:174], v253 offset0:76 offset1:77
	s_waitcnt lgkmcnt(0)
	v_mul_f64 v[161:162], v[173:174], v[163:164]
	v_fma_f64 v[161:162], v[171:172], v[169:170], -v[161:162]
	v_mul_f64 v[171:172], v[171:172], v[163:164]
	v_add_f64 v[13:14], v[13:14], -v[161:162]
	v_fma_f64 v[171:172], v[173:174], v[169:170], v[171:172]
	v_add_f64 v[15:16], v[15:16], -v[171:172]
	ds_read2_b64 v[171:174], v253 offset0:78 offset1:79
	s_waitcnt lgkmcnt(0)
	v_mul_f64 v[161:162], v[173:174], v[163:164]
	v_fma_f64 v[161:162], v[171:172], v[169:170], -v[161:162]
	v_mul_f64 v[171:172], v[171:172], v[163:164]
	v_add_f64 v[9:10], v[9:10], -v[161:162]
	v_fma_f64 v[171:172], v[173:174], v[169:170], v[171:172]
	v_add_f64 v[11:12], v[11:12], -v[171:172]
	ds_read2_b64 v[171:174], v253 offset0:80 offset1:81
	s_waitcnt lgkmcnt(0)
	v_mul_f64 v[161:162], v[173:174], v[163:164]
	v_fma_f64 v[161:162], v[171:172], v[169:170], -v[161:162]
	v_mul_f64 v[171:172], v[171:172], v[163:164]
	v_add_f64 v[5:6], v[5:6], -v[161:162]
	v_fma_f64 v[171:172], v[173:174], v[169:170], v[171:172]
	v_add_f64 v[7:8], v[7:8], -v[171:172]
	ds_read2_b64 v[171:174], v253 offset0:82 offset1:83
	s_waitcnt lgkmcnt(0)
	v_mul_f64 v[161:162], v[173:174], v[163:164]
	v_fma_f64 v[161:162], v[171:172], v[169:170], -v[161:162]
	v_mul_f64 v[171:172], v[171:172], v[163:164]
	v_add_f64 v[1:2], v[1:2], -v[161:162]
	v_fma_f64 v[171:172], v[173:174], v[169:170], v[171:172]
	v_mov_b32_e32 v161, v169
	v_mov_b32_e32 v162, v170
	buffer_store_dword v161, off, s[16:19], 0 ; 4-byte Folded Spill
	buffer_store_dword v162, off, s[16:19], 0 offset:4 ; 4-byte Folded Spill
	buffer_store_dword v163, off, s[16:19], 0 offset:8 ; 4-byte Folded Spill
	;; [unrolled: 1-line block ×3, first 2 shown]
	v_add_f64 v[3:4], v[3:4], -v[171:172]
.LBB83_19:
	s_or_b32 exec_lo, exec_lo, s1
	s_mov_b32 s2, exec_lo
	s_waitcnt_vscnt null, 0x0
	s_barrier
	buffer_gl0_inv
	v_cmpx_eq_u32_e32 2, v0
	s_cbranch_execz .LBB83_26
; %bb.20:
	ds_write2_b64 v255, v[157:158], v[159:160] offset1:1
	ds_write2_b64 v253, v[153:154], v[155:156] offset0:6 offset1:7
	ds_write2_b64 v253, v[149:150], v[151:152] offset0:8 offset1:9
	;; [unrolled: 1-line block ×39, first 2 shown]
	ds_read2_b64 v[169:172], v255 offset1:1
	s_waitcnt lgkmcnt(0)
	v_cmp_neq_f64_e32 vcc_lo, 0, v[169:170]
	v_cmp_neq_f64_e64 s1, 0, v[171:172]
	s_or_b32 s1, vcc_lo, s1
	s_and_b32 exec_lo, exec_lo, s1
	s_cbranch_execz .LBB83_26
; %bb.21:
	v_cmp_ngt_f64_e64 s1, |v[169:170]|, |v[171:172]|
                                        ; implicit-def: $vgpr173_vgpr174
	s_and_saveexec_b32 s3, s1
	s_xor_b32 s1, exec_lo, s3
                                        ; implicit-def: $vgpr175_vgpr176
	s_cbranch_execz .LBB83_23
; %bb.22:
	v_div_scale_f64 v[173:174], null, v[171:172], v[171:172], v[169:170]
	v_div_scale_f64 v[179:180], vcc_lo, v[169:170], v[171:172], v[169:170]
	v_rcp_f64_e32 v[175:176], v[173:174]
	v_fma_f64 v[177:178], -v[173:174], v[175:176], 1.0
	v_fma_f64 v[175:176], v[175:176], v[177:178], v[175:176]
	v_fma_f64 v[177:178], -v[173:174], v[175:176], 1.0
	v_fma_f64 v[175:176], v[175:176], v[177:178], v[175:176]
	v_mul_f64 v[177:178], v[179:180], v[175:176]
	v_fma_f64 v[173:174], -v[173:174], v[177:178], v[179:180]
	v_div_fmas_f64 v[173:174], v[173:174], v[175:176], v[177:178]
	v_div_fixup_f64 v[173:174], v[173:174], v[171:172], v[169:170]
	v_fma_f64 v[169:170], v[169:170], v[173:174], v[171:172]
	v_div_scale_f64 v[171:172], null, v[169:170], v[169:170], 1.0
	v_rcp_f64_e32 v[175:176], v[171:172]
	v_fma_f64 v[177:178], -v[171:172], v[175:176], 1.0
	v_fma_f64 v[175:176], v[175:176], v[177:178], v[175:176]
	v_fma_f64 v[177:178], -v[171:172], v[175:176], 1.0
	v_fma_f64 v[175:176], v[175:176], v[177:178], v[175:176]
	v_div_scale_f64 v[177:178], vcc_lo, 1.0, v[169:170], 1.0
	v_mul_f64 v[179:180], v[177:178], v[175:176]
	v_fma_f64 v[171:172], -v[171:172], v[179:180], v[177:178]
	v_div_fmas_f64 v[171:172], v[171:172], v[175:176], v[179:180]
	v_div_fixup_f64 v[175:176], v[171:172], v[169:170], 1.0
                                        ; implicit-def: $vgpr169_vgpr170
	v_mul_f64 v[173:174], v[173:174], v[175:176]
	v_xor_b32_e32 v176, 0x80000000, v176
.LBB83_23:
	s_andn2_saveexec_b32 s1, s1
	s_cbranch_execz .LBB83_25
; %bb.24:
	v_div_scale_f64 v[173:174], null, v[169:170], v[169:170], v[171:172]
	v_div_scale_f64 v[179:180], vcc_lo, v[171:172], v[169:170], v[171:172]
	v_rcp_f64_e32 v[175:176], v[173:174]
	v_fma_f64 v[177:178], -v[173:174], v[175:176], 1.0
	v_fma_f64 v[175:176], v[175:176], v[177:178], v[175:176]
	v_fma_f64 v[177:178], -v[173:174], v[175:176], 1.0
	v_fma_f64 v[175:176], v[175:176], v[177:178], v[175:176]
	v_mul_f64 v[177:178], v[179:180], v[175:176]
	v_fma_f64 v[173:174], -v[173:174], v[177:178], v[179:180]
	v_div_fmas_f64 v[173:174], v[173:174], v[175:176], v[177:178]
	v_div_fixup_f64 v[175:176], v[173:174], v[169:170], v[171:172]
	v_fma_f64 v[169:170], v[171:172], v[175:176], v[169:170]
	v_div_scale_f64 v[171:172], null, v[169:170], v[169:170], 1.0
	v_rcp_f64_e32 v[173:174], v[171:172]
	v_fma_f64 v[177:178], -v[171:172], v[173:174], 1.0
	v_fma_f64 v[173:174], v[173:174], v[177:178], v[173:174]
	v_fma_f64 v[177:178], -v[171:172], v[173:174], 1.0
	v_fma_f64 v[173:174], v[173:174], v[177:178], v[173:174]
	v_div_scale_f64 v[177:178], vcc_lo, 1.0, v[169:170], 1.0
	v_mul_f64 v[179:180], v[177:178], v[173:174]
	v_fma_f64 v[171:172], -v[171:172], v[179:180], v[177:178]
	v_div_fmas_f64 v[171:172], v[171:172], v[173:174], v[179:180]
	v_div_fixup_f64 v[173:174], v[171:172], v[169:170], 1.0
	v_mul_f64 v[175:176], v[175:176], -v[173:174]
.LBB83_25:
	s_or_b32 exec_lo, exec_lo, s1
	ds_write2_b64 v255, v[173:174], v[175:176] offset1:1
.LBB83_26:
	s_or_b32 exec_lo, exec_lo, s2
	s_waitcnt lgkmcnt(0)
	s_barrier
	buffer_gl0_inv
	ds_read2_b64 v[169:172], v255 offset1:1
	s_mov_b32 s1, exec_lo
	s_waitcnt lgkmcnt(0)
	buffer_store_dword v169, off, s[16:19], 0 offset:400 ; 4-byte Folded Spill
	buffer_store_dword v170, off, s[16:19], 0 offset:404 ; 4-byte Folded Spill
	;; [unrolled: 1-line block ×4, first 2 shown]
	v_cmpx_lt_u32_e32 2, v0
	s_cbranch_execz .LBB83_28
; %bb.27:
	s_clause 0x3
	buffer_load_dword v171, off, s[16:19], 0 offset:400
	buffer_load_dword v172, off, s[16:19], 0 offset:404
	buffer_load_dword v173, off, s[16:19], 0 offset:408
	buffer_load_dword v174, off, s[16:19], 0 offset:412
	s_waitcnt vmcnt(0)
	v_mul_f64 v[169:170], v[173:174], v[159:160]
	v_mul_f64 v[159:160], v[171:172], v[159:160]
	v_fma_f64 v[169:170], v[171:172], v[157:158], -v[169:170]
	v_fma_f64 v[159:160], v[173:174], v[157:158], v[159:160]
	ds_read2_b64 v[171:174], v253 offset0:6 offset1:7
	s_waitcnt lgkmcnt(0)
	v_mul_f64 v[157:158], v[173:174], v[159:160]
	v_fma_f64 v[157:158], v[171:172], v[169:170], -v[157:158]
	v_mul_f64 v[171:172], v[171:172], v[159:160]
	v_add_f64 v[153:154], v[153:154], -v[157:158]
	v_fma_f64 v[171:172], v[173:174], v[169:170], v[171:172]
	v_add_f64 v[155:156], v[155:156], -v[171:172]
	ds_read2_b64 v[171:174], v253 offset0:8 offset1:9
	s_waitcnt lgkmcnt(0)
	v_mul_f64 v[157:158], v[173:174], v[159:160]
	v_fma_f64 v[157:158], v[171:172], v[169:170], -v[157:158]
	v_mul_f64 v[171:172], v[171:172], v[159:160]
	v_add_f64 v[149:150], v[149:150], -v[157:158]
	v_fma_f64 v[171:172], v[173:174], v[169:170], v[171:172]
	v_add_f64 v[151:152], v[151:152], -v[171:172]
	;; [unrolled: 8-line block ×38, first 2 shown]
	ds_read2_b64 v[171:174], v253 offset0:82 offset1:83
	s_waitcnt lgkmcnt(0)
	v_mul_f64 v[157:158], v[173:174], v[159:160]
	v_fma_f64 v[157:158], v[171:172], v[169:170], -v[157:158]
	v_mul_f64 v[171:172], v[171:172], v[159:160]
	v_add_f64 v[1:2], v[1:2], -v[157:158]
	v_fma_f64 v[171:172], v[173:174], v[169:170], v[171:172]
	v_mov_b32_e32 v157, v169
	v_mov_b32_e32 v158, v170
	v_add_f64 v[3:4], v[3:4], -v[171:172]
.LBB83_28:
	s_or_b32 exec_lo, exec_lo, s1
	s_mov_b32 s2, exec_lo
	s_waitcnt_vscnt null, 0x0
	s_barrier
	buffer_gl0_inv
	v_cmpx_eq_u32_e32 3, v0
	s_cbranch_execz .LBB83_35
; %bb.29:
	ds_write2_b64 v255, v[153:154], v[155:156] offset1:1
	ds_write2_b64 v253, v[149:150], v[151:152] offset0:8 offset1:9
	ds_write2_b64 v253, v[145:146], v[147:148] offset0:10 offset1:11
	ds_write2_b64 v253, v[141:142], v[143:144] offset0:12 offset1:13
	ds_write2_b64 v253, v[137:138], v[139:140] offset0:14 offset1:15
	ds_write2_b64 v253, v[133:134], v[135:136] offset0:16 offset1:17
	ds_write2_b64 v253, v[129:130], v[131:132] offset0:18 offset1:19
	ds_write2_b64 v253, v[125:126], v[127:128] offset0:20 offset1:21
	ds_write2_b64 v253, v[121:122], v[123:124] offset0:22 offset1:23
	ds_write2_b64 v253, v[117:118], v[119:120] offset0:24 offset1:25
	ds_write2_b64 v253, v[113:114], v[115:116] offset0:26 offset1:27
	ds_write2_b64 v253, v[109:110], v[111:112] offset0:28 offset1:29
	ds_write2_b64 v253, v[105:106], v[107:108] offset0:30 offset1:31
	ds_write2_b64 v253, v[101:102], v[103:104] offset0:32 offset1:33
	ds_write2_b64 v253, v[97:98], v[99:100] offset0:34 offset1:35
	ds_write2_b64 v253, v[93:94], v[95:96] offset0:36 offset1:37
	ds_write2_b64 v253, v[89:90], v[91:92] offset0:38 offset1:39
	ds_write2_b64 v253, v[85:86], v[87:88] offset0:40 offset1:41
	ds_write2_b64 v253, v[81:82], v[83:84] offset0:42 offset1:43
	ds_write2_b64 v253, v[77:78], v[79:80] offset0:44 offset1:45
	ds_write2_b64 v253, v[73:74], v[75:76] offset0:46 offset1:47
	ds_write2_b64 v253, v[69:70], v[71:72] offset0:48 offset1:49
	ds_write2_b64 v253, v[65:66], v[67:68] offset0:50 offset1:51
	ds_write2_b64 v253, v[61:62], v[63:64] offset0:52 offset1:53
	ds_write2_b64 v253, v[57:58], v[59:60] offset0:54 offset1:55
	ds_write2_b64 v253, v[53:54], v[55:56] offset0:56 offset1:57
	ds_write2_b64 v253, v[49:50], v[51:52] offset0:58 offset1:59
	ds_write2_b64 v253, v[45:46], v[47:48] offset0:60 offset1:61
	ds_write2_b64 v253, v[41:42], v[43:44] offset0:62 offset1:63
	ds_write2_b64 v253, v[37:38], v[39:40] offset0:64 offset1:65
	ds_write2_b64 v253, v[33:34], v[35:36] offset0:66 offset1:67
	ds_write2_b64 v253, v[29:30], v[31:32] offset0:68 offset1:69
	ds_write2_b64 v253, v[25:26], v[27:28] offset0:70 offset1:71
	ds_write2_b64 v253, v[21:22], v[23:24] offset0:72 offset1:73
	ds_write2_b64 v253, v[17:18], v[19:20] offset0:74 offset1:75
	ds_write2_b64 v253, v[13:14], v[15:16] offset0:76 offset1:77
	ds_write2_b64 v253, v[9:10], v[11:12] offset0:78 offset1:79
	ds_write2_b64 v253, v[5:6], v[7:8] offset0:80 offset1:81
	ds_write2_b64 v253, v[1:2], v[3:4] offset0:82 offset1:83
	ds_read2_b64 v[169:172], v255 offset1:1
	s_waitcnt lgkmcnt(0)
	v_cmp_neq_f64_e32 vcc_lo, 0, v[169:170]
	v_cmp_neq_f64_e64 s1, 0, v[171:172]
	s_or_b32 s1, vcc_lo, s1
	s_and_b32 exec_lo, exec_lo, s1
	s_cbranch_execz .LBB83_35
; %bb.30:
	v_cmp_ngt_f64_e64 s1, |v[169:170]|, |v[171:172]|
                                        ; implicit-def: $vgpr173_vgpr174
	s_and_saveexec_b32 s3, s1
	s_xor_b32 s1, exec_lo, s3
                                        ; implicit-def: $vgpr175_vgpr176
	s_cbranch_execz .LBB83_32
; %bb.31:
	v_div_scale_f64 v[173:174], null, v[171:172], v[171:172], v[169:170]
	v_div_scale_f64 v[179:180], vcc_lo, v[169:170], v[171:172], v[169:170]
	v_rcp_f64_e32 v[175:176], v[173:174]
	v_fma_f64 v[177:178], -v[173:174], v[175:176], 1.0
	v_fma_f64 v[175:176], v[175:176], v[177:178], v[175:176]
	v_fma_f64 v[177:178], -v[173:174], v[175:176], 1.0
	v_fma_f64 v[175:176], v[175:176], v[177:178], v[175:176]
	v_mul_f64 v[177:178], v[179:180], v[175:176]
	v_fma_f64 v[173:174], -v[173:174], v[177:178], v[179:180]
	v_div_fmas_f64 v[173:174], v[173:174], v[175:176], v[177:178]
	v_div_fixup_f64 v[173:174], v[173:174], v[171:172], v[169:170]
	v_fma_f64 v[169:170], v[169:170], v[173:174], v[171:172]
	v_div_scale_f64 v[171:172], null, v[169:170], v[169:170], 1.0
	v_rcp_f64_e32 v[175:176], v[171:172]
	v_fma_f64 v[177:178], -v[171:172], v[175:176], 1.0
	v_fma_f64 v[175:176], v[175:176], v[177:178], v[175:176]
	v_fma_f64 v[177:178], -v[171:172], v[175:176], 1.0
	v_fma_f64 v[175:176], v[175:176], v[177:178], v[175:176]
	v_div_scale_f64 v[177:178], vcc_lo, 1.0, v[169:170], 1.0
	v_mul_f64 v[179:180], v[177:178], v[175:176]
	v_fma_f64 v[171:172], -v[171:172], v[179:180], v[177:178]
	v_div_fmas_f64 v[171:172], v[171:172], v[175:176], v[179:180]
	v_div_fixup_f64 v[175:176], v[171:172], v[169:170], 1.0
                                        ; implicit-def: $vgpr169_vgpr170
	v_mul_f64 v[173:174], v[173:174], v[175:176]
	v_xor_b32_e32 v176, 0x80000000, v176
.LBB83_32:
	s_andn2_saveexec_b32 s1, s1
	s_cbranch_execz .LBB83_34
; %bb.33:
	v_div_scale_f64 v[173:174], null, v[169:170], v[169:170], v[171:172]
	v_div_scale_f64 v[179:180], vcc_lo, v[171:172], v[169:170], v[171:172]
	v_rcp_f64_e32 v[175:176], v[173:174]
	v_fma_f64 v[177:178], -v[173:174], v[175:176], 1.0
	v_fma_f64 v[175:176], v[175:176], v[177:178], v[175:176]
	v_fma_f64 v[177:178], -v[173:174], v[175:176], 1.0
	v_fma_f64 v[175:176], v[175:176], v[177:178], v[175:176]
	v_mul_f64 v[177:178], v[179:180], v[175:176]
	v_fma_f64 v[173:174], -v[173:174], v[177:178], v[179:180]
	v_div_fmas_f64 v[173:174], v[173:174], v[175:176], v[177:178]
	v_div_fixup_f64 v[175:176], v[173:174], v[169:170], v[171:172]
	v_fma_f64 v[169:170], v[171:172], v[175:176], v[169:170]
	v_div_scale_f64 v[171:172], null, v[169:170], v[169:170], 1.0
	v_rcp_f64_e32 v[173:174], v[171:172]
	v_fma_f64 v[177:178], -v[171:172], v[173:174], 1.0
	v_fma_f64 v[173:174], v[173:174], v[177:178], v[173:174]
	v_fma_f64 v[177:178], -v[171:172], v[173:174], 1.0
	v_fma_f64 v[173:174], v[173:174], v[177:178], v[173:174]
	v_div_scale_f64 v[177:178], vcc_lo, 1.0, v[169:170], 1.0
	v_mul_f64 v[179:180], v[177:178], v[173:174]
	v_fma_f64 v[171:172], -v[171:172], v[179:180], v[177:178]
	v_div_fmas_f64 v[171:172], v[171:172], v[173:174], v[179:180]
	v_div_fixup_f64 v[173:174], v[171:172], v[169:170], 1.0
	v_mul_f64 v[175:176], v[175:176], -v[173:174]
.LBB83_34:
	s_or_b32 exec_lo, exec_lo, s1
	ds_write2_b64 v255, v[173:174], v[175:176] offset1:1
.LBB83_35:
	s_or_b32 exec_lo, exec_lo, s2
	s_waitcnt lgkmcnt(0)
	s_barrier
	buffer_gl0_inv
	ds_read2_b64 v[169:172], v255 offset1:1
	s_mov_b32 s1, exec_lo
	s_waitcnt lgkmcnt(0)
	buffer_store_dword v169, off, s[16:19], 0 offset:416 ; 4-byte Folded Spill
	buffer_store_dword v170, off, s[16:19], 0 offset:420 ; 4-byte Folded Spill
	;; [unrolled: 1-line block ×4, first 2 shown]
	v_cmpx_lt_u32_e32 3, v0
	s_cbranch_execz .LBB83_37
; %bb.36:
	s_clause 0x3
	buffer_load_dword v171, off, s[16:19], 0 offset:416
	buffer_load_dword v172, off, s[16:19], 0 offset:420
	;; [unrolled: 1-line block ×4, first 2 shown]
	s_waitcnt vmcnt(0)
	v_mul_f64 v[169:170], v[173:174], v[155:156]
	v_mul_f64 v[155:156], v[171:172], v[155:156]
	v_fma_f64 v[169:170], v[171:172], v[153:154], -v[169:170]
	v_fma_f64 v[155:156], v[173:174], v[153:154], v[155:156]
	ds_read2_b64 v[171:174], v253 offset0:8 offset1:9
	s_waitcnt lgkmcnt(0)
	v_mul_f64 v[153:154], v[173:174], v[155:156]
	v_fma_f64 v[153:154], v[171:172], v[169:170], -v[153:154]
	v_mul_f64 v[171:172], v[171:172], v[155:156]
	v_add_f64 v[149:150], v[149:150], -v[153:154]
	v_fma_f64 v[171:172], v[173:174], v[169:170], v[171:172]
	v_add_f64 v[151:152], v[151:152], -v[171:172]
	ds_read2_b64 v[171:174], v253 offset0:10 offset1:11
	s_waitcnt lgkmcnt(0)
	v_mul_f64 v[153:154], v[173:174], v[155:156]
	v_fma_f64 v[153:154], v[171:172], v[169:170], -v[153:154]
	v_mul_f64 v[171:172], v[171:172], v[155:156]
	v_add_f64 v[145:146], v[145:146], -v[153:154]
	v_fma_f64 v[171:172], v[173:174], v[169:170], v[171:172]
	v_add_f64 v[147:148], v[147:148], -v[171:172]
	;; [unrolled: 8-line block ×37, first 2 shown]
	ds_read2_b64 v[171:174], v253 offset0:82 offset1:83
	s_waitcnt lgkmcnt(0)
	v_mul_f64 v[153:154], v[173:174], v[155:156]
	v_fma_f64 v[153:154], v[171:172], v[169:170], -v[153:154]
	v_mul_f64 v[171:172], v[171:172], v[155:156]
	v_add_f64 v[1:2], v[1:2], -v[153:154]
	v_fma_f64 v[171:172], v[173:174], v[169:170], v[171:172]
	v_mov_b32_e32 v153, v169
	v_mov_b32_e32 v154, v170
	v_add_f64 v[3:4], v[3:4], -v[171:172]
.LBB83_37:
	s_or_b32 exec_lo, exec_lo, s1
	s_mov_b32 s2, exec_lo
	s_waitcnt_vscnt null, 0x0
	s_barrier
	buffer_gl0_inv
	v_cmpx_eq_u32_e32 4, v0
	s_cbranch_execz .LBB83_44
; %bb.38:
	ds_write2_b64 v255, v[149:150], v[151:152] offset1:1
	ds_write2_b64 v253, v[145:146], v[147:148] offset0:10 offset1:11
	ds_write2_b64 v253, v[141:142], v[143:144] offset0:12 offset1:13
	;; [unrolled: 1-line block ×37, first 2 shown]
	ds_read2_b64 v[169:172], v255 offset1:1
	s_waitcnt lgkmcnt(0)
	v_cmp_neq_f64_e32 vcc_lo, 0, v[169:170]
	v_cmp_neq_f64_e64 s1, 0, v[171:172]
	s_or_b32 s1, vcc_lo, s1
	s_and_b32 exec_lo, exec_lo, s1
	s_cbranch_execz .LBB83_44
; %bb.39:
	v_cmp_ngt_f64_e64 s1, |v[169:170]|, |v[171:172]|
                                        ; implicit-def: $vgpr173_vgpr174
	s_and_saveexec_b32 s3, s1
	s_xor_b32 s1, exec_lo, s3
                                        ; implicit-def: $vgpr175_vgpr176
	s_cbranch_execz .LBB83_41
; %bb.40:
	v_div_scale_f64 v[173:174], null, v[171:172], v[171:172], v[169:170]
	v_div_scale_f64 v[179:180], vcc_lo, v[169:170], v[171:172], v[169:170]
	v_rcp_f64_e32 v[175:176], v[173:174]
	v_fma_f64 v[177:178], -v[173:174], v[175:176], 1.0
	v_fma_f64 v[175:176], v[175:176], v[177:178], v[175:176]
	v_fma_f64 v[177:178], -v[173:174], v[175:176], 1.0
	v_fma_f64 v[175:176], v[175:176], v[177:178], v[175:176]
	v_mul_f64 v[177:178], v[179:180], v[175:176]
	v_fma_f64 v[173:174], -v[173:174], v[177:178], v[179:180]
	v_div_fmas_f64 v[173:174], v[173:174], v[175:176], v[177:178]
	v_div_fixup_f64 v[173:174], v[173:174], v[171:172], v[169:170]
	v_fma_f64 v[169:170], v[169:170], v[173:174], v[171:172]
	v_div_scale_f64 v[171:172], null, v[169:170], v[169:170], 1.0
	v_rcp_f64_e32 v[175:176], v[171:172]
	v_fma_f64 v[177:178], -v[171:172], v[175:176], 1.0
	v_fma_f64 v[175:176], v[175:176], v[177:178], v[175:176]
	v_fma_f64 v[177:178], -v[171:172], v[175:176], 1.0
	v_fma_f64 v[175:176], v[175:176], v[177:178], v[175:176]
	v_div_scale_f64 v[177:178], vcc_lo, 1.0, v[169:170], 1.0
	v_mul_f64 v[179:180], v[177:178], v[175:176]
	v_fma_f64 v[171:172], -v[171:172], v[179:180], v[177:178]
	v_div_fmas_f64 v[171:172], v[171:172], v[175:176], v[179:180]
	v_div_fixup_f64 v[175:176], v[171:172], v[169:170], 1.0
                                        ; implicit-def: $vgpr169_vgpr170
	v_mul_f64 v[173:174], v[173:174], v[175:176]
	v_xor_b32_e32 v176, 0x80000000, v176
.LBB83_41:
	s_andn2_saveexec_b32 s1, s1
	s_cbranch_execz .LBB83_43
; %bb.42:
	v_div_scale_f64 v[173:174], null, v[169:170], v[169:170], v[171:172]
	v_div_scale_f64 v[179:180], vcc_lo, v[171:172], v[169:170], v[171:172]
	v_rcp_f64_e32 v[175:176], v[173:174]
	v_fma_f64 v[177:178], -v[173:174], v[175:176], 1.0
	v_fma_f64 v[175:176], v[175:176], v[177:178], v[175:176]
	v_fma_f64 v[177:178], -v[173:174], v[175:176], 1.0
	v_fma_f64 v[175:176], v[175:176], v[177:178], v[175:176]
	v_mul_f64 v[177:178], v[179:180], v[175:176]
	v_fma_f64 v[173:174], -v[173:174], v[177:178], v[179:180]
	v_div_fmas_f64 v[173:174], v[173:174], v[175:176], v[177:178]
	v_div_fixup_f64 v[175:176], v[173:174], v[169:170], v[171:172]
	v_fma_f64 v[169:170], v[171:172], v[175:176], v[169:170]
	v_div_scale_f64 v[171:172], null, v[169:170], v[169:170], 1.0
	v_rcp_f64_e32 v[173:174], v[171:172]
	v_fma_f64 v[177:178], -v[171:172], v[173:174], 1.0
	v_fma_f64 v[173:174], v[173:174], v[177:178], v[173:174]
	v_fma_f64 v[177:178], -v[171:172], v[173:174], 1.0
	v_fma_f64 v[173:174], v[173:174], v[177:178], v[173:174]
	v_div_scale_f64 v[177:178], vcc_lo, 1.0, v[169:170], 1.0
	v_mul_f64 v[179:180], v[177:178], v[173:174]
	v_fma_f64 v[171:172], -v[171:172], v[179:180], v[177:178]
	v_div_fmas_f64 v[171:172], v[171:172], v[173:174], v[179:180]
	v_div_fixup_f64 v[173:174], v[171:172], v[169:170], 1.0
	v_mul_f64 v[175:176], v[175:176], -v[173:174]
.LBB83_43:
	s_or_b32 exec_lo, exec_lo, s1
	ds_write2_b64 v255, v[173:174], v[175:176] offset1:1
.LBB83_44:
	s_or_b32 exec_lo, exec_lo, s2
	s_waitcnt lgkmcnt(0)
	s_barrier
	buffer_gl0_inv
	ds_read2_b64 v[169:172], v255 offset1:1
	s_mov_b32 s1, exec_lo
	s_waitcnt lgkmcnt(0)
	buffer_store_dword v169, off, s[16:19], 0 offset:432 ; 4-byte Folded Spill
	buffer_store_dword v170, off, s[16:19], 0 offset:436 ; 4-byte Folded Spill
	buffer_store_dword v171, off, s[16:19], 0 offset:440 ; 4-byte Folded Spill
	buffer_store_dword v172, off, s[16:19], 0 offset:444 ; 4-byte Folded Spill
	v_cmpx_lt_u32_e32 4, v0
	s_cbranch_execz .LBB83_46
; %bb.45:
	s_clause 0x3
	buffer_load_dword v171, off, s[16:19], 0 offset:432
	buffer_load_dword v172, off, s[16:19], 0 offset:436
	;; [unrolled: 1-line block ×4, first 2 shown]
	s_waitcnt vmcnt(0)
	v_mul_f64 v[169:170], v[173:174], v[151:152]
	v_mul_f64 v[151:152], v[171:172], v[151:152]
	v_fma_f64 v[169:170], v[171:172], v[149:150], -v[169:170]
	v_fma_f64 v[151:152], v[173:174], v[149:150], v[151:152]
	ds_read2_b64 v[171:174], v253 offset0:10 offset1:11
	s_waitcnt lgkmcnt(0)
	v_mul_f64 v[149:150], v[173:174], v[151:152]
	v_fma_f64 v[149:150], v[171:172], v[169:170], -v[149:150]
	v_mul_f64 v[171:172], v[171:172], v[151:152]
	v_add_f64 v[145:146], v[145:146], -v[149:150]
	v_fma_f64 v[171:172], v[173:174], v[169:170], v[171:172]
	v_add_f64 v[147:148], v[147:148], -v[171:172]
	ds_read2_b64 v[171:174], v253 offset0:12 offset1:13
	s_waitcnt lgkmcnt(0)
	v_mul_f64 v[149:150], v[173:174], v[151:152]
	v_fma_f64 v[149:150], v[171:172], v[169:170], -v[149:150]
	v_mul_f64 v[171:172], v[171:172], v[151:152]
	v_add_f64 v[141:142], v[141:142], -v[149:150]
	v_fma_f64 v[171:172], v[173:174], v[169:170], v[171:172]
	v_add_f64 v[143:144], v[143:144], -v[171:172]
	;; [unrolled: 8-line block ×36, first 2 shown]
	ds_read2_b64 v[171:174], v253 offset0:82 offset1:83
	s_waitcnt lgkmcnt(0)
	v_mul_f64 v[149:150], v[173:174], v[151:152]
	v_fma_f64 v[149:150], v[171:172], v[169:170], -v[149:150]
	v_mul_f64 v[171:172], v[171:172], v[151:152]
	v_add_f64 v[1:2], v[1:2], -v[149:150]
	v_fma_f64 v[171:172], v[173:174], v[169:170], v[171:172]
	v_mov_b32_e32 v149, v169
	v_mov_b32_e32 v150, v170
	v_add_f64 v[3:4], v[3:4], -v[171:172]
.LBB83_46:
	s_or_b32 exec_lo, exec_lo, s1
	s_mov_b32 s2, exec_lo
	s_waitcnt_vscnt null, 0x0
	s_barrier
	buffer_gl0_inv
	v_cmpx_eq_u32_e32 5, v0
	s_cbranch_execz .LBB83_53
; %bb.47:
	ds_write2_b64 v255, v[145:146], v[147:148] offset1:1
	ds_write2_b64 v253, v[141:142], v[143:144] offset0:12 offset1:13
	ds_write2_b64 v253, v[137:138], v[139:140] offset0:14 offset1:15
	;; [unrolled: 1-line block ×36, first 2 shown]
	ds_read2_b64 v[169:172], v255 offset1:1
	s_waitcnt lgkmcnt(0)
	v_cmp_neq_f64_e32 vcc_lo, 0, v[169:170]
	v_cmp_neq_f64_e64 s1, 0, v[171:172]
	s_or_b32 s1, vcc_lo, s1
	s_and_b32 exec_lo, exec_lo, s1
	s_cbranch_execz .LBB83_53
; %bb.48:
	v_cmp_ngt_f64_e64 s1, |v[169:170]|, |v[171:172]|
                                        ; implicit-def: $vgpr173_vgpr174
	s_and_saveexec_b32 s3, s1
	s_xor_b32 s1, exec_lo, s3
                                        ; implicit-def: $vgpr175_vgpr176
	s_cbranch_execz .LBB83_50
; %bb.49:
	v_div_scale_f64 v[173:174], null, v[171:172], v[171:172], v[169:170]
	v_div_scale_f64 v[179:180], vcc_lo, v[169:170], v[171:172], v[169:170]
	v_rcp_f64_e32 v[175:176], v[173:174]
	v_fma_f64 v[177:178], -v[173:174], v[175:176], 1.0
	v_fma_f64 v[175:176], v[175:176], v[177:178], v[175:176]
	v_fma_f64 v[177:178], -v[173:174], v[175:176], 1.0
	v_fma_f64 v[175:176], v[175:176], v[177:178], v[175:176]
	v_mul_f64 v[177:178], v[179:180], v[175:176]
	v_fma_f64 v[173:174], -v[173:174], v[177:178], v[179:180]
	v_div_fmas_f64 v[173:174], v[173:174], v[175:176], v[177:178]
	v_div_fixup_f64 v[173:174], v[173:174], v[171:172], v[169:170]
	v_fma_f64 v[169:170], v[169:170], v[173:174], v[171:172]
	v_div_scale_f64 v[171:172], null, v[169:170], v[169:170], 1.0
	v_rcp_f64_e32 v[175:176], v[171:172]
	v_fma_f64 v[177:178], -v[171:172], v[175:176], 1.0
	v_fma_f64 v[175:176], v[175:176], v[177:178], v[175:176]
	v_fma_f64 v[177:178], -v[171:172], v[175:176], 1.0
	v_fma_f64 v[175:176], v[175:176], v[177:178], v[175:176]
	v_div_scale_f64 v[177:178], vcc_lo, 1.0, v[169:170], 1.0
	v_mul_f64 v[179:180], v[177:178], v[175:176]
	v_fma_f64 v[171:172], -v[171:172], v[179:180], v[177:178]
	v_div_fmas_f64 v[171:172], v[171:172], v[175:176], v[179:180]
	v_div_fixup_f64 v[175:176], v[171:172], v[169:170], 1.0
                                        ; implicit-def: $vgpr169_vgpr170
	v_mul_f64 v[173:174], v[173:174], v[175:176]
	v_xor_b32_e32 v176, 0x80000000, v176
.LBB83_50:
	s_andn2_saveexec_b32 s1, s1
	s_cbranch_execz .LBB83_52
; %bb.51:
	v_div_scale_f64 v[173:174], null, v[169:170], v[169:170], v[171:172]
	v_div_scale_f64 v[179:180], vcc_lo, v[171:172], v[169:170], v[171:172]
	v_rcp_f64_e32 v[175:176], v[173:174]
	v_fma_f64 v[177:178], -v[173:174], v[175:176], 1.0
	v_fma_f64 v[175:176], v[175:176], v[177:178], v[175:176]
	v_fma_f64 v[177:178], -v[173:174], v[175:176], 1.0
	v_fma_f64 v[175:176], v[175:176], v[177:178], v[175:176]
	v_mul_f64 v[177:178], v[179:180], v[175:176]
	v_fma_f64 v[173:174], -v[173:174], v[177:178], v[179:180]
	v_div_fmas_f64 v[173:174], v[173:174], v[175:176], v[177:178]
	v_div_fixup_f64 v[175:176], v[173:174], v[169:170], v[171:172]
	v_fma_f64 v[169:170], v[171:172], v[175:176], v[169:170]
	v_div_scale_f64 v[171:172], null, v[169:170], v[169:170], 1.0
	v_rcp_f64_e32 v[173:174], v[171:172]
	v_fma_f64 v[177:178], -v[171:172], v[173:174], 1.0
	v_fma_f64 v[173:174], v[173:174], v[177:178], v[173:174]
	v_fma_f64 v[177:178], -v[171:172], v[173:174], 1.0
	v_fma_f64 v[173:174], v[173:174], v[177:178], v[173:174]
	v_div_scale_f64 v[177:178], vcc_lo, 1.0, v[169:170], 1.0
	v_mul_f64 v[179:180], v[177:178], v[173:174]
	v_fma_f64 v[171:172], -v[171:172], v[179:180], v[177:178]
	v_div_fmas_f64 v[171:172], v[171:172], v[173:174], v[179:180]
	v_div_fixup_f64 v[173:174], v[171:172], v[169:170], 1.0
	v_mul_f64 v[175:176], v[175:176], -v[173:174]
.LBB83_52:
	s_or_b32 exec_lo, exec_lo, s1
	ds_write2_b64 v255, v[173:174], v[175:176] offset1:1
.LBB83_53:
	s_or_b32 exec_lo, exec_lo, s2
	s_waitcnt lgkmcnt(0)
	s_barrier
	buffer_gl0_inv
	ds_read2_b64 v[169:172], v255 offset1:1
	s_mov_b32 s1, exec_lo
	s_waitcnt lgkmcnt(0)
	buffer_store_dword v169, off, s[16:19], 0 offset:448 ; 4-byte Folded Spill
	buffer_store_dword v170, off, s[16:19], 0 offset:452 ; 4-byte Folded Spill
	;; [unrolled: 1-line block ×4, first 2 shown]
	v_cmpx_lt_u32_e32 5, v0
	s_cbranch_execz .LBB83_55
; %bb.54:
	s_clause 0x3
	buffer_load_dword v171, off, s[16:19], 0 offset:448
	buffer_load_dword v172, off, s[16:19], 0 offset:452
	;; [unrolled: 1-line block ×4, first 2 shown]
	s_waitcnt vmcnt(0)
	v_mul_f64 v[169:170], v[173:174], v[147:148]
	v_mul_f64 v[147:148], v[171:172], v[147:148]
	v_fma_f64 v[169:170], v[171:172], v[145:146], -v[169:170]
	v_fma_f64 v[147:148], v[173:174], v[145:146], v[147:148]
	ds_read2_b64 v[171:174], v253 offset0:12 offset1:13
	s_waitcnt lgkmcnt(0)
	v_mul_f64 v[145:146], v[173:174], v[147:148]
	v_fma_f64 v[145:146], v[171:172], v[169:170], -v[145:146]
	v_mul_f64 v[171:172], v[171:172], v[147:148]
	v_add_f64 v[141:142], v[141:142], -v[145:146]
	v_fma_f64 v[171:172], v[173:174], v[169:170], v[171:172]
	v_add_f64 v[143:144], v[143:144], -v[171:172]
	ds_read2_b64 v[171:174], v253 offset0:14 offset1:15
	s_waitcnt lgkmcnt(0)
	v_mul_f64 v[145:146], v[173:174], v[147:148]
	v_fma_f64 v[145:146], v[171:172], v[169:170], -v[145:146]
	v_mul_f64 v[171:172], v[171:172], v[147:148]
	v_add_f64 v[137:138], v[137:138], -v[145:146]
	v_fma_f64 v[171:172], v[173:174], v[169:170], v[171:172]
	v_add_f64 v[139:140], v[139:140], -v[171:172]
	;; [unrolled: 8-line block ×35, first 2 shown]
	ds_read2_b64 v[171:174], v253 offset0:82 offset1:83
	s_waitcnt lgkmcnt(0)
	v_mul_f64 v[145:146], v[173:174], v[147:148]
	v_fma_f64 v[145:146], v[171:172], v[169:170], -v[145:146]
	v_mul_f64 v[171:172], v[171:172], v[147:148]
	v_add_f64 v[1:2], v[1:2], -v[145:146]
	v_fma_f64 v[171:172], v[173:174], v[169:170], v[171:172]
	v_mov_b32_e32 v145, v169
	v_mov_b32_e32 v146, v170
	v_add_f64 v[3:4], v[3:4], -v[171:172]
.LBB83_55:
	s_or_b32 exec_lo, exec_lo, s1
	s_mov_b32 s2, exec_lo
	s_waitcnt_vscnt null, 0x0
	s_barrier
	buffer_gl0_inv
	v_cmpx_eq_u32_e32 6, v0
	s_cbranch_execz .LBB83_62
; %bb.56:
	ds_write2_b64 v255, v[141:142], v[143:144] offset1:1
	ds_write2_b64 v253, v[137:138], v[139:140] offset0:14 offset1:15
	ds_write2_b64 v253, v[133:134], v[135:136] offset0:16 offset1:17
	ds_write2_b64 v253, v[129:130], v[131:132] offset0:18 offset1:19
	ds_write2_b64 v253, v[125:126], v[127:128] offset0:20 offset1:21
	ds_write2_b64 v253, v[121:122], v[123:124] offset0:22 offset1:23
	ds_write2_b64 v253, v[117:118], v[119:120] offset0:24 offset1:25
	ds_write2_b64 v253, v[113:114], v[115:116] offset0:26 offset1:27
	ds_write2_b64 v253, v[109:110], v[111:112] offset0:28 offset1:29
	ds_write2_b64 v253, v[105:106], v[107:108] offset0:30 offset1:31
	ds_write2_b64 v253, v[101:102], v[103:104] offset0:32 offset1:33
	ds_write2_b64 v253, v[97:98], v[99:100] offset0:34 offset1:35
	ds_write2_b64 v253, v[93:94], v[95:96] offset0:36 offset1:37
	ds_write2_b64 v253, v[89:90], v[91:92] offset0:38 offset1:39
	ds_write2_b64 v253, v[85:86], v[87:88] offset0:40 offset1:41
	ds_write2_b64 v253, v[81:82], v[83:84] offset0:42 offset1:43
	ds_write2_b64 v253, v[77:78], v[79:80] offset0:44 offset1:45
	ds_write2_b64 v253, v[73:74], v[75:76] offset0:46 offset1:47
	ds_write2_b64 v253, v[69:70], v[71:72] offset0:48 offset1:49
	ds_write2_b64 v253, v[65:66], v[67:68] offset0:50 offset1:51
	ds_write2_b64 v253, v[61:62], v[63:64] offset0:52 offset1:53
	ds_write2_b64 v253, v[57:58], v[59:60] offset0:54 offset1:55
	ds_write2_b64 v253, v[53:54], v[55:56] offset0:56 offset1:57
	ds_write2_b64 v253, v[49:50], v[51:52] offset0:58 offset1:59
	ds_write2_b64 v253, v[45:46], v[47:48] offset0:60 offset1:61
	ds_write2_b64 v253, v[41:42], v[43:44] offset0:62 offset1:63
	ds_write2_b64 v253, v[37:38], v[39:40] offset0:64 offset1:65
	ds_write2_b64 v253, v[33:34], v[35:36] offset0:66 offset1:67
	ds_write2_b64 v253, v[29:30], v[31:32] offset0:68 offset1:69
	ds_write2_b64 v253, v[25:26], v[27:28] offset0:70 offset1:71
	ds_write2_b64 v253, v[21:22], v[23:24] offset0:72 offset1:73
	ds_write2_b64 v253, v[17:18], v[19:20] offset0:74 offset1:75
	ds_write2_b64 v253, v[13:14], v[15:16] offset0:76 offset1:77
	ds_write2_b64 v253, v[9:10], v[11:12] offset0:78 offset1:79
	ds_write2_b64 v253, v[5:6], v[7:8] offset0:80 offset1:81
	ds_write2_b64 v253, v[1:2], v[3:4] offset0:82 offset1:83
	ds_read2_b64 v[169:172], v255 offset1:1
	s_waitcnt lgkmcnt(0)
	v_cmp_neq_f64_e32 vcc_lo, 0, v[169:170]
	v_cmp_neq_f64_e64 s1, 0, v[171:172]
	s_or_b32 s1, vcc_lo, s1
	s_and_b32 exec_lo, exec_lo, s1
	s_cbranch_execz .LBB83_62
; %bb.57:
	v_cmp_ngt_f64_e64 s1, |v[169:170]|, |v[171:172]|
                                        ; implicit-def: $vgpr173_vgpr174
	s_and_saveexec_b32 s3, s1
	s_xor_b32 s1, exec_lo, s3
                                        ; implicit-def: $vgpr175_vgpr176
	s_cbranch_execz .LBB83_59
; %bb.58:
	v_div_scale_f64 v[173:174], null, v[171:172], v[171:172], v[169:170]
	v_div_scale_f64 v[179:180], vcc_lo, v[169:170], v[171:172], v[169:170]
	v_rcp_f64_e32 v[175:176], v[173:174]
	v_fma_f64 v[177:178], -v[173:174], v[175:176], 1.0
	v_fma_f64 v[175:176], v[175:176], v[177:178], v[175:176]
	v_fma_f64 v[177:178], -v[173:174], v[175:176], 1.0
	v_fma_f64 v[175:176], v[175:176], v[177:178], v[175:176]
	v_mul_f64 v[177:178], v[179:180], v[175:176]
	v_fma_f64 v[173:174], -v[173:174], v[177:178], v[179:180]
	v_div_fmas_f64 v[173:174], v[173:174], v[175:176], v[177:178]
	v_div_fixup_f64 v[173:174], v[173:174], v[171:172], v[169:170]
	v_fma_f64 v[169:170], v[169:170], v[173:174], v[171:172]
	v_div_scale_f64 v[171:172], null, v[169:170], v[169:170], 1.0
	v_rcp_f64_e32 v[175:176], v[171:172]
	v_fma_f64 v[177:178], -v[171:172], v[175:176], 1.0
	v_fma_f64 v[175:176], v[175:176], v[177:178], v[175:176]
	v_fma_f64 v[177:178], -v[171:172], v[175:176], 1.0
	v_fma_f64 v[175:176], v[175:176], v[177:178], v[175:176]
	v_div_scale_f64 v[177:178], vcc_lo, 1.0, v[169:170], 1.0
	v_mul_f64 v[179:180], v[177:178], v[175:176]
	v_fma_f64 v[171:172], -v[171:172], v[179:180], v[177:178]
	v_div_fmas_f64 v[171:172], v[171:172], v[175:176], v[179:180]
	v_div_fixup_f64 v[175:176], v[171:172], v[169:170], 1.0
                                        ; implicit-def: $vgpr169_vgpr170
	v_mul_f64 v[173:174], v[173:174], v[175:176]
	v_xor_b32_e32 v176, 0x80000000, v176
.LBB83_59:
	s_andn2_saveexec_b32 s1, s1
	s_cbranch_execz .LBB83_61
; %bb.60:
	v_div_scale_f64 v[173:174], null, v[169:170], v[169:170], v[171:172]
	v_div_scale_f64 v[179:180], vcc_lo, v[171:172], v[169:170], v[171:172]
	v_rcp_f64_e32 v[175:176], v[173:174]
	v_fma_f64 v[177:178], -v[173:174], v[175:176], 1.0
	v_fma_f64 v[175:176], v[175:176], v[177:178], v[175:176]
	v_fma_f64 v[177:178], -v[173:174], v[175:176], 1.0
	v_fma_f64 v[175:176], v[175:176], v[177:178], v[175:176]
	v_mul_f64 v[177:178], v[179:180], v[175:176]
	v_fma_f64 v[173:174], -v[173:174], v[177:178], v[179:180]
	v_div_fmas_f64 v[173:174], v[173:174], v[175:176], v[177:178]
	v_div_fixup_f64 v[175:176], v[173:174], v[169:170], v[171:172]
	v_fma_f64 v[169:170], v[171:172], v[175:176], v[169:170]
	v_div_scale_f64 v[171:172], null, v[169:170], v[169:170], 1.0
	v_rcp_f64_e32 v[173:174], v[171:172]
	v_fma_f64 v[177:178], -v[171:172], v[173:174], 1.0
	v_fma_f64 v[173:174], v[173:174], v[177:178], v[173:174]
	v_fma_f64 v[177:178], -v[171:172], v[173:174], 1.0
	v_fma_f64 v[173:174], v[173:174], v[177:178], v[173:174]
	v_div_scale_f64 v[177:178], vcc_lo, 1.0, v[169:170], 1.0
	v_mul_f64 v[179:180], v[177:178], v[173:174]
	v_fma_f64 v[171:172], -v[171:172], v[179:180], v[177:178]
	v_div_fmas_f64 v[171:172], v[171:172], v[173:174], v[179:180]
	v_div_fixup_f64 v[173:174], v[171:172], v[169:170], 1.0
	v_mul_f64 v[175:176], v[175:176], -v[173:174]
.LBB83_61:
	s_or_b32 exec_lo, exec_lo, s1
	ds_write2_b64 v255, v[173:174], v[175:176] offset1:1
.LBB83_62:
	s_or_b32 exec_lo, exec_lo, s2
	s_waitcnt lgkmcnt(0)
	s_barrier
	buffer_gl0_inv
	ds_read2_b64 v[169:172], v255 offset1:1
	s_mov_b32 s1, exec_lo
	s_waitcnt lgkmcnt(0)
	buffer_store_dword v169, off, s[16:19], 0 offset:464 ; 4-byte Folded Spill
	buffer_store_dword v170, off, s[16:19], 0 offset:468 ; 4-byte Folded Spill
	;; [unrolled: 1-line block ×4, first 2 shown]
	v_cmpx_lt_u32_e32 6, v0
	s_cbranch_execz .LBB83_64
; %bb.63:
	s_clause 0x3
	buffer_load_dword v171, off, s[16:19], 0 offset:464
	buffer_load_dword v172, off, s[16:19], 0 offset:468
	;; [unrolled: 1-line block ×4, first 2 shown]
	s_waitcnt vmcnt(0)
	v_mul_f64 v[169:170], v[173:174], v[143:144]
	v_mul_f64 v[143:144], v[171:172], v[143:144]
	v_fma_f64 v[169:170], v[171:172], v[141:142], -v[169:170]
	v_fma_f64 v[143:144], v[173:174], v[141:142], v[143:144]
	ds_read2_b64 v[171:174], v253 offset0:14 offset1:15
	s_waitcnt lgkmcnt(0)
	v_mul_f64 v[141:142], v[173:174], v[143:144]
	v_fma_f64 v[141:142], v[171:172], v[169:170], -v[141:142]
	v_mul_f64 v[171:172], v[171:172], v[143:144]
	v_add_f64 v[137:138], v[137:138], -v[141:142]
	v_fma_f64 v[171:172], v[173:174], v[169:170], v[171:172]
	v_add_f64 v[139:140], v[139:140], -v[171:172]
	ds_read2_b64 v[171:174], v253 offset0:16 offset1:17
	s_waitcnt lgkmcnt(0)
	v_mul_f64 v[141:142], v[173:174], v[143:144]
	v_fma_f64 v[141:142], v[171:172], v[169:170], -v[141:142]
	v_mul_f64 v[171:172], v[171:172], v[143:144]
	v_add_f64 v[133:134], v[133:134], -v[141:142]
	v_fma_f64 v[171:172], v[173:174], v[169:170], v[171:172]
	v_add_f64 v[135:136], v[135:136], -v[171:172]
	;; [unrolled: 8-line block ×34, first 2 shown]
	ds_read2_b64 v[171:174], v253 offset0:82 offset1:83
	s_waitcnt lgkmcnt(0)
	v_mul_f64 v[141:142], v[173:174], v[143:144]
	v_fma_f64 v[141:142], v[171:172], v[169:170], -v[141:142]
	v_mul_f64 v[171:172], v[171:172], v[143:144]
	v_add_f64 v[1:2], v[1:2], -v[141:142]
	v_fma_f64 v[171:172], v[173:174], v[169:170], v[171:172]
	v_mov_b32_e32 v141, v169
	v_mov_b32_e32 v142, v170
	v_add_f64 v[3:4], v[3:4], -v[171:172]
.LBB83_64:
	s_or_b32 exec_lo, exec_lo, s1
	s_mov_b32 s2, exec_lo
	s_waitcnt_vscnt null, 0x0
	s_barrier
	buffer_gl0_inv
	v_cmpx_eq_u32_e32 7, v0
	s_cbranch_execz .LBB83_71
; %bb.65:
	ds_write2_b64 v255, v[137:138], v[139:140] offset1:1
	ds_write2_b64 v253, v[133:134], v[135:136] offset0:16 offset1:17
	ds_write2_b64 v253, v[129:130], v[131:132] offset0:18 offset1:19
	;; [unrolled: 1-line block ×34, first 2 shown]
	ds_read2_b64 v[169:172], v255 offset1:1
	s_waitcnt lgkmcnt(0)
	v_cmp_neq_f64_e32 vcc_lo, 0, v[169:170]
	v_cmp_neq_f64_e64 s1, 0, v[171:172]
	s_or_b32 s1, vcc_lo, s1
	s_and_b32 exec_lo, exec_lo, s1
	s_cbranch_execz .LBB83_71
; %bb.66:
	v_cmp_ngt_f64_e64 s1, |v[169:170]|, |v[171:172]|
                                        ; implicit-def: $vgpr173_vgpr174
	s_and_saveexec_b32 s3, s1
	s_xor_b32 s1, exec_lo, s3
                                        ; implicit-def: $vgpr175_vgpr176
	s_cbranch_execz .LBB83_68
; %bb.67:
	v_div_scale_f64 v[173:174], null, v[171:172], v[171:172], v[169:170]
	v_div_scale_f64 v[179:180], vcc_lo, v[169:170], v[171:172], v[169:170]
	v_rcp_f64_e32 v[175:176], v[173:174]
	v_fma_f64 v[177:178], -v[173:174], v[175:176], 1.0
	v_fma_f64 v[175:176], v[175:176], v[177:178], v[175:176]
	v_fma_f64 v[177:178], -v[173:174], v[175:176], 1.0
	v_fma_f64 v[175:176], v[175:176], v[177:178], v[175:176]
	v_mul_f64 v[177:178], v[179:180], v[175:176]
	v_fma_f64 v[173:174], -v[173:174], v[177:178], v[179:180]
	v_div_fmas_f64 v[173:174], v[173:174], v[175:176], v[177:178]
	v_div_fixup_f64 v[173:174], v[173:174], v[171:172], v[169:170]
	v_fma_f64 v[169:170], v[169:170], v[173:174], v[171:172]
	v_div_scale_f64 v[171:172], null, v[169:170], v[169:170], 1.0
	v_rcp_f64_e32 v[175:176], v[171:172]
	v_fma_f64 v[177:178], -v[171:172], v[175:176], 1.0
	v_fma_f64 v[175:176], v[175:176], v[177:178], v[175:176]
	v_fma_f64 v[177:178], -v[171:172], v[175:176], 1.0
	v_fma_f64 v[175:176], v[175:176], v[177:178], v[175:176]
	v_div_scale_f64 v[177:178], vcc_lo, 1.0, v[169:170], 1.0
	v_mul_f64 v[179:180], v[177:178], v[175:176]
	v_fma_f64 v[171:172], -v[171:172], v[179:180], v[177:178]
	v_div_fmas_f64 v[171:172], v[171:172], v[175:176], v[179:180]
	v_div_fixup_f64 v[175:176], v[171:172], v[169:170], 1.0
                                        ; implicit-def: $vgpr169_vgpr170
	v_mul_f64 v[173:174], v[173:174], v[175:176]
	v_xor_b32_e32 v176, 0x80000000, v176
.LBB83_68:
	s_andn2_saveexec_b32 s1, s1
	s_cbranch_execz .LBB83_70
; %bb.69:
	v_div_scale_f64 v[173:174], null, v[169:170], v[169:170], v[171:172]
	v_div_scale_f64 v[179:180], vcc_lo, v[171:172], v[169:170], v[171:172]
	v_rcp_f64_e32 v[175:176], v[173:174]
	v_fma_f64 v[177:178], -v[173:174], v[175:176], 1.0
	v_fma_f64 v[175:176], v[175:176], v[177:178], v[175:176]
	v_fma_f64 v[177:178], -v[173:174], v[175:176], 1.0
	v_fma_f64 v[175:176], v[175:176], v[177:178], v[175:176]
	v_mul_f64 v[177:178], v[179:180], v[175:176]
	v_fma_f64 v[173:174], -v[173:174], v[177:178], v[179:180]
	v_div_fmas_f64 v[173:174], v[173:174], v[175:176], v[177:178]
	v_div_fixup_f64 v[175:176], v[173:174], v[169:170], v[171:172]
	v_fma_f64 v[169:170], v[171:172], v[175:176], v[169:170]
	v_div_scale_f64 v[171:172], null, v[169:170], v[169:170], 1.0
	v_rcp_f64_e32 v[173:174], v[171:172]
	v_fma_f64 v[177:178], -v[171:172], v[173:174], 1.0
	v_fma_f64 v[173:174], v[173:174], v[177:178], v[173:174]
	v_fma_f64 v[177:178], -v[171:172], v[173:174], 1.0
	v_fma_f64 v[173:174], v[173:174], v[177:178], v[173:174]
	v_div_scale_f64 v[177:178], vcc_lo, 1.0, v[169:170], 1.0
	v_mul_f64 v[179:180], v[177:178], v[173:174]
	v_fma_f64 v[171:172], -v[171:172], v[179:180], v[177:178]
	v_div_fmas_f64 v[171:172], v[171:172], v[173:174], v[179:180]
	v_div_fixup_f64 v[173:174], v[171:172], v[169:170], 1.0
	v_mul_f64 v[175:176], v[175:176], -v[173:174]
.LBB83_70:
	s_or_b32 exec_lo, exec_lo, s1
	ds_write2_b64 v255, v[173:174], v[175:176] offset1:1
.LBB83_71:
	s_or_b32 exec_lo, exec_lo, s2
	s_waitcnt lgkmcnt(0)
	s_barrier
	buffer_gl0_inv
	ds_read2_b64 v[169:172], v255 offset1:1
	s_mov_b32 s1, exec_lo
	s_waitcnt lgkmcnt(0)
	buffer_store_dword v169, off, s[16:19], 0 offset:480 ; 4-byte Folded Spill
	buffer_store_dword v170, off, s[16:19], 0 offset:484 ; 4-byte Folded Spill
	;; [unrolled: 1-line block ×4, first 2 shown]
	v_cmpx_lt_u32_e32 7, v0
	s_cbranch_execz .LBB83_73
; %bb.72:
	s_clause 0x3
	buffer_load_dword v171, off, s[16:19], 0 offset:480
	buffer_load_dword v172, off, s[16:19], 0 offset:484
	;; [unrolled: 1-line block ×4, first 2 shown]
	s_waitcnt vmcnt(0)
	v_mul_f64 v[169:170], v[173:174], v[139:140]
	v_mul_f64 v[139:140], v[171:172], v[139:140]
	v_fma_f64 v[169:170], v[171:172], v[137:138], -v[169:170]
	v_fma_f64 v[139:140], v[173:174], v[137:138], v[139:140]
	ds_read2_b64 v[171:174], v253 offset0:16 offset1:17
	s_waitcnt lgkmcnt(0)
	v_mul_f64 v[137:138], v[173:174], v[139:140]
	v_fma_f64 v[137:138], v[171:172], v[169:170], -v[137:138]
	v_mul_f64 v[171:172], v[171:172], v[139:140]
	v_add_f64 v[133:134], v[133:134], -v[137:138]
	v_fma_f64 v[171:172], v[173:174], v[169:170], v[171:172]
	v_add_f64 v[135:136], v[135:136], -v[171:172]
	ds_read2_b64 v[171:174], v253 offset0:18 offset1:19
	s_waitcnt lgkmcnt(0)
	v_mul_f64 v[137:138], v[173:174], v[139:140]
	v_fma_f64 v[137:138], v[171:172], v[169:170], -v[137:138]
	v_mul_f64 v[171:172], v[171:172], v[139:140]
	v_add_f64 v[129:130], v[129:130], -v[137:138]
	v_fma_f64 v[171:172], v[173:174], v[169:170], v[171:172]
	v_add_f64 v[131:132], v[131:132], -v[171:172]
	;; [unrolled: 8-line block ×33, first 2 shown]
	ds_read2_b64 v[171:174], v253 offset0:82 offset1:83
	s_waitcnt lgkmcnt(0)
	v_mul_f64 v[137:138], v[173:174], v[139:140]
	v_fma_f64 v[137:138], v[171:172], v[169:170], -v[137:138]
	v_mul_f64 v[171:172], v[171:172], v[139:140]
	v_add_f64 v[1:2], v[1:2], -v[137:138]
	v_fma_f64 v[171:172], v[173:174], v[169:170], v[171:172]
	v_mov_b32_e32 v137, v169
	v_mov_b32_e32 v138, v170
	v_add_f64 v[3:4], v[3:4], -v[171:172]
.LBB83_73:
	s_or_b32 exec_lo, exec_lo, s1
	s_mov_b32 s2, exec_lo
	s_waitcnt_vscnt null, 0x0
	s_barrier
	buffer_gl0_inv
	v_cmpx_eq_u32_e32 8, v0
	s_cbranch_execz .LBB83_80
; %bb.74:
	ds_write2_b64 v255, v[133:134], v[135:136] offset1:1
	ds_write2_b64 v253, v[129:130], v[131:132] offset0:18 offset1:19
	ds_write2_b64 v253, v[125:126], v[127:128] offset0:20 offset1:21
	;; [unrolled: 1-line block ×33, first 2 shown]
	ds_read2_b64 v[169:172], v255 offset1:1
	s_waitcnt lgkmcnt(0)
	v_cmp_neq_f64_e32 vcc_lo, 0, v[169:170]
	v_cmp_neq_f64_e64 s1, 0, v[171:172]
	s_or_b32 s1, vcc_lo, s1
	s_and_b32 exec_lo, exec_lo, s1
	s_cbranch_execz .LBB83_80
; %bb.75:
	v_cmp_ngt_f64_e64 s1, |v[169:170]|, |v[171:172]|
                                        ; implicit-def: $vgpr173_vgpr174
	s_and_saveexec_b32 s3, s1
	s_xor_b32 s1, exec_lo, s3
                                        ; implicit-def: $vgpr175_vgpr176
	s_cbranch_execz .LBB83_77
; %bb.76:
	v_div_scale_f64 v[173:174], null, v[171:172], v[171:172], v[169:170]
	v_div_scale_f64 v[179:180], vcc_lo, v[169:170], v[171:172], v[169:170]
	v_rcp_f64_e32 v[175:176], v[173:174]
	v_fma_f64 v[177:178], -v[173:174], v[175:176], 1.0
	v_fma_f64 v[175:176], v[175:176], v[177:178], v[175:176]
	v_fma_f64 v[177:178], -v[173:174], v[175:176], 1.0
	v_fma_f64 v[175:176], v[175:176], v[177:178], v[175:176]
	v_mul_f64 v[177:178], v[179:180], v[175:176]
	v_fma_f64 v[173:174], -v[173:174], v[177:178], v[179:180]
	v_div_fmas_f64 v[173:174], v[173:174], v[175:176], v[177:178]
	v_div_fixup_f64 v[173:174], v[173:174], v[171:172], v[169:170]
	v_fma_f64 v[169:170], v[169:170], v[173:174], v[171:172]
	v_div_scale_f64 v[171:172], null, v[169:170], v[169:170], 1.0
	v_rcp_f64_e32 v[175:176], v[171:172]
	v_fma_f64 v[177:178], -v[171:172], v[175:176], 1.0
	v_fma_f64 v[175:176], v[175:176], v[177:178], v[175:176]
	v_fma_f64 v[177:178], -v[171:172], v[175:176], 1.0
	v_fma_f64 v[175:176], v[175:176], v[177:178], v[175:176]
	v_div_scale_f64 v[177:178], vcc_lo, 1.0, v[169:170], 1.0
	v_mul_f64 v[179:180], v[177:178], v[175:176]
	v_fma_f64 v[171:172], -v[171:172], v[179:180], v[177:178]
	v_div_fmas_f64 v[171:172], v[171:172], v[175:176], v[179:180]
	v_div_fixup_f64 v[175:176], v[171:172], v[169:170], 1.0
                                        ; implicit-def: $vgpr169_vgpr170
	v_mul_f64 v[173:174], v[173:174], v[175:176]
	v_xor_b32_e32 v176, 0x80000000, v176
.LBB83_77:
	s_andn2_saveexec_b32 s1, s1
	s_cbranch_execz .LBB83_79
; %bb.78:
	v_div_scale_f64 v[173:174], null, v[169:170], v[169:170], v[171:172]
	v_div_scale_f64 v[179:180], vcc_lo, v[171:172], v[169:170], v[171:172]
	v_rcp_f64_e32 v[175:176], v[173:174]
	v_fma_f64 v[177:178], -v[173:174], v[175:176], 1.0
	v_fma_f64 v[175:176], v[175:176], v[177:178], v[175:176]
	v_fma_f64 v[177:178], -v[173:174], v[175:176], 1.0
	v_fma_f64 v[175:176], v[175:176], v[177:178], v[175:176]
	v_mul_f64 v[177:178], v[179:180], v[175:176]
	v_fma_f64 v[173:174], -v[173:174], v[177:178], v[179:180]
	v_div_fmas_f64 v[173:174], v[173:174], v[175:176], v[177:178]
	v_div_fixup_f64 v[175:176], v[173:174], v[169:170], v[171:172]
	v_fma_f64 v[169:170], v[171:172], v[175:176], v[169:170]
	v_div_scale_f64 v[171:172], null, v[169:170], v[169:170], 1.0
	v_rcp_f64_e32 v[173:174], v[171:172]
	v_fma_f64 v[177:178], -v[171:172], v[173:174], 1.0
	v_fma_f64 v[173:174], v[173:174], v[177:178], v[173:174]
	v_fma_f64 v[177:178], -v[171:172], v[173:174], 1.0
	v_fma_f64 v[173:174], v[173:174], v[177:178], v[173:174]
	v_div_scale_f64 v[177:178], vcc_lo, 1.0, v[169:170], 1.0
	v_mul_f64 v[179:180], v[177:178], v[173:174]
	v_fma_f64 v[171:172], -v[171:172], v[179:180], v[177:178]
	v_div_fmas_f64 v[171:172], v[171:172], v[173:174], v[179:180]
	v_div_fixup_f64 v[173:174], v[171:172], v[169:170], 1.0
	v_mul_f64 v[175:176], v[175:176], -v[173:174]
.LBB83_79:
	s_or_b32 exec_lo, exec_lo, s1
	ds_write2_b64 v255, v[173:174], v[175:176] offset1:1
.LBB83_80:
	s_or_b32 exec_lo, exec_lo, s2
	s_waitcnt lgkmcnt(0)
	s_barrier
	buffer_gl0_inv
	ds_read2_b64 v[169:172], v255 offset1:1
	s_mov_b32 s1, exec_lo
	s_waitcnt lgkmcnt(0)
	buffer_store_dword v169, off, s[16:19], 0 offset:496 ; 4-byte Folded Spill
	buffer_store_dword v170, off, s[16:19], 0 offset:500 ; 4-byte Folded Spill
	;; [unrolled: 1-line block ×4, first 2 shown]
	v_cmpx_lt_u32_e32 8, v0
	s_cbranch_execz .LBB83_82
; %bb.81:
	s_clause 0x3
	buffer_load_dword v171, off, s[16:19], 0 offset:496
	buffer_load_dword v172, off, s[16:19], 0 offset:500
	;; [unrolled: 1-line block ×4, first 2 shown]
	s_waitcnt vmcnt(0)
	v_mul_f64 v[169:170], v[173:174], v[135:136]
	v_mul_f64 v[135:136], v[171:172], v[135:136]
	v_fma_f64 v[169:170], v[171:172], v[133:134], -v[169:170]
	v_fma_f64 v[135:136], v[173:174], v[133:134], v[135:136]
	ds_read2_b64 v[171:174], v253 offset0:18 offset1:19
	s_waitcnt lgkmcnt(0)
	v_mul_f64 v[133:134], v[173:174], v[135:136]
	v_fma_f64 v[133:134], v[171:172], v[169:170], -v[133:134]
	v_mul_f64 v[171:172], v[171:172], v[135:136]
	v_add_f64 v[129:130], v[129:130], -v[133:134]
	v_fma_f64 v[171:172], v[173:174], v[169:170], v[171:172]
	v_add_f64 v[131:132], v[131:132], -v[171:172]
	ds_read2_b64 v[171:174], v253 offset0:20 offset1:21
	s_waitcnt lgkmcnt(0)
	v_mul_f64 v[133:134], v[173:174], v[135:136]
	v_fma_f64 v[133:134], v[171:172], v[169:170], -v[133:134]
	v_mul_f64 v[171:172], v[171:172], v[135:136]
	v_add_f64 v[125:126], v[125:126], -v[133:134]
	v_fma_f64 v[171:172], v[173:174], v[169:170], v[171:172]
	v_add_f64 v[127:128], v[127:128], -v[171:172]
	;; [unrolled: 8-line block ×32, first 2 shown]
	ds_read2_b64 v[171:174], v253 offset0:82 offset1:83
	s_waitcnt lgkmcnt(0)
	v_mul_f64 v[133:134], v[173:174], v[135:136]
	v_fma_f64 v[133:134], v[171:172], v[169:170], -v[133:134]
	v_mul_f64 v[171:172], v[171:172], v[135:136]
	v_add_f64 v[1:2], v[1:2], -v[133:134]
	v_fma_f64 v[171:172], v[173:174], v[169:170], v[171:172]
	v_mov_b32_e32 v133, v169
	v_mov_b32_e32 v134, v170
	v_add_f64 v[3:4], v[3:4], -v[171:172]
.LBB83_82:
	s_or_b32 exec_lo, exec_lo, s1
	s_mov_b32 s2, exec_lo
	s_waitcnt_vscnt null, 0x0
	s_barrier
	buffer_gl0_inv
	v_cmpx_eq_u32_e32 9, v0
	s_cbranch_execz .LBB83_89
; %bb.83:
	ds_write2_b64 v255, v[129:130], v[131:132] offset1:1
	ds_write2_b64 v253, v[125:126], v[127:128] offset0:20 offset1:21
	ds_write2_b64 v253, v[121:122], v[123:124] offset0:22 offset1:23
	;; [unrolled: 1-line block ×32, first 2 shown]
	ds_read2_b64 v[169:172], v255 offset1:1
	s_waitcnt lgkmcnt(0)
	v_cmp_neq_f64_e32 vcc_lo, 0, v[169:170]
	v_cmp_neq_f64_e64 s1, 0, v[171:172]
	s_or_b32 s1, vcc_lo, s1
	s_and_b32 exec_lo, exec_lo, s1
	s_cbranch_execz .LBB83_89
; %bb.84:
	v_cmp_ngt_f64_e64 s1, |v[169:170]|, |v[171:172]|
                                        ; implicit-def: $vgpr173_vgpr174
	s_and_saveexec_b32 s3, s1
	s_xor_b32 s1, exec_lo, s3
                                        ; implicit-def: $vgpr175_vgpr176
	s_cbranch_execz .LBB83_86
; %bb.85:
	v_div_scale_f64 v[173:174], null, v[171:172], v[171:172], v[169:170]
	v_div_scale_f64 v[179:180], vcc_lo, v[169:170], v[171:172], v[169:170]
	v_rcp_f64_e32 v[175:176], v[173:174]
	v_fma_f64 v[177:178], -v[173:174], v[175:176], 1.0
	v_fma_f64 v[175:176], v[175:176], v[177:178], v[175:176]
	v_fma_f64 v[177:178], -v[173:174], v[175:176], 1.0
	v_fma_f64 v[175:176], v[175:176], v[177:178], v[175:176]
	v_mul_f64 v[177:178], v[179:180], v[175:176]
	v_fma_f64 v[173:174], -v[173:174], v[177:178], v[179:180]
	v_div_fmas_f64 v[173:174], v[173:174], v[175:176], v[177:178]
	v_div_fixup_f64 v[173:174], v[173:174], v[171:172], v[169:170]
	v_fma_f64 v[169:170], v[169:170], v[173:174], v[171:172]
	v_div_scale_f64 v[171:172], null, v[169:170], v[169:170], 1.0
	v_rcp_f64_e32 v[175:176], v[171:172]
	v_fma_f64 v[177:178], -v[171:172], v[175:176], 1.0
	v_fma_f64 v[175:176], v[175:176], v[177:178], v[175:176]
	v_fma_f64 v[177:178], -v[171:172], v[175:176], 1.0
	v_fma_f64 v[175:176], v[175:176], v[177:178], v[175:176]
	v_div_scale_f64 v[177:178], vcc_lo, 1.0, v[169:170], 1.0
	v_mul_f64 v[179:180], v[177:178], v[175:176]
	v_fma_f64 v[171:172], -v[171:172], v[179:180], v[177:178]
	v_div_fmas_f64 v[171:172], v[171:172], v[175:176], v[179:180]
	v_div_fixup_f64 v[175:176], v[171:172], v[169:170], 1.0
                                        ; implicit-def: $vgpr169_vgpr170
	v_mul_f64 v[173:174], v[173:174], v[175:176]
	v_xor_b32_e32 v176, 0x80000000, v176
.LBB83_86:
	s_andn2_saveexec_b32 s1, s1
	s_cbranch_execz .LBB83_88
; %bb.87:
	v_div_scale_f64 v[173:174], null, v[169:170], v[169:170], v[171:172]
	v_div_scale_f64 v[179:180], vcc_lo, v[171:172], v[169:170], v[171:172]
	v_rcp_f64_e32 v[175:176], v[173:174]
	v_fma_f64 v[177:178], -v[173:174], v[175:176], 1.0
	v_fma_f64 v[175:176], v[175:176], v[177:178], v[175:176]
	v_fma_f64 v[177:178], -v[173:174], v[175:176], 1.0
	v_fma_f64 v[175:176], v[175:176], v[177:178], v[175:176]
	v_mul_f64 v[177:178], v[179:180], v[175:176]
	v_fma_f64 v[173:174], -v[173:174], v[177:178], v[179:180]
	v_div_fmas_f64 v[173:174], v[173:174], v[175:176], v[177:178]
	v_div_fixup_f64 v[175:176], v[173:174], v[169:170], v[171:172]
	v_fma_f64 v[169:170], v[171:172], v[175:176], v[169:170]
	v_div_scale_f64 v[171:172], null, v[169:170], v[169:170], 1.0
	v_rcp_f64_e32 v[173:174], v[171:172]
	v_fma_f64 v[177:178], -v[171:172], v[173:174], 1.0
	v_fma_f64 v[173:174], v[173:174], v[177:178], v[173:174]
	v_fma_f64 v[177:178], -v[171:172], v[173:174], 1.0
	v_fma_f64 v[173:174], v[173:174], v[177:178], v[173:174]
	v_div_scale_f64 v[177:178], vcc_lo, 1.0, v[169:170], 1.0
	v_mul_f64 v[179:180], v[177:178], v[173:174]
	v_fma_f64 v[171:172], -v[171:172], v[179:180], v[177:178]
	v_div_fmas_f64 v[171:172], v[171:172], v[173:174], v[179:180]
	v_div_fixup_f64 v[173:174], v[171:172], v[169:170], 1.0
	v_mul_f64 v[175:176], v[175:176], -v[173:174]
.LBB83_88:
	s_or_b32 exec_lo, exec_lo, s1
	ds_write2_b64 v255, v[173:174], v[175:176] offset1:1
.LBB83_89:
	s_or_b32 exec_lo, exec_lo, s2
	s_waitcnt lgkmcnt(0)
	s_barrier
	buffer_gl0_inv
	ds_read2_b64 v[169:172], v255 offset1:1
	s_mov_b32 s1, exec_lo
	s_waitcnt lgkmcnt(0)
	buffer_store_dword v169, off, s[16:19], 0 offset:512 ; 4-byte Folded Spill
	buffer_store_dword v170, off, s[16:19], 0 offset:516 ; 4-byte Folded Spill
	;; [unrolled: 1-line block ×4, first 2 shown]
	v_cmpx_lt_u32_e32 9, v0
	s_cbranch_execz .LBB83_91
; %bb.90:
	s_clause 0x3
	buffer_load_dword v171, off, s[16:19], 0 offset:512
	buffer_load_dword v172, off, s[16:19], 0 offset:516
	;; [unrolled: 1-line block ×4, first 2 shown]
	s_waitcnt vmcnt(0)
	v_mul_f64 v[169:170], v[173:174], v[131:132]
	v_mul_f64 v[131:132], v[171:172], v[131:132]
	v_fma_f64 v[169:170], v[171:172], v[129:130], -v[169:170]
	v_fma_f64 v[131:132], v[173:174], v[129:130], v[131:132]
	ds_read2_b64 v[171:174], v253 offset0:20 offset1:21
	s_waitcnt lgkmcnt(0)
	v_mul_f64 v[129:130], v[173:174], v[131:132]
	v_fma_f64 v[129:130], v[171:172], v[169:170], -v[129:130]
	v_mul_f64 v[171:172], v[171:172], v[131:132]
	v_add_f64 v[125:126], v[125:126], -v[129:130]
	v_fma_f64 v[171:172], v[173:174], v[169:170], v[171:172]
	v_add_f64 v[127:128], v[127:128], -v[171:172]
	ds_read2_b64 v[171:174], v253 offset0:22 offset1:23
	s_waitcnt lgkmcnt(0)
	v_mul_f64 v[129:130], v[173:174], v[131:132]
	v_fma_f64 v[129:130], v[171:172], v[169:170], -v[129:130]
	v_mul_f64 v[171:172], v[171:172], v[131:132]
	v_add_f64 v[121:122], v[121:122], -v[129:130]
	v_fma_f64 v[171:172], v[173:174], v[169:170], v[171:172]
	v_add_f64 v[123:124], v[123:124], -v[171:172]
	;; [unrolled: 8-line block ×31, first 2 shown]
	ds_read2_b64 v[171:174], v253 offset0:82 offset1:83
	s_waitcnt lgkmcnt(0)
	v_mul_f64 v[129:130], v[173:174], v[131:132]
	v_fma_f64 v[129:130], v[171:172], v[169:170], -v[129:130]
	v_mul_f64 v[171:172], v[171:172], v[131:132]
	v_add_f64 v[1:2], v[1:2], -v[129:130]
	v_fma_f64 v[171:172], v[173:174], v[169:170], v[171:172]
	v_mov_b32_e32 v129, v169
	v_mov_b32_e32 v130, v170
	v_add_f64 v[3:4], v[3:4], -v[171:172]
.LBB83_91:
	s_or_b32 exec_lo, exec_lo, s1
	s_mov_b32 s2, exec_lo
	s_waitcnt_vscnt null, 0x0
	s_barrier
	buffer_gl0_inv
	v_cmpx_eq_u32_e32 10, v0
	s_cbranch_execz .LBB83_98
; %bb.92:
	ds_write2_b64 v255, v[125:126], v[127:128] offset1:1
	ds_write2_b64 v253, v[121:122], v[123:124] offset0:22 offset1:23
	ds_write2_b64 v253, v[117:118], v[119:120] offset0:24 offset1:25
	;; [unrolled: 1-line block ×31, first 2 shown]
	ds_read2_b64 v[169:172], v255 offset1:1
	s_waitcnt lgkmcnt(0)
	v_cmp_neq_f64_e32 vcc_lo, 0, v[169:170]
	v_cmp_neq_f64_e64 s1, 0, v[171:172]
	s_or_b32 s1, vcc_lo, s1
	s_and_b32 exec_lo, exec_lo, s1
	s_cbranch_execz .LBB83_98
; %bb.93:
	v_cmp_ngt_f64_e64 s1, |v[169:170]|, |v[171:172]|
                                        ; implicit-def: $vgpr173_vgpr174
	s_and_saveexec_b32 s3, s1
	s_xor_b32 s1, exec_lo, s3
                                        ; implicit-def: $vgpr175_vgpr176
	s_cbranch_execz .LBB83_95
; %bb.94:
	v_div_scale_f64 v[173:174], null, v[171:172], v[171:172], v[169:170]
	v_div_scale_f64 v[179:180], vcc_lo, v[169:170], v[171:172], v[169:170]
	v_rcp_f64_e32 v[175:176], v[173:174]
	v_fma_f64 v[177:178], -v[173:174], v[175:176], 1.0
	v_fma_f64 v[175:176], v[175:176], v[177:178], v[175:176]
	v_fma_f64 v[177:178], -v[173:174], v[175:176], 1.0
	v_fma_f64 v[175:176], v[175:176], v[177:178], v[175:176]
	v_mul_f64 v[177:178], v[179:180], v[175:176]
	v_fma_f64 v[173:174], -v[173:174], v[177:178], v[179:180]
	v_div_fmas_f64 v[173:174], v[173:174], v[175:176], v[177:178]
	v_div_fixup_f64 v[173:174], v[173:174], v[171:172], v[169:170]
	v_fma_f64 v[169:170], v[169:170], v[173:174], v[171:172]
	v_div_scale_f64 v[171:172], null, v[169:170], v[169:170], 1.0
	v_rcp_f64_e32 v[175:176], v[171:172]
	v_fma_f64 v[177:178], -v[171:172], v[175:176], 1.0
	v_fma_f64 v[175:176], v[175:176], v[177:178], v[175:176]
	v_fma_f64 v[177:178], -v[171:172], v[175:176], 1.0
	v_fma_f64 v[175:176], v[175:176], v[177:178], v[175:176]
	v_div_scale_f64 v[177:178], vcc_lo, 1.0, v[169:170], 1.0
	v_mul_f64 v[179:180], v[177:178], v[175:176]
	v_fma_f64 v[171:172], -v[171:172], v[179:180], v[177:178]
	v_div_fmas_f64 v[171:172], v[171:172], v[175:176], v[179:180]
	v_div_fixup_f64 v[175:176], v[171:172], v[169:170], 1.0
                                        ; implicit-def: $vgpr169_vgpr170
	v_mul_f64 v[173:174], v[173:174], v[175:176]
	v_xor_b32_e32 v176, 0x80000000, v176
.LBB83_95:
	s_andn2_saveexec_b32 s1, s1
	s_cbranch_execz .LBB83_97
; %bb.96:
	v_div_scale_f64 v[173:174], null, v[169:170], v[169:170], v[171:172]
	v_div_scale_f64 v[179:180], vcc_lo, v[171:172], v[169:170], v[171:172]
	v_rcp_f64_e32 v[175:176], v[173:174]
	v_fma_f64 v[177:178], -v[173:174], v[175:176], 1.0
	v_fma_f64 v[175:176], v[175:176], v[177:178], v[175:176]
	v_fma_f64 v[177:178], -v[173:174], v[175:176], 1.0
	v_fma_f64 v[175:176], v[175:176], v[177:178], v[175:176]
	v_mul_f64 v[177:178], v[179:180], v[175:176]
	v_fma_f64 v[173:174], -v[173:174], v[177:178], v[179:180]
	v_div_fmas_f64 v[173:174], v[173:174], v[175:176], v[177:178]
	v_div_fixup_f64 v[175:176], v[173:174], v[169:170], v[171:172]
	v_fma_f64 v[169:170], v[171:172], v[175:176], v[169:170]
	v_div_scale_f64 v[171:172], null, v[169:170], v[169:170], 1.0
	v_rcp_f64_e32 v[173:174], v[171:172]
	v_fma_f64 v[177:178], -v[171:172], v[173:174], 1.0
	v_fma_f64 v[173:174], v[173:174], v[177:178], v[173:174]
	v_fma_f64 v[177:178], -v[171:172], v[173:174], 1.0
	v_fma_f64 v[173:174], v[173:174], v[177:178], v[173:174]
	v_div_scale_f64 v[177:178], vcc_lo, 1.0, v[169:170], 1.0
	v_mul_f64 v[179:180], v[177:178], v[173:174]
	v_fma_f64 v[171:172], -v[171:172], v[179:180], v[177:178]
	v_div_fmas_f64 v[171:172], v[171:172], v[173:174], v[179:180]
	v_div_fixup_f64 v[173:174], v[171:172], v[169:170], 1.0
	v_mul_f64 v[175:176], v[175:176], -v[173:174]
.LBB83_97:
	s_or_b32 exec_lo, exec_lo, s1
	ds_write2_b64 v255, v[173:174], v[175:176] offset1:1
.LBB83_98:
	s_or_b32 exec_lo, exec_lo, s2
	s_waitcnt lgkmcnt(0)
	s_barrier
	buffer_gl0_inv
	ds_read2_b64 v[169:172], v255 offset1:1
	s_mov_b32 s1, exec_lo
	s_waitcnt lgkmcnt(0)
	buffer_store_dword v169, off, s[16:19], 0 offset:528 ; 4-byte Folded Spill
	buffer_store_dword v170, off, s[16:19], 0 offset:532 ; 4-byte Folded Spill
	;; [unrolled: 1-line block ×4, first 2 shown]
	v_cmpx_lt_u32_e32 10, v0
	s_cbranch_execz .LBB83_100
; %bb.99:
	s_clause 0x3
	buffer_load_dword v171, off, s[16:19], 0 offset:528
	buffer_load_dword v172, off, s[16:19], 0 offset:532
	;; [unrolled: 1-line block ×4, first 2 shown]
	s_waitcnt vmcnt(0)
	v_mul_f64 v[169:170], v[173:174], v[127:128]
	v_mul_f64 v[127:128], v[171:172], v[127:128]
	v_fma_f64 v[169:170], v[171:172], v[125:126], -v[169:170]
	v_fma_f64 v[127:128], v[173:174], v[125:126], v[127:128]
	ds_read2_b64 v[171:174], v253 offset0:22 offset1:23
	s_waitcnt lgkmcnt(0)
	v_mul_f64 v[125:126], v[173:174], v[127:128]
	v_fma_f64 v[125:126], v[171:172], v[169:170], -v[125:126]
	v_mul_f64 v[171:172], v[171:172], v[127:128]
	v_add_f64 v[121:122], v[121:122], -v[125:126]
	v_fma_f64 v[171:172], v[173:174], v[169:170], v[171:172]
	v_add_f64 v[123:124], v[123:124], -v[171:172]
	ds_read2_b64 v[171:174], v253 offset0:24 offset1:25
	s_waitcnt lgkmcnt(0)
	v_mul_f64 v[125:126], v[173:174], v[127:128]
	v_fma_f64 v[125:126], v[171:172], v[169:170], -v[125:126]
	v_mul_f64 v[171:172], v[171:172], v[127:128]
	v_add_f64 v[117:118], v[117:118], -v[125:126]
	v_fma_f64 v[171:172], v[173:174], v[169:170], v[171:172]
	v_add_f64 v[119:120], v[119:120], -v[171:172]
	;; [unrolled: 8-line block ×30, first 2 shown]
	ds_read2_b64 v[171:174], v253 offset0:82 offset1:83
	s_waitcnt lgkmcnt(0)
	v_mul_f64 v[125:126], v[173:174], v[127:128]
	v_fma_f64 v[125:126], v[171:172], v[169:170], -v[125:126]
	v_mul_f64 v[171:172], v[171:172], v[127:128]
	v_add_f64 v[1:2], v[1:2], -v[125:126]
	v_fma_f64 v[171:172], v[173:174], v[169:170], v[171:172]
	v_mov_b32_e32 v125, v169
	v_mov_b32_e32 v126, v170
	v_add_f64 v[3:4], v[3:4], -v[171:172]
.LBB83_100:
	s_or_b32 exec_lo, exec_lo, s1
	s_mov_b32 s2, exec_lo
	s_waitcnt_vscnt null, 0x0
	s_barrier
	buffer_gl0_inv
	v_cmpx_eq_u32_e32 11, v0
	s_cbranch_execz .LBB83_107
; %bb.101:
	ds_write2_b64 v255, v[121:122], v[123:124] offset1:1
	ds_write2_b64 v253, v[117:118], v[119:120] offset0:24 offset1:25
	ds_write2_b64 v253, v[113:114], v[115:116] offset0:26 offset1:27
	;; [unrolled: 1-line block ×30, first 2 shown]
	ds_read2_b64 v[169:172], v255 offset1:1
	s_waitcnt lgkmcnt(0)
	v_cmp_neq_f64_e32 vcc_lo, 0, v[169:170]
	v_cmp_neq_f64_e64 s1, 0, v[171:172]
	s_or_b32 s1, vcc_lo, s1
	s_and_b32 exec_lo, exec_lo, s1
	s_cbranch_execz .LBB83_107
; %bb.102:
	v_cmp_ngt_f64_e64 s1, |v[169:170]|, |v[171:172]|
                                        ; implicit-def: $vgpr173_vgpr174
	s_and_saveexec_b32 s3, s1
	s_xor_b32 s1, exec_lo, s3
                                        ; implicit-def: $vgpr175_vgpr176
	s_cbranch_execz .LBB83_104
; %bb.103:
	v_div_scale_f64 v[173:174], null, v[171:172], v[171:172], v[169:170]
	v_div_scale_f64 v[179:180], vcc_lo, v[169:170], v[171:172], v[169:170]
	v_rcp_f64_e32 v[175:176], v[173:174]
	v_fma_f64 v[177:178], -v[173:174], v[175:176], 1.0
	v_fma_f64 v[175:176], v[175:176], v[177:178], v[175:176]
	v_fma_f64 v[177:178], -v[173:174], v[175:176], 1.0
	v_fma_f64 v[175:176], v[175:176], v[177:178], v[175:176]
	v_mul_f64 v[177:178], v[179:180], v[175:176]
	v_fma_f64 v[173:174], -v[173:174], v[177:178], v[179:180]
	v_div_fmas_f64 v[173:174], v[173:174], v[175:176], v[177:178]
	v_div_fixup_f64 v[173:174], v[173:174], v[171:172], v[169:170]
	v_fma_f64 v[169:170], v[169:170], v[173:174], v[171:172]
	v_div_scale_f64 v[171:172], null, v[169:170], v[169:170], 1.0
	v_rcp_f64_e32 v[175:176], v[171:172]
	v_fma_f64 v[177:178], -v[171:172], v[175:176], 1.0
	v_fma_f64 v[175:176], v[175:176], v[177:178], v[175:176]
	v_fma_f64 v[177:178], -v[171:172], v[175:176], 1.0
	v_fma_f64 v[175:176], v[175:176], v[177:178], v[175:176]
	v_div_scale_f64 v[177:178], vcc_lo, 1.0, v[169:170], 1.0
	v_mul_f64 v[179:180], v[177:178], v[175:176]
	v_fma_f64 v[171:172], -v[171:172], v[179:180], v[177:178]
	v_div_fmas_f64 v[171:172], v[171:172], v[175:176], v[179:180]
	v_div_fixup_f64 v[175:176], v[171:172], v[169:170], 1.0
                                        ; implicit-def: $vgpr169_vgpr170
	v_mul_f64 v[173:174], v[173:174], v[175:176]
	v_xor_b32_e32 v176, 0x80000000, v176
.LBB83_104:
	s_andn2_saveexec_b32 s1, s1
	s_cbranch_execz .LBB83_106
; %bb.105:
	v_div_scale_f64 v[173:174], null, v[169:170], v[169:170], v[171:172]
	v_div_scale_f64 v[179:180], vcc_lo, v[171:172], v[169:170], v[171:172]
	v_rcp_f64_e32 v[175:176], v[173:174]
	v_fma_f64 v[177:178], -v[173:174], v[175:176], 1.0
	v_fma_f64 v[175:176], v[175:176], v[177:178], v[175:176]
	v_fma_f64 v[177:178], -v[173:174], v[175:176], 1.0
	v_fma_f64 v[175:176], v[175:176], v[177:178], v[175:176]
	v_mul_f64 v[177:178], v[179:180], v[175:176]
	v_fma_f64 v[173:174], -v[173:174], v[177:178], v[179:180]
	v_div_fmas_f64 v[173:174], v[173:174], v[175:176], v[177:178]
	v_div_fixup_f64 v[175:176], v[173:174], v[169:170], v[171:172]
	v_fma_f64 v[169:170], v[171:172], v[175:176], v[169:170]
	v_div_scale_f64 v[171:172], null, v[169:170], v[169:170], 1.0
	v_rcp_f64_e32 v[173:174], v[171:172]
	v_fma_f64 v[177:178], -v[171:172], v[173:174], 1.0
	v_fma_f64 v[173:174], v[173:174], v[177:178], v[173:174]
	v_fma_f64 v[177:178], -v[171:172], v[173:174], 1.0
	v_fma_f64 v[173:174], v[173:174], v[177:178], v[173:174]
	v_div_scale_f64 v[177:178], vcc_lo, 1.0, v[169:170], 1.0
	v_mul_f64 v[179:180], v[177:178], v[173:174]
	v_fma_f64 v[171:172], -v[171:172], v[179:180], v[177:178]
	v_div_fmas_f64 v[171:172], v[171:172], v[173:174], v[179:180]
	v_div_fixup_f64 v[173:174], v[171:172], v[169:170], 1.0
	v_mul_f64 v[175:176], v[175:176], -v[173:174]
.LBB83_106:
	s_or_b32 exec_lo, exec_lo, s1
	ds_write2_b64 v255, v[173:174], v[175:176] offset1:1
.LBB83_107:
	s_or_b32 exec_lo, exec_lo, s2
	s_waitcnt lgkmcnt(0)
	s_barrier
	buffer_gl0_inv
	ds_read2_b64 v[169:172], v255 offset1:1
	s_mov_b32 s1, exec_lo
	s_waitcnt lgkmcnt(0)
	buffer_store_dword v169, off, s[16:19], 0 offset:544 ; 4-byte Folded Spill
	buffer_store_dword v170, off, s[16:19], 0 offset:548 ; 4-byte Folded Spill
	;; [unrolled: 1-line block ×4, first 2 shown]
	v_cmpx_lt_u32_e32 11, v0
	s_cbranch_execz .LBB83_109
; %bb.108:
	s_clause 0x3
	buffer_load_dword v171, off, s[16:19], 0 offset:544
	buffer_load_dword v172, off, s[16:19], 0 offset:548
	;; [unrolled: 1-line block ×4, first 2 shown]
	s_waitcnt vmcnt(0)
	v_mul_f64 v[169:170], v[173:174], v[123:124]
	v_mul_f64 v[123:124], v[171:172], v[123:124]
	v_fma_f64 v[169:170], v[171:172], v[121:122], -v[169:170]
	v_fma_f64 v[123:124], v[173:174], v[121:122], v[123:124]
	ds_read2_b64 v[171:174], v253 offset0:24 offset1:25
	s_waitcnt lgkmcnt(0)
	v_mul_f64 v[121:122], v[173:174], v[123:124]
	v_fma_f64 v[121:122], v[171:172], v[169:170], -v[121:122]
	v_mul_f64 v[171:172], v[171:172], v[123:124]
	v_add_f64 v[117:118], v[117:118], -v[121:122]
	v_fma_f64 v[171:172], v[173:174], v[169:170], v[171:172]
	v_add_f64 v[119:120], v[119:120], -v[171:172]
	ds_read2_b64 v[171:174], v253 offset0:26 offset1:27
	s_waitcnt lgkmcnt(0)
	v_mul_f64 v[121:122], v[173:174], v[123:124]
	v_fma_f64 v[121:122], v[171:172], v[169:170], -v[121:122]
	v_mul_f64 v[171:172], v[171:172], v[123:124]
	v_add_f64 v[113:114], v[113:114], -v[121:122]
	v_fma_f64 v[171:172], v[173:174], v[169:170], v[171:172]
	v_add_f64 v[115:116], v[115:116], -v[171:172]
	;; [unrolled: 8-line block ×29, first 2 shown]
	ds_read2_b64 v[171:174], v253 offset0:82 offset1:83
	s_waitcnt lgkmcnt(0)
	v_mul_f64 v[121:122], v[173:174], v[123:124]
	v_fma_f64 v[121:122], v[171:172], v[169:170], -v[121:122]
	v_mul_f64 v[171:172], v[171:172], v[123:124]
	v_add_f64 v[1:2], v[1:2], -v[121:122]
	v_fma_f64 v[171:172], v[173:174], v[169:170], v[171:172]
	v_mov_b32_e32 v121, v169
	v_mov_b32_e32 v122, v170
	v_add_f64 v[3:4], v[3:4], -v[171:172]
.LBB83_109:
	s_or_b32 exec_lo, exec_lo, s1
	s_mov_b32 s2, exec_lo
	s_waitcnt_vscnt null, 0x0
	s_barrier
	buffer_gl0_inv
	v_cmpx_eq_u32_e32 12, v0
	s_cbranch_execz .LBB83_116
; %bb.110:
	ds_write2_b64 v255, v[117:118], v[119:120] offset1:1
	ds_write2_b64 v253, v[113:114], v[115:116] offset0:26 offset1:27
	ds_write2_b64 v253, v[109:110], v[111:112] offset0:28 offset1:29
	;; [unrolled: 1-line block ×29, first 2 shown]
	ds_read2_b64 v[169:172], v255 offset1:1
	s_waitcnt lgkmcnt(0)
	v_cmp_neq_f64_e32 vcc_lo, 0, v[169:170]
	v_cmp_neq_f64_e64 s1, 0, v[171:172]
	s_or_b32 s1, vcc_lo, s1
	s_and_b32 exec_lo, exec_lo, s1
	s_cbranch_execz .LBB83_116
; %bb.111:
	v_cmp_ngt_f64_e64 s1, |v[169:170]|, |v[171:172]|
                                        ; implicit-def: $vgpr173_vgpr174
	s_and_saveexec_b32 s3, s1
	s_xor_b32 s1, exec_lo, s3
                                        ; implicit-def: $vgpr175_vgpr176
	s_cbranch_execz .LBB83_113
; %bb.112:
	v_div_scale_f64 v[173:174], null, v[171:172], v[171:172], v[169:170]
	v_div_scale_f64 v[179:180], vcc_lo, v[169:170], v[171:172], v[169:170]
	v_rcp_f64_e32 v[175:176], v[173:174]
	v_fma_f64 v[177:178], -v[173:174], v[175:176], 1.0
	v_fma_f64 v[175:176], v[175:176], v[177:178], v[175:176]
	v_fma_f64 v[177:178], -v[173:174], v[175:176], 1.0
	v_fma_f64 v[175:176], v[175:176], v[177:178], v[175:176]
	v_mul_f64 v[177:178], v[179:180], v[175:176]
	v_fma_f64 v[173:174], -v[173:174], v[177:178], v[179:180]
	v_div_fmas_f64 v[173:174], v[173:174], v[175:176], v[177:178]
	v_div_fixup_f64 v[173:174], v[173:174], v[171:172], v[169:170]
	v_fma_f64 v[169:170], v[169:170], v[173:174], v[171:172]
	v_div_scale_f64 v[171:172], null, v[169:170], v[169:170], 1.0
	v_rcp_f64_e32 v[175:176], v[171:172]
	v_fma_f64 v[177:178], -v[171:172], v[175:176], 1.0
	v_fma_f64 v[175:176], v[175:176], v[177:178], v[175:176]
	v_fma_f64 v[177:178], -v[171:172], v[175:176], 1.0
	v_fma_f64 v[175:176], v[175:176], v[177:178], v[175:176]
	v_div_scale_f64 v[177:178], vcc_lo, 1.0, v[169:170], 1.0
	v_mul_f64 v[179:180], v[177:178], v[175:176]
	v_fma_f64 v[171:172], -v[171:172], v[179:180], v[177:178]
	v_div_fmas_f64 v[171:172], v[171:172], v[175:176], v[179:180]
	v_div_fixup_f64 v[175:176], v[171:172], v[169:170], 1.0
                                        ; implicit-def: $vgpr169_vgpr170
	v_mul_f64 v[173:174], v[173:174], v[175:176]
	v_xor_b32_e32 v176, 0x80000000, v176
.LBB83_113:
	s_andn2_saveexec_b32 s1, s1
	s_cbranch_execz .LBB83_115
; %bb.114:
	v_div_scale_f64 v[173:174], null, v[169:170], v[169:170], v[171:172]
	v_div_scale_f64 v[179:180], vcc_lo, v[171:172], v[169:170], v[171:172]
	v_rcp_f64_e32 v[175:176], v[173:174]
	v_fma_f64 v[177:178], -v[173:174], v[175:176], 1.0
	v_fma_f64 v[175:176], v[175:176], v[177:178], v[175:176]
	v_fma_f64 v[177:178], -v[173:174], v[175:176], 1.0
	v_fma_f64 v[175:176], v[175:176], v[177:178], v[175:176]
	v_mul_f64 v[177:178], v[179:180], v[175:176]
	v_fma_f64 v[173:174], -v[173:174], v[177:178], v[179:180]
	v_div_fmas_f64 v[173:174], v[173:174], v[175:176], v[177:178]
	v_div_fixup_f64 v[175:176], v[173:174], v[169:170], v[171:172]
	v_fma_f64 v[169:170], v[171:172], v[175:176], v[169:170]
	v_div_scale_f64 v[171:172], null, v[169:170], v[169:170], 1.0
	v_rcp_f64_e32 v[173:174], v[171:172]
	v_fma_f64 v[177:178], -v[171:172], v[173:174], 1.0
	v_fma_f64 v[173:174], v[173:174], v[177:178], v[173:174]
	v_fma_f64 v[177:178], -v[171:172], v[173:174], 1.0
	v_fma_f64 v[173:174], v[173:174], v[177:178], v[173:174]
	v_div_scale_f64 v[177:178], vcc_lo, 1.0, v[169:170], 1.0
	v_mul_f64 v[179:180], v[177:178], v[173:174]
	v_fma_f64 v[171:172], -v[171:172], v[179:180], v[177:178]
	v_div_fmas_f64 v[171:172], v[171:172], v[173:174], v[179:180]
	v_div_fixup_f64 v[173:174], v[171:172], v[169:170], 1.0
	v_mul_f64 v[175:176], v[175:176], -v[173:174]
.LBB83_115:
	s_or_b32 exec_lo, exec_lo, s1
	ds_write2_b64 v255, v[173:174], v[175:176] offset1:1
.LBB83_116:
	s_or_b32 exec_lo, exec_lo, s2
	s_waitcnt lgkmcnt(0)
	s_barrier
	buffer_gl0_inv
	ds_read2_b64 v[169:172], v255 offset1:1
	s_mov_b32 s1, exec_lo
	s_waitcnt lgkmcnt(0)
	buffer_store_dword v169, off, s[16:19], 0 offset:560 ; 4-byte Folded Spill
	buffer_store_dword v170, off, s[16:19], 0 offset:564 ; 4-byte Folded Spill
	buffer_store_dword v171, off, s[16:19], 0 offset:568 ; 4-byte Folded Spill
	buffer_store_dword v172, off, s[16:19], 0 offset:572 ; 4-byte Folded Spill
	v_cmpx_lt_u32_e32 12, v0
	s_cbranch_execz .LBB83_118
; %bb.117:
	s_clause 0x3
	buffer_load_dword v171, off, s[16:19], 0 offset:560
	buffer_load_dword v172, off, s[16:19], 0 offset:564
	;; [unrolled: 1-line block ×4, first 2 shown]
	s_waitcnt vmcnt(0)
	v_mul_f64 v[169:170], v[173:174], v[119:120]
	v_mul_f64 v[119:120], v[171:172], v[119:120]
	v_fma_f64 v[169:170], v[171:172], v[117:118], -v[169:170]
	v_fma_f64 v[119:120], v[173:174], v[117:118], v[119:120]
	ds_read2_b64 v[171:174], v253 offset0:26 offset1:27
	s_waitcnt lgkmcnt(0)
	v_mul_f64 v[117:118], v[173:174], v[119:120]
	v_fma_f64 v[117:118], v[171:172], v[169:170], -v[117:118]
	v_mul_f64 v[171:172], v[171:172], v[119:120]
	v_add_f64 v[113:114], v[113:114], -v[117:118]
	v_fma_f64 v[171:172], v[173:174], v[169:170], v[171:172]
	v_add_f64 v[115:116], v[115:116], -v[171:172]
	ds_read2_b64 v[171:174], v253 offset0:28 offset1:29
	s_waitcnt lgkmcnt(0)
	v_mul_f64 v[117:118], v[173:174], v[119:120]
	v_fma_f64 v[117:118], v[171:172], v[169:170], -v[117:118]
	v_mul_f64 v[171:172], v[171:172], v[119:120]
	v_add_f64 v[109:110], v[109:110], -v[117:118]
	v_fma_f64 v[171:172], v[173:174], v[169:170], v[171:172]
	v_add_f64 v[111:112], v[111:112], -v[171:172]
	;; [unrolled: 8-line block ×28, first 2 shown]
	ds_read2_b64 v[171:174], v253 offset0:82 offset1:83
	s_waitcnt lgkmcnt(0)
	v_mul_f64 v[117:118], v[173:174], v[119:120]
	v_fma_f64 v[117:118], v[171:172], v[169:170], -v[117:118]
	v_mul_f64 v[171:172], v[171:172], v[119:120]
	v_add_f64 v[1:2], v[1:2], -v[117:118]
	v_fma_f64 v[171:172], v[173:174], v[169:170], v[171:172]
	v_mov_b32_e32 v117, v169
	v_mov_b32_e32 v118, v170
	v_add_f64 v[3:4], v[3:4], -v[171:172]
.LBB83_118:
	s_or_b32 exec_lo, exec_lo, s1
	s_mov_b32 s2, exec_lo
	s_waitcnt_vscnt null, 0x0
	s_barrier
	buffer_gl0_inv
	v_cmpx_eq_u32_e32 13, v0
	s_cbranch_execz .LBB83_125
; %bb.119:
	ds_write2_b64 v255, v[113:114], v[115:116] offset1:1
	ds_write2_b64 v253, v[109:110], v[111:112] offset0:28 offset1:29
	ds_write2_b64 v253, v[105:106], v[107:108] offset0:30 offset1:31
	;; [unrolled: 1-line block ×28, first 2 shown]
	ds_read2_b64 v[169:172], v255 offset1:1
	s_waitcnt lgkmcnt(0)
	v_cmp_neq_f64_e32 vcc_lo, 0, v[169:170]
	v_cmp_neq_f64_e64 s1, 0, v[171:172]
	s_or_b32 s1, vcc_lo, s1
	s_and_b32 exec_lo, exec_lo, s1
	s_cbranch_execz .LBB83_125
; %bb.120:
	v_cmp_ngt_f64_e64 s1, |v[169:170]|, |v[171:172]|
                                        ; implicit-def: $vgpr173_vgpr174
	s_and_saveexec_b32 s3, s1
	s_xor_b32 s1, exec_lo, s3
                                        ; implicit-def: $vgpr175_vgpr176
	s_cbranch_execz .LBB83_122
; %bb.121:
	v_div_scale_f64 v[173:174], null, v[171:172], v[171:172], v[169:170]
	v_div_scale_f64 v[179:180], vcc_lo, v[169:170], v[171:172], v[169:170]
	v_rcp_f64_e32 v[175:176], v[173:174]
	v_fma_f64 v[177:178], -v[173:174], v[175:176], 1.0
	v_fma_f64 v[175:176], v[175:176], v[177:178], v[175:176]
	v_fma_f64 v[177:178], -v[173:174], v[175:176], 1.0
	v_fma_f64 v[175:176], v[175:176], v[177:178], v[175:176]
	v_mul_f64 v[177:178], v[179:180], v[175:176]
	v_fma_f64 v[173:174], -v[173:174], v[177:178], v[179:180]
	v_div_fmas_f64 v[173:174], v[173:174], v[175:176], v[177:178]
	v_div_fixup_f64 v[173:174], v[173:174], v[171:172], v[169:170]
	v_fma_f64 v[169:170], v[169:170], v[173:174], v[171:172]
	v_div_scale_f64 v[171:172], null, v[169:170], v[169:170], 1.0
	v_rcp_f64_e32 v[175:176], v[171:172]
	v_fma_f64 v[177:178], -v[171:172], v[175:176], 1.0
	v_fma_f64 v[175:176], v[175:176], v[177:178], v[175:176]
	v_fma_f64 v[177:178], -v[171:172], v[175:176], 1.0
	v_fma_f64 v[175:176], v[175:176], v[177:178], v[175:176]
	v_div_scale_f64 v[177:178], vcc_lo, 1.0, v[169:170], 1.0
	v_mul_f64 v[179:180], v[177:178], v[175:176]
	v_fma_f64 v[171:172], -v[171:172], v[179:180], v[177:178]
	v_div_fmas_f64 v[171:172], v[171:172], v[175:176], v[179:180]
	v_div_fixup_f64 v[175:176], v[171:172], v[169:170], 1.0
                                        ; implicit-def: $vgpr169_vgpr170
	v_mul_f64 v[173:174], v[173:174], v[175:176]
	v_xor_b32_e32 v176, 0x80000000, v176
.LBB83_122:
	s_andn2_saveexec_b32 s1, s1
	s_cbranch_execz .LBB83_124
; %bb.123:
	v_div_scale_f64 v[173:174], null, v[169:170], v[169:170], v[171:172]
	v_div_scale_f64 v[179:180], vcc_lo, v[171:172], v[169:170], v[171:172]
	v_rcp_f64_e32 v[175:176], v[173:174]
	v_fma_f64 v[177:178], -v[173:174], v[175:176], 1.0
	v_fma_f64 v[175:176], v[175:176], v[177:178], v[175:176]
	v_fma_f64 v[177:178], -v[173:174], v[175:176], 1.0
	v_fma_f64 v[175:176], v[175:176], v[177:178], v[175:176]
	v_mul_f64 v[177:178], v[179:180], v[175:176]
	v_fma_f64 v[173:174], -v[173:174], v[177:178], v[179:180]
	v_div_fmas_f64 v[173:174], v[173:174], v[175:176], v[177:178]
	v_div_fixup_f64 v[175:176], v[173:174], v[169:170], v[171:172]
	v_fma_f64 v[169:170], v[171:172], v[175:176], v[169:170]
	v_div_scale_f64 v[171:172], null, v[169:170], v[169:170], 1.0
	v_rcp_f64_e32 v[173:174], v[171:172]
	v_fma_f64 v[177:178], -v[171:172], v[173:174], 1.0
	v_fma_f64 v[173:174], v[173:174], v[177:178], v[173:174]
	v_fma_f64 v[177:178], -v[171:172], v[173:174], 1.0
	v_fma_f64 v[173:174], v[173:174], v[177:178], v[173:174]
	v_div_scale_f64 v[177:178], vcc_lo, 1.0, v[169:170], 1.0
	v_mul_f64 v[179:180], v[177:178], v[173:174]
	v_fma_f64 v[171:172], -v[171:172], v[179:180], v[177:178]
	v_div_fmas_f64 v[171:172], v[171:172], v[173:174], v[179:180]
	v_div_fixup_f64 v[173:174], v[171:172], v[169:170], 1.0
	v_mul_f64 v[175:176], v[175:176], -v[173:174]
.LBB83_124:
	s_or_b32 exec_lo, exec_lo, s1
	ds_write2_b64 v255, v[173:174], v[175:176] offset1:1
.LBB83_125:
	s_or_b32 exec_lo, exec_lo, s2
	s_waitcnt lgkmcnt(0)
	s_barrier
	buffer_gl0_inv
	ds_read2_b64 v[169:172], v255 offset1:1
	s_mov_b32 s1, exec_lo
	s_waitcnt lgkmcnt(0)
	buffer_store_dword v169, off, s[16:19], 0 offset:576 ; 4-byte Folded Spill
	buffer_store_dword v170, off, s[16:19], 0 offset:580 ; 4-byte Folded Spill
	;; [unrolled: 1-line block ×4, first 2 shown]
	v_cmpx_lt_u32_e32 13, v0
	s_cbranch_execz .LBB83_127
; %bb.126:
	s_clause 0x3
	buffer_load_dword v171, off, s[16:19], 0 offset:576
	buffer_load_dword v172, off, s[16:19], 0 offset:580
	;; [unrolled: 1-line block ×4, first 2 shown]
	s_waitcnt vmcnt(0)
	v_mul_f64 v[169:170], v[173:174], v[115:116]
	v_mul_f64 v[115:116], v[171:172], v[115:116]
	v_fma_f64 v[169:170], v[171:172], v[113:114], -v[169:170]
	v_fma_f64 v[115:116], v[173:174], v[113:114], v[115:116]
	ds_read2_b64 v[171:174], v253 offset0:28 offset1:29
	s_waitcnt lgkmcnt(0)
	v_mul_f64 v[113:114], v[173:174], v[115:116]
	v_fma_f64 v[113:114], v[171:172], v[169:170], -v[113:114]
	v_mul_f64 v[171:172], v[171:172], v[115:116]
	v_add_f64 v[109:110], v[109:110], -v[113:114]
	v_fma_f64 v[171:172], v[173:174], v[169:170], v[171:172]
	v_add_f64 v[111:112], v[111:112], -v[171:172]
	ds_read2_b64 v[171:174], v253 offset0:30 offset1:31
	s_waitcnt lgkmcnt(0)
	v_mul_f64 v[113:114], v[173:174], v[115:116]
	v_fma_f64 v[113:114], v[171:172], v[169:170], -v[113:114]
	v_mul_f64 v[171:172], v[171:172], v[115:116]
	v_add_f64 v[105:106], v[105:106], -v[113:114]
	v_fma_f64 v[171:172], v[173:174], v[169:170], v[171:172]
	v_add_f64 v[107:108], v[107:108], -v[171:172]
	;; [unrolled: 8-line block ×27, first 2 shown]
	ds_read2_b64 v[171:174], v253 offset0:82 offset1:83
	s_waitcnt lgkmcnt(0)
	v_mul_f64 v[113:114], v[173:174], v[115:116]
	v_fma_f64 v[113:114], v[171:172], v[169:170], -v[113:114]
	v_mul_f64 v[171:172], v[171:172], v[115:116]
	v_add_f64 v[1:2], v[1:2], -v[113:114]
	v_fma_f64 v[171:172], v[173:174], v[169:170], v[171:172]
	v_mov_b32_e32 v113, v169
	v_mov_b32_e32 v114, v170
	v_add_f64 v[3:4], v[3:4], -v[171:172]
.LBB83_127:
	s_or_b32 exec_lo, exec_lo, s1
	s_mov_b32 s2, exec_lo
	s_waitcnt_vscnt null, 0x0
	s_barrier
	buffer_gl0_inv
	v_cmpx_eq_u32_e32 14, v0
	s_cbranch_execz .LBB83_134
; %bb.128:
	ds_write2_b64 v255, v[109:110], v[111:112] offset1:1
	ds_write2_b64 v253, v[105:106], v[107:108] offset0:30 offset1:31
	ds_write2_b64 v253, v[101:102], v[103:104] offset0:32 offset1:33
	;; [unrolled: 1-line block ×27, first 2 shown]
	ds_read2_b64 v[169:172], v255 offset1:1
	s_waitcnt lgkmcnt(0)
	v_cmp_neq_f64_e32 vcc_lo, 0, v[169:170]
	v_cmp_neq_f64_e64 s1, 0, v[171:172]
	s_or_b32 s1, vcc_lo, s1
	s_and_b32 exec_lo, exec_lo, s1
	s_cbranch_execz .LBB83_134
; %bb.129:
	v_cmp_ngt_f64_e64 s1, |v[169:170]|, |v[171:172]|
                                        ; implicit-def: $vgpr173_vgpr174
	s_and_saveexec_b32 s3, s1
	s_xor_b32 s1, exec_lo, s3
                                        ; implicit-def: $vgpr175_vgpr176
	s_cbranch_execz .LBB83_131
; %bb.130:
	v_div_scale_f64 v[173:174], null, v[171:172], v[171:172], v[169:170]
	v_div_scale_f64 v[179:180], vcc_lo, v[169:170], v[171:172], v[169:170]
	v_rcp_f64_e32 v[175:176], v[173:174]
	v_fma_f64 v[177:178], -v[173:174], v[175:176], 1.0
	v_fma_f64 v[175:176], v[175:176], v[177:178], v[175:176]
	v_fma_f64 v[177:178], -v[173:174], v[175:176], 1.0
	v_fma_f64 v[175:176], v[175:176], v[177:178], v[175:176]
	v_mul_f64 v[177:178], v[179:180], v[175:176]
	v_fma_f64 v[173:174], -v[173:174], v[177:178], v[179:180]
	v_div_fmas_f64 v[173:174], v[173:174], v[175:176], v[177:178]
	v_div_fixup_f64 v[173:174], v[173:174], v[171:172], v[169:170]
	v_fma_f64 v[169:170], v[169:170], v[173:174], v[171:172]
	v_div_scale_f64 v[171:172], null, v[169:170], v[169:170], 1.0
	v_rcp_f64_e32 v[175:176], v[171:172]
	v_fma_f64 v[177:178], -v[171:172], v[175:176], 1.0
	v_fma_f64 v[175:176], v[175:176], v[177:178], v[175:176]
	v_fma_f64 v[177:178], -v[171:172], v[175:176], 1.0
	v_fma_f64 v[175:176], v[175:176], v[177:178], v[175:176]
	v_div_scale_f64 v[177:178], vcc_lo, 1.0, v[169:170], 1.0
	v_mul_f64 v[179:180], v[177:178], v[175:176]
	v_fma_f64 v[171:172], -v[171:172], v[179:180], v[177:178]
	v_div_fmas_f64 v[171:172], v[171:172], v[175:176], v[179:180]
	v_div_fixup_f64 v[175:176], v[171:172], v[169:170], 1.0
                                        ; implicit-def: $vgpr169_vgpr170
	v_mul_f64 v[173:174], v[173:174], v[175:176]
	v_xor_b32_e32 v176, 0x80000000, v176
.LBB83_131:
	s_andn2_saveexec_b32 s1, s1
	s_cbranch_execz .LBB83_133
; %bb.132:
	v_div_scale_f64 v[173:174], null, v[169:170], v[169:170], v[171:172]
	v_div_scale_f64 v[179:180], vcc_lo, v[171:172], v[169:170], v[171:172]
	v_rcp_f64_e32 v[175:176], v[173:174]
	v_fma_f64 v[177:178], -v[173:174], v[175:176], 1.0
	v_fma_f64 v[175:176], v[175:176], v[177:178], v[175:176]
	v_fma_f64 v[177:178], -v[173:174], v[175:176], 1.0
	v_fma_f64 v[175:176], v[175:176], v[177:178], v[175:176]
	v_mul_f64 v[177:178], v[179:180], v[175:176]
	v_fma_f64 v[173:174], -v[173:174], v[177:178], v[179:180]
	v_div_fmas_f64 v[173:174], v[173:174], v[175:176], v[177:178]
	v_div_fixup_f64 v[175:176], v[173:174], v[169:170], v[171:172]
	v_fma_f64 v[169:170], v[171:172], v[175:176], v[169:170]
	v_div_scale_f64 v[171:172], null, v[169:170], v[169:170], 1.0
	v_rcp_f64_e32 v[173:174], v[171:172]
	v_fma_f64 v[177:178], -v[171:172], v[173:174], 1.0
	v_fma_f64 v[173:174], v[173:174], v[177:178], v[173:174]
	v_fma_f64 v[177:178], -v[171:172], v[173:174], 1.0
	v_fma_f64 v[173:174], v[173:174], v[177:178], v[173:174]
	v_div_scale_f64 v[177:178], vcc_lo, 1.0, v[169:170], 1.0
	v_mul_f64 v[179:180], v[177:178], v[173:174]
	v_fma_f64 v[171:172], -v[171:172], v[179:180], v[177:178]
	v_div_fmas_f64 v[171:172], v[171:172], v[173:174], v[179:180]
	v_div_fixup_f64 v[173:174], v[171:172], v[169:170], 1.0
	v_mul_f64 v[175:176], v[175:176], -v[173:174]
.LBB83_133:
	s_or_b32 exec_lo, exec_lo, s1
	ds_write2_b64 v255, v[173:174], v[175:176] offset1:1
.LBB83_134:
	s_or_b32 exec_lo, exec_lo, s2
	s_waitcnt lgkmcnt(0)
	s_barrier
	buffer_gl0_inv
	ds_read2_b64 v[169:172], v255 offset1:1
	s_mov_b32 s1, exec_lo
	s_waitcnt lgkmcnt(0)
	buffer_store_dword v169, off, s[16:19], 0 offset:592 ; 4-byte Folded Spill
	buffer_store_dword v170, off, s[16:19], 0 offset:596 ; 4-byte Folded Spill
	;; [unrolled: 1-line block ×4, first 2 shown]
	v_cmpx_lt_u32_e32 14, v0
	s_cbranch_execz .LBB83_136
; %bb.135:
	s_clause 0x3
	buffer_load_dword v171, off, s[16:19], 0 offset:592
	buffer_load_dword v172, off, s[16:19], 0 offset:596
	;; [unrolled: 1-line block ×4, first 2 shown]
	s_waitcnt vmcnt(0)
	v_mul_f64 v[169:170], v[173:174], v[111:112]
	v_mul_f64 v[111:112], v[171:172], v[111:112]
	v_fma_f64 v[169:170], v[171:172], v[109:110], -v[169:170]
	v_fma_f64 v[111:112], v[173:174], v[109:110], v[111:112]
	ds_read2_b64 v[171:174], v253 offset0:30 offset1:31
	s_waitcnt lgkmcnt(0)
	v_mul_f64 v[109:110], v[173:174], v[111:112]
	v_fma_f64 v[109:110], v[171:172], v[169:170], -v[109:110]
	v_mul_f64 v[171:172], v[171:172], v[111:112]
	v_add_f64 v[105:106], v[105:106], -v[109:110]
	v_fma_f64 v[171:172], v[173:174], v[169:170], v[171:172]
	v_add_f64 v[107:108], v[107:108], -v[171:172]
	ds_read2_b64 v[171:174], v253 offset0:32 offset1:33
	s_waitcnt lgkmcnt(0)
	v_mul_f64 v[109:110], v[173:174], v[111:112]
	v_fma_f64 v[109:110], v[171:172], v[169:170], -v[109:110]
	v_mul_f64 v[171:172], v[171:172], v[111:112]
	v_add_f64 v[101:102], v[101:102], -v[109:110]
	v_fma_f64 v[171:172], v[173:174], v[169:170], v[171:172]
	v_add_f64 v[103:104], v[103:104], -v[171:172]
	;; [unrolled: 8-line block ×26, first 2 shown]
	ds_read2_b64 v[171:174], v253 offset0:82 offset1:83
	s_waitcnt lgkmcnt(0)
	v_mul_f64 v[109:110], v[173:174], v[111:112]
	v_fma_f64 v[109:110], v[171:172], v[169:170], -v[109:110]
	v_mul_f64 v[171:172], v[171:172], v[111:112]
	v_add_f64 v[1:2], v[1:2], -v[109:110]
	v_fma_f64 v[171:172], v[173:174], v[169:170], v[171:172]
	v_mov_b32_e32 v109, v169
	v_mov_b32_e32 v110, v170
	v_add_f64 v[3:4], v[3:4], -v[171:172]
.LBB83_136:
	s_or_b32 exec_lo, exec_lo, s1
	s_mov_b32 s2, exec_lo
	s_waitcnt_vscnt null, 0x0
	s_barrier
	buffer_gl0_inv
	v_cmpx_eq_u32_e32 15, v0
	s_cbranch_execz .LBB83_143
; %bb.137:
	ds_write2_b64 v255, v[105:106], v[107:108] offset1:1
	ds_write2_b64 v253, v[101:102], v[103:104] offset0:32 offset1:33
	ds_write2_b64 v253, v[97:98], v[99:100] offset0:34 offset1:35
	;; [unrolled: 1-line block ×26, first 2 shown]
	ds_read2_b64 v[169:172], v255 offset1:1
	s_waitcnt lgkmcnt(0)
	v_cmp_neq_f64_e32 vcc_lo, 0, v[169:170]
	v_cmp_neq_f64_e64 s1, 0, v[171:172]
	s_or_b32 s1, vcc_lo, s1
	s_and_b32 exec_lo, exec_lo, s1
	s_cbranch_execz .LBB83_143
; %bb.138:
	v_cmp_ngt_f64_e64 s1, |v[169:170]|, |v[171:172]|
                                        ; implicit-def: $vgpr173_vgpr174
	s_and_saveexec_b32 s3, s1
	s_xor_b32 s1, exec_lo, s3
                                        ; implicit-def: $vgpr175_vgpr176
	s_cbranch_execz .LBB83_140
; %bb.139:
	v_div_scale_f64 v[173:174], null, v[171:172], v[171:172], v[169:170]
	v_div_scale_f64 v[179:180], vcc_lo, v[169:170], v[171:172], v[169:170]
	v_rcp_f64_e32 v[175:176], v[173:174]
	v_fma_f64 v[177:178], -v[173:174], v[175:176], 1.0
	v_fma_f64 v[175:176], v[175:176], v[177:178], v[175:176]
	v_fma_f64 v[177:178], -v[173:174], v[175:176], 1.0
	v_fma_f64 v[175:176], v[175:176], v[177:178], v[175:176]
	v_mul_f64 v[177:178], v[179:180], v[175:176]
	v_fma_f64 v[173:174], -v[173:174], v[177:178], v[179:180]
	v_div_fmas_f64 v[173:174], v[173:174], v[175:176], v[177:178]
	v_div_fixup_f64 v[173:174], v[173:174], v[171:172], v[169:170]
	v_fma_f64 v[169:170], v[169:170], v[173:174], v[171:172]
	v_div_scale_f64 v[171:172], null, v[169:170], v[169:170], 1.0
	v_rcp_f64_e32 v[175:176], v[171:172]
	v_fma_f64 v[177:178], -v[171:172], v[175:176], 1.0
	v_fma_f64 v[175:176], v[175:176], v[177:178], v[175:176]
	v_fma_f64 v[177:178], -v[171:172], v[175:176], 1.0
	v_fma_f64 v[175:176], v[175:176], v[177:178], v[175:176]
	v_div_scale_f64 v[177:178], vcc_lo, 1.0, v[169:170], 1.0
	v_mul_f64 v[179:180], v[177:178], v[175:176]
	v_fma_f64 v[171:172], -v[171:172], v[179:180], v[177:178]
	v_div_fmas_f64 v[171:172], v[171:172], v[175:176], v[179:180]
	v_div_fixup_f64 v[175:176], v[171:172], v[169:170], 1.0
                                        ; implicit-def: $vgpr169_vgpr170
	v_mul_f64 v[173:174], v[173:174], v[175:176]
	v_xor_b32_e32 v176, 0x80000000, v176
.LBB83_140:
	s_andn2_saveexec_b32 s1, s1
	s_cbranch_execz .LBB83_142
; %bb.141:
	v_div_scale_f64 v[173:174], null, v[169:170], v[169:170], v[171:172]
	v_div_scale_f64 v[179:180], vcc_lo, v[171:172], v[169:170], v[171:172]
	v_rcp_f64_e32 v[175:176], v[173:174]
	v_fma_f64 v[177:178], -v[173:174], v[175:176], 1.0
	v_fma_f64 v[175:176], v[175:176], v[177:178], v[175:176]
	v_fma_f64 v[177:178], -v[173:174], v[175:176], 1.0
	v_fma_f64 v[175:176], v[175:176], v[177:178], v[175:176]
	v_mul_f64 v[177:178], v[179:180], v[175:176]
	v_fma_f64 v[173:174], -v[173:174], v[177:178], v[179:180]
	v_div_fmas_f64 v[173:174], v[173:174], v[175:176], v[177:178]
	v_div_fixup_f64 v[175:176], v[173:174], v[169:170], v[171:172]
	v_fma_f64 v[169:170], v[171:172], v[175:176], v[169:170]
	v_div_scale_f64 v[171:172], null, v[169:170], v[169:170], 1.0
	v_rcp_f64_e32 v[173:174], v[171:172]
	v_fma_f64 v[177:178], -v[171:172], v[173:174], 1.0
	v_fma_f64 v[173:174], v[173:174], v[177:178], v[173:174]
	v_fma_f64 v[177:178], -v[171:172], v[173:174], 1.0
	v_fma_f64 v[173:174], v[173:174], v[177:178], v[173:174]
	v_div_scale_f64 v[177:178], vcc_lo, 1.0, v[169:170], 1.0
	v_mul_f64 v[179:180], v[177:178], v[173:174]
	v_fma_f64 v[171:172], -v[171:172], v[179:180], v[177:178]
	v_div_fmas_f64 v[171:172], v[171:172], v[173:174], v[179:180]
	v_div_fixup_f64 v[173:174], v[171:172], v[169:170], 1.0
	v_mul_f64 v[175:176], v[175:176], -v[173:174]
.LBB83_142:
	s_or_b32 exec_lo, exec_lo, s1
	ds_write2_b64 v255, v[173:174], v[175:176] offset1:1
.LBB83_143:
	s_or_b32 exec_lo, exec_lo, s2
	s_waitcnt lgkmcnt(0)
	s_barrier
	buffer_gl0_inv
	ds_read2_b64 v[169:172], v255 offset1:1
	s_mov_b32 s1, exec_lo
	s_waitcnt lgkmcnt(0)
	buffer_store_dword v169, off, s[16:19], 0 offset:608 ; 4-byte Folded Spill
	buffer_store_dword v170, off, s[16:19], 0 offset:612 ; 4-byte Folded Spill
	;; [unrolled: 1-line block ×4, first 2 shown]
	v_cmpx_lt_u32_e32 15, v0
	s_cbranch_execz .LBB83_145
; %bb.144:
	s_clause 0x3
	buffer_load_dword v171, off, s[16:19], 0 offset:608
	buffer_load_dword v172, off, s[16:19], 0 offset:612
	;; [unrolled: 1-line block ×4, first 2 shown]
	s_waitcnt vmcnt(0)
	v_mul_f64 v[169:170], v[173:174], v[107:108]
	v_mul_f64 v[107:108], v[171:172], v[107:108]
	v_fma_f64 v[169:170], v[171:172], v[105:106], -v[169:170]
	v_fma_f64 v[107:108], v[173:174], v[105:106], v[107:108]
	ds_read2_b64 v[171:174], v253 offset0:32 offset1:33
	s_waitcnt lgkmcnt(0)
	v_mul_f64 v[105:106], v[173:174], v[107:108]
	v_fma_f64 v[105:106], v[171:172], v[169:170], -v[105:106]
	v_mul_f64 v[171:172], v[171:172], v[107:108]
	v_add_f64 v[101:102], v[101:102], -v[105:106]
	v_fma_f64 v[171:172], v[173:174], v[169:170], v[171:172]
	v_add_f64 v[103:104], v[103:104], -v[171:172]
	ds_read2_b64 v[171:174], v253 offset0:34 offset1:35
	s_waitcnt lgkmcnt(0)
	v_mul_f64 v[105:106], v[173:174], v[107:108]
	v_fma_f64 v[105:106], v[171:172], v[169:170], -v[105:106]
	v_mul_f64 v[171:172], v[171:172], v[107:108]
	v_add_f64 v[97:98], v[97:98], -v[105:106]
	v_fma_f64 v[171:172], v[173:174], v[169:170], v[171:172]
	v_add_f64 v[99:100], v[99:100], -v[171:172]
	;; [unrolled: 8-line block ×25, first 2 shown]
	ds_read2_b64 v[171:174], v253 offset0:82 offset1:83
	s_waitcnt lgkmcnt(0)
	v_mul_f64 v[105:106], v[173:174], v[107:108]
	v_fma_f64 v[105:106], v[171:172], v[169:170], -v[105:106]
	v_mul_f64 v[171:172], v[171:172], v[107:108]
	v_add_f64 v[1:2], v[1:2], -v[105:106]
	v_fma_f64 v[171:172], v[173:174], v[169:170], v[171:172]
	v_mov_b32_e32 v105, v169
	v_mov_b32_e32 v106, v170
	v_add_f64 v[3:4], v[3:4], -v[171:172]
.LBB83_145:
	s_or_b32 exec_lo, exec_lo, s1
	s_mov_b32 s2, exec_lo
	s_waitcnt_vscnt null, 0x0
	s_barrier
	buffer_gl0_inv
	v_cmpx_eq_u32_e32 16, v0
	s_cbranch_execz .LBB83_152
; %bb.146:
	ds_write2_b64 v255, v[101:102], v[103:104] offset1:1
	ds_write2_b64 v253, v[97:98], v[99:100] offset0:34 offset1:35
	ds_write2_b64 v253, v[93:94], v[95:96] offset0:36 offset1:37
	ds_write2_b64 v253, v[89:90], v[91:92] offset0:38 offset1:39
	ds_write2_b64 v253, v[85:86], v[87:88] offset0:40 offset1:41
	ds_write2_b64 v253, v[81:82], v[83:84] offset0:42 offset1:43
	ds_write2_b64 v253, v[77:78], v[79:80] offset0:44 offset1:45
	ds_write2_b64 v253, v[73:74], v[75:76] offset0:46 offset1:47
	ds_write2_b64 v253, v[69:70], v[71:72] offset0:48 offset1:49
	ds_write2_b64 v253, v[65:66], v[67:68] offset0:50 offset1:51
	ds_write2_b64 v253, v[61:62], v[63:64] offset0:52 offset1:53
	ds_write2_b64 v253, v[57:58], v[59:60] offset0:54 offset1:55
	ds_write2_b64 v253, v[53:54], v[55:56] offset0:56 offset1:57
	ds_write2_b64 v253, v[49:50], v[51:52] offset0:58 offset1:59
	ds_write2_b64 v253, v[45:46], v[47:48] offset0:60 offset1:61
	ds_write2_b64 v253, v[41:42], v[43:44] offset0:62 offset1:63
	ds_write2_b64 v253, v[37:38], v[39:40] offset0:64 offset1:65
	ds_write2_b64 v253, v[33:34], v[35:36] offset0:66 offset1:67
	ds_write2_b64 v253, v[29:30], v[31:32] offset0:68 offset1:69
	ds_write2_b64 v253, v[25:26], v[27:28] offset0:70 offset1:71
	ds_write2_b64 v253, v[21:22], v[23:24] offset0:72 offset1:73
	ds_write2_b64 v253, v[17:18], v[19:20] offset0:74 offset1:75
	ds_write2_b64 v253, v[13:14], v[15:16] offset0:76 offset1:77
	ds_write2_b64 v253, v[9:10], v[11:12] offset0:78 offset1:79
	ds_write2_b64 v253, v[5:6], v[7:8] offset0:80 offset1:81
	ds_write2_b64 v253, v[1:2], v[3:4] offset0:82 offset1:83
	ds_read2_b64 v[169:172], v255 offset1:1
	s_waitcnt lgkmcnt(0)
	v_cmp_neq_f64_e32 vcc_lo, 0, v[169:170]
	v_cmp_neq_f64_e64 s1, 0, v[171:172]
	s_or_b32 s1, vcc_lo, s1
	s_and_b32 exec_lo, exec_lo, s1
	s_cbranch_execz .LBB83_152
; %bb.147:
	v_cmp_ngt_f64_e64 s1, |v[169:170]|, |v[171:172]|
                                        ; implicit-def: $vgpr173_vgpr174
	s_and_saveexec_b32 s3, s1
	s_xor_b32 s1, exec_lo, s3
                                        ; implicit-def: $vgpr175_vgpr176
	s_cbranch_execz .LBB83_149
; %bb.148:
	v_div_scale_f64 v[173:174], null, v[171:172], v[171:172], v[169:170]
	v_div_scale_f64 v[179:180], vcc_lo, v[169:170], v[171:172], v[169:170]
	v_rcp_f64_e32 v[175:176], v[173:174]
	v_fma_f64 v[177:178], -v[173:174], v[175:176], 1.0
	v_fma_f64 v[175:176], v[175:176], v[177:178], v[175:176]
	v_fma_f64 v[177:178], -v[173:174], v[175:176], 1.0
	v_fma_f64 v[175:176], v[175:176], v[177:178], v[175:176]
	v_mul_f64 v[177:178], v[179:180], v[175:176]
	v_fma_f64 v[173:174], -v[173:174], v[177:178], v[179:180]
	v_div_fmas_f64 v[173:174], v[173:174], v[175:176], v[177:178]
	v_div_fixup_f64 v[173:174], v[173:174], v[171:172], v[169:170]
	v_fma_f64 v[169:170], v[169:170], v[173:174], v[171:172]
	v_div_scale_f64 v[171:172], null, v[169:170], v[169:170], 1.0
	v_rcp_f64_e32 v[175:176], v[171:172]
	v_fma_f64 v[177:178], -v[171:172], v[175:176], 1.0
	v_fma_f64 v[175:176], v[175:176], v[177:178], v[175:176]
	v_fma_f64 v[177:178], -v[171:172], v[175:176], 1.0
	v_fma_f64 v[175:176], v[175:176], v[177:178], v[175:176]
	v_div_scale_f64 v[177:178], vcc_lo, 1.0, v[169:170], 1.0
	v_mul_f64 v[179:180], v[177:178], v[175:176]
	v_fma_f64 v[171:172], -v[171:172], v[179:180], v[177:178]
	v_div_fmas_f64 v[171:172], v[171:172], v[175:176], v[179:180]
	v_div_fixup_f64 v[175:176], v[171:172], v[169:170], 1.0
                                        ; implicit-def: $vgpr169_vgpr170
	v_mul_f64 v[173:174], v[173:174], v[175:176]
	v_xor_b32_e32 v176, 0x80000000, v176
.LBB83_149:
	s_andn2_saveexec_b32 s1, s1
	s_cbranch_execz .LBB83_151
; %bb.150:
	v_div_scale_f64 v[173:174], null, v[169:170], v[169:170], v[171:172]
	v_div_scale_f64 v[179:180], vcc_lo, v[171:172], v[169:170], v[171:172]
	v_rcp_f64_e32 v[175:176], v[173:174]
	v_fma_f64 v[177:178], -v[173:174], v[175:176], 1.0
	v_fma_f64 v[175:176], v[175:176], v[177:178], v[175:176]
	v_fma_f64 v[177:178], -v[173:174], v[175:176], 1.0
	v_fma_f64 v[175:176], v[175:176], v[177:178], v[175:176]
	v_mul_f64 v[177:178], v[179:180], v[175:176]
	v_fma_f64 v[173:174], -v[173:174], v[177:178], v[179:180]
	v_div_fmas_f64 v[173:174], v[173:174], v[175:176], v[177:178]
	v_div_fixup_f64 v[175:176], v[173:174], v[169:170], v[171:172]
	v_fma_f64 v[169:170], v[171:172], v[175:176], v[169:170]
	v_div_scale_f64 v[171:172], null, v[169:170], v[169:170], 1.0
	v_rcp_f64_e32 v[173:174], v[171:172]
	v_fma_f64 v[177:178], -v[171:172], v[173:174], 1.0
	v_fma_f64 v[173:174], v[173:174], v[177:178], v[173:174]
	v_fma_f64 v[177:178], -v[171:172], v[173:174], 1.0
	v_fma_f64 v[173:174], v[173:174], v[177:178], v[173:174]
	v_div_scale_f64 v[177:178], vcc_lo, 1.0, v[169:170], 1.0
	v_mul_f64 v[179:180], v[177:178], v[173:174]
	v_fma_f64 v[171:172], -v[171:172], v[179:180], v[177:178]
	v_div_fmas_f64 v[171:172], v[171:172], v[173:174], v[179:180]
	v_div_fixup_f64 v[173:174], v[171:172], v[169:170], 1.0
	v_mul_f64 v[175:176], v[175:176], -v[173:174]
.LBB83_151:
	s_or_b32 exec_lo, exec_lo, s1
	ds_write2_b64 v255, v[173:174], v[175:176] offset1:1
.LBB83_152:
	s_or_b32 exec_lo, exec_lo, s2
	s_waitcnt lgkmcnt(0)
	s_barrier
	buffer_gl0_inv
	ds_read2_b64 v[169:172], v255 offset1:1
	s_mov_b32 s1, exec_lo
	s_waitcnt lgkmcnt(0)
	buffer_store_dword v169, off, s[16:19], 0 offset:624 ; 4-byte Folded Spill
	buffer_store_dword v170, off, s[16:19], 0 offset:628 ; 4-byte Folded Spill
	buffer_store_dword v171, off, s[16:19], 0 offset:632 ; 4-byte Folded Spill
	buffer_store_dword v172, off, s[16:19], 0 offset:636 ; 4-byte Folded Spill
	v_cmpx_lt_u32_e32 16, v0
	s_cbranch_execz .LBB83_154
; %bb.153:
	s_clause 0x3
	buffer_load_dword v171, off, s[16:19], 0 offset:624
	buffer_load_dword v172, off, s[16:19], 0 offset:628
	;; [unrolled: 1-line block ×4, first 2 shown]
	s_waitcnt vmcnt(0)
	v_mul_f64 v[169:170], v[173:174], v[103:104]
	v_mul_f64 v[103:104], v[171:172], v[103:104]
	v_fma_f64 v[169:170], v[171:172], v[101:102], -v[169:170]
	v_fma_f64 v[103:104], v[173:174], v[101:102], v[103:104]
	ds_read2_b64 v[171:174], v253 offset0:34 offset1:35
	s_waitcnt lgkmcnt(0)
	v_mul_f64 v[101:102], v[173:174], v[103:104]
	v_fma_f64 v[101:102], v[171:172], v[169:170], -v[101:102]
	v_mul_f64 v[171:172], v[171:172], v[103:104]
	v_add_f64 v[97:98], v[97:98], -v[101:102]
	v_fma_f64 v[171:172], v[173:174], v[169:170], v[171:172]
	v_add_f64 v[99:100], v[99:100], -v[171:172]
	ds_read2_b64 v[171:174], v253 offset0:36 offset1:37
	s_waitcnt lgkmcnt(0)
	v_mul_f64 v[101:102], v[173:174], v[103:104]
	v_fma_f64 v[101:102], v[171:172], v[169:170], -v[101:102]
	v_mul_f64 v[171:172], v[171:172], v[103:104]
	v_add_f64 v[93:94], v[93:94], -v[101:102]
	v_fma_f64 v[171:172], v[173:174], v[169:170], v[171:172]
	v_add_f64 v[95:96], v[95:96], -v[171:172]
	;; [unrolled: 8-line block ×24, first 2 shown]
	ds_read2_b64 v[171:174], v253 offset0:82 offset1:83
	s_waitcnt lgkmcnt(0)
	v_mul_f64 v[101:102], v[173:174], v[103:104]
	v_fma_f64 v[101:102], v[171:172], v[169:170], -v[101:102]
	v_mul_f64 v[171:172], v[171:172], v[103:104]
	v_add_f64 v[1:2], v[1:2], -v[101:102]
	v_fma_f64 v[171:172], v[173:174], v[169:170], v[171:172]
	v_mov_b32_e32 v101, v169
	v_mov_b32_e32 v102, v170
	v_add_f64 v[3:4], v[3:4], -v[171:172]
.LBB83_154:
	s_or_b32 exec_lo, exec_lo, s1
	s_mov_b32 s2, exec_lo
	s_waitcnt_vscnt null, 0x0
	s_barrier
	buffer_gl0_inv
	v_cmpx_eq_u32_e32 17, v0
	s_cbranch_execz .LBB83_161
; %bb.155:
	ds_write2_b64 v255, v[97:98], v[99:100] offset1:1
	ds_write2_b64 v253, v[93:94], v[95:96] offset0:36 offset1:37
	ds_write2_b64 v253, v[89:90], v[91:92] offset0:38 offset1:39
	;; [unrolled: 1-line block ×24, first 2 shown]
	ds_read2_b64 v[169:172], v255 offset1:1
	s_waitcnt lgkmcnt(0)
	v_cmp_neq_f64_e32 vcc_lo, 0, v[169:170]
	v_cmp_neq_f64_e64 s1, 0, v[171:172]
	s_or_b32 s1, vcc_lo, s1
	s_and_b32 exec_lo, exec_lo, s1
	s_cbranch_execz .LBB83_161
; %bb.156:
	v_cmp_ngt_f64_e64 s1, |v[169:170]|, |v[171:172]|
                                        ; implicit-def: $vgpr173_vgpr174
	s_and_saveexec_b32 s3, s1
	s_xor_b32 s1, exec_lo, s3
                                        ; implicit-def: $vgpr175_vgpr176
	s_cbranch_execz .LBB83_158
; %bb.157:
	v_div_scale_f64 v[173:174], null, v[171:172], v[171:172], v[169:170]
	v_div_scale_f64 v[179:180], vcc_lo, v[169:170], v[171:172], v[169:170]
	v_rcp_f64_e32 v[175:176], v[173:174]
	v_fma_f64 v[177:178], -v[173:174], v[175:176], 1.0
	v_fma_f64 v[175:176], v[175:176], v[177:178], v[175:176]
	v_fma_f64 v[177:178], -v[173:174], v[175:176], 1.0
	v_fma_f64 v[175:176], v[175:176], v[177:178], v[175:176]
	v_mul_f64 v[177:178], v[179:180], v[175:176]
	v_fma_f64 v[173:174], -v[173:174], v[177:178], v[179:180]
	v_div_fmas_f64 v[173:174], v[173:174], v[175:176], v[177:178]
	v_div_fixup_f64 v[173:174], v[173:174], v[171:172], v[169:170]
	v_fma_f64 v[169:170], v[169:170], v[173:174], v[171:172]
	v_div_scale_f64 v[171:172], null, v[169:170], v[169:170], 1.0
	v_rcp_f64_e32 v[175:176], v[171:172]
	v_fma_f64 v[177:178], -v[171:172], v[175:176], 1.0
	v_fma_f64 v[175:176], v[175:176], v[177:178], v[175:176]
	v_fma_f64 v[177:178], -v[171:172], v[175:176], 1.0
	v_fma_f64 v[175:176], v[175:176], v[177:178], v[175:176]
	v_div_scale_f64 v[177:178], vcc_lo, 1.0, v[169:170], 1.0
	v_mul_f64 v[179:180], v[177:178], v[175:176]
	v_fma_f64 v[171:172], -v[171:172], v[179:180], v[177:178]
	v_div_fmas_f64 v[171:172], v[171:172], v[175:176], v[179:180]
	v_div_fixup_f64 v[175:176], v[171:172], v[169:170], 1.0
                                        ; implicit-def: $vgpr169_vgpr170
	v_mul_f64 v[173:174], v[173:174], v[175:176]
	v_xor_b32_e32 v176, 0x80000000, v176
.LBB83_158:
	s_andn2_saveexec_b32 s1, s1
	s_cbranch_execz .LBB83_160
; %bb.159:
	v_div_scale_f64 v[173:174], null, v[169:170], v[169:170], v[171:172]
	v_div_scale_f64 v[179:180], vcc_lo, v[171:172], v[169:170], v[171:172]
	v_rcp_f64_e32 v[175:176], v[173:174]
	v_fma_f64 v[177:178], -v[173:174], v[175:176], 1.0
	v_fma_f64 v[175:176], v[175:176], v[177:178], v[175:176]
	v_fma_f64 v[177:178], -v[173:174], v[175:176], 1.0
	v_fma_f64 v[175:176], v[175:176], v[177:178], v[175:176]
	v_mul_f64 v[177:178], v[179:180], v[175:176]
	v_fma_f64 v[173:174], -v[173:174], v[177:178], v[179:180]
	v_div_fmas_f64 v[173:174], v[173:174], v[175:176], v[177:178]
	v_div_fixup_f64 v[175:176], v[173:174], v[169:170], v[171:172]
	v_fma_f64 v[169:170], v[171:172], v[175:176], v[169:170]
	v_div_scale_f64 v[171:172], null, v[169:170], v[169:170], 1.0
	v_rcp_f64_e32 v[173:174], v[171:172]
	v_fma_f64 v[177:178], -v[171:172], v[173:174], 1.0
	v_fma_f64 v[173:174], v[173:174], v[177:178], v[173:174]
	v_fma_f64 v[177:178], -v[171:172], v[173:174], 1.0
	v_fma_f64 v[173:174], v[173:174], v[177:178], v[173:174]
	v_div_scale_f64 v[177:178], vcc_lo, 1.0, v[169:170], 1.0
	v_mul_f64 v[179:180], v[177:178], v[173:174]
	v_fma_f64 v[171:172], -v[171:172], v[179:180], v[177:178]
	v_div_fmas_f64 v[171:172], v[171:172], v[173:174], v[179:180]
	v_div_fixup_f64 v[173:174], v[171:172], v[169:170], 1.0
	v_mul_f64 v[175:176], v[175:176], -v[173:174]
.LBB83_160:
	s_or_b32 exec_lo, exec_lo, s1
	ds_write2_b64 v255, v[173:174], v[175:176] offset1:1
.LBB83_161:
	s_or_b32 exec_lo, exec_lo, s2
	s_waitcnt lgkmcnt(0)
	s_barrier
	buffer_gl0_inv
	ds_read2_b64 v[169:172], v255 offset1:1
	s_mov_b32 s1, exec_lo
	s_waitcnt lgkmcnt(0)
	buffer_store_dword v169, off, s[16:19], 0 offset:640 ; 4-byte Folded Spill
	buffer_store_dword v170, off, s[16:19], 0 offset:644 ; 4-byte Folded Spill
	;; [unrolled: 1-line block ×4, first 2 shown]
	v_cmpx_lt_u32_e32 17, v0
	s_cbranch_execz .LBB83_163
; %bb.162:
	s_clause 0x3
	buffer_load_dword v171, off, s[16:19], 0 offset:640
	buffer_load_dword v172, off, s[16:19], 0 offset:644
	;; [unrolled: 1-line block ×4, first 2 shown]
	s_waitcnt vmcnt(0)
	v_mul_f64 v[169:170], v[173:174], v[99:100]
	v_mul_f64 v[99:100], v[171:172], v[99:100]
	v_fma_f64 v[169:170], v[171:172], v[97:98], -v[169:170]
	v_fma_f64 v[99:100], v[173:174], v[97:98], v[99:100]
	ds_read2_b64 v[171:174], v253 offset0:36 offset1:37
	s_waitcnt lgkmcnt(0)
	v_mul_f64 v[97:98], v[173:174], v[99:100]
	v_fma_f64 v[97:98], v[171:172], v[169:170], -v[97:98]
	v_mul_f64 v[171:172], v[171:172], v[99:100]
	v_add_f64 v[93:94], v[93:94], -v[97:98]
	v_fma_f64 v[171:172], v[173:174], v[169:170], v[171:172]
	v_add_f64 v[95:96], v[95:96], -v[171:172]
	ds_read2_b64 v[171:174], v253 offset0:38 offset1:39
	s_waitcnt lgkmcnt(0)
	v_mul_f64 v[97:98], v[173:174], v[99:100]
	v_fma_f64 v[97:98], v[171:172], v[169:170], -v[97:98]
	v_mul_f64 v[171:172], v[171:172], v[99:100]
	v_add_f64 v[89:90], v[89:90], -v[97:98]
	v_fma_f64 v[171:172], v[173:174], v[169:170], v[171:172]
	v_add_f64 v[91:92], v[91:92], -v[171:172]
	;; [unrolled: 8-line block ×23, first 2 shown]
	ds_read2_b64 v[171:174], v253 offset0:82 offset1:83
	s_waitcnt lgkmcnt(0)
	v_mul_f64 v[97:98], v[173:174], v[99:100]
	v_fma_f64 v[97:98], v[171:172], v[169:170], -v[97:98]
	v_mul_f64 v[171:172], v[171:172], v[99:100]
	v_add_f64 v[1:2], v[1:2], -v[97:98]
	v_fma_f64 v[171:172], v[173:174], v[169:170], v[171:172]
	v_mov_b32_e32 v97, v169
	v_mov_b32_e32 v98, v170
	v_add_f64 v[3:4], v[3:4], -v[171:172]
.LBB83_163:
	s_or_b32 exec_lo, exec_lo, s1
	s_mov_b32 s2, exec_lo
	s_waitcnt_vscnt null, 0x0
	s_barrier
	buffer_gl0_inv
	v_cmpx_eq_u32_e32 18, v0
	s_cbranch_execz .LBB83_170
; %bb.164:
	ds_write2_b64 v255, v[93:94], v[95:96] offset1:1
	ds_write2_b64 v253, v[89:90], v[91:92] offset0:38 offset1:39
	ds_write2_b64 v253, v[85:86], v[87:88] offset0:40 offset1:41
	;; [unrolled: 1-line block ×23, first 2 shown]
	ds_read2_b64 v[169:172], v255 offset1:1
	s_waitcnt lgkmcnt(0)
	v_cmp_neq_f64_e32 vcc_lo, 0, v[169:170]
	v_cmp_neq_f64_e64 s1, 0, v[171:172]
	s_or_b32 s1, vcc_lo, s1
	s_and_b32 exec_lo, exec_lo, s1
	s_cbranch_execz .LBB83_170
; %bb.165:
	v_cmp_ngt_f64_e64 s1, |v[169:170]|, |v[171:172]|
                                        ; implicit-def: $vgpr173_vgpr174
	s_and_saveexec_b32 s3, s1
	s_xor_b32 s1, exec_lo, s3
                                        ; implicit-def: $vgpr175_vgpr176
	s_cbranch_execz .LBB83_167
; %bb.166:
	v_div_scale_f64 v[173:174], null, v[171:172], v[171:172], v[169:170]
	v_div_scale_f64 v[179:180], vcc_lo, v[169:170], v[171:172], v[169:170]
	v_rcp_f64_e32 v[175:176], v[173:174]
	v_fma_f64 v[177:178], -v[173:174], v[175:176], 1.0
	v_fma_f64 v[175:176], v[175:176], v[177:178], v[175:176]
	v_fma_f64 v[177:178], -v[173:174], v[175:176], 1.0
	v_fma_f64 v[175:176], v[175:176], v[177:178], v[175:176]
	v_mul_f64 v[177:178], v[179:180], v[175:176]
	v_fma_f64 v[173:174], -v[173:174], v[177:178], v[179:180]
	v_div_fmas_f64 v[173:174], v[173:174], v[175:176], v[177:178]
	v_div_fixup_f64 v[173:174], v[173:174], v[171:172], v[169:170]
	v_fma_f64 v[169:170], v[169:170], v[173:174], v[171:172]
	v_div_scale_f64 v[171:172], null, v[169:170], v[169:170], 1.0
	v_rcp_f64_e32 v[175:176], v[171:172]
	v_fma_f64 v[177:178], -v[171:172], v[175:176], 1.0
	v_fma_f64 v[175:176], v[175:176], v[177:178], v[175:176]
	v_fma_f64 v[177:178], -v[171:172], v[175:176], 1.0
	v_fma_f64 v[175:176], v[175:176], v[177:178], v[175:176]
	v_div_scale_f64 v[177:178], vcc_lo, 1.0, v[169:170], 1.0
	v_mul_f64 v[179:180], v[177:178], v[175:176]
	v_fma_f64 v[171:172], -v[171:172], v[179:180], v[177:178]
	v_div_fmas_f64 v[171:172], v[171:172], v[175:176], v[179:180]
	v_div_fixup_f64 v[175:176], v[171:172], v[169:170], 1.0
                                        ; implicit-def: $vgpr169_vgpr170
	v_mul_f64 v[173:174], v[173:174], v[175:176]
	v_xor_b32_e32 v176, 0x80000000, v176
.LBB83_167:
	s_andn2_saveexec_b32 s1, s1
	s_cbranch_execz .LBB83_169
; %bb.168:
	v_div_scale_f64 v[173:174], null, v[169:170], v[169:170], v[171:172]
	v_div_scale_f64 v[179:180], vcc_lo, v[171:172], v[169:170], v[171:172]
	v_rcp_f64_e32 v[175:176], v[173:174]
	v_fma_f64 v[177:178], -v[173:174], v[175:176], 1.0
	v_fma_f64 v[175:176], v[175:176], v[177:178], v[175:176]
	v_fma_f64 v[177:178], -v[173:174], v[175:176], 1.0
	v_fma_f64 v[175:176], v[175:176], v[177:178], v[175:176]
	v_mul_f64 v[177:178], v[179:180], v[175:176]
	v_fma_f64 v[173:174], -v[173:174], v[177:178], v[179:180]
	v_div_fmas_f64 v[173:174], v[173:174], v[175:176], v[177:178]
	v_div_fixup_f64 v[175:176], v[173:174], v[169:170], v[171:172]
	v_fma_f64 v[169:170], v[171:172], v[175:176], v[169:170]
	v_div_scale_f64 v[171:172], null, v[169:170], v[169:170], 1.0
	v_rcp_f64_e32 v[173:174], v[171:172]
	v_fma_f64 v[177:178], -v[171:172], v[173:174], 1.0
	v_fma_f64 v[173:174], v[173:174], v[177:178], v[173:174]
	v_fma_f64 v[177:178], -v[171:172], v[173:174], 1.0
	v_fma_f64 v[173:174], v[173:174], v[177:178], v[173:174]
	v_div_scale_f64 v[177:178], vcc_lo, 1.0, v[169:170], 1.0
	v_mul_f64 v[179:180], v[177:178], v[173:174]
	v_fma_f64 v[171:172], -v[171:172], v[179:180], v[177:178]
	v_div_fmas_f64 v[171:172], v[171:172], v[173:174], v[179:180]
	v_div_fixup_f64 v[173:174], v[171:172], v[169:170], 1.0
	v_mul_f64 v[175:176], v[175:176], -v[173:174]
.LBB83_169:
	s_or_b32 exec_lo, exec_lo, s1
	ds_write2_b64 v255, v[173:174], v[175:176] offset1:1
.LBB83_170:
	s_or_b32 exec_lo, exec_lo, s2
	s_waitcnt lgkmcnt(0)
	s_barrier
	buffer_gl0_inv
	ds_read2_b64 v[169:172], v255 offset1:1
	s_mov_b32 s1, exec_lo
	s_waitcnt lgkmcnt(0)
	buffer_store_dword v169, off, s[16:19], 0 offset:656 ; 4-byte Folded Spill
	buffer_store_dword v170, off, s[16:19], 0 offset:660 ; 4-byte Folded Spill
	;; [unrolled: 1-line block ×4, first 2 shown]
	v_cmpx_lt_u32_e32 18, v0
	s_cbranch_execz .LBB83_172
; %bb.171:
	s_clause 0x3
	buffer_load_dword v171, off, s[16:19], 0 offset:656
	buffer_load_dword v172, off, s[16:19], 0 offset:660
	;; [unrolled: 1-line block ×4, first 2 shown]
	s_waitcnt vmcnt(0)
	v_mul_f64 v[169:170], v[173:174], v[95:96]
	v_mul_f64 v[95:96], v[171:172], v[95:96]
	v_fma_f64 v[169:170], v[171:172], v[93:94], -v[169:170]
	v_fma_f64 v[95:96], v[173:174], v[93:94], v[95:96]
	ds_read2_b64 v[171:174], v253 offset0:38 offset1:39
	s_waitcnt lgkmcnt(0)
	v_mul_f64 v[93:94], v[173:174], v[95:96]
	v_fma_f64 v[93:94], v[171:172], v[169:170], -v[93:94]
	v_mul_f64 v[171:172], v[171:172], v[95:96]
	v_add_f64 v[89:90], v[89:90], -v[93:94]
	v_fma_f64 v[171:172], v[173:174], v[169:170], v[171:172]
	v_add_f64 v[91:92], v[91:92], -v[171:172]
	ds_read2_b64 v[171:174], v253 offset0:40 offset1:41
	s_waitcnt lgkmcnt(0)
	v_mul_f64 v[93:94], v[173:174], v[95:96]
	v_fma_f64 v[93:94], v[171:172], v[169:170], -v[93:94]
	v_mul_f64 v[171:172], v[171:172], v[95:96]
	v_add_f64 v[85:86], v[85:86], -v[93:94]
	v_fma_f64 v[171:172], v[173:174], v[169:170], v[171:172]
	v_add_f64 v[87:88], v[87:88], -v[171:172]
	;; [unrolled: 8-line block ×22, first 2 shown]
	ds_read2_b64 v[171:174], v253 offset0:82 offset1:83
	s_waitcnt lgkmcnt(0)
	v_mul_f64 v[93:94], v[173:174], v[95:96]
	v_fma_f64 v[93:94], v[171:172], v[169:170], -v[93:94]
	v_mul_f64 v[171:172], v[171:172], v[95:96]
	v_add_f64 v[1:2], v[1:2], -v[93:94]
	v_fma_f64 v[171:172], v[173:174], v[169:170], v[171:172]
	v_mov_b32_e32 v93, v169
	v_mov_b32_e32 v94, v170
	v_add_f64 v[3:4], v[3:4], -v[171:172]
.LBB83_172:
	s_or_b32 exec_lo, exec_lo, s1
	s_mov_b32 s2, exec_lo
	s_waitcnt_vscnt null, 0x0
	s_barrier
	buffer_gl0_inv
	v_cmpx_eq_u32_e32 19, v0
	s_cbranch_execz .LBB83_179
; %bb.173:
	ds_write2_b64 v255, v[89:90], v[91:92] offset1:1
	ds_write2_b64 v253, v[85:86], v[87:88] offset0:40 offset1:41
	ds_write2_b64 v253, v[81:82], v[83:84] offset0:42 offset1:43
	;; [unrolled: 1-line block ×22, first 2 shown]
	ds_read2_b64 v[169:172], v255 offset1:1
	s_waitcnt lgkmcnt(0)
	v_cmp_neq_f64_e32 vcc_lo, 0, v[169:170]
	v_cmp_neq_f64_e64 s1, 0, v[171:172]
	s_or_b32 s1, vcc_lo, s1
	s_and_b32 exec_lo, exec_lo, s1
	s_cbranch_execz .LBB83_179
; %bb.174:
	v_cmp_ngt_f64_e64 s1, |v[169:170]|, |v[171:172]|
                                        ; implicit-def: $vgpr173_vgpr174
	s_and_saveexec_b32 s3, s1
	s_xor_b32 s1, exec_lo, s3
                                        ; implicit-def: $vgpr175_vgpr176
	s_cbranch_execz .LBB83_176
; %bb.175:
	v_div_scale_f64 v[173:174], null, v[171:172], v[171:172], v[169:170]
	v_div_scale_f64 v[179:180], vcc_lo, v[169:170], v[171:172], v[169:170]
	v_rcp_f64_e32 v[175:176], v[173:174]
	v_fma_f64 v[177:178], -v[173:174], v[175:176], 1.0
	v_fma_f64 v[175:176], v[175:176], v[177:178], v[175:176]
	v_fma_f64 v[177:178], -v[173:174], v[175:176], 1.0
	v_fma_f64 v[175:176], v[175:176], v[177:178], v[175:176]
	v_mul_f64 v[177:178], v[179:180], v[175:176]
	v_fma_f64 v[173:174], -v[173:174], v[177:178], v[179:180]
	v_div_fmas_f64 v[173:174], v[173:174], v[175:176], v[177:178]
	v_div_fixup_f64 v[173:174], v[173:174], v[171:172], v[169:170]
	v_fma_f64 v[169:170], v[169:170], v[173:174], v[171:172]
	v_div_scale_f64 v[171:172], null, v[169:170], v[169:170], 1.0
	v_rcp_f64_e32 v[175:176], v[171:172]
	v_fma_f64 v[177:178], -v[171:172], v[175:176], 1.0
	v_fma_f64 v[175:176], v[175:176], v[177:178], v[175:176]
	v_fma_f64 v[177:178], -v[171:172], v[175:176], 1.0
	v_fma_f64 v[175:176], v[175:176], v[177:178], v[175:176]
	v_div_scale_f64 v[177:178], vcc_lo, 1.0, v[169:170], 1.0
	v_mul_f64 v[179:180], v[177:178], v[175:176]
	v_fma_f64 v[171:172], -v[171:172], v[179:180], v[177:178]
	v_div_fmas_f64 v[171:172], v[171:172], v[175:176], v[179:180]
	v_div_fixup_f64 v[175:176], v[171:172], v[169:170], 1.0
                                        ; implicit-def: $vgpr169_vgpr170
	v_mul_f64 v[173:174], v[173:174], v[175:176]
	v_xor_b32_e32 v176, 0x80000000, v176
.LBB83_176:
	s_andn2_saveexec_b32 s1, s1
	s_cbranch_execz .LBB83_178
; %bb.177:
	v_div_scale_f64 v[173:174], null, v[169:170], v[169:170], v[171:172]
	v_div_scale_f64 v[179:180], vcc_lo, v[171:172], v[169:170], v[171:172]
	v_rcp_f64_e32 v[175:176], v[173:174]
	v_fma_f64 v[177:178], -v[173:174], v[175:176], 1.0
	v_fma_f64 v[175:176], v[175:176], v[177:178], v[175:176]
	v_fma_f64 v[177:178], -v[173:174], v[175:176], 1.0
	v_fma_f64 v[175:176], v[175:176], v[177:178], v[175:176]
	v_mul_f64 v[177:178], v[179:180], v[175:176]
	v_fma_f64 v[173:174], -v[173:174], v[177:178], v[179:180]
	v_div_fmas_f64 v[173:174], v[173:174], v[175:176], v[177:178]
	v_div_fixup_f64 v[175:176], v[173:174], v[169:170], v[171:172]
	v_fma_f64 v[169:170], v[171:172], v[175:176], v[169:170]
	v_div_scale_f64 v[171:172], null, v[169:170], v[169:170], 1.0
	v_rcp_f64_e32 v[173:174], v[171:172]
	v_fma_f64 v[177:178], -v[171:172], v[173:174], 1.0
	v_fma_f64 v[173:174], v[173:174], v[177:178], v[173:174]
	v_fma_f64 v[177:178], -v[171:172], v[173:174], 1.0
	v_fma_f64 v[173:174], v[173:174], v[177:178], v[173:174]
	v_div_scale_f64 v[177:178], vcc_lo, 1.0, v[169:170], 1.0
	v_mul_f64 v[179:180], v[177:178], v[173:174]
	v_fma_f64 v[171:172], -v[171:172], v[179:180], v[177:178]
	v_div_fmas_f64 v[171:172], v[171:172], v[173:174], v[179:180]
	v_div_fixup_f64 v[173:174], v[171:172], v[169:170], 1.0
	v_mul_f64 v[175:176], v[175:176], -v[173:174]
.LBB83_178:
	s_or_b32 exec_lo, exec_lo, s1
	ds_write2_b64 v255, v[173:174], v[175:176] offset1:1
.LBB83_179:
	s_or_b32 exec_lo, exec_lo, s2
	s_waitcnt lgkmcnt(0)
	s_barrier
	buffer_gl0_inv
	ds_read2_b64 v[169:172], v255 offset1:1
	s_mov_b32 s1, exec_lo
	s_waitcnt lgkmcnt(0)
	buffer_store_dword v169, off, s[16:19], 0 offset:672 ; 4-byte Folded Spill
	buffer_store_dword v170, off, s[16:19], 0 offset:676 ; 4-byte Folded Spill
	;; [unrolled: 1-line block ×4, first 2 shown]
	v_cmpx_lt_u32_e32 19, v0
	s_cbranch_execz .LBB83_181
; %bb.180:
	s_clause 0x3
	buffer_load_dword v171, off, s[16:19], 0 offset:672
	buffer_load_dword v172, off, s[16:19], 0 offset:676
	;; [unrolled: 1-line block ×4, first 2 shown]
	s_waitcnt vmcnt(0)
	v_mul_f64 v[169:170], v[173:174], v[91:92]
	v_mul_f64 v[91:92], v[171:172], v[91:92]
	v_fma_f64 v[169:170], v[171:172], v[89:90], -v[169:170]
	v_fma_f64 v[91:92], v[173:174], v[89:90], v[91:92]
	ds_read2_b64 v[171:174], v253 offset0:40 offset1:41
	s_waitcnt lgkmcnt(0)
	v_mul_f64 v[89:90], v[173:174], v[91:92]
	v_fma_f64 v[89:90], v[171:172], v[169:170], -v[89:90]
	v_mul_f64 v[171:172], v[171:172], v[91:92]
	v_add_f64 v[85:86], v[85:86], -v[89:90]
	v_fma_f64 v[171:172], v[173:174], v[169:170], v[171:172]
	v_add_f64 v[87:88], v[87:88], -v[171:172]
	ds_read2_b64 v[171:174], v253 offset0:42 offset1:43
	s_waitcnt lgkmcnt(0)
	v_mul_f64 v[89:90], v[173:174], v[91:92]
	v_fma_f64 v[89:90], v[171:172], v[169:170], -v[89:90]
	v_mul_f64 v[171:172], v[171:172], v[91:92]
	v_add_f64 v[81:82], v[81:82], -v[89:90]
	v_fma_f64 v[171:172], v[173:174], v[169:170], v[171:172]
	v_add_f64 v[83:84], v[83:84], -v[171:172]
	;; [unrolled: 8-line block ×21, first 2 shown]
	ds_read2_b64 v[171:174], v253 offset0:82 offset1:83
	s_waitcnt lgkmcnt(0)
	v_mul_f64 v[89:90], v[173:174], v[91:92]
	v_fma_f64 v[89:90], v[171:172], v[169:170], -v[89:90]
	v_mul_f64 v[171:172], v[171:172], v[91:92]
	v_add_f64 v[1:2], v[1:2], -v[89:90]
	v_fma_f64 v[171:172], v[173:174], v[169:170], v[171:172]
	v_mov_b32_e32 v89, v169
	v_mov_b32_e32 v90, v170
	v_add_f64 v[3:4], v[3:4], -v[171:172]
.LBB83_181:
	s_or_b32 exec_lo, exec_lo, s1
	s_mov_b32 s2, exec_lo
	s_waitcnt_vscnt null, 0x0
	s_barrier
	buffer_gl0_inv
	v_cmpx_eq_u32_e32 20, v0
	s_cbranch_execz .LBB83_188
; %bb.182:
	ds_write2_b64 v255, v[85:86], v[87:88] offset1:1
	ds_write2_b64 v253, v[81:82], v[83:84] offset0:42 offset1:43
	ds_write2_b64 v253, v[77:78], v[79:80] offset0:44 offset1:45
	;; [unrolled: 1-line block ×21, first 2 shown]
	ds_read2_b64 v[169:172], v255 offset1:1
	s_waitcnt lgkmcnt(0)
	v_cmp_neq_f64_e32 vcc_lo, 0, v[169:170]
	v_cmp_neq_f64_e64 s1, 0, v[171:172]
	s_or_b32 s1, vcc_lo, s1
	s_and_b32 exec_lo, exec_lo, s1
	s_cbranch_execz .LBB83_188
; %bb.183:
	v_cmp_ngt_f64_e64 s1, |v[169:170]|, |v[171:172]|
                                        ; implicit-def: $vgpr173_vgpr174
	s_and_saveexec_b32 s3, s1
	s_xor_b32 s1, exec_lo, s3
                                        ; implicit-def: $vgpr175_vgpr176
	s_cbranch_execz .LBB83_185
; %bb.184:
	v_div_scale_f64 v[173:174], null, v[171:172], v[171:172], v[169:170]
	v_div_scale_f64 v[179:180], vcc_lo, v[169:170], v[171:172], v[169:170]
	v_rcp_f64_e32 v[175:176], v[173:174]
	v_fma_f64 v[177:178], -v[173:174], v[175:176], 1.0
	v_fma_f64 v[175:176], v[175:176], v[177:178], v[175:176]
	v_fma_f64 v[177:178], -v[173:174], v[175:176], 1.0
	v_fma_f64 v[175:176], v[175:176], v[177:178], v[175:176]
	v_mul_f64 v[177:178], v[179:180], v[175:176]
	v_fma_f64 v[173:174], -v[173:174], v[177:178], v[179:180]
	v_div_fmas_f64 v[173:174], v[173:174], v[175:176], v[177:178]
	v_div_fixup_f64 v[173:174], v[173:174], v[171:172], v[169:170]
	v_fma_f64 v[169:170], v[169:170], v[173:174], v[171:172]
	v_div_scale_f64 v[171:172], null, v[169:170], v[169:170], 1.0
	v_rcp_f64_e32 v[175:176], v[171:172]
	v_fma_f64 v[177:178], -v[171:172], v[175:176], 1.0
	v_fma_f64 v[175:176], v[175:176], v[177:178], v[175:176]
	v_fma_f64 v[177:178], -v[171:172], v[175:176], 1.0
	v_fma_f64 v[175:176], v[175:176], v[177:178], v[175:176]
	v_div_scale_f64 v[177:178], vcc_lo, 1.0, v[169:170], 1.0
	v_mul_f64 v[179:180], v[177:178], v[175:176]
	v_fma_f64 v[171:172], -v[171:172], v[179:180], v[177:178]
	v_div_fmas_f64 v[171:172], v[171:172], v[175:176], v[179:180]
	v_div_fixup_f64 v[175:176], v[171:172], v[169:170], 1.0
                                        ; implicit-def: $vgpr169_vgpr170
	v_mul_f64 v[173:174], v[173:174], v[175:176]
	v_xor_b32_e32 v176, 0x80000000, v176
.LBB83_185:
	s_andn2_saveexec_b32 s1, s1
	s_cbranch_execz .LBB83_187
; %bb.186:
	v_div_scale_f64 v[173:174], null, v[169:170], v[169:170], v[171:172]
	v_div_scale_f64 v[179:180], vcc_lo, v[171:172], v[169:170], v[171:172]
	v_rcp_f64_e32 v[175:176], v[173:174]
	v_fma_f64 v[177:178], -v[173:174], v[175:176], 1.0
	v_fma_f64 v[175:176], v[175:176], v[177:178], v[175:176]
	v_fma_f64 v[177:178], -v[173:174], v[175:176], 1.0
	v_fma_f64 v[175:176], v[175:176], v[177:178], v[175:176]
	v_mul_f64 v[177:178], v[179:180], v[175:176]
	v_fma_f64 v[173:174], -v[173:174], v[177:178], v[179:180]
	v_div_fmas_f64 v[173:174], v[173:174], v[175:176], v[177:178]
	v_div_fixup_f64 v[175:176], v[173:174], v[169:170], v[171:172]
	v_fma_f64 v[169:170], v[171:172], v[175:176], v[169:170]
	v_div_scale_f64 v[171:172], null, v[169:170], v[169:170], 1.0
	v_rcp_f64_e32 v[173:174], v[171:172]
	v_fma_f64 v[177:178], -v[171:172], v[173:174], 1.0
	v_fma_f64 v[173:174], v[173:174], v[177:178], v[173:174]
	v_fma_f64 v[177:178], -v[171:172], v[173:174], 1.0
	v_fma_f64 v[173:174], v[173:174], v[177:178], v[173:174]
	v_div_scale_f64 v[177:178], vcc_lo, 1.0, v[169:170], 1.0
	v_mul_f64 v[179:180], v[177:178], v[173:174]
	v_fma_f64 v[171:172], -v[171:172], v[179:180], v[177:178]
	v_div_fmas_f64 v[171:172], v[171:172], v[173:174], v[179:180]
	v_div_fixup_f64 v[173:174], v[171:172], v[169:170], 1.0
	v_mul_f64 v[175:176], v[175:176], -v[173:174]
.LBB83_187:
	s_or_b32 exec_lo, exec_lo, s1
	ds_write2_b64 v255, v[173:174], v[175:176] offset1:1
.LBB83_188:
	s_or_b32 exec_lo, exec_lo, s2
	s_waitcnt lgkmcnt(0)
	s_barrier
	buffer_gl0_inv
	ds_read2_b64 v[169:172], v255 offset1:1
	s_mov_b32 s1, exec_lo
	s_waitcnt lgkmcnt(0)
	buffer_store_dword v169, off, s[16:19], 0 offset:688 ; 4-byte Folded Spill
	buffer_store_dword v170, off, s[16:19], 0 offset:692 ; 4-byte Folded Spill
	;; [unrolled: 1-line block ×4, first 2 shown]
	v_cmpx_lt_u32_e32 20, v0
	s_cbranch_execz .LBB83_190
; %bb.189:
	s_clause 0x3
	buffer_load_dword v171, off, s[16:19], 0 offset:688
	buffer_load_dword v172, off, s[16:19], 0 offset:692
	;; [unrolled: 1-line block ×4, first 2 shown]
	s_waitcnt vmcnt(0)
	v_mul_f64 v[169:170], v[173:174], v[87:88]
	v_mul_f64 v[87:88], v[171:172], v[87:88]
	v_fma_f64 v[169:170], v[171:172], v[85:86], -v[169:170]
	v_fma_f64 v[87:88], v[173:174], v[85:86], v[87:88]
	ds_read2_b64 v[171:174], v253 offset0:42 offset1:43
	s_waitcnt lgkmcnt(0)
	v_mul_f64 v[85:86], v[173:174], v[87:88]
	v_fma_f64 v[85:86], v[171:172], v[169:170], -v[85:86]
	v_mul_f64 v[171:172], v[171:172], v[87:88]
	v_add_f64 v[81:82], v[81:82], -v[85:86]
	v_fma_f64 v[171:172], v[173:174], v[169:170], v[171:172]
	v_add_f64 v[83:84], v[83:84], -v[171:172]
	ds_read2_b64 v[171:174], v253 offset0:44 offset1:45
	s_waitcnt lgkmcnt(0)
	v_mul_f64 v[85:86], v[173:174], v[87:88]
	v_fma_f64 v[85:86], v[171:172], v[169:170], -v[85:86]
	v_mul_f64 v[171:172], v[171:172], v[87:88]
	v_add_f64 v[77:78], v[77:78], -v[85:86]
	v_fma_f64 v[171:172], v[173:174], v[169:170], v[171:172]
	v_add_f64 v[79:80], v[79:80], -v[171:172]
	ds_read2_b64 v[171:174], v253 offset0:46 offset1:47
	s_waitcnt lgkmcnt(0)
	v_mul_f64 v[85:86], v[173:174], v[87:88]
	v_fma_f64 v[85:86], v[171:172], v[169:170], -v[85:86]
	v_mul_f64 v[171:172], v[171:172], v[87:88]
	v_add_f64 v[73:74], v[73:74], -v[85:86]
	v_fma_f64 v[171:172], v[173:174], v[169:170], v[171:172]
	v_add_f64 v[75:76], v[75:76], -v[171:172]
	ds_read2_b64 v[171:174], v253 offset0:48 offset1:49
	s_waitcnt lgkmcnt(0)
	v_mul_f64 v[85:86], v[173:174], v[87:88]
	v_fma_f64 v[85:86], v[171:172], v[169:170], -v[85:86]
	v_mul_f64 v[171:172], v[171:172], v[87:88]
	v_add_f64 v[69:70], v[69:70], -v[85:86]
	v_fma_f64 v[171:172], v[173:174], v[169:170], v[171:172]
	v_add_f64 v[71:72], v[71:72], -v[171:172]
	ds_read2_b64 v[171:174], v253 offset0:50 offset1:51
	s_waitcnt lgkmcnt(0)
	v_mul_f64 v[85:86], v[173:174], v[87:88]
	v_fma_f64 v[85:86], v[171:172], v[169:170], -v[85:86]
	v_mul_f64 v[171:172], v[171:172], v[87:88]
	v_add_f64 v[65:66], v[65:66], -v[85:86]
	v_fma_f64 v[171:172], v[173:174], v[169:170], v[171:172]
	v_add_f64 v[67:68], v[67:68], -v[171:172]
	ds_read2_b64 v[171:174], v253 offset0:52 offset1:53
	s_waitcnt lgkmcnt(0)
	v_mul_f64 v[85:86], v[173:174], v[87:88]
	v_fma_f64 v[85:86], v[171:172], v[169:170], -v[85:86]
	v_mul_f64 v[171:172], v[171:172], v[87:88]
	v_add_f64 v[61:62], v[61:62], -v[85:86]
	v_fma_f64 v[171:172], v[173:174], v[169:170], v[171:172]
	v_add_f64 v[63:64], v[63:64], -v[171:172]
	ds_read2_b64 v[171:174], v253 offset0:54 offset1:55
	s_waitcnt lgkmcnt(0)
	v_mul_f64 v[85:86], v[173:174], v[87:88]
	v_fma_f64 v[85:86], v[171:172], v[169:170], -v[85:86]
	v_mul_f64 v[171:172], v[171:172], v[87:88]
	v_add_f64 v[57:58], v[57:58], -v[85:86]
	v_fma_f64 v[171:172], v[173:174], v[169:170], v[171:172]
	v_add_f64 v[59:60], v[59:60], -v[171:172]
	ds_read2_b64 v[171:174], v253 offset0:56 offset1:57
	s_waitcnt lgkmcnt(0)
	v_mul_f64 v[85:86], v[173:174], v[87:88]
	v_fma_f64 v[85:86], v[171:172], v[169:170], -v[85:86]
	v_mul_f64 v[171:172], v[171:172], v[87:88]
	v_add_f64 v[53:54], v[53:54], -v[85:86]
	v_fma_f64 v[171:172], v[173:174], v[169:170], v[171:172]
	v_add_f64 v[55:56], v[55:56], -v[171:172]
	ds_read2_b64 v[171:174], v253 offset0:58 offset1:59
	s_waitcnt lgkmcnt(0)
	v_mul_f64 v[85:86], v[173:174], v[87:88]
	v_fma_f64 v[85:86], v[171:172], v[169:170], -v[85:86]
	v_mul_f64 v[171:172], v[171:172], v[87:88]
	v_add_f64 v[49:50], v[49:50], -v[85:86]
	v_fma_f64 v[171:172], v[173:174], v[169:170], v[171:172]
	v_add_f64 v[51:52], v[51:52], -v[171:172]
	ds_read2_b64 v[171:174], v253 offset0:60 offset1:61
	s_waitcnt lgkmcnt(0)
	v_mul_f64 v[85:86], v[173:174], v[87:88]
	v_fma_f64 v[85:86], v[171:172], v[169:170], -v[85:86]
	v_mul_f64 v[171:172], v[171:172], v[87:88]
	v_add_f64 v[45:46], v[45:46], -v[85:86]
	v_fma_f64 v[171:172], v[173:174], v[169:170], v[171:172]
	v_add_f64 v[47:48], v[47:48], -v[171:172]
	ds_read2_b64 v[171:174], v253 offset0:62 offset1:63
	s_waitcnt lgkmcnt(0)
	v_mul_f64 v[85:86], v[173:174], v[87:88]
	v_fma_f64 v[85:86], v[171:172], v[169:170], -v[85:86]
	v_mul_f64 v[171:172], v[171:172], v[87:88]
	v_add_f64 v[41:42], v[41:42], -v[85:86]
	v_fma_f64 v[171:172], v[173:174], v[169:170], v[171:172]
	v_add_f64 v[43:44], v[43:44], -v[171:172]
	ds_read2_b64 v[171:174], v253 offset0:64 offset1:65
	s_waitcnt lgkmcnt(0)
	v_mul_f64 v[85:86], v[173:174], v[87:88]
	v_fma_f64 v[85:86], v[171:172], v[169:170], -v[85:86]
	v_mul_f64 v[171:172], v[171:172], v[87:88]
	v_add_f64 v[37:38], v[37:38], -v[85:86]
	v_fma_f64 v[171:172], v[173:174], v[169:170], v[171:172]
	v_add_f64 v[39:40], v[39:40], -v[171:172]
	ds_read2_b64 v[171:174], v253 offset0:66 offset1:67
	s_waitcnt lgkmcnt(0)
	v_mul_f64 v[85:86], v[173:174], v[87:88]
	v_fma_f64 v[85:86], v[171:172], v[169:170], -v[85:86]
	v_mul_f64 v[171:172], v[171:172], v[87:88]
	v_add_f64 v[33:34], v[33:34], -v[85:86]
	v_fma_f64 v[171:172], v[173:174], v[169:170], v[171:172]
	v_add_f64 v[35:36], v[35:36], -v[171:172]
	ds_read2_b64 v[171:174], v253 offset0:68 offset1:69
	s_waitcnt lgkmcnt(0)
	v_mul_f64 v[85:86], v[173:174], v[87:88]
	v_fma_f64 v[85:86], v[171:172], v[169:170], -v[85:86]
	v_mul_f64 v[171:172], v[171:172], v[87:88]
	v_add_f64 v[29:30], v[29:30], -v[85:86]
	v_fma_f64 v[171:172], v[173:174], v[169:170], v[171:172]
	v_add_f64 v[31:32], v[31:32], -v[171:172]
	ds_read2_b64 v[171:174], v253 offset0:70 offset1:71
	s_waitcnt lgkmcnt(0)
	v_mul_f64 v[85:86], v[173:174], v[87:88]
	v_fma_f64 v[85:86], v[171:172], v[169:170], -v[85:86]
	v_mul_f64 v[171:172], v[171:172], v[87:88]
	v_add_f64 v[25:26], v[25:26], -v[85:86]
	v_fma_f64 v[171:172], v[173:174], v[169:170], v[171:172]
	v_add_f64 v[27:28], v[27:28], -v[171:172]
	ds_read2_b64 v[171:174], v253 offset0:72 offset1:73
	s_waitcnt lgkmcnt(0)
	v_mul_f64 v[85:86], v[173:174], v[87:88]
	v_fma_f64 v[85:86], v[171:172], v[169:170], -v[85:86]
	v_mul_f64 v[171:172], v[171:172], v[87:88]
	v_add_f64 v[21:22], v[21:22], -v[85:86]
	v_fma_f64 v[171:172], v[173:174], v[169:170], v[171:172]
	v_add_f64 v[23:24], v[23:24], -v[171:172]
	ds_read2_b64 v[171:174], v253 offset0:74 offset1:75
	s_waitcnt lgkmcnt(0)
	v_mul_f64 v[85:86], v[173:174], v[87:88]
	v_fma_f64 v[85:86], v[171:172], v[169:170], -v[85:86]
	v_mul_f64 v[171:172], v[171:172], v[87:88]
	v_add_f64 v[17:18], v[17:18], -v[85:86]
	v_fma_f64 v[171:172], v[173:174], v[169:170], v[171:172]
	v_add_f64 v[19:20], v[19:20], -v[171:172]
	ds_read2_b64 v[171:174], v253 offset0:76 offset1:77
	s_waitcnt lgkmcnt(0)
	v_mul_f64 v[85:86], v[173:174], v[87:88]
	v_fma_f64 v[85:86], v[171:172], v[169:170], -v[85:86]
	v_mul_f64 v[171:172], v[171:172], v[87:88]
	v_add_f64 v[13:14], v[13:14], -v[85:86]
	v_fma_f64 v[171:172], v[173:174], v[169:170], v[171:172]
	v_add_f64 v[15:16], v[15:16], -v[171:172]
	ds_read2_b64 v[171:174], v253 offset0:78 offset1:79
	s_waitcnt lgkmcnt(0)
	v_mul_f64 v[85:86], v[173:174], v[87:88]
	v_fma_f64 v[85:86], v[171:172], v[169:170], -v[85:86]
	v_mul_f64 v[171:172], v[171:172], v[87:88]
	v_add_f64 v[9:10], v[9:10], -v[85:86]
	v_fma_f64 v[171:172], v[173:174], v[169:170], v[171:172]
	v_add_f64 v[11:12], v[11:12], -v[171:172]
	ds_read2_b64 v[171:174], v253 offset0:80 offset1:81
	s_waitcnt lgkmcnt(0)
	v_mul_f64 v[85:86], v[173:174], v[87:88]
	v_fma_f64 v[85:86], v[171:172], v[169:170], -v[85:86]
	v_mul_f64 v[171:172], v[171:172], v[87:88]
	v_add_f64 v[5:6], v[5:6], -v[85:86]
	v_fma_f64 v[171:172], v[173:174], v[169:170], v[171:172]
	v_add_f64 v[7:8], v[7:8], -v[171:172]
	ds_read2_b64 v[171:174], v253 offset0:82 offset1:83
	s_waitcnt lgkmcnt(0)
	v_mul_f64 v[85:86], v[173:174], v[87:88]
	v_fma_f64 v[85:86], v[171:172], v[169:170], -v[85:86]
	v_mul_f64 v[171:172], v[171:172], v[87:88]
	v_add_f64 v[1:2], v[1:2], -v[85:86]
	v_fma_f64 v[171:172], v[173:174], v[169:170], v[171:172]
	v_mov_b32_e32 v85, v169
	v_mov_b32_e32 v86, v170
	v_add_f64 v[3:4], v[3:4], -v[171:172]
.LBB83_190:
	s_or_b32 exec_lo, exec_lo, s1
	s_mov_b32 s2, exec_lo
	s_waitcnt_vscnt null, 0x0
	s_barrier
	buffer_gl0_inv
	v_cmpx_eq_u32_e32 21, v0
	s_cbranch_execz .LBB83_197
; %bb.191:
	ds_write2_b64 v255, v[81:82], v[83:84] offset1:1
	ds_write2_b64 v253, v[77:78], v[79:80] offset0:44 offset1:45
	ds_write2_b64 v253, v[73:74], v[75:76] offset0:46 offset1:47
	;; [unrolled: 1-line block ×20, first 2 shown]
	ds_read2_b64 v[169:172], v255 offset1:1
	s_waitcnt lgkmcnt(0)
	v_cmp_neq_f64_e32 vcc_lo, 0, v[169:170]
	v_cmp_neq_f64_e64 s1, 0, v[171:172]
	s_or_b32 s1, vcc_lo, s1
	s_and_b32 exec_lo, exec_lo, s1
	s_cbranch_execz .LBB83_197
; %bb.192:
	v_cmp_ngt_f64_e64 s1, |v[169:170]|, |v[171:172]|
                                        ; implicit-def: $vgpr173_vgpr174
	s_and_saveexec_b32 s3, s1
	s_xor_b32 s1, exec_lo, s3
                                        ; implicit-def: $vgpr175_vgpr176
	s_cbranch_execz .LBB83_194
; %bb.193:
	v_div_scale_f64 v[173:174], null, v[171:172], v[171:172], v[169:170]
	v_div_scale_f64 v[179:180], vcc_lo, v[169:170], v[171:172], v[169:170]
	v_rcp_f64_e32 v[175:176], v[173:174]
	v_fma_f64 v[177:178], -v[173:174], v[175:176], 1.0
	v_fma_f64 v[175:176], v[175:176], v[177:178], v[175:176]
	v_fma_f64 v[177:178], -v[173:174], v[175:176], 1.0
	v_fma_f64 v[175:176], v[175:176], v[177:178], v[175:176]
	v_mul_f64 v[177:178], v[179:180], v[175:176]
	v_fma_f64 v[173:174], -v[173:174], v[177:178], v[179:180]
	v_div_fmas_f64 v[173:174], v[173:174], v[175:176], v[177:178]
	v_div_fixup_f64 v[173:174], v[173:174], v[171:172], v[169:170]
	v_fma_f64 v[169:170], v[169:170], v[173:174], v[171:172]
	v_div_scale_f64 v[171:172], null, v[169:170], v[169:170], 1.0
	v_rcp_f64_e32 v[175:176], v[171:172]
	v_fma_f64 v[177:178], -v[171:172], v[175:176], 1.0
	v_fma_f64 v[175:176], v[175:176], v[177:178], v[175:176]
	v_fma_f64 v[177:178], -v[171:172], v[175:176], 1.0
	v_fma_f64 v[175:176], v[175:176], v[177:178], v[175:176]
	v_div_scale_f64 v[177:178], vcc_lo, 1.0, v[169:170], 1.0
	v_mul_f64 v[179:180], v[177:178], v[175:176]
	v_fma_f64 v[171:172], -v[171:172], v[179:180], v[177:178]
	v_div_fmas_f64 v[171:172], v[171:172], v[175:176], v[179:180]
	v_div_fixup_f64 v[175:176], v[171:172], v[169:170], 1.0
                                        ; implicit-def: $vgpr169_vgpr170
	v_mul_f64 v[173:174], v[173:174], v[175:176]
	v_xor_b32_e32 v176, 0x80000000, v176
.LBB83_194:
	s_andn2_saveexec_b32 s1, s1
	s_cbranch_execz .LBB83_196
; %bb.195:
	v_div_scale_f64 v[173:174], null, v[169:170], v[169:170], v[171:172]
	v_div_scale_f64 v[179:180], vcc_lo, v[171:172], v[169:170], v[171:172]
	v_rcp_f64_e32 v[175:176], v[173:174]
	v_fma_f64 v[177:178], -v[173:174], v[175:176], 1.0
	v_fma_f64 v[175:176], v[175:176], v[177:178], v[175:176]
	v_fma_f64 v[177:178], -v[173:174], v[175:176], 1.0
	v_fma_f64 v[175:176], v[175:176], v[177:178], v[175:176]
	v_mul_f64 v[177:178], v[179:180], v[175:176]
	v_fma_f64 v[173:174], -v[173:174], v[177:178], v[179:180]
	v_div_fmas_f64 v[173:174], v[173:174], v[175:176], v[177:178]
	v_div_fixup_f64 v[175:176], v[173:174], v[169:170], v[171:172]
	v_fma_f64 v[169:170], v[171:172], v[175:176], v[169:170]
	v_div_scale_f64 v[171:172], null, v[169:170], v[169:170], 1.0
	v_rcp_f64_e32 v[173:174], v[171:172]
	v_fma_f64 v[177:178], -v[171:172], v[173:174], 1.0
	v_fma_f64 v[173:174], v[173:174], v[177:178], v[173:174]
	v_fma_f64 v[177:178], -v[171:172], v[173:174], 1.0
	v_fma_f64 v[173:174], v[173:174], v[177:178], v[173:174]
	v_div_scale_f64 v[177:178], vcc_lo, 1.0, v[169:170], 1.0
	v_mul_f64 v[179:180], v[177:178], v[173:174]
	v_fma_f64 v[171:172], -v[171:172], v[179:180], v[177:178]
	v_div_fmas_f64 v[171:172], v[171:172], v[173:174], v[179:180]
	v_div_fixup_f64 v[173:174], v[171:172], v[169:170], 1.0
	v_mul_f64 v[175:176], v[175:176], -v[173:174]
.LBB83_196:
	s_or_b32 exec_lo, exec_lo, s1
	ds_write2_b64 v255, v[173:174], v[175:176] offset1:1
.LBB83_197:
	s_or_b32 exec_lo, exec_lo, s2
	s_waitcnt lgkmcnt(0)
	s_barrier
	buffer_gl0_inv
	ds_read2_b64 v[169:172], v255 offset1:1
	s_mov_b32 s1, exec_lo
	s_waitcnt lgkmcnt(0)
	buffer_store_dword v169, off, s[16:19], 0 offset:704 ; 4-byte Folded Spill
	buffer_store_dword v170, off, s[16:19], 0 offset:708 ; 4-byte Folded Spill
	;; [unrolled: 1-line block ×4, first 2 shown]
	v_cmpx_lt_u32_e32 21, v0
	s_cbranch_execz .LBB83_199
; %bb.198:
	s_clause 0x3
	buffer_load_dword v169, off, s[16:19], 0 offset:704
	buffer_load_dword v170, off, s[16:19], 0 offset:708
	;; [unrolled: 1-line block ×4, first 2 shown]
	ds_read2_b64 v[175:178], v253 offset0:44 offset1:45
	s_waitcnt vmcnt(0)
	v_mul_f64 v[173:174], v[171:172], v[83:84]
	v_mul_f64 v[83:84], v[169:170], v[83:84]
	v_fma_f64 v[173:174], v[169:170], v[81:82], -v[173:174]
	v_fma_f64 v[83:84], v[171:172], v[81:82], v[83:84]
	s_waitcnt lgkmcnt(0)
	v_mul_f64 v[81:82], v[177:178], v[83:84]
	v_fma_f64 v[81:82], v[175:176], v[173:174], -v[81:82]
	v_mul_f64 v[175:176], v[175:176], v[83:84]
	v_add_f64 v[77:78], v[77:78], -v[81:82]
	v_fma_f64 v[175:176], v[177:178], v[173:174], v[175:176]
	v_add_f64 v[79:80], v[79:80], -v[175:176]
	ds_read2_b64 v[175:178], v253 offset0:46 offset1:47
	s_waitcnt lgkmcnt(0)
	v_mul_f64 v[81:82], v[177:178], v[83:84]
	v_fma_f64 v[81:82], v[175:176], v[173:174], -v[81:82]
	v_mul_f64 v[175:176], v[175:176], v[83:84]
	v_add_f64 v[73:74], v[73:74], -v[81:82]
	v_fma_f64 v[175:176], v[177:178], v[173:174], v[175:176]
	v_add_f64 v[75:76], v[75:76], -v[175:176]
	ds_read2_b64 v[175:178], v253 offset0:48 offset1:49
	;; [unrolled: 8-line block ×19, first 2 shown]
	s_waitcnt lgkmcnt(0)
	v_mul_f64 v[81:82], v[177:178], v[83:84]
	v_fma_f64 v[81:82], v[175:176], v[173:174], -v[81:82]
	v_mul_f64 v[175:176], v[175:176], v[83:84]
	v_add_f64 v[1:2], v[1:2], -v[81:82]
	v_fma_f64 v[175:176], v[177:178], v[173:174], v[175:176]
	v_mov_b32_e32 v81, v173
	v_mov_b32_e32 v82, v174
	v_add_f64 v[3:4], v[3:4], -v[175:176]
.LBB83_199:
	s_or_b32 exec_lo, exec_lo, s1
	s_mov_b32 s2, exec_lo
	s_waitcnt_vscnt null, 0x0
	s_barrier
	buffer_gl0_inv
	v_cmpx_eq_u32_e32 22, v0
	s_cbranch_execz .LBB83_206
; %bb.200:
	ds_write2_b64 v255, v[77:78], v[79:80] offset1:1
	ds_write2_b64 v253, v[73:74], v[75:76] offset0:46 offset1:47
	ds_write2_b64 v253, v[69:70], v[71:72] offset0:48 offset1:49
	;; [unrolled: 1-line block ×19, first 2 shown]
	ds_read2_b64 v[173:176], v255 offset1:1
	s_waitcnt lgkmcnt(0)
	v_cmp_neq_f64_e32 vcc_lo, 0, v[173:174]
	v_cmp_neq_f64_e64 s1, 0, v[175:176]
	s_or_b32 s1, vcc_lo, s1
	s_and_b32 exec_lo, exec_lo, s1
	s_cbranch_execz .LBB83_206
; %bb.201:
	v_cmp_ngt_f64_e64 s1, |v[173:174]|, |v[175:176]|
                                        ; implicit-def: $vgpr177_vgpr178
	s_and_saveexec_b32 s3, s1
	s_xor_b32 s1, exec_lo, s3
                                        ; implicit-def: $vgpr179_vgpr180
	s_cbranch_execz .LBB83_203
; %bb.202:
	v_div_scale_f64 v[177:178], null, v[175:176], v[175:176], v[173:174]
	v_div_scale_f64 v[183:184], vcc_lo, v[173:174], v[175:176], v[173:174]
	v_rcp_f64_e32 v[179:180], v[177:178]
	v_fma_f64 v[181:182], -v[177:178], v[179:180], 1.0
	v_fma_f64 v[179:180], v[179:180], v[181:182], v[179:180]
	v_fma_f64 v[181:182], -v[177:178], v[179:180], 1.0
	v_fma_f64 v[179:180], v[179:180], v[181:182], v[179:180]
	v_mul_f64 v[181:182], v[183:184], v[179:180]
	v_fma_f64 v[177:178], -v[177:178], v[181:182], v[183:184]
	v_div_fmas_f64 v[177:178], v[177:178], v[179:180], v[181:182]
	v_div_fixup_f64 v[177:178], v[177:178], v[175:176], v[173:174]
	v_fma_f64 v[173:174], v[173:174], v[177:178], v[175:176]
	v_div_scale_f64 v[175:176], null, v[173:174], v[173:174], 1.0
	v_rcp_f64_e32 v[179:180], v[175:176]
	v_fma_f64 v[181:182], -v[175:176], v[179:180], 1.0
	v_fma_f64 v[179:180], v[179:180], v[181:182], v[179:180]
	v_fma_f64 v[181:182], -v[175:176], v[179:180], 1.0
	v_fma_f64 v[179:180], v[179:180], v[181:182], v[179:180]
	v_div_scale_f64 v[181:182], vcc_lo, 1.0, v[173:174], 1.0
	v_mul_f64 v[183:184], v[181:182], v[179:180]
	v_fma_f64 v[175:176], -v[175:176], v[183:184], v[181:182]
	v_div_fmas_f64 v[175:176], v[175:176], v[179:180], v[183:184]
	v_div_fixup_f64 v[179:180], v[175:176], v[173:174], 1.0
                                        ; implicit-def: $vgpr173_vgpr174
	v_mul_f64 v[177:178], v[177:178], v[179:180]
	v_xor_b32_e32 v180, 0x80000000, v180
.LBB83_203:
	s_andn2_saveexec_b32 s1, s1
	s_cbranch_execz .LBB83_205
; %bb.204:
	v_div_scale_f64 v[177:178], null, v[173:174], v[173:174], v[175:176]
	v_div_scale_f64 v[183:184], vcc_lo, v[175:176], v[173:174], v[175:176]
	v_rcp_f64_e32 v[179:180], v[177:178]
	v_fma_f64 v[181:182], -v[177:178], v[179:180], 1.0
	v_fma_f64 v[179:180], v[179:180], v[181:182], v[179:180]
	v_fma_f64 v[181:182], -v[177:178], v[179:180], 1.0
	v_fma_f64 v[179:180], v[179:180], v[181:182], v[179:180]
	v_mul_f64 v[181:182], v[183:184], v[179:180]
	v_fma_f64 v[177:178], -v[177:178], v[181:182], v[183:184]
	v_div_fmas_f64 v[177:178], v[177:178], v[179:180], v[181:182]
	v_div_fixup_f64 v[179:180], v[177:178], v[173:174], v[175:176]
	v_fma_f64 v[173:174], v[175:176], v[179:180], v[173:174]
	v_div_scale_f64 v[175:176], null, v[173:174], v[173:174], 1.0
	v_rcp_f64_e32 v[177:178], v[175:176]
	v_fma_f64 v[181:182], -v[175:176], v[177:178], 1.0
	v_fma_f64 v[177:178], v[177:178], v[181:182], v[177:178]
	v_fma_f64 v[181:182], -v[175:176], v[177:178], 1.0
	v_fma_f64 v[177:178], v[177:178], v[181:182], v[177:178]
	v_div_scale_f64 v[181:182], vcc_lo, 1.0, v[173:174], 1.0
	v_mul_f64 v[183:184], v[181:182], v[177:178]
	v_fma_f64 v[175:176], -v[175:176], v[183:184], v[181:182]
	v_div_fmas_f64 v[175:176], v[175:176], v[177:178], v[183:184]
	v_div_fixup_f64 v[177:178], v[175:176], v[173:174], 1.0
	v_mul_f64 v[179:180], v[179:180], -v[177:178]
.LBB83_205:
	s_or_b32 exec_lo, exec_lo, s1
	ds_write2_b64 v255, v[177:178], v[179:180] offset1:1
.LBB83_206:
	s_or_b32 exec_lo, exec_lo, s2
	s_waitcnt lgkmcnt(0)
	s_barrier
	buffer_gl0_inv
	ds_read2_b64 v[173:176], v255 offset1:1
	s_mov_b32 s1, exec_lo
	v_cmpx_lt_u32_e32 22, v0
	s_cbranch_execz .LBB83_208
; %bb.207:
	s_waitcnt lgkmcnt(0)
	v_mul_f64 v[177:178], v[175:176], v[79:80]
	v_mul_f64 v[79:80], v[173:174], v[79:80]
	ds_read2_b64 v[179:182], v253 offset0:46 offset1:47
	v_fma_f64 v[177:178], v[173:174], v[77:78], -v[177:178]
	v_fma_f64 v[79:80], v[175:176], v[77:78], v[79:80]
	s_waitcnt lgkmcnt(0)
	v_mul_f64 v[77:78], v[181:182], v[79:80]
	v_fma_f64 v[77:78], v[179:180], v[177:178], -v[77:78]
	v_mul_f64 v[179:180], v[179:180], v[79:80]
	v_add_f64 v[73:74], v[73:74], -v[77:78]
	v_fma_f64 v[179:180], v[181:182], v[177:178], v[179:180]
	v_add_f64 v[75:76], v[75:76], -v[179:180]
	ds_read2_b64 v[179:182], v253 offset0:48 offset1:49
	s_waitcnt lgkmcnt(0)
	v_mul_f64 v[77:78], v[181:182], v[79:80]
	v_fma_f64 v[77:78], v[179:180], v[177:178], -v[77:78]
	v_mul_f64 v[179:180], v[179:180], v[79:80]
	v_add_f64 v[69:70], v[69:70], -v[77:78]
	v_fma_f64 v[179:180], v[181:182], v[177:178], v[179:180]
	v_add_f64 v[71:72], v[71:72], -v[179:180]
	ds_read2_b64 v[179:182], v253 offset0:50 offset1:51
	;; [unrolled: 8-line block ×18, first 2 shown]
	s_waitcnt lgkmcnt(0)
	v_mul_f64 v[77:78], v[181:182], v[79:80]
	v_fma_f64 v[77:78], v[179:180], v[177:178], -v[77:78]
	v_mul_f64 v[179:180], v[179:180], v[79:80]
	v_add_f64 v[1:2], v[1:2], -v[77:78]
	v_fma_f64 v[179:180], v[181:182], v[177:178], v[179:180]
	v_mov_b32_e32 v77, v177
	v_mov_b32_e32 v78, v178
	v_add_f64 v[3:4], v[3:4], -v[179:180]
.LBB83_208:
	s_or_b32 exec_lo, exec_lo, s1
	s_mov_b32 s2, exec_lo
	s_waitcnt lgkmcnt(0)
	s_barrier
	buffer_gl0_inv
	v_cmpx_eq_u32_e32 23, v0
	s_cbranch_execz .LBB83_215
; %bb.209:
	ds_write2_b64 v255, v[73:74], v[75:76] offset1:1
	ds_write2_b64 v253, v[69:70], v[71:72] offset0:48 offset1:49
	ds_write2_b64 v253, v[65:66], v[67:68] offset0:50 offset1:51
	;; [unrolled: 1-line block ×18, first 2 shown]
	ds_read2_b64 v[177:180], v255 offset1:1
	s_waitcnt lgkmcnt(0)
	v_cmp_neq_f64_e32 vcc_lo, 0, v[177:178]
	v_cmp_neq_f64_e64 s1, 0, v[179:180]
	s_or_b32 s1, vcc_lo, s1
	s_and_b32 exec_lo, exec_lo, s1
	s_cbranch_execz .LBB83_215
; %bb.210:
	v_cmp_ngt_f64_e64 s1, |v[177:178]|, |v[179:180]|
                                        ; implicit-def: $vgpr181_vgpr182
	s_and_saveexec_b32 s3, s1
	s_xor_b32 s1, exec_lo, s3
                                        ; implicit-def: $vgpr183_vgpr184
	s_cbranch_execz .LBB83_212
; %bb.211:
	v_div_scale_f64 v[181:182], null, v[179:180], v[179:180], v[177:178]
	v_div_scale_f64 v[187:188], vcc_lo, v[177:178], v[179:180], v[177:178]
	v_rcp_f64_e32 v[183:184], v[181:182]
	v_fma_f64 v[185:186], -v[181:182], v[183:184], 1.0
	v_fma_f64 v[183:184], v[183:184], v[185:186], v[183:184]
	v_fma_f64 v[185:186], -v[181:182], v[183:184], 1.0
	v_fma_f64 v[183:184], v[183:184], v[185:186], v[183:184]
	v_mul_f64 v[185:186], v[187:188], v[183:184]
	v_fma_f64 v[181:182], -v[181:182], v[185:186], v[187:188]
	v_div_fmas_f64 v[181:182], v[181:182], v[183:184], v[185:186]
	v_div_fixup_f64 v[181:182], v[181:182], v[179:180], v[177:178]
	v_fma_f64 v[177:178], v[177:178], v[181:182], v[179:180]
	v_div_scale_f64 v[179:180], null, v[177:178], v[177:178], 1.0
	v_rcp_f64_e32 v[183:184], v[179:180]
	v_fma_f64 v[185:186], -v[179:180], v[183:184], 1.0
	v_fma_f64 v[183:184], v[183:184], v[185:186], v[183:184]
	v_fma_f64 v[185:186], -v[179:180], v[183:184], 1.0
	v_fma_f64 v[183:184], v[183:184], v[185:186], v[183:184]
	v_div_scale_f64 v[185:186], vcc_lo, 1.0, v[177:178], 1.0
	v_mul_f64 v[187:188], v[185:186], v[183:184]
	v_fma_f64 v[179:180], -v[179:180], v[187:188], v[185:186]
	v_div_fmas_f64 v[179:180], v[179:180], v[183:184], v[187:188]
	v_div_fixup_f64 v[183:184], v[179:180], v[177:178], 1.0
                                        ; implicit-def: $vgpr177_vgpr178
	v_mul_f64 v[181:182], v[181:182], v[183:184]
	v_xor_b32_e32 v184, 0x80000000, v184
.LBB83_212:
	s_andn2_saveexec_b32 s1, s1
	s_cbranch_execz .LBB83_214
; %bb.213:
	v_div_scale_f64 v[181:182], null, v[177:178], v[177:178], v[179:180]
	v_div_scale_f64 v[187:188], vcc_lo, v[179:180], v[177:178], v[179:180]
	v_rcp_f64_e32 v[183:184], v[181:182]
	v_fma_f64 v[185:186], -v[181:182], v[183:184], 1.0
	v_fma_f64 v[183:184], v[183:184], v[185:186], v[183:184]
	v_fma_f64 v[185:186], -v[181:182], v[183:184], 1.0
	v_fma_f64 v[183:184], v[183:184], v[185:186], v[183:184]
	v_mul_f64 v[185:186], v[187:188], v[183:184]
	v_fma_f64 v[181:182], -v[181:182], v[185:186], v[187:188]
	v_div_fmas_f64 v[181:182], v[181:182], v[183:184], v[185:186]
	v_div_fixup_f64 v[183:184], v[181:182], v[177:178], v[179:180]
	v_fma_f64 v[177:178], v[179:180], v[183:184], v[177:178]
	v_div_scale_f64 v[179:180], null, v[177:178], v[177:178], 1.0
	v_rcp_f64_e32 v[181:182], v[179:180]
	v_fma_f64 v[185:186], -v[179:180], v[181:182], 1.0
	v_fma_f64 v[181:182], v[181:182], v[185:186], v[181:182]
	v_fma_f64 v[185:186], -v[179:180], v[181:182], 1.0
	v_fma_f64 v[181:182], v[181:182], v[185:186], v[181:182]
	v_div_scale_f64 v[185:186], vcc_lo, 1.0, v[177:178], 1.0
	v_mul_f64 v[187:188], v[185:186], v[181:182]
	v_fma_f64 v[179:180], -v[179:180], v[187:188], v[185:186]
	v_div_fmas_f64 v[179:180], v[179:180], v[181:182], v[187:188]
	v_div_fixup_f64 v[181:182], v[179:180], v[177:178], 1.0
	v_mul_f64 v[183:184], v[183:184], -v[181:182]
.LBB83_214:
	s_or_b32 exec_lo, exec_lo, s1
	ds_write2_b64 v255, v[181:182], v[183:184] offset1:1
.LBB83_215:
	s_or_b32 exec_lo, exec_lo, s2
	s_waitcnt lgkmcnt(0)
	s_barrier
	buffer_gl0_inv
	ds_read2_b64 v[177:180], v255 offset1:1
	s_mov_b32 s1, exec_lo
	v_cmpx_lt_u32_e32 23, v0
	s_cbranch_execz .LBB83_217
; %bb.216:
	s_waitcnt lgkmcnt(0)
	v_mul_f64 v[181:182], v[179:180], v[75:76]
	v_mul_f64 v[75:76], v[177:178], v[75:76]
	ds_read2_b64 v[183:186], v253 offset0:48 offset1:49
	v_fma_f64 v[181:182], v[177:178], v[73:74], -v[181:182]
	v_fma_f64 v[75:76], v[179:180], v[73:74], v[75:76]
	s_waitcnt lgkmcnt(0)
	v_mul_f64 v[73:74], v[185:186], v[75:76]
	v_fma_f64 v[73:74], v[183:184], v[181:182], -v[73:74]
	v_mul_f64 v[183:184], v[183:184], v[75:76]
	v_add_f64 v[69:70], v[69:70], -v[73:74]
	v_fma_f64 v[183:184], v[185:186], v[181:182], v[183:184]
	v_add_f64 v[71:72], v[71:72], -v[183:184]
	ds_read2_b64 v[183:186], v253 offset0:50 offset1:51
	s_waitcnt lgkmcnt(0)
	v_mul_f64 v[73:74], v[185:186], v[75:76]
	v_fma_f64 v[73:74], v[183:184], v[181:182], -v[73:74]
	v_mul_f64 v[183:184], v[183:184], v[75:76]
	v_add_f64 v[65:66], v[65:66], -v[73:74]
	v_fma_f64 v[183:184], v[185:186], v[181:182], v[183:184]
	v_add_f64 v[67:68], v[67:68], -v[183:184]
	ds_read2_b64 v[183:186], v253 offset0:52 offset1:53
	;; [unrolled: 8-line block ×17, first 2 shown]
	s_waitcnt lgkmcnt(0)
	v_mul_f64 v[73:74], v[185:186], v[75:76]
	v_fma_f64 v[73:74], v[183:184], v[181:182], -v[73:74]
	v_mul_f64 v[183:184], v[183:184], v[75:76]
	v_add_f64 v[1:2], v[1:2], -v[73:74]
	v_fma_f64 v[183:184], v[185:186], v[181:182], v[183:184]
	v_mov_b32_e32 v73, v181
	v_mov_b32_e32 v74, v182
	v_add_f64 v[3:4], v[3:4], -v[183:184]
.LBB83_217:
	s_or_b32 exec_lo, exec_lo, s1
	s_mov_b32 s2, exec_lo
	s_waitcnt lgkmcnt(0)
	s_barrier
	buffer_gl0_inv
	v_cmpx_eq_u32_e32 24, v0
	s_cbranch_execz .LBB83_224
; %bb.218:
	ds_write2_b64 v255, v[69:70], v[71:72] offset1:1
	ds_write2_b64 v253, v[65:66], v[67:68] offset0:50 offset1:51
	ds_write2_b64 v253, v[61:62], v[63:64] offset0:52 offset1:53
	;; [unrolled: 1-line block ×17, first 2 shown]
	ds_read2_b64 v[181:184], v255 offset1:1
	s_waitcnt lgkmcnt(0)
	v_cmp_neq_f64_e32 vcc_lo, 0, v[181:182]
	v_cmp_neq_f64_e64 s1, 0, v[183:184]
	s_or_b32 s1, vcc_lo, s1
	s_and_b32 exec_lo, exec_lo, s1
	s_cbranch_execz .LBB83_224
; %bb.219:
	v_cmp_ngt_f64_e64 s1, |v[181:182]|, |v[183:184]|
                                        ; implicit-def: $vgpr185_vgpr186
	s_and_saveexec_b32 s3, s1
	s_xor_b32 s1, exec_lo, s3
                                        ; implicit-def: $vgpr187_vgpr188
	s_cbranch_execz .LBB83_221
; %bb.220:
	v_div_scale_f64 v[185:186], null, v[183:184], v[183:184], v[181:182]
	v_div_scale_f64 v[191:192], vcc_lo, v[181:182], v[183:184], v[181:182]
	v_rcp_f64_e32 v[187:188], v[185:186]
	v_fma_f64 v[189:190], -v[185:186], v[187:188], 1.0
	v_fma_f64 v[187:188], v[187:188], v[189:190], v[187:188]
	v_fma_f64 v[189:190], -v[185:186], v[187:188], 1.0
	v_fma_f64 v[187:188], v[187:188], v[189:190], v[187:188]
	v_mul_f64 v[189:190], v[191:192], v[187:188]
	v_fma_f64 v[185:186], -v[185:186], v[189:190], v[191:192]
	v_div_fmas_f64 v[185:186], v[185:186], v[187:188], v[189:190]
	v_div_fixup_f64 v[185:186], v[185:186], v[183:184], v[181:182]
	v_fma_f64 v[181:182], v[181:182], v[185:186], v[183:184]
	v_div_scale_f64 v[183:184], null, v[181:182], v[181:182], 1.0
	v_rcp_f64_e32 v[187:188], v[183:184]
	v_fma_f64 v[189:190], -v[183:184], v[187:188], 1.0
	v_fma_f64 v[187:188], v[187:188], v[189:190], v[187:188]
	v_fma_f64 v[189:190], -v[183:184], v[187:188], 1.0
	v_fma_f64 v[187:188], v[187:188], v[189:190], v[187:188]
	v_div_scale_f64 v[189:190], vcc_lo, 1.0, v[181:182], 1.0
	v_mul_f64 v[191:192], v[189:190], v[187:188]
	v_fma_f64 v[183:184], -v[183:184], v[191:192], v[189:190]
	v_div_fmas_f64 v[183:184], v[183:184], v[187:188], v[191:192]
	v_div_fixup_f64 v[187:188], v[183:184], v[181:182], 1.0
                                        ; implicit-def: $vgpr181_vgpr182
	v_mul_f64 v[185:186], v[185:186], v[187:188]
	v_xor_b32_e32 v188, 0x80000000, v188
.LBB83_221:
	s_andn2_saveexec_b32 s1, s1
	s_cbranch_execz .LBB83_223
; %bb.222:
	v_div_scale_f64 v[185:186], null, v[181:182], v[181:182], v[183:184]
	v_div_scale_f64 v[191:192], vcc_lo, v[183:184], v[181:182], v[183:184]
	v_rcp_f64_e32 v[187:188], v[185:186]
	v_fma_f64 v[189:190], -v[185:186], v[187:188], 1.0
	v_fma_f64 v[187:188], v[187:188], v[189:190], v[187:188]
	v_fma_f64 v[189:190], -v[185:186], v[187:188], 1.0
	v_fma_f64 v[187:188], v[187:188], v[189:190], v[187:188]
	v_mul_f64 v[189:190], v[191:192], v[187:188]
	v_fma_f64 v[185:186], -v[185:186], v[189:190], v[191:192]
	v_div_fmas_f64 v[185:186], v[185:186], v[187:188], v[189:190]
	v_div_fixup_f64 v[187:188], v[185:186], v[181:182], v[183:184]
	v_fma_f64 v[181:182], v[183:184], v[187:188], v[181:182]
	v_div_scale_f64 v[183:184], null, v[181:182], v[181:182], 1.0
	v_rcp_f64_e32 v[185:186], v[183:184]
	v_fma_f64 v[189:190], -v[183:184], v[185:186], 1.0
	v_fma_f64 v[185:186], v[185:186], v[189:190], v[185:186]
	v_fma_f64 v[189:190], -v[183:184], v[185:186], 1.0
	v_fma_f64 v[185:186], v[185:186], v[189:190], v[185:186]
	v_div_scale_f64 v[189:190], vcc_lo, 1.0, v[181:182], 1.0
	v_mul_f64 v[191:192], v[189:190], v[185:186]
	v_fma_f64 v[183:184], -v[183:184], v[191:192], v[189:190]
	v_div_fmas_f64 v[183:184], v[183:184], v[185:186], v[191:192]
	v_div_fixup_f64 v[185:186], v[183:184], v[181:182], 1.0
	v_mul_f64 v[187:188], v[187:188], -v[185:186]
.LBB83_223:
	s_or_b32 exec_lo, exec_lo, s1
	ds_write2_b64 v255, v[185:186], v[187:188] offset1:1
.LBB83_224:
	s_or_b32 exec_lo, exec_lo, s2
	s_waitcnt lgkmcnt(0)
	s_barrier
	buffer_gl0_inv
	ds_read2_b64 v[181:184], v255 offset1:1
	s_mov_b32 s1, exec_lo
	v_cmpx_lt_u32_e32 24, v0
	s_cbranch_execz .LBB83_226
; %bb.225:
	s_waitcnt lgkmcnt(0)
	v_mul_f64 v[185:186], v[183:184], v[71:72]
	v_mul_f64 v[71:72], v[181:182], v[71:72]
	ds_read2_b64 v[187:190], v253 offset0:50 offset1:51
	v_fma_f64 v[185:186], v[181:182], v[69:70], -v[185:186]
	v_fma_f64 v[71:72], v[183:184], v[69:70], v[71:72]
	s_waitcnt lgkmcnt(0)
	v_mul_f64 v[69:70], v[189:190], v[71:72]
	v_fma_f64 v[69:70], v[187:188], v[185:186], -v[69:70]
	v_mul_f64 v[187:188], v[187:188], v[71:72]
	v_add_f64 v[65:66], v[65:66], -v[69:70]
	v_fma_f64 v[187:188], v[189:190], v[185:186], v[187:188]
	v_add_f64 v[67:68], v[67:68], -v[187:188]
	ds_read2_b64 v[187:190], v253 offset0:52 offset1:53
	s_waitcnt lgkmcnt(0)
	v_mul_f64 v[69:70], v[189:190], v[71:72]
	v_fma_f64 v[69:70], v[187:188], v[185:186], -v[69:70]
	v_mul_f64 v[187:188], v[187:188], v[71:72]
	v_add_f64 v[61:62], v[61:62], -v[69:70]
	v_fma_f64 v[187:188], v[189:190], v[185:186], v[187:188]
	v_add_f64 v[63:64], v[63:64], -v[187:188]
	ds_read2_b64 v[187:190], v253 offset0:54 offset1:55
	;; [unrolled: 8-line block ×16, first 2 shown]
	s_waitcnt lgkmcnt(0)
	v_mul_f64 v[69:70], v[189:190], v[71:72]
	v_fma_f64 v[69:70], v[187:188], v[185:186], -v[69:70]
	v_mul_f64 v[187:188], v[187:188], v[71:72]
	v_add_f64 v[1:2], v[1:2], -v[69:70]
	v_fma_f64 v[187:188], v[189:190], v[185:186], v[187:188]
	v_mov_b32_e32 v69, v185
	v_mov_b32_e32 v70, v186
	v_add_f64 v[3:4], v[3:4], -v[187:188]
.LBB83_226:
	s_or_b32 exec_lo, exec_lo, s1
	s_mov_b32 s2, exec_lo
	s_waitcnt lgkmcnt(0)
	s_barrier
	buffer_gl0_inv
	v_cmpx_eq_u32_e32 25, v0
	s_cbranch_execz .LBB83_233
; %bb.227:
	ds_write2_b64 v255, v[65:66], v[67:68] offset1:1
	ds_write2_b64 v253, v[61:62], v[63:64] offset0:52 offset1:53
	ds_write2_b64 v253, v[57:58], v[59:60] offset0:54 offset1:55
	;; [unrolled: 1-line block ×16, first 2 shown]
	ds_read2_b64 v[185:188], v255 offset1:1
	s_waitcnt lgkmcnt(0)
	v_cmp_neq_f64_e32 vcc_lo, 0, v[185:186]
	v_cmp_neq_f64_e64 s1, 0, v[187:188]
	s_or_b32 s1, vcc_lo, s1
	s_and_b32 exec_lo, exec_lo, s1
	s_cbranch_execz .LBB83_233
; %bb.228:
	v_cmp_ngt_f64_e64 s1, |v[185:186]|, |v[187:188]|
                                        ; implicit-def: $vgpr189_vgpr190
	s_and_saveexec_b32 s3, s1
	s_xor_b32 s1, exec_lo, s3
                                        ; implicit-def: $vgpr191_vgpr192
	s_cbranch_execz .LBB83_230
; %bb.229:
	v_div_scale_f64 v[189:190], null, v[187:188], v[187:188], v[185:186]
	v_div_scale_f64 v[195:196], vcc_lo, v[185:186], v[187:188], v[185:186]
	v_rcp_f64_e32 v[191:192], v[189:190]
	v_fma_f64 v[193:194], -v[189:190], v[191:192], 1.0
	v_fma_f64 v[191:192], v[191:192], v[193:194], v[191:192]
	v_fma_f64 v[193:194], -v[189:190], v[191:192], 1.0
	v_fma_f64 v[191:192], v[191:192], v[193:194], v[191:192]
	v_mul_f64 v[193:194], v[195:196], v[191:192]
	v_fma_f64 v[189:190], -v[189:190], v[193:194], v[195:196]
	v_div_fmas_f64 v[189:190], v[189:190], v[191:192], v[193:194]
	v_div_fixup_f64 v[189:190], v[189:190], v[187:188], v[185:186]
	v_fma_f64 v[185:186], v[185:186], v[189:190], v[187:188]
	v_div_scale_f64 v[187:188], null, v[185:186], v[185:186], 1.0
	v_rcp_f64_e32 v[191:192], v[187:188]
	v_fma_f64 v[193:194], -v[187:188], v[191:192], 1.0
	v_fma_f64 v[191:192], v[191:192], v[193:194], v[191:192]
	v_fma_f64 v[193:194], -v[187:188], v[191:192], 1.0
	v_fma_f64 v[191:192], v[191:192], v[193:194], v[191:192]
	v_div_scale_f64 v[193:194], vcc_lo, 1.0, v[185:186], 1.0
	v_mul_f64 v[195:196], v[193:194], v[191:192]
	v_fma_f64 v[187:188], -v[187:188], v[195:196], v[193:194]
	v_div_fmas_f64 v[187:188], v[187:188], v[191:192], v[195:196]
	v_div_fixup_f64 v[191:192], v[187:188], v[185:186], 1.0
                                        ; implicit-def: $vgpr185_vgpr186
	v_mul_f64 v[189:190], v[189:190], v[191:192]
	v_xor_b32_e32 v192, 0x80000000, v192
.LBB83_230:
	s_andn2_saveexec_b32 s1, s1
	s_cbranch_execz .LBB83_232
; %bb.231:
	v_div_scale_f64 v[189:190], null, v[185:186], v[185:186], v[187:188]
	v_div_scale_f64 v[195:196], vcc_lo, v[187:188], v[185:186], v[187:188]
	v_rcp_f64_e32 v[191:192], v[189:190]
	v_fma_f64 v[193:194], -v[189:190], v[191:192], 1.0
	v_fma_f64 v[191:192], v[191:192], v[193:194], v[191:192]
	v_fma_f64 v[193:194], -v[189:190], v[191:192], 1.0
	v_fma_f64 v[191:192], v[191:192], v[193:194], v[191:192]
	v_mul_f64 v[193:194], v[195:196], v[191:192]
	v_fma_f64 v[189:190], -v[189:190], v[193:194], v[195:196]
	v_div_fmas_f64 v[189:190], v[189:190], v[191:192], v[193:194]
	v_div_fixup_f64 v[191:192], v[189:190], v[185:186], v[187:188]
	v_fma_f64 v[185:186], v[187:188], v[191:192], v[185:186]
	v_div_scale_f64 v[187:188], null, v[185:186], v[185:186], 1.0
	v_rcp_f64_e32 v[189:190], v[187:188]
	v_fma_f64 v[193:194], -v[187:188], v[189:190], 1.0
	v_fma_f64 v[189:190], v[189:190], v[193:194], v[189:190]
	v_fma_f64 v[193:194], -v[187:188], v[189:190], 1.0
	v_fma_f64 v[189:190], v[189:190], v[193:194], v[189:190]
	v_div_scale_f64 v[193:194], vcc_lo, 1.0, v[185:186], 1.0
	v_mul_f64 v[195:196], v[193:194], v[189:190]
	v_fma_f64 v[187:188], -v[187:188], v[195:196], v[193:194]
	v_div_fmas_f64 v[187:188], v[187:188], v[189:190], v[195:196]
	v_div_fixup_f64 v[189:190], v[187:188], v[185:186], 1.0
	v_mul_f64 v[191:192], v[191:192], -v[189:190]
.LBB83_232:
	s_or_b32 exec_lo, exec_lo, s1
	ds_write2_b64 v255, v[189:190], v[191:192] offset1:1
.LBB83_233:
	s_or_b32 exec_lo, exec_lo, s2
	s_waitcnt lgkmcnt(0)
	s_barrier
	buffer_gl0_inv
	ds_read2_b64 v[185:188], v255 offset1:1
	s_mov_b32 s1, exec_lo
	v_cmpx_lt_u32_e32 25, v0
	s_cbranch_execz .LBB83_235
; %bb.234:
	s_waitcnt lgkmcnt(0)
	v_mul_f64 v[189:190], v[185:186], v[67:68]
	v_mul_f64 v[67:68], v[187:188], v[67:68]
	ds_read2_b64 v[191:194], v253 offset0:52 offset1:53
	v_fma_f64 v[189:190], v[187:188], v[65:66], v[189:190]
	v_fma_f64 v[65:66], v[185:186], v[65:66], -v[67:68]
	s_waitcnt lgkmcnt(0)
	v_mul_f64 v[67:68], v[193:194], v[189:190]
	v_fma_f64 v[67:68], v[191:192], v[65:66], -v[67:68]
	v_mul_f64 v[191:192], v[191:192], v[189:190]
	v_add_f64 v[61:62], v[61:62], -v[67:68]
	v_fma_f64 v[191:192], v[193:194], v[65:66], v[191:192]
	v_add_f64 v[63:64], v[63:64], -v[191:192]
	ds_read2_b64 v[191:194], v253 offset0:54 offset1:55
	s_waitcnt lgkmcnt(0)
	v_mul_f64 v[67:68], v[193:194], v[189:190]
	v_fma_f64 v[67:68], v[191:192], v[65:66], -v[67:68]
	v_mul_f64 v[191:192], v[191:192], v[189:190]
	v_add_f64 v[57:58], v[57:58], -v[67:68]
	v_fma_f64 v[191:192], v[193:194], v[65:66], v[191:192]
	v_add_f64 v[59:60], v[59:60], -v[191:192]
	ds_read2_b64 v[191:194], v253 offset0:56 offset1:57
	;; [unrolled: 8-line block ×15, first 2 shown]
	s_waitcnt lgkmcnt(0)
	v_mul_f64 v[67:68], v[193:194], v[189:190]
	v_fma_f64 v[67:68], v[191:192], v[65:66], -v[67:68]
	v_mul_f64 v[191:192], v[191:192], v[189:190]
	v_add_f64 v[1:2], v[1:2], -v[67:68]
	v_fma_f64 v[191:192], v[193:194], v[65:66], v[191:192]
	v_mov_b32_e32 v67, v189
	v_mov_b32_e32 v68, v190
	v_add_f64 v[3:4], v[3:4], -v[191:192]
.LBB83_235:
	s_or_b32 exec_lo, exec_lo, s1
	s_mov_b32 s2, exec_lo
	s_waitcnt lgkmcnt(0)
	s_barrier
	buffer_gl0_inv
	v_cmpx_eq_u32_e32 26, v0
	s_cbranch_execz .LBB83_242
; %bb.236:
	ds_write2_b64 v255, v[61:62], v[63:64] offset1:1
	ds_write2_b64 v253, v[57:58], v[59:60] offset0:54 offset1:55
	ds_write2_b64 v253, v[53:54], v[55:56] offset0:56 offset1:57
	;; [unrolled: 1-line block ×15, first 2 shown]
	ds_read2_b64 v[189:192], v255 offset1:1
	s_waitcnt lgkmcnt(0)
	v_cmp_neq_f64_e32 vcc_lo, 0, v[189:190]
	v_cmp_neq_f64_e64 s1, 0, v[191:192]
	s_or_b32 s1, vcc_lo, s1
	s_and_b32 exec_lo, exec_lo, s1
	s_cbranch_execz .LBB83_242
; %bb.237:
	v_cmp_ngt_f64_e64 s1, |v[189:190]|, |v[191:192]|
                                        ; implicit-def: $vgpr193_vgpr194
	s_and_saveexec_b32 s3, s1
	s_xor_b32 s1, exec_lo, s3
                                        ; implicit-def: $vgpr195_vgpr196
	s_cbranch_execz .LBB83_239
; %bb.238:
	v_div_scale_f64 v[193:194], null, v[191:192], v[191:192], v[189:190]
	v_div_scale_f64 v[199:200], vcc_lo, v[189:190], v[191:192], v[189:190]
	v_rcp_f64_e32 v[195:196], v[193:194]
	v_fma_f64 v[197:198], -v[193:194], v[195:196], 1.0
	v_fma_f64 v[195:196], v[195:196], v[197:198], v[195:196]
	v_fma_f64 v[197:198], -v[193:194], v[195:196], 1.0
	v_fma_f64 v[195:196], v[195:196], v[197:198], v[195:196]
	v_mul_f64 v[197:198], v[199:200], v[195:196]
	v_fma_f64 v[193:194], -v[193:194], v[197:198], v[199:200]
	v_div_fmas_f64 v[193:194], v[193:194], v[195:196], v[197:198]
	v_div_fixup_f64 v[193:194], v[193:194], v[191:192], v[189:190]
	v_fma_f64 v[189:190], v[189:190], v[193:194], v[191:192]
	v_div_scale_f64 v[191:192], null, v[189:190], v[189:190], 1.0
	v_rcp_f64_e32 v[195:196], v[191:192]
	v_fma_f64 v[197:198], -v[191:192], v[195:196], 1.0
	v_fma_f64 v[195:196], v[195:196], v[197:198], v[195:196]
	v_fma_f64 v[197:198], -v[191:192], v[195:196], 1.0
	v_fma_f64 v[195:196], v[195:196], v[197:198], v[195:196]
	v_div_scale_f64 v[197:198], vcc_lo, 1.0, v[189:190], 1.0
	v_mul_f64 v[199:200], v[197:198], v[195:196]
	v_fma_f64 v[191:192], -v[191:192], v[199:200], v[197:198]
	v_div_fmas_f64 v[191:192], v[191:192], v[195:196], v[199:200]
	v_div_fixup_f64 v[195:196], v[191:192], v[189:190], 1.0
                                        ; implicit-def: $vgpr189_vgpr190
	v_mul_f64 v[193:194], v[193:194], v[195:196]
	v_xor_b32_e32 v196, 0x80000000, v196
.LBB83_239:
	s_andn2_saveexec_b32 s1, s1
	s_cbranch_execz .LBB83_241
; %bb.240:
	v_div_scale_f64 v[193:194], null, v[189:190], v[189:190], v[191:192]
	v_div_scale_f64 v[199:200], vcc_lo, v[191:192], v[189:190], v[191:192]
	v_rcp_f64_e32 v[195:196], v[193:194]
	v_fma_f64 v[197:198], -v[193:194], v[195:196], 1.0
	v_fma_f64 v[195:196], v[195:196], v[197:198], v[195:196]
	v_fma_f64 v[197:198], -v[193:194], v[195:196], 1.0
	v_fma_f64 v[195:196], v[195:196], v[197:198], v[195:196]
	v_mul_f64 v[197:198], v[199:200], v[195:196]
	v_fma_f64 v[193:194], -v[193:194], v[197:198], v[199:200]
	v_div_fmas_f64 v[193:194], v[193:194], v[195:196], v[197:198]
	v_div_fixup_f64 v[195:196], v[193:194], v[189:190], v[191:192]
	v_fma_f64 v[189:190], v[191:192], v[195:196], v[189:190]
	v_div_scale_f64 v[191:192], null, v[189:190], v[189:190], 1.0
	v_rcp_f64_e32 v[193:194], v[191:192]
	v_fma_f64 v[197:198], -v[191:192], v[193:194], 1.0
	v_fma_f64 v[193:194], v[193:194], v[197:198], v[193:194]
	v_fma_f64 v[197:198], -v[191:192], v[193:194], 1.0
	v_fma_f64 v[193:194], v[193:194], v[197:198], v[193:194]
	v_div_scale_f64 v[197:198], vcc_lo, 1.0, v[189:190], 1.0
	v_mul_f64 v[199:200], v[197:198], v[193:194]
	v_fma_f64 v[191:192], -v[191:192], v[199:200], v[197:198]
	v_div_fmas_f64 v[191:192], v[191:192], v[193:194], v[199:200]
	v_div_fixup_f64 v[193:194], v[191:192], v[189:190], 1.0
	v_mul_f64 v[195:196], v[195:196], -v[193:194]
.LBB83_241:
	s_or_b32 exec_lo, exec_lo, s1
	ds_write2_b64 v255, v[193:194], v[195:196] offset1:1
.LBB83_242:
	s_or_b32 exec_lo, exec_lo, s2
	s_waitcnt lgkmcnt(0)
	s_barrier
	buffer_gl0_inv
	ds_read2_b64 v[189:192], v255 offset1:1
	s_mov_b32 s1, exec_lo
	v_cmpx_lt_u32_e32 26, v0
	s_cbranch_execz .LBB83_244
; %bb.243:
	s_waitcnt lgkmcnt(0)
	v_mul_f64 v[193:194], v[189:190], v[63:64]
	v_mul_f64 v[63:64], v[191:192], v[63:64]
	ds_read2_b64 v[195:198], v253 offset0:54 offset1:55
	v_fma_f64 v[193:194], v[191:192], v[61:62], v[193:194]
	v_fma_f64 v[61:62], v[189:190], v[61:62], -v[63:64]
	s_waitcnt lgkmcnt(0)
	v_mul_f64 v[63:64], v[197:198], v[193:194]
	v_fma_f64 v[63:64], v[195:196], v[61:62], -v[63:64]
	v_mul_f64 v[195:196], v[195:196], v[193:194]
	v_add_f64 v[57:58], v[57:58], -v[63:64]
	v_fma_f64 v[195:196], v[197:198], v[61:62], v[195:196]
	v_add_f64 v[59:60], v[59:60], -v[195:196]
	ds_read2_b64 v[195:198], v253 offset0:56 offset1:57
	s_waitcnt lgkmcnt(0)
	v_mul_f64 v[63:64], v[197:198], v[193:194]
	v_fma_f64 v[63:64], v[195:196], v[61:62], -v[63:64]
	v_mul_f64 v[195:196], v[195:196], v[193:194]
	v_add_f64 v[53:54], v[53:54], -v[63:64]
	v_fma_f64 v[195:196], v[197:198], v[61:62], v[195:196]
	v_add_f64 v[55:56], v[55:56], -v[195:196]
	ds_read2_b64 v[195:198], v253 offset0:58 offset1:59
	;; [unrolled: 8-line block ×14, first 2 shown]
	s_waitcnt lgkmcnt(0)
	v_mul_f64 v[63:64], v[197:198], v[193:194]
	v_fma_f64 v[63:64], v[195:196], v[61:62], -v[63:64]
	v_mul_f64 v[195:196], v[195:196], v[193:194]
	v_add_f64 v[1:2], v[1:2], -v[63:64]
	v_fma_f64 v[195:196], v[197:198], v[61:62], v[195:196]
	v_mov_b32_e32 v63, v193
	v_mov_b32_e32 v64, v194
	v_add_f64 v[3:4], v[3:4], -v[195:196]
.LBB83_244:
	s_or_b32 exec_lo, exec_lo, s1
	s_mov_b32 s2, exec_lo
	s_waitcnt lgkmcnt(0)
	s_barrier
	buffer_gl0_inv
	v_cmpx_eq_u32_e32 27, v0
	s_cbranch_execz .LBB83_251
; %bb.245:
	ds_write2_b64 v255, v[57:58], v[59:60] offset1:1
	ds_write2_b64 v253, v[53:54], v[55:56] offset0:56 offset1:57
	ds_write2_b64 v253, v[49:50], v[51:52] offset0:58 offset1:59
	;; [unrolled: 1-line block ×14, first 2 shown]
	ds_read2_b64 v[193:196], v255 offset1:1
	s_waitcnt lgkmcnt(0)
	v_cmp_neq_f64_e32 vcc_lo, 0, v[193:194]
	v_cmp_neq_f64_e64 s1, 0, v[195:196]
	s_or_b32 s1, vcc_lo, s1
	s_and_b32 exec_lo, exec_lo, s1
	s_cbranch_execz .LBB83_251
; %bb.246:
	v_cmp_ngt_f64_e64 s1, |v[193:194]|, |v[195:196]|
                                        ; implicit-def: $vgpr197_vgpr198
	s_and_saveexec_b32 s3, s1
	s_xor_b32 s1, exec_lo, s3
                                        ; implicit-def: $vgpr199_vgpr200
	s_cbranch_execz .LBB83_248
; %bb.247:
	v_div_scale_f64 v[197:198], null, v[195:196], v[195:196], v[193:194]
	v_div_scale_f64 v[203:204], vcc_lo, v[193:194], v[195:196], v[193:194]
	v_rcp_f64_e32 v[199:200], v[197:198]
	v_fma_f64 v[201:202], -v[197:198], v[199:200], 1.0
	v_fma_f64 v[199:200], v[199:200], v[201:202], v[199:200]
	v_fma_f64 v[201:202], -v[197:198], v[199:200], 1.0
	v_fma_f64 v[199:200], v[199:200], v[201:202], v[199:200]
	v_mul_f64 v[201:202], v[203:204], v[199:200]
	v_fma_f64 v[197:198], -v[197:198], v[201:202], v[203:204]
	v_div_fmas_f64 v[197:198], v[197:198], v[199:200], v[201:202]
	v_div_fixup_f64 v[197:198], v[197:198], v[195:196], v[193:194]
	v_fma_f64 v[193:194], v[193:194], v[197:198], v[195:196]
	v_div_scale_f64 v[195:196], null, v[193:194], v[193:194], 1.0
	v_rcp_f64_e32 v[199:200], v[195:196]
	v_fma_f64 v[201:202], -v[195:196], v[199:200], 1.0
	v_fma_f64 v[199:200], v[199:200], v[201:202], v[199:200]
	v_fma_f64 v[201:202], -v[195:196], v[199:200], 1.0
	v_fma_f64 v[199:200], v[199:200], v[201:202], v[199:200]
	v_div_scale_f64 v[201:202], vcc_lo, 1.0, v[193:194], 1.0
	v_mul_f64 v[203:204], v[201:202], v[199:200]
	v_fma_f64 v[195:196], -v[195:196], v[203:204], v[201:202]
	v_div_fmas_f64 v[195:196], v[195:196], v[199:200], v[203:204]
	v_div_fixup_f64 v[199:200], v[195:196], v[193:194], 1.0
                                        ; implicit-def: $vgpr193_vgpr194
	v_mul_f64 v[197:198], v[197:198], v[199:200]
	v_xor_b32_e32 v200, 0x80000000, v200
.LBB83_248:
	s_andn2_saveexec_b32 s1, s1
	s_cbranch_execz .LBB83_250
; %bb.249:
	v_div_scale_f64 v[197:198], null, v[193:194], v[193:194], v[195:196]
	v_div_scale_f64 v[203:204], vcc_lo, v[195:196], v[193:194], v[195:196]
	v_rcp_f64_e32 v[199:200], v[197:198]
	v_fma_f64 v[201:202], -v[197:198], v[199:200], 1.0
	v_fma_f64 v[199:200], v[199:200], v[201:202], v[199:200]
	v_fma_f64 v[201:202], -v[197:198], v[199:200], 1.0
	v_fma_f64 v[199:200], v[199:200], v[201:202], v[199:200]
	v_mul_f64 v[201:202], v[203:204], v[199:200]
	v_fma_f64 v[197:198], -v[197:198], v[201:202], v[203:204]
	v_div_fmas_f64 v[197:198], v[197:198], v[199:200], v[201:202]
	v_div_fixup_f64 v[199:200], v[197:198], v[193:194], v[195:196]
	v_fma_f64 v[193:194], v[195:196], v[199:200], v[193:194]
	v_div_scale_f64 v[195:196], null, v[193:194], v[193:194], 1.0
	v_rcp_f64_e32 v[197:198], v[195:196]
	v_fma_f64 v[201:202], -v[195:196], v[197:198], 1.0
	v_fma_f64 v[197:198], v[197:198], v[201:202], v[197:198]
	v_fma_f64 v[201:202], -v[195:196], v[197:198], 1.0
	v_fma_f64 v[197:198], v[197:198], v[201:202], v[197:198]
	v_div_scale_f64 v[201:202], vcc_lo, 1.0, v[193:194], 1.0
	v_mul_f64 v[203:204], v[201:202], v[197:198]
	v_fma_f64 v[195:196], -v[195:196], v[203:204], v[201:202]
	v_div_fmas_f64 v[195:196], v[195:196], v[197:198], v[203:204]
	v_div_fixup_f64 v[197:198], v[195:196], v[193:194], 1.0
	v_mul_f64 v[199:200], v[199:200], -v[197:198]
.LBB83_250:
	s_or_b32 exec_lo, exec_lo, s1
	ds_write2_b64 v255, v[197:198], v[199:200] offset1:1
.LBB83_251:
	s_or_b32 exec_lo, exec_lo, s2
	s_waitcnt lgkmcnt(0)
	s_barrier
	buffer_gl0_inv
	ds_read2_b64 v[193:196], v255 offset1:1
	s_mov_b32 s1, exec_lo
	v_cmpx_lt_u32_e32 27, v0
	s_cbranch_execz .LBB83_253
; %bb.252:
	s_waitcnt lgkmcnt(0)
	v_mul_f64 v[197:198], v[193:194], v[59:60]
	v_mul_f64 v[59:60], v[195:196], v[59:60]
	ds_read2_b64 v[199:202], v253 offset0:56 offset1:57
	v_fma_f64 v[197:198], v[195:196], v[57:58], v[197:198]
	v_fma_f64 v[57:58], v[193:194], v[57:58], -v[59:60]
	s_waitcnt lgkmcnt(0)
	v_mul_f64 v[59:60], v[201:202], v[197:198]
	v_fma_f64 v[59:60], v[199:200], v[57:58], -v[59:60]
	v_mul_f64 v[199:200], v[199:200], v[197:198]
	v_add_f64 v[53:54], v[53:54], -v[59:60]
	v_fma_f64 v[199:200], v[201:202], v[57:58], v[199:200]
	v_add_f64 v[55:56], v[55:56], -v[199:200]
	ds_read2_b64 v[199:202], v253 offset0:58 offset1:59
	s_waitcnt lgkmcnt(0)
	v_mul_f64 v[59:60], v[201:202], v[197:198]
	v_fma_f64 v[59:60], v[199:200], v[57:58], -v[59:60]
	v_mul_f64 v[199:200], v[199:200], v[197:198]
	v_add_f64 v[49:50], v[49:50], -v[59:60]
	v_fma_f64 v[199:200], v[201:202], v[57:58], v[199:200]
	v_add_f64 v[51:52], v[51:52], -v[199:200]
	ds_read2_b64 v[199:202], v253 offset0:60 offset1:61
	;; [unrolled: 8-line block ×13, first 2 shown]
	s_waitcnt lgkmcnt(0)
	v_mul_f64 v[59:60], v[201:202], v[197:198]
	v_fma_f64 v[59:60], v[199:200], v[57:58], -v[59:60]
	v_mul_f64 v[199:200], v[199:200], v[197:198]
	v_add_f64 v[1:2], v[1:2], -v[59:60]
	v_fma_f64 v[199:200], v[201:202], v[57:58], v[199:200]
	v_mov_b32_e32 v59, v197
	v_mov_b32_e32 v60, v198
	v_add_f64 v[3:4], v[3:4], -v[199:200]
.LBB83_253:
	s_or_b32 exec_lo, exec_lo, s1
	s_mov_b32 s2, exec_lo
	s_waitcnt lgkmcnt(0)
	s_barrier
	buffer_gl0_inv
	v_cmpx_eq_u32_e32 28, v0
	s_cbranch_execz .LBB83_260
; %bb.254:
	ds_write2_b64 v255, v[53:54], v[55:56] offset1:1
	ds_write2_b64 v253, v[49:50], v[51:52] offset0:58 offset1:59
	ds_write2_b64 v253, v[45:46], v[47:48] offset0:60 offset1:61
	;; [unrolled: 1-line block ×13, first 2 shown]
	ds_read2_b64 v[197:200], v255 offset1:1
	s_waitcnt lgkmcnt(0)
	v_cmp_neq_f64_e32 vcc_lo, 0, v[197:198]
	v_cmp_neq_f64_e64 s1, 0, v[199:200]
	s_or_b32 s1, vcc_lo, s1
	s_and_b32 exec_lo, exec_lo, s1
	s_cbranch_execz .LBB83_260
; %bb.255:
	v_cmp_ngt_f64_e64 s1, |v[197:198]|, |v[199:200]|
                                        ; implicit-def: $vgpr201_vgpr202
	s_and_saveexec_b32 s3, s1
	s_xor_b32 s1, exec_lo, s3
                                        ; implicit-def: $vgpr203_vgpr204
	s_cbranch_execz .LBB83_257
; %bb.256:
	v_div_scale_f64 v[201:202], null, v[199:200], v[199:200], v[197:198]
	v_div_scale_f64 v[207:208], vcc_lo, v[197:198], v[199:200], v[197:198]
	v_rcp_f64_e32 v[203:204], v[201:202]
	v_fma_f64 v[205:206], -v[201:202], v[203:204], 1.0
	v_fma_f64 v[203:204], v[203:204], v[205:206], v[203:204]
	v_fma_f64 v[205:206], -v[201:202], v[203:204], 1.0
	v_fma_f64 v[203:204], v[203:204], v[205:206], v[203:204]
	v_mul_f64 v[205:206], v[207:208], v[203:204]
	v_fma_f64 v[201:202], -v[201:202], v[205:206], v[207:208]
	v_div_fmas_f64 v[201:202], v[201:202], v[203:204], v[205:206]
	v_div_fixup_f64 v[201:202], v[201:202], v[199:200], v[197:198]
	v_fma_f64 v[197:198], v[197:198], v[201:202], v[199:200]
	v_div_scale_f64 v[199:200], null, v[197:198], v[197:198], 1.0
	v_rcp_f64_e32 v[203:204], v[199:200]
	v_fma_f64 v[205:206], -v[199:200], v[203:204], 1.0
	v_fma_f64 v[203:204], v[203:204], v[205:206], v[203:204]
	v_fma_f64 v[205:206], -v[199:200], v[203:204], 1.0
	v_fma_f64 v[203:204], v[203:204], v[205:206], v[203:204]
	v_div_scale_f64 v[205:206], vcc_lo, 1.0, v[197:198], 1.0
	v_mul_f64 v[207:208], v[205:206], v[203:204]
	v_fma_f64 v[199:200], -v[199:200], v[207:208], v[205:206]
	v_div_fmas_f64 v[199:200], v[199:200], v[203:204], v[207:208]
	v_div_fixup_f64 v[203:204], v[199:200], v[197:198], 1.0
                                        ; implicit-def: $vgpr197_vgpr198
	v_mul_f64 v[201:202], v[201:202], v[203:204]
	v_xor_b32_e32 v204, 0x80000000, v204
.LBB83_257:
	s_andn2_saveexec_b32 s1, s1
	s_cbranch_execz .LBB83_259
; %bb.258:
	v_div_scale_f64 v[201:202], null, v[197:198], v[197:198], v[199:200]
	v_div_scale_f64 v[207:208], vcc_lo, v[199:200], v[197:198], v[199:200]
	v_rcp_f64_e32 v[203:204], v[201:202]
	v_fma_f64 v[205:206], -v[201:202], v[203:204], 1.0
	v_fma_f64 v[203:204], v[203:204], v[205:206], v[203:204]
	v_fma_f64 v[205:206], -v[201:202], v[203:204], 1.0
	v_fma_f64 v[203:204], v[203:204], v[205:206], v[203:204]
	v_mul_f64 v[205:206], v[207:208], v[203:204]
	v_fma_f64 v[201:202], -v[201:202], v[205:206], v[207:208]
	v_div_fmas_f64 v[201:202], v[201:202], v[203:204], v[205:206]
	v_div_fixup_f64 v[203:204], v[201:202], v[197:198], v[199:200]
	v_fma_f64 v[197:198], v[199:200], v[203:204], v[197:198]
	v_div_scale_f64 v[199:200], null, v[197:198], v[197:198], 1.0
	v_rcp_f64_e32 v[201:202], v[199:200]
	v_fma_f64 v[205:206], -v[199:200], v[201:202], 1.0
	v_fma_f64 v[201:202], v[201:202], v[205:206], v[201:202]
	v_fma_f64 v[205:206], -v[199:200], v[201:202], 1.0
	v_fma_f64 v[201:202], v[201:202], v[205:206], v[201:202]
	v_div_scale_f64 v[205:206], vcc_lo, 1.0, v[197:198], 1.0
	v_mul_f64 v[207:208], v[205:206], v[201:202]
	v_fma_f64 v[199:200], -v[199:200], v[207:208], v[205:206]
	v_div_fmas_f64 v[199:200], v[199:200], v[201:202], v[207:208]
	v_div_fixup_f64 v[201:202], v[199:200], v[197:198], 1.0
	v_mul_f64 v[203:204], v[203:204], -v[201:202]
.LBB83_259:
	s_or_b32 exec_lo, exec_lo, s1
	ds_write2_b64 v255, v[201:202], v[203:204] offset1:1
.LBB83_260:
	s_or_b32 exec_lo, exec_lo, s2
	s_waitcnt lgkmcnt(0)
	s_barrier
	buffer_gl0_inv
	ds_read2_b64 v[197:200], v255 offset1:1
	s_mov_b32 s1, exec_lo
	v_cmpx_lt_u32_e32 28, v0
	s_cbranch_execz .LBB83_262
; %bb.261:
	s_waitcnt lgkmcnt(0)
	v_mul_f64 v[201:202], v[197:198], v[55:56]
	v_mul_f64 v[55:56], v[199:200], v[55:56]
	ds_read2_b64 v[203:206], v253 offset0:58 offset1:59
	v_fma_f64 v[201:202], v[199:200], v[53:54], v[201:202]
	v_fma_f64 v[53:54], v[197:198], v[53:54], -v[55:56]
	s_waitcnt lgkmcnt(0)
	v_mul_f64 v[55:56], v[205:206], v[201:202]
	v_fma_f64 v[55:56], v[203:204], v[53:54], -v[55:56]
	v_mul_f64 v[203:204], v[203:204], v[201:202]
	v_add_f64 v[49:50], v[49:50], -v[55:56]
	v_fma_f64 v[203:204], v[205:206], v[53:54], v[203:204]
	v_add_f64 v[51:52], v[51:52], -v[203:204]
	ds_read2_b64 v[203:206], v253 offset0:60 offset1:61
	s_waitcnt lgkmcnt(0)
	v_mul_f64 v[55:56], v[205:206], v[201:202]
	v_fma_f64 v[55:56], v[203:204], v[53:54], -v[55:56]
	v_mul_f64 v[203:204], v[203:204], v[201:202]
	v_add_f64 v[45:46], v[45:46], -v[55:56]
	v_fma_f64 v[203:204], v[205:206], v[53:54], v[203:204]
	v_add_f64 v[47:48], v[47:48], -v[203:204]
	ds_read2_b64 v[203:206], v253 offset0:62 offset1:63
	s_waitcnt lgkmcnt(0)
	v_mul_f64 v[55:56], v[205:206], v[201:202]
	v_fma_f64 v[55:56], v[203:204], v[53:54], -v[55:56]
	v_mul_f64 v[203:204], v[203:204], v[201:202]
	v_add_f64 v[41:42], v[41:42], -v[55:56]
	v_fma_f64 v[203:204], v[205:206], v[53:54], v[203:204]
	v_add_f64 v[43:44], v[43:44], -v[203:204]
	ds_read2_b64 v[203:206], v253 offset0:64 offset1:65
	s_waitcnt lgkmcnt(0)
	v_mul_f64 v[55:56], v[205:206], v[201:202]
	v_fma_f64 v[55:56], v[203:204], v[53:54], -v[55:56]
	v_mul_f64 v[203:204], v[203:204], v[201:202]
	v_add_f64 v[37:38], v[37:38], -v[55:56]
	v_fma_f64 v[203:204], v[205:206], v[53:54], v[203:204]
	v_add_f64 v[39:40], v[39:40], -v[203:204]
	ds_read2_b64 v[203:206], v253 offset0:66 offset1:67
	s_waitcnt lgkmcnt(0)
	v_mul_f64 v[55:56], v[205:206], v[201:202]
	v_fma_f64 v[55:56], v[203:204], v[53:54], -v[55:56]
	v_mul_f64 v[203:204], v[203:204], v[201:202]
	v_add_f64 v[33:34], v[33:34], -v[55:56]
	v_fma_f64 v[203:204], v[205:206], v[53:54], v[203:204]
	v_add_f64 v[35:36], v[35:36], -v[203:204]
	ds_read2_b64 v[203:206], v253 offset0:68 offset1:69
	s_waitcnt lgkmcnt(0)
	v_mul_f64 v[55:56], v[205:206], v[201:202]
	v_fma_f64 v[55:56], v[203:204], v[53:54], -v[55:56]
	v_mul_f64 v[203:204], v[203:204], v[201:202]
	v_add_f64 v[29:30], v[29:30], -v[55:56]
	v_fma_f64 v[203:204], v[205:206], v[53:54], v[203:204]
	v_add_f64 v[31:32], v[31:32], -v[203:204]
	ds_read2_b64 v[203:206], v253 offset0:70 offset1:71
	s_waitcnt lgkmcnt(0)
	v_mul_f64 v[55:56], v[205:206], v[201:202]
	v_fma_f64 v[55:56], v[203:204], v[53:54], -v[55:56]
	v_mul_f64 v[203:204], v[203:204], v[201:202]
	v_add_f64 v[25:26], v[25:26], -v[55:56]
	v_fma_f64 v[203:204], v[205:206], v[53:54], v[203:204]
	v_add_f64 v[27:28], v[27:28], -v[203:204]
	ds_read2_b64 v[203:206], v253 offset0:72 offset1:73
	s_waitcnt lgkmcnt(0)
	v_mul_f64 v[55:56], v[205:206], v[201:202]
	v_fma_f64 v[55:56], v[203:204], v[53:54], -v[55:56]
	v_mul_f64 v[203:204], v[203:204], v[201:202]
	v_add_f64 v[21:22], v[21:22], -v[55:56]
	v_fma_f64 v[203:204], v[205:206], v[53:54], v[203:204]
	v_add_f64 v[23:24], v[23:24], -v[203:204]
	ds_read2_b64 v[203:206], v253 offset0:74 offset1:75
	s_waitcnt lgkmcnt(0)
	v_mul_f64 v[55:56], v[205:206], v[201:202]
	v_fma_f64 v[55:56], v[203:204], v[53:54], -v[55:56]
	v_mul_f64 v[203:204], v[203:204], v[201:202]
	v_add_f64 v[17:18], v[17:18], -v[55:56]
	v_fma_f64 v[203:204], v[205:206], v[53:54], v[203:204]
	v_add_f64 v[19:20], v[19:20], -v[203:204]
	ds_read2_b64 v[203:206], v253 offset0:76 offset1:77
	s_waitcnt lgkmcnt(0)
	v_mul_f64 v[55:56], v[205:206], v[201:202]
	v_fma_f64 v[55:56], v[203:204], v[53:54], -v[55:56]
	v_mul_f64 v[203:204], v[203:204], v[201:202]
	v_add_f64 v[13:14], v[13:14], -v[55:56]
	v_fma_f64 v[203:204], v[205:206], v[53:54], v[203:204]
	v_add_f64 v[15:16], v[15:16], -v[203:204]
	ds_read2_b64 v[203:206], v253 offset0:78 offset1:79
	s_waitcnt lgkmcnt(0)
	v_mul_f64 v[55:56], v[205:206], v[201:202]
	v_fma_f64 v[55:56], v[203:204], v[53:54], -v[55:56]
	v_mul_f64 v[203:204], v[203:204], v[201:202]
	v_add_f64 v[9:10], v[9:10], -v[55:56]
	v_fma_f64 v[203:204], v[205:206], v[53:54], v[203:204]
	v_add_f64 v[11:12], v[11:12], -v[203:204]
	ds_read2_b64 v[203:206], v253 offset0:80 offset1:81
	s_waitcnt lgkmcnt(0)
	v_mul_f64 v[55:56], v[205:206], v[201:202]
	v_fma_f64 v[55:56], v[203:204], v[53:54], -v[55:56]
	v_mul_f64 v[203:204], v[203:204], v[201:202]
	v_add_f64 v[5:6], v[5:6], -v[55:56]
	v_fma_f64 v[203:204], v[205:206], v[53:54], v[203:204]
	v_add_f64 v[7:8], v[7:8], -v[203:204]
	ds_read2_b64 v[203:206], v253 offset0:82 offset1:83
	s_waitcnt lgkmcnt(0)
	v_mul_f64 v[55:56], v[205:206], v[201:202]
	v_fma_f64 v[55:56], v[203:204], v[53:54], -v[55:56]
	v_mul_f64 v[203:204], v[203:204], v[201:202]
	v_add_f64 v[1:2], v[1:2], -v[55:56]
	v_fma_f64 v[203:204], v[205:206], v[53:54], v[203:204]
	v_mov_b32_e32 v55, v201
	v_mov_b32_e32 v56, v202
	v_add_f64 v[3:4], v[3:4], -v[203:204]
.LBB83_262:
	s_or_b32 exec_lo, exec_lo, s1
	s_mov_b32 s2, exec_lo
	s_waitcnt lgkmcnt(0)
	s_barrier
	buffer_gl0_inv
	v_cmpx_eq_u32_e32 29, v0
	s_cbranch_execz .LBB83_269
; %bb.263:
	ds_write2_b64 v255, v[49:50], v[51:52] offset1:1
	ds_write2_b64 v253, v[45:46], v[47:48] offset0:60 offset1:61
	ds_write2_b64 v253, v[41:42], v[43:44] offset0:62 offset1:63
	ds_write2_b64 v253, v[37:38], v[39:40] offset0:64 offset1:65
	ds_write2_b64 v253, v[33:34], v[35:36] offset0:66 offset1:67
	ds_write2_b64 v253, v[29:30], v[31:32] offset0:68 offset1:69
	ds_write2_b64 v253, v[25:26], v[27:28] offset0:70 offset1:71
	ds_write2_b64 v253, v[21:22], v[23:24] offset0:72 offset1:73
	ds_write2_b64 v253, v[17:18], v[19:20] offset0:74 offset1:75
	ds_write2_b64 v253, v[13:14], v[15:16] offset0:76 offset1:77
	ds_write2_b64 v253, v[9:10], v[11:12] offset0:78 offset1:79
	ds_write2_b64 v253, v[5:6], v[7:8] offset0:80 offset1:81
	ds_write2_b64 v253, v[1:2], v[3:4] offset0:82 offset1:83
	ds_read2_b64 v[201:204], v255 offset1:1
	s_waitcnt lgkmcnt(0)
	v_cmp_neq_f64_e32 vcc_lo, 0, v[201:202]
	v_cmp_neq_f64_e64 s1, 0, v[203:204]
	s_or_b32 s1, vcc_lo, s1
	s_and_b32 exec_lo, exec_lo, s1
	s_cbranch_execz .LBB83_269
; %bb.264:
	v_cmp_ngt_f64_e64 s1, |v[201:202]|, |v[203:204]|
                                        ; implicit-def: $vgpr205_vgpr206
	s_and_saveexec_b32 s3, s1
	s_xor_b32 s1, exec_lo, s3
                                        ; implicit-def: $vgpr207_vgpr208
	s_cbranch_execz .LBB83_266
; %bb.265:
	v_div_scale_f64 v[205:206], null, v[203:204], v[203:204], v[201:202]
	v_div_scale_f64 v[211:212], vcc_lo, v[201:202], v[203:204], v[201:202]
	v_rcp_f64_e32 v[207:208], v[205:206]
	v_fma_f64 v[209:210], -v[205:206], v[207:208], 1.0
	v_fma_f64 v[207:208], v[207:208], v[209:210], v[207:208]
	v_fma_f64 v[209:210], -v[205:206], v[207:208], 1.0
	v_fma_f64 v[207:208], v[207:208], v[209:210], v[207:208]
	v_mul_f64 v[209:210], v[211:212], v[207:208]
	v_fma_f64 v[205:206], -v[205:206], v[209:210], v[211:212]
	v_div_fmas_f64 v[205:206], v[205:206], v[207:208], v[209:210]
	v_div_fixup_f64 v[205:206], v[205:206], v[203:204], v[201:202]
	v_fma_f64 v[201:202], v[201:202], v[205:206], v[203:204]
	v_div_scale_f64 v[203:204], null, v[201:202], v[201:202], 1.0
	v_rcp_f64_e32 v[207:208], v[203:204]
	v_fma_f64 v[209:210], -v[203:204], v[207:208], 1.0
	v_fma_f64 v[207:208], v[207:208], v[209:210], v[207:208]
	v_fma_f64 v[209:210], -v[203:204], v[207:208], 1.0
	v_fma_f64 v[207:208], v[207:208], v[209:210], v[207:208]
	v_div_scale_f64 v[209:210], vcc_lo, 1.0, v[201:202], 1.0
	v_mul_f64 v[211:212], v[209:210], v[207:208]
	v_fma_f64 v[203:204], -v[203:204], v[211:212], v[209:210]
	v_div_fmas_f64 v[203:204], v[203:204], v[207:208], v[211:212]
	v_div_fixup_f64 v[207:208], v[203:204], v[201:202], 1.0
                                        ; implicit-def: $vgpr201_vgpr202
	v_mul_f64 v[205:206], v[205:206], v[207:208]
	v_xor_b32_e32 v208, 0x80000000, v208
.LBB83_266:
	s_andn2_saveexec_b32 s1, s1
	s_cbranch_execz .LBB83_268
; %bb.267:
	v_div_scale_f64 v[205:206], null, v[201:202], v[201:202], v[203:204]
	v_div_scale_f64 v[211:212], vcc_lo, v[203:204], v[201:202], v[203:204]
	v_rcp_f64_e32 v[207:208], v[205:206]
	v_fma_f64 v[209:210], -v[205:206], v[207:208], 1.0
	v_fma_f64 v[207:208], v[207:208], v[209:210], v[207:208]
	v_fma_f64 v[209:210], -v[205:206], v[207:208], 1.0
	v_fma_f64 v[207:208], v[207:208], v[209:210], v[207:208]
	v_mul_f64 v[209:210], v[211:212], v[207:208]
	v_fma_f64 v[205:206], -v[205:206], v[209:210], v[211:212]
	v_div_fmas_f64 v[205:206], v[205:206], v[207:208], v[209:210]
	v_div_fixup_f64 v[207:208], v[205:206], v[201:202], v[203:204]
	v_fma_f64 v[201:202], v[203:204], v[207:208], v[201:202]
	v_div_scale_f64 v[203:204], null, v[201:202], v[201:202], 1.0
	v_rcp_f64_e32 v[205:206], v[203:204]
	v_fma_f64 v[209:210], -v[203:204], v[205:206], 1.0
	v_fma_f64 v[205:206], v[205:206], v[209:210], v[205:206]
	v_fma_f64 v[209:210], -v[203:204], v[205:206], 1.0
	v_fma_f64 v[205:206], v[205:206], v[209:210], v[205:206]
	v_div_scale_f64 v[209:210], vcc_lo, 1.0, v[201:202], 1.0
	v_mul_f64 v[211:212], v[209:210], v[205:206]
	v_fma_f64 v[203:204], -v[203:204], v[211:212], v[209:210]
	v_div_fmas_f64 v[203:204], v[203:204], v[205:206], v[211:212]
	v_div_fixup_f64 v[205:206], v[203:204], v[201:202], 1.0
	v_mul_f64 v[207:208], v[207:208], -v[205:206]
.LBB83_268:
	s_or_b32 exec_lo, exec_lo, s1
	ds_write2_b64 v255, v[205:206], v[207:208] offset1:1
.LBB83_269:
	s_or_b32 exec_lo, exec_lo, s2
	s_waitcnt lgkmcnt(0)
	s_barrier
	buffer_gl0_inv
	ds_read2_b64 v[201:204], v255 offset1:1
	s_mov_b32 s1, exec_lo
	v_cmpx_lt_u32_e32 29, v0
	s_cbranch_execz .LBB83_271
; %bb.270:
	s_waitcnt lgkmcnt(0)
	v_mul_f64 v[205:206], v[201:202], v[51:52]
	v_mul_f64 v[51:52], v[203:204], v[51:52]
	ds_read2_b64 v[207:210], v253 offset0:60 offset1:61
	v_fma_f64 v[205:206], v[203:204], v[49:50], v[205:206]
	v_fma_f64 v[49:50], v[201:202], v[49:50], -v[51:52]
	s_waitcnt lgkmcnt(0)
	v_mul_f64 v[51:52], v[209:210], v[205:206]
	v_fma_f64 v[51:52], v[207:208], v[49:50], -v[51:52]
	v_mul_f64 v[207:208], v[207:208], v[205:206]
	v_add_f64 v[45:46], v[45:46], -v[51:52]
	v_fma_f64 v[207:208], v[209:210], v[49:50], v[207:208]
	v_add_f64 v[47:48], v[47:48], -v[207:208]
	ds_read2_b64 v[207:210], v253 offset0:62 offset1:63
	s_waitcnt lgkmcnt(0)
	v_mul_f64 v[51:52], v[209:210], v[205:206]
	v_fma_f64 v[51:52], v[207:208], v[49:50], -v[51:52]
	v_mul_f64 v[207:208], v[207:208], v[205:206]
	v_add_f64 v[41:42], v[41:42], -v[51:52]
	v_fma_f64 v[207:208], v[209:210], v[49:50], v[207:208]
	v_add_f64 v[43:44], v[43:44], -v[207:208]
	ds_read2_b64 v[207:210], v253 offset0:64 offset1:65
	;; [unrolled: 8-line block ×11, first 2 shown]
	s_waitcnt lgkmcnt(0)
	v_mul_f64 v[51:52], v[209:210], v[205:206]
	v_fma_f64 v[51:52], v[207:208], v[49:50], -v[51:52]
	v_mul_f64 v[207:208], v[207:208], v[205:206]
	v_add_f64 v[1:2], v[1:2], -v[51:52]
	v_fma_f64 v[207:208], v[209:210], v[49:50], v[207:208]
	v_mov_b32_e32 v51, v205
	v_mov_b32_e32 v52, v206
	v_add_f64 v[3:4], v[3:4], -v[207:208]
.LBB83_271:
	s_or_b32 exec_lo, exec_lo, s1
	s_mov_b32 s2, exec_lo
	s_waitcnt lgkmcnt(0)
	s_barrier
	buffer_gl0_inv
	v_cmpx_eq_u32_e32 30, v0
	s_cbranch_execz .LBB83_278
; %bb.272:
	ds_write2_b64 v255, v[45:46], v[47:48] offset1:1
	ds_write2_b64 v253, v[41:42], v[43:44] offset0:62 offset1:63
	ds_write2_b64 v253, v[37:38], v[39:40] offset0:64 offset1:65
	;; [unrolled: 1-line block ×11, first 2 shown]
	ds_read2_b64 v[205:208], v255 offset1:1
	s_waitcnt lgkmcnt(0)
	v_cmp_neq_f64_e32 vcc_lo, 0, v[205:206]
	v_cmp_neq_f64_e64 s1, 0, v[207:208]
	s_or_b32 s1, vcc_lo, s1
	s_and_b32 exec_lo, exec_lo, s1
	s_cbranch_execz .LBB83_278
; %bb.273:
	v_cmp_ngt_f64_e64 s1, |v[205:206]|, |v[207:208]|
                                        ; implicit-def: $vgpr209_vgpr210
	s_and_saveexec_b32 s3, s1
	s_xor_b32 s1, exec_lo, s3
                                        ; implicit-def: $vgpr211_vgpr212
	s_cbranch_execz .LBB83_275
; %bb.274:
	v_div_scale_f64 v[209:210], null, v[207:208], v[207:208], v[205:206]
	v_div_scale_f64 v[215:216], vcc_lo, v[205:206], v[207:208], v[205:206]
	v_rcp_f64_e32 v[211:212], v[209:210]
	v_fma_f64 v[213:214], -v[209:210], v[211:212], 1.0
	v_fma_f64 v[211:212], v[211:212], v[213:214], v[211:212]
	v_fma_f64 v[213:214], -v[209:210], v[211:212], 1.0
	v_fma_f64 v[211:212], v[211:212], v[213:214], v[211:212]
	v_mul_f64 v[213:214], v[215:216], v[211:212]
	v_fma_f64 v[209:210], -v[209:210], v[213:214], v[215:216]
	v_div_fmas_f64 v[209:210], v[209:210], v[211:212], v[213:214]
	v_div_fixup_f64 v[209:210], v[209:210], v[207:208], v[205:206]
	v_fma_f64 v[205:206], v[205:206], v[209:210], v[207:208]
	v_div_scale_f64 v[207:208], null, v[205:206], v[205:206], 1.0
	v_rcp_f64_e32 v[211:212], v[207:208]
	v_fma_f64 v[213:214], -v[207:208], v[211:212], 1.0
	v_fma_f64 v[211:212], v[211:212], v[213:214], v[211:212]
	v_fma_f64 v[213:214], -v[207:208], v[211:212], 1.0
	v_fma_f64 v[211:212], v[211:212], v[213:214], v[211:212]
	v_div_scale_f64 v[213:214], vcc_lo, 1.0, v[205:206], 1.0
	v_mul_f64 v[215:216], v[213:214], v[211:212]
	v_fma_f64 v[207:208], -v[207:208], v[215:216], v[213:214]
	v_div_fmas_f64 v[207:208], v[207:208], v[211:212], v[215:216]
	v_div_fixup_f64 v[211:212], v[207:208], v[205:206], 1.0
                                        ; implicit-def: $vgpr205_vgpr206
	v_mul_f64 v[209:210], v[209:210], v[211:212]
	v_xor_b32_e32 v212, 0x80000000, v212
.LBB83_275:
	s_andn2_saveexec_b32 s1, s1
	s_cbranch_execz .LBB83_277
; %bb.276:
	v_div_scale_f64 v[209:210], null, v[205:206], v[205:206], v[207:208]
	v_div_scale_f64 v[215:216], vcc_lo, v[207:208], v[205:206], v[207:208]
	v_rcp_f64_e32 v[211:212], v[209:210]
	v_fma_f64 v[213:214], -v[209:210], v[211:212], 1.0
	v_fma_f64 v[211:212], v[211:212], v[213:214], v[211:212]
	v_fma_f64 v[213:214], -v[209:210], v[211:212], 1.0
	v_fma_f64 v[211:212], v[211:212], v[213:214], v[211:212]
	v_mul_f64 v[213:214], v[215:216], v[211:212]
	v_fma_f64 v[209:210], -v[209:210], v[213:214], v[215:216]
	v_div_fmas_f64 v[209:210], v[209:210], v[211:212], v[213:214]
	v_div_fixup_f64 v[211:212], v[209:210], v[205:206], v[207:208]
	v_fma_f64 v[205:206], v[207:208], v[211:212], v[205:206]
	v_div_scale_f64 v[207:208], null, v[205:206], v[205:206], 1.0
	v_rcp_f64_e32 v[209:210], v[207:208]
	v_fma_f64 v[213:214], -v[207:208], v[209:210], 1.0
	v_fma_f64 v[209:210], v[209:210], v[213:214], v[209:210]
	v_fma_f64 v[213:214], -v[207:208], v[209:210], 1.0
	v_fma_f64 v[209:210], v[209:210], v[213:214], v[209:210]
	v_div_scale_f64 v[213:214], vcc_lo, 1.0, v[205:206], 1.0
	v_mul_f64 v[215:216], v[213:214], v[209:210]
	v_fma_f64 v[207:208], -v[207:208], v[215:216], v[213:214]
	v_div_fmas_f64 v[207:208], v[207:208], v[209:210], v[215:216]
	v_div_fixup_f64 v[209:210], v[207:208], v[205:206], 1.0
	v_mul_f64 v[211:212], v[211:212], -v[209:210]
.LBB83_277:
	s_or_b32 exec_lo, exec_lo, s1
	ds_write2_b64 v255, v[209:210], v[211:212] offset1:1
.LBB83_278:
	s_or_b32 exec_lo, exec_lo, s2
	s_waitcnt lgkmcnt(0)
	s_barrier
	buffer_gl0_inv
	ds_read2_b64 v[205:208], v255 offset1:1
	s_mov_b32 s1, exec_lo
	v_cmpx_lt_u32_e32 30, v0
	s_cbranch_execz .LBB83_280
; %bb.279:
	s_waitcnt lgkmcnt(0)
	v_mul_f64 v[209:210], v[205:206], v[47:48]
	v_mul_f64 v[47:48], v[207:208], v[47:48]
	ds_read2_b64 v[211:214], v253 offset0:62 offset1:63
	v_fma_f64 v[209:210], v[207:208], v[45:46], v[209:210]
	v_fma_f64 v[45:46], v[205:206], v[45:46], -v[47:48]
	s_waitcnt lgkmcnt(0)
	v_mul_f64 v[47:48], v[213:214], v[209:210]
	v_fma_f64 v[47:48], v[211:212], v[45:46], -v[47:48]
	v_mul_f64 v[211:212], v[211:212], v[209:210]
	v_add_f64 v[41:42], v[41:42], -v[47:48]
	v_fma_f64 v[211:212], v[213:214], v[45:46], v[211:212]
	v_add_f64 v[43:44], v[43:44], -v[211:212]
	ds_read2_b64 v[211:214], v253 offset0:64 offset1:65
	s_waitcnt lgkmcnt(0)
	v_mul_f64 v[47:48], v[213:214], v[209:210]
	v_fma_f64 v[47:48], v[211:212], v[45:46], -v[47:48]
	v_mul_f64 v[211:212], v[211:212], v[209:210]
	v_add_f64 v[37:38], v[37:38], -v[47:48]
	v_fma_f64 v[211:212], v[213:214], v[45:46], v[211:212]
	v_add_f64 v[39:40], v[39:40], -v[211:212]
	ds_read2_b64 v[211:214], v253 offset0:66 offset1:67
	;; [unrolled: 8-line block ×10, first 2 shown]
	s_waitcnt lgkmcnt(0)
	v_mul_f64 v[47:48], v[213:214], v[209:210]
	v_fma_f64 v[47:48], v[211:212], v[45:46], -v[47:48]
	v_mul_f64 v[211:212], v[211:212], v[209:210]
	v_add_f64 v[1:2], v[1:2], -v[47:48]
	v_fma_f64 v[211:212], v[213:214], v[45:46], v[211:212]
	v_mov_b32_e32 v47, v209
	v_mov_b32_e32 v48, v210
	v_add_f64 v[3:4], v[3:4], -v[211:212]
.LBB83_280:
	s_or_b32 exec_lo, exec_lo, s1
	s_mov_b32 s2, exec_lo
	s_waitcnt lgkmcnt(0)
	s_barrier
	buffer_gl0_inv
	v_cmpx_eq_u32_e32 31, v0
	s_cbranch_execz .LBB83_287
; %bb.281:
	ds_write2_b64 v255, v[41:42], v[43:44] offset1:1
	ds_write2_b64 v253, v[37:38], v[39:40] offset0:64 offset1:65
	ds_write2_b64 v253, v[33:34], v[35:36] offset0:66 offset1:67
	;; [unrolled: 1-line block ×10, first 2 shown]
	ds_read2_b64 v[209:212], v255 offset1:1
	s_waitcnt lgkmcnt(0)
	v_cmp_neq_f64_e32 vcc_lo, 0, v[209:210]
	v_cmp_neq_f64_e64 s1, 0, v[211:212]
	s_or_b32 s1, vcc_lo, s1
	s_and_b32 exec_lo, exec_lo, s1
	s_cbranch_execz .LBB83_287
; %bb.282:
	v_cmp_ngt_f64_e64 s1, |v[209:210]|, |v[211:212]|
                                        ; implicit-def: $vgpr213_vgpr214
	s_and_saveexec_b32 s3, s1
	s_xor_b32 s1, exec_lo, s3
                                        ; implicit-def: $vgpr215_vgpr216
	s_cbranch_execz .LBB83_284
; %bb.283:
	v_div_scale_f64 v[213:214], null, v[211:212], v[211:212], v[209:210]
	v_div_scale_f64 v[219:220], vcc_lo, v[209:210], v[211:212], v[209:210]
	v_rcp_f64_e32 v[215:216], v[213:214]
	v_fma_f64 v[217:218], -v[213:214], v[215:216], 1.0
	v_fma_f64 v[215:216], v[215:216], v[217:218], v[215:216]
	v_fma_f64 v[217:218], -v[213:214], v[215:216], 1.0
	v_fma_f64 v[215:216], v[215:216], v[217:218], v[215:216]
	v_mul_f64 v[217:218], v[219:220], v[215:216]
	v_fma_f64 v[213:214], -v[213:214], v[217:218], v[219:220]
	v_div_fmas_f64 v[213:214], v[213:214], v[215:216], v[217:218]
	v_div_fixup_f64 v[213:214], v[213:214], v[211:212], v[209:210]
	v_fma_f64 v[209:210], v[209:210], v[213:214], v[211:212]
	v_div_scale_f64 v[211:212], null, v[209:210], v[209:210], 1.0
	v_rcp_f64_e32 v[215:216], v[211:212]
	v_fma_f64 v[217:218], -v[211:212], v[215:216], 1.0
	v_fma_f64 v[215:216], v[215:216], v[217:218], v[215:216]
	v_fma_f64 v[217:218], -v[211:212], v[215:216], 1.0
	v_fma_f64 v[215:216], v[215:216], v[217:218], v[215:216]
	v_div_scale_f64 v[217:218], vcc_lo, 1.0, v[209:210], 1.0
	v_mul_f64 v[219:220], v[217:218], v[215:216]
	v_fma_f64 v[211:212], -v[211:212], v[219:220], v[217:218]
	v_div_fmas_f64 v[211:212], v[211:212], v[215:216], v[219:220]
	v_div_fixup_f64 v[215:216], v[211:212], v[209:210], 1.0
                                        ; implicit-def: $vgpr209_vgpr210
	v_mul_f64 v[213:214], v[213:214], v[215:216]
	v_xor_b32_e32 v216, 0x80000000, v216
.LBB83_284:
	s_andn2_saveexec_b32 s1, s1
	s_cbranch_execz .LBB83_286
; %bb.285:
	v_div_scale_f64 v[213:214], null, v[209:210], v[209:210], v[211:212]
	v_div_scale_f64 v[219:220], vcc_lo, v[211:212], v[209:210], v[211:212]
	v_rcp_f64_e32 v[215:216], v[213:214]
	v_fma_f64 v[217:218], -v[213:214], v[215:216], 1.0
	v_fma_f64 v[215:216], v[215:216], v[217:218], v[215:216]
	v_fma_f64 v[217:218], -v[213:214], v[215:216], 1.0
	v_fma_f64 v[215:216], v[215:216], v[217:218], v[215:216]
	v_mul_f64 v[217:218], v[219:220], v[215:216]
	v_fma_f64 v[213:214], -v[213:214], v[217:218], v[219:220]
	v_div_fmas_f64 v[213:214], v[213:214], v[215:216], v[217:218]
	v_div_fixup_f64 v[215:216], v[213:214], v[209:210], v[211:212]
	v_fma_f64 v[209:210], v[211:212], v[215:216], v[209:210]
	v_div_scale_f64 v[211:212], null, v[209:210], v[209:210], 1.0
	v_rcp_f64_e32 v[213:214], v[211:212]
	v_fma_f64 v[217:218], -v[211:212], v[213:214], 1.0
	v_fma_f64 v[213:214], v[213:214], v[217:218], v[213:214]
	v_fma_f64 v[217:218], -v[211:212], v[213:214], 1.0
	v_fma_f64 v[213:214], v[213:214], v[217:218], v[213:214]
	v_div_scale_f64 v[217:218], vcc_lo, 1.0, v[209:210], 1.0
	v_mul_f64 v[219:220], v[217:218], v[213:214]
	v_fma_f64 v[211:212], -v[211:212], v[219:220], v[217:218]
	v_div_fmas_f64 v[211:212], v[211:212], v[213:214], v[219:220]
	v_div_fixup_f64 v[213:214], v[211:212], v[209:210], 1.0
	v_mul_f64 v[215:216], v[215:216], -v[213:214]
.LBB83_286:
	s_or_b32 exec_lo, exec_lo, s1
	ds_write2_b64 v255, v[213:214], v[215:216] offset1:1
.LBB83_287:
	s_or_b32 exec_lo, exec_lo, s2
	s_waitcnt lgkmcnt(0)
	s_barrier
	buffer_gl0_inv
	ds_read2_b64 v[209:212], v255 offset1:1
	s_mov_b32 s1, exec_lo
	v_cmpx_lt_u32_e32 31, v0
	s_cbranch_execz .LBB83_289
; %bb.288:
	s_waitcnt lgkmcnt(0)
	v_mul_f64 v[213:214], v[209:210], v[43:44]
	v_mul_f64 v[43:44], v[211:212], v[43:44]
	v_fma_f64 v[217:218], v[211:212], v[41:42], v[213:214]
	ds_read2_b64 v[213:216], v253 offset0:64 offset1:65
	v_fma_f64 v[41:42], v[209:210], v[41:42], -v[43:44]
	s_waitcnt lgkmcnt(0)
	v_mul_f64 v[43:44], v[215:216], v[217:218]
	v_fma_f64 v[43:44], v[213:214], v[41:42], -v[43:44]
	v_mul_f64 v[213:214], v[213:214], v[217:218]
	v_add_f64 v[37:38], v[37:38], -v[43:44]
	v_fma_f64 v[213:214], v[215:216], v[41:42], v[213:214]
	v_add_f64 v[39:40], v[39:40], -v[213:214]
	ds_read2_b64 v[213:216], v253 offset0:66 offset1:67
	s_waitcnt lgkmcnt(0)
	v_mul_f64 v[43:44], v[215:216], v[217:218]
	v_fma_f64 v[43:44], v[213:214], v[41:42], -v[43:44]
	v_mul_f64 v[213:214], v[213:214], v[217:218]
	v_add_f64 v[33:34], v[33:34], -v[43:44]
	v_fma_f64 v[213:214], v[215:216], v[41:42], v[213:214]
	v_add_f64 v[35:36], v[35:36], -v[213:214]
	ds_read2_b64 v[213:216], v253 offset0:68 offset1:69
	;; [unrolled: 8-line block ×9, first 2 shown]
	s_waitcnt lgkmcnt(0)
	v_mul_f64 v[43:44], v[215:216], v[217:218]
	v_fma_f64 v[43:44], v[213:214], v[41:42], -v[43:44]
	v_mul_f64 v[213:214], v[213:214], v[217:218]
	v_add_f64 v[1:2], v[1:2], -v[43:44]
	v_fma_f64 v[213:214], v[215:216], v[41:42], v[213:214]
	v_mov_b32_e32 v43, v217
	v_mov_b32_e32 v44, v218
	v_add_f64 v[3:4], v[3:4], -v[213:214]
.LBB83_289:
	s_or_b32 exec_lo, exec_lo, s1
	s_mov_b32 s2, exec_lo
	s_waitcnt lgkmcnt(0)
	s_barrier
	buffer_gl0_inv
	v_cmpx_eq_u32_e32 32, v0
	s_cbranch_execz .LBB83_296
; %bb.290:
	ds_write2_b64 v255, v[37:38], v[39:40] offset1:1
	ds_write2_b64 v253, v[33:34], v[35:36] offset0:66 offset1:67
	ds_write2_b64 v253, v[29:30], v[31:32] offset0:68 offset1:69
	;; [unrolled: 1-line block ×9, first 2 shown]
	ds_read2_b64 v[213:216], v255 offset1:1
	s_waitcnt lgkmcnt(0)
	v_cmp_neq_f64_e32 vcc_lo, 0, v[213:214]
	v_cmp_neq_f64_e64 s1, 0, v[215:216]
	s_or_b32 s1, vcc_lo, s1
	s_and_b32 exec_lo, exec_lo, s1
	s_cbranch_execz .LBB83_296
; %bb.291:
	v_cmp_ngt_f64_e64 s1, |v[213:214]|, |v[215:216]|
                                        ; implicit-def: $vgpr217_vgpr218
	s_and_saveexec_b32 s3, s1
	s_xor_b32 s1, exec_lo, s3
                                        ; implicit-def: $vgpr219_vgpr220
	s_cbranch_execz .LBB83_293
; %bb.292:
	v_div_scale_f64 v[217:218], null, v[215:216], v[215:216], v[213:214]
	v_div_scale_f64 v[223:224], vcc_lo, v[213:214], v[215:216], v[213:214]
	v_rcp_f64_e32 v[219:220], v[217:218]
	v_fma_f64 v[221:222], -v[217:218], v[219:220], 1.0
	v_fma_f64 v[219:220], v[219:220], v[221:222], v[219:220]
	v_fma_f64 v[221:222], -v[217:218], v[219:220], 1.0
	v_fma_f64 v[219:220], v[219:220], v[221:222], v[219:220]
	v_mul_f64 v[221:222], v[223:224], v[219:220]
	v_fma_f64 v[217:218], -v[217:218], v[221:222], v[223:224]
	v_div_fmas_f64 v[217:218], v[217:218], v[219:220], v[221:222]
	v_div_fixup_f64 v[217:218], v[217:218], v[215:216], v[213:214]
	v_fma_f64 v[213:214], v[213:214], v[217:218], v[215:216]
	v_div_scale_f64 v[215:216], null, v[213:214], v[213:214], 1.0
	v_rcp_f64_e32 v[219:220], v[215:216]
	v_fma_f64 v[221:222], -v[215:216], v[219:220], 1.0
	v_fma_f64 v[219:220], v[219:220], v[221:222], v[219:220]
	v_fma_f64 v[221:222], -v[215:216], v[219:220], 1.0
	v_fma_f64 v[219:220], v[219:220], v[221:222], v[219:220]
	v_div_scale_f64 v[221:222], vcc_lo, 1.0, v[213:214], 1.0
	v_mul_f64 v[223:224], v[221:222], v[219:220]
	v_fma_f64 v[215:216], -v[215:216], v[223:224], v[221:222]
	v_div_fmas_f64 v[215:216], v[215:216], v[219:220], v[223:224]
	v_div_fixup_f64 v[219:220], v[215:216], v[213:214], 1.0
                                        ; implicit-def: $vgpr213_vgpr214
	v_mul_f64 v[217:218], v[217:218], v[219:220]
	v_xor_b32_e32 v220, 0x80000000, v220
.LBB83_293:
	s_andn2_saveexec_b32 s1, s1
	s_cbranch_execz .LBB83_295
; %bb.294:
	v_div_scale_f64 v[217:218], null, v[213:214], v[213:214], v[215:216]
	v_div_scale_f64 v[223:224], vcc_lo, v[215:216], v[213:214], v[215:216]
	v_rcp_f64_e32 v[219:220], v[217:218]
	v_fma_f64 v[221:222], -v[217:218], v[219:220], 1.0
	v_fma_f64 v[219:220], v[219:220], v[221:222], v[219:220]
	v_fma_f64 v[221:222], -v[217:218], v[219:220], 1.0
	v_fma_f64 v[219:220], v[219:220], v[221:222], v[219:220]
	v_mul_f64 v[221:222], v[223:224], v[219:220]
	v_fma_f64 v[217:218], -v[217:218], v[221:222], v[223:224]
	v_div_fmas_f64 v[217:218], v[217:218], v[219:220], v[221:222]
	v_div_fixup_f64 v[219:220], v[217:218], v[213:214], v[215:216]
	v_fma_f64 v[213:214], v[215:216], v[219:220], v[213:214]
	v_div_scale_f64 v[215:216], null, v[213:214], v[213:214], 1.0
	v_rcp_f64_e32 v[217:218], v[215:216]
	v_fma_f64 v[221:222], -v[215:216], v[217:218], 1.0
	v_fma_f64 v[217:218], v[217:218], v[221:222], v[217:218]
	v_fma_f64 v[221:222], -v[215:216], v[217:218], 1.0
	v_fma_f64 v[217:218], v[217:218], v[221:222], v[217:218]
	v_div_scale_f64 v[221:222], vcc_lo, 1.0, v[213:214], 1.0
	v_mul_f64 v[223:224], v[221:222], v[217:218]
	v_fma_f64 v[215:216], -v[215:216], v[223:224], v[221:222]
	v_div_fmas_f64 v[215:216], v[215:216], v[217:218], v[223:224]
	v_div_fixup_f64 v[217:218], v[215:216], v[213:214], 1.0
	v_mul_f64 v[219:220], v[219:220], -v[217:218]
.LBB83_295:
	s_or_b32 exec_lo, exec_lo, s1
	ds_write2_b64 v255, v[217:218], v[219:220] offset1:1
.LBB83_296:
	s_or_b32 exec_lo, exec_lo, s2
	s_waitcnt lgkmcnt(0)
	s_barrier
	buffer_gl0_inv
	ds_read2_b64 v[165:168], v255 offset1:1
	s_mov_b32 s1, exec_lo
	v_cmpx_lt_u32_e32 32, v0
	s_cbranch_execz .LBB83_298
; %bb.297:
	s_waitcnt lgkmcnt(0)
	v_mul_f64 v[217:218], v[165:166], v[39:40]
	v_mul_f64 v[39:40], v[167:168], v[39:40]
	v_fma_f64 v[221:222], v[167:168], v[37:38], v[217:218]
	ds_read2_b64 v[217:220], v253 offset0:66 offset1:67
	v_fma_f64 v[37:38], v[165:166], v[37:38], -v[39:40]
	s_waitcnt lgkmcnt(0)
	v_mul_f64 v[39:40], v[219:220], v[221:222]
	v_fma_f64 v[39:40], v[217:218], v[37:38], -v[39:40]
	v_mul_f64 v[217:218], v[217:218], v[221:222]
	v_add_f64 v[33:34], v[33:34], -v[39:40]
	v_fma_f64 v[217:218], v[219:220], v[37:38], v[217:218]
	v_add_f64 v[35:36], v[35:36], -v[217:218]
	ds_read2_b64 v[217:220], v253 offset0:68 offset1:69
	s_waitcnt lgkmcnt(0)
	v_mul_f64 v[39:40], v[219:220], v[221:222]
	v_fma_f64 v[39:40], v[217:218], v[37:38], -v[39:40]
	v_mul_f64 v[217:218], v[217:218], v[221:222]
	v_add_f64 v[29:30], v[29:30], -v[39:40]
	v_fma_f64 v[217:218], v[219:220], v[37:38], v[217:218]
	v_add_f64 v[31:32], v[31:32], -v[217:218]
	ds_read2_b64 v[217:220], v253 offset0:70 offset1:71
	;; [unrolled: 8-line block ×8, first 2 shown]
	s_waitcnt lgkmcnt(0)
	v_mul_f64 v[39:40], v[219:220], v[221:222]
	v_fma_f64 v[39:40], v[217:218], v[37:38], -v[39:40]
	v_mul_f64 v[217:218], v[217:218], v[221:222]
	v_add_f64 v[1:2], v[1:2], -v[39:40]
	v_fma_f64 v[217:218], v[219:220], v[37:38], v[217:218]
	v_mov_b32_e32 v39, v221
	v_mov_b32_e32 v40, v222
	v_add_f64 v[3:4], v[3:4], -v[217:218]
.LBB83_298:
	s_or_b32 exec_lo, exec_lo, s1
	s_mov_b32 s2, exec_lo
	s_waitcnt lgkmcnt(0)
	s_barrier
	buffer_gl0_inv
	v_cmpx_eq_u32_e32 33, v0
	s_cbranch_execz .LBB83_305
; %bb.299:
	ds_write2_b64 v255, v[33:34], v[35:36] offset1:1
	ds_write2_b64 v253, v[29:30], v[31:32] offset0:68 offset1:69
	ds_write2_b64 v253, v[25:26], v[27:28] offset0:70 offset1:71
	;; [unrolled: 1-line block ×8, first 2 shown]
	ds_read2_b64 v[217:220], v255 offset1:1
	s_waitcnt lgkmcnt(0)
	v_cmp_neq_f64_e32 vcc_lo, 0, v[217:218]
	v_cmp_neq_f64_e64 s1, 0, v[219:220]
	s_or_b32 s1, vcc_lo, s1
	s_and_b32 exec_lo, exec_lo, s1
	s_cbranch_execz .LBB83_305
; %bb.300:
	v_cmp_ngt_f64_e64 s1, |v[217:218]|, |v[219:220]|
                                        ; implicit-def: $vgpr221_vgpr222
	s_and_saveexec_b32 s3, s1
	s_xor_b32 s1, exec_lo, s3
                                        ; implicit-def: $vgpr223_vgpr224
	s_cbranch_execz .LBB83_302
; %bb.301:
	v_div_scale_f64 v[221:222], null, v[219:220], v[219:220], v[217:218]
	v_div_scale_f64 v[227:228], vcc_lo, v[217:218], v[219:220], v[217:218]
	v_rcp_f64_e32 v[223:224], v[221:222]
	v_fma_f64 v[225:226], -v[221:222], v[223:224], 1.0
	v_fma_f64 v[223:224], v[223:224], v[225:226], v[223:224]
	v_fma_f64 v[225:226], -v[221:222], v[223:224], 1.0
	v_fma_f64 v[223:224], v[223:224], v[225:226], v[223:224]
	v_mul_f64 v[225:226], v[227:228], v[223:224]
	v_fma_f64 v[221:222], -v[221:222], v[225:226], v[227:228]
	v_div_fmas_f64 v[221:222], v[221:222], v[223:224], v[225:226]
	v_div_fixup_f64 v[221:222], v[221:222], v[219:220], v[217:218]
	v_fma_f64 v[217:218], v[217:218], v[221:222], v[219:220]
	v_div_scale_f64 v[219:220], null, v[217:218], v[217:218], 1.0
	v_rcp_f64_e32 v[223:224], v[219:220]
	v_fma_f64 v[225:226], -v[219:220], v[223:224], 1.0
	v_fma_f64 v[223:224], v[223:224], v[225:226], v[223:224]
	v_fma_f64 v[225:226], -v[219:220], v[223:224], 1.0
	v_fma_f64 v[223:224], v[223:224], v[225:226], v[223:224]
	v_div_scale_f64 v[225:226], vcc_lo, 1.0, v[217:218], 1.0
	v_mul_f64 v[227:228], v[225:226], v[223:224]
	v_fma_f64 v[219:220], -v[219:220], v[227:228], v[225:226]
	v_div_fmas_f64 v[219:220], v[219:220], v[223:224], v[227:228]
	v_div_fixup_f64 v[223:224], v[219:220], v[217:218], 1.0
                                        ; implicit-def: $vgpr217_vgpr218
	v_mul_f64 v[221:222], v[221:222], v[223:224]
	v_xor_b32_e32 v224, 0x80000000, v224
.LBB83_302:
	s_andn2_saveexec_b32 s1, s1
	s_cbranch_execz .LBB83_304
; %bb.303:
	v_div_scale_f64 v[221:222], null, v[217:218], v[217:218], v[219:220]
	v_div_scale_f64 v[227:228], vcc_lo, v[219:220], v[217:218], v[219:220]
	v_rcp_f64_e32 v[223:224], v[221:222]
	v_fma_f64 v[225:226], -v[221:222], v[223:224], 1.0
	v_fma_f64 v[223:224], v[223:224], v[225:226], v[223:224]
	v_fma_f64 v[225:226], -v[221:222], v[223:224], 1.0
	v_fma_f64 v[223:224], v[223:224], v[225:226], v[223:224]
	v_mul_f64 v[225:226], v[227:228], v[223:224]
	v_fma_f64 v[221:222], -v[221:222], v[225:226], v[227:228]
	v_div_fmas_f64 v[221:222], v[221:222], v[223:224], v[225:226]
	v_div_fixup_f64 v[223:224], v[221:222], v[217:218], v[219:220]
	v_fma_f64 v[217:218], v[219:220], v[223:224], v[217:218]
	v_div_scale_f64 v[219:220], null, v[217:218], v[217:218], 1.0
	v_rcp_f64_e32 v[221:222], v[219:220]
	v_fma_f64 v[225:226], -v[219:220], v[221:222], 1.0
	v_fma_f64 v[221:222], v[221:222], v[225:226], v[221:222]
	v_fma_f64 v[225:226], -v[219:220], v[221:222], 1.0
	v_fma_f64 v[221:222], v[221:222], v[225:226], v[221:222]
	v_div_scale_f64 v[225:226], vcc_lo, 1.0, v[217:218], 1.0
	v_mul_f64 v[227:228], v[225:226], v[221:222]
	v_fma_f64 v[219:220], -v[219:220], v[227:228], v[225:226]
	v_div_fmas_f64 v[219:220], v[219:220], v[221:222], v[227:228]
	v_div_fixup_f64 v[221:222], v[219:220], v[217:218], 1.0
	v_mul_f64 v[223:224], v[223:224], -v[221:222]
.LBB83_304:
	s_or_b32 exec_lo, exec_lo, s1
	ds_write2_b64 v255, v[221:222], v[223:224] offset1:1
.LBB83_305:
	s_or_b32 exec_lo, exec_lo, s2
	s_waitcnt lgkmcnt(0)
	s_barrier
	buffer_gl0_inv
	ds_read2_b64 v[161:164], v255 offset1:1
	s_mov_b32 s1, exec_lo
	v_cmpx_lt_u32_e32 33, v0
	s_cbranch_execz .LBB83_307
; %bb.306:
	s_waitcnt lgkmcnt(0)
	v_mul_f64 v[221:222], v[161:162], v[35:36]
	v_mul_f64 v[35:36], v[163:164], v[35:36]
	v_fma_f64 v[225:226], v[163:164], v[33:34], v[221:222]
	ds_read2_b64 v[221:224], v253 offset0:68 offset1:69
	v_fma_f64 v[33:34], v[161:162], v[33:34], -v[35:36]
	s_waitcnt lgkmcnt(0)
	v_mul_f64 v[35:36], v[223:224], v[225:226]
	v_fma_f64 v[35:36], v[221:222], v[33:34], -v[35:36]
	v_mul_f64 v[221:222], v[221:222], v[225:226]
	v_add_f64 v[29:30], v[29:30], -v[35:36]
	v_fma_f64 v[221:222], v[223:224], v[33:34], v[221:222]
	v_add_f64 v[31:32], v[31:32], -v[221:222]
	ds_read2_b64 v[221:224], v253 offset0:70 offset1:71
	s_waitcnt lgkmcnt(0)
	v_mul_f64 v[35:36], v[223:224], v[225:226]
	v_fma_f64 v[35:36], v[221:222], v[33:34], -v[35:36]
	v_mul_f64 v[221:222], v[221:222], v[225:226]
	v_add_f64 v[25:26], v[25:26], -v[35:36]
	v_fma_f64 v[221:222], v[223:224], v[33:34], v[221:222]
	v_add_f64 v[27:28], v[27:28], -v[221:222]
	ds_read2_b64 v[221:224], v253 offset0:72 offset1:73
	;; [unrolled: 8-line block ×7, first 2 shown]
	s_waitcnt lgkmcnt(0)
	v_mul_f64 v[35:36], v[223:224], v[225:226]
	v_fma_f64 v[35:36], v[221:222], v[33:34], -v[35:36]
	v_mul_f64 v[221:222], v[221:222], v[225:226]
	v_add_f64 v[1:2], v[1:2], -v[35:36]
	v_fma_f64 v[221:222], v[223:224], v[33:34], v[221:222]
	v_mov_b32_e32 v35, v225
	v_mov_b32_e32 v36, v226
	v_add_f64 v[3:4], v[3:4], -v[221:222]
.LBB83_307:
	s_or_b32 exec_lo, exec_lo, s1
	s_mov_b32 s2, exec_lo
	s_waitcnt lgkmcnt(0)
	s_barrier
	buffer_gl0_inv
	v_cmpx_eq_u32_e32 34, v0
	s_cbranch_execz .LBB83_314
; %bb.308:
	ds_write2_b64 v255, v[29:30], v[31:32] offset1:1
	ds_write2_b64 v253, v[25:26], v[27:28] offset0:70 offset1:71
	ds_write2_b64 v253, v[21:22], v[23:24] offset0:72 offset1:73
	;; [unrolled: 1-line block ×7, first 2 shown]
	ds_read2_b64 v[221:224], v255 offset1:1
	s_waitcnt lgkmcnt(0)
	v_cmp_neq_f64_e32 vcc_lo, 0, v[221:222]
	v_cmp_neq_f64_e64 s1, 0, v[223:224]
	s_or_b32 s1, vcc_lo, s1
	s_and_b32 exec_lo, exec_lo, s1
	s_cbranch_execz .LBB83_314
; %bb.309:
	v_cmp_ngt_f64_e64 s1, |v[221:222]|, |v[223:224]|
                                        ; implicit-def: $vgpr225_vgpr226
	s_and_saveexec_b32 s3, s1
	s_xor_b32 s1, exec_lo, s3
                                        ; implicit-def: $vgpr227_vgpr228
	s_cbranch_execz .LBB83_311
; %bb.310:
	v_div_scale_f64 v[225:226], null, v[223:224], v[223:224], v[221:222]
	v_div_scale_f64 v[231:232], vcc_lo, v[221:222], v[223:224], v[221:222]
	v_rcp_f64_e32 v[227:228], v[225:226]
	v_fma_f64 v[229:230], -v[225:226], v[227:228], 1.0
	v_fma_f64 v[227:228], v[227:228], v[229:230], v[227:228]
	v_fma_f64 v[229:230], -v[225:226], v[227:228], 1.0
	v_fma_f64 v[227:228], v[227:228], v[229:230], v[227:228]
	v_mul_f64 v[229:230], v[231:232], v[227:228]
	v_fma_f64 v[225:226], -v[225:226], v[229:230], v[231:232]
	v_div_fmas_f64 v[225:226], v[225:226], v[227:228], v[229:230]
	v_div_fixup_f64 v[225:226], v[225:226], v[223:224], v[221:222]
	v_fma_f64 v[221:222], v[221:222], v[225:226], v[223:224]
	v_div_scale_f64 v[223:224], null, v[221:222], v[221:222], 1.0
	v_rcp_f64_e32 v[227:228], v[223:224]
	v_fma_f64 v[229:230], -v[223:224], v[227:228], 1.0
	v_fma_f64 v[227:228], v[227:228], v[229:230], v[227:228]
	v_fma_f64 v[229:230], -v[223:224], v[227:228], 1.0
	v_fma_f64 v[227:228], v[227:228], v[229:230], v[227:228]
	v_div_scale_f64 v[229:230], vcc_lo, 1.0, v[221:222], 1.0
	v_mul_f64 v[231:232], v[229:230], v[227:228]
	v_fma_f64 v[223:224], -v[223:224], v[231:232], v[229:230]
	v_div_fmas_f64 v[223:224], v[223:224], v[227:228], v[231:232]
	v_div_fixup_f64 v[227:228], v[223:224], v[221:222], 1.0
                                        ; implicit-def: $vgpr221_vgpr222
	v_mul_f64 v[225:226], v[225:226], v[227:228]
	v_xor_b32_e32 v228, 0x80000000, v228
.LBB83_311:
	s_andn2_saveexec_b32 s1, s1
	s_cbranch_execz .LBB83_313
; %bb.312:
	v_div_scale_f64 v[225:226], null, v[221:222], v[221:222], v[223:224]
	v_div_scale_f64 v[231:232], vcc_lo, v[223:224], v[221:222], v[223:224]
	v_rcp_f64_e32 v[227:228], v[225:226]
	v_fma_f64 v[229:230], -v[225:226], v[227:228], 1.0
	v_fma_f64 v[227:228], v[227:228], v[229:230], v[227:228]
	v_fma_f64 v[229:230], -v[225:226], v[227:228], 1.0
	v_fma_f64 v[227:228], v[227:228], v[229:230], v[227:228]
	v_mul_f64 v[229:230], v[231:232], v[227:228]
	v_fma_f64 v[225:226], -v[225:226], v[229:230], v[231:232]
	v_div_fmas_f64 v[225:226], v[225:226], v[227:228], v[229:230]
	v_div_fixup_f64 v[227:228], v[225:226], v[221:222], v[223:224]
	v_fma_f64 v[221:222], v[223:224], v[227:228], v[221:222]
	v_div_scale_f64 v[223:224], null, v[221:222], v[221:222], 1.0
	v_rcp_f64_e32 v[225:226], v[223:224]
	v_fma_f64 v[229:230], -v[223:224], v[225:226], 1.0
	v_fma_f64 v[225:226], v[225:226], v[229:230], v[225:226]
	v_fma_f64 v[229:230], -v[223:224], v[225:226], 1.0
	v_fma_f64 v[225:226], v[225:226], v[229:230], v[225:226]
	v_div_scale_f64 v[229:230], vcc_lo, 1.0, v[221:222], 1.0
	v_mul_f64 v[231:232], v[229:230], v[225:226]
	v_fma_f64 v[223:224], -v[223:224], v[231:232], v[229:230]
	v_div_fmas_f64 v[223:224], v[223:224], v[225:226], v[231:232]
	v_div_fixup_f64 v[225:226], v[223:224], v[221:222], 1.0
	v_mul_f64 v[227:228], v[227:228], -v[225:226]
.LBB83_313:
	s_or_b32 exec_lo, exec_lo, s1
	ds_write2_b64 v255, v[225:226], v[227:228] offset1:1
.LBB83_314:
	s_or_b32 exec_lo, exec_lo, s2
	s_waitcnt lgkmcnt(0)
	s_barrier
	buffer_gl0_inv
	ds_read2_b64 v[221:224], v255 offset1:1
	s_mov_b32 s1, exec_lo
	v_cmpx_lt_u32_e32 34, v0
	s_cbranch_execz .LBB83_316
; %bb.315:
	s_waitcnt lgkmcnt(0)
	v_mul_f64 v[225:226], v[221:222], v[31:32]
	v_mul_f64 v[31:32], v[223:224], v[31:32]
	v_fma_f64 v[229:230], v[223:224], v[29:30], v[225:226]
	ds_read2_b64 v[225:228], v253 offset0:70 offset1:71
	v_fma_f64 v[29:30], v[221:222], v[29:30], -v[31:32]
	s_waitcnt lgkmcnt(0)
	v_mul_f64 v[31:32], v[227:228], v[229:230]
	v_fma_f64 v[31:32], v[225:226], v[29:30], -v[31:32]
	v_mul_f64 v[225:226], v[225:226], v[229:230]
	v_add_f64 v[25:26], v[25:26], -v[31:32]
	v_fma_f64 v[225:226], v[227:228], v[29:30], v[225:226]
	v_add_f64 v[27:28], v[27:28], -v[225:226]
	ds_read2_b64 v[225:228], v253 offset0:72 offset1:73
	s_waitcnt lgkmcnt(0)
	v_mul_f64 v[31:32], v[227:228], v[229:230]
	v_fma_f64 v[31:32], v[225:226], v[29:30], -v[31:32]
	v_mul_f64 v[225:226], v[225:226], v[229:230]
	v_add_f64 v[21:22], v[21:22], -v[31:32]
	v_fma_f64 v[225:226], v[227:228], v[29:30], v[225:226]
	v_add_f64 v[23:24], v[23:24], -v[225:226]
	ds_read2_b64 v[225:228], v253 offset0:74 offset1:75
	;; [unrolled: 8-line block ×6, first 2 shown]
	s_waitcnt lgkmcnt(0)
	v_mul_f64 v[31:32], v[227:228], v[229:230]
	v_fma_f64 v[31:32], v[225:226], v[29:30], -v[31:32]
	v_mul_f64 v[225:226], v[225:226], v[229:230]
	v_add_f64 v[1:2], v[1:2], -v[31:32]
	v_fma_f64 v[225:226], v[227:228], v[29:30], v[225:226]
	v_mov_b32_e32 v31, v229
	v_mov_b32_e32 v32, v230
	v_add_f64 v[3:4], v[3:4], -v[225:226]
.LBB83_316:
	s_or_b32 exec_lo, exec_lo, s1
	s_mov_b32 s2, exec_lo
	s_waitcnt lgkmcnt(0)
	s_barrier
	buffer_gl0_inv
	v_cmpx_eq_u32_e32 35, v0
	s_cbranch_execz .LBB83_323
; %bb.317:
	ds_write2_b64 v255, v[25:26], v[27:28] offset1:1
	ds_write2_b64 v253, v[21:22], v[23:24] offset0:72 offset1:73
	ds_write2_b64 v253, v[17:18], v[19:20] offset0:74 offset1:75
	;; [unrolled: 1-line block ×6, first 2 shown]
	ds_read2_b64 v[225:228], v255 offset1:1
	s_waitcnt lgkmcnt(0)
	v_cmp_neq_f64_e32 vcc_lo, 0, v[225:226]
	v_cmp_neq_f64_e64 s1, 0, v[227:228]
	s_or_b32 s1, vcc_lo, s1
	s_and_b32 exec_lo, exec_lo, s1
	s_cbranch_execz .LBB83_323
; %bb.318:
	v_cmp_ngt_f64_e64 s1, |v[225:226]|, |v[227:228]|
                                        ; implicit-def: $vgpr229_vgpr230
	s_and_saveexec_b32 s3, s1
	s_xor_b32 s1, exec_lo, s3
                                        ; implicit-def: $vgpr231_vgpr232
	s_cbranch_execz .LBB83_320
; %bb.319:
	v_div_scale_f64 v[229:230], null, v[227:228], v[227:228], v[225:226]
	v_div_scale_f64 v[235:236], vcc_lo, v[225:226], v[227:228], v[225:226]
	v_rcp_f64_e32 v[231:232], v[229:230]
	v_fma_f64 v[233:234], -v[229:230], v[231:232], 1.0
	v_fma_f64 v[231:232], v[231:232], v[233:234], v[231:232]
	v_fma_f64 v[233:234], -v[229:230], v[231:232], 1.0
	v_fma_f64 v[231:232], v[231:232], v[233:234], v[231:232]
	v_mul_f64 v[233:234], v[235:236], v[231:232]
	v_fma_f64 v[229:230], -v[229:230], v[233:234], v[235:236]
	v_div_fmas_f64 v[229:230], v[229:230], v[231:232], v[233:234]
	v_div_fixup_f64 v[229:230], v[229:230], v[227:228], v[225:226]
	v_fma_f64 v[225:226], v[225:226], v[229:230], v[227:228]
	v_div_scale_f64 v[227:228], null, v[225:226], v[225:226], 1.0
	v_rcp_f64_e32 v[231:232], v[227:228]
	v_fma_f64 v[233:234], -v[227:228], v[231:232], 1.0
	v_fma_f64 v[231:232], v[231:232], v[233:234], v[231:232]
	v_fma_f64 v[233:234], -v[227:228], v[231:232], 1.0
	v_fma_f64 v[231:232], v[231:232], v[233:234], v[231:232]
	v_div_scale_f64 v[233:234], vcc_lo, 1.0, v[225:226], 1.0
	v_mul_f64 v[235:236], v[233:234], v[231:232]
	v_fma_f64 v[227:228], -v[227:228], v[235:236], v[233:234]
	v_div_fmas_f64 v[227:228], v[227:228], v[231:232], v[235:236]
	v_div_fixup_f64 v[231:232], v[227:228], v[225:226], 1.0
                                        ; implicit-def: $vgpr225_vgpr226
	v_mul_f64 v[229:230], v[229:230], v[231:232]
	v_xor_b32_e32 v232, 0x80000000, v232
.LBB83_320:
	s_andn2_saveexec_b32 s1, s1
	s_cbranch_execz .LBB83_322
; %bb.321:
	v_div_scale_f64 v[229:230], null, v[225:226], v[225:226], v[227:228]
	v_div_scale_f64 v[235:236], vcc_lo, v[227:228], v[225:226], v[227:228]
	v_rcp_f64_e32 v[231:232], v[229:230]
	v_fma_f64 v[233:234], -v[229:230], v[231:232], 1.0
	v_fma_f64 v[231:232], v[231:232], v[233:234], v[231:232]
	v_fma_f64 v[233:234], -v[229:230], v[231:232], 1.0
	v_fma_f64 v[231:232], v[231:232], v[233:234], v[231:232]
	v_mul_f64 v[233:234], v[235:236], v[231:232]
	v_fma_f64 v[229:230], -v[229:230], v[233:234], v[235:236]
	v_div_fmas_f64 v[229:230], v[229:230], v[231:232], v[233:234]
	v_div_fixup_f64 v[231:232], v[229:230], v[225:226], v[227:228]
	v_fma_f64 v[225:226], v[227:228], v[231:232], v[225:226]
	v_div_scale_f64 v[227:228], null, v[225:226], v[225:226], 1.0
	v_rcp_f64_e32 v[229:230], v[227:228]
	v_fma_f64 v[233:234], -v[227:228], v[229:230], 1.0
	v_fma_f64 v[229:230], v[229:230], v[233:234], v[229:230]
	v_fma_f64 v[233:234], -v[227:228], v[229:230], 1.0
	v_fma_f64 v[229:230], v[229:230], v[233:234], v[229:230]
	v_div_scale_f64 v[233:234], vcc_lo, 1.0, v[225:226], 1.0
	v_mul_f64 v[235:236], v[233:234], v[229:230]
	v_fma_f64 v[227:228], -v[227:228], v[235:236], v[233:234]
	v_div_fmas_f64 v[227:228], v[227:228], v[229:230], v[235:236]
	v_div_fixup_f64 v[229:230], v[227:228], v[225:226], 1.0
	v_mul_f64 v[231:232], v[231:232], -v[229:230]
.LBB83_322:
	s_or_b32 exec_lo, exec_lo, s1
	ds_write2_b64 v255, v[229:230], v[231:232] offset1:1
.LBB83_323:
	s_or_b32 exec_lo, exec_lo, s2
	s_waitcnt lgkmcnt(0)
	s_barrier
	buffer_gl0_inv
	ds_read2_b64 v[225:228], v255 offset1:1
	s_mov_b32 s1, exec_lo
	v_cmpx_lt_u32_e32 35, v0
	s_cbranch_execz .LBB83_325
; %bb.324:
	s_waitcnt lgkmcnt(0)
	v_mul_f64 v[229:230], v[225:226], v[27:28]
	v_mul_f64 v[27:28], v[227:228], v[27:28]
	v_fma_f64 v[233:234], v[227:228], v[25:26], v[229:230]
	ds_read2_b64 v[229:232], v253 offset0:72 offset1:73
	v_fma_f64 v[25:26], v[225:226], v[25:26], -v[27:28]
	s_waitcnt lgkmcnt(0)
	v_mul_f64 v[27:28], v[231:232], v[233:234]
	v_fma_f64 v[27:28], v[229:230], v[25:26], -v[27:28]
	v_mul_f64 v[229:230], v[229:230], v[233:234]
	v_add_f64 v[21:22], v[21:22], -v[27:28]
	v_fma_f64 v[229:230], v[231:232], v[25:26], v[229:230]
	v_add_f64 v[23:24], v[23:24], -v[229:230]
	ds_read2_b64 v[229:232], v253 offset0:74 offset1:75
	s_waitcnt lgkmcnt(0)
	v_mul_f64 v[27:28], v[231:232], v[233:234]
	v_fma_f64 v[27:28], v[229:230], v[25:26], -v[27:28]
	v_mul_f64 v[229:230], v[229:230], v[233:234]
	v_add_f64 v[17:18], v[17:18], -v[27:28]
	v_fma_f64 v[229:230], v[231:232], v[25:26], v[229:230]
	v_add_f64 v[19:20], v[19:20], -v[229:230]
	ds_read2_b64 v[229:232], v253 offset0:76 offset1:77
	;; [unrolled: 8-line block ×5, first 2 shown]
	s_waitcnt lgkmcnt(0)
	v_mul_f64 v[27:28], v[231:232], v[233:234]
	v_fma_f64 v[27:28], v[229:230], v[25:26], -v[27:28]
	v_mul_f64 v[229:230], v[229:230], v[233:234]
	v_add_f64 v[1:2], v[1:2], -v[27:28]
	v_fma_f64 v[229:230], v[231:232], v[25:26], v[229:230]
	v_mov_b32_e32 v27, v233
	v_mov_b32_e32 v28, v234
	v_add_f64 v[3:4], v[3:4], -v[229:230]
.LBB83_325:
	s_or_b32 exec_lo, exec_lo, s1
	s_mov_b32 s2, exec_lo
	s_waitcnt lgkmcnt(0)
	s_barrier
	buffer_gl0_inv
	v_cmpx_eq_u32_e32 36, v0
	s_cbranch_execz .LBB83_332
; %bb.326:
	ds_write2_b64 v255, v[21:22], v[23:24] offset1:1
	ds_write2_b64 v253, v[17:18], v[19:20] offset0:74 offset1:75
	ds_write2_b64 v253, v[13:14], v[15:16] offset0:76 offset1:77
	;; [unrolled: 1-line block ×5, first 2 shown]
	ds_read2_b64 v[229:232], v255 offset1:1
	s_waitcnt lgkmcnt(0)
	v_cmp_neq_f64_e32 vcc_lo, 0, v[229:230]
	v_cmp_neq_f64_e64 s1, 0, v[231:232]
	s_or_b32 s1, vcc_lo, s1
	s_and_b32 exec_lo, exec_lo, s1
	s_cbranch_execz .LBB83_332
; %bb.327:
	v_cmp_ngt_f64_e64 s1, |v[229:230]|, |v[231:232]|
                                        ; implicit-def: $vgpr233_vgpr234
	s_and_saveexec_b32 s3, s1
	s_xor_b32 s1, exec_lo, s3
                                        ; implicit-def: $vgpr235_vgpr236
	s_cbranch_execz .LBB83_329
; %bb.328:
	v_div_scale_f64 v[233:234], null, v[231:232], v[231:232], v[229:230]
	v_div_scale_f64 v[239:240], vcc_lo, v[229:230], v[231:232], v[229:230]
	v_rcp_f64_e32 v[235:236], v[233:234]
	v_fma_f64 v[237:238], -v[233:234], v[235:236], 1.0
	v_fma_f64 v[235:236], v[235:236], v[237:238], v[235:236]
	v_fma_f64 v[237:238], -v[233:234], v[235:236], 1.0
	v_fma_f64 v[235:236], v[235:236], v[237:238], v[235:236]
	v_mul_f64 v[237:238], v[239:240], v[235:236]
	v_fma_f64 v[233:234], -v[233:234], v[237:238], v[239:240]
	v_div_fmas_f64 v[233:234], v[233:234], v[235:236], v[237:238]
	v_div_fixup_f64 v[233:234], v[233:234], v[231:232], v[229:230]
	v_fma_f64 v[229:230], v[229:230], v[233:234], v[231:232]
	v_div_scale_f64 v[231:232], null, v[229:230], v[229:230], 1.0
	v_rcp_f64_e32 v[235:236], v[231:232]
	v_fma_f64 v[237:238], -v[231:232], v[235:236], 1.0
	v_fma_f64 v[235:236], v[235:236], v[237:238], v[235:236]
	v_fma_f64 v[237:238], -v[231:232], v[235:236], 1.0
	v_fma_f64 v[235:236], v[235:236], v[237:238], v[235:236]
	v_div_scale_f64 v[237:238], vcc_lo, 1.0, v[229:230], 1.0
	v_mul_f64 v[239:240], v[237:238], v[235:236]
	v_fma_f64 v[231:232], -v[231:232], v[239:240], v[237:238]
	v_div_fmas_f64 v[231:232], v[231:232], v[235:236], v[239:240]
	v_div_fixup_f64 v[235:236], v[231:232], v[229:230], 1.0
                                        ; implicit-def: $vgpr229_vgpr230
	v_mul_f64 v[233:234], v[233:234], v[235:236]
	v_xor_b32_e32 v236, 0x80000000, v236
.LBB83_329:
	s_andn2_saveexec_b32 s1, s1
	s_cbranch_execz .LBB83_331
; %bb.330:
	v_div_scale_f64 v[233:234], null, v[229:230], v[229:230], v[231:232]
	v_div_scale_f64 v[239:240], vcc_lo, v[231:232], v[229:230], v[231:232]
	v_rcp_f64_e32 v[235:236], v[233:234]
	v_fma_f64 v[237:238], -v[233:234], v[235:236], 1.0
	v_fma_f64 v[235:236], v[235:236], v[237:238], v[235:236]
	v_fma_f64 v[237:238], -v[233:234], v[235:236], 1.0
	v_fma_f64 v[235:236], v[235:236], v[237:238], v[235:236]
	v_mul_f64 v[237:238], v[239:240], v[235:236]
	v_fma_f64 v[233:234], -v[233:234], v[237:238], v[239:240]
	v_div_fmas_f64 v[233:234], v[233:234], v[235:236], v[237:238]
	v_div_fixup_f64 v[235:236], v[233:234], v[229:230], v[231:232]
	v_fma_f64 v[229:230], v[231:232], v[235:236], v[229:230]
	v_div_scale_f64 v[231:232], null, v[229:230], v[229:230], 1.0
	v_rcp_f64_e32 v[233:234], v[231:232]
	v_fma_f64 v[237:238], -v[231:232], v[233:234], 1.0
	v_fma_f64 v[233:234], v[233:234], v[237:238], v[233:234]
	v_fma_f64 v[237:238], -v[231:232], v[233:234], 1.0
	v_fma_f64 v[233:234], v[233:234], v[237:238], v[233:234]
	v_div_scale_f64 v[237:238], vcc_lo, 1.0, v[229:230], 1.0
	v_mul_f64 v[239:240], v[237:238], v[233:234]
	v_fma_f64 v[231:232], -v[231:232], v[239:240], v[237:238]
	v_div_fmas_f64 v[231:232], v[231:232], v[233:234], v[239:240]
	v_div_fixup_f64 v[233:234], v[231:232], v[229:230], 1.0
	v_mul_f64 v[235:236], v[235:236], -v[233:234]
.LBB83_331:
	s_or_b32 exec_lo, exec_lo, s1
	ds_write2_b64 v255, v[233:234], v[235:236] offset1:1
.LBB83_332:
	s_or_b32 exec_lo, exec_lo, s2
	s_waitcnt lgkmcnt(0)
	s_barrier
	buffer_gl0_inv
	ds_read2_b64 v[229:232], v255 offset1:1
	s_mov_b32 s1, exec_lo
	v_cmpx_lt_u32_e32 36, v0
	s_cbranch_execz .LBB83_334
; %bb.333:
	s_waitcnt lgkmcnt(0)
	v_mul_f64 v[233:234], v[229:230], v[23:24]
	v_mul_f64 v[23:24], v[231:232], v[23:24]
	v_fma_f64 v[237:238], v[231:232], v[21:22], v[233:234]
	ds_read2_b64 v[233:236], v253 offset0:74 offset1:75
	v_fma_f64 v[21:22], v[229:230], v[21:22], -v[23:24]
	s_waitcnt lgkmcnt(0)
	v_mul_f64 v[23:24], v[235:236], v[237:238]
	v_fma_f64 v[23:24], v[233:234], v[21:22], -v[23:24]
	v_mul_f64 v[233:234], v[233:234], v[237:238]
	v_add_f64 v[17:18], v[17:18], -v[23:24]
	v_fma_f64 v[233:234], v[235:236], v[21:22], v[233:234]
	v_add_f64 v[19:20], v[19:20], -v[233:234]
	ds_read2_b64 v[233:236], v253 offset0:76 offset1:77
	s_waitcnt lgkmcnt(0)
	v_mul_f64 v[23:24], v[235:236], v[237:238]
	v_fma_f64 v[23:24], v[233:234], v[21:22], -v[23:24]
	v_mul_f64 v[233:234], v[233:234], v[237:238]
	v_add_f64 v[13:14], v[13:14], -v[23:24]
	v_fma_f64 v[233:234], v[235:236], v[21:22], v[233:234]
	v_add_f64 v[15:16], v[15:16], -v[233:234]
	ds_read2_b64 v[233:236], v253 offset0:78 offset1:79
	;; [unrolled: 8-line block ×4, first 2 shown]
	s_waitcnt lgkmcnt(0)
	v_mul_f64 v[23:24], v[235:236], v[237:238]
	v_fma_f64 v[23:24], v[233:234], v[21:22], -v[23:24]
	v_mul_f64 v[233:234], v[233:234], v[237:238]
	v_add_f64 v[1:2], v[1:2], -v[23:24]
	v_fma_f64 v[233:234], v[235:236], v[21:22], v[233:234]
	v_mov_b32_e32 v23, v237
	v_mov_b32_e32 v24, v238
	v_add_f64 v[3:4], v[3:4], -v[233:234]
.LBB83_334:
	s_or_b32 exec_lo, exec_lo, s1
	s_mov_b32 s2, exec_lo
	s_waitcnt lgkmcnt(0)
	s_barrier
	buffer_gl0_inv
	v_cmpx_eq_u32_e32 37, v0
	s_cbranch_execz .LBB83_341
; %bb.335:
	ds_write2_b64 v255, v[17:18], v[19:20] offset1:1
	ds_write2_b64 v253, v[13:14], v[15:16] offset0:76 offset1:77
	ds_write2_b64 v253, v[9:10], v[11:12] offset0:78 offset1:79
	;; [unrolled: 1-line block ×4, first 2 shown]
	ds_read2_b64 v[233:236], v255 offset1:1
	s_waitcnt lgkmcnt(0)
	v_cmp_neq_f64_e32 vcc_lo, 0, v[233:234]
	v_cmp_neq_f64_e64 s1, 0, v[235:236]
	s_or_b32 s1, vcc_lo, s1
	s_and_b32 exec_lo, exec_lo, s1
	s_cbranch_execz .LBB83_341
; %bb.336:
	v_cmp_ngt_f64_e64 s1, |v[233:234]|, |v[235:236]|
                                        ; implicit-def: $vgpr237_vgpr238
	s_and_saveexec_b32 s3, s1
	s_xor_b32 s1, exec_lo, s3
                                        ; implicit-def: $vgpr239_vgpr240
	s_cbranch_execz .LBB83_338
; %bb.337:
	v_div_scale_f64 v[237:238], null, v[235:236], v[235:236], v[233:234]
	v_div_scale_f64 v[243:244], vcc_lo, v[233:234], v[235:236], v[233:234]
	v_rcp_f64_e32 v[239:240], v[237:238]
	v_fma_f64 v[241:242], -v[237:238], v[239:240], 1.0
	v_fma_f64 v[239:240], v[239:240], v[241:242], v[239:240]
	v_fma_f64 v[241:242], -v[237:238], v[239:240], 1.0
	v_fma_f64 v[239:240], v[239:240], v[241:242], v[239:240]
	v_mul_f64 v[241:242], v[243:244], v[239:240]
	v_fma_f64 v[237:238], -v[237:238], v[241:242], v[243:244]
	v_div_fmas_f64 v[237:238], v[237:238], v[239:240], v[241:242]
	v_div_fixup_f64 v[237:238], v[237:238], v[235:236], v[233:234]
	v_fma_f64 v[233:234], v[233:234], v[237:238], v[235:236]
	v_div_scale_f64 v[235:236], null, v[233:234], v[233:234], 1.0
	v_rcp_f64_e32 v[239:240], v[235:236]
	v_fma_f64 v[241:242], -v[235:236], v[239:240], 1.0
	v_fma_f64 v[239:240], v[239:240], v[241:242], v[239:240]
	v_fma_f64 v[241:242], -v[235:236], v[239:240], 1.0
	v_fma_f64 v[239:240], v[239:240], v[241:242], v[239:240]
	v_div_scale_f64 v[241:242], vcc_lo, 1.0, v[233:234], 1.0
	v_mul_f64 v[243:244], v[241:242], v[239:240]
	v_fma_f64 v[235:236], -v[235:236], v[243:244], v[241:242]
	v_div_fmas_f64 v[235:236], v[235:236], v[239:240], v[243:244]
	v_div_fixup_f64 v[239:240], v[235:236], v[233:234], 1.0
                                        ; implicit-def: $vgpr233_vgpr234
	v_mul_f64 v[237:238], v[237:238], v[239:240]
	v_xor_b32_e32 v240, 0x80000000, v240
.LBB83_338:
	s_andn2_saveexec_b32 s1, s1
	s_cbranch_execz .LBB83_340
; %bb.339:
	v_div_scale_f64 v[237:238], null, v[233:234], v[233:234], v[235:236]
	v_div_scale_f64 v[243:244], vcc_lo, v[235:236], v[233:234], v[235:236]
	v_rcp_f64_e32 v[239:240], v[237:238]
	v_fma_f64 v[241:242], -v[237:238], v[239:240], 1.0
	v_fma_f64 v[239:240], v[239:240], v[241:242], v[239:240]
	v_fma_f64 v[241:242], -v[237:238], v[239:240], 1.0
	v_fma_f64 v[239:240], v[239:240], v[241:242], v[239:240]
	v_mul_f64 v[241:242], v[243:244], v[239:240]
	v_fma_f64 v[237:238], -v[237:238], v[241:242], v[243:244]
	v_div_fmas_f64 v[237:238], v[237:238], v[239:240], v[241:242]
	v_div_fixup_f64 v[239:240], v[237:238], v[233:234], v[235:236]
	v_fma_f64 v[233:234], v[235:236], v[239:240], v[233:234]
	v_div_scale_f64 v[235:236], null, v[233:234], v[233:234], 1.0
	v_rcp_f64_e32 v[237:238], v[235:236]
	v_fma_f64 v[241:242], -v[235:236], v[237:238], 1.0
	v_fma_f64 v[237:238], v[237:238], v[241:242], v[237:238]
	v_fma_f64 v[241:242], -v[235:236], v[237:238], 1.0
	v_fma_f64 v[237:238], v[237:238], v[241:242], v[237:238]
	v_div_scale_f64 v[241:242], vcc_lo, 1.0, v[233:234], 1.0
	v_mul_f64 v[243:244], v[241:242], v[237:238]
	v_fma_f64 v[235:236], -v[235:236], v[243:244], v[241:242]
	v_div_fmas_f64 v[235:236], v[235:236], v[237:238], v[243:244]
	v_div_fixup_f64 v[237:238], v[235:236], v[233:234], 1.0
	v_mul_f64 v[239:240], v[239:240], -v[237:238]
.LBB83_340:
	s_or_b32 exec_lo, exec_lo, s1
	ds_write2_b64 v255, v[237:238], v[239:240] offset1:1
.LBB83_341:
	s_or_b32 exec_lo, exec_lo, s2
	s_waitcnt lgkmcnt(0)
	s_barrier
	buffer_gl0_inv
	ds_read2_b64 v[233:236], v255 offset1:1
	s_mov_b32 s1, exec_lo
	v_cmpx_lt_u32_e32 37, v0
	s_cbranch_execz .LBB83_343
; %bb.342:
	s_waitcnt lgkmcnt(0)
	v_mul_f64 v[237:238], v[233:234], v[19:20]
	v_mul_f64 v[19:20], v[235:236], v[19:20]
	v_fma_f64 v[241:242], v[235:236], v[17:18], v[237:238]
	ds_read2_b64 v[237:240], v253 offset0:76 offset1:77
	v_fma_f64 v[17:18], v[233:234], v[17:18], -v[19:20]
	s_waitcnt lgkmcnt(0)
	v_mul_f64 v[19:20], v[239:240], v[241:242]
	v_fma_f64 v[19:20], v[237:238], v[17:18], -v[19:20]
	v_mul_f64 v[237:238], v[237:238], v[241:242]
	v_add_f64 v[13:14], v[13:14], -v[19:20]
	v_fma_f64 v[237:238], v[239:240], v[17:18], v[237:238]
	v_add_f64 v[15:16], v[15:16], -v[237:238]
	ds_read2_b64 v[237:240], v253 offset0:78 offset1:79
	s_waitcnt lgkmcnt(0)
	v_mul_f64 v[19:20], v[239:240], v[241:242]
	v_fma_f64 v[19:20], v[237:238], v[17:18], -v[19:20]
	v_mul_f64 v[237:238], v[237:238], v[241:242]
	v_add_f64 v[9:10], v[9:10], -v[19:20]
	v_fma_f64 v[237:238], v[239:240], v[17:18], v[237:238]
	v_add_f64 v[11:12], v[11:12], -v[237:238]
	ds_read2_b64 v[237:240], v253 offset0:80 offset1:81
	;; [unrolled: 8-line block ×3, first 2 shown]
	s_waitcnt lgkmcnt(0)
	v_mul_f64 v[19:20], v[239:240], v[241:242]
	v_fma_f64 v[19:20], v[237:238], v[17:18], -v[19:20]
	v_mul_f64 v[237:238], v[237:238], v[241:242]
	v_add_f64 v[1:2], v[1:2], -v[19:20]
	v_fma_f64 v[237:238], v[239:240], v[17:18], v[237:238]
	v_mov_b32_e32 v19, v241
	v_mov_b32_e32 v20, v242
	v_add_f64 v[3:4], v[3:4], -v[237:238]
.LBB83_343:
	s_or_b32 exec_lo, exec_lo, s1
	s_mov_b32 s2, exec_lo
	s_waitcnt lgkmcnt(0)
	s_barrier
	buffer_gl0_inv
	v_cmpx_eq_u32_e32 38, v0
	s_cbranch_execz .LBB83_350
; %bb.344:
	ds_write2_b64 v255, v[13:14], v[15:16] offset1:1
	ds_write2_b64 v253, v[9:10], v[11:12] offset0:78 offset1:79
	ds_write2_b64 v253, v[5:6], v[7:8] offset0:80 offset1:81
	;; [unrolled: 1-line block ×3, first 2 shown]
	ds_read2_b64 v[237:240], v255 offset1:1
	s_waitcnt lgkmcnt(0)
	v_cmp_neq_f64_e32 vcc_lo, 0, v[237:238]
	v_cmp_neq_f64_e64 s1, 0, v[239:240]
	s_or_b32 s1, vcc_lo, s1
	s_and_b32 exec_lo, exec_lo, s1
	s_cbranch_execz .LBB83_350
; %bb.345:
	v_cmp_ngt_f64_e64 s1, |v[237:238]|, |v[239:240]|
                                        ; implicit-def: $vgpr241_vgpr242
	s_and_saveexec_b32 s3, s1
	s_xor_b32 s1, exec_lo, s3
                                        ; implicit-def: $vgpr243_vgpr244
	s_cbranch_execz .LBB83_347
; %bb.346:
	v_div_scale_f64 v[241:242], null, v[239:240], v[239:240], v[237:238]
	v_div_scale_f64 v[247:248], vcc_lo, v[237:238], v[239:240], v[237:238]
	v_rcp_f64_e32 v[243:244], v[241:242]
	v_fma_f64 v[245:246], -v[241:242], v[243:244], 1.0
	v_fma_f64 v[243:244], v[243:244], v[245:246], v[243:244]
	v_fma_f64 v[245:246], -v[241:242], v[243:244], 1.0
	v_fma_f64 v[243:244], v[243:244], v[245:246], v[243:244]
	v_mul_f64 v[245:246], v[247:248], v[243:244]
	v_fma_f64 v[241:242], -v[241:242], v[245:246], v[247:248]
	v_div_fmas_f64 v[241:242], v[241:242], v[243:244], v[245:246]
	v_div_fixup_f64 v[241:242], v[241:242], v[239:240], v[237:238]
	v_fma_f64 v[237:238], v[237:238], v[241:242], v[239:240]
	v_div_scale_f64 v[239:240], null, v[237:238], v[237:238], 1.0
	v_rcp_f64_e32 v[243:244], v[239:240]
	v_fma_f64 v[245:246], -v[239:240], v[243:244], 1.0
	v_fma_f64 v[243:244], v[243:244], v[245:246], v[243:244]
	v_fma_f64 v[245:246], -v[239:240], v[243:244], 1.0
	v_fma_f64 v[243:244], v[243:244], v[245:246], v[243:244]
	v_div_scale_f64 v[245:246], vcc_lo, 1.0, v[237:238], 1.0
	v_mul_f64 v[247:248], v[245:246], v[243:244]
	v_fma_f64 v[239:240], -v[239:240], v[247:248], v[245:246]
	v_div_fmas_f64 v[239:240], v[239:240], v[243:244], v[247:248]
	v_div_fixup_f64 v[243:244], v[239:240], v[237:238], 1.0
                                        ; implicit-def: $vgpr237_vgpr238
	v_mul_f64 v[241:242], v[241:242], v[243:244]
	v_xor_b32_e32 v244, 0x80000000, v244
.LBB83_347:
	s_andn2_saveexec_b32 s1, s1
	s_cbranch_execz .LBB83_349
; %bb.348:
	v_div_scale_f64 v[241:242], null, v[237:238], v[237:238], v[239:240]
	v_div_scale_f64 v[247:248], vcc_lo, v[239:240], v[237:238], v[239:240]
	v_rcp_f64_e32 v[243:244], v[241:242]
	v_fma_f64 v[245:246], -v[241:242], v[243:244], 1.0
	v_fma_f64 v[243:244], v[243:244], v[245:246], v[243:244]
	v_fma_f64 v[245:246], -v[241:242], v[243:244], 1.0
	v_fma_f64 v[243:244], v[243:244], v[245:246], v[243:244]
	v_mul_f64 v[245:246], v[247:248], v[243:244]
	v_fma_f64 v[241:242], -v[241:242], v[245:246], v[247:248]
	v_div_fmas_f64 v[241:242], v[241:242], v[243:244], v[245:246]
	v_div_fixup_f64 v[243:244], v[241:242], v[237:238], v[239:240]
	v_fma_f64 v[237:238], v[239:240], v[243:244], v[237:238]
	v_div_scale_f64 v[239:240], null, v[237:238], v[237:238], 1.0
	v_rcp_f64_e32 v[241:242], v[239:240]
	v_fma_f64 v[245:246], -v[239:240], v[241:242], 1.0
	v_fma_f64 v[241:242], v[241:242], v[245:246], v[241:242]
	v_fma_f64 v[245:246], -v[239:240], v[241:242], 1.0
	v_fma_f64 v[241:242], v[241:242], v[245:246], v[241:242]
	v_div_scale_f64 v[245:246], vcc_lo, 1.0, v[237:238], 1.0
	v_mul_f64 v[247:248], v[245:246], v[241:242]
	v_fma_f64 v[239:240], -v[239:240], v[247:248], v[245:246]
	v_div_fmas_f64 v[239:240], v[239:240], v[241:242], v[247:248]
	v_div_fixup_f64 v[241:242], v[239:240], v[237:238], 1.0
	v_mul_f64 v[243:244], v[243:244], -v[241:242]
.LBB83_349:
	s_or_b32 exec_lo, exec_lo, s1
	ds_write2_b64 v255, v[241:242], v[243:244] offset1:1
.LBB83_350:
	s_or_b32 exec_lo, exec_lo, s2
	s_waitcnt lgkmcnt(0)
	s_barrier
	buffer_gl0_inv
	ds_read2_b64 v[237:240], v255 offset1:1
	s_mov_b32 s1, exec_lo
	v_cmpx_lt_u32_e32 38, v0
	s_cbranch_execz .LBB83_352
; %bb.351:
	s_waitcnt lgkmcnt(0)
	v_mul_f64 v[241:242], v[237:238], v[15:16]
	v_mul_f64 v[15:16], v[239:240], v[15:16]
	v_fma_f64 v[245:246], v[239:240], v[13:14], v[241:242]
	ds_read2_b64 v[241:244], v253 offset0:78 offset1:79
	v_fma_f64 v[13:14], v[237:238], v[13:14], -v[15:16]
	s_waitcnt lgkmcnt(0)
	v_mul_f64 v[15:16], v[243:244], v[245:246]
	v_fma_f64 v[15:16], v[241:242], v[13:14], -v[15:16]
	v_mul_f64 v[241:242], v[241:242], v[245:246]
	v_add_f64 v[9:10], v[9:10], -v[15:16]
	v_fma_f64 v[241:242], v[243:244], v[13:14], v[241:242]
	v_add_f64 v[11:12], v[11:12], -v[241:242]
	ds_read2_b64 v[241:244], v253 offset0:80 offset1:81
	s_waitcnt lgkmcnt(0)
	v_mul_f64 v[15:16], v[243:244], v[245:246]
	v_fma_f64 v[15:16], v[241:242], v[13:14], -v[15:16]
	v_mul_f64 v[241:242], v[241:242], v[245:246]
	v_add_f64 v[5:6], v[5:6], -v[15:16]
	v_fma_f64 v[241:242], v[243:244], v[13:14], v[241:242]
	v_add_f64 v[7:8], v[7:8], -v[241:242]
	ds_read2_b64 v[241:244], v253 offset0:82 offset1:83
	s_waitcnt lgkmcnt(0)
	v_mul_f64 v[15:16], v[243:244], v[245:246]
	v_fma_f64 v[15:16], v[241:242], v[13:14], -v[15:16]
	v_mul_f64 v[241:242], v[241:242], v[245:246]
	v_add_f64 v[1:2], v[1:2], -v[15:16]
	v_fma_f64 v[241:242], v[243:244], v[13:14], v[241:242]
	v_mov_b32_e32 v15, v245
	v_mov_b32_e32 v16, v246
	v_add_f64 v[3:4], v[3:4], -v[241:242]
.LBB83_352:
	s_or_b32 exec_lo, exec_lo, s1
	s_mov_b32 s2, exec_lo
	s_waitcnt lgkmcnt(0)
	s_barrier
	buffer_gl0_inv
	v_cmpx_eq_u32_e32 39, v0
	s_cbranch_execz .LBB83_359
; %bb.353:
	ds_write2_b64 v255, v[9:10], v[11:12] offset1:1
	ds_write2_b64 v253, v[5:6], v[7:8] offset0:80 offset1:81
	ds_write2_b64 v253, v[1:2], v[3:4] offset0:82 offset1:83
	ds_read2_b64 v[241:244], v255 offset1:1
	s_waitcnt lgkmcnt(0)
	v_cmp_neq_f64_e32 vcc_lo, 0, v[241:242]
	v_cmp_neq_f64_e64 s1, 0, v[243:244]
	s_or_b32 s1, vcc_lo, s1
	s_and_b32 exec_lo, exec_lo, s1
	s_cbranch_execz .LBB83_359
; %bb.354:
	v_cmp_ngt_f64_e64 s1, |v[241:242]|, |v[243:244]|
                                        ; implicit-def: $vgpr245_vgpr246
	s_and_saveexec_b32 s3, s1
	s_xor_b32 s1, exec_lo, s3
                                        ; implicit-def: $vgpr247_vgpr248
	s_cbranch_execz .LBB83_356
; %bb.355:
	v_div_scale_f64 v[245:246], null, v[243:244], v[243:244], v[241:242]
	v_div_scale_f64 v[251:252], vcc_lo, v[241:242], v[243:244], v[241:242]
	v_rcp_f64_e32 v[247:248], v[245:246]
	v_fma_f64 v[249:250], -v[245:246], v[247:248], 1.0
	v_fma_f64 v[247:248], v[247:248], v[249:250], v[247:248]
	v_fma_f64 v[249:250], -v[245:246], v[247:248], 1.0
	v_fma_f64 v[247:248], v[247:248], v[249:250], v[247:248]
	v_mul_f64 v[249:250], v[251:252], v[247:248]
	v_fma_f64 v[245:246], -v[245:246], v[249:250], v[251:252]
	v_div_fmas_f64 v[245:246], v[245:246], v[247:248], v[249:250]
	v_div_fixup_f64 v[245:246], v[245:246], v[243:244], v[241:242]
	v_fma_f64 v[241:242], v[241:242], v[245:246], v[243:244]
	v_div_scale_f64 v[243:244], null, v[241:242], v[241:242], 1.0
	v_rcp_f64_e32 v[247:248], v[243:244]
	v_fma_f64 v[249:250], -v[243:244], v[247:248], 1.0
	v_fma_f64 v[247:248], v[247:248], v[249:250], v[247:248]
	v_fma_f64 v[249:250], -v[243:244], v[247:248], 1.0
	v_fma_f64 v[247:248], v[247:248], v[249:250], v[247:248]
	v_div_scale_f64 v[249:250], vcc_lo, 1.0, v[241:242], 1.0
	v_mul_f64 v[251:252], v[249:250], v[247:248]
	v_fma_f64 v[243:244], -v[243:244], v[251:252], v[249:250]
	v_div_fmas_f64 v[243:244], v[243:244], v[247:248], v[251:252]
	v_div_fixup_f64 v[247:248], v[243:244], v[241:242], 1.0
                                        ; implicit-def: $vgpr241_vgpr242
	v_mul_f64 v[245:246], v[245:246], v[247:248]
	v_xor_b32_e32 v248, 0x80000000, v248
.LBB83_356:
	s_andn2_saveexec_b32 s1, s1
	s_cbranch_execz .LBB83_358
; %bb.357:
	v_div_scale_f64 v[245:246], null, v[241:242], v[241:242], v[243:244]
	v_div_scale_f64 v[251:252], vcc_lo, v[243:244], v[241:242], v[243:244]
	v_rcp_f64_e32 v[247:248], v[245:246]
	v_fma_f64 v[249:250], -v[245:246], v[247:248], 1.0
	v_fma_f64 v[247:248], v[247:248], v[249:250], v[247:248]
	v_fma_f64 v[249:250], -v[245:246], v[247:248], 1.0
	v_fma_f64 v[247:248], v[247:248], v[249:250], v[247:248]
	v_mul_f64 v[249:250], v[251:252], v[247:248]
	v_fma_f64 v[245:246], -v[245:246], v[249:250], v[251:252]
	v_div_fmas_f64 v[245:246], v[245:246], v[247:248], v[249:250]
	v_div_fixup_f64 v[247:248], v[245:246], v[241:242], v[243:244]
	v_fma_f64 v[241:242], v[243:244], v[247:248], v[241:242]
	v_div_scale_f64 v[243:244], null, v[241:242], v[241:242], 1.0
	v_rcp_f64_e32 v[245:246], v[243:244]
	v_fma_f64 v[249:250], -v[243:244], v[245:246], 1.0
	v_fma_f64 v[245:246], v[245:246], v[249:250], v[245:246]
	v_fma_f64 v[249:250], -v[243:244], v[245:246], 1.0
	v_fma_f64 v[245:246], v[245:246], v[249:250], v[245:246]
	v_div_scale_f64 v[249:250], vcc_lo, 1.0, v[241:242], 1.0
	v_mul_f64 v[251:252], v[249:250], v[245:246]
	v_fma_f64 v[243:244], -v[243:244], v[251:252], v[249:250]
	v_div_fmas_f64 v[243:244], v[243:244], v[245:246], v[251:252]
	v_div_fixup_f64 v[245:246], v[243:244], v[241:242], 1.0
	v_mul_f64 v[247:248], v[247:248], -v[245:246]
.LBB83_358:
	s_or_b32 exec_lo, exec_lo, s1
	ds_write2_b64 v255, v[245:246], v[247:248] offset1:1
.LBB83_359:
	s_or_b32 exec_lo, exec_lo, s2
	s_waitcnt lgkmcnt(0)
	s_barrier
	buffer_gl0_inv
	ds_read2_b64 v[241:244], v255 offset1:1
	s_mov_b32 s1, exec_lo
	v_cmpx_lt_u32_e32 39, v0
	s_cbranch_execz .LBB83_361
; %bb.360:
	s_waitcnt lgkmcnt(0)
	v_mul_f64 v[245:246], v[241:242], v[11:12]
	v_mul_f64 v[11:12], v[243:244], v[11:12]
	v_fma_f64 v[249:250], v[243:244], v[9:10], v[245:246]
	ds_read2_b64 v[245:248], v253 offset0:80 offset1:81
	v_fma_f64 v[9:10], v[241:242], v[9:10], -v[11:12]
	s_waitcnt lgkmcnt(0)
	v_mul_f64 v[11:12], v[247:248], v[249:250]
	v_fma_f64 v[11:12], v[245:246], v[9:10], -v[11:12]
	v_mul_f64 v[245:246], v[245:246], v[249:250]
	v_add_f64 v[5:6], v[5:6], -v[11:12]
	v_fma_f64 v[245:246], v[247:248], v[9:10], v[245:246]
	v_add_f64 v[7:8], v[7:8], -v[245:246]
	ds_read2_b64 v[245:248], v253 offset0:82 offset1:83
	s_waitcnt lgkmcnt(0)
	v_mul_f64 v[11:12], v[247:248], v[249:250]
	v_fma_f64 v[11:12], v[245:246], v[9:10], -v[11:12]
	v_mul_f64 v[245:246], v[245:246], v[249:250]
	v_add_f64 v[1:2], v[1:2], -v[11:12]
	v_fma_f64 v[245:246], v[247:248], v[9:10], v[245:246]
	v_mov_b32_e32 v11, v249
	v_mov_b32_e32 v12, v250
	v_add_f64 v[3:4], v[3:4], -v[245:246]
.LBB83_361:
	s_or_b32 exec_lo, exec_lo, s1
	s_mov_b32 s2, exec_lo
	s_waitcnt lgkmcnt(0)
	s_barrier
	buffer_gl0_inv
	v_cmpx_eq_u32_e32 40, v0
	s_cbranch_execz .LBB83_368
; %bb.362:
	ds_write2_b64 v255, v[5:6], v[7:8] offset1:1
	ds_write2_b64 v253, v[1:2], v[3:4] offset0:82 offset1:83
	ds_read2_b64 v[245:248], v255 offset1:1
	s_waitcnt lgkmcnt(0)
	v_cmp_neq_f64_e32 vcc_lo, 0, v[245:246]
	v_cmp_neq_f64_e64 s1, 0, v[247:248]
	s_or_b32 s1, vcc_lo, s1
	s_and_b32 exec_lo, exec_lo, s1
	s_cbranch_execz .LBB83_368
; %bb.363:
	v_cmp_ngt_f64_e64 s1, |v[245:246]|, |v[247:248]|
                                        ; implicit-def: $vgpr249_vgpr250
	s_and_saveexec_b32 s3, s1
	s_xor_b32 s1, exec_lo, s3
                                        ; implicit-def: $vgpr251_vgpr252
	s_cbranch_execz .LBB83_365
; %bb.364:
	v_div_scale_f64 v[249:250], null, v[247:248], v[247:248], v[245:246]
	v_rcp_f64_e32 v[251:252], v[249:250]
	v_fma_f64 v[169:170], -v[249:250], v[251:252], 1.0
	v_fma_f64 v[169:170], v[251:252], v[169:170], v[251:252]
	v_div_scale_f64 v[251:252], vcc_lo, v[245:246], v[247:248], v[245:246]
	v_fma_f64 v[171:172], -v[249:250], v[169:170], 1.0
	v_fma_f64 v[169:170], v[169:170], v[171:172], v[169:170]
	v_mul_f64 v[171:172], v[251:252], v[169:170]
	v_fma_f64 v[249:250], -v[249:250], v[171:172], v[251:252]
	v_div_fmas_f64 v[169:170], v[249:250], v[169:170], v[171:172]
	v_div_fixup_f64 v[169:170], v[169:170], v[247:248], v[245:246]
	v_fma_f64 v[171:172], v[245:246], v[169:170], v[247:248]
	v_div_scale_f64 v[245:246], null, v[171:172], v[171:172], 1.0
	v_rcp_f64_e32 v[247:248], v[245:246]
	v_fma_f64 v[249:250], -v[245:246], v[247:248], 1.0
	v_fma_f64 v[247:248], v[247:248], v[249:250], v[247:248]
	v_fma_f64 v[249:250], -v[245:246], v[247:248], 1.0
	v_fma_f64 v[247:248], v[247:248], v[249:250], v[247:248]
	v_div_scale_f64 v[249:250], vcc_lo, 1.0, v[171:172], 1.0
	v_mul_f64 v[251:252], v[249:250], v[247:248]
	v_fma_f64 v[245:246], -v[245:246], v[251:252], v[249:250]
	v_div_fmas_f64 v[245:246], v[245:246], v[247:248], v[251:252]
	v_div_fixup_f64 v[251:252], v[245:246], v[171:172], 1.0
                                        ; implicit-def: $vgpr245_vgpr246
	v_mul_f64 v[249:250], v[169:170], v[251:252]
	v_xor_b32_e32 v252, 0x80000000, v252
.LBB83_365:
	s_andn2_saveexec_b32 s1, s1
	s_cbranch_execz .LBB83_367
; %bb.366:
	v_div_scale_f64 v[169:170], null, v[245:246], v[245:246], v[247:248]
	v_div_scale_f64 v[251:252], vcc_lo, v[247:248], v[245:246], v[247:248]
	v_rcp_f64_e32 v[171:172], v[169:170]
	v_fma_f64 v[249:250], -v[169:170], v[171:172], 1.0
	v_fma_f64 v[171:172], v[171:172], v[249:250], v[171:172]
	v_fma_f64 v[249:250], -v[169:170], v[171:172], 1.0
	v_fma_f64 v[171:172], v[171:172], v[249:250], v[171:172]
	v_mul_f64 v[249:250], v[251:252], v[171:172]
	v_fma_f64 v[169:170], -v[169:170], v[249:250], v[251:252]
	v_div_fmas_f64 v[169:170], v[169:170], v[171:172], v[249:250]
	v_div_fixup_f64 v[169:170], v[169:170], v[245:246], v[247:248]
	v_fma_f64 v[171:172], v[247:248], v[169:170], v[245:246]
	v_div_scale_f64 v[245:246], null, v[171:172], v[171:172], 1.0
	v_rcp_f64_e32 v[247:248], v[245:246]
	v_fma_f64 v[249:250], -v[245:246], v[247:248], 1.0
	v_fma_f64 v[247:248], v[247:248], v[249:250], v[247:248]
	v_fma_f64 v[249:250], -v[245:246], v[247:248], 1.0
	v_fma_f64 v[247:248], v[247:248], v[249:250], v[247:248]
	v_div_scale_f64 v[249:250], vcc_lo, 1.0, v[171:172], 1.0
	v_mul_f64 v[251:252], v[249:250], v[247:248]
	v_fma_f64 v[245:246], -v[245:246], v[251:252], v[249:250]
	v_div_fmas_f64 v[245:246], v[245:246], v[247:248], v[251:252]
	v_div_fixup_f64 v[249:250], v[245:246], v[171:172], 1.0
	v_mul_f64 v[251:252], v[169:170], -v[249:250]
.LBB83_367:
	s_or_b32 exec_lo, exec_lo, s1
	ds_write2_b64 v255, v[249:250], v[251:252] offset1:1
.LBB83_368:
	s_or_b32 exec_lo, exec_lo, s2
	s_waitcnt lgkmcnt(0)
	s_barrier
	buffer_gl0_inv
	ds_read2_b64 v[245:248], v255 offset1:1
	s_mov_b32 s1, exec_lo
	v_cmpx_lt_u32_e32 40, v0
	s_cbranch_execz .LBB83_370
; %bb.369:
	s_waitcnt lgkmcnt(0)
	v_mul_f64 v[169:170], v[245:246], v[7:8]
	v_mul_f64 v[7:8], v[247:248], v[7:8]
	ds_read2_b64 v[249:252], v253 offset0:82 offset1:83
	v_fma_f64 v[169:170], v[247:248], v[5:6], v[169:170]
	v_fma_f64 v[5:6], v[245:246], v[5:6], -v[7:8]
	s_waitcnt lgkmcnt(0)
	v_mul_f64 v[7:8], v[251:252], v[169:170]
	v_mul_f64 v[171:172], v[249:250], v[169:170]
	v_fma_f64 v[7:8], v[249:250], v[5:6], -v[7:8]
	v_fma_f64 v[171:172], v[251:252], v[5:6], v[171:172]
	v_add_f64 v[1:2], v[1:2], -v[7:8]
	v_add_f64 v[3:4], v[3:4], -v[171:172]
	v_mov_b32_e32 v7, v169
	v_mov_b32_e32 v8, v170
.LBB83_370:
	s_or_b32 exec_lo, exec_lo, s1
	s_mov_b32 s2, exec_lo
	s_waitcnt lgkmcnt(0)
	s_barrier
	buffer_gl0_inv
	v_cmpx_eq_u32_e32 41, v0
	s_cbranch_execz .LBB83_377
; %bb.371:
	v_cmp_neq_f64_e32 vcc_lo, 0, v[1:2]
	v_cmp_neq_f64_e64 s1, 0, v[3:4]
	ds_write2_b64 v255, v[1:2], v[3:4] offset1:1
	s_or_b32 s1, vcc_lo, s1
	s_and_b32 exec_lo, exec_lo, s1
	s_cbranch_execz .LBB83_377
; %bb.372:
	v_cmp_ngt_f64_e64 s1, |v[1:2]|, |v[3:4]|
                                        ; implicit-def: $vgpr249_vgpr250
	s_and_saveexec_b32 s3, s1
	s_xor_b32 s1, exec_lo, s3
                                        ; implicit-def: $vgpr251_vgpr252
	s_cbranch_execz .LBB83_374
; %bb.373:
	v_div_scale_f64 v[169:170], null, v[3:4], v[3:4], v[1:2]
	v_div_scale_f64 v[251:252], vcc_lo, v[1:2], v[3:4], v[1:2]
	v_mov_b32_e32 v216, v212
	v_mov_b32_e32 v215, v211
	;; [unrolled: 1-line block ×18, first 2 shown]
	v_rcp_f64_e32 v[171:172], v[169:170]
	v_mov_b32_e32 v198, v194
	v_mov_b32_e32 v197, v193
	;; [unrolled: 1-line block ×22, first 2 shown]
	v_fma_f64 v[249:250], -v[169:170], v[171:172], 1.0
	v_fma_f64 v[171:172], v[171:172], v[249:250], v[171:172]
	v_fma_f64 v[249:250], -v[169:170], v[171:172], 1.0
	v_fma_f64 v[171:172], v[171:172], v[249:250], v[171:172]
	v_mul_f64 v[249:250], v[251:252], v[171:172]
	v_fma_f64 v[169:170], -v[169:170], v[249:250], v[251:252]
	v_div_fmas_f64 v[169:170], v[169:170], v[171:172], v[249:250]
	v_div_fixup_f64 v[169:170], v[169:170], v[3:4], v[1:2]
	v_fma_f64 v[171:172], v[1:2], v[169:170], v[3:4]
	v_div_scale_f64 v[249:250], null, v[171:172], v[171:172], 1.0
	v_rcp_f64_e32 v[251:252], v[249:250]
	v_fma_f64 v[253:254], -v[249:250], v[251:252], 1.0
	v_fma_f64 v[251:252], v[251:252], v[253:254], v[251:252]
	v_fma_f64 v[253:254], -v[249:250], v[251:252], 1.0
	v_fma_f64 v[251:252], v[251:252], v[253:254], v[251:252]
	v_div_scale_f64 v[253:254], vcc_lo, 1.0, v[171:172], 1.0
	v_mul_f64 v[173:174], v[253:254], v[251:252]
	v_fma_f64 v[175:176], -v[249:250], v[173:174], v[253:254]
	v_div_fmas_f64 v[173:174], v[175:176], v[251:252], v[173:174]
	v_div_fixup_f64 v[251:252], v[173:174], v[171:172], 1.0
	v_mov_b32_e32 v173, v177
	v_mov_b32_e32 v174, v178
	;; [unrolled: 1-line block ×21, first 2 shown]
	v_mul_f64 v[249:250], v[169:170], v[251:252]
	v_mov_b32_e32 v194, v198
	v_mov_b32_e32 v195, v199
	;; [unrolled: 1-line block ×19, first 2 shown]
	v_xor_b32_e32 v252, 0x80000000, v252
.LBB83_374:
	s_andn2_saveexec_b32 s1, s1
	s_cbranch_execz .LBB83_376
; %bb.375:
	v_div_scale_f64 v[169:170], null, v[1:2], v[1:2], v[3:4]
	v_mov_b32_e32 v216, v212
	v_mov_b32_e32 v215, v211
	;; [unrolled: 1-line block ×20, first 2 shown]
	v_rcp_f64_e32 v[171:172], v[169:170]
	v_mov_b32_e32 v196, v192
	v_mov_b32_e32 v195, v191
	v_mov_b32_e32 v194, v190
	v_mov_b32_e32 v193, v189
	v_mov_b32_e32 v192, v188
	v_mov_b32_e32 v191, v187
	v_mov_b32_e32 v190, v186
	v_mov_b32_e32 v189, v185
	v_mov_b32_e32 v188, v184
	v_mov_b32_e32 v187, v183
	v_mov_b32_e32 v186, v182
	v_mov_b32_e32 v185, v181
	v_mov_b32_e32 v184, v180
	v_mov_b32_e32 v183, v179
	v_mov_b32_e32 v182, v178
	v_mov_b32_e32 v181, v177
	v_mov_b32_e32 v180, v176
	v_mov_b32_e32 v179, v175
	v_mov_b32_e32 v178, v174
	v_mov_b32_e32 v177, v173
	v_div_scale_f64 v[175:176], vcc_lo, v[3:4], v[1:2], v[3:4]
	v_fma_f64 v[173:174], -v[169:170], v[171:172], 1.0
	v_fma_f64 v[171:172], v[171:172], v[173:174], v[171:172]
	v_fma_f64 v[173:174], -v[169:170], v[171:172], 1.0
	v_fma_f64 v[171:172], v[171:172], v[173:174], v[171:172]
	v_mul_f64 v[173:174], v[175:176], v[171:172]
	v_fma_f64 v[169:170], -v[169:170], v[173:174], v[175:176]
	v_div_fmas_f64 v[169:170], v[169:170], v[171:172], v[173:174]
	v_div_fixup_f64 v[169:170], v[169:170], v[1:2], v[3:4]
	v_fma_f64 v[171:172], v[3:4], v[169:170], v[1:2]
	v_div_scale_f64 v[173:174], null, v[171:172], v[171:172], 1.0
	v_rcp_f64_e32 v[175:176], v[173:174]
	v_fma_f64 v[249:250], -v[173:174], v[175:176], 1.0
	v_fma_f64 v[175:176], v[175:176], v[249:250], v[175:176]
	v_fma_f64 v[249:250], -v[173:174], v[175:176], 1.0
	v_fma_f64 v[175:176], v[175:176], v[249:250], v[175:176]
	v_div_scale_f64 v[249:250], vcc_lo, 1.0, v[171:172], 1.0
	v_mul_f64 v[251:252], v[249:250], v[175:176]
	v_fma_f64 v[173:174], -v[173:174], v[251:252], v[249:250]
	v_div_fmas_f64 v[173:174], v[173:174], v[175:176], v[251:252]
	v_div_fixup_f64 v[249:250], v[173:174], v[171:172], 1.0
	v_mov_b32_e32 v173, v177
	v_mov_b32_e32 v174, v178
	;; [unrolled: 1-line block ×21, first 2 shown]
	v_mul_f64 v[251:252], v[169:170], -v[249:250]
	v_mov_b32_e32 v194, v198
	v_mov_b32_e32 v195, v199
	;; [unrolled: 1-line block ×19, first 2 shown]
.LBB83_376:
	s_or_b32 exec_lo, exec_lo, s1
	ds_write2_b64 v255, v[249:250], v[251:252] offset1:1
.LBB83_377:
	s_or_b32 exec_lo, exec_lo, s2
	s_waitcnt lgkmcnt(0)
	s_barrier
	buffer_gl0_inv
	ds_read2_b64 v[249:252], v255 offset1:1
	s_mov_b32 s1, exec_lo
	v_cmpx_lt_u32_e32 41, v0
	s_cbranch_execz .LBB83_379
; %bb.378:
	s_waitcnt lgkmcnt(0)
	v_mul_f64 v[169:170], v[251:252], v[3:4]
	v_mul_f64 v[3:4], v[249:250], v[3:4]
	v_fma_f64 v[169:170], v[249:250], v[1:2], -v[169:170]
	v_fma_f64 v[3:4], v[251:252], v[1:2], v[3:4]
	v_mov_b32_e32 v1, v169
	v_mov_b32_e32 v2, v170
.LBB83_379:
	s_or_b32 exec_lo, exec_lo, s1
	s_waitcnt lgkmcnt(0)
	s_barrier
	buffer_gl0_inv
	s_and_saveexec_b32 s7, s0
	s_cbranch_execz .LBB83_382
; %bb.380:
	s_clause 0x3
	buffer_load_dword v169, off, s[16:19], 0 offset:368
	buffer_load_dword v170, off, s[16:19], 0 offset:372
	;; [unrolled: 1-line block ×4, first 2 shown]
	v_mov_b32_e32 v214, v212
	v_mov_b32_e32 v213, v211
	;; [unrolled: 1-line block ×40, first 2 shown]
	s_waitcnt vmcnt(2)
	v_cmp_eq_f64_e32 vcc_lo, 0, v[169:170]
	s_waitcnt vmcnt(0)
	v_cmp_eq_f64_e64 s0, 0, v[171:172]
	s_clause 0x3
	buffer_load_dword v169, off, s[16:19], 0 offset:384
	buffer_load_dword v170, off, s[16:19], 0 offset:388
	;; [unrolled: 1-line block ×4, first 2 shown]
	s_and_b32 s0, vcc_lo, s0
	v_cndmask_b32_e64 v0, 0, 1, s0
	s_waitcnt vmcnt(2)
	v_cmp_neq_f64_e64 s1, 0, v[169:170]
	s_waitcnt vmcnt(0)
	v_cmp_neq_f64_e64 s2, 0, v[171:172]
	s_clause 0x3
	buffer_load_dword v169, off, s[16:19], 0 offset:400
	buffer_load_dword v170, off, s[16:19], 0 offset:404
	;; [unrolled: 1-line block ×4, first 2 shown]
	s_or_b32 s1, s1, s2
	s_or_b32 s0, s1, s0
	v_cndmask_b32_e64 v0, 2, v0, s0
	v_cmp_eq_u32_e64 s0, 0, v0
	s_waitcnt vmcnt(2)
	v_cmp_eq_f64_e64 s3, 0, v[169:170]
	s_waitcnt vmcnt(0)
	v_cmp_eq_f64_e64 s4, 0, v[171:172]
	s_clause 0x3
	buffer_load_dword v169, off, s[16:19], 0 offset:416
	buffer_load_dword v170, off, s[16:19], 0 offset:420
	;; [unrolled: 1-line block ×4, first 2 shown]
	s_and_b32 s3, s3, s4
	s_and_b32 s0, s3, s0
	v_cndmask_b32_e64 v0, v0, 3, s0
	v_cmp_eq_u32_e64 s0, 0, v0
	s_waitcnt vmcnt(2)
	v_cmp_eq_f64_e64 s5, 0, v[169:170]
	s_waitcnt vmcnt(0)
	v_cmp_eq_f64_e32 vcc_lo, 0, v[171:172]
	s_clause 0x3
	buffer_load_dword v169, off, s[16:19], 0 offset:432
	buffer_load_dword v170, off, s[16:19], 0 offset:436
	;; [unrolled: 1-line block ×4, first 2 shown]
	s_and_b32 s5, s5, vcc_lo
	s_and_b32 s0, s5, s0
	v_cndmask_b32_e64 v0, v0, 4, s0
	v_cmp_eq_u32_e32 vcc_lo, 0, v0
	s_waitcnt vmcnt(2)
	v_cmp_eq_f64_e64 s1, 0, v[169:170]
	s_waitcnt vmcnt(0)
	v_cmp_eq_f64_e64 s2, 0, v[171:172]
	s_clause 0x3
	buffer_load_dword v169, off, s[16:19], 0 offset:448
	buffer_load_dword v170, off, s[16:19], 0 offset:452
	buffer_load_dword v171, off, s[16:19], 0 offset:456
	buffer_load_dword v172, off, s[16:19], 0 offset:460
	s_and_b32 s1, s1, s2
	s_and_b32 s1, s1, vcc_lo
	v_cndmask_b32_e64 v0, v0, 5, s1
	v_cmp_eq_u32_e32 vcc_lo, 0, v0
	s_waitcnt vmcnt(2)
	v_cmp_eq_f64_e64 s3, 0, v[169:170]
	s_waitcnt vmcnt(0)
	v_cmp_eq_f64_e64 s4, 0, v[171:172]
	s_clause 0x3
	buffer_load_dword v169, off, s[16:19], 0 offset:464
	buffer_load_dword v170, off, s[16:19], 0 offset:468
	buffer_load_dword v171, off, s[16:19], 0 offset:472
	buffer_load_dword v172, off, s[16:19], 0 offset:476
	s_and_b32 s3, s3, s4
	s_and_b32 s3, s3, vcc_lo
	;; [unrolled: 13-line block ×7, first 2 shown]
	v_cndmask_b32_e64 v0, v0, 11, s0
	v_cmp_eq_u32_e64 s1, 0, v0
	s_waitcnt vmcnt(2)
	v_cmp_eq_f64_e64 s3, 0, v[169:170]
	s_waitcnt vmcnt(0)
	v_cmp_eq_f64_e64 s4, 0, v[171:172]
	s_clause 0x3
	buffer_load_dword v169, off, s[16:19], 0 offset:560
	buffer_load_dword v170, off, s[16:19], 0 offset:564
	;; [unrolled: 1-line block ×4, first 2 shown]
	s_and_b32 s2, s3, s4
	s_and_b32 s1, s2, s1
	v_cndmask_b32_e64 v0, v0, 12, s1
	v_cmp_eq_u32_e64 s3, 0, v0
	s_waitcnt vmcnt(2)
	v_cmp_eq_f64_e64 s5, 0, v[169:170]
	s_waitcnt vmcnt(0)
	v_cmp_eq_f64_e64 s6, 0, v[171:172]
	s_clause 0x3
	buffer_load_dword v169, off, s[16:19], 0 offset:576
	buffer_load_dword v170, off, s[16:19], 0 offset:580
	;; [unrolled: 1-line block ×4, first 2 shown]
	s_and_b32 s5, s5, s6
	s_and_b32 s3, s5, s3
	v_cndmask_b32_e64 v0, v0, 13, s3
	v_cmp_eq_u32_e64 s3, 0, v0
	s_waitcnt vmcnt(2)
	v_cmp_eq_f64_e32 vcc_lo, 0, v[169:170]
	s_clause 0x1
	buffer_load_dword v169, off, s[16:19], 0 offset:720
	buffer_load_dword v170, off, s[16:19], 0 offset:724
	s_waitcnt vmcnt(2)
	v_cmp_eq_f64_e64 s0, 0, v[171:172]
	s_clause 0x3
	buffer_load_dword v171, off, s[16:19], 0 offset:592
	buffer_load_dword v172, off, s[16:19], 0 offset:596
	;; [unrolled: 1-line block ×4, first 2 shown]
	s_and_b32 s0, vcc_lo, s0
	s_and_b32 s0, s0, s3
	v_cndmask_b32_e64 v0, v0, 14, s0
	v_cmp_eq_u32_e32 vcc_lo, 0, v0
	s_waitcnt vmcnt(4)
	v_lshlrev_b64 v[169:170], 2, v[169:170]
	s_waitcnt vmcnt(2)
	v_cmp_eq_f64_e64 s1, 0, v[171:172]
	s_waitcnt vmcnt(0)
	v_cmp_eq_f64_e64 s2, 0, v[173:174]
	v_add_co_u32 v253, s4, s10, v169
	v_add_co_ci_u32_e64 v254, null, s11, v170, s4
	global_load_dword v169, v[253:254], off
	s_clause 0x3
	buffer_load_dword v170, off, s[16:19], 0 offset:608
	buffer_load_dword v171, off, s[16:19], 0 offset:612
	buffer_load_dword v172, off, s[16:19], 0 offset:616
	buffer_load_dword v173, off, s[16:19], 0 offset:620
	s_and_b32 s1, s1, s2
	s_and_b32 s1, s1, vcc_lo
	v_cndmask_b32_e64 v0, v0, 15, s1
	v_cmp_eq_u32_e32 vcc_lo, 0, v0
	s_waitcnt vmcnt(2)
	v_cmp_eq_f64_e64 s4, 0, v[170:171]
	s_waitcnt vmcnt(0)
	v_cmp_eq_f64_e64 s5, 0, v[172:173]
	s_clause 0x3
	buffer_load_dword v170, off, s[16:19], 0 offset:624
	buffer_load_dword v171, off, s[16:19], 0 offset:628
	buffer_load_dword v172, off, s[16:19], 0 offset:632
	buffer_load_dword v173, off, s[16:19], 0 offset:636
	s_and_b32 s4, s4, s5
	s_and_b32 s4, s4, vcc_lo
	v_cndmask_b32_e64 v0, v0, 16, s4
	v_cmp_eq_u32_e32 vcc_lo, 0, v0
	s_waitcnt vmcnt(2)
	v_cmp_eq_f64_e64 s0, 0, v[170:171]
	s_waitcnt vmcnt(0)
	v_cmp_eq_f64_e64 s3, 0, v[172:173]
	;; [unrolled: 13-line block ×5, first 2 shown]
	s_clause 0x3
	buffer_load_dword v170, off, s[16:19], 0 offset:688
	buffer_load_dword v171, off, s[16:19], 0 offset:692
	;; [unrolled: 1-line block ×4, first 2 shown]
	s_and_b32 s0, s0, s3
	v_cmp_eq_f64_e64 s3, 0, v[177:178]
	s_and_b32 s0, s0, vcc_lo
	v_cndmask_b32_e64 v0, v0, 20, s0
	v_cmp_eq_f64_e64 s0, 0, v[175:176]
	v_cmp_eq_u32_e32 vcc_lo, 0, v0
	s_and_b32 s0, s0, s3
	v_cmp_eq_f64_e64 s3, 0, v[189:190]
	s_waitcnt vmcnt(2)
	v_cmp_eq_f64_e64 s1, 0, v[170:171]
	s_waitcnt vmcnt(0)
	v_cmp_eq_f64_e64 s2, 0, v[172:173]
	s_clause 0x3
	buffer_load_dword v170, off, s[16:19], 0 offset:704
	buffer_load_dword v171, off, s[16:19], 0 offset:708
	;; [unrolled: 1-line block ×4, first 2 shown]
	s_and_b32 s1, s1, s2
	v_cmp_eq_f64_e64 s2, 0, v[181:182]
	s_and_b32 s1, s1, vcc_lo
	v_cndmask_b32_e64 v0, v0, 21, s1
	v_cmp_eq_f64_e64 s1, 0, v[179:180]
	v_cmp_eq_u32_e32 vcc_lo, 0, v0
	s_and_b32 s1, s1, s2
	v_cmp_eq_f64_e64 s2, 0, v[193:194]
	s_waitcnt vmcnt(2)
	v_cmp_eq_f64_e64 s4, 0, v[170:171]
	s_waitcnt vmcnt(0)
	v_cmp_eq_f64_e64 s5, 0, v[172:173]
	s_and_b32 s4, s4, s5
	v_cmp_eq_f64_e64 s5, 0, v[185:186]
	s_and_b32 s4, s4, vcc_lo
	v_cndmask_b32_e64 v0, v0, 22, s4
	v_cmp_eq_f64_e64 s4, 0, v[183:184]
	v_cmp_eq_u32_e32 vcc_lo, 0, v0
	s_and_b32 s0, s0, vcc_lo
	v_cndmask_b32_e64 v0, v0, 23, s0
	v_cmp_eq_f64_e64 s0, 0, v[187:188]
	v_cmp_eq_u32_e32 vcc_lo, 0, v0
	s_and_b32 s1, s1, vcc_lo
	s_and_b32 s4, s4, s5
	v_cndmask_b32_e64 v0, v0, 24, s1
	v_cmp_eq_f64_e64 s1, 0, v[191:192]
	v_cmp_eq_f64_e64 s5, 0, v[197:198]
	v_cmp_eq_u32_e32 vcc_lo, 0, v0
	s_and_b32 s4, s4, vcc_lo
	s_and_b32 s0, s0, s3
	v_cndmask_b32_e64 v0, v0, 25, s4
	v_cmp_eq_f64_e64 s4, 0, v[195:196]
	;; [unrolled: 6-line block ×16, first 2 shown]
	v_cmp_eq_u32_e32 vcc_lo, 0, v0
	s_and_b32 s4, s4, vcc_lo
	s_and_b32 s0, s0, s3
	v_cndmask_b32_e64 v0, v0, 40, s4
	v_cmp_eq_u32_e32 vcc_lo, 0, v0
	s_and_b32 s0, s0, vcc_lo
	v_cndmask_b32_e64 v0, v0, 41, s0
	s_and_b32 s0, s1, s2
	v_cmp_eq_u32_e32 vcc_lo, 0, v0
	s_and_b32 s0, s0, vcc_lo
	v_cmp_eq_u32_e32 vcc_lo, 0, v169
	v_cndmask_b32_e64 v0, v0, 42, s0
	v_cmp_ne_u32_e64 s0, 0, v0
	s_and_b32 s0, vcc_lo, s0
	s_and_b32 exec_lo, exec_lo, s0
	s_cbranch_execz .LBB83_382
; %bb.381:
	v_add_nc_u32_e32 v0, s13, v0
	global_store_dword v[253:254], v0, off
.LBB83_382:
	s_or_b32 exec_lo, exec_lo, s7
	s_clause 0x5
	buffer_load_dword v169, off, s[16:19], 0 offset:352
	buffer_load_dword v170, off, s[16:19], 0 offset:356
	;; [unrolled: 1-line block ×6, first 2 shown]
	s_waitcnt vmcnt(0)
	global_store_dwordx4 v[169:170], v[161:164], off
	s_clause 0x5
	buffer_load_dword v165, off, s[16:19], 0 offset:360
	buffer_load_dword v166, off, s[16:19], 0 offset:364
	buffer_load_dword v161, off, s[16:19], 0
	buffer_load_dword v162, off, s[16:19], 0 offset:4
	buffer_load_dword v163, off, s[16:19], 0 offset:8
	;; [unrolled: 1-line block ×3, first 2 shown]
	s_waitcnt vmcnt(0)
	global_store_dwordx4 v[165:166], v[161:164], off
	s_clause 0x1
	buffer_load_dword v161, off, s[16:19], 0 offset:48
	buffer_load_dword v162, off, s[16:19], 0 offset:52
	s_waitcnt vmcnt(0)
	global_store_dwordx4 v[161:162], v[157:160], off
	s_clause 0x1
	buffer_load_dword v157, off, s[16:19], 0 offset:40
	buffer_load_dword v158, off, s[16:19], 0 offset:44
	;; [unrolled: 5-line block ×40, first 2 shown]
	s_waitcnt vmcnt(0)
	global_store_dwordx4 v[5:6], v[1:4], off
.LBB83_383:
	s_endpgm
	.section	.rodata,"a",@progbits
	.p2align	6, 0x0
	.amdhsa_kernel _ZN9rocsolver6v33100L23getf2_npvt_small_kernelILi42E19rocblas_complex_numIdEiiPS3_EEvT1_T3_lS5_lPT2_S5_S5_
		.amdhsa_group_segment_fixed_size 0
		.amdhsa_private_segment_fixed_size 732
		.amdhsa_kernarg_size 312
		.amdhsa_user_sgpr_count 6
		.amdhsa_user_sgpr_private_segment_buffer 1
		.amdhsa_user_sgpr_dispatch_ptr 0
		.amdhsa_user_sgpr_queue_ptr 0
		.amdhsa_user_sgpr_kernarg_segment_ptr 1
		.amdhsa_user_sgpr_dispatch_id 0
		.amdhsa_user_sgpr_flat_scratch_init 0
		.amdhsa_user_sgpr_private_segment_size 0
		.amdhsa_wavefront_size32 1
		.amdhsa_uses_dynamic_stack 0
		.amdhsa_system_sgpr_private_segment_wavefront_offset 1
		.amdhsa_system_sgpr_workgroup_id_x 1
		.amdhsa_system_sgpr_workgroup_id_y 1
		.amdhsa_system_sgpr_workgroup_id_z 0
		.amdhsa_system_sgpr_workgroup_info 0
		.amdhsa_system_vgpr_workitem_id 1
		.amdhsa_next_free_vgpr 256
		.amdhsa_next_free_sgpr 20
		.amdhsa_reserve_vcc 1
		.amdhsa_reserve_flat_scratch 0
		.amdhsa_float_round_mode_32 0
		.amdhsa_float_round_mode_16_64 0
		.amdhsa_float_denorm_mode_32 3
		.amdhsa_float_denorm_mode_16_64 3
		.amdhsa_dx10_clamp 1
		.amdhsa_ieee_mode 1
		.amdhsa_fp16_overflow 0
		.amdhsa_workgroup_processor_mode 1
		.amdhsa_memory_ordered 1
		.amdhsa_forward_progress 1
		.amdhsa_shared_vgpr_count 0
		.amdhsa_exception_fp_ieee_invalid_op 0
		.amdhsa_exception_fp_denorm_src 0
		.amdhsa_exception_fp_ieee_div_zero 0
		.amdhsa_exception_fp_ieee_overflow 0
		.amdhsa_exception_fp_ieee_underflow 0
		.amdhsa_exception_fp_ieee_inexact 0
		.amdhsa_exception_int_div_zero 0
	.end_amdhsa_kernel
	.section	.text._ZN9rocsolver6v33100L23getf2_npvt_small_kernelILi42E19rocblas_complex_numIdEiiPS3_EEvT1_T3_lS5_lPT2_S5_S5_,"axG",@progbits,_ZN9rocsolver6v33100L23getf2_npvt_small_kernelILi42E19rocblas_complex_numIdEiiPS3_EEvT1_T3_lS5_lPT2_S5_S5_,comdat
.Lfunc_end83:
	.size	_ZN9rocsolver6v33100L23getf2_npvt_small_kernelILi42E19rocblas_complex_numIdEiiPS3_EEvT1_T3_lS5_lPT2_S5_S5_, .Lfunc_end83-_ZN9rocsolver6v33100L23getf2_npvt_small_kernelILi42E19rocblas_complex_numIdEiiPS3_EEvT1_T3_lS5_lPT2_S5_S5_
                                        ; -- End function
	.set _ZN9rocsolver6v33100L23getf2_npvt_small_kernelILi42E19rocblas_complex_numIdEiiPS3_EEvT1_T3_lS5_lPT2_S5_S5_.num_vgpr, 256
	.set _ZN9rocsolver6v33100L23getf2_npvt_small_kernelILi42E19rocblas_complex_numIdEiiPS3_EEvT1_T3_lS5_lPT2_S5_S5_.num_agpr, 0
	.set _ZN9rocsolver6v33100L23getf2_npvt_small_kernelILi42E19rocblas_complex_numIdEiiPS3_EEvT1_T3_lS5_lPT2_S5_S5_.numbered_sgpr, 20
	.set _ZN9rocsolver6v33100L23getf2_npvt_small_kernelILi42E19rocblas_complex_numIdEiiPS3_EEvT1_T3_lS5_lPT2_S5_S5_.num_named_barrier, 0
	.set _ZN9rocsolver6v33100L23getf2_npvt_small_kernelILi42E19rocblas_complex_numIdEiiPS3_EEvT1_T3_lS5_lPT2_S5_S5_.private_seg_size, 732
	.set _ZN9rocsolver6v33100L23getf2_npvt_small_kernelILi42E19rocblas_complex_numIdEiiPS3_EEvT1_T3_lS5_lPT2_S5_S5_.uses_vcc, 1
	.set _ZN9rocsolver6v33100L23getf2_npvt_small_kernelILi42E19rocblas_complex_numIdEiiPS3_EEvT1_T3_lS5_lPT2_S5_S5_.uses_flat_scratch, 0
	.set _ZN9rocsolver6v33100L23getf2_npvt_small_kernelILi42E19rocblas_complex_numIdEiiPS3_EEvT1_T3_lS5_lPT2_S5_S5_.has_dyn_sized_stack, 0
	.set _ZN9rocsolver6v33100L23getf2_npvt_small_kernelILi42E19rocblas_complex_numIdEiiPS3_EEvT1_T3_lS5_lPT2_S5_S5_.has_recursion, 0
	.set _ZN9rocsolver6v33100L23getf2_npvt_small_kernelILi42E19rocblas_complex_numIdEiiPS3_EEvT1_T3_lS5_lPT2_S5_S5_.has_indirect_call, 0
	.section	.AMDGPU.csdata,"",@progbits
; Kernel info:
; codeLenInByte = 92072
; TotalNumSgprs: 22
; NumVgprs: 256
; ScratchSize: 732
; MemoryBound: 1
; FloatMode: 240
; IeeeMode: 1
; LDSByteSize: 0 bytes/workgroup (compile time only)
; SGPRBlocks: 0
; VGPRBlocks: 31
; NumSGPRsForWavesPerEU: 22
; NumVGPRsForWavesPerEU: 256
; Occupancy: 4
; WaveLimiterHint : 0
; COMPUTE_PGM_RSRC2:SCRATCH_EN: 1
; COMPUTE_PGM_RSRC2:USER_SGPR: 6
; COMPUTE_PGM_RSRC2:TRAP_HANDLER: 0
; COMPUTE_PGM_RSRC2:TGID_X_EN: 1
; COMPUTE_PGM_RSRC2:TGID_Y_EN: 1
; COMPUTE_PGM_RSRC2:TGID_Z_EN: 0
; COMPUTE_PGM_RSRC2:TIDIG_COMP_CNT: 1
	.section	.text._ZN9rocsolver6v33100L18getf2_small_kernelILi43E19rocblas_complex_numIdEiiPS3_EEvT1_T3_lS5_lPS5_llPT2_S5_S5_S7_l,"axG",@progbits,_ZN9rocsolver6v33100L18getf2_small_kernelILi43E19rocblas_complex_numIdEiiPS3_EEvT1_T3_lS5_lPS5_llPT2_S5_S5_S7_l,comdat
	.globl	_ZN9rocsolver6v33100L18getf2_small_kernelILi43E19rocblas_complex_numIdEiiPS3_EEvT1_T3_lS5_lPS5_llPT2_S5_S5_S7_l ; -- Begin function _ZN9rocsolver6v33100L18getf2_small_kernelILi43E19rocblas_complex_numIdEiiPS3_EEvT1_T3_lS5_lPS5_llPT2_S5_S5_S7_l
	.p2align	8
	.type	_ZN9rocsolver6v33100L18getf2_small_kernelILi43E19rocblas_complex_numIdEiiPS3_EEvT1_T3_lS5_lPS5_llPT2_S5_S5_S7_l,@function
_ZN9rocsolver6v33100L18getf2_small_kernelILi43E19rocblas_complex_numIdEiiPS3_EEvT1_T3_lS5_lPS5_llPT2_S5_S5_S7_l: ; @_ZN9rocsolver6v33100L18getf2_small_kernelILi43E19rocblas_complex_numIdEiiPS3_EEvT1_T3_lS5_lPS5_llPT2_S5_S5_S7_l
; %bb.0:
	s_clause 0x1
	s_load_dword s0, s[4:5], 0x6c
	s_load_dwordx2 s[16:17], s[4:5], 0x48
	s_waitcnt lgkmcnt(0)
	s_lshr_b32 s0, s0, 16
	v_mad_u64_u32 v[178:179], null, s7, s0, v[1:2]
	s_mov_b32 s0, exec_lo
	v_cmpx_gt_i32_e64 s16, v178
	s_cbranch_execz .LBB84_906
; %bb.1:
	s_load_dwordx4 s[0:3], s[4:5], 0x50
	v_mov_b32_e32 v180, 0
	v_ashrrev_i32_e32 v179, 31, v178
	v_mov_b32_e32 v181, 0
	s_waitcnt lgkmcnt(0)
	s_cmp_eq_u64 s[0:1], 0
	s_cselect_b32 s16, -1, 0
	s_and_b32 vcc_lo, exec_lo, s16
	s_cbranch_vccnz .LBB84_3
; %bb.2:
	v_mul_lo_u32 v4, s3, v178
	v_mul_lo_u32 v5, s2, v179
	v_mad_u64_u32 v[2:3], null, s2, v178, 0
	v_add3_u32 v3, v3, v5, v4
	v_lshlrev_b64 v[2:3], 2, v[2:3]
	v_add_co_u32 v180, vcc_lo, s0, v2
	v_add_co_ci_u32_e64 v181, null, s1, v3, vcc_lo
.LBB84_3:
	s_clause 0x2
	s_load_dwordx8 s[8:15], s[4:5], 0x20
	s_load_dword s6, s[4:5], 0x18
	s_load_dwordx4 s[0:3], s[4:5], 0x8
	v_lshlrev_b32_e32 v184, 4, v0
	s_clause 0x1
	s_load_dword s18, s[4:5], 0x0
	s_load_dwordx2 s[4:5], s[4:5], 0x40
	s_waitcnt lgkmcnt(0)
	v_mul_lo_u32 v4, s9, v178
	v_mul_lo_u32 v5, s8, v179
	v_mad_u64_u32 v[2:3], null, s8, v178, 0
	v_add3_u32 v6, s6, s6, v0
	s_lshl_b64 s[2:3], s[2:3], 4
	s_ashr_i32 s7, s6, 31
	s_lshl_b64 s[8:9], s[6:7], 4
	v_add_nc_u32_e32 v8, s6, v6
	v_add3_u32 v3, v3, v5, v4
	v_ashrrev_i32_e32 v7, 31, v6
	v_add_nc_u32_e32 v4, s6, v8
	v_lshlrev_b64 v[2:3], 4, v[2:3]
	v_ashrrev_i32_e32 v9, 31, v8
	v_lshlrev_b64 v[6:7], 4, v[6:7]
	v_ashrrev_i32_e32 v5, 31, v4
	v_add_nc_u32_e32 v10, s6, v4
	v_add_co_u32 v12, vcc_lo, s0, v2
	v_add_co_ci_u32_e64 v13, null, s1, v3, vcc_lo
	v_lshlrev_b64 v[2:3], 4, v[4:5]
	v_add_nc_u32_e32 v4, s6, v10
	v_add_co_u32 v185, vcc_lo, v12, s2
	v_ashrrev_i32_e32 v11, 31, v10
	v_lshlrev_b64 v[8:9], 4, v[8:9]
	v_add_nc_u32_e32 v12, s6, v4
	v_add_co_ci_u32_e64 v186, null, s3, v13, vcc_lo
	v_ashrrev_i32_e32 v5, 31, v4
	v_lshlrev_b64 v[10:11], 4, v[10:11]
	v_add_nc_u32_e32 v14, s6, v12
	v_ashrrev_i32_e32 v13, 31, v12
	v_add_co_u32 v6, vcc_lo, v185, v6
	v_add_co_ci_u32_e64 v7, null, v186, v7, vcc_lo
	v_add_nc_u32_e32 v16, s6, v14
	v_ashrrev_i32_e32 v15, 31, v14
	v_add_co_u32 v8, vcc_lo, v185, v8
	v_lshlrev_b64 v[4:5], 4, v[4:5]
	v_add_nc_u32_e32 v18, s6, v16
	v_ashrrev_i32_e32 v17, 31, v16
	v_add_co_ci_u32_e64 v9, null, v186, v9, vcc_lo
	v_add_co_u32 v2, vcc_lo, v185, v2
	v_add_nc_u32_e32 v20, s6, v18
	v_lshlrev_b64 v[12:13], 4, v[12:13]
	v_ashrrev_i32_e32 v19, 31, v18
	v_add_co_ci_u32_e64 v3, null, v186, v3, vcc_lo
	v_add_nc_u32_e32 v22, s6, v20
	v_add_co_u32 v10, vcc_lo, v185, v10
	v_lshlrev_b64 v[14:15], 4, v[14:15]
	v_ashrrev_i32_e32 v21, 31, v20
	v_add_nc_u32_e32 v24, s6, v22
	v_add_co_ci_u32_e64 v11, null, v186, v11, vcc_lo
	v_add_co_u32 v4, vcc_lo, v185, v4
	v_add_nc_u32_e32 v26, s6, v24
	v_lshlrev_b64 v[16:17], 4, v[16:17]
	v_ashrrev_i32_e32 v23, 31, v22
	v_add_co_ci_u32_e64 v5, null, v186, v5, vcc_lo
	v_add_nc_u32_e32 v28, s6, v26
	v_add_co_u32 v12, vcc_lo, v185, v12
	v_lshlrev_b64 v[18:19], 4, v[18:19]
	v_ashrrev_i32_e32 v25, 31, v24
	v_add_nc_u32_e32 v30, s6, v28
	;; [unrolled: 11-line block ×5, first 2 shown]
	v_add_co_ci_u32_e64 v25, null, v186, v25, vcc_lo
	v_add_co_u32 v26, vcc_lo, v185, v26
	v_add_nc_u32_e32 v50, s6, v48
	v_lshlrev_b64 v[32:33], 4, v[32:33]
	v_ashrrev_i32_e32 v39, 31, v38
	v_add_co_ci_u32_e64 v27, null, v186, v27, vcc_lo
	v_add_nc_u32_e32 v52, s6, v50
	v_add_co_u32 v28, vcc_lo, v185, v28
	v_lshlrev_b64 v[34:35], 4, v[34:35]
	v_ashrrev_i32_e32 v41, 31, v40
	v_add_co_ci_u32_e64 v29, null, v186, v29, vcc_lo
	v_add_co_u32 v30, vcc_lo, v185, v30
	v_lshlrev_b64 v[36:37], 4, v[36:37]
	v_add_nc_u32_e32 v54, s6, v52
	v_ashrrev_i32_e32 v43, 31, v42
	v_add_co_ci_u32_e64 v31, null, v186, v31, vcc_lo
	v_add_co_u32 v32, vcc_lo, v185, v32
	v_lshlrev_b64 v[38:39], 4, v[38:39]
	v_ashrrev_i32_e32 v45, 31, v44
	v_add_co_ci_u32_e64 v33, null, v186, v33, vcc_lo
	v_add_co_u32 v34, vcc_lo, v185, v34
	v_lshlrev_b64 v[40:41], 4, v[40:41]
	v_ashrrev_i32_e32 v47, 31, v46
	v_add_nc_u32_e32 v56, s6, v54
	v_add_co_ci_u32_e64 v35, null, v186, v35, vcc_lo
	v_add_co_u32 v36, vcc_lo, v185, v36
	v_lshlrev_b64 v[42:43], 4, v[42:43]
	v_ashrrev_i32_e32 v49, 31, v48
	v_add_co_ci_u32_e64 v37, null, v186, v37, vcc_lo
	v_add_co_u32 v38, vcc_lo, v185, v38
	v_lshlrev_b64 v[44:45], 4, v[44:45]
	v_ashrrev_i32_e32 v51, 31, v50
	v_add_co_ci_u32_e64 v39, null, v186, v39, vcc_lo
	v_add_co_u32 v40, vcc_lo, v185, v40
	v_lshlrev_b64 v[46:47], 4, v[46:47]
	v_add_nc_u32_e32 v58, s6, v56
	v_ashrrev_i32_e32 v53, 31, v52
	v_add_co_ci_u32_e64 v41, null, v186, v41, vcc_lo
	v_add_co_u32 v42, vcc_lo, v185, v42
	v_lshlrev_b64 v[48:49], 4, v[48:49]
	v_ashrrev_i32_e32 v55, 31, v54
	v_add_co_ci_u32_e64 v43, null, v186, v43, vcc_lo
	v_add_co_u32 v44, vcc_lo, v185, v44
	v_lshlrev_b64 v[50:51], 4, v[50:51]
	v_ashrrev_i32_e32 v57, 31, v56
	v_add_nc_u32_e32 v60, s6, v58
	v_add_co_ci_u32_e64 v45, null, v186, v45, vcc_lo
	v_add_co_u32 v46, vcc_lo, v185, v46
	v_lshlrev_b64 v[52:53], 4, v[52:53]
	v_ashrrev_i32_e32 v59, 31, v58
	v_add_co_ci_u32_e64 v47, null, v186, v47, vcc_lo
	v_add_co_u32 v48, vcc_lo, v185, v48
	v_lshlrev_b64 v[54:55], 4, v[54:55]
	v_add_co_ci_u32_e64 v49, null, v186, v49, vcc_lo
	v_add_co_u32 v50, vcc_lo, v185, v50
	v_lshlrev_b64 v[56:57], 4, v[56:57]
	v_add_nc_u32_e32 v62, s6, v60
	v_add_co_ci_u32_e64 v51, null, v186, v51, vcc_lo
	v_add_co_u32 v52, vcc_lo, v185, v52
	v_lshlrev_b64 v[58:59], 4, v[58:59]
	v_ashrrev_i32_e32 v61, 31, v60
	v_add_co_ci_u32_e64 v53, null, v186, v53, vcc_lo
	v_add_co_u32 v54, vcc_lo, v185, v54
	v_ashrrev_i32_e32 v63, 31, v62
	v_add_nc_u32_e32 v64, s6, v62
	v_add_co_ci_u32_e64 v55, null, v186, v55, vcc_lo
	v_add_co_u32 v56, vcc_lo, v185, v56
	v_lshlrev_b64 v[60:61], 4, v[60:61]
	v_add_co_ci_u32_e64 v57, null, v186, v57, vcc_lo
	v_add_co_u32 v174, vcc_lo, v185, v58
	v_add_co_ci_u32_e64 v175, null, v186, v59, vcc_lo
	v_lshlrev_b64 v[58:59], 4, v[62:63]
	v_ashrrev_i32_e32 v65, 31, v64
	v_add_nc_u32_e32 v62, s6, v64
	v_add_co_u32 v176, vcc_lo, v185, v60
	v_add_co_ci_u32_e64 v177, null, v186, v61, vcc_lo
	v_lshlrev_b64 v[60:61], 4, v[64:65]
	v_ashrrev_i32_e32 v63, 31, v62
	v_add_nc_u32_e32 v64, s6, v62
	;; [unrolled: 5-line block ×7, first 2 shown]
	v_add_co_u32 v195, vcc_lo, v185, v60
	v_add_co_ci_u32_e64 v196, null, v186, v61, vcc_lo
	v_lshlrev_b64 v[60:61], 4, v[64:65]
	v_add_nc_u32_e32 v64, s6, v62
	v_ashrrev_i32_e32 v63, 31, v62
	v_add_co_u32 v197, vcc_lo, v185, v58
	v_add_co_ci_u32_e64 v198, null, v186, v59, vcc_lo
	v_ashrrev_i32_e32 v65, 31, v64
	v_lshlrev_b64 v[58:59], 4, v[62:63]
	v_add_co_u32 v199, vcc_lo, v185, v60
	v_add_co_ci_u32_e64 v200, null, v186, v61, vcc_lo
	v_lshlrev_b64 v[60:61], 4, v[64:65]
	v_add_nc_u32_e32 v62, s6, v64
	v_add_co_u32 v201, vcc_lo, v185, v58
	v_add_co_ci_u32_e64 v202, null, v186, v59, vcc_lo
	v_ashrrev_i32_e32 v63, 31, v62
	v_add_co_u32 v203, vcc_lo, v185, v60
	v_add_co_ci_u32_e64 v204, null, v186, v61, vcc_lo
	v_add_co_u32 v60, vcc_lo, v185, v184
	v_add_co_ci_u32_e64 v61, null, 0, v186, vcc_lo
	v_lshlrev_b64 v[58:59], 4, v[62:63]
	v_add_co_u32 v62, vcc_lo, v60, s8
	v_add_co_ci_u32_e64 v63, null, s9, v61, vcc_lo
	s_max_i32 s0, s18, 43
	v_add_co_u32 v205, vcc_lo, v185, v58
	v_add_co_ci_u32_e64 v206, null, v186, v59, vcc_lo
	s_clause 0x2a
	global_load_dwordx4 v[170:173], v[60:61], off
	global_load_dwordx4 v[162:165], v[62:63], off
	;; [unrolled: 1-line block ×43, first 2 shown]
	v_mul_lo_u32 v182, s0, v1
	s_cmp_lt_i32 s18, 2
	v_lshl_add_u32 v1, v182, 4, 0
	v_add_nc_u32_e32 v174, v1, v184
	v_lshlrev_b32_e32 v184, 4, v182
	v_mov_b32_e32 v182, 0
	s_waitcnt vmcnt(42)
	ds_write2_b64 v174, v[170:171], v[172:173] offset1:1
	s_waitcnt vmcnt(0) lgkmcnt(0)
	s_barrier
	buffer_gl0_inv
	ds_read2_b64 v[174:177], v1 offset1:1
	s_cbranch_scc1 .LBB84_6
; %bb.4:
	v_add3_u32 v183, v184, 0, 16
	v_mov_b32_e32 v182, 0
	s_mov_b32 s3, 1
	s_inst_prefetch 0x1
	.p2align	6
.LBB84_5:                               ; =>This Inner Loop Header: Depth=1
	ds_read2_b64 v[187:190], v183 offset1:1
	s_waitcnt lgkmcnt(1)
	v_cmp_gt_f64_e32 vcc_lo, 0, v[174:175]
	v_cmp_gt_f64_e64 s0, 0, v[176:177]
	v_xor_b32_e32 v192, 0x80000000, v175
	v_xor_b32_e32 v194, 0x80000000, v177
	v_mov_b32_e32 v191, v174
	v_mov_b32_e32 v193, v176
	v_add_nc_u32_e32 v183, 16, v183
	s_waitcnt lgkmcnt(0)
	v_cmp_gt_f64_e64 s1, 0, v[187:188]
	v_cmp_gt_f64_e64 s2, 0, v[189:190]
	v_xor_b32_e32 v196, 0x80000000, v188
	v_xor_b32_e32 v198, 0x80000000, v190
	v_mov_b32_e32 v195, v187
	v_mov_b32_e32 v197, v189
	v_cndmask_b32_e32 v192, v175, v192, vcc_lo
	v_cndmask_b32_e64 v194, v177, v194, s0
	v_add_f64 v[191:192], v[191:192], v[193:194]
	v_cndmask_b32_e64 v196, v188, v196, s1
	v_cndmask_b32_e64 v198, v190, v198, s2
	v_add_f64 v[193:194], v[195:196], v[197:198]
	v_cmp_lt_f64_e32 vcc_lo, v[191:192], v[193:194]
	v_cndmask_b32_e32 v175, v175, v188, vcc_lo
	v_cndmask_b32_e32 v174, v174, v187, vcc_lo
	;; [unrolled: 1-line block ×4, first 2 shown]
	v_cndmask_b32_e64 v182, v182, s3, vcc_lo
	s_add_i32 s3, s3, 1
	s_cmp_eq_u32 s18, s3
	s_cbranch_scc0 .LBB84_5
.LBB84_6:
	s_inst_prefetch 0x2
	s_waitcnt lgkmcnt(0)
	v_cmp_neq_f64_e32 vcc_lo, 0, v[174:175]
	v_cmp_neq_f64_e64 s0, 0, v[176:177]
	v_mov_b32_e32 v187, 1
	v_mov_b32_e32 v189, 1
	s_or_b32 s1, vcc_lo, s0
	s_and_saveexec_b32 s0, s1
	s_cbranch_execz .LBB84_12
; %bb.7:
	v_cmp_ngt_f64_e64 s1, |v[174:175]|, |v[176:177]|
	s_and_saveexec_b32 s2, s1
	s_xor_b32 s1, exec_lo, s2
	s_cbranch_execz .LBB84_9
; %bb.8:
	v_div_scale_f64 v[187:188], null, v[176:177], v[176:177], v[174:175]
	v_div_scale_f64 v[193:194], vcc_lo, v[174:175], v[176:177], v[174:175]
	v_rcp_f64_e32 v[189:190], v[187:188]
	v_fma_f64 v[191:192], -v[187:188], v[189:190], 1.0
	v_fma_f64 v[189:190], v[189:190], v[191:192], v[189:190]
	v_fma_f64 v[191:192], -v[187:188], v[189:190], 1.0
	v_fma_f64 v[189:190], v[189:190], v[191:192], v[189:190]
	v_mul_f64 v[191:192], v[193:194], v[189:190]
	v_fma_f64 v[187:188], -v[187:188], v[191:192], v[193:194]
	v_div_fmas_f64 v[187:188], v[187:188], v[189:190], v[191:192]
	v_div_fixup_f64 v[187:188], v[187:188], v[176:177], v[174:175]
	v_fma_f64 v[174:175], v[174:175], v[187:188], v[176:177]
	v_div_scale_f64 v[176:177], null, v[174:175], v[174:175], 1.0
	v_rcp_f64_e32 v[189:190], v[176:177]
	v_fma_f64 v[191:192], -v[176:177], v[189:190], 1.0
	v_fma_f64 v[189:190], v[189:190], v[191:192], v[189:190]
	v_fma_f64 v[191:192], -v[176:177], v[189:190], 1.0
	v_fma_f64 v[189:190], v[189:190], v[191:192], v[189:190]
	v_div_scale_f64 v[191:192], vcc_lo, 1.0, v[174:175], 1.0
	v_mul_f64 v[193:194], v[191:192], v[189:190]
	v_fma_f64 v[176:177], -v[176:177], v[193:194], v[191:192]
	v_div_fmas_f64 v[176:177], v[176:177], v[189:190], v[193:194]
	v_div_fixup_f64 v[176:177], v[176:177], v[174:175], 1.0
	v_mul_f64 v[174:175], v[187:188], v[176:177]
	v_xor_b32_e32 v177, 0x80000000, v177
.LBB84_9:
	s_andn2_saveexec_b32 s1, s1
	s_cbranch_execz .LBB84_11
; %bb.10:
	v_div_scale_f64 v[187:188], null, v[174:175], v[174:175], v[176:177]
	v_div_scale_f64 v[193:194], vcc_lo, v[176:177], v[174:175], v[176:177]
	v_rcp_f64_e32 v[189:190], v[187:188]
	v_fma_f64 v[191:192], -v[187:188], v[189:190], 1.0
	v_fma_f64 v[189:190], v[189:190], v[191:192], v[189:190]
	v_fma_f64 v[191:192], -v[187:188], v[189:190], 1.0
	v_fma_f64 v[189:190], v[189:190], v[191:192], v[189:190]
	v_mul_f64 v[191:192], v[193:194], v[189:190]
	v_fma_f64 v[187:188], -v[187:188], v[191:192], v[193:194]
	v_div_fmas_f64 v[187:188], v[187:188], v[189:190], v[191:192]
	v_div_fixup_f64 v[187:188], v[187:188], v[174:175], v[176:177]
	v_fma_f64 v[174:175], v[176:177], v[187:188], v[174:175]
	v_div_scale_f64 v[176:177], null, v[174:175], v[174:175], 1.0
	v_rcp_f64_e32 v[189:190], v[176:177]
	v_fma_f64 v[191:192], -v[176:177], v[189:190], 1.0
	v_fma_f64 v[189:190], v[189:190], v[191:192], v[189:190]
	v_fma_f64 v[191:192], -v[176:177], v[189:190], 1.0
	v_fma_f64 v[189:190], v[189:190], v[191:192], v[189:190]
	v_div_scale_f64 v[191:192], vcc_lo, 1.0, v[174:175], 1.0
	v_mul_f64 v[193:194], v[191:192], v[189:190]
	v_fma_f64 v[176:177], -v[176:177], v[193:194], v[191:192]
	v_div_fmas_f64 v[176:177], v[176:177], v[189:190], v[193:194]
	v_div_fixup_f64 v[174:175], v[176:177], v[174:175], 1.0
	v_mul_f64 v[176:177], v[187:188], -v[174:175]
.LBB84_11:
	s_or_b32 exec_lo, exec_lo, s1
	v_mov_b32_e32 v189, 0
	v_mov_b32_e32 v187, 2
.LBB84_12:
	s_or_b32 exec_lo, exec_lo, s0
	s_mov_b32 s0, exec_lo
	v_cmpx_ne_u32_e64 v0, v182
	s_xor_b32 s0, exec_lo, s0
	s_cbranch_execz .LBB84_18
; %bb.13:
	s_mov_b32 s1, exec_lo
	v_cmpx_eq_u32_e32 0, v0
	s_cbranch_execz .LBB84_17
; %bb.14:
	v_cmp_ne_u32_e32 vcc_lo, 0, v182
	s_xor_b32 s2, s16, -1
	s_and_b32 s3, s2, vcc_lo
	s_and_saveexec_b32 s2, s3
	s_cbranch_execz .LBB84_16
; %bb.15:
	v_ashrrev_i32_e32 v183, 31, v182
	v_lshlrev_b64 v[190:191], 2, v[182:183]
	v_add_co_u32 v190, vcc_lo, v180, v190
	v_add_co_ci_u32_e64 v191, null, v181, v191, vcc_lo
	s_clause 0x1
	global_load_dword v0, v[190:191], off
	global_load_dword v183, v[180:181], off
	s_waitcnt vmcnt(1)
	global_store_dword v[180:181], v0, off
	s_waitcnt vmcnt(0)
	global_store_dword v[190:191], v183, off
.LBB84_16:
	s_or_b32 exec_lo, exec_lo, s2
	v_mov_b32_e32 v0, v182
.LBB84_17:
	s_or_b32 exec_lo, exec_lo, s1
.LBB84_18:
	s_or_saveexec_b32 s0, s0
	v_mov_b32_e32 v188, v0
	s_xor_b32 exec_lo, exec_lo, s0
	s_cbranch_execz .LBB84_20
; %bb.19:
	v_mov_b32_e32 v188, 0
	ds_write2_b64 v1, v[162:163], v[164:165] offset0:2 offset1:3
	ds_write2_b64 v1, v[166:167], v[168:169] offset0:4 offset1:5
	;; [unrolled: 1-line block ×42, first 2 shown]
.LBB84_20:
	s_or_b32 exec_lo, exec_lo, s0
	s_mov_b32 s0, exec_lo
	s_waitcnt lgkmcnt(0)
	s_waitcnt_vscnt null, 0x0
	s_barrier
	buffer_gl0_inv
	v_cmpx_lt_i32_e32 0, v188
	s_cbranch_execz .LBB84_22
; %bb.21:
	v_mul_f64 v[182:183], v[176:177], v[172:173]
	v_mul_f64 v[172:173], v[174:175], v[172:173]
	v_fma_f64 v[182:183], v[174:175], v[170:171], -v[182:183]
	v_fma_f64 v[172:173], v[176:177], v[170:171], v[172:173]
	ds_read2_b64 v[174:177], v1 offset0:2 offset1:3
	s_waitcnt lgkmcnt(0)
	v_mul_f64 v[170:171], v[176:177], v[172:173]
	v_fma_f64 v[170:171], v[174:175], v[182:183], -v[170:171]
	v_mul_f64 v[174:175], v[174:175], v[172:173]
	v_add_f64 v[162:163], v[162:163], -v[170:171]
	v_fma_f64 v[174:175], v[176:177], v[182:183], v[174:175]
	v_add_f64 v[164:165], v[164:165], -v[174:175]
	ds_read2_b64 v[174:177], v1 offset0:4 offset1:5
	s_waitcnt lgkmcnt(0)
	v_mul_f64 v[170:171], v[176:177], v[172:173]
	v_fma_f64 v[170:171], v[174:175], v[182:183], -v[170:171]
	v_mul_f64 v[174:175], v[174:175], v[172:173]
	v_add_f64 v[166:167], v[166:167], -v[170:171]
	v_fma_f64 v[174:175], v[176:177], v[182:183], v[174:175]
	v_add_f64 v[168:169], v[168:169], -v[174:175]
	ds_read2_b64 v[174:177], v1 offset0:6 offset1:7
	s_waitcnt lgkmcnt(0)
	v_mul_f64 v[170:171], v[176:177], v[172:173]
	v_fma_f64 v[170:171], v[174:175], v[182:183], -v[170:171]
	v_mul_f64 v[174:175], v[174:175], v[172:173]
	v_add_f64 v[158:159], v[158:159], -v[170:171]
	v_fma_f64 v[174:175], v[176:177], v[182:183], v[174:175]
	v_add_f64 v[160:161], v[160:161], -v[174:175]
	ds_read2_b64 v[174:177], v1 offset0:8 offset1:9
	s_waitcnt lgkmcnt(0)
	v_mul_f64 v[170:171], v[176:177], v[172:173]
	v_fma_f64 v[170:171], v[174:175], v[182:183], -v[170:171]
	v_mul_f64 v[174:175], v[174:175], v[172:173]
	v_add_f64 v[154:155], v[154:155], -v[170:171]
	v_fma_f64 v[174:175], v[176:177], v[182:183], v[174:175]
	v_add_f64 v[156:157], v[156:157], -v[174:175]
	ds_read2_b64 v[174:177], v1 offset0:10 offset1:11
	s_waitcnt lgkmcnt(0)
	v_mul_f64 v[170:171], v[176:177], v[172:173]
	v_fma_f64 v[170:171], v[174:175], v[182:183], -v[170:171]
	v_mul_f64 v[174:175], v[174:175], v[172:173]
	v_add_f64 v[150:151], v[150:151], -v[170:171]
	v_fma_f64 v[174:175], v[176:177], v[182:183], v[174:175]
	v_add_f64 v[152:153], v[152:153], -v[174:175]
	ds_read2_b64 v[174:177], v1 offset0:12 offset1:13
	s_waitcnt lgkmcnt(0)
	v_mul_f64 v[170:171], v[176:177], v[172:173]
	v_fma_f64 v[170:171], v[174:175], v[182:183], -v[170:171]
	v_mul_f64 v[174:175], v[174:175], v[172:173]
	v_add_f64 v[146:147], v[146:147], -v[170:171]
	v_fma_f64 v[174:175], v[176:177], v[182:183], v[174:175]
	v_add_f64 v[148:149], v[148:149], -v[174:175]
	ds_read2_b64 v[174:177], v1 offset0:14 offset1:15
	s_waitcnt lgkmcnt(0)
	v_mul_f64 v[170:171], v[176:177], v[172:173]
	v_fma_f64 v[170:171], v[174:175], v[182:183], -v[170:171]
	v_mul_f64 v[174:175], v[174:175], v[172:173]
	v_add_f64 v[142:143], v[142:143], -v[170:171]
	v_fma_f64 v[174:175], v[176:177], v[182:183], v[174:175]
	v_add_f64 v[144:145], v[144:145], -v[174:175]
	ds_read2_b64 v[174:177], v1 offset0:16 offset1:17
	s_waitcnt lgkmcnt(0)
	v_mul_f64 v[170:171], v[176:177], v[172:173]
	v_fma_f64 v[170:171], v[174:175], v[182:183], -v[170:171]
	v_mul_f64 v[174:175], v[174:175], v[172:173]
	v_add_f64 v[138:139], v[138:139], -v[170:171]
	v_fma_f64 v[174:175], v[176:177], v[182:183], v[174:175]
	v_add_f64 v[140:141], v[140:141], -v[174:175]
	ds_read2_b64 v[174:177], v1 offset0:18 offset1:19
	s_waitcnt lgkmcnt(0)
	v_mul_f64 v[170:171], v[176:177], v[172:173]
	v_fma_f64 v[170:171], v[174:175], v[182:183], -v[170:171]
	v_mul_f64 v[174:175], v[174:175], v[172:173]
	v_add_f64 v[134:135], v[134:135], -v[170:171]
	v_fma_f64 v[174:175], v[176:177], v[182:183], v[174:175]
	v_add_f64 v[136:137], v[136:137], -v[174:175]
	ds_read2_b64 v[174:177], v1 offset0:20 offset1:21
	s_waitcnt lgkmcnt(0)
	v_mul_f64 v[170:171], v[176:177], v[172:173]
	v_fma_f64 v[170:171], v[174:175], v[182:183], -v[170:171]
	v_mul_f64 v[174:175], v[174:175], v[172:173]
	v_add_f64 v[130:131], v[130:131], -v[170:171]
	v_fma_f64 v[174:175], v[176:177], v[182:183], v[174:175]
	v_add_f64 v[132:133], v[132:133], -v[174:175]
	ds_read2_b64 v[174:177], v1 offset0:22 offset1:23
	s_waitcnt lgkmcnt(0)
	v_mul_f64 v[170:171], v[176:177], v[172:173]
	v_fma_f64 v[170:171], v[174:175], v[182:183], -v[170:171]
	v_mul_f64 v[174:175], v[174:175], v[172:173]
	v_add_f64 v[126:127], v[126:127], -v[170:171]
	v_fma_f64 v[174:175], v[176:177], v[182:183], v[174:175]
	v_add_f64 v[128:129], v[128:129], -v[174:175]
	ds_read2_b64 v[174:177], v1 offset0:24 offset1:25
	s_waitcnt lgkmcnt(0)
	v_mul_f64 v[170:171], v[176:177], v[172:173]
	v_fma_f64 v[170:171], v[174:175], v[182:183], -v[170:171]
	v_mul_f64 v[174:175], v[174:175], v[172:173]
	v_add_f64 v[122:123], v[122:123], -v[170:171]
	v_fma_f64 v[174:175], v[176:177], v[182:183], v[174:175]
	v_add_f64 v[124:125], v[124:125], -v[174:175]
	ds_read2_b64 v[174:177], v1 offset0:26 offset1:27
	s_waitcnt lgkmcnt(0)
	v_mul_f64 v[170:171], v[176:177], v[172:173]
	v_fma_f64 v[170:171], v[174:175], v[182:183], -v[170:171]
	v_mul_f64 v[174:175], v[174:175], v[172:173]
	v_add_f64 v[118:119], v[118:119], -v[170:171]
	v_fma_f64 v[174:175], v[176:177], v[182:183], v[174:175]
	v_add_f64 v[120:121], v[120:121], -v[174:175]
	ds_read2_b64 v[174:177], v1 offset0:28 offset1:29
	s_waitcnt lgkmcnt(0)
	v_mul_f64 v[170:171], v[176:177], v[172:173]
	v_fma_f64 v[170:171], v[174:175], v[182:183], -v[170:171]
	v_mul_f64 v[174:175], v[174:175], v[172:173]
	v_add_f64 v[114:115], v[114:115], -v[170:171]
	v_fma_f64 v[174:175], v[176:177], v[182:183], v[174:175]
	v_add_f64 v[116:117], v[116:117], -v[174:175]
	ds_read2_b64 v[174:177], v1 offset0:30 offset1:31
	s_waitcnt lgkmcnt(0)
	v_mul_f64 v[170:171], v[176:177], v[172:173]
	v_fma_f64 v[170:171], v[174:175], v[182:183], -v[170:171]
	v_mul_f64 v[174:175], v[174:175], v[172:173]
	v_add_f64 v[110:111], v[110:111], -v[170:171]
	v_fma_f64 v[174:175], v[176:177], v[182:183], v[174:175]
	v_add_f64 v[112:113], v[112:113], -v[174:175]
	ds_read2_b64 v[174:177], v1 offset0:32 offset1:33
	s_waitcnt lgkmcnt(0)
	v_mul_f64 v[170:171], v[176:177], v[172:173]
	v_fma_f64 v[170:171], v[174:175], v[182:183], -v[170:171]
	v_mul_f64 v[174:175], v[174:175], v[172:173]
	v_add_f64 v[106:107], v[106:107], -v[170:171]
	v_fma_f64 v[174:175], v[176:177], v[182:183], v[174:175]
	v_add_f64 v[108:109], v[108:109], -v[174:175]
	ds_read2_b64 v[174:177], v1 offset0:34 offset1:35
	s_waitcnt lgkmcnt(0)
	v_mul_f64 v[170:171], v[176:177], v[172:173]
	v_fma_f64 v[170:171], v[174:175], v[182:183], -v[170:171]
	v_mul_f64 v[174:175], v[174:175], v[172:173]
	v_add_f64 v[102:103], v[102:103], -v[170:171]
	v_fma_f64 v[174:175], v[176:177], v[182:183], v[174:175]
	v_add_f64 v[104:105], v[104:105], -v[174:175]
	ds_read2_b64 v[174:177], v1 offset0:36 offset1:37
	s_waitcnt lgkmcnt(0)
	v_mul_f64 v[170:171], v[176:177], v[172:173]
	v_fma_f64 v[170:171], v[174:175], v[182:183], -v[170:171]
	v_mul_f64 v[174:175], v[174:175], v[172:173]
	v_add_f64 v[98:99], v[98:99], -v[170:171]
	v_fma_f64 v[174:175], v[176:177], v[182:183], v[174:175]
	v_add_f64 v[100:101], v[100:101], -v[174:175]
	ds_read2_b64 v[174:177], v1 offset0:38 offset1:39
	s_waitcnt lgkmcnt(0)
	v_mul_f64 v[170:171], v[176:177], v[172:173]
	v_fma_f64 v[170:171], v[174:175], v[182:183], -v[170:171]
	v_mul_f64 v[174:175], v[174:175], v[172:173]
	v_add_f64 v[94:95], v[94:95], -v[170:171]
	v_fma_f64 v[174:175], v[176:177], v[182:183], v[174:175]
	v_add_f64 v[96:97], v[96:97], -v[174:175]
	ds_read2_b64 v[174:177], v1 offset0:40 offset1:41
	s_waitcnt lgkmcnt(0)
	v_mul_f64 v[170:171], v[176:177], v[172:173]
	v_fma_f64 v[170:171], v[174:175], v[182:183], -v[170:171]
	v_mul_f64 v[174:175], v[174:175], v[172:173]
	v_add_f64 v[90:91], v[90:91], -v[170:171]
	v_fma_f64 v[174:175], v[176:177], v[182:183], v[174:175]
	v_add_f64 v[92:93], v[92:93], -v[174:175]
	ds_read2_b64 v[174:177], v1 offset0:42 offset1:43
	s_waitcnt lgkmcnt(0)
	v_mul_f64 v[170:171], v[176:177], v[172:173]
	v_fma_f64 v[170:171], v[174:175], v[182:183], -v[170:171]
	v_mul_f64 v[174:175], v[174:175], v[172:173]
	v_add_f64 v[86:87], v[86:87], -v[170:171]
	v_fma_f64 v[174:175], v[176:177], v[182:183], v[174:175]
	v_add_f64 v[88:89], v[88:89], -v[174:175]
	ds_read2_b64 v[174:177], v1 offset0:44 offset1:45
	s_waitcnt lgkmcnt(0)
	v_mul_f64 v[170:171], v[176:177], v[172:173]
	v_fma_f64 v[170:171], v[174:175], v[182:183], -v[170:171]
	v_mul_f64 v[174:175], v[174:175], v[172:173]
	v_add_f64 v[82:83], v[82:83], -v[170:171]
	v_fma_f64 v[174:175], v[176:177], v[182:183], v[174:175]
	v_add_f64 v[84:85], v[84:85], -v[174:175]
	ds_read2_b64 v[174:177], v1 offset0:46 offset1:47
	s_waitcnt lgkmcnt(0)
	v_mul_f64 v[170:171], v[176:177], v[172:173]
	v_fma_f64 v[170:171], v[174:175], v[182:183], -v[170:171]
	v_mul_f64 v[174:175], v[174:175], v[172:173]
	v_add_f64 v[78:79], v[78:79], -v[170:171]
	v_fma_f64 v[174:175], v[176:177], v[182:183], v[174:175]
	v_add_f64 v[80:81], v[80:81], -v[174:175]
	ds_read2_b64 v[174:177], v1 offset0:48 offset1:49
	s_waitcnt lgkmcnt(0)
	v_mul_f64 v[170:171], v[176:177], v[172:173]
	v_fma_f64 v[170:171], v[174:175], v[182:183], -v[170:171]
	v_mul_f64 v[174:175], v[174:175], v[172:173]
	v_add_f64 v[74:75], v[74:75], -v[170:171]
	v_fma_f64 v[174:175], v[176:177], v[182:183], v[174:175]
	v_add_f64 v[76:77], v[76:77], -v[174:175]
	ds_read2_b64 v[174:177], v1 offset0:50 offset1:51
	s_waitcnt lgkmcnt(0)
	v_mul_f64 v[170:171], v[176:177], v[172:173]
	v_fma_f64 v[170:171], v[174:175], v[182:183], -v[170:171]
	v_mul_f64 v[174:175], v[174:175], v[172:173]
	v_add_f64 v[70:71], v[70:71], -v[170:171]
	v_fma_f64 v[174:175], v[176:177], v[182:183], v[174:175]
	v_add_f64 v[72:73], v[72:73], -v[174:175]
	ds_read2_b64 v[174:177], v1 offset0:52 offset1:53
	s_waitcnt lgkmcnt(0)
	v_mul_f64 v[170:171], v[176:177], v[172:173]
	v_fma_f64 v[170:171], v[174:175], v[182:183], -v[170:171]
	v_mul_f64 v[174:175], v[174:175], v[172:173]
	v_add_f64 v[66:67], v[66:67], -v[170:171]
	v_fma_f64 v[174:175], v[176:177], v[182:183], v[174:175]
	v_add_f64 v[68:69], v[68:69], -v[174:175]
	ds_read2_b64 v[174:177], v1 offset0:54 offset1:55
	s_waitcnt lgkmcnt(0)
	v_mul_f64 v[170:171], v[176:177], v[172:173]
	v_fma_f64 v[170:171], v[174:175], v[182:183], -v[170:171]
	v_mul_f64 v[174:175], v[174:175], v[172:173]
	v_add_f64 v[62:63], v[62:63], -v[170:171]
	v_fma_f64 v[174:175], v[176:177], v[182:183], v[174:175]
	v_add_f64 v[64:65], v[64:65], -v[174:175]
	ds_read2_b64 v[174:177], v1 offset0:56 offset1:57
	s_waitcnt lgkmcnt(0)
	v_mul_f64 v[170:171], v[176:177], v[172:173]
	v_fma_f64 v[170:171], v[174:175], v[182:183], -v[170:171]
	v_mul_f64 v[174:175], v[174:175], v[172:173]
	v_add_f64 v[58:59], v[58:59], -v[170:171]
	v_fma_f64 v[174:175], v[176:177], v[182:183], v[174:175]
	v_add_f64 v[60:61], v[60:61], -v[174:175]
	ds_read2_b64 v[174:177], v1 offset0:58 offset1:59
	s_waitcnt lgkmcnt(0)
	v_mul_f64 v[170:171], v[176:177], v[172:173]
	v_fma_f64 v[170:171], v[174:175], v[182:183], -v[170:171]
	v_mul_f64 v[174:175], v[174:175], v[172:173]
	v_add_f64 v[54:55], v[54:55], -v[170:171]
	v_fma_f64 v[174:175], v[176:177], v[182:183], v[174:175]
	v_add_f64 v[56:57], v[56:57], -v[174:175]
	ds_read2_b64 v[174:177], v1 offset0:60 offset1:61
	s_waitcnt lgkmcnt(0)
	v_mul_f64 v[170:171], v[176:177], v[172:173]
	v_fma_f64 v[170:171], v[174:175], v[182:183], -v[170:171]
	v_mul_f64 v[174:175], v[174:175], v[172:173]
	v_add_f64 v[50:51], v[50:51], -v[170:171]
	v_fma_f64 v[174:175], v[176:177], v[182:183], v[174:175]
	v_add_f64 v[52:53], v[52:53], -v[174:175]
	ds_read2_b64 v[174:177], v1 offset0:62 offset1:63
	s_waitcnt lgkmcnt(0)
	v_mul_f64 v[170:171], v[176:177], v[172:173]
	v_fma_f64 v[170:171], v[174:175], v[182:183], -v[170:171]
	v_mul_f64 v[174:175], v[174:175], v[172:173]
	v_add_f64 v[46:47], v[46:47], -v[170:171]
	v_fma_f64 v[174:175], v[176:177], v[182:183], v[174:175]
	v_add_f64 v[48:49], v[48:49], -v[174:175]
	ds_read2_b64 v[174:177], v1 offset0:64 offset1:65
	s_waitcnt lgkmcnt(0)
	v_mul_f64 v[170:171], v[176:177], v[172:173]
	v_fma_f64 v[170:171], v[174:175], v[182:183], -v[170:171]
	v_mul_f64 v[174:175], v[174:175], v[172:173]
	v_add_f64 v[42:43], v[42:43], -v[170:171]
	v_fma_f64 v[174:175], v[176:177], v[182:183], v[174:175]
	v_add_f64 v[44:45], v[44:45], -v[174:175]
	ds_read2_b64 v[174:177], v1 offset0:66 offset1:67
	s_waitcnt lgkmcnt(0)
	v_mul_f64 v[170:171], v[176:177], v[172:173]
	v_fma_f64 v[170:171], v[174:175], v[182:183], -v[170:171]
	v_mul_f64 v[174:175], v[174:175], v[172:173]
	v_add_f64 v[38:39], v[38:39], -v[170:171]
	v_fma_f64 v[174:175], v[176:177], v[182:183], v[174:175]
	v_add_f64 v[40:41], v[40:41], -v[174:175]
	ds_read2_b64 v[174:177], v1 offset0:68 offset1:69
	s_waitcnt lgkmcnt(0)
	v_mul_f64 v[170:171], v[176:177], v[172:173]
	v_fma_f64 v[170:171], v[174:175], v[182:183], -v[170:171]
	v_mul_f64 v[174:175], v[174:175], v[172:173]
	v_add_f64 v[34:35], v[34:35], -v[170:171]
	v_fma_f64 v[174:175], v[176:177], v[182:183], v[174:175]
	v_add_f64 v[36:37], v[36:37], -v[174:175]
	ds_read2_b64 v[174:177], v1 offset0:70 offset1:71
	s_waitcnt lgkmcnt(0)
	v_mul_f64 v[170:171], v[176:177], v[172:173]
	v_fma_f64 v[170:171], v[174:175], v[182:183], -v[170:171]
	v_mul_f64 v[174:175], v[174:175], v[172:173]
	v_add_f64 v[30:31], v[30:31], -v[170:171]
	v_fma_f64 v[174:175], v[176:177], v[182:183], v[174:175]
	v_add_f64 v[32:33], v[32:33], -v[174:175]
	ds_read2_b64 v[174:177], v1 offset0:72 offset1:73
	s_waitcnt lgkmcnt(0)
	v_mul_f64 v[170:171], v[176:177], v[172:173]
	v_fma_f64 v[170:171], v[174:175], v[182:183], -v[170:171]
	v_mul_f64 v[174:175], v[174:175], v[172:173]
	v_add_f64 v[26:27], v[26:27], -v[170:171]
	v_fma_f64 v[174:175], v[176:177], v[182:183], v[174:175]
	v_add_f64 v[28:29], v[28:29], -v[174:175]
	ds_read2_b64 v[174:177], v1 offset0:74 offset1:75
	s_waitcnt lgkmcnt(0)
	v_mul_f64 v[170:171], v[176:177], v[172:173]
	v_fma_f64 v[170:171], v[174:175], v[182:183], -v[170:171]
	v_mul_f64 v[174:175], v[174:175], v[172:173]
	v_add_f64 v[22:23], v[22:23], -v[170:171]
	v_fma_f64 v[174:175], v[176:177], v[182:183], v[174:175]
	v_add_f64 v[24:25], v[24:25], -v[174:175]
	ds_read2_b64 v[174:177], v1 offset0:76 offset1:77
	s_waitcnt lgkmcnt(0)
	v_mul_f64 v[170:171], v[176:177], v[172:173]
	v_fma_f64 v[170:171], v[174:175], v[182:183], -v[170:171]
	v_mul_f64 v[174:175], v[174:175], v[172:173]
	v_add_f64 v[18:19], v[18:19], -v[170:171]
	v_fma_f64 v[174:175], v[176:177], v[182:183], v[174:175]
	v_add_f64 v[20:21], v[20:21], -v[174:175]
	ds_read2_b64 v[174:177], v1 offset0:78 offset1:79
	s_waitcnt lgkmcnt(0)
	v_mul_f64 v[170:171], v[176:177], v[172:173]
	v_fma_f64 v[170:171], v[174:175], v[182:183], -v[170:171]
	v_mul_f64 v[174:175], v[174:175], v[172:173]
	v_add_f64 v[14:15], v[14:15], -v[170:171]
	v_fma_f64 v[174:175], v[176:177], v[182:183], v[174:175]
	v_add_f64 v[16:17], v[16:17], -v[174:175]
	ds_read2_b64 v[174:177], v1 offset0:80 offset1:81
	s_waitcnt lgkmcnt(0)
	v_mul_f64 v[170:171], v[176:177], v[172:173]
	v_fma_f64 v[170:171], v[174:175], v[182:183], -v[170:171]
	v_mul_f64 v[174:175], v[174:175], v[172:173]
	v_add_f64 v[10:11], v[10:11], -v[170:171]
	v_fma_f64 v[174:175], v[176:177], v[182:183], v[174:175]
	v_add_f64 v[12:13], v[12:13], -v[174:175]
	ds_read2_b64 v[174:177], v1 offset0:82 offset1:83
	s_waitcnt lgkmcnt(0)
	v_mul_f64 v[170:171], v[176:177], v[172:173]
	v_fma_f64 v[170:171], v[174:175], v[182:183], -v[170:171]
	v_mul_f64 v[174:175], v[174:175], v[172:173]
	v_add_f64 v[6:7], v[6:7], -v[170:171]
	v_fma_f64 v[174:175], v[176:177], v[182:183], v[174:175]
	v_add_f64 v[8:9], v[8:9], -v[174:175]
	ds_read2_b64 v[174:177], v1 offset0:84 offset1:85
	s_waitcnt lgkmcnt(0)
	v_mul_f64 v[170:171], v[176:177], v[172:173]
	v_fma_f64 v[170:171], v[174:175], v[182:183], -v[170:171]
	v_mul_f64 v[174:175], v[174:175], v[172:173]
	v_add_f64 v[2:3], v[2:3], -v[170:171]
	v_fma_f64 v[174:175], v[176:177], v[182:183], v[174:175]
	v_mov_b32_e32 v170, v182
	v_mov_b32_e32 v171, v183
	v_add_f64 v[4:5], v[4:5], -v[174:175]
.LBB84_22:
	s_or_b32 exec_lo, exec_lo, s0
	v_lshl_add_u32 v174, v188, 4, v1
	s_barrier
	buffer_gl0_inv
	v_mov_b32_e32 v182, 1
	ds_write2_b64 v174, v[162:163], v[164:165] offset1:1
	s_waitcnt lgkmcnt(0)
	s_barrier
	buffer_gl0_inv
	ds_read2_b64 v[174:177], v1 offset0:2 offset1:3
	s_cmp_lt_i32 s18, 3
	s_cbranch_scc1 .LBB84_25
; %bb.23:
	v_add3_u32 v183, v184, 0, 32
	v_mov_b32_e32 v182, 1
	s_mov_b32 s1, 2
	s_inst_prefetch 0x1
	.p2align	6
.LBB84_24:                              ; =>This Inner Loop Header: Depth=1
	s_waitcnt lgkmcnt(0)
	v_cmp_gt_f64_e32 vcc_lo, 0, v[176:177]
	v_cmp_gt_f64_e64 s0, 0, v[174:175]
	ds_read2_b64 v[190:193], v183 offset1:1
	v_xor_b32_e32 v195, 0x80000000, v175
	v_xor_b32_e32 v197, 0x80000000, v177
	v_mov_b32_e32 v194, v174
	v_mov_b32_e32 v196, v176
	v_add_nc_u32_e32 v183, 16, v183
	s_waitcnt lgkmcnt(0)
	v_xor_b32_e32 v199, 0x80000000, v193
	v_cndmask_b32_e64 v195, v175, v195, s0
	v_cndmask_b32_e32 v197, v177, v197, vcc_lo
	v_cmp_gt_f64_e32 vcc_lo, 0, v[192:193]
	v_cmp_gt_f64_e64 s0, 0, v[190:191]
	v_mov_b32_e32 v198, v192
	v_add_f64 v[194:195], v[194:195], v[196:197]
	v_xor_b32_e32 v197, 0x80000000, v191
	v_mov_b32_e32 v196, v190
	v_cndmask_b32_e32 v199, v193, v199, vcc_lo
	v_cndmask_b32_e64 v197, v191, v197, s0
	v_add_f64 v[196:197], v[196:197], v[198:199]
	v_cmp_lt_f64_e32 vcc_lo, v[194:195], v[196:197]
	v_cndmask_b32_e32 v175, v175, v191, vcc_lo
	v_cndmask_b32_e32 v174, v174, v190, vcc_lo
	v_cndmask_b32_e32 v177, v177, v193, vcc_lo
	v_cndmask_b32_e32 v176, v176, v192, vcc_lo
	v_cndmask_b32_e64 v182, v182, s1, vcc_lo
	s_add_i32 s1, s1, 1
	s_cmp_lg_u32 s18, s1
	s_cbranch_scc1 .LBB84_24
.LBB84_25:
	s_inst_prefetch 0x2
	s_waitcnt lgkmcnt(0)
	v_cmp_neq_f64_e32 vcc_lo, 0, v[174:175]
	v_cmp_neq_f64_e64 s0, 0, v[176:177]
	s_or_b32 s1, vcc_lo, s0
	s_and_saveexec_b32 s0, s1
	s_cbranch_execz .LBB84_31
; %bb.26:
	v_cmp_ngt_f64_e64 s1, |v[174:175]|, |v[176:177]|
	s_and_saveexec_b32 s2, s1
	s_xor_b32 s1, exec_lo, s2
	s_cbranch_execz .LBB84_28
; %bb.27:
	v_div_scale_f64 v[190:191], null, v[176:177], v[176:177], v[174:175]
	v_div_scale_f64 v[196:197], vcc_lo, v[174:175], v[176:177], v[174:175]
	v_rcp_f64_e32 v[192:193], v[190:191]
	v_fma_f64 v[194:195], -v[190:191], v[192:193], 1.0
	v_fma_f64 v[192:193], v[192:193], v[194:195], v[192:193]
	v_fma_f64 v[194:195], -v[190:191], v[192:193], 1.0
	v_fma_f64 v[192:193], v[192:193], v[194:195], v[192:193]
	v_mul_f64 v[194:195], v[196:197], v[192:193]
	v_fma_f64 v[190:191], -v[190:191], v[194:195], v[196:197]
	v_div_fmas_f64 v[190:191], v[190:191], v[192:193], v[194:195]
	v_div_fixup_f64 v[190:191], v[190:191], v[176:177], v[174:175]
	v_fma_f64 v[174:175], v[174:175], v[190:191], v[176:177]
	v_div_scale_f64 v[176:177], null, v[174:175], v[174:175], 1.0
	v_rcp_f64_e32 v[192:193], v[176:177]
	v_fma_f64 v[194:195], -v[176:177], v[192:193], 1.0
	v_fma_f64 v[192:193], v[192:193], v[194:195], v[192:193]
	v_fma_f64 v[194:195], -v[176:177], v[192:193], 1.0
	v_fma_f64 v[192:193], v[192:193], v[194:195], v[192:193]
	v_div_scale_f64 v[194:195], vcc_lo, 1.0, v[174:175], 1.0
	v_mul_f64 v[196:197], v[194:195], v[192:193]
	v_fma_f64 v[176:177], -v[176:177], v[196:197], v[194:195]
	v_div_fmas_f64 v[176:177], v[176:177], v[192:193], v[196:197]
	v_div_fixup_f64 v[176:177], v[176:177], v[174:175], 1.0
	v_mul_f64 v[174:175], v[190:191], v[176:177]
	v_xor_b32_e32 v177, 0x80000000, v177
.LBB84_28:
	s_andn2_saveexec_b32 s1, s1
	s_cbranch_execz .LBB84_30
; %bb.29:
	v_div_scale_f64 v[190:191], null, v[174:175], v[174:175], v[176:177]
	v_div_scale_f64 v[196:197], vcc_lo, v[176:177], v[174:175], v[176:177]
	v_rcp_f64_e32 v[192:193], v[190:191]
	v_fma_f64 v[194:195], -v[190:191], v[192:193], 1.0
	v_fma_f64 v[192:193], v[192:193], v[194:195], v[192:193]
	v_fma_f64 v[194:195], -v[190:191], v[192:193], 1.0
	v_fma_f64 v[192:193], v[192:193], v[194:195], v[192:193]
	v_mul_f64 v[194:195], v[196:197], v[192:193]
	v_fma_f64 v[190:191], -v[190:191], v[194:195], v[196:197]
	v_div_fmas_f64 v[190:191], v[190:191], v[192:193], v[194:195]
	v_div_fixup_f64 v[190:191], v[190:191], v[174:175], v[176:177]
	v_fma_f64 v[174:175], v[176:177], v[190:191], v[174:175]
	v_div_scale_f64 v[176:177], null, v[174:175], v[174:175], 1.0
	v_rcp_f64_e32 v[192:193], v[176:177]
	v_fma_f64 v[194:195], -v[176:177], v[192:193], 1.0
	v_fma_f64 v[192:193], v[192:193], v[194:195], v[192:193]
	v_fma_f64 v[194:195], -v[176:177], v[192:193], 1.0
	v_fma_f64 v[192:193], v[192:193], v[194:195], v[192:193]
	v_div_scale_f64 v[194:195], vcc_lo, 1.0, v[174:175], 1.0
	v_mul_f64 v[196:197], v[194:195], v[192:193]
	v_fma_f64 v[176:177], -v[176:177], v[196:197], v[194:195]
	v_div_fmas_f64 v[176:177], v[176:177], v[192:193], v[196:197]
	v_div_fixup_f64 v[174:175], v[176:177], v[174:175], 1.0
	v_mul_f64 v[176:177], v[190:191], -v[174:175]
.LBB84_30:
	s_or_b32 exec_lo, exec_lo, s1
	v_mov_b32_e32 v187, v189
.LBB84_31:
	s_or_b32 exec_lo, exec_lo, s0
	s_mov_b32 s0, exec_lo
	v_cmpx_ne_u32_e64 v188, v182
	s_xor_b32 s0, exec_lo, s0
	s_cbranch_execz .LBB84_37
; %bb.32:
	s_mov_b32 s1, exec_lo
	v_cmpx_eq_u32_e32 1, v188
	s_cbranch_execz .LBB84_36
; %bb.33:
	v_cmp_ne_u32_e32 vcc_lo, 1, v182
	s_xor_b32 s2, s16, -1
	s_and_b32 s3, s2, vcc_lo
	s_and_saveexec_b32 s2, s3
	s_cbranch_execz .LBB84_35
; %bb.34:
	v_ashrrev_i32_e32 v183, 31, v182
	v_lshlrev_b64 v[188:189], 2, v[182:183]
	v_add_co_u32 v188, vcc_lo, v180, v188
	v_add_co_ci_u32_e64 v189, null, v181, v189, vcc_lo
	s_clause 0x1
	global_load_dword v0, v[188:189], off
	global_load_dword v183, v[180:181], off offset:4
	s_waitcnt vmcnt(1)
	global_store_dword v[180:181], v0, off offset:4
	s_waitcnt vmcnt(0)
	global_store_dword v[188:189], v183, off
.LBB84_35:
	s_or_b32 exec_lo, exec_lo, s2
	v_mov_b32_e32 v188, v182
	v_mov_b32_e32 v0, v182
.LBB84_36:
	s_or_b32 exec_lo, exec_lo, s1
.LBB84_37:
	s_andn2_saveexec_b32 s0, s0
	s_cbranch_execz .LBB84_39
; %bb.38:
	v_mov_b32_e32 v188, 1
	ds_write2_b64 v1, v[166:167], v[168:169] offset0:4 offset1:5
	ds_write2_b64 v1, v[158:159], v[160:161] offset0:6 offset1:7
	;; [unrolled: 1-line block ×41, first 2 shown]
.LBB84_39:
	s_or_b32 exec_lo, exec_lo, s0
	s_mov_b32 s0, exec_lo
	s_waitcnt lgkmcnt(0)
	s_waitcnt_vscnt null, 0x0
	s_barrier
	buffer_gl0_inv
	v_cmpx_lt_i32_e32 1, v188
	s_cbranch_execz .LBB84_41
; %bb.40:
	v_mul_f64 v[182:183], v[176:177], v[164:165]
	v_mul_f64 v[164:165], v[174:175], v[164:165]
	v_fma_f64 v[182:183], v[174:175], v[162:163], -v[182:183]
	v_fma_f64 v[164:165], v[176:177], v[162:163], v[164:165]
	ds_read2_b64 v[174:177], v1 offset0:4 offset1:5
	s_waitcnt lgkmcnt(0)
	v_mul_f64 v[162:163], v[176:177], v[164:165]
	v_fma_f64 v[162:163], v[174:175], v[182:183], -v[162:163]
	v_mul_f64 v[174:175], v[174:175], v[164:165]
	v_add_f64 v[166:167], v[166:167], -v[162:163]
	v_fma_f64 v[174:175], v[176:177], v[182:183], v[174:175]
	v_add_f64 v[168:169], v[168:169], -v[174:175]
	ds_read2_b64 v[174:177], v1 offset0:6 offset1:7
	s_waitcnt lgkmcnt(0)
	v_mul_f64 v[162:163], v[176:177], v[164:165]
	v_fma_f64 v[162:163], v[174:175], v[182:183], -v[162:163]
	v_mul_f64 v[174:175], v[174:175], v[164:165]
	v_add_f64 v[158:159], v[158:159], -v[162:163]
	v_fma_f64 v[174:175], v[176:177], v[182:183], v[174:175]
	v_add_f64 v[160:161], v[160:161], -v[174:175]
	;; [unrolled: 8-line block ×40, first 2 shown]
	ds_read2_b64 v[174:177], v1 offset0:84 offset1:85
	s_waitcnt lgkmcnt(0)
	v_mul_f64 v[162:163], v[176:177], v[164:165]
	v_fma_f64 v[162:163], v[174:175], v[182:183], -v[162:163]
	v_mul_f64 v[174:175], v[174:175], v[164:165]
	v_add_f64 v[2:3], v[2:3], -v[162:163]
	v_fma_f64 v[174:175], v[176:177], v[182:183], v[174:175]
	v_mov_b32_e32 v162, v182
	v_mov_b32_e32 v163, v183
	v_add_f64 v[4:5], v[4:5], -v[174:175]
.LBB84_41:
	s_or_b32 exec_lo, exec_lo, s0
	v_lshl_add_u32 v174, v188, 4, v1
	s_barrier
	buffer_gl0_inv
	v_mov_b32_e32 v182, 2
	ds_write2_b64 v174, v[166:167], v[168:169] offset1:1
	s_waitcnt lgkmcnt(0)
	s_barrier
	buffer_gl0_inv
	ds_read2_b64 v[174:177], v1 offset0:4 offset1:5
	s_cmp_lt_i32 s18, 4
	s_cbranch_scc1 .LBB84_44
; %bb.42:
	v_add3_u32 v183, v184, 0, 48
	v_mov_b32_e32 v182, 2
	s_mov_b32 s1, 3
	s_inst_prefetch 0x1
	.p2align	6
.LBB84_43:                              ; =>This Inner Loop Header: Depth=1
	s_waitcnt lgkmcnt(0)
	v_cmp_gt_f64_e32 vcc_lo, 0, v[176:177]
	v_cmp_gt_f64_e64 s0, 0, v[174:175]
	ds_read2_b64 v[189:192], v183 offset1:1
	v_xor_b32_e32 v194, 0x80000000, v175
	v_xor_b32_e32 v196, 0x80000000, v177
	v_mov_b32_e32 v193, v174
	v_mov_b32_e32 v195, v176
	v_add_nc_u32_e32 v183, 16, v183
	s_waitcnt lgkmcnt(0)
	v_xor_b32_e32 v198, 0x80000000, v192
	v_cndmask_b32_e64 v194, v175, v194, s0
	v_cndmask_b32_e32 v196, v177, v196, vcc_lo
	v_cmp_gt_f64_e32 vcc_lo, 0, v[191:192]
	v_cmp_gt_f64_e64 s0, 0, v[189:190]
	v_mov_b32_e32 v197, v191
	v_add_f64 v[193:194], v[193:194], v[195:196]
	v_xor_b32_e32 v196, 0x80000000, v190
	v_mov_b32_e32 v195, v189
	v_cndmask_b32_e32 v198, v192, v198, vcc_lo
	v_cndmask_b32_e64 v196, v190, v196, s0
	v_add_f64 v[195:196], v[195:196], v[197:198]
	v_cmp_lt_f64_e32 vcc_lo, v[193:194], v[195:196]
	v_cndmask_b32_e32 v175, v175, v190, vcc_lo
	v_cndmask_b32_e32 v174, v174, v189, vcc_lo
	;; [unrolled: 1-line block ×4, first 2 shown]
	v_cndmask_b32_e64 v182, v182, s1, vcc_lo
	s_add_i32 s1, s1, 1
	s_cmp_lg_u32 s18, s1
	s_cbranch_scc1 .LBB84_43
.LBB84_44:
	s_inst_prefetch 0x2
	s_waitcnt lgkmcnt(0)
	v_cmp_eq_f64_e32 vcc_lo, 0, v[174:175]
	v_cmp_eq_f64_e64 s0, 0, v[176:177]
	s_and_b32 s0, vcc_lo, s0
	s_and_saveexec_b32 s1, s0
	s_xor_b32 s0, exec_lo, s1
; %bb.45:
	v_cmp_ne_u32_e32 vcc_lo, 0, v187
	v_cndmask_b32_e32 v187, 3, v187, vcc_lo
; %bb.46:
	s_andn2_saveexec_b32 s0, s0
	s_cbranch_execz .LBB84_52
; %bb.47:
	v_cmp_ngt_f64_e64 s1, |v[174:175]|, |v[176:177]|
	s_and_saveexec_b32 s2, s1
	s_xor_b32 s1, exec_lo, s2
	s_cbranch_execz .LBB84_49
; %bb.48:
	v_div_scale_f64 v[189:190], null, v[176:177], v[176:177], v[174:175]
	v_div_scale_f64 v[195:196], vcc_lo, v[174:175], v[176:177], v[174:175]
	v_rcp_f64_e32 v[191:192], v[189:190]
	v_fma_f64 v[193:194], -v[189:190], v[191:192], 1.0
	v_fma_f64 v[191:192], v[191:192], v[193:194], v[191:192]
	v_fma_f64 v[193:194], -v[189:190], v[191:192], 1.0
	v_fma_f64 v[191:192], v[191:192], v[193:194], v[191:192]
	v_mul_f64 v[193:194], v[195:196], v[191:192]
	v_fma_f64 v[189:190], -v[189:190], v[193:194], v[195:196]
	v_div_fmas_f64 v[189:190], v[189:190], v[191:192], v[193:194]
	v_div_fixup_f64 v[189:190], v[189:190], v[176:177], v[174:175]
	v_fma_f64 v[174:175], v[174:175], v[189:190], v[176:177]
	v_div_scale_f64 v[176:177], null, v[174:175], v[174:175], 1.0
	v_rcp_f64_e32 v[191:192], v[176:177]
	v_fma_f64 v[193:194], -v[176:177], v[191:192], 1.0
	v_fma_f64 v[191:192], v[191:192], v[193:194], v[191:192]
	v_fma_f64 v[193:194], -v[176:177], v[191:192], 1.0
	v_fma_f64 v[191:192], v[191:192], v[193:194], v[191:192]
	v_div_scale_f64 v[193:194], vcc_lo, 1.0, v[174:175], 1.0
	v_mul_f64 v[195:196], v[193:194], v[191:192]
	v_fma_f64 v[176:177], -v[176:177], v[195:196], v[193:194]
	v_div_fmas_f64 v[176:177], v[176:177], v[191:192], v[195:196]
	v_div_fixup_f64 v[176:177], v[176:177], v[174:175], 1.0
	v_mul_f64 v[174:175], v[189:190], v[176:177]
	v_xor_b32_e32 v177, 0x80000000, v177
.LBB84_49:
	s_andn2_saveexec_b32 s1, s1
	s_cbranch_execz .LBB84_51
; %bb.50:
	v_div_scale_f64 v[189:190], null, v[174:175], v[174:175], v[176:177]
	v_div_scale_f64 v[195:196], vcc_lo, v[176:177], v[174:175], v[176:177]
	v_rcp_f64_e32 v[191:192], v[189:190]
	v_fma_f64 v[193:194], -v[189:190], v[191:192], 1.0
	v_fma_f64 v[191:192], v[191:192], v[193:194], v[191:192]
	v_fma_f64 v[193:194], -v[189:190], v[191:192], 1.0
	v_fma_f64 v[191:192], v[191:192], v[193:194], v[191:192]
	v_mul_f64 v[193:194], v[195:196], v[191:192]
	v_fma_f64 v[189:190], -v[189:190], v[193:194], v[195:196]
	v_div_fmas_f64 v[189:190], v[189:190], v[191:192], v[193:194]
	v_div_fixup_f64 v[189:190], v[189:190], v[174:175], v[176:177]
	v_fma_f64 v[174:175], v[176:177], v[189:190], v[174:175]
	v_div_scale_f64 v[176:177], null, v[174:175], v[174:175], 1.0
	v_rcp_f64_e32 v[191:192], v[176:177]
	v_fma_f64 v[193:194], -v[176:177], v[191:192], 1.0
	v_fma_f64 v[191:192], v[191:192], v[193:194], v[191:192]
	v_fma_f64 v[193:194], -v[176:177], v[191:192], 1.0
	v_fma_f64 v[191:192], v[191:192], v[193:194], v[191:192]
	v_div_scale_f64 v[193:194], vcc_lo, 1.0, v[174:175], 1.0
	v_mul_f64 v[195:196], v[193:194], v[191:192]
	v_fma_f64 v[176:177], -v[176:177], v[195:196], v[193:194]
	v_div_fmas_f64 v[176:177], v[176:177], v[191:192], v[195:196]
	v_div_fixup_f64 v[174:175], v[176:177], v[174:175], 1.0
	v_mul_f64 v[176:177], v[189:190], -v[174:175]
.LBB84_51:
	s_or_b32 exec_lo, exec_lo, s1
.LBB84_52:
	s_or_b32 exec_lo, exec_lo, s0
	s_mov_b32 s0, exec_lo
	v_cmpx_ne_u32_e64 v188, v182
	s_xor_b32 s0, exec_lo, s0
	s_cbranch_execz .LBB84_58
; %bb.53:
	s_mov_b32 s1, exec_lo
	v_cmpx_eq_u32_e32 2, v188
	s_cbranch_execz .LBB84_57
; %bb.54:
	v_cmp_ne_u32_e32 vcc_lo, 2, v182
	s_xor_b32 s2, s16, -1
	s_and_b32 s3, s2, vcc_lo
	s_and_saveexec_b32 s2, s3
	s_cbranch_execz .LBB84_56
; %bb.55:
	v_ashrrev_i32_e32 v183, 31, v182
	v_lshlrev_b64 v[188:189], 2, v[182:183]
	v_add_co_u32 v188, vcc_lo, v180, v188
	v_add_co_ci_u32_e64 v189, null, v181, v189, vcc_lo
	s_clause 0x1
	global_load_dword v0, v[188:189], off
	global_load_dword v183, v[180:181], off offset:8
	s_waitcnt vmcnt(1)
	global_store_dword v[180:181], v0, off offset:8
	s_waitcnt vmcnt(0)
	global_store_dword v[188:189], v183, off
.LBB84_56:
	s_or_b32 exec_lo, exec_lo, s2
	v_mov_b32_e32 v188, v182
	v_mov_b32_e32 v0, v182
.LBB84_57:
	s_or_b32 exec_lo, exec_lo, s1
.LBB84_58:
	s_andn2_saveexec_b32 s0, s0
	s_cbranch_execz .LBB84_60
; %bb.59:
	v_mov_b32_e32 v188, 2
	ds_write2_b64 v1, v[158:159], v[160:161] offset0:6 offset1:7
	ds_write2_b64 v1, v[154:155], v[156:157] offset0:8 offset1:9
	;; [unrolled: 1-line block ×40, first 2 shown]
.LBB84_60:
	s_or_b32 exec_lo, exec_lo, s0
	s_mov_b32 s0, exec_lo
	s_waitcnt lgkmcnt(0)
	s_waitcnt_vscnt null, 0x0
	s_barrier
	buffer_gl0_inv
	v_cmpx_lt_i32_e32 2, v188
	s_cbranch_execz .LBB84_62
; %bb.61:
	v_mul_f64 v[182:183], v[176:177], v[168:169]
	v_mul_f64 v[168:169], v[174:175], v[168:169]
	v_fma_f64 v[182:183], v[174:175], v[166:167], -v[182:183]
	v_fma_f64 v[168:169], v[176:177], v[166:167], v[168:169]
	ds_read2_b64 v[174:177], v1 offset0:6 offset1:7
	s_waitcnt lgkmcnt(0)
	v_mul_f64 v[166:167], v[176:177], v[168:169]
	v_fma_f64 v[166:167], v[174:175], v[182:183], -v[166:167]
	v_mul_f64 v[174:175], v[174:175], v[168:169]
	v_add_f64 v[158:159], v[158:159], -v[166:167]
	v_fma_f64 v[174:175], v[176:177], v[182:183], v[174:175]
	v_add_f64 v[160:161], v[160:161], -v[174:175]
	ds_read2_b64 v[174:177], v1 offset0:8 offset1:9
	s_waitcnt lgkmcnt(0)
	v_mul_f64 v[166:167], v[176:177], v[168:169]
	v_fma_f64 v[166:167], v[174:175], v[182:183], -v[166:167]
	v_mul_f64 v[174:175], v[174:175], v[168:169]
	v_add_f64 v[154:155], v[154:155], -v[166:167]
	v_fma_f64 v[174:175], v[176:177], v[182:183], v[174:175]
	v_add_f64 v[156:157], v[156:157], -v[174:175]
	;; [unrolled: 8-line block ×39, first 2 shown]
	ds_read2_b64 v[174:177], v1 offset0:84 offset1:85
	s_waitcnt lgkmcnt(0)
	v_mul_f64 v[166:167], v[176:177], v[168:169]
	v_fma_f64 v[166:167], v[174:175], v[182:183], -v[166:167]
	v_mul_f64 v[174:175], v[174:175], v[168:169]
	v_add_f64 v[2:3], v[2:3], -v[166:167]
	v_fma_f64 v[174:175], v[176:177], v[182:183], v[174:175]
	v_mov_b32_e32 v166, v182
	v_mov_b32_e32 v167, v183
	v_add_f64 v[4:5], v[4:5], -v[174:175]
.LBB84_62:
	s_or_b32 exec_lo, exec_lo, s0
	v_lshl_add_u32 v174, v188, 4, v1
	s_barrier
	buffer_gl0_inv
	v_mov_b32_e32 v182, 3
	ds_write2_b64 v174, v[158:159], v[160:161] offset1:1
	s_waitcnt lgkmcnt(0)
	s_barrier
	buffer_gl0_inv
	ds_read2_b64 v[174:177], v1 offset0:6 offset1:7
	s_cmp_lt_i32 s18, 5
	s_mov_b32 s1, 4
	s_cbranch_scc1 .LBB84_65
; %bb.63:
	v_add3_u32 v183, v184, 0, 64
	v_mov_b32_e32 v182, 3
	s_inst_prefetch 0x1
	.p2align	6
.LBB84_64:                              ; =>This Inner Loop Header: Depth=1
	s_waitcnt lgkmcnt(0)
	v_cmp_gt_f64_e32 vcc_lo, 0, v[176:177]
	v_cmp_gt_f64_e64 s0, 0, v[174:175]
	ds_read2_b64 v[189:192], v183 offset1:1
	v_xor_b32_e32 v194, 0x80000000, v175
	v_xor_b32_e32 v196, 0x80000000, v177
	v_mov_b32_e32 v193, v174
	v_mov_b32_e32 v195, v176
	v_add_nc_u32_e32 v183, 16, v183
	s_waitcnt lgkmcnt(0)
	v_xor_b32_e32 v198, 0x80000000, v192
	v_cndmask_b32_e64 v194, v175, v194, s0
	v_cndmask_b32_e32 v196, v177, v196, vcc_lo
	v_cmp_gt_f64_e32 vcc_lo, 0, v[191:192]
	v_cmp_gt_f64_e64 s0, 0, v[189:190]
	v_mov_b32_e32 v197, v191
	v_add_f64 v[193:194], v[193:194], v[195:196]
	v_xor_b32_e32 v196, 0x80000000, v190
	v_mov_b32_e32 v195, v189
	v_cndmask_b32_e32 v198, v192, v198, vcc_lo
	v_cndmask_b32_e64 v196, v190, v196, s0
	v_add_f64 v[195:196], v[195:196], v[197:198]
	v_cmp_lt_f64_e32 vcc_lo, v[193:194], v[195:196]
	v_cndmask_b32_e32 v175, v175, v190, vcc_lo
	v_cndmask_b32_e32 v174, v174, v189, vcc_lo
	;; [unrolled: 1-line block ×4, first 2 shown]
	v_cndmask_b32_e64 v182, v182, s1, vcc_lo
	s_add_i32 s1, s1, 1
	s_cmp_lg_u32 s18, s1
	s_cbranch_scc1 .LBB84_64
.LBB84_65:
	s_inst_prefetch 0x2
	s_waitcnt lgkmcnt(0)
	v_cmp_eq_f64_e32 vcc_lo, 0, v[174:175]
	v_cmp_eq_f64_e64 s0, 0, v[176:177]
	s_and_b32 s0, vcc_lo, s0
	s_and_saveexec_b32 s1, s0
	s_xor_b32 s0, exec_lo, s1
; %bb.66:
	v_cmp_ne_u32_e32 vcc_lo, 0, v187
	v_cndmask_b32_e32 v187, 4, v187, vcc_lo
; %bb.67:
	s_andn2_saveexec_b32 s0, s0
	s_cbranch_execz .LBB84_73
; %bb.68:
	v_cmp_ngt_f64_e64 s1, |v[174:175]|, |v[176:177]|
	s_and_saveexec_b32 s2, s1
	s_xor_b32 s1, exec_lo, s2
	s_cbranch_execz .LBB84_70
; %bb.69:
	v_div_scale_f64 v[189:190], null, v[176:177], v[176:177], v[174:175]
	v_div_scale_f64 v[195:196], vcc_lo, v[174:175], v[176:177], v[174:175]
	v_rcp_f64_e32 v[191:192], v[189:190]
	v_fma_f64 v[193:194], -v[189:190], v[191:192], 1.0
	v_fma_f64 v[191:192], v[191:192], v[193:194], v[191:192]
	v_fma_f64 v[193:194], -v[189:190], v[191:192], 1.0
	v_fma_f64 v[191:192], v[191:192], v[193:194], v[191:192]
	v_mul_f64 v[193:194], v[195:196], v[191:192]
	v_fma_f64 v[189:190], -v[189:190], v[193:194], v[195:196]
	v_div_fmas_f64 v[189:190], v[189:190], v[191:192], v[193:194]
	v_div_fixup_f64 v[189:190], v[189:190], v[176:177], v[174:175]
	v_fma_f64 v[174:175], v[174:175], v[189:190], v[176:177]
	v_div_scale_f64 v[176:177], null, v[174:175], v[174:175], 1.0
	v_rcp_f64_e32 v[191:192], v[176:177]
	v_fma_f64 v[193:194], -v[176:177], v[191:192], 1.0
	v_fma_f64 v[191:192], v[191:192], v[193:194], v[191:192]
	v_fma_f64 v[193:194], -v[176:177], v[191:192], 1.0
	v_fma_f64 v[191:192], v[191:192], v[193:194], v[191:192]
	v_div_scale_f64 v[193:194], vcc_lo, 1.0, v[174:175], 1.0
	v_mul_f64 v[195:196], v[193:194], v[191:192]
	v_fma_f64 v[176:177], -v[176:177], v[195:196], v[193:194]
	v_div_fmas_f64 v[176:177], v[176:177], v[191:192], v[195:196]
	v_div_fixup_f64 v[176:177], v[176:177], v[174:175], 1.0
	v_mul_f64 v[174:175], v[189:190], v[176:177]
	v_xor_b32_e32 v177, 0x80000000, v177
.LBB84_70:
	s_andn2_saveexec_b32 s1, s1
	s_cbranch_execz .LBB84_72
; %bb.71:
	v_div_scale_f64 v[189:190], null, v[174:175], v[174:175], v[176:177]
	v_div_scale_f64 v[195:196], vcc_lo, v[176:177], v[174:175], v[176:177]
	v_rcp_f64_e32 v[191:192], v[189:190]
	v_fma_f64 v[193:194], -v[189:190], v[191:192], 1.0
	v_fma_f64 v[191:192], v[191:192], v[193:194], v[191:192]
	v_fma_f64 v[193:194], -v[189:190], v[191:192], 1.0
	v_fma_f64 v[191:192], v[191:192], v[193:194], v[191:192]
	v_mul_f64 v[193:194], v[195:196], v[191:192]
	v_fma_f64 v[189:190], -v[189:190], v[193:194], v[195:196]
	v_div_fmas_f64 v[189:190], v[189:190], v[191:192], v[193:194]
	v_div_fixup_f64 v[189:190], v[189:190], v[174:175], v[176:177]
	v_fma_f64 v[174:175], v[176:177], v[189:190], v[174:175]
	v_div_scale_f64 v[176:177], null, v[174:175], v[174:175], 1.0
	v_rcp_f64_e32 v[191:192], v[176:177]
	v_fma_f64 v[193:194], -v[176:177], v[191:192], 1.0
	v_fma_f64 v[191:192], v[191:192], v[193:194], v[191:192]
	v_fma_f64 v[193:194], -v[176:177], v[191:192], 1.0
	v_fma_f64 v[191:192], v[191:192], v[193:194], v[191:192]
	v_div_scale_f64 v[193:194], vcc_lo, 1.0, v[174:175], 1.0
	v_mul_f64 v[195:196], v[193:194], v[191:192]
	v_fma_f64 v[176:177], -v[176:177], v[195:196], v[193:194]
	v_div_fmas_f64 v[176:177], v[176:177], v[191:192], v[195:196]
	v_div_fixup_f64 v[174:175], v[176:177], v[174:175], 1.0
	v_mul_f64 v[176:177], v[189:190], -v[174:175]
.LBB84_72:
	s_or_b32 exec_lo, exec_lo, s1
.LBB84_73:
	s_or_b32 exec_lo, exec_lo, s0
	s_mov_b32 s0, exec_lo
	v_cmpx_ne_u32_e64 v188, v182
	s_xor_b32 s0, exec_lo, s0
	s_cbranch_execz .LBB84_79
; %bb.74:
	s_mov_b32 s1, exec_lo
	v_cmpx_eq_u32_e32 3, v188
	s_cbranch_execz .LBB84_78
; %bb.75:
	v_cmp_ne_u32_e32 vcc_lo, 3, v182
	s_xor_b32 s2, s16, -1
	s_and_b32 s3, s2, vcc_lo
	s_and_saveexec_b32 s2, s3
	s_cbranch_execz .LBB84_77
; %bb.76:
	v_ashrrev_i32_e32 v183, 31, v182
	v_lshlrev_b64 v[188:189], 2, v[182:183]
	v_add_co_u32 v188, vcc_lo, v180, v188
	v_add_co_ci_u32_e64 v189, null, v181, v189, vcc_lo
	s_clause 0x1
	global_load_dword v0, v[188:189], off
	global_load_dword v183, v[180:181], off offset:12
	s_waitcnt vmcnt(1)
	global_store_dword v[180:181], v0, off offset:12
	s_waitcnt vmcnt(0)
	global_store_dword v[188:189], v183, off
.LBB84_77:
	s_or_b32 exec_lo, exec_lo, s2
	v_mov_b32_e32 v188, v182
	v_mov_b32_e32 v0, v182
.LBB84_78:
	s_or_b32 exec_lo, exec_lo, s1
.LBB84_79:
	s_andn2_saveexec_b32 s0, s0
	s_cbranch_execz .LBB84_81
; %bb.80:
	v_mov_b32_e32 v188, 3
	ds_write2_b64 v1, v[154:155], v[156:157] offset0:8 offset1:9
	ds_write2_b64 v1, v[150:151], v[152:153] offset0:10 offset1:11
	;; [unrolled: 1-line block ×39, first 2 shown]
.LBB84_81:
	s_or_b32 exec_lo, exec_lo, s0
	s_mov_b32 s0, exec_lo
	s_waitcnt lgkmcnt(0)
	s_waitcnt_vscnt null, 0x0
	s_barrier
	buffer_gl0_inv
	v_cmpx_lt_i32_e32 3, v188
	s_cbranch_execz .LBB84_83
; %bb.82:
	v_mul_f64 v[182:183], v[176:177], v[160:161]
	v_mul_f64 v[160:161], v[174:175], v[160:161]
	v_fma_f64 v[182:183], v[174:175], v[158:159], -v[182:183]
	v_fma_f64 v[160:161], v[176:177], v[158:159], v[160:161]
	ds_read2_b64 v[174:177], v1 offset0:8 offset1:9
	s_waitcnt lgkmcnt(0)
	v_mul_f64 v[158:159], v[176:177], v[160:161]
	v_fma_f64 v[158:159], v[174:175], v[182:183], -v[158:159]
	v_mul_f64 v[174:175], v[174:175], v[160:161]
	v_add_f64 v[154:155], v[154:155], -v[158:159]
	v_fma_f64 v[174:175], v[176:177], v[182:183], v[174:175]
	v_add_f64 v[156:157], v[156:157], -v[174:175]
	ds_read2_b64 v[174:177], v1 offset0:10 offset1:11
	s_waitcnt lgkmcnt(0)
	v_mul_f64 v[158:159], v[176:177], v[160:161]
	v_fma_f64 v[158:159], v[174:175], v[182:183], -v[158:159]
	v_mul_f64 v[174:175], v[174:175], v[160:161]
	v_add_f64 v[150:151], v[150:151], -v[158:159]
	v_fma_f64 v[174:175], v[176:177], v[182:183], v[174:175]
	v_add_f64 v[152:153], v[152:153], -v[174:175]
	;; [unrolled: 8-line block ×38, first 2 shown]
	ds_read2_b64 v[174:177], v1 offset0:84 offset1:85
	s_waitcnt lgkmcnt(0)
	v_mul_f64 v[158:159], v[176:177], v[160:161]
	v_fma_f64 v[158:159], v[174:175], v[182:183], -v[158:159]
	v_mul_f64 v[174:175], v[174:175], v[160:161]
	v_add_f64 v[2:3], v[2:3], -v[158:159]
	v_fma_f64 v[174:175], v[176:177], v[182:183], v[174:175]
	v_mov_b32_e32 v158, v182
	v_mov_b32_e32 v159, v183
	v_add_f64 v[4:5], v[4:5], -v[174:175]
.LBB84_83:
	s_or_b32 exec_lo, exec_lo, s0
	v_lshl_add_u32 v174, v188, 4, v1
	s_barrier
	buffer_gl0_inv
	v_mov_b32_e32 v182, 4
	ds_write2_b64 v174, v[154:155], v[156:157] offset1:1
	s_waitcnt lgkmcnt(0)
	s_barrier
	buffer_gl0_inv
	ds_read2_b64 v[174:177], v1 offset0:8 offset1:9
	s_cmp_lt_i32 s18, 6
	s_cbranch_scc1 .LBB84_86
; %bb.84:
	v_mov_b32_e32 v182, 4
	v_add3_u32 v183, v184, 0, 0x50
	s_mov_b32 s1, 5
	s_inst_prefetch 0x1
	.p2align	6
.LBB84_85:                              ; =>This Inner Loop Header: Depth=1
	s_waitcnt lgkmcnt(0)
	v_cmp_gt_f64_e32 vcc_lo, 0, v[176:177]
	v_cmp_gt_f64_e64 s0, 0, v[174:175]
	ds_read2_b64 v[189:192], v183 offset1:1
	v_xor_b32_e32 v194, 0x80000000, v175
	v_xor_b32_e32 v196, 0x80000000, v177
	v_mov_b32_e32 v193, v174
	v_mov_b32_e32 v195, v176
	v_add_nc_u32_e32 v183, 16, v183
	s_waitcnt lgkmcnt(0)
	v_xor_b32_e32 v198, 0x80000000, v192
	v_cndmask_b32_e64 v194, v175, v194, s0
	v_cndmask_b32_e32 v196, v177, v196, vcc_lo
	v_cmp_gt_f64_e32 vcc_lo, 0, v[191:192]
	v_cmp_gt_f64_e64 s0, 0, v[189:190]
	v_mov_b32_e32 v197, v191
	v_add_f64 v[193:194], v[193:194], v[195:196]
	v_xor_b32_e32 v196, 0x80000000, v190
	v_mov_b32_e32 v195, v189
	v_cndmask_b32_e32 v198, v192, v198, vcc_lo
	v_cndmask_b32_e64 v196, v190, v196, s0
	v_add_f64 v[195:196], v[195:196], v[197:198]
	v_cmp_lt_f64_e32 vcc_lo, v[193:194], v[195:196]
	v_cndmask_b32_e32 v175, v175, v190, vcc_lo
	v_cndmask_b32_e32 v174, v174, v189, vcc_lo
	;; [unrolled: 1-line block ×4, first 2 shown]
	v_cndmask_b32_e64 v182, v182, s1, vcc_lo
	s_add_i32 s1, s1, 1
	s_cmp_lg_u32 s18, s1
	s_cbranch_scc1 .LBB84_85
.LBB84_86:
	s_inst_prefetch 0x2
	s_waitcnt lgkmcnt(0)
	v_cmp_eq_f64_e32 vcc_lo, 0, v[174:175]
	v_cmp_eq_f64_e64 s0, 0, v[176:177]
	s_and_b32 s0, vcc_lo, s0
	s_and_saveexec_b32 s1, s0
	s_xor_b32 s0, exec_lo, s1
; %bb.87:
	v_cmp_ne_u32_e32 vcc_lo, 0, v187
	v_cndmask_b32_e32 v187, 5, v187, vcc_lo
; %bb.88:
	s_andn2_saveexec_b32 s0, s0
	s_cbranch_execz .LBB84_94
; %bb.89:
	v_cmp_ngt_f64_e64 s1, |v[174:175]|, |v[176:177]|
	s_and_saveexec_b32 s2, s1
	s_xor_b32 s1, exec_lo, s2
	s_cbranch_execz .LBB84_91
; %bb.90:
	v_div_scale_f64 v[189:190], null, v[176:177], v[176:177], v[174:175]
	v_div_scale_f64 v[195:196], vcc_lo, v[174:175], v[176:177], v[174:175]
	v_rcp_f64_e32 v[191:192], v[189:190]
	v_fma_f64 v[193:194], -v[189:190], v[191:192], 1.0
	v_fma_f64 v[191:192], v[191:192], v[193:194], v[191:192]
	v_fma_f64 v[193:194], -v[189:190], v[191:192], 1.0
	v_fma_f64 v[191:192], v[191:192], v[193:194], v[191:192]
	v_mul_f64 v[193:194], v[195:196], v[191:192]
	v_fma_f64 v[189:190], -v[189:190], v[193:194], v[195:196]
	v_div_fmas_f64 v[189:190], v[189:190], v[191:192], v[193:194]
	v_div_fixup_f64 v[189:190], v[189:190], v[176:177], v[174:175]
	v_fma_f64 v[174:175], v[174:175], v[189:190], v[176:177]
	v_div_scale_f64 v[176:177], null, v[174:175], v[174:175], 1.0
	v_rcp_f64_e32 v[191:192], v[176:177]
	v_fma_f64 v[193:194], -v[176:177], v[191:192], 1.0
	v_fma_f64 v[191:192], v[191:192], v[193:194], v[191:192]
	v_fma_f64 v[193:194], -v[176:177], v[191:192], 1.0
	v_fma_f64 v[191:192], v[191:192], v[193:194], v[191:192]
	v_div_scale_f64 v[193:194], vcc_lo, 1.0, v[174:175], 1.0
	v_mul_f64 v[195:196], v[193:194], v[191:192]
	v_fma_f64 v[176:177], -v[176:177], v[195:196], v[193:194]
	v_div_fmas_f64 v[176:177], v[176:177], v[191:192], v[195:196]
	v_div_fixup_f64 v[176:177], v[176:177], v[174:175], 1.0
	v_mul_f64 v[174:175], v[189:190], v[176:177]
	v_xor_b32_e32 v177, 0x80000000, v177
.LBB84_91:
	s_andn2_saveexec_b32 s1, s1
	s_cbranch_execz .LBB84_93
; %bb.92:
	v_div_scale_f64 v[189:190], null, v[174:175], v[174:175], v[176:177]
	v_div_scale_f64 v[195:196], vcc_lo, v[176:177], v[174:175], v[176:177]
	v_rcp_f64_e32 v[191:192], v[189:190]
	v_fma_f64 v[193:194], -v[189:190], v[191:192], 1.0
	v_fma_f64 v[191:192], v[191:192], v[193:194], v[191:192]
	v_fma_f64 v[193:194], -v[189:190], v[191:192], 1.0
	v_fma_f64 v[191:192], v[191:192], v[193:194], v[191:192]
	v_mul_f64 v[193:194], v[195:196], v[191:192]
	v_fma_f64 v[189:190], -v[189:190], v[193:194], v[195:196]
	v_div_fmas_f64 v[189:190], v[189:190], v[191:192], v[193:194]
	v_div_fixup_f64 v[189:190], v[189:190], v[174:175], v[176:177]
	v_fma_f64 v[174:175], v[176:177], v[189:190], v[174:175]
	v_div_scale_f64 v[176:177], null, v[174:175], v[174:175], 1.0
	v_rcp_f64_e32 v[191:192], v[176:177]
	v_fma_f64 v[193:194], -v[176:177], v[191:192], 1.0
	v_fma_f64 v[191:192], v[191:192], v[193:194], v[191:192]
	v_fma_f64 v[193:194], -v[176:177], v[191:192], 1.0
	v_fma_f64 v[191:192], v[191:192], v[193:194], v[191:192]
	v_div_scale_f64 v[193:194], vcc_lo, 1.0, v[174:175], 1.0
	v_mul_f64 v[195:196], v[193:194], v[191:192]
	v_fma_f64 v[176:177], -v[176:177], v[195:196], v[193:194]
	v_div_fmas_f64 v[176:177], v[176:177], v[191:192], v[195:196]
	v_div_fixup_f64 v[174:175], v[176:177], v[174:175], 1.0
	v_mul_f64 v[176:177], v[189:190], -v[174:175]
.LBB84_93:
	s_or_b32 exec_lo, exec_lo, s1
.LBB84_94:
	s_or_b32 exec_lo, exec_lo, s0
	s_mov_b32 s0, exec_lo
	v_cmpx_ne_u32_e64 v188, v182
	s_xor_b32 s0, exec_lo, s0
	s_cbranch_execz .LBB84_100
; %bb.95:
	s_mov_b32 s1, exec_lo
	v_cmpx_eq_u32_e32 4, v188
	s_cbranch_execz .LBB84_99
; %bb.96:
	v_cmp_ne_u32_e32 vcc_lo, 4, v182
	s_xor_b32 s2, s16, -1
	s_and_b32 s3, s2, vcc_lo
	s_and_saveexec_b32 s2, s3
	s_cbranch_execz .LBB84_98
; %bb.97:
	v_ashrrev_i32_e32 v183, 31, v182
	v_lshlrev_b64 v[188:189], 2, v[182:183]
	v_add_co_u32 v188, vcc_lo, v180, v188
	v_add_co_ci_u32_e64 v189, null, v181, v189, vcc_lo
	s_clause 0x1
	global_load_dword v0, v[188:189], off
	global_load_dword v183, v[180:181], off offset:16
	s_waitcnt vmcnt(1)
	global_store_dword v[180:181], v0, off offset:16
	s_waitcnt vmcnt(0)
	global_store_dword v[188:189], v183, off
.LBB84_98:
	s_or_b32 exec_lo, exec_lo, s2
	v_mov_b32_e32 v188, v182
	v_mov_b32_e32 v0, v182
.LBB84_99:
	s_or_b32 exec_lo, exec_lo, s1
.LBB84_100:
	s_andn2_saveexec_b32 s0, s0
	s_cbranch_execz .LBB84_102
; %bb.101:
	v_mov_b32_e32 v188, 4
	ds_write2_b64 v1, v[150:151], v[152:153] offset0:10 offset1:11
	ds_write2_b64 v1, v[146:147], v[148:149] offset0:12 offset1:13
	;; [unrolled: 1-line block ×38, first 2 shown]
.LBB84_102:
	s_or_b32 exec_lo, exec_lo, s0
	s_mov_b32 s0, exec_lo
	s_waitcnt lgkmcnt(0)
	s_waitcnt_vscnt null, 0x0
	s_barrier
	buffer_gl0_inv
	v_cmpx_lt_i32_e32 4, v188
	s_cbranch_execz .LBB84_104
; %bb.103:
	v_mul_f64 v[182:183], v[176:177], v[156:157]
	v_mul_f64 v[156:157], v[174:175], v[156:157]
	v_fma_f64 v[182:183], v[174:175], v[154:155], -v[182:183]
	v_fma_f64 v[156:157], v[176:177], v[154:155], v[156:157]
	ds_read2_b64 v[174:177], v1 offset0:10 offset1:11
	s_waitcnt lgkmcnt(0)
	v_mul_f64 v[154:155], v[176:177], v[156:157]
	v_fma_f64 v[154:155], v[174:175], v[182:183], -v[154:155]
	v_mul_f64 v[174:175], v[174:175], v[156:157]
	v_add_f64 v[150:151], v[150:151], -v[154:155]
	v_fma_f64 v[174:175], v[176:177], v[182:183], v[174:175]
	v_add_f64 v[152:153], v[152:153], -v[174:175]
	ds_read2_b64 v[174:177], v1 offset0:12 offset1:13
	s_waitcnt lgkmcnt(0)
	v_mul_f64 v[154:155], v[176:177], v[156:157]
	v_fma_f64 v[154:155], v[174:175], v[182:183], -v[154:155]
	v_mul_f64 v[174:175], v[174:175], v[156:157]
	v_add_f64 v[146:147], v[146:147], -v[154:155]
	v_fma_f64 v[174:175], v[176:177], v[182:183], v[174:175]
	v_add_f64 v[148:149], v[148:149], -v[174:175]
	;; [unrolled: 8-line block ×37, first 2 shown]
	ds_read2_b64 v[174:177], v1 offset0:84 offset1:85
	s_waitcnt lgkmcnt(0)
	v_mul_f64 v[154:155], v[176:177], v[156:157]
	v_fma_f64 v[154:155], v[174:175], v[182:183], -v[154:155]
	v_mul_f64 v[174:175], v[174:175], v[156:157]
	v_add_f64 v[2:3], v[2:3], -v[154:155]
	v_fma_f64 v[174:175], v[176:177], v[182:183], v[174:175]
	v_mov_b32_e32 v154, v182
	v_mov_b32_e32 v155, v183
	v_add_f64 v[4:5], v[4:5], -v[174:175]
.LBB84_104:
	s_or_b32 exec_lo, exec_lo, s0
	v_lshl_add_u32 v174, v188, 4, v1
	s_barrier
	buffer_gl0_inv
	v_mov_b32_e32 v182, 5
	ds_write2_b64 v174, v[150:151], v[152:153] offset1:1
	s_waitcnt lgkmcnt(0)
	s_barrier
	buffer_gl0_inv
	ds_read2_b64 v[174:177], v1 offset0:10 offset1:11
	s_cmp_lt_i32 s18, 7
	s_cbranch_scc1 .LBB84_107
; %bb.105:
	v_add3_u32 v183, v184, 0, 0x60
	v_mov_b32_e32 v182, 5
	s_mov_b32 s1, 6
	s_inst_prefetch 0x1
	.p2align	6
.LBB84_106:                             ; =>This Inner Loop Header: Depth=1
	s_waitcnt lgkmcnt(0)
	v_cmp_gt_f64_e32 vcc_lo, 0, v[176:177]
	v_cmp_gt_f64_e64 s0, 0, v[174:175]
	ds_read2_b64 v[189:192], v183 offset1:1
	v_xor_b32_e32 v194, 0x80000000, v175
	v_xor_b32_e32 v196, 0x80000000, v177
	v_mov_b32_e32 v193, v174
	v_mov_b32_e32 v195, v176
	v_add_nc_u32_e32 v183, 16, v183
	s_waitcnt lgkmcnt(0)
	v_xor_b32_e32 v198, 0x80000000, v192
	v_cndmask_b32_e64 v194, v175, v194, s0
	v_cndmask_b32_e32 v196, v177, v196, vcc_lo
	v_cmp_gt_f64_e32 vcc_lo, 0, v[191:192]
	v_cmp_gt_f64_e64 s0, 0, v[189:190]
	v_mov_b32_e32 v197, v191
	v_add_f64 v[193:194], v[193:194], v[195:196]
	v_xor_b32_e32 v196, 0x80000000, v190
	v_mov_b32_e32 v195, v189
	v_cndmask_b32_e32 v198, v192, v198, vcc_lo
	v_cndmask_b32_e64 v196, v190, v196, s0
	v_add_f64 v[195:196], v[195:196], v[197:198]
	v_cmp_lt_f64_e32 vcc_lo, v[193:194], v[195:196]
	v_cndmask_b32_e32 v175, v175, v190, vcc_lo
	v_cndmask_b32_e32 v174, v174, v189, vcc_lo
	;; [unrolled: 1-line block ×4, first 2 shown]
	v_cndmask_b32_e64 v182, v182, s1, vcc_lo
	s_add_i32 s1, s1, 1
	s_cmp_lg_u32 s18, s1
	s_cbranch_scc1 .LBB84_106
.LBB84_107:
	s_inst_prefetch 0x2
	s_waitcnt lgkmcnt(0)
	v_cmp_eq_f64_e32 vcc_lo, 0, v[174:175]
	v_cmp_eq_f64_e64 s0, 0, v[176:177]
	s_and_b32 s0, vcc_lo, s0
	s_and_saveexec_b32 s1, s0
	s_xor_b32 s0, exec_lo, s1
; %bb.108:
	v_cmp_ne_u32_e32 vcc_lo, 0, v187
	v_cndmask_b32_e32 v187, 6, v187, vcc_lo
; %bb.109:
	s_andn2_saveexec_b32 s0, s0
	s_cbranch_execz .LBB84_115
; %bb.110:
	v_cmp_ngt_f64_e64 s1, |v[174:175]|, |v[176:177]|
	s_and_saveexec_b32 s2, s1
	s_xor_b32 s1, exec_lo, s2
	s_cbranch_execz .LBB84_112
; %bb.111:
	v_div_scale_f64 v[189:190], null, v[176:177], v[176:177], v[174:175]
	v_div_scale_f64 v[195:196], vcc_lo, v[174:175], v[176:177], v[174:175]
	v_rcp_f64_e32 v[191:192], v[189:190]
	v_fma_f64 v[193:194], -v[189:190], v[191:192], 1.0
	v_fma_f64 v[191:192], v[191:192], v[193:194], v[191:192]
	v_fma_f64 v[193:194], -v[189:190], v[191:192], 1.0
	v_fma_f64 v[191:192], v[191:192], v[193:194], v[191:192]
	v_mul_f64 v[193:194], v[195:196], v[191:192]
	v_fma_f64 v[189:190], -v[189:190], v[193:194], v[195:196]
	v_div_fmas_f64 v[189:190], v[189:190], v[191:192], v[193:194]
	v_div_fixup_f64 v[189:190], v[189:190], v[176:177], v[174:175]
	v_fma_f64 v[174:175], v[174:175], v[189:190], v[176:177]
	v_div_scale_f64 v[176:177], null, v[174:175], v[174:175], 1.0
	v_rcp_f64_e32 v[191:192], v[176:177]
	v_fma_f64 v[193:194], -v[176:177], v[191:192], 1.0
	v_fma_f64 v[191:192], v[191:192], v[193:194], v[191:192]
	v_fma_f64 v[193:194], -v[176:177], v[191:192], 1.0
	v_fma_f64 v[191:192], v[191:192], v[193:194], v[191:192]
	v_div_scale_f64 v[193:194], vcc_lo, 1.0, v[174:175], 1.0
	v_mul_f64 v[195:196], v[193:194], v[191:192]
	v_fma_f64 v[176:177], -v[176:177], v[195:196], v[193:194]
	v_div_fmas_f64 v[176:177], v[176:177], v[191:192], v[195:196]
	v_div_fixup_f64 v[176:177], v[176:177], v[174:175], 1.0
	v_mul_f64 v[174:175], v[189:190], v[176:177]
	v_xor_b32_e32 v177, 0x80000000, v177
.LBB84_112:
	s_andn2_saveexec_b32 s1, s1
	s_cbranch_execz .LBB84_114
; %bb.113:
	v_div_scale_f64 v[189:190], null, v[174:175], v[174:175], v[176:177]
	v_div_scale_f64 v[195:196], vcc_lo, v[176:177], v[174:175], v[176:177]
	v_rcp_f64_e32 v[191:192], v[189:190]
	v_fma_f64 v[193:194], -v[189:190], v[191:192], 1.0
	v_fma_f64 v[191:192], v[191:192], v[193:194], v[191:192]
	v_fma_f64 v[193:194], -v[189:190], v[191:192], 1.0
	v_fma_f64 v[191:192], v[191:192], v[193:194], v[191:192]
	v_mul_f64 v[193:194], v[195:196], v[191:192]
	v_fma_f64 v[189:190], -v[189:190], v[193:194], v[195:196]
	v_div_fmas_f64 v[189:190], v[189:190], v[191:192], v[193:194]
	v_div_fixup_f64 v[189:190], v[189:190], v[174:175], v[176:177]
	v_fma_f64 v[174:175], v[176:177], v[189:190], v[174:175]
	v_div_scale_f64 v[176:177], null, v[174:175], v[174:175], 1.0
	v_rcp_f64_e32 v[191:192], v[176:177]
	v_fma_f64 v[193:194], -v[176:177], v[191:192], 1.0
	v_fma_f64 v[191:192], v[191:192], v[193:194], v[191:192]
	v_fma_f64 v[193:194], -v[176:177], v[191:192], 1.0
	v_fma_f64 v[191:192], v[191:192], v[193:194], v[191:192]
	v_div_scale_f64 v[193:194], vcc_lo, 1.0, v[174:175], 1.0
	v_mul_f64 v[195:196], v[193:194], v[191:192]
	v_fma_f64 v[176:177], -v[176:177], v[195:196], v[193:194]
	v_div_fmas_f64 v[176:177], v[176:177], v[191:192], v[195:196]
	v_div_fixup_f64 v[174:175], v[176:177], v[174:175], 1.0
	v_mul_f64 v[176:177], v[189:190], -v[174:175]
.LBB84_114:
	s_or_b32 exec_lo, exec_lo, s1
.LBB84_115:
	s_or_b32 exec_lo, exec_lo, s0
	s_mov_b32 s0, exec_lo
	v_cmpx_ne_u32_e64 v188, v182
	s_xor_b32 s0, exec_lo, s0
	s_cbranch_execz .LBB84_121
; %bb.116:
	s_mov_b32 s1, exec_lo
	v_cmpx_eq_u32_e32 5, v188
	s_cbranch_execz .LBB84_120
; %bb.117:
	v_cmp_ne_u32_e32 vcc_lo, 5, v182
	s_xor_b32 s2, s16, -1
	s_and_b32 s3, s2, vcc_lo
	s_and_saveexec_b32 s2, s3
	s_cbranch_execz .LBB84_119
; %bb.118:
	v_ashrrev_i32_e32 v183, 31, v182
	v_lshlrev_b64 v[188:189], 2, v[182:183]
	v_add_co_u32 v188, vcc_lo, v180, v188
	v_add_co_ci_u32_e64 v189, null, v181, v189, vcc_lo
	s_clause 0x1
	global_load_dword v0, v[188:189], off
	global_load_dword v183, v[180:181], off offset:20
	s_waitcnt vmcnt(1)
	global_store_dword v[180:181], v0, off offset:20
	s_waitcnt vmcnt(0)
	global_store_dword v[188:189], v183, off
.LBB84_119:
	s_or_b32 exec_lo, exec_lo, s2
	v_mov_b32_e32 v188, v182
	v_mov_b32_e32 v0, v182
.LBB84_120:
	s_or_b32 exec_lo, exec_lo, s1
.LBB84_121:
	s_andn2_saveexec_b32 s0, s0
	s_cbranch_execz .LBB84_123
; %bb.122:
	v_mov_b32_e32 v188, 5
	ds_write2_b64 v1, v[146:147], v[148:149] offset0:12 offset1:13
	ds_write2_b64 v1, v[142:143], v[144:145] offset0:14 offset1:15
	;; [unrolled: 1-line block ×37, first 2 shown]
.LBB84_123:
	s_or_b32 exec_lo, exec_lo, s0
	s_mov_b32 s0, exec_lo
	s_waitcnt lgkmcnt(0)
	s_waitcnt_vscnt null, 0x0
	s_barrier
	buffer_gl0_inv
	v_cmpx_lt_i32_e32 5, v188
	s_cbranch_execz .LBB84_125
; %bb.124:
	v_mul_f64 v[182:183], v[176:177], v[152:153]
	v_mul_f64 v[152:153], v[174:175], v[152:153]
	v_fma_f64 v[182:183], v[174:175], v[150:151], -v[182:183]
	v_fma_f64 v[152:153], v[176:177], v[150:151], v[152:153]
	ds_read2_b64 v[174:177], v1 offset0:12 offset1:13
	s_waitcnt lgkmcnt(0)
	v_mul_f64 v[150:151], v[176:177], v[152:153]
	v_fma_f64 v[150:151], v[174:175], v[182:183], -v[150:151]
	v_mul_f64 v[174:175], v[174:175], v[152:153]
	v_add_f64 v[146:147], v[146:147], -v[150:151]
	v_fma_f64 v[174:175], v[176:177], v[182:183], v[174:175]
	v_add_f64 v[148:149], v[148:149], -v[174:175]
	ds_read2_b64 v[174:177], v1 offset0:14 offset1:15
	s_waitcnt lgkmcnt(0)
	v_mul_f64 v[150:151], v[176:177], v[152:153]
	v_fma_f64 v[150:151], v[174:175], v[182:183], -v[150:151]
	v_mul_f64 v[174:175], v[174:175], v[152:153]
	v_add_f64 v[142:143], v[142:143], -v[150:151]
	v_fma_f64 v[174:175], v[176:177], v[182:183], v[174:175]
	v_add_f64 v[144:145], v[144:145], -v[174:175]
	;; [unrolled: 8-line block ×36, first 2 shown]
	ds_read2_b64 v[174:177], v1 offset0:84 offset1:85
	s_waitcnt lgkmcnt(0)
	v_mul_f64 v[150:151], v[176:177], v[152:153]
	v_fma_f64 v[150:151], v[174:175], v[182:183], -v[150:151]
	v_mul_f64 v[174:175], v[174:175], v[152:153]
	v_add_f64 v[2:3], v[2:3], -v[150:151]
	v_fma_f64 v[174:175], v[176:177], v[182:183], v[174:175]
	v_mov_b32_e32 v150, v182
	v_mov_b32_e32 v151, v183
	v_add_f64 v[4:5], v[4:5], -v[174:175]
.LBB84_125:
	s_or_b32 exec_lo, exec_lo, s0
	v_lshl_add_u32 v174, v188, 4, v1
	s_barrier
	buffer_gl0_inv
	v_mov_b32_e32 v182, 6
	ds_write2_b64 v174, v[146:147], v[148:149] offset1:1
	s_waitcnt lgkmcnt(0)
	s_barrier
	buffer_gl0_inv
	ds_read2_b64 v[174:177], v1 offset0:12 offset1:13
	s_cmp_lt_i32 s18, 8
	s_cbranch_scc1 .LBB84_128
; %bb.126:
	v_add3_u32 v183, v184, 0, 0x70
	v_mov_b32_e32 v182, 6
	s_mov_b32 s1, 7
	s_inst_prefetch 0x1
	.p2align	6
.LBB84_127:                             ; =>This Inner Loop Header: Depth=1
	s_waitcnt lgkmcnt(0)
	v_cmp_gt_f64_e32 vcc_lo, 0, v[176:177]
	v_cmp_gt_f64_e64 s0, 0, v[174:175]
	ds_read2_b64 v[189:192], v183 offset1:1
	v_xor_b32_e32 v194, 0x80000000, v175
	v_xor_b32_e32 v196, 0x80000000, v177
	v_mov_b32_e32 v193, v174
	v_mov_b32_e32 v195, v176
	v_add_nc_u32_e32 v183, 16, v183
	s_waitcnt lgkmcnt(0)
	v_xor_b32_e32 v198, 0x80000000, v192
	v_cndmask_b32_e64 v194, v175, v194, s0
	v_cndmask_b32_e32 v196, v177, v196, vcc_lo
	v_cmp_gt_f64_e32 vcc_lo, 0, v[191:192]
	v_cmp_gt_f64_e64 s0, 0, v[189:190]
	v_mov_b32_e32 v197, v191
	v_add_f64 v[193:194], v[193:194], v[195:196]
	v_xor_b32_e32 v196, 0x80000000, v190
	v_mov_b32_e32 v195, v189
	v_cndmask_b32_e32 v198, v192, v198, vcc_lo
	v_cndmask_b32_e64 v196, v190, v196, s0
	v_add_f64 v[195:196], v[195:196], v[197:198]
	v_cmp_lt_f64_e32 vcc_lo, v[193:194], v[195:196]
	v_cndmask_b32_e32 v175, v175, v190, vcc_lo
	v_cndmask_b32_e32 v174, v174, v189, vcc_lo
	v_cndmask_b32_e32 v177, v177, v192, vcc_lo
	v_cndmask_b32_e32 v176, v176, v191, vcc_lo
	v_cndmask_b32_e64 v182, v182, s1, vcc_lo
	s_add_i32 s1, s1, 1
	s_cmp_lg_u32 s18, s1
	s_cbranch_scc1 .LBB84_127
.LBB84_128:
	s_inst_prefetch 0x2
	s_waitcnt lgkmcnt(0)
	v_cmp_eq_f64_e32 vcc_lo, 0, v[174:175]
	v_cmp_eq_f64_e64 s0, 0, v[176:177]
	s_and_b32 s0, vcc_lo, s0
	s_and_saveexec_b32 s1, s0
	s_xor_b32 s0, exec_lo, s1
; %bb.129:
	v_cmp_ne_u32_e32 vcc_lo, 0, v187
	v_cndmask_b32_e32 v187, 7, v187, vcc_lo
; %bb.130:
	s_andn2_saveexec_b32 s0, s0
	s_cbranch_execz .LBB84_136
; %bb.131:
	v_cmp_ngt_f64_e64 s1, |v[174:175]|, |v[176:177]|
	s_and_saveexec_b32 s2, s1
	s_xor_b32 s1, exec_lo, s2
	s_cbranch_execz .LBB84_133
; %bb.132:
	v_div_scale_f64 v[189:190], null, v[176:177], v[176:177], v[174:175]
	v_div_scale_f64 v[195:196], vcc_lo, v[174:175], v[176:177], v[174:175]
	v_rcp_f64_e32 v[191:192], v[189:190]
	v_fma_f64 v[193:194], -v[189:190], v[191:192], 1.0
	v_fma_f64 v[191:192], v[191:192], v[193:194], v[191:192]
	v_fma_f64 v[193:194], -v[189:190], v[191:192], 1.0
	v_fma_f64 v[191:192], v[191:192], v[193:194], v[191:192]
	v_mul_f64 v[193:194], v[195:196], v[191:192]
	v_fma_f64 v[189:190], -v[189:190], v[193:194], v[195:196]
	v_div_fmas_f64 v[189:190], v[189:190], v[191:192], v[193:194]
	v_div_fixup_f64 v[189:190], v[189:190], v[176:177], v[174:175]
	v_fma_f64 v[174:175], v[174:175], v[189:190], v[176:177]
	v_div_scale_f64 v[176:177], null, v[174:175], v[174:175], 1.0
	v_rcp_f64_e32 v[191:192], v[176:177]
	v_fma_f64 v[193:194], -v[176:177], v[191:192], 1.0
	v_fma_f64 v[191:192], v[191:192], v[193:194], v[191:192]
	v_fma_f64 v[193:194], -v[176:177], v[191:192], 1.0
	v_fma_f64 v[191:192], v[191:192], v[193:194], v[191:192]
	v_div_scale_f64 v[193:194], vcc_lo, 1.0, v[174:175], 1.0
	v_mul_f64 v[195:196], v[193:194], v[191:192]
	v_fma_f64 v[176:177], -v[176:177], v[195:196], v[193:194]
	v_div_fmas_f64 v[176:177], v[176:177], v[191:192], v[195:196]
	v_div_fixup_f64 v[176:177], v[176:177], v[174:175], 1.0
	v_mul_f64 v[174:175], v[189:190], v[176:177]
	v_xor_b32_e32 v177, 0x80000000, v177
.LBB84_133:
	s_andn2_saveexec_b32 s1, s1
	s_cbranch_execz .LBB84_135
; %bb.134:
	v_div_scale_f64 v[189:190], null, v[174:175], v[174:175], v[176:177]
	v_div_scale_f64 v[195:196], vcc_lo, v[176:177], v[174:175], v[176:177]
	v_rcp_f64_e32 v[191:192], v[189:190]
	v_fma_f64 v[193:194], -v[189:190], v[191:192], 1.0
	v_fma_f64 v[191:192], v[191:192], v[193:194], v[191:192]
	v_fma_f64 v[193:194], -v[189:190], v[191:192], 1.0
	v_fma_f64 v[191:192], v[191:192], v[193:194], v[191:192]
	v_mul_f64 v[193:194], v[195:196], v[191:192]
	v_fma_f64 v[189:190], -v[189:190], v[193:194], v[195:196]
	v_div_fmas_f64 v[189:190], v[189:190], v[191:192], v[193:194]
	v_div_fixup_f64 v[189:190], v[189:190], v[174:175], v[176:177]
	v_fma_f64 v[174:175], v[176:177], v[189:190], v[174:175]
	v_div_scale_f64 v[176:177], null, v[174:175], v[174:175], 1.0
	v_rcp_f64_e32 v[191:192], v[176:177]
	v_fma_f64 v[193:194], -v[176:177], v[191:192], 1.0
	v_fma_f64 v[191:192], v[191:192], v[193:194], v[191:192]
	v_fma_f64 v[193:194], -v[176:177], v[191:192], 1.0
	v_fma_f64 v[191:192], v[191:192], v[193:194], v[191:192]
	v_div_scale_f64 v[193:194], vcc_lo, 1.0, v[174:175], 1.0
	v_mul_f64 v[195:196], v[193:194], v[191:192]
	v_fma_f64 v[176:177], -v[176:177], v[195:196], v[193:194]
	v_div_fmas_f64 v[176:177], v[176:177], v[191:192], v[195:196]
	v_div_fixup_f64 v[174:175], v[176:177], v[174:175], 1.0
	v_mul_f64 v[176:177], v[189:190], -v[174:175]
.LBB84_135:
	s_or_b32 exec_lo, exec_lo, s1
.LBB84_136:
	s_or_b32 exec_lo, exec_lo, s0
	s_mov_b32 s0, exec_lo
	v_cmpx_ne_u32_e64 v188, v182
	s_xor_b32 s0, exec_lo, s0
	s_cbranch_execz .LBB84_142
; %bb.137:
	s_mov_b32 s1, exec_lo
	v_cmpx_eq_u32_e32 6, v188
	s_cbranch_execz .LBB84_141
; %bb.138:
	v_cmp_ne_u32_e32 vcc_lo, 6, v182
	s_xor_b32 s2, s16, -1
	s_and_b32 s3, s2, vcc_lo
	s_and_saveexec_b32 s2, s3
	s_cbranch_execz .LBB84_140
; %bb.139:
	v_ashrrev_i32_e32 v183, 31, v182
	v_lshlrev_b64 v[188:189], 2, v[182:183]
	v_add_co_u32 v188, vcc_lo, v180, v188
	v_add_co_ci_u32_e64 v189, null, v181, v189, vcc_lo
	s_clause 0x1
	global_load_dword v0, v[188:189], off
	global_load_dword v183, v[180:181], off offset:24
	s_waitcnt vmcnt(1)
	global_store_dword v[180:181], v0, off offset:24
	s_waitcnt vmcnt(0)
	global_store_dword v[188:189], v183, off
.LBB84_140:
	s_or_b32 exec_lo, exec_lo, s2
	v_mov_b32_e32 v188, v182
	v_mov_b32_e32 v0, v182
.LBB84_141:
	s_or_b32 exec_lo, exec_lo, s1
.LBB84_142:
	s_andn2_saveexec_b32 s0, s0
	s_cbranch_execz .LBB84_144
; %bb.143:
	v_mov_b32_e32 v188, 6
	ds_write2_b64 v1, v[142:143], v[144:145] offset0:14 offset1:15
	ds_write2_b64 v1, v[138:139], v[140:141] offset0:16 offset1:17
	ds_write2_b64 v1, v[134:135], v[136:137] offset0:18 offset1:19
	ds_write2_b64 v1, v[130:131], v[132:133] offset0:20 offset1:21
	ds_write2_b64 v1, v[126:127], v[128:129] offset0:22 offset1:23
	ds_write2_b64 v1, v[122:123], v[124:125] offset0:24 offset1:25
	ds_write2_b64 v1, v[118:119], v[120:121] offset0:26 offset1:27
	ds_write2_b64 v1, v[114:115], v[116:117] offset0:28 offset1:29
	ds_write2_b64 v1, v[110:111], v[112:113] offset0:30 offset1:31
	ds_write2_b64 v1, v[106:107], v[108:109] offset0:32 offset1:33
	ds_write2_b64 v1, v[102:103], v[104:105] offset0:34 offset1:35
	ds_write2_b64 v1, v[98:99], v[100:101] offset0:36 offset1:37
	ds_write2_b64 v1, v[94:95], v[96:97] offset0:38 offset1:39
	ds_write2_b64 v1, v[90:91], v[92:93] offset0:40 offset1:41
	ds_write2_b64 v1, v[86:87], v[88:89] offset0:42 offset1:43
	ds_write2_b64 v1, v[82:83], v[84:85] offset0:44 offset1:45
	ds_write2_b64 v1, v[78:79], v[80:81] offset0:46 offset1:47
	ds_write2_b64 v1, v[74:75], v[76:77] offset0:48 offset1:49
	ds_write2_b64 v1, v[70:71], v[72:73] offset0:50 offset1:51
	ds_write2_b64 v1, v[66:67], v[68:69] offset0:52 offset1:53
	ds_write2_b64 v1, v[62:63], v[64:65] offset0:54 offset1:55
	ds_write2_b64 v1, v[58:59], v[60:61] offset0:56 offset1:57
	ds_write2_b64 v1, v[54:55], v[56:57] offset0:58 offset1:59
	ds_write2_b64 v1, v[50:51], v[52:53] offset0:60 offset1:61
	ds_write2_b64 v1, v[46:47], v[48:49] offset0:62 offset1:63
	ds_write2_b64 v1, v[42:43], v[44:45] offset0:64 offset1:65
	ds_write2_b64 v1, v[38:39], v[40:41] offset0:66 offset1:67
	ds_write2_b64 v1, v[34:35], v[36:37] offset0:68 offset1:69
	ds_write2_b64 v1, v[30:31], v[32:33] offset0:70 offset1:71
	ds_write2_b64 v1, v[26:27], v[28:29] offset0:72 offset1:73
	ds_write2_b64 v1, v[22:23], v[24:25] offset0:74 offset1:75
	ds_write2_b64 v1, v[18:19], v[20:21] offset0:76 offset1:77
	ds_write2_b64 v1, v[14:15], v[16:17] offset0:78 offset1:79
	ds_write2_b64 v1, v[10:11], v[12:13] offset0:80 offset1:81
	ds_write2_b64 v1, v[6:7], v[8:9] offset0:82 offset1:83
	ds_write2_b64 v1, v[2:3], v[4:5] offset0:84 offset1:85
.LBB84_144:
	s_or_b32 exec_lo, exec_lo, s0
	s_mov_b32 s0, exec_lo
	s_waitcnt lgkmcnt(0)
	s_waitcnt_vscnt null, 0x0
	s_barrier
	buffer_gl0_inv
	v_cmpx_lt_i32_e32 6, v188
	s_cbranch_execz .LBB84_146
; %bb.145:
	v_mul_f64 v[182:183], v[176:177], v[148:149]
	v_mul_f64 v[148:149], v[174:175], v[148:149]
	v_fma_f64 v[182:183], v[174:175], v[146:147], -v[182:183]
	v_fma_f64 v[148:149], v[176:177], v[146:147], v[148:149]
	ds_read2_b64 v[174:177], v1 offset0:14 offset1:15
	s_waitcnt lgkmcnt(0)
	v_mul_f64 v[146:147], v[176:177], v[148:149]
	v_fma_f64 v[146:147], v[174:175], v[182:183], -v[146:147]
	v_mul_f64 v[174:175], v[174:175], v[148:149]
	v_add_f64 v[142:143], v[142:143], -v[146:147]
	v_fma_f64 v[174:175], v[176:177], v[182:183], v[174:175]
	v_add_f64 v[144:145], v[144:145], -v[174:175]
	ds_read2_b64 v[174:177], v1 offset0:16 offset1:17
	s_waitcnt lgkmcnt(0)
	v_mul_f64 v[146:147], v[176:177], v[148:149]
	v_fma_f64 v[146:147], v[174:175], v[182:183], -v[146:147]
	v_mul_f64 v[174:175], v[174:175], v[148:149]
	v_add_f64 v[138:139], v[138:139], -v[146:147]
	v_fma_f64 v[174:175], v[176:177], v[182:183], v[174:175]
	v_add_f64 v[140:141], v[140:141], -v[174:175]
	;; [unrolled: 8-line block ×35, first 2 shown]
	ds_read2_b64 v[174:177], v1 offset0:84 offset1:85
	s_waitcnt lgkmcnt(0)
	v_mul_f64 v[146:147], v[176:177], v[148:149]
	v_fma_f64 v[146:147], v[174:175], v[182:183], -v[146:147]
	v_mul_f64 v[174:175], v[174:175], v[148:149]
	v_add_f64 v[2:3], v[2:3], -v[146:147]
	v_fma_f64 v[174:175], v[176:177], v[182:183], v[174:175]
	v_mov_b32_e32 v146, v182
	v_mov_b32_e32 v147, v183
	v_add_f64 v[4:5], v[4:5], -v[174:175]
.LBB84_146:
	s_or_b32 exec_lo, exec_lo, s0
	v_lshl_add_u32 v174, v188, 4, v1
	s_barrier
	buffer_gl0_inv
	v_mov_b32_e32 v182, 7
	ds_write2_b64 v174, v[142:143], v[144:145] offset1:1
	s_waitcnt lgkmcnt(0)
	s_barrier
	buffer_gl0_inv
	ds_read2_b64 v[174:177], v1 offset0:14 offset1:15
	s_cmp_lt_i32 s18, 9
	s_cbranch_scc1 .LBB84_149
; %bb.147:
	v_add3_u32 v183, v184, 0, 0x80
	v_mov_b32_e32 v182, 7
	s_mov_b32 s1, 8
	s_inst_prefetch 0x1
	.p2align	6
.LBB84_148:                             ; =>This Inner Loop Header: Depth=1
	s_waitcnt lgkmcnt(0)
	v_cmp_gt_f64_e32 vcc_lo, 0, v[176:177]
	v_cmp_gt_f64_e64 s0, 0, v[174:175]
	ds_read2_b64 v[189:192], v183 offset1:1
	v_xor_b32_e32 v194, 0x80000000, v175
	v_xor_b32_e32 v196, 0x80000000, v177
	v_mov_b32_e32 v193, v174
	v_mov_b32_e32 v195, v176
	v_add_nc_u32_e32 v183, 16, v183
	s_waitcnt lgkmcnt(0)
	v_xor_b32_e32 v198, 0x80000000, v192
	v_cndmask_b32_e64 v194, v175, v194, s0
	v_cndmask_b32_e32 v196, v177, v196, vcc_lo
	v_cmp_gt_f64_e32 vcc_lo, 0, v[191:192]
	v_cmp_gt_f64_e64 s0, 0, v[189:190]
	v_mov_b32_e32 v197, v191
	v_add_f64 v[193:194], v[193:194], v[195:196]
	v_xor_b32_e32 v196, 0x80000000, v190
	v_mov_b32_e32 v195, v189
	v_cndmask_b32_e32 v198, v192, v198, vcc_lo
	v_cndmask_b32_e64 v196, v190, v196, s0
	v_add_f64 v[195:196], v[195:196], v[197:198]
	v_cmp_lt_f64_e32 vcc_lo, v[193:194], v[195:196]
	v_cndmask_b32_e32 v175, v175, v190, vcc_lo
	v_cndmask_b32_e32 v174, v174, v189, vcc_lo
	;; [unrolled: 1-line block ×4, first 2 shown]
	v_cndmask_b32_e64 v182, v182, s1, vcc_lo
	s_add_i32 s1, s1, 1
	s_cmp_lg_u32 s18, s1
	s_cbranch_scc1 .LBB84_148
.LBB84_149:
	s_inst_prefetch 0x2
	s_waitcnt lgkmcnt(0)
	v_cmp_eq_f64_e32 vcc_lo, 0, v[174:175]
	v_cmp_eq_f64_e64 s0, 0, v[176:177]
	s_and_b32 s0, vcc_lo, s0
	s_and_saveexec_b32 s1, s0
	s_xor_b32 s0, exec_lo, s1
; %bb.150:
	v_cmp_ne_u32_e32 vcc_lo, 0, v187
	v_cndmask_b32_e32 v187, 8, v187, vcc_lo
; %bb.151:
	s_andn2_saveexec_b32 s0, s0
	s_cbranch_execz .LBB84_157
; %bb.152:
	v_cmp_ngt_f64_e64 s1, |v[174:175]|, |v[176:177]|
	s_and_saveexec_b32 s2, s1
	s_xor_b32 s1, exec_lo, s2
	s_cbranch_execz .LBB84_154
; %bb.153:
	v_div_scale_f64 v[189:190], null, v[176:177], v[176:177], v[174:175]
	v_div_scale_f64 v[195:196], vcc_lo, v[174:175], v[176:177], v[174:175]
	v_rcp_f64_e32 v[191:192], v[189:190]
	v_fma_f64 v[193:194], -v[189:190], v[191:192], 1.0
	v_fma_f64 v[191:192], v[191:192], v[193:194], v[191:192]
	v_fma_f64 v[193:194], -v[189:190], v[191:192], 1.0
	v_fma_f64 v[191:192], v[191:192], v[193:194], v[191:192]
	v_mul_f64 v[193:194], v[195:196], v[191:192]
	v_fma_f64 v[189:190], -v[189:190], v[193:194], v[195:196]
	v_div_fmas_f64 v[189:190], v[189:190], v[191:192], v[193:194]
	v_div_fixup_f64 v[189:190], v[189:190], v[176:177], v[174:175]
	v_fma_f64 v[174:175], v[174:175], v[189:190], v[176:177]
	v_div_scale_f64 v[176:177], null, v[174:175], v[174:175], 1.0
	v_rcp_f64_e32 v[191:192], v[176:177]
	v_fma_f64 v[193:194], -v[176:177], v[191:192], 1.0
	v_fma_f64 v[191:192], v[191:192], v[193:194], v[191:192]
	v_fma_f64 v[193:194], -v[176:177], v[191:192], 1.0
	v_fma_f64 v[191:192], v[191:192], v[193:194], v[191:192]
	v_div_scale_f64 v[193:194], vcc_lo, 1.0, v[174:175], 1.0
	v_mul_f64 v[195:196], v[193:194], v[191:192]
	v_fma_f64 v[176:177], -v[176:177], v[195:196], v[193:194]
	v_div_fmas_f64 v[176:177], v[176:177], v[191:192], v[195:196]
	v_div_fixup_f64 v[176:177], v[176:177], v[174:175], 1.0
	v_mul_f64 v[174:175], v[189:190], v[176:177]
	v_xor_b32_e32 v177, 0x80000000, v177
.LBB84_154:
	s_andn2_saveexec_b32 s1, s1
	s_cbranch_execz .LBB84_156
; %bb.155:
	v_div_scale_f64 v[189:190], null, v[174:175], v[174:175], v[176:177]
	v_div_scale_f64 v[195:196], vcc_lo, v[176:177], v[174:175], v[176:177]
	v_rcp_f64_e32 v[191:192], v[189:190]
	v_fma_f64 v[193:194], -v[189:190], v[191:192], 1.0
	v_fma_f64 v[191:192], v[191:192], v[193:194], v[191:192]
	v_fma_f64 v[193:194], -v[189:190], v[191:192], 1.0
	v_fma_f64 v[191:192], v[191:192], v[193:194], v[191:192]
	v_mul_f64 v[193:194], v[195:196], v[191:192]
	v_fma_f64 v[189:190], -v[189:190], v[193:194], v[195:196]
	v_div_fmas_f64 v[189:190], v[189:190], v[191:192], v[193:194]
	v_div_fixup_f64 v[189:190], v[189:190], v[174:175], v[176:177]
	v_fma_f64 v[174:175], v[176:177], v[189:190], v[174:175]
	v_div_scale_f64 v[176:177], null, v[174:175], v[174:175], 1.0
	v_rcp_f64_e32 v[191:192], v[176:177]
	v_fma_f64 v[193:194], -v[176:177], v[191:192], 1.0
	v_fma_f64 v[191:192], v[191:192], v[193:194], v[191:192]
	v_fma_f64 v[193:194], -v[176:177], v[191:192], 1.0
	v_fma_f64 v[191:192], v[191:192], v[193:194], v[191:192]
	v_div_scale_f64 v[193:194], vcc_lo, 1.0, v[174:175], 1.0
	v_mul_f64 v[195:196], v[193:194], v[191:192]
	v_fma_f64 v[176:177], -v[176:177], v[195:196], v[193:194]
	v_div_fmas_f64 v[176:177], v[176:177], v[191:192], v[195:196]
	v_div_fixup_f64 v[174:175], v[176:177], v[174:175], 1.0
	v_mul_f64 v[176:177], v[189:190], -v[174:175]
.LBB84_156:
	s_or_b32 exec_lo, exec_lo, s1
.LBB84_157:
	s_or_b32 exec_lo, exec_lo, s0
	s_mov_b32 s0, exec_lo
	v_cmpx_ne_u32_e64 v188, v182
	s_xor_b32 s0, exec_lo, s0
	s_cbranch_execz .LBB84_163
; %bb.158:
	s_mov_b32 s1, exec_lo
	v_cmpx_eq_u32_e32 7, v188
	s_cbranch_execz .LBB84_162
; %bb.159:
	v_cmp_ne_u32_e32 vcc_lo, 7, v182
	s_xor_b32 s2, s16, -1
	s_and_b32 s3, s2, vcc_lo
	s_and_saveexec_b32 s2, s3
	s_cbranch_execz .LBB84_161
; %bb.160:
	v_ashrrev_i32_e32 v183, 31, v182
	v_lshlrev_b64 v[188:189], 2, v[182:183]
	v_add_co_u32 v188, vcc_lo, v180, v188
	v_add_co_ci_u32_e64 v189, null, v181, v189, vcc_lo
	s_clause 0x1
	global_load_dword v0, v[188:189], off
	global_load_dword v183, v[180:181], off offset:28
	s_waitcnt vmcnt(1)
	global_store_dword v[180:181], v0, off offset:28
	s_waitcnt vmcnt(0)
	global_store_dword v[188:189], v183, off
.LBB84_161:
	s_or_b32 exec_lo, exec_lo, s2
	v_mov_b32_e32 v188, v182
	v_mov_b32_e32 v0, v182
.LBB84_162:
	s_or_b32 exec_lo, exec_lo, s1
.LBB84_163:
	s_andn2_saveexec_b32 s0, s0
	s_cbranch_execz .LBB84_165
; %bb.164:
	v_mov_b32_e32 v188, 7
	ds_write2_b64 v1, v[138:139], v[140:141] offset0:16 offset1:17
	ds_write2_b64 v1, v[134:135], v[136:137] offset0:18 offset1:19
	;; [unrolled: 1-line block ×35, first 2 shown]
.LBB84_165:
	s_or_b32 exec_lo, exec_lo, s0
	s_mov_b32 s0, exec_lo
	s_waitcnt lgkmcnt(0)
	s_waitcnt_vscnt null, 0x0
	s_barrier
	buffer_gl0_inv
	v_cmpx_lt_i32_e32 7, v188
	s_cbranch_execz .LBB84_167
; %bb.166:
	v_mul_f64 v[182:183], v[176:177], v[144:145]
	v_mul_f64 v[144:145], v[174:175], v[144:145]
	v_fma_f64 v[182:183], v[174:175], v[142:143], -v[182:183]
	v_fma_f64 v[144:145], v[176:177], v[142:143], v[144:145]
	ds_read2_b64 v[174:177], v1 offset0:16 offset1:17
	s_waitcnt lgkmcnt(0)
	v_mul_f64 v[142:143], v[176:177], v[144:145]
	v_fma_f64 v[142:143], v[174:175], v[182:183], -v[142:143]
	v_mul_f64 v[174:175], v[174:175], v[144:145]
	v_add_f64 v[138:139], v[138:139], -v[142:143]
	v_fma_f64 v[174:175], v[176:177], v[182:183], v[174:175]
	v_add_f64 v[140:141], v[140:141], -v[174:175]
	ds_read2_b64 v[174:177], v1 offset0:18 offset1:19
	s_waitcnt lgkmcnt(0)
	v_mul_f64 v[142:143], v[176:177], v[144:145]
	v_fma_f64 v[142:143], v[174:175], v[182:183], -v[142:143]
	v_mul_f64 v[174:175], v[174:175], v[144:145]
	v_add_f64 v[134:135], v[134:135], -v[142:143]
	v_fma_f64 v[174:175], v[176:177], v[182:183], v[174:175]
	v_add_f64 v[136:137], v[136:137], -v[174:175]
	;; [unrolled: 8-line block ×34, first 2 shown]
	ds_read2_b64 v[174:177], v1 offset0:84 offset1:85
	s_waitcnt lgkmcnt(0)
	v_mul_f64 v[142:143], v[176:177], v[144:145]
	v_fma_f64 v[142:143], v[174:175], v[182:183], -v[142:143]
	v_mul_f64 v[174:175], v[174:175], v[144:145]
	v_add_f64 v[2:3], v[2:3], -v[142:143]
	v_fma_f64 v[174:175], v[176:177], v[182:183], v[174:175]
	v_mov_b32_e32 v142, v182
	v_mov_b32_e32 v143, v183
	v_add_f64 v[4:5], v[4:5], -v[174:175]
.LBB84_167:
	s_or_b32 exec_lo, exec_lo, s0
	v_lshl_add_u32 v174, v188, 4, v1
	s_barrier
	buffer_gl0_inv
	v_mov_b32_e32 v182, 8
	ds_write2_b64 v174, v[138:139], v[140:141] offset1:1
	s_waitcnt lgkmcnt(0)
	s_barrier
	buffer_gl0_inv
	ds_read2_b64 v[174:177], v1 offset0:16 offset1:17
	s_cmp_lt_i32 s18, 10
	s_cbranch_scc1 .LBB84_170
; %bb.168:
	v_add3_u32 v183, v184, 0, 0x90
	v_mov_b32_e32 v182, 8
	s_mov_b32 s1, 9
	s_inst_prefetch 0x1
	.p2align	6
.LBB84_169:                             ; =>This Inner Loop Header: Depth=1
	s_waitcnt lgkmcnt(0)
	v_cmp_gt_f64_e32 vcc_lo, 0, v[176:177]
	v_cmp_gt_f64_e64 s0, 0, v[174:175]
	ds_read2_b64 v[189:192], v183 offset1:1
	v_xor_b32_e32 v194, 0x80000000, v175
	v_xor_b32_e32 v196, 0x80000000, v177
	v_mov_b32_e32 v193, v174
	v_mov_b32_e32 v195, v176
	v_add_nc_u32_e32 v183, 16, v183
	s_waitcnt lgkmcnt(0)
	v_xor_b32_e32 v198, 0x80000000, v192
	v_cndmask_b32_e64 v194, v175, v194, s0
	v_cndmask_b32_e32 v196, v177, v196, vcc_lo
	v_cmp_gt_f64_e32 vcc_lo, 0, v[191:192]
	v_cmp_gt_f64_e64 s0, 0, v[189:190]
	v_mov_b32_e32 v197, v191
	v_add_f64 v[193:194], v[193:194], v[195:196]
	v_xor_b32_e32 v196, 0x80000000, v190
	v_mov_b32_e32 v195, v189
	v_cndmask_b32_e32 v198, v192, v198, vcc_lo
	v_cndmask_b32_e64 v196, v190, v196, s0
	v_add_f64 v[195:196], v[195:196], v[197:198]
	v_cmp_lt_f64_e32 vcc_lo, v[193:194], v[195:196]
	v_cndmask_b32_e32 v175, v175, v190, vcc_lo
	v_cndmask_b32_e32 v174, v174, v189, vcc_lo
	;; [unrolled: 1-line block ×4, first 2 shown]
	v_cndmask_b32_e64 v182, v182, s1, vcc_lo
	s_add_i32 s1, s1, 1
	s_cmp_lg_u32 s18, s1
	s_cbranch_scc1 .LBB84_169
.LBB84_170:
	s_inst_prefetch 0x2
	s_waitcnt lgkmcnt(0)
	v_cmp_eq_f64_e32 vcc_lo, 0, v[174:175]
	v_cmp_eq_f64_e64 s0, 0, v[176:177]
	s_and_b32 s0, vcc_lo, s0
	s_and_saveexec_b32 s1, s0
	s_xor_b32 s0, exec_lo, s1
; %bb.171:
	v_cmp_ne_u32_e32 vcc_lo, 0, v187
	v_cndmask_b32_e32 v187, 9, v187, vcc_lo
; %bb.172:
	s_andn2_saveexec_b32 s0, s0
	s_cbranch_execz .LBB84_178
; %bb.173:
	v_cmp_ngt_f64_e64 s1, |v[174:175]|, |v[176:177]|
	s_and_saveexec_b32 s2, s1
	s_xor_b32 s1, exec_lo, s2
	s_cbranch_execz .LBB84_175
; %bb.174:
	v_div_scale_f64 v[189:190], null, v[176:177], v[176:177], v[174:175]
	v_div_scale_f64 v[195:196], vcc_lo, v[174:175], v[176:177], v[174:175]
	v_rcp_f64_e32 v[191:192], v[189:190]
	v_fma_f64 v[193:194], -v[189:190], v[191:192], 1.0
	v_fma_f64 v[191:192], v[191:192], v[193:194], v[191:192]
	v_fma_f64 v[193:194], -v[189:190], v[191:192], 1.0
	v_fma_f64 v[191:192], v[191:192], v[193:194], v[191:192]
	v_mul_f64 v[193:194], v[195:196], v[191:192]
	v_fma_f64 v[189:190], -v[189:190], v[193:194], v[195:196]
	v_div_fmas_f64 v[189:190], v[189:190], v[191:192], v[193:194]
	v_div_fixup_f64 v[189:190], v[189:190], v[176:177], v[174:175]
	v_fma_f64 v[174:175], v[174:175], v[189:190], v[176:177]
	v_div_scale_f64 v[176:177], null, v[174:175], v[174:175], 1.0
	v_rcp_f64_e32 v[191:192], v[176:177]
	v_fma_f64 v[193:194], -v[176:177], v[191:192], 1.0
	v_fma_f64 v[191:192], v[191:192], v[193:194], v[191:192]
	v_fma_f64 v[193:194], -v[176:177], v[191:192], 1.0
	v_fma_f64 v[191:192], v[191:192], v[193:194], v[191:192]
	v_div_scale_f64 v[193:194], vcc_lo, 1.0, v[174:175], 1.0
	v_mul_f64 v[195:196], v[193:194], v[191:192]
	v_fma_f64 v[176:177], -v[176:177], v[195:196], v[193:194]
	v_div_fmas_f64 v[176:177], v[176:177], v[191:192], v[195:196]
	v_div_fixup_f64 v[176:177], v[176:177], v[174:175], 1.0
	v_mul_f64 v[174:175], v[189:190], v[176:177]
	v_xor_b32_e32 v177, 0x80000000, v177
.LBB84_175:
	s_andn2_saveexec_b32 s1, s1
	s_cbranch_execz .LBB84_177
; %bb.176:
	v_div_scale_f64 v[189:190], null, v[174:175], v[174:175], v[176:177]
	v_div_scale_f64 v[195:196], vcc_lo, v[176:177], v[174:175], v[176:177]
	v_rcp_f64_e32 v[191:192], v[189:190]
	v_fma_f64 v[193:194], -v[189:190], v[191:192], 1.0
	v_fma_f64 v[191:192], v[191:192], v[193:194], v[191:192]
	v_fma_f64 v[193:194], -v[189:190], v[191:192], 1.0
	v_fma_f64 v[191:192], v[191:192], v[193:194], v[191:192]
	v_mul_f64 v[193:194], v[195:196], v[191:192]
	v_fma_f64 v[189:190], -v[189:190], v[193:194], v[195:196]
	v_div_fmas_f64 v[189:190], v[189:190], v[191:192], v[193:194]
	v_div_fixup_f64 v[189:190], v[189:190], v[174:175], v[176:177]
	v_fma_f64 v[174:175], v[176:177], v[189:190], v[174:175]
	v_div_scale_f64 v[176:177], null, v[174:175], v[174:175], 1.0
	v_rcp_f64_e32 v[191:192], v[176:177]
	v_fma_f64 v[193:194], -v[176:177], v[191:192], 1.0
	v_fma_f64 v[191:192], v[191:192], v[193:194], v[191:192]
	v_fma_f64 v[193:194], -v[176:177], v[191:192], 1.0
	v_fma_f64 v[191:192], v[191:192], v[193:194], v[191:192]
	v_div_scale_f64 v[193:194], vcc_lo, 1.0, v[174:175], 1.0
	v_mul_f64 v[195:196], v[193:194], v[191:192]
	v_fma_f64 v[176:177], -v[176:177], v[195:196], v[193:194]
	v_div_fmas_f64 v[176:177], v[176:177], v[191:192], v[195:196]
	v_div_fixup_f64 v[174:175], v[176:177], v[174:175], 1.0
	v_mul_f64 v[176:177], v[189:190], -v[174:175]
.LBB84_177:
	s_or_b32 exec_lo, exec_lo, s1
.LBB84_178:
	s_or_b32 exec_lo, exec_lo, s0
	s_mov_b32 s0, exec_lo
	v_cmpx_ne_u32_e64 v188, v182
	s_xor_b32 s0, exec_lo, s0
	s_cbranch_execz .LBB84_184
; %bb.179:
	s_mov_b32 s1, exec_lo
	v_cmpx_eq_u32_e32 8, v188
	s_cbranch_execz .LBB84_183
; %bb.180:
	v_cmp_ne_u32_e32 vcc_lo, 8, v182
	s_xor_b32 s2, s16, -1
	s_and_b32 s3, s2, vcc_lo
	s_and_saveexec_b32 s2, s3
	s_cbranch_execz .LBB84_182
; %bb.181:
	v_ashrrev_i32_e32 v183, 31, v182
	v_lshlrev_b64 v[188:189], 2, v[182:183]
	v_add_co_u32 v188, vcc_lo, v180, v188
	v_add_co_ci_u32_e64 v189, null, v181, v189, vcc_lo
	s_clause 0x1
	global_load_dword v0, v[188:189], off
	global_load_dword v183, v[180:181], off offset:32
	s_waitcnt vmcnt(1)
	global_store_dword v[180:181], v0, off offset:32
	s_waitcnt vmcnt(0)
	global_store_dword v[188:189], v183, off
.LBB84_182:
	s_or_b32 exec_lo, exec_lo, s2
	v_mov_b32_e32 v188, v182
	v_mov_b32_e32 v0, v182
.LBB84_183:
	s_or_b32 exec_lo, exec_lo, s1
.LBB84_184:
	s_andn2_saveexec_b32 s0, s0
	s_cbranch_execz .LBB84_186
; %bb.185:
	v_mov_b32_e32 v188, 8
	ds_write2_b64 v1, v[134:135], v[136:137] offset0:18 offset1:19
	ds_write2_b64 v1, v[130:131], v[132:133] offset0:20 offset1:21
	;; [unrolled: 1-line block ×34, first 2 shown]
.LBB84_186:
	s_or_b32 exec_lo, exec_lo, s0
	s_mov_b32 s0, exec_lo
	s_waitcnt lgkmcnt(0)
	s_waitcnt_vscnt null, 0x0
	s_barrier
	buffer_gl0_inv
	v_cmpx_lt_i32_e32 8, v188
	s_cbranch_execz .LBB84_188
; %bb.187:
	v_mul_f64 v[182:183], v[176:177], v[140:141]
	v_mul_f64 v[140:141], v[174:175], v[140:141]
	v_fma_f64 v[182:183], v[174:175], v[138:139], -v[182:183]
	v_fma_f64 v[140:141], v[176:177], v[138:139], v[140:141]
	ds_read2_b64 v[174:177], v1 offset0:18 offset1:19
	s_waitcnt lgkmcnt(0)
	v_mul_f64 v[138:139], v[176:177], v[140:141]
	v_fma_f64 v[138:139], v[174:175], v[182:183], -v[138:139]
	v_mul_f64 v[174:175], v[174:175], v[140:141]
	v_add_f64 v[134:135], v[134:135], -v[138:139]
	v_fma_f64 v[174:175], v[176:177], v[182:183], v[174:175]
	v_add_f64 v[136:137], v[136:137], -v[174:175]
	ds_read2_b64 v[174:177], v1 offset0:20 offset1:21
	s_waitcnt lgkmcnt(0)
	v_mul_f64 v[138:139], v[176:177], v[140:141]
	v_fma_f64 v[138:139], v[174:175], v[182:183], -v[138:139]
	v_mul_f64 v[174:175], v[174:175], v[140:141]
	v_add_f64 v[130:131], v[130:131], -v[138:139]
	v_fma_f64 v[174:175], v[176:177], v[182:183], v[174:175]
	v_add_f64 v[132:133], v[132:133], -v[174:175]
	;; [unrolled: 8-line block ×33, first 2 shown]
	ds_read2_b64 v[174:177], v1 offset0:84 offset1:85
	s_waitcnt lgkmcnt(0)
	v_mul_f64 v[138:139], v[176:177], v[140:141]
	v_fma_f64 v[138:139], v[174:175], v[182:183], -v[138:139]
	v_mul_f64 v[174:175], v[174:175], v[140:141]
	v_add_f64 v[2:3], v[2:3], -v[138:139]
	v_fma_f64 v[174:175], v[176:177], v[182:183], v[174:175]
	v_mov_b32_e32 v138, v182
	v_mov_b32_e32 v139, v183
	v_add_f64 v[4:5], v[4:5], -v[174:175]
.LBB84_188:
	s_or_b32 exec_lo, exec_lo, s0
	v_lshl_add_u32 v174, v188, 4, v1
	s_barrier
	buffer_gl0_inv
	v_mov_b32_e32 v182, 9
	ds_write2_b64 v174, v[134:135], v[136:137] offset1:1
	s_waitcnt lgkmcnt(0)
	s_barrier
	buffer_gl0_inv
	ds_read2_b64 v[174:177], v1 offset0:18 offset1:19
	s_cmp_lt_i32 s18, 11
	s_cbranch_scc1 .LBB84_191
; %bb.189:
	v_add3_u32 v183, v184, 0, 0xa0
	v_mov_b32_e32 v182, 9
	s_mov_b32 s1, 10
	s_inst_prefetch 0x1
	.p2align	6
.LBB84_190:                             ; =>This Inner Loop Header: Depth=1
	s_waitcnt lgkmcnt(0)
	v_cmp_gt_f64_e32 vcc_lo, 0, v[176:177]
	v_cmp_gt_f64_e64 s0, 0, v[174:175]
	ds_read2_b64 v[189:192], v183 offset1:1
	v_xor_b32_e32 v194, 0x80000000, v175
	v_xor_b32_e32 v196, 0x80000000, v177
	v_mov_b32_e32 v193, v174
	v_mov_b32_e32 v195, v176
	v_add_nc_u32_e32 v183, 16, v183
	s_waitcnt lgkmcnt(0)
	v_xor_b32_e32 v198, 0x80000000, v192
	v_cndmask_b32_e64 v194, v175, v194, s0
	v_cndmask_b32_e32 v196, v177, v196, vcc_lo
	v_cmp_gt_f64_e32 vcc_lo, 0, v[191:192]
	v_cmp_gt_f64_e64 s0, 0, v[189:190]
	v_mov_b32_e32 v197, v191
	v_add_f64 v[193:194], v[193:194], v[195:196]
	v_xor_b32_e32 v196, 0x80000000, v190
	v_mov_b32_e32 v195, v189
	v_cndmask_b32_e32 v198, v192, v198, vcc_lo
	v_cndmask_b32_e64 v196, v190, v196, s0
	v_add_f64 v[195:196], v[195:196], v[197:198]
	v_cmp_lt_f64_e32 vcc_lo, v[193:194], v[195:196]
	v_cndmask_b32_e32 v175, v175, v190, vcc_lo
	v_cndmask_b32_e32 v174, v174, v189, vcc_lo
	;; [unrolled: 1-line block ×4, first 2 shown]
	v_cndmask_b32_e64 v182, v182, s1, vcc_lo
	s_add_i32 s1, s1, 1
	s_cmp_lg_u32 s18, s1
	s_cbranch_scc1 .LBB84_190
.LBB84_191:
	s_inst_prefetch 0x2
	s_waitcnt lgkmcnt(0)
	v_cmp_eq_f64_e32 vcc_lo, 0, v[174:175]
	v_cmp_eq_f64_e64 s0, 0, v[176:177]
	s_and_b32 s0, vcc_lo, s0
	s_and_saveexec_b32 s1, s0
	s_xor_b32 s0, exec_lo, s1
; %bb.192:
	v_cmp_ne_u32_e32 vcc_lo, 0, v187
	v_cndmask_b32_e32 v187, 10, v187, vcc_lo
; %bb.193:
	s_andn2_saveexec_b32 s0, s0
	s_cbranch_execz .LBB84_199
; %bb.194:
	v_cmp_ngt_f64_e64 s1, |v[174:175]|, |v[176:177]|
	s_and_saveexec_b32 s2, s1
	s_xor_b32 s1, exec_lo, s2
	s_cbranch_execz .LBB84_196
; %bb.195:
	v_div_scale_f64 v[189:190], null, v[176:177], v[176:177], v[174:175]
	v_div_scale_f64 v[195:196], vcc_lo, v[174:175], v[176:177], v[174:175]
	v_rcp_f64_e32 v[191:192], v[189:190]
	v_fma_f64 v[193:194], -v[189:190], v[191:192], 1.0
	v_fma_f64 v[191:192], v[191:192], v[193:194], v[191:192]
	v_fma_f64 v[193:194], -v[189:190], v[191:192], 1.0
	v_fma_f64 v[191:192], v[191:192], v[193:194], v[191:192]
	v_mul_f64 v[193:194], v[195:196], v[191:192]
	v_fma_f64 v[189:190], -v[189:190], v[193:194], v[195:196]
	v_div_fmas_f64 v[189:190], v[189:190], v[191:192], v[193:194]
	v_div_fixup_f64 v[189:190], v[189:190], v[176:177], v[174:175]
	v_fma_f64 v[174:175], v[174:175], v[189:190], v[176:177]
	v_div_scale_f64 v[176:177], null, v[174:175], v[174:175], 1.0
	v_rcp_f64_e32 v[191:192], v[176:177]
	v_fma_f64 v[193:194], -v[176:177], v[191:192], 1.0
	v_fma_f64 v[191:192], v[191:192], v[193:194], v[191:192]
	v_fma_f64 v[193:194], -v[176:177], v[191:192], 1.0
	v_fma_f64 v[191:192], v[191:192], v[193:194], v[191:192]
	v_div_scale_f64 v[193:194], vcc_lo, 1.0, v[174:175], 1.0
	v_mul_f64 v[195:196], v[193:194], v[191:192]
	v_fma_f64 v[176:177], -v[176:177], v[195:196], v[193:194]
	v_div_fmas_f64 v[176:177], v[176:177], v[191:192], v[195:196]
	v_div_fixup_f64 v[176:177], v[176:177], v[174:175], 1.0
	v_mul_f64 v[174:175], v[189:190], v[176:177]
	v_xor_b32_e32 v177, 0x80000000, v177
.LBB84_196:
	s_andn2_saveexec_b32 s1, s1
	s_cbranch_execz .LBB84_198
; %bb.197:
	v_div_scale_f64 v[189:190], null, v[174:175], v[174:175], v[176:177]
	v_div_scale_f64 v[195:196], vcc_lo, v[176:177], v[174:175], v[176:177]
	v_rcp_f64_e32 v[191:192], v[189:190]
	v_fma_f64 v[193:194], -v[189:190], v[191:192], 1.0
	v_fma_f64 v[191:192], v[191:192], v[193:194], v[191:192]
	v_fma_f64 v[193:194], -v[189:190], v[191:192], 1.0
	v_fma_f64 v[191:192], v[191:192], v[193:194], v[191:192]
	v_mul_f64 v[193:194], v[195:196], v[191:192]
	v_fma_f64 v[189:190], -v[189:190], v[193:194], v[195:196]
	v_div_fmas_f64 v[189:190], v[189:190], v[191:192], v[193:194]
	v_div_fixup_f64 v[189:190], v[189:190], v[174:175], v[176:177]
	v_fma_f64 v[174:175], v[176:177], v[189:190], v[174:175]
	v_div_scale_f64 v[176:177], null, v[174:175], v[174:175], 1.0
	v_rcp_f64_e32 v[191:192], v[176:177]
	v_fma_f64 v[193:194], -v[176:177], v[191:192], 1.0
	v_fma_f64 v[191:192], v[191:192], v[193:194], v[191:192]
	v_fma_f64 v[193:194], -v[176:177], v[191:192], 1.0
	v_fma_f64 v[191:192], v[191:192], v[193:194], v[191:192]
	v_div_scale_f64 v[193:194], vcc_lo, 1.0, v[174:175], 1.0
	v_mul_f64 v[195:196], v[193:194], v[191:192]
	v_fma_f64 v[176:177], -v[176:177], v[195:196], v[193:194]
	v_div_fmas_f64 v[176:177], v[176:177], v[191:192], v[195:196]
	v_div_fixup_f64 v[174:175], v[176:177], v[174:175], 1.0
	v_mul_f64 v[176:177], v[189:190], -v[174:175]
.LBB84_198:
	s_or_b32 exec_lo, exec_lo, s1
.LBB84_199:
	s_or_b32 exec_lo, exec_lo, s0
	s_mov_b32 s0, exec_lo
	v_cmpx_ne_u32_e64 v188, v182
	s_xor_b32 s0, exec_lo, s0
	s_cbranch_execz .LBB84_205
; %bb.200:
	s_mov_b32 s1, exec_lo
	v_cmpx_eq_u32_e32 9, v188
	s_cbranch_execz .LBB84_204
; %bb.201:
	v_cmp_ne_u32_e32 vcc_lo, 9, v182
	s_xor_b32 s2, s16, -1
	s_and_b32 s3, s2, vcc_lo
	s_and_saveexec_b32 s2, s3
	s_cbranch_execz .LBB84_203
; %bb.202:
	v_ashrrev_i32_e32 v183, 31, v182
	v_lshlrev_b64 v[188:189], 2, v[182:183]
	v_add_co_u32 v188, vcc_lo, v180, v188
	v_add_co_ci_u32_e64 v189, null, v181, v189, vcc_lo
	s_clause 0x1
	global_load_dword v0, v[188:189], off
	global_load_dword v183, v[180:181], off offset:36
	s_waitcnt vmcnt(1)
	global_store_dword v[180:181], v0, off offset:36
	s_waitcnt vmcnt(0)
	global_store_dword v[188:189], v183, off
.LBB84_203:
	s_or_b32 exec_lo, exec_lo, s2
	v_mov_b32_e32 v188, v182
	v_mov_b32_e32 v0, v182
.LBB84_204:
	s_or_b32 exec_lo, exec_lo, s1
.LBB84_205:
	s_andn2_saveexec_b32 s0, s0
	s_cbranch_execz .LBB84_207
; %bb.206:
	v_mov_b32_e32 v188, 9
	ds_write2_b64 v1, v[130:131], v[132:133] offset0:20 offset1:21
	ds_write2_b64 v1, v[126:127], v[128:129] offset0:22 offset1:23
	;; [unrolled: 1-line block ×33, first 2 shown]
.LBB84_207:
	s_or_b32 exec_lo, exec_lo, s0
	s_mov_b32 s0, exec_lo
	s_waitcnt lgkmcnt(0)
	s_waitcnt_vscnt null, 0x0
	s_barrier
	buffer_gl0_inv
	v_cmpx_lt_i32_e32 9, v188
	s_cbranch_execz .LBB84_209
; %bb.208:
	v_mul_f64 v[182:183], v[176:177], v[136:137]
	v_mul_f64 v[136:137], v[174:175], v[136:137]
	v_fma_f64 v[182:183], v[174:175], v[134:135], -v[182:183]
	v_fma_f64 v[136:137], v[176:177], v[134:135], v[136:137]
	ds_read2_b64 v[174:177], v1 offset0:20 offset1:21
	s_waitcnt lgkmcnt(0)
	v_mul_f64 v[134:135], v[176:177], v[136:137]
	v_fma_f64 v[134:135], v[174:175], v[182:183], -v[134:135]
	v_mul_f64 v[174:175], v[174:175], v[136:137]
	v_add_f64 v[130:131], v[130:131], -v[134:135]
	v_fma_f64 v[174:175], v[176:177], v[182:183], v[174:175]
	v_add_f64 v[132:133], v[132:133], -v[174:175]
	ds_read2_b64 v[174:177], v1 offset0:22 offset1:23
	s_waitcnt lgkmcnt(0)
	v_mul_f64 v[134:135], v[176:177], v[136:137]
	v_fma_f64 v[134:135], v[174:175], v[182:183], -v[134:135]
	v_mul_f64 v[174:175], v[174:175], v[136:137]
	v_add_f64 v[126:127], v[126:127], -v[134:135]
	v_fma_f64 v[174:175], v[176:177], v[182:183], v[174:175]
	v_add_f64 v[128:129], v[128:129], -v[174:175]
	;; [unrolled: 8-line block ×32, first 2 shown]
	ds_read2_b64 v[174:177], v1 offset0:84 offset1:85
	s_waitcnt lgkmcnt(0)
	v_mul_f64 v[134:135], v[176:177], v[136:137]
	v_fma_f64 v[134:135], v[174:175], v[182:183], -v[134:135]
	v_mul_f64 v[174:175], v[174:175], v[136:137]
	v_add_f64 v[2:3], v[2:3], -v[134:135]
	v_fma_f64 v[174:175], v[176:177], v[182:183], v[174:175]
	v_mov_b32_e32 v134, v182
	v_mov_b32_e32 v135, v183
	v_add_f64 v[4:5], v[4:5], -v[174:175]
.LBB84_209:
	s_or_b32 exec_lo, exec_lo, s0
	v_lshl_add_u32 v174, v188, 4, v1
	s_barrier
	buffer_gl0_inv
	v_mov_b32_e32 v182, 10
	ds_write2_b64 v174, v[130:131], v[132:133] offset1:1
	s_waitcnt lgkmcnt(0)
	s_barrier
	buffer_gl0_inv
	ds_read2_b64 v[174:177], v1 offset0:20 offset1:21
	s_cmp_lt_i32 s18, 12
	s_cbranch_scc1 .LBB84_212
; %bb.210:
	v_add3_u32 v183, v184, 0, 0xb0
	v_mov_b32_e32 v182, 10
	s_mov_b32 s1, 11
	s_inst_prefetch 0x1
	.p2align	6
.LBB84_211:                             ; =>This Inner Loop Header: Depth=1
	s_waitcnt lgkmcnt(0)
	v_cmp_gt_f64_e32 vcc_lo, 0, v[176:177]
	v_cmp_gt_f64_e64 s0, 0, v[174:175]
	ds_read2_b64 v[189:192], v183 offset1:1
	v_xor_b32_e32 v194, 0x80000000, v175
	v_xor_b32_e32 v196, 0x80000000, v177
	v_mov_b32_e32 v193, v174
	v_mov_b32_e32 v195, v176
	v_add_nc_u32_e32 v183, 16, v183
	s_waitcnt lgkmcnt(0)
	v_xor_b32_e32 v198, 0x80000000, v192
	v_cndmask_b32_e64 v194, v175, v194, s0
	v_cndmask_b32_e32 v196, v177, v196, vcc_lo
	v_cmp_gt_f64_e32 vcc_lo, 0, v[191:192]
	v_cmp_gt_f64_e64 s0, 0, v[189:190]
	v_mov_b32_e32 v197, v191
	v_add_f64 v[193:194], v[193:194], v[195:196]
	v_xor_b32_e32 v196, 0x80000000, v190
	v_mov_b32_e32 v195, v189
	v_cndmask_b32_e32 v198, v192, v198, vcc_lo
	v_cndmask_b32_e64 v196, v190, v196, s0
	v_add_f64 v[195:196], v[195:196], v[197:198]
	v_cmp_lt_f64_e32 vcc_lo, v[193:194], v[195:196]
	v_cndmask_b32_e32 v175, v175, v190, vcc_lo
	v_cndmask_b32_e32 v174, v174, v189, vcc_lo
	;; [unrolled: 1-line block ×4, first 2 shown]
	v_cndmask_b32_e64 v182, v182, s1, vcc_lo
	s_add_i32 s1, s1, 1
	s_cmp_lg_u32 s18, s1
	s_cbranch_scc1 .LBB84_211
.LBB84_212:
	s_inst_prefetch 0x2
	s_waitcnt lgkmcnt(0)
	v_cmp_eq_f64_e32 vcc_lo, 0, v[174:175]
	v_cmp_eq_f64_e64 s0, 0, v[176:177]
	s_and_b32 s0, vcc_lo, s0
	s_and_saveexec_b32 s1, s0
	s_xor_b32 s0, exec_lo, s1
; %bb.213:
	v_cmp_ne_u32_e32 vcc_lo, 0, v187
	v_cndmask_b32_e32 v187, 11, v187, vcc_lo
; %bb.214:
	s_andn2_saveexec_b32 s0, s0
	s_cbranch_execz .LBB84_220
; %bb.215:
	v_cmp_ngt_f64_e64 s1, |v[174:175]|, |v[176:177]|
	s_and_saveexec_b32 s2, s1
	s_xor_b32 s1, exec_lo, s2
	s_cbranch_execz .LBB84_217
; %bb.216:
	v_div_scale_f64 v[189:190], null, v[176:177], v[176:177], v[174:175]
	v_div_scale_f64 v[195:196], vcc_lo, v[174:175], v[176:177], v[174:175]
	v_rcp_f64_e32 v[191:192], v[189:190]
	v_fma_f64 v[193:194], -v[189:190], v[191:192], 1.0
	v_fma_f64 v[191:192], v[191:192], v[193:194], v[191:192]
	v_fma_f64 v[193:194], -v[189:190], v[191:192], 1.0
	v_fma_f64 v[191:192], v[191:192], v[193:194], v[191:192]
	v_mul_f64 v[193:194], v[195:196], v[191:192]
	v_fma_f64 v[189:190], -v[189:190], v[193:194], v[195:196]
	v_div_fmas_f64 v[189:190], v[189:190], v[191:192], v[193:194]
	v_div_fixup_f64 v[189:190], v[189:190], v[176:177], v[174:175]
	v_fma_f64 v[174:175], v[174:175], v[189:190], v[176:177]
	v_div_scale_f64 v[176:177], null, v[174:175], v[174:175], 1.0
	v_rcp_f64_e32 v[191:192], v[176:177]
	v_fma_f64 v[193:194], -v[176:177], v[191:192], 1.0
	v_fma_f64 v[191:192], v[191:192], v[193:194], v[191:192]
	v_fma_f64 v[193:194], -v[176:177], v[191:192], 1.0
	v_fma_f64 v[191:192], v[191:192], v[193:194], v[191:192]
	v_div_scale_f64 v[193:194], vcc_lo, 1.0, v[174:175], 1.0
	v_mul_f64 v[195:196], v[193:194], v[191:192]
	v_fma_f64 v[176:177], -v[176:177], v[195:196], v[193:194]
	v_div_fmas_f64 v[176:177], v[176:177], v[191:192], v[195:196]
	v_div_fixup_f64 v[176:177], v[176:177], v[174:175], 1.0
	v_mul_f64 v[174:175], v[189:190], v[176:177]
	v_xor_b32_e32 v177, 0x80000000, v177
.LBB84_217:
	s_andn2_saveexec_b32 s1, s1
	s_cbranch_execz .LBB84_219
; %bb.218:
	v_div_scale_f64 v[189:190], null, v[174:175], v[174:175], v[176:177]
	v_div_scale_f64 v[195:196], vcc_lo, v[176:177], v[174:175], v[176:177]
	v_rcp_f64_e32 v[191:192], v[189:190]
	v_fma_f64 v[193:194], -v[189:190], v[191:192], 1.0
	v_fma_f64 v[191:192], v[191:192], v[193:194], v[191:192]
	v_fma_f64 v[193:194], -v[189:190], v[191:192], 1.0
	v_fma_f64 v[191:192], v[191:192], v[193:194], v[191:192]
	v_mul_f64 v[193:194], v[195:196], v[191:192]
	v_fma_f64 v[189:190], -v[189:190], v[193:194], v[195:196]
	v_div_fmas_f64 v[189:190], v[189:190], v[191:192], v[193:194]
	v_div_fixup_f64 v[189:190], v[189:190], v[174:175], v[176:177]
	v_fma_f64 v[174:175], v[176:177], v[189:190], v[174:175]
	v_div_scale_f64 v[176:177], null, v[174:175], v[174:175], 1.0
	v_rcp_f64_e32 v[191:192], v[176:177]
	v_fma_f64 v[193:194], -v[176:177], v[191:192], 1.0
	v_fma_f64 v[191:192], v[191:192], v[193:194], v[191:192]
	v_fma_f64 v[193:194], -v[176:177], v[191:192], 1.0
	v_fma_f64 v[191:192], v[191:192], v[193:194], v[191:192]
	v_div_scale_f64 v[193:194], vcc_lo, 1.0, v[174:175], 1.0
	v_mul_f64 v[195:196], v[193:194], v[191:192]
	v_fma_f64 v[176:177], -v[176:177], v[195:196], v[193:194]
	v_div_fmas_f64 v[176:177], v[176:177], v[191:192], v[195:196]
	v_div_fixup_f64 v[174:175], v[176:177], v[174:175], 1.0
	v_mul_f64 v[176:177], v[189:190], -v[174:175]
.LBB84_219:
	s_or_b32 exec_lo, exec_lo, s1
.LBB84_220:
	s_or_b32 exec_lo, exec_lo, s0
	s_mov_b32 s0, exec_lo
	v_cmpx_ne_u32_e64 v188, v182
	s_xor_b32 s0, exec_lo, s0
	s_cbranch_execz .LBB84_226
; %bb.221:
	s_mov_b32 s1, exec_lo
	v_cmpx_eq_u32_e32 10, v188
	s_cbranch_execz .LBB84_225
; %bb.222:
	v_cmp_ne_u32_e32 vcc_lo, 10, v182
	s_xor_b32 s2, s16, -1
	s_and_b32 s3, s2, vcc_lo
	s_and_saveexec_b32 s2, s3
	s_cbranch_execz .LBB84_224
; %bb.223:
	v_ashrrev_i32_e32 v183, 31, v182
	v_lshlrev_b64 v[188:189], 2, v[182:183]
	v_add_co_u32 v188, vcc_lo, v180, v188
	v_add_co_ci_u32_e64 v189, null, v181, v189, vcc_lo
	s_clause 0x1
	global_load_dword v0, v[188:189], off
	global_load_dword v183, v[180:181], off offset:40
	s_waitcnt vmcnt(1)
	global_store_dword v[180:181], v0, off offset:40
	s_waitcnt vmcnt(0)
	global_store_dword v[188:189], v183, off
.LBB84_224:
	s_or_b32 exec_lo, exec_lo, s2
	v_mov_b32_e32 v188, v182
	v_mov_b32_e32 v0, v182
.LBB84_225:
	s_or_b32 exec_lo, exec_lo, s1
.LBB84_226:
	s_andn2_saveexec_b32 s0, s0
	s_cbranch_execz .LBB84_228
; %bb.227:
	v_mov_b32_e32 v188, 10
	ds_write2_b64 v1, v[126:127], v[128:129] offset0:22 offset1:23
	ds_write2_b64 v1, v[122:123], v[124:125] offset0:24 offset1:25
	;; [unrolled: 1-line block ×32, first 2 shown]
.LBB84_228:
	s_or_b32 exec_lo, exec_lo, s0
	s_mov_b32 s0, exec_lo
	s_waitcnt lgkmcnt(0)
	s_waitcnt_vscnt null, 0x0
	s_barrier
	buffer_gl0_inv
	v_cmpx_lt_i32_e32 10, v188
	s_cbranch_execz .LBB84_230
; %bb.229:
	v_mul_f64 v[182:183], v[176:177], v[132:133]
	v_mul_f64 v[132:133], v[174:175], v[132:133]
	v_fma_f64 v[182:183], v[174:175], v[130:131], -v[182:183]
	v_fma_f64 v[132:133], v[176:177], v[130:131], v[132:133]
	ds_read2_b64 v[174:177], v1 offset0:22 offset1:23
	s_waitcnt lgkmcnt(0)
	v_mul_f64 v[130:131], v[176:177], v[132:133]
	v_fma_f64 v[130:131], v[174:175], v[182:183], -v[130:131]
	v_mul_f64 v[174:175], v[174:175], v[132:133]
	v_add_f64 v[126:127], v[126:127], -v[130:131]
	v_fma_f64 v[174:175], v[176:177], v[182:183], v[174:175]
	v_add_f64 v[128:129], v[128:129], -v[174:175]
	ds_read2_b64 v[174:177], v1 offset0:24 offset1:25
	s_waitcnt lgkmcnt(0)
	v_mul_f64 v[130:131], v[176:177], v[132:133]
	v_fma_f64 v[130:131], v[174:175], v[182:183], -v[130:131]
	v_mul_f64 v[174:175], v[174:175], v[132:133]
	v_add_f64 v[122:123], v[122:123], -v[130:131]
	v_fma_f64 v[174:175], v[176:177], v[182:183], v[174:175]
	v_add_f64 v[124:125], v[124:125], -v[174:175]
	ds_read2_b64 v[174:177], v1 offset0:26 offset1:27
	s_waitcnt lgkmcnt(0)
	v_mul_f64 v[130:131], v[176:177], v[132:133]
	v_fma_f64 v[130:131], v[174:175], v[182:183], -v[130:131]
	v_mul_f64 v[174:175], v[174:175], v[132:133]
	v_add_f64 v[118:119], v[118:119], -v[130:131]
	v_fma_f64 v[174:175], v[176:177], v[182:183], v[174:175]
	v_add_f64 v[120:121], v[120:121], -v[174:175]
	ds_read2_b64 v[174:177], v1 offset0:28 offset1:29
	s_waitcnt lgkmcnt(0)
	v_mul_f64 v[130:131], v[176:177], v[132:133]
	v_fma_f64 v[130:131], v[174:175], v[182:183], -v[130:131]
	v_mul_f64 v[174:175], v[174:175], v[132:133]
	v_add_f64 v[114:115], v[114:115], -v[130:131]
	v_fma_f64 v[174:175], v[176:177], v[182:183], v[174:175]
	v_add_f64 v[116:117], v[116:117], -v[174:175]
	ds_read2_b64 v[174:177], v1 offset0:30 offset1:31
	s_waitcnt lgkmcnt(0)
	v_mul_f64 v[130:131], v[176:177], v[132:133]
	v_fma_f64 v[130:131], v[174:175], v[182:183], -v[130:131]
	v_mul_f64 v[174:175], v[174:175], v[132:133]
	v_add_f64 v[110:111], v[110:111], -v[130:131]
	v_fma_f64 v[174:175], v[176:177], v[182:183], v[174:175]
	v_add_f64 v[112:113], v[112:113], -v[174:175]
	ds_read2_b64 v[174:177], v1 offset0:32 offset1:33
	s_waitcnt lgkmcnt(0)
	v_mul_f64 v[130:131], v[176:177], v[132:133]
	v_fma_f64 v[130:131], v[174:175], v[182:183], -v[130:131]
	v_mul_f64 v[174:175], v[174:175], v[132:133]
	v_add_f64 v[106:107], v[106:107], -v[130:131]
	v_fma_f64 v[174:175], v[176:177], v[182:183], v[174:175]
	v_add_f64 v[108:109], v[108:109], -v[174:175]
	ds_read2_b64 v[174:177], v1 offset0:34 offset1:35
	s_waitcnt lgkmcnt(0)
	v_mul_f64 v[130:131], v[176:177], v[132:133]
	v_fma_f64 v[130:131], v[174:175], v[182:183], -v[130:131]
	v_mul_f64 v[174:175], v[174:175], v[132:133]
	v_add_f64 v[102:103], v[102:103], -v[130:131]
	v_fma_f64 v[174:175], v[176:177], v[182:183], v[174:175]
	v_add_f64 v[104:105], v[104:105], -v[174:175]
	ds_read2_b64 v[174:177], v1 offset0:36 offset1:37
	s_waitcnt lgkmcnt(0)
	v_mul_f64 v[130:131], v[176:177], v[132:133]
	v_fma_f64 v[130:131], v[174:175], v[182:183], -v[130:131]
	v_mul_f64 v[174:175], v[174:175], v[132:133]
	v_add_f64 v[98:99], v[98:99], -v[130:131]
	v_fma_f64 v[174:175], v[176:177], v[182:183], v[174:175]
	v_add_f64 v[100:101], v[100:101], -v[174:175]
	ds_read2_b64 v[174:177], v1 offset0:38 offset1:39
	s_waitcnt lgkmcnt(0)
	v_mul_f64 v[130:131], v[176:177], v[132:133]
	v_fma_f64 v[130:131], v[174:175], v[182:183], -v[130:131]
	v_mul_f64 v[174:175], v[174:175], v[132:133]
	v_add_f64 v[94:95], v[94:95], -v[130:131]
	v_fma_f64 v[174:175], v[176:177], v[182:183], v[174:175]
	v_add_f64 v[96:97], v[96:97], -v[174:175]
	ds_read2_b64 v[174:177], v1 offset0:40 offset1:41
	s_waitcnt lgkmcnt(0)
	v_mul_f64 v[130:131], v[176:177], v[132:133]
	v_fma_f64 v[130:131], v[174:175], v[182:183], -v[130:131]
	v_mul_f64 v[174:175], v[174:175], v[132:133]
	v_add_f64 v[90:91], v[90:91], -v[130:131]
	v_fma_f64 v[174:175], v[176:177], v[182:183], v[174:175]
	v_add_f64 v[92:93], v[92:93], -v[174:175]
	ds_read2_b64 v[174:177], v1 offset0:42 offset1:43
	s_waitcnt lgkmcnt(0)
	v_mul_f64 v[130:131], v[176:177], v[132:133]
	v_fma_f64 v[130:131], v[174:175], v[182:183], -v[130:131]
	v_mul_f64 v[174:175], v[174:175], v[132:133]
	v_add_f64 v[86:87], v[86:87], -v[130:131]
	v_fma_f64 v[174:175], v[176:177], v[182:183], v[174:175]
	v_add_f64 v[88:89], v[88:89], -v[174:175]
	ds_read2_b64 v[174:177], v1 offset0:44 offset1:45
	s_waitcnt lgkmcnt(0)
	v_mul_f64 v[130:131], v[176:177], v[132:133]
	v_fma_f64 v[130:131], v[174:175], v[182:183], -v[130:131]
	v_mul_f64 v[174:175], v[174:175], v[132:133]
	v_add_f64 v[82:83], v[82:83], -v[130:131]
	v_fma_f64 v[174:175], v[176:177], v[182:183], v[174:175]
	v_add_f64 v[84:85], v[84:85], -v[174:175]
	ds_read2_b64 v[174:177], v1 offset0:46 offset1:47
	s_waitcnt lgkmcnt(0)
	v_mul_f64 v[130:131], v[176:177], v[132:133]
	v_fma_f64 v[130:131], v[174:175], v[182:183], -v[130:131]
	v_mul_f64 v[174:175], v[174:175], v[132:133]
	v_add_f64 v[78:79], v[78:79], -v[130:131]
	v_fma_f64 v[174:175], v[176:177], v[182:183], v[174:175]
	v_add_f64 v[80:81], v[80:81], -v[174:175]
	ds_read2_b64 v[174:177], v1 offset0:48 offset1:49
	s_waitcnt lgkmcnt(0)
	v_mul_f64 v[130:131], v[176:177], v[132:133]
	v_fma_f64 v[130:131], v[174:175], v[182:183], -v[130:131]
	v_mul_f64 v[174:175], v[174:175], v[132:133]
	v_add_f64 v[74:75], v[74:75], -v[130:131]
	v_fma_f64 v[174:175], v[176:177], v[182:183], v[174:175]
	v_add_f64 v[76:77], v[76:77], -v[174:175]
	ds_read2_b64 v[174:177], v1 offset0:50 offset1:51
	s_waitcnt lgkmcnt(0)
	v_mul_f64 v[130:131], v[176:177], v[132:133]
	v_fma_f64 v[130:131], v[174:175], v[182:183], -v[130:131]
	v_mul_f64 v[174:175], v[174:175], v[132:133]
	v_add_f64 v[70:71], v[70:71], -v[130:131]
	v_fma_f64 v[174:175], v[176:177], v[182:183], v[174:175]
	v_add_f64 v[72:73], v[72:73], -v[174:175]
	ds_read2_b64 v[174:177], v1 offset0:52 offset1:53
	s_waitcnt lgkmcnt(0)
	v_mul_f64 v[130:131], v[176:177], v[132:133]
	v_fma_f64 v[130:131], v[174:175], v[182:183], -v[130:131]
	v_mul_f64 v[174:175], v[174:175], v[132:133]
	v_add_f64 v[66:67], v[66:67], -v[130:131]
	v_fma_f64 v[174:175], v[176:177], v[182:183], v[174:175]
	v_add_f64 v[68:69], v[68:69], -v[174:175]
	ds_read2_b64 v[174:177], v1 offset0:54 offset1:55
	s_waitcnt lgkmcnt(0)
	v_mul_f64 v[130:131], v[176:177], v[132:133]
	v_fma_f64 v[130:131], v[174:175], v[182:183], -v[130:131]
	v_mul_f64 v[174:175], v[174:175], v[132:133]
	v_add_f64 v[62:63], v[62:63], -v[130:131]
	v_fma_f64 v[174:175], v[176:177], v[182:183], v[174:175]
	v_add_f64 v[64:65], v[64:65], -v[174:175]
	ds_read2_b64 v[174:177], v1 offset0:56 offset1:57
	s_waitcnt lgkmcnt(0)
	v_mul_f64 v[130:131], v[176:177], v[132:133]
	v_fma_f64 v[130:131], v[174:175], v[182:183], -v[130:131]
	v_mul_f64 v[174:175], v[174:175], v[132:133]
	v_add_f64 v[58:59], v[58:59], -v[130:131]
	v_fma_f64 v[174:175], v[176:177], v[182:183], v[174:175]
	v_add_f64 v[60:61], v[60:61], -v[174:175]
	ds_read2_b64 v[174:177], v1 offset0:58 offset1:59
	s_waitcnt lgkmcnt(0)
	v_mul_f64 v[130:131], v[176:177], v[132:133]
	v_fma_f64 v[130:131], v[174:175], v[182:183], -v[130:131]
	v_mul_f64 v[174:175], v[174:175], v[132:133]
	v_add_f64 v[54:55], v[54:55], -v[130:131]
	v_fma_f64 v[174:175], v[176:177], v[182:183], v[174:175]
	v_add_f64 v[56:57], v[56:57], -v[174:175]
	ds_read2_b64 v[174:177], v1 offset0:60 offset1:61
	s_waitcnt lgkmcnt(0)
	v_mul_f64 v[130:131], v[176:177], v[132:133]
	v_fma_f64 v[130:131], v[174:175], v[182:183], -v[130:131]
	v_mul_f64 v[174:175], v[174:175], v[132:133]
	v_add_f64 v[50:51], v[50:51], -v[130:131]
	v_fma_f64 v[174:175], v[176:177], v[182:183], v[174:175]
	v_add_f64 v[52:53], v[52:53], -v[174:175]
	ds_read2_b64 v[174:177], v1 offset0:62 offset1:63
	s_waitcnt lgkmcnt(0)
	v_mul_f64 v[130:131], v[176:177], v[132:133]
	v_fma_f64 v[130:131], v[174:175], v[182:183], -v[130:131]
	v_mul_f64 v[174:175], v[174:175], v[132:133]
	v_add_f64 v[46:47], v[46:47], -v[130:131]
	v_fma_f64 v[174:175], v[176:177], v[182:183], v[174:175]
	v_add_f64 v[48:49], v[48:49], -v[174:175]
	ds_read2_b64 v[174:177], v1 offset0:64 offset1:65
	s_waitcnt lgkmcnt(0)
	v_mul_f64 v[130:131], v[176:177], v[132:133]
	v_fma_f64 v[130:131], v[174:175], v[182:183], -v[130:131]
	v_mul_f64 v[174:175], v[174:175], v[132:133]
	v_add_f64 v[42:43], v[42:43], -v[130:131]
	v_fma_f64 v[174:175], v[176:177], v[182:183], v[174:175]
	v_add_f64 v[44:45], v[44:45], -v[174:175]
	ds_read2_b64 v[174:177], v1 offset0:66 offset1:67
	s_waitcnt lgkmcnt(0)
	v_mul_f64 v[130:131], v[176:177], v[132:133]
	v_fma_f64 v[130:131], v[174:175], v[182:183], -v[130:131]
	v_mul_f64 v[174:175], v[174:175], v[132:133]
	v_add_f64 v[38:39], v[38:39], -v[130:131]
	v_fma_f64 v[174:175], v[176:177], v[182:183], v[174:175]
	v_add_f64 v[40:41], v[40:41], -v[174:175]
	ds_read2_b64 v[174:177], v1 offset0:68 offset1:69
	s_waitcnt lgkmcnt(0)
	v_mul_f64 v[130:131], v[176:177], v[132:133]
	v_fma_f64 v[130:131], v[174:175], v[182:183], -v[130:131]
	v_mul_f64 v[174:175], v[174:175], v[132:133]
	v_add_f64 v[34:35], v[34:35], -v[130:131]
	v_fma_f64 v[174:175], v[176:177], v[182:183], v[174:175]
	v_add_f64 v[36:37], v[36:37], -v[174:175]
	ds_read2_b64 v[174:177], v1 offset0:70 offset1:71
	s_waitcnt lgkmcnt(0)
	v_mul_f64 v[130:131], v[176:177], v[132:133]
	v_fma_f64 v[130:131], v[174:175], v[182:183], -v[130:131]
	v_mul_f64 v[174:175], v[174:175], v[132:133]
	v_add_f64 v[30:31], v[30:31], -v[130:131]
	v_fma_f64 v[174:175], v[176:177], v[182:183], v[174:175]
	v_add_f64 v[32:33], v[32:33], -v[174:175]
	ds_read2_b64 v[174:177], v1 offset0:72 offset1:73
	s_waitcnt lgkmcnt(0)
	v_mul_f64 v[130:131], v[176:177], v[132:133]
	v_fma_f64 v[130:131], v[174:175], v[182:183], -v[130:131]
	v_mul_f64 v[174:175], v[174:175], v[132:133]
	v_add_f64 v[26:27], v[26:27], -v[130:131]
	v_fma_f64 v[174:175], v[176:177], v[182:183], v[174:175]
	v_add_f64 v[28:29], v[28:29], -v[174:175]
	ds_read2_b64 v[174:177], v1 offset0:74 offset1:75
	s_waitcnt lgkmcnt(0)
	v_mul_f64 v[130:131], v[176:177], v[132:133]
	v_fma_f64 v[130:131], v[174:175], v[182:183], -v[130:131]
	v_mul_f64 v[174:175], v[174:175], v[132:133]
	v_add_f64 v[22:23], v[22:23], -v[130:131]
	v_fma_f64 v[174:175], v[176:177], v[182:183], v[174:175]
	v_add_f64 v[24:25], v[24:25], -v[174:175]
	ds_read2_b64 v[174:177], v1 offset0:76 offset1:77
	s_waitcnt lgkmcnt(0)
	v_mul_f64 v[130:131], v[176:177], v[132:133]
	v_fma_f64 v[130:131], v[174:175], v[182:183], -v[130:131]
	v_mul_f64 v[174:175], v[174:175], v[132:133]
	v_add_f64 v[18:19], v[18:19], -v[130:131]
	v_fma_f64 v[174:175], v[176:177], v[182:183], v[174:175]
	v_add_f64 v[20:21], v[20:21], -v[174:175]
	ds_read2_b64 v[174:177], v1 offset0:78 offset1:79
	s_waitcnt lgkmcnt(0)
	v_mul_f64 v[130:131], v[176:177], v[132:133]
	v_fma_f64 v[130:131], v[174:175], v[182:183], -v[130:131]
	v_mul_f64 v[174:175], v[174:175], v[132:133]
	v_add_f64 v[14:15], v[14:15], -v[130:131]
	v_fma_f64 v[174:175], v[176:177], v[182:183], v[174:175]
	v_add_f64 v[16:17], v[16:17], -v[174:175]
	ds_read2_b64 v[174:177], v1 offset0:80 offset1:81
	s_waitcnt lgkmcnt(0)
	v_mul_f64 v[130:131], v[176:177], v[132:133]
	v_fma_f64 v[130:131], v[174:175], v[182:183], -v[130:131]
	v_mul_f64 v[174:175], v[174:175], v[132:133]
	v_add_f64 v[10:11], v[10:11], -v[130:131]
	v_fma_f64 v[174:175], v[176:177], v[182:183], v[174:175]
	v_add_f64 v[12:13], v[12:13], -v[174:175]
	ds_read2_b64 v[174:177], v1 offset0:82 offset1:83
	s_waitcnt lgkmcnt(0)
	v_mul_f64 v[130:131], v[176:177], v[132:133]
	v_fma_f64 v[130:131], v[174:175], v[182:183], -v[130:131]
	v_mul_f64 v[174:175], v[174:175], v[132:133]
	v_add_f64 v[6:7], v[6:7], -v[130:131]
	v_fma_f64 v[174:175], v[176:177], v[182:183], v[174:175]
	v_add_f64 v[8:9], v[8:9], -v[174:175]
	ds_read2_b64 v[174:177], v1 offset0:84 offset1:85
	s_waitcnt lgkmcnt(0)
	v_mul_f64 v[130:131], v[176:177], v[132:133]
	v_fma_f64 v[130:131], v[174:175], v[182:183], -v[130:131]
	v_mul_f64 v[174:175], v[174:175], v[132:133]
	v_add_f64 v[2:3], v[2:3], -v[130:131]
	v_fma_f64 v[174:175], v[176:177], v[182:183], v[174:175]
	v_mov_b32_e32 v130, v182
	v_mov_b32_e32 v131, v183
	v_add_f64 v[4:5], v[4:5], -v[174:175]
.LBB84_230:
	s_or_b32 exec_lo, exec_lo, s0
	v_lshl_add_u32 v174, v188, 4, v1
	s_barrier
	buffer_gl0_inv
	v_mov_b32_e32 v182, 11
	ds_write2_b64 v174, v[126:127], v[128:129] offset1:1
	s_waitcnt lgkmcnt(0)
	s_barrier
	buffer_gl0_inv
	ds_read2_b64 v[174:177], v1 offset0:22 offset1:23
	s_cmp_lt_i32 s18, 13
	s_cbranch_scc1 .LBB84_233
; %bb.231:
	v_add3_u32 v183, v184, 0, 0xc0
	v_mov_b32_e32 v182, 11
	s_mov_b32 s1, 12
	s_inst_prefetch 0x1
	.p2align	6
.LBB84_232:                             ; =>This Inner Loop Header: Depth=1
	s_waitcnt lgkmcnt(0)
	v_cmp_gt_f64_e32 vcc_lo, 0, v[176:177]
	v_cmp_gt_f64_e64 s0, 0, v[174:175]
	ds_read2_b64 v[189:192], v183 offset1:1
	v_xor_b32_e32 v194, 0x80000000, v175
	v_xor_b32_e32 v196, 0x80000000, v177
	v_mov_b32_e32 v193, v174
	v_mov_b32_e32 v195, v176
	v_add_nc_u32_e32 v183, 16, v183
	s_waitcnt lgkmcnt(0)
	v_xor_b32_e32 v198, 0x80000000, v192
	v_cndmask_b32_e64 v194, v175, v194, s0
	v_cndmask_b32_e32 v196, v177, v196, vcc_lo
	v_cmp_gt_f64_e32 vcc_lo, 0, v[191:192]
	v_cmp_gt_f64_e64 s0, 0, v[189:190]
	v_mov_b32_e32 v197, v191
	v_add_f64 v[193:194], v[193:194], v[195:196]
	v_xor_b32_e32 v196, 0x80000000, v190
	v_mov_b32_e32 v195, v189
	v_cndmask_b32_e32 v198, v192, v198, vcc_lo
	v_cndmask_b32_e64 v196, v190, v196, s0
	v_add_f64 v[195:196], v[195:196], v[197:198]
	v_cmp_lt_f64_e32 vcc_lo, v[193:194], v[195:196]
	v_cndmask_b32_e32 v175, v175, v190, vcc_lo
	v_cndmask_b32_e32 v174, v174, v189, vcc_lo
	;; [unrolled: 1-line block ×4, first 2 shown]
	v_cndmask_b32_e64 v182, v182, s1, vcc_lo
	s_add_i32 s1, s1, 1
	s_cmp_lg_u32 s18, s1
	s_cbranch_scc1 .LBB84_232
.LBB84_233:
	s_inst_prefetch 0x2
	s_waitcnt lgkmcnt(0)
	v_cmp_eq_f64_e32 vcc_lo, 0, v[174:175]
	v_cmp_eq_f64_e64 s0, 0, v[176:177]
	s_and_b32 s0, vcc_lo, s0
	s_and_saveexec_b32 s1, s0
	s_xor_b32 s0, exec_lo, s1
; %bb.234:
	v_cmp_ne_u32_e32 vcc_lo, 0, v187
	v_cndmask_b32_e32 v187, 12, v187, vcc_lo
; %bb.235:
	s_andn2_saveexec_b32 s0, s0
	s_cbranch_execz .LBB84_241
; %bb.236:
	v_cmp_ngt_f64_e64 s1, |v[174:175]|, |v[176:177]|
	s_and_saveexec_b32 s2, s1
	s_xor_b32 s1, exec_lo, s2
	s_cbranch_execz .LBB84_238
; %bb.237:
	v_div_scale_f64 v[189:190], null, v[176:177], v[176:177], v[174:175]
	v_div_scale_f64 v[195:196], vcc_lo, v[174:175], v[176:177], v[174:175]
	v_rcp_f64_e32 v[191:192], v[189:190]
	v_fma_f64 v[193:194], -v[189:190], v[191:192], 1.0
	v_fma_f64 v[191:192], v[191:192], v[193:194], v[191:192]
	v_fma_f64 v[193:194], -v[189:190], v[191:192], 1.0
	v_fma_f64 v[191:192], v[191:192], v[193:194], v[191:192]
	v_mul_f64 v[193:194], v[195:196], v[191:192]
	v_fma_f64 v[189:190], -v[189:190], v[193:194], v[195:196]
	v_div_fmas_f64 v[189:190], v[189:190], v[191:192], v[193:194]
	v_div_fixup_f64 v[189:190], v[189:190], v[176:177], v[174:175]
	v_fma_f64 v[174:175], v[174:175], v[189:190], v[176:177]
	v_div_scale_f64 v[176:177], null, v[174:175], v[174:175], 1.0
	v_rcp_f64_e32 v[191:192], v[176:177]
	v_fma_f64 v[193:194], -v[176:177], v[191:192], 1.0
	v_fma_f64 v[191:192], v[191:192], v[193:194], v[191:192]
	v_fma_f64 v[193:194], -v[176:177], v[191:192], 1.0
	v_fma_f64 v[191:192], v[191:192], v[193:194], v[191:192]
	v_div_scale_f64 v[193:194], vcc_lo, 1.0, v[174:175], 1.0
	v_mul_f64 v[195:196], v[193:194], v[191:192]
	v_fma_f64 v[176:177], -v[176:177], v[195:196], v[193:194]
	v_div_fmas_f64 v[176:177], v[176:177], v[191:192], v[195:196]
	v_div_fixup_f64 v[176:177], v[176:177], v[174:175], 1.0
	v_mul_f64 v[174:175], v[189:190], v[176:177]
	v_xor_b32_e32 v177, 0x80000000, v177
.LBB84_238:
	s_andn2_saveexec_b32 s1, s1
	s_cbranch_execz .LBB84_240
; %bb.239:
	v_div_scale_f64 v[189:190], null, v[174:175], v[174:175], v[176:177]
	v_div_scale_f64 v[195:196], vcc_lo, v[176:177], v[174:175], v[176:177]
	v_rcp_f64_e32 v[191:192], v[189:190]
	v_fma_f64 v[193:194], -v[189:190], v[191:192], 1.0
	v_fma_f64 v[191:192], v[191:192], v[193:194], v[191:192]
	v_fma_f64 v[193:194], -v[189:190], v[191:192], 1.0
	v_fma_f64 v[191:192], v[191:192], v[193:194], v[191:192]
	v_mul_f64 v[193:194], v[195:196], v[191:192]
	v_fma_f64 v[189:190], -v[189:190], v[193:194], v[195:196]
	v_div_fmas_f64 v[189:190], v[189:190], v[191:192], v[193:194]
	v_div_fixup_f64 v[189:190], v[189:190], v[174:175], v[176:177]
	v_fma_f64 v[174:175], v[176:177], v[189:190], v[174:175]
	v_div_scale_f64 v[176:177], null, v[174:175], v[174:175], 1.0
	v_rcp_f64_e32 v[191:192], v[176:177]
	v_fma_f64 v[193:194], -v[176:177], v[191:192], 1.0
	v_fma_f64 v[191:192], v[191:192], v[193:194], v[191:192]
	v_fma_f64 v[193:194], -v[176:177], v[191:192], 1.0
	v_fma_f64 v[191:192], v[191:192], v[193:194], v[191:192]
	v_div_scale_f64 v[193:194], vcc_lo, 1.0, v[174:175], 1.0
	v_mul_f64 v[195:196], v[193:194], v[191:192]
	v_fma_f64 v[176:177], -v[176:177], v[195:196], v[193:194]
	v_div_fmas_f64 v[176:177], v[176:177], v[191:192], v[195:196]
	v_div_fixup_f64 v[174:175], v[176:177], v[174:175], 1.0
	v_mul_f64 v[176:177], v[189:190], -v[174:175]
.LBB84_240:
	s_or_b32 exec_lo, exec_lo, s1
.LBB84_241:
	s_or_b32 exec_lo, exec_lo, s0
	s_mov_b32 s0, exec_lo
	v_cmpx_ne_u32_e64 v188, v182
	s_xor_b32 s0, exec_lo, s0
	s_cbranch_execz .LBB84_247
; %bb.242:
	s_mov_b32 s1, exec_lo
	v_cmpx_eq_u32_e32 11, v188
	s_cbranch_execz .LBB84_246
; %bb.243:
	v_cmp_ne_u32_e32 vcc_lo, 11, v182
	s_xor_b32 s2, s16, -1
	s_and_b32 s3, s2, vcc_lo
	s_and_saveexec_b32 s2, s3
	s_cbranch_execz .LBB84_245
; %bb.244:
	v_ashrrev_i32_e32 v183, 31, v182
	v_lshlrev_b64 v[188:189], 2, v[182:183]
	v_add_co_u32 v188, vcc_lo, v180, v188
	v_add_co_ci_u32_e64 v189, null, v181, v189, vcc_lo
	s_clause 0x1
	global_load_dword v0, v[188:189], off
	global_load_dword v183, v[180:181], off offset:44
	s_waitcnt vmcnt(1)
	global_store_dword v[180:181], v0, off offset:44
	s_waitcnt vmcnt(0)
	global_store_dword v[188:189], v183, off
.LBB84_245:
	s_or_b32 exec_lo, exec_lo, s2
	v_mov_b32_e32 v188, v182
	v_mov_b32_e32 v0, v182
.LBB84_246:
	s_or_b32 exec_lo, exec_lo, s1
.LBB84_247:
	s_andn2_saveexec_b32 s0, s0
	s_cbranch_execz .LBB84_249
; %bb.248:
	v_mov_b32_e32 v188, 11
	ds_write2_b64 v1, v[122:123], v[124:125] offset0:24 offset1:25
	ds_write2_b64 v1, v[118:119], v[120:121] offset0:26 offset1:27
	;; [unrolled: 1-line block ×31, first 2 shown]
.LBB84_249:
	s_or_b32 exec_lo, exec_lo, s0
	s_mov_b32 s0, exec_lo
	s_waitcnt lgkmcnt(0)
	s_waitcnt_vscnt null, 0x0
	s_barrier
	buffer_gl0_inv
	v_cmpx_lt_i32_e32 11, v188
	s_cbranch_execz .LBB84_251
; %bb.250:
	v_mul_f64 v[182:183], v[176:177], v[128:129]
	v_mul_f64 v[128:129], v[174:175], v[128:129]
	v_fma_f64 v[182:183], v[174:175], v[126:127], -v[182:183]
	v_fma_f64 v[128:129], v[176:177], v[126:127], v[128:129]
	ds_read2_b64 v[174:177], v1 offset0:24 offset1:25
	s_waitcnt lgkmcnt(0)
	v_mul_f64 v[126:127], v[176:177], v[128:129]
	v_fma_f64 v[126:127], v[174:175], v[182:183], -v[126:127]
	v_mul_f64 v[174:175], v[174:175], v[128:129]
	v_add_f64 v[122:123], v[122:123], -v[126:127]
	v_fma_f64 v[174:175], v[176:177], v[182:183], v[174:175]
	v_add_f64 v[124:125], v[124:125], -v[174:175]
	ds_read2_b64 v[174:177], v1 offset0:26 offset1:27
	s_waitcnt lgkmcnt(0)
	v_mul_f64 v[126:127], v[176:177], v[128:129]
	v_fma_f64 v[126:127], v[174:175], v[182:183], -v[126:127]
	v_mul_f64 v[174:175], v[174:175], v[128:129]
	v_add_f64 v[118:119], v[118:119], -v[126:127]
	v_fma_f64 v[174:175], v[176:177], v[182:183], v[174:175]
	v_add_f64 v[120:121], v[120:121], -v[174:175]
	;; [unrolled: 8-line block ×30, first 2 shown]
	ds_read2_b64 v[174:177], v1 offset0:84 offset1:85
	s_waitcnt lgkmcnt(0)
	v_mul_f64 v[126:127], v[176:177], v[128:129]
	v_fma_f64 v[126:127], v[174:175], v[182:183], -v[126:127]
	v_mul_f64 v[174:175], v[174:175], v[128:129]
	v_add_f64 v[2:3], v[2:3], -v[126:127]
	v_fma_f64 v[174:175], v[176:177], v[182:183], v[174:175]
	v_mov_b32_e32 v126, v182
	v_mov_b32_e32 v127, v183
	v_add_f64 v[4:5], v[4:5], -v[174:175]
.LBB84_251:
	s_or_b32 exec_lo, exec_lo, s0
	v_lshl_add_u32 v174, v188, 4, v1
	s_barrier
	buffer_gl0_inv
	v_mov_b32_e32 v182, 12
	ds_write2_b64 v174, v[122:123], v[124:125] offset1:1
	s_waitcnt lgkmcnt(0)
	s_barrier
	buffer_gl0_inv
	ds_read2_b64 v[174:177], v1 offset0:24 offset1:25
	s_cmp_lt_i32 s18, 14
	s_cbranch_scc1 .LBB84_254
; %bb.252:
	v_add3_u32 v183, v184, 0, 0xd0
	v_mov_b32_e32 v182, 12
	s_mov_b32 s1, 13
	s_inst_prefetch 0x1
	.p2align	6
.LBB84_253:                             ; =>This Inner Loop Header: Depth=1
	s_waitcnt lgkmcnt(0)
	v_cmp_gt_f64_e32 vcc_lo, 0, v[176:177]
	v_cmp_gt_f64_e64 s0, 0, v[174:175]
	ds_read2_b64 v[189:192], v183 offset1:1
	v_xor_b32_e32 v194, 0x80000000, v175
	v_xor_b32_e32 v196, 0x80000000, v177
	v_mov_b32_e32 v193, v174
	v_mov_b32_e32 v195, v176
	v_add_nc_u32_e32 v183, 16, v183
	s_waitcnt lgkmcnt(0)
	v_xor_b32_e32 v198, 0x80000000, v192
	v_cndmask_b32_e64 v194, v175, v194, s0
	v_cndmask_b32_e32 v196, v177, v196, vcc_lo
	v_cmp_gt_f64_e32 vcc_lo, 0, v[191:192]
	v_cmp_gt_f64_e64 s0, 0, v[189:190]
	v_mov_b32_e32 v197, v191
	v_add_f64 v[193:194], v[193:194], v[195:196]
	v_xor_b32_e32 v196, 0x80000000, v190
	v_mov_b32_e32 v195, v189
	v_cndmask_b32_e32 v198, v192, v198, vcc_lo
	v_cndmask_b32_e64 v196, v190, v196, s0
	v_add_f64 v[195:196], v[195:196], v[197:198]
	v_cmp_lt_f64_e32 vcc_lo, v[193:194], v[195:196]
	v_cndmask_b32_e32 v175, v175, v190, vcc_lo
	v_cndmask_b32_e32 v174, v174, v189, vcc_lo
	;; [unrolled: 1-line block ×4, first 2 shown]
	v_cndmask_b32_e64 v182, v182, s1, vcc_lo
	s_add_i32 s1, s1, 1
	s_cmp_lg_u32 s18, s1
	s_cbranch_scc1 .LBB84_253
.LBB84_254:
	s_inst_prefetch 0x2
	s_waitcnt lgkmcnt(0)
	v_cmp_eq_f64_e32 vcc_lo, 0, v[174:175]
	v_cmp_eq_f64_e64 s0, 0, v[176:177]
	s_and_b32 s0, vcc_lo, s0
	s_and_saveexec_b32 s1, s0
	s_xor_b32 s0, exec_lo, s1
; %bb.255:
	v_cmp_ne_u32_e32 vcc_lo, 0, v187
	v_cndmask_b32_e32 v187, 13, v187, vcc_lo
; %bb.256:
	s_andn2_saveexec_b32 s0, s0
	s_cbranch_execz .LBB84_262
; %bb.257:
	v_cmp_ngt_f64_e64 s1, |v[174:175]|, |v[176:177]|
	s_and_saveexec_b32 s2, s1
	s_xor_b32 s1, exec_lo, s2
	s_cbranch_execz .LBB84_259
; %bb.258:
	v_div_scale_f64 v[189:190], null, v[176:177], v[176:177], v[174:175]
	v_div_scale_f64 v[195:196], vcc_lo, v[174:175], v[176:177], v[174:175]
	v_rcp_f64_e32 v[191:192], v[189:190]
	v_fma_f64 v[193:194], -v[189:190], v[191:192], 1.0
	v_fma_f64 v[191:192], v[191:192], v[193:194], v[191:192]
	v_fma_f64 v[193:194], -v[189:190], v[191:192], 1.0
	v_fma_f64 v[191:192], v[191:192], v[193:194], v[191:192]
	v_mul_f64 v[193:194], v[195:196], v[191:192]
	v_fma_f64 v[189:190], -v[189:190], v[193:194], v[195:196]
	v_div_fmas_f64 v[189:190], v[189:190], v[191:192], v[193:194]
	v_div_fixup_f64 v[189:190], v[189:190], v[176:177], v[174:175]
	v_fma_f64 v[174:175], v[174:175], v[189:190], v[176:177]
	v_div_scale_f64 v[176:177], null, v[174:175], v[174:175], 1.0
	v_rcp_f64_e32 v[191:192], v[176:177]
	v_fma_f64 v[193:194], -v[176:177], v[191:192], 1.0
	v_fma_f64 v[191:192], v[191:192], v[193:194], v[191:192]
	v_fma_f64 v[193:194], -v[176:177], v[191:192], 1.0
	v_fma_f64 v[191:192], v[191:192], v[193:194], v[191:192]
	v_div_scale_f64 v[193:194], vcc_lo, 1.0, v[174:175], 1.0
	v_mul_f64 v[195:196], v[193:194], v[191:192]
	v_fma_f64 v[176:177], -v[176:177], v[195:196], v[193:194]
	v_div_fmas_f64 v[176:177], v[176:177], v[191:192], v[195:196]
	v_div_fixup_f64 v[176:177], v[176:177], v[174:175], 1.0
	v_mul_f64 v[174:175], v[189:190], v[176:177]
	v_xor_b32_e32 v177, 0x80000000, v177
.LBB84_259:
	s_andn2_saveexec_b32 s1, s1
	s_cbranch_execz .LBB84_261
; %bb.260:
	v_div_scale_f64 v[189:190], null, v[174:175], v[174:175], v[176:177]
	v_div_scale_f64 v[195:196], vcc_lo, v[176:177], v[174:175], v[176:177]
	v_rcp_f64_e32 v[191:192], v[189:190]
	v_fma_f64 v[193:194], -v[189:190], v[191:192], 1.0
	v_fma_f64 v[191:192], v[191:192], v[193:194], v[191:192]
	v_fma_f64 v[193:194], -v[189:190], v[191:192], 1.0
	v_fma_f64 v[191:192], v[191:192], v[193:194], v[191:192]
	v_mul_f64 v[193:194], v[195:196], v[191:192]
	v_fma_f64 v[189:190], -v[189:190], v[193:194], v[195:196]
	v_div_fmas_f64 v[189:190], v[189:190], v[191:192], v[193:194]
	v_div_fixup_f64 v[189:190], v[189:190], v[174:175], v[176:177]
	v_fma_f64 v[174:175], v[176:177], v[189:190], v[174:175]
	v_div_scale_f64 v[176:177], null, v[174:175], v[174:175], 1.0
	v_rcp_f64_e32 v[191:192], v[176:177]
	v_fma_f64 v[193:194], -v[176:177], v[191:192], 1.0
	v_fma_f64 v[191:192], v[191:192], v[193:194], v[191:192]
	v_fma_f64 v[193:194], -v[176:177], v[191:192], 1.0
	v_fma_f64 v[191:192], v[191:192], v[193:194], v[191:192]
	v_div_scale_f64 v[193:194], vcc_lo, 1.0, v[174:175], 1.0
	v_mul_f64 v[195:196], v[193:194], v[191:192]
	v_fma_f64 v[176:177], -v[176:177], v[195:196], v[193:194]
	v_div_fmas_f64 v[176:177], v[176:177], v[191:192], v[195:196]
	v_div_fixup_f64 v[174:175], v[176:177], v[174:175], 1.0
	v_mul_f64 v[176:177], v[189:190], -v[174:175]
.LBB84_261:
	s_or_b32 exec_lo, exec_lo, s1
.LBB84_262:
	s_or_b32 exec_lo, exec_lo, s0
	s_mov_b32 s0, exec_lo
	v_cmpx_ne_u32_e64 v188, v182
	s_xor_b32 s0, exec_lo, s0
	s_cbranch_execz .LBB84_268
; %bb.263:
	s_mov_b32 s1, exec_lo
	v_cmpx_eq_u32_e32 12, v188
	s_cbranch_execz .LBB84_267
; %bb.264:
	v_cmp_ne_u32_e32 vcc_lo, 12, v182
	s_xor_b32 s2, s16, -1
	s_and_b32 s3, s2, vcc_lo
	s_and_saveexec_b32 s2, s3
	s_cbranch_execz .LBB84_266
; %bb.265:
	v_ashrrev_i32_e32 v183, 31, v182
	v_lshlrev_b64 v[188:189], 2, v[182:183]
	v_add_co_u32 v188, vcc_lo, v180, v188
	v_add_co_ci_u32_e64 v189, null, v181, v189, vcc_lo
	s_clause 0x1
	global_load_dword v0, v[188:189], off
	global_load_dword v183, v[180:181], off offset:48
	s_waitcnt vmcnt(1)
	global_store_dword v[180:181], v0, off offset:48
	s_waitcnt vmcnt(0)
	global_store_dword v[188:189], v183, off
.LBB84_266:
	s_or_b32 exec_lo, exec_lo, s2
	v_mov_b32_e32 v188, v182
	v_mov_b32_e32 v0, v182
.LBB84_267:
	s_or_b32 exec_lo, exec_lo, s1
.LBB84_268:
	s_andn2_saveexec_b32 s0, s0
	s_cbranch_execz .LBB84_270
; %bb.269:
	v_mov_b32_e32 v188, 12
	ds_write2_b64 v1, v[118:119], v[120:121] offset0:26 offset1:27
	ds_write2_b64 v1, v[114:115], v[116:117] offset0:28 offset1:29
	;; [unrolled: 1-line block ×30, first 2 shown]
.LBB84_270:
	s_or_b32 exec_lo, exec_lo, s0
	s_mov_b32 s0, exec_lo
	s_waitcnt lgkmcnt(0)
	s_waitcnt_vscnt null, 0x0
	s_barrier
	buffer_gl0_inv
	v_cmpx_lt_i32_e32 12, v188
	s_cbranch_execz .LBB84_272
; %bb.271:
	v_mul_f64 v[182:183], v[176:177], v[124:125]
	v_mul_f64 v[124:125], v[174:175], v[124:125]
	v_fma_f64 v[182:183], v[174:175], v[122:123], -v[182:183]
	v_fma_f64 v[124:125], v[176:177], v[122:123], v[124:125]
	ds_read2_b64 v[174:177], v1 offset0:26 offset1:27
	s_waitcnt lgkmcnt(0)
	v_mul_f64 v[122:123], v[176:177], v[124:125]
	v_fma_f64 v[122:123], v[174:175], v[182:183], -v[122:123]
	v_mul_f64 v[174:175], v[174:175], v[124:125]
	v_add_f64 v[118:119], v[118:119], -v[122:123]
	v_fma_f64 v[174:175], v[176:177], v[182:183], v[174:175]
	v_add_f64 v[120:121], v[120:121], -v[174:175]
	ds_read2_b64 v[174:177], v1 offset0:28 offset1:29
	s_waitcnt lgkmcnt(0)
	v_mul_f64 v[122:123], v[176:177], v[124:125]
	v_fma_f64 v[122:123], v[174:175], v[182:183], -v[122:123]
	v_mul_f64 v[174:175], v[174:175], v[124:125]
	v_add_f64 v[114:115], v[114:115], -v[122:123]
	v_fma_f64 v[174:175], v[176:177], v[182:183], v[174:175]
	v_add_f64 v[116:117], v[116:117], -v[174:175]
	;; [unrolled: 8-line block ×29, first 2 shown]
	ds_read2_b64 v[174:177], v1 offset0:84 offset1:85
	s_waitcnt lgkmcnt(0)
	v_mul_f64 v[122:123], v[176:177], v[124:125]
	v_fma_f64 v[122:123], v[174:175], v[182:183], -v[122:123]
	v_mul_f64 v[174:175], v[174:175], v[124:125]
	v_add_f64 v[2:3], v[2:3], -v[122:123]
	v_fma_f64 v[174:175], v[176:177], v[182:183], v[174:175]
	v_mov_b32_e32 v122, v182
	v_mov_b32_e32 v123, v183
	v_add_f64 v[4:5], v[4:5], -v[174:175]
.LBB84_272:
	s_or_b32 exec_lo, exec_lo, s0
	v_lshl_add_u32 v174, v188, 4, v1
	s_barrier
	buffer_gl0_inv
	v_mov_b32_e32 v182, 13
	ds_write2_b64 v174, v[118:119], v[120:121] offset1:1
	s_waitcnt lgkmcnt(0)
	s_barrier
	buffer_gl0_inv
	ds_read2_b64 v[174:177], v1 offset0:26 offset1:27
	s_cmp_lt_i32 s18, 15
	s_cbranch_scc1 .LBB84_275
; %bb.273:
	v_add3_u32 v183, v184, 0, 0xe0
	v_mov_b32_e32 v182, 13
	s_mov_b32 s1, 14
	s_inst_prefetch 0x1
	.p2align	6
.LBB84_274:                             ; =>This Inner Loop Header: Depth=1
	s_waitcnt lgkmcnt(0)
	v_cmp_gt_f64_e32 vcc_lo, 0, v[176:177]
	v_cmp_gt_f64_e64 s0, 0, v[174:175]
	ds_read2_b64 v[189:192], v183 offset1:1
	v_xor_b32_e32 v194, 0x80000000, v175
	v_xor_b32_e32 v196, 0x80000000, v177
	v_mov_b32_e32 v193, v174
	v_mov_b32_e32 v195, v176
	v_add_nc_u32_e32 v183, 16, v183
	s_waitcnt lgkmcnt(0)
	v_xor_b32_e32 v198, 0x80000000, v192
	v_cndmask_b32_e64 v194, v175, v194, s0
	v_cndmask_b32_e32 v196, v177, v196, vcc_lo
	v_cmp_gt_f64_e32 vcc_lo, 0, v[191:192]
	v_cmp_gt_f64_e64 s0, 0, v[189:190]
	v_mov_b32_e32 v197, v191
	v_add_f64 v[193:194], v[193:194], v[195:196]
	v_xor_b32_e32 v196, 0x80000000, v190
	v_mov_b32_e32 v195, v189
	v_cndmask_b32_e32 v198, v192, v198, vcc_lo
	v_cndmask_b32_e64 v196, v190, v196, s0
	v_add_f64 v[195:196], v[195:196], v[197:198]
	v_cmp_lt_f64_e32 vcc_lo, v[193:194], v[195:196]
	v_cndmask_b32_e32 v175, v175, v190, vcc_lo
	v_cndmask_b32_e32 v174, v174, v189, vcc_lo
	;; [unrolled: 1-line block ×4, first 2 shown]
	v_cndmask_b32_e64 v182, v182, s1, vcc_lo
	s_add_i32 s1, s1, 1
	s_cmp_lg_u32 s18, s1
	s_cbranch_scc1 .LBB84_274
.LBB84_275:
	s_inst_prefetch 0x2
	s_waitcnt lgkmcnt(0)
	v_cmp_eq_f64_e32 vcc_lo, 0, v[174:175]
	v_cmp_eq_f64_e64 s0, 0, v[176:177]
	s_and_b32 s0, vcc_lo, s0
	s_and_saveexec_b32 s1, s0
	s_xor_b32 s0, exec_lo, s1
; %bb.276:
	v_cmp_ne_u32_e32 vcc_lo, 0, v187
	v_cndmask_b32_e32 v187, 14, v187, vcc_lo
; %bb.277:
	s_andn2_saveexec_b32 s0, s0
	s_cbranch_execz .LBB84_283
; %bb.278:
	v_cmp_ngt_f64_e64 s1, |v[174:175]|, |v[176:177]|
	s_and_saveexec_b32 s2, s1
	s_xor_b32 s1, exec_lo, s2
	s_cbranch_execz .LBB84_280
; %bb.279:
	v_div_scale_f64 v[189:190], null, v[176:177], v[176:177], v[174:175]
	v_div_scale_f64 v[195:196], vcc_lo, v[174:175], v[176:177], v[174:175]
	v_rcp_f64_e32 v[191:192], v[189:190]
	v_fma_f64 v[193:194], -v[189:190], v[191:192], 1.0
	v_fma_f64 v[191:192], v[191:192], v[193:194], v[191:192]
	v_fma_f64 v[193:194], -v[189:190], v[191:192], 1.0
	v_fma_f64 v[191:192], v[191:192], v[193:194], v[191:192]
	v_mul_f64 v[193:194], v[195:196], v[191:192]
	v_fma_f64 v[189:190], -v[189:190], v[193:194], v[195:196]
	v_div_fmas_f64 v[189:190], v[189:190], v[191:192], v[193:194]
	v_div_fixup_f64 v[189:190], v[189:190], v[176:177], v[174:175]
	v_fma_f64 v[174:175], v[174:175], v[189:190], v[176:177]
	v_div_scale_f64 v[176:177], null, v[174:175], v[174:175], 1.0
	v_rcp_f64_e32 v[191:192], v[176:177]
	v_fma_f64 v[193:194], -v[176:177], v[191:192], 1.0
	v_fma_f64 v[191:192], v[191:192], v[193:194], v[191:192]
	v_fma_f64 v[193:194], -v[176:177], v[191:192], 1.0
	v_fma_f64 v[191:192], v[191:192], v[193:194], v[191:192]
	v_div_scale_f64 v[193:194], vcc_lo, 1.0, v[174:175], 1.0
	v_mul_f64 v[195:196], v[193:194], v[191:192]
	v_fma_f64 v[176:177], -v[176:177], v[195:196], v[193:194]
	v_div_fmas_f64 v[176:177], v[176:177], v[191:192], v[195:196]
	v_div_fixup_f64 v[176:177], v[176:177], v[174:175], 1.0
	v_mul_f64 v[174:175], v[189:190], v[176:177]
	v_xor_b32_e32 v177, 0x80000000, v177
.LBB84_280:
	s_andn2_saveexec_b32 s1, s1
	s_cbranch_execz .LBB84_282
; %bb.281:
	v_div_scale_f64 v[189:190], null, v[174:175], v[174:175], v[176:177]
	v_div_scale_f64 v[195:196], vcc_lo, v[176:177], v[174:175], v[176:177]
	v_rcp_f64_e32 v[191:192], v[189:190]
	v_fma_f64 v[193:194], -v[189:190], v[191:192], 1.0
	v_fma_f64 v[191:192], v[191:192], v[193:194], v[191:192]
	v_fma_f64 v[193:194], -v[189:190], v[191:192], 1.0
	v_fma_f64 v[191:192], v[191:192], v[193:194], v[191:192]
	v_mul_f64 v[193:194], v[195:196], v[191:192]
	v_fma_f64 v[189:190], -v[189:190], v[193:194], v[195:196]
	v_div_fmas_f64 v[189:190], v[189:190], v[191:192], v[193:194]
	v_div_fixup_f64 v[189:190], v[189:190], v[174:175], v[176:177]
	v_fma_f64 v[174:175], v[176:177], v[189:190], v[174:175]
	v_div_scale_f64 v[176:177], null, v[174:175], v[174:175], 1.0
	v_rcp_f64_e32 v[191:192], v[176:177]
	v_fma_f64 v[193:194], -v[176:177], v[191:192], 1.0
	v_fma_f64 v[191:192], v[191:192], v[193:194], v[191:192]
	v_fma_f64 v[193:194], -v[176:177], v[191:192], 1.0
	v_fma_f64 v[191:192], v[191:192], v[193:194], v[191:192]
	v_div_scale_f64 v[193:194], vcc_lo, 1.0, v[174:175], 1.0
	v_mul_f64 v[195:196], v[193:194], v[191:192]
	v_fma_f64 v[176:177], -v[176:177], v[195:196], v[193:194]
	v_div_fmas_f64 v[176:177], v[176:177], v[191:192], v[195:196]
	v_div_fixup_f64 v[174:175], v[176:177], v[174:175], 1.0
	v_mul_f64 v[176:177], v[189:190], -v[174:175]
.LBB84_282:
	s_or_b32 exec_lo, exec_lo, s1
.LBB84_283:
	s_or_b32 exec_lo, exec_lo, s0
	s_mov_b32 s0, exec_lo
	v_cmpx_ne_u32_e64 v188, v182
	s_xor_b32 s0, exec_lo, s0
	s_cbranch_execz .LBB84_289
; %bb.284:
	s_mov_b32 s1, exec_lo
	v_cmpx_eq_u32_e32 13, v188
	s_cbranch_execz .LBB84_288
; %bb.285:
	v_cmp_ne_u32_e32 vcc_lo, 13, v182
	s_xor_b32 s2, s16, -1
	s_and_b32 s3, s2, vcc_lo
	s_and_saveexec_b32 s2, s3
	s_cbranch_execz .LBB84_287
; %bb.286:
	v_ashrrev_i32_e32 v183, 31, v182
	v_lshlrev_b64 v[188:189], 2, v[182:183]
	v_add_co_u32 v188, vcc_lo, v180, v188
	v_add_co_ci_u32_e64 v189, null, v181, v189, vcc_lo
	s_clause 0x1
	global_load_dword v0, v[188:189], off
	global_load_dword v183, v[180:181], off offset:52
	s_waitcnt vmcnt(1)
	global_store_dword v[180:181], v0, off offset:52
	s_waitcnt vmcnt(0)
	global_store_dword v[188:189], v183, off
.LBB84_287:
	s_or_b32 exec_lo, exec_lo, s2
	v_mov_b32_e32 v188, v182
	v_mov_b32_e32 v0, v182
.LBB84_288:
	s_or_b32 exec_lo, exec_lo, s1
.LBB84_289:
	s_andn2_saveexec_b32 s0, s0
	s_cbranch_execz .LBB84_291
; %bb.290:
	v_mov_b32_e32 v188, 13
	ds_write2_b64 v1, v[114:115], v[116:117] offset0:28 offset1:29
	ds_write2_b64 v1, v[110:111], v[112:113] offset0:30 offset1:31
	;; [unrolled: 1-line block ×29, first 2 shown]
.LBB84_291:
	s_or_b32 exec_lo, exec_lo, s0
	s_mov_b32 s0, exec_lo
	s_waitcnt lgkmcnt(0)
	s_waitcnt_vscnt null, 0x0
	s_barrier
	buffer_gl0_inv
	v_cmpx_lt_i32_e32 13, v188
	s_cbranch_execz .LBB84_293
; %bb.292:
	v_mul_f64 v[182:183], v[176:177], v[120:121]
	v_mul_f64 v[120:121], v[174:175], v[120:121]
	v_fma_f64 v[182:183], v[174:175], v[118:119], -v[182:183]
	v_fma_f64 v[120:121], v[176:177], v[118:119], v[120:121]
	ds_read2_b64 v[174:177], v1 offset0:28 offset1:29
	s_waitcnt lgkmcnt(0)
	v_mul_f64 v[118:119], v[176:177], v[120:121]
	v_fma_f64 v[118:119], v[174:175], v[182:183], -v[118:119]
	v_mul_f64 v[174:175], v[174:175], v[120:121]
	v_add_f64 v[114:115], v[114:115], -v[118:119]
	v_fma_f64 v[174:175], v[176:177], v[182:183], v[174:175]
	v_add_f64 v[116:117], v[116:117], -v[174:175]
	ds_read2_b64 v[174:177], v1 offset0:30 offset1:31
	s_waitcnt lgkmcnt(0)
	v_mul_f64 v[118:119], v[176:177], v[120:121]
	v_fma_f64 v[118:119], v[174:175], v[182:183], -v[118:119]
	v_mul_f64 v[174:175], v[174:175], v[120:121]
	v_add_f64 v[110:111], v[110:111], -v[118:119]
	v_fma_f64 v[174:175], v[176:177], v[182:183], v[174:175]
	v_add_f64 v[112:113], v[112:113], -v[174:175]
	;; [unrolled: 8-line block ×28, first 2 shown]
	ds_read2_b64 v[174:177], v1 offset0:84 offset1:85
	s_waitcnt lgkmcnt(0)
	v_mul_f64 v[118:119], v[176:177], v[120:121]
	v_fma_f64 v[118:119], v[174:175], v[182:183], -v[118:119]
	v_mul_f64 v[174:175], v[174:175], v[120:121]
	v_add_f64 v[2:3], v[2:3], -v[118:119]
	v_fma_f64 v[174:175], v[176:177], v[182:183], v[174:175]
	v_mov_b32_e32 v118, v182
	v_mov_b32_e32 v119, v183
	v_add_f64 v[4:5], v[4:5], -v[174:175]
.LBB84_293:
	s_or_b32 exec_lo, exec_lo, s0
	v_lshl_add_u32 v174, v188, 4, v1
	s_barrier
	buffer_gl0_inv
	v_mov_b32_e32 v182, 14
	ds_write2_b64 v174, v[114:115], v[116:117] offset1:1
	s_waitcnt lgkmcnt(0)
	s_barrier
	buffer_gl0_inv
	ds_read2_b64 v[174:177], v1 offset0:28 offset1:29
	s_cmp_lt_i32 s18, 16
	s_cbranch_scc1 .LBB84_296
; %bb.294:
	v_add3_u32 v183, v184, 0, 0xf0
	v_mov_b32_e32 v182, 14
	s_mov_b32 s1, 15
	s_inst_prefetch 0x1
	.p2align	6
.LBB84_295:                             ; =>This Inner Loop Header: Depth=1
	s_waitcnt lgkmcnt(0)
	v_cmp_gt_f64_e32 vcc_lo, 0, v[176:177]
	v_cmp_gt_f64_e64 s0, 0, v[174:175]
	ds_read2_b64 v[189:192], v183 offset1:1
	v_xor_b32_e32 v194, 0x80000000, v175
	v_xor_b32_e32 v196, 0x80000000, v177
	v_mov_b32_e32 v193, v174
	v_mov_b32_e32 v195, v176
	v_add_nc_u32_e32 v183, 16, v183
	s_waitcnt lgkmcnt(0)
	v_xor_b32_e32 v198, 0x80000000, v192
	v_cndmask_b32_e64 v194, v175, v194, s0
	v_cndmask_b32_e32 v196, v177, v196, vcc_lo
	v_cmp_gt_f64_e32 vcc_lo, 0, v[191:192]
	v_cmp_gt_f64_e64 s0, 0, v[189:190]
	v_mov_b32_e32 v197, v191
	v_add_f64 v[193:194], v[193:194], v[195:196]
	v_xor_b32_e32 v196, 0x80000000, v190
	v_mov_b32_e32 v195, v189
	v_cndmask_b32_e32 v198, v192, v198, vcc_lo
	v_cndmask_b32_e64 v196, v190, v196, s0
	v_add_f64 v[195:196], v[195:196], v[197:198]
	v_cmp_lt_f64_e32 vcc_lo, v[193:194], v[195:196]
	v_cndmask_b32_e32 v175, v175, v190, vcc_lo
	v_cndmask_b32_e32 v174, v174, v189, vcc_lo
	v_cndmask_b32_e32 v177, v177, v192, vcc_lo
	v_cndmask_b32_e32 v176, v176, v191, vcc_lo
	v_cndmask_b32_e64 v182, v182, s1, vcc_lo
	s_add_i32 s1, s1, 1
	s_cmp_lg_u32 s18, s1
	s_cbranch_scc1 .LBB84_295
.LBB84_296:
	s_inst_prefetch 0x2
	s_waitcnt lgkmcnt(0)
	v_cmp_eq_f64_e32 vcc_lo, 0, v[174:175]
	v_cmp_eq_f64_e64 s0, 0, v[176:177]
	s_and_b32 s0, vcc_lo, s0
	s_and_saveexec_b32 s1, s0
	s_xor_b32 s0, exec_lo, s1
; %bb.297:
	v_cmp_ne_u32_e32 vcc_lo, 0, v187
	v_cndmask_b32_e32 v187, 15, v187, vcc_lo
; %bb.298:
	s_andn2_saveexec_b32 s0, s0
	s_cbranch_execz .LBB84_304
; %bb.299:
	v_cmp_ngt_f64_e64 s1, |v[174:175]|, |v[176:177]|
	s_and_saveexec_b32 s2, s1
	s_xor_b32 s1, exec_lo, s2
	s_cbranch_execz .LBB84_301
; %bb.300:
	v_div_scale_f64 v[189:190], null, v[176:177], v[176:177], v[174:175]
	v_div_scale_f64 v[195:196], vcc_lo, v[174:175], v[176:177], v[174:175]
	v_rcp_f64_e32 v[191:192], v[189:190]
	v_fma_f64 v[193:194], -v[189:190], v[191:192], 1.0
	v_fma_f64 v[191:192], v[191:192], v[193:194], v[191:192]
	v_fma_f64 v[193:194], -v[189:190], v[191:192], 1.0
	v_fma_f64 v[191:192], v[191:192], v[193:194], v[191:192]
	v_mul_f64 v[193:194], v[195:196], v[191:192]
	v_fma_f64 v[189:190], -v[189:190], v[193:194], v[195:196]
	v_div_fmas_f64 v[189:190], v[189:190], v[191:192], v[193:194]
	v_div_fixup_f64 v[189:190], v[189:190], v[176:177], v[174:175]
	v_fma_f64 v[174:175], v[174:175], v[189:190], v[176:177]
	v_div_scale_f64 v[176:177], null, v[174:175], v[174:175], 1.0
	v_rcp_f64_e32 v[191:192], v[176:177]
	v_fma_f64 v[193:194], -v[176:177], v[191:192], 1.0
	v_fma_f64 v[191:192], v[191:192], v[193:194], v[191:192]
	v_fma_f64 v[193:194], -v[176:177], v[191:192], 1.0
	v_fma_f64 v[191:192], v[191:192], v[193:194], v[191:192]
	v_div_scale_f64 v[193:194], vcc_lo, 1.0, v[174:175], 1.0
	v_mul_f64 v[195:196], v[193:194], v[191:192]
	v_fma_f64 v[176:177], -v[176:177], v[195:196], v[193:194]
	v_div_fmas_f64 v[176:177], v[176:177], v[191:192], v[195:196]
	v_div_fixup_f64 v[176:177], v[176:177], v[174:175], 1.0
	v_mul_f64 v[174:175], v[189:190], v[176:177]
	v_xor_b32_e32 v177, 0x80000000, v177
.LBB84_301:
	s_andn2_saveexec_b32 s1, s1
	s_cbranch_execz .LBB84_303
; %bb.302:
	v_div_scale_f64 v[189:190], null, v[174:175], v[174:175], v[176:177]
	v_div_scale_f64 v[195:196], vcc_lo, v[176:177], v[174:175], v[176:177]
	v_rcp_f64_e32 v[191:192], v[189:190]
	v_fma_f64 v[193:194], -v[189:190], v[191:192], 1.0
	v_fma_f64 v[191:192], v[191:192], v[193:194], v[191:192]
	v_fma_f64 v[193:194], -v[189:190], v[191:192], 1.0
	v_fma_f64 v[191:192], v[191:192], v[193:194], v[191:192]
	v_mul_f64 v[193:194], v[195:196], v[191:192]
	v_fma_f64 v[189:190], -v[189:190], v[193:194], v[195:196]
	v_div_fmas_f64 v[189:190], v[189:190], v[191:192], v[193:194]
	v_div_fixup_f64 v[189:190], v[189:190], v[174:175], v[176:177]
	v_fma_f64 v[174:175], v[176:177], v[189:190], v[174:175]
	v_div_scale_f64 v[176:177], null, v[174:175], v[174:175], 1.0
	v_rcp_f64_e32 v[191:192], v[176:177]
	v_fma_f64 v[193:194], -v[176:177], v[191:192], 1.0
	v_fma_f64 v[191:192], v[191:192], v[193:194], v[191:192]
	v_fma_f64 v[193:194], -v[176:177], v[191:192], 1.0
	v_fma_f64 v[191:192], v[191:192], v[193:194], v[191:192]
	v_div_scale_f64 v[193:194], vcc_lo, 1.0, v[174:175], 1.0
	v_mul_f64 v[195:196], v[193:194], v[191:192]
	v_fma_f64 v[176:177], -v[176:177], v[195:196], v[193:194]
	v_div_fmas_f64 v[176:177], v[176:177], v[191:192], v[195:196]
	v_div_fixup_f64 v[174:175], v[176:177], v[174:175], 1.0
	v_mul_f64 v[176:177], v[189:190], -v[174:175]
.LBB84_303:
	s_or_b32 exec_lo, exec_lo, s1
.LBB84_304:
	s_or_b32 exec_lo, exec_lo, s0
	s_mov_b32 s0, exec_lo
	v_cmpx_ne_u32_e64 v188, v182
	s_xor_b32 s0, exec_lo, s0
	s_cbranch_execz .LBB84_310
; %bb.305:
	s_mov_b32 s1, exec_lo
	v_cmpx_eq_u32_e32 14, v188
	s_cbranch_execz .LBB84_309
; %bb.306:
	v_cmp_ne_u32_e32 vcc_lo, 14, v182
	s_xor_b32 s2, s16, -1
	s_and_b32 s3, s2, vcc_lo
	s_and_saveexec_b32 s2, s3
	s_cbranch_execz .LBB84_308
; %bb.307:
	v_ashrrev_i32_e32 v183, 31, v182
	v_lshlrev_b64 v[188:189], 2, v[182:183]
	v_add_co_u32 v188, vcc_lo, v180, v188
	v_add_co_ci_u32_e64 v189, null, v181, v189, vcc_lo
	s_clause 0x1
	global_load_dword v0, v[188:189], off
	global_load_dword v183, v[180:181], off offset:56
	s_waitcnt vmcnt(1)
	global_store_dword v[180:181], v0, off offset:56
	s_waitcnt vmcnt(0)
	global_store_dword v[188:189], v183, off
.LBB84_308:
	s_or_b32 exec_lo, exec_lo, s2
	v_mov_b32_e32 v188, v182
	v_mov_b32_e32 v0, v182
.LBB84_309:
	s_or_b32 exec_lo, exec_lo, s1
.LBB84_310:
	s_andn2_saveexec_b32 s0, s0
	s_cbranch_execz .LBB84_312
; %bb.311:
	v_mov_b32_e32 v188, 14
	ds_write2_b64 v1, v[110:111], v[112:113] offset0:30 offset1:31
	ds_write2_b64 v1, v[106:107], v[108:109] offset0:32 offset1:33
	;; [unrolled: 1-line block ×28, first 2 shown]
.LBB84_312:
	s_or_b32 exec_lo, exec_lo, s0
	s_mov_b32 s0, exec_lo
	s_waitcnt lgkmcnt(0)
	s_waitcnt_vscnt null, 0x0
	s_barrier
	buffer_gl0_inv
	v_cmpx_lt_i32_e32 14, v188
	s_cbranch_execz .LBB84_314
; %bb.313:
	v_mul_f64 v[182:183], v[176:177], v[116:117]
	v_mul_f64 v[116:117], v[174:175], v[116:117]
	v_fma_f64 v[182:183], v[174:175], v[114:115], -v[182:183]
	v_fma_f64 v[116:117], v[176:177], v[114:115], v[116:117]
	ds_read2_b64 v[174:177], v1 offset0:30 offset1:31
	s_waitcnt lgkmcnt(0)
	v_mul_f64 v[114:115], v[176:177], v[116:117]
	v_fma_f64 v[114:115], v[174:175], v[182:183], -v[114:115]
	v_mul_f64 v[174:175], v[174:175], v[116:117]
	v_add_f64 v[110:111], v[110:111], -v[114:115]
	v_fma_f64 v[174:175], v[176:177], v[182:183], v[174:175]
	v_add_f64 v[112:113], v[112:113], -v[174:175]
	ds_read2_b64 v[174:177], v1 offset0:32 offset1:33
	s_waitcnt lgkmcnt(0)
	v_mul_f64 v[114:115], v[176:177], v[116:117]
	v_fma_f64 v[114:115], v[174:175], v[182:183], -v[114:115]
	v_mul_f64 v[174:175], v[174:175], v[116:117]
	v_add_f64 v[106:107], v[106:107], -v[114:115]
	v_fma_f64 v[174:175], v[176:177], v[182:183], v[174:175]
	v_add_f64 v[108:109], v[108:109], -v[174:175]
	;; [unrolled: 8-line block ×27, first 2 shown]
	ds_read2_b64 v[174:177], v1 offset0:84 offset1:85
	s_waitcnt lgkmcnt(0)
	v_mul_f64 v[114:115], v[176:177], v[116:117]
	v_fma_f64 v[114:115], v[174:175], v[182:183], -v[114:115]
	v_mul_f64 v[174:175], v[174:175], v[116:117]
	v_add_f64 v[2:3], v[2:3], -v[114:115]
	v_fma_f64 v[174:175], v[176:177], v[182:183], v[174:175]
	v_mov_b32_e32 v114, v182
	v_mov_b32_e32 v115, v183
	v_add_f64 v[4:5], v[4:5], -v[174:175]
.LBB84_314:
	s_or_b32 exec_lo, exec_lo, s0
	v_lshl_add_u32 v174, v188, 4, v1
	s_barrier
	buffer_gl0_inv
	v_mov_b32_e32 v182, 15
	ds_write2_b64 v174, v[110:111], v[112:113] offset1:1
	s_waitcnt lgkmcnt(0)
	s_barrier
	buffer_gl0_inv
	ds_read2_b64 v[174:177], v1 offset0:30 offset1:31
	s_cmp_lt_i32 s18, 17
	s_cbranch_scc1 .LBB84_317
; %bb.315:
	v_add3_u32 v183, v184, 0, 0x100
	v_mov_b32_e32 v182, 15
	s_mov_b32 s1, 16
	s_inst_prefetch 0x1
	.p2align	6
.LBB84_316:                             ; =>This Inner Loop Header: Depth=1
	s_waitcnt lgkmcnt(0)
	v_cmp_gt_f64_e32 vcc_lo, 0, v[176:177]
	v_cmp_gt_f64_e64 s0, 0, v[174:175]
	ds_read2_b64 v[189:192], v183 offset1:1
	v_xor_b32_e32 v194, 0x80000000, v175
	v_xor_b32_e32 v196, 0x80000000, v177
	v_mov_b32_e32 v193, v174
	v_mov_b32_e32 v195, v176
	v_add_nc_u32_e32 v183, 16, v183
	s_waitcnt lgkmcnt(0)
	v_xor_b32_e32 v198, 0x80000000, v192
	v_cndmask_b32_e64 v194, v175, v194, s0
	v_cndmask_b32_e32 v196, v177, v196, vcc_lo
	v_cmp_gt_f64_e32 vcc_lo, 0, v[191:192]
	v_cmp_gt_f64_e64 s0, 0, v[189:190]
	v_mov_b32_e32 v197, v191
	v_add_f64 v[193:194], v[193:194], v[195:196]
	v_xor_b32_e32 v196, 0x80000000, v190
	v_mov_b32_e32 v195, v189
	v_cndmask_b32_e32 v198, v192, v198, vcc_lo
	v_cndmask_b32_e64 v196, v190, v196, s0
	v_add_f64 v[195:196], v[195:196], v[197:198]
	v_cmp_lt_f64_e32 vcc_lo, v[193:194], v[195:196]
	v_cndmask_b32_e32 v175, v175, v190, vcc_lo
	v_cndmask_b32_e32 v174, v174, v189, vcc_lo
	;; [unrolled: 1-line block ×4, first 2 shown]
	v_cndmask_b32_e64 v182, v182, s1, vcc_lo
	s_add_i32 s1, s1, 1
	s_cmp_lg_u32 s18, s1
	s_cbranch_scc1 .LBB84_316
.LBB84_317:
	s_inst_prefetch 0x2
	s_waitcnt lgkmcnt(0)
	v_cmp_eq_f64_e32 vcc_lo, 0, v[174:175]
	v_cmp_eq_f64_e64 s0, 0, v[176:177]
	s_and_b32 s0, vcc_lo, s0
	s_and_saveexec_b32 s1, s0
	s_xor_b32 s0, exec_lo, s1
; %bb.318:
	v_cmp_ne_u32_e32 vcc_lo, 0, v187
	v_cndmask_b32_e32 v187, 16, v187, vcc_lo
; %bb.319:
	s_andn2_saveexec_b32 s0, s0
	s_cbranch_execz .LBB84_325
; %bb.320:
	v_cmp_ngt_f64_e64 s1, |v[174:175]|, |v[176:177]|
	s_and_saveexec_b32 s2, s1
	s_xor_b32 s1, exec_lo, s2
	s_cbranch_execz .LBB84_322
; %bb.321:
	v_div_scale_f64 v[189:190], null, v[176:177], v[176:177], v[174:175]
	v_div_scale_f64 v[195:196], vcc_lo, v[174:175], v[176:177], v[174:175]
	v_rcp_f64_e32 v[191:192], v[189:190]
	v_fma_f64 v[193:194], -v[189:190], v[191:192], 1.0
	v_fma_f64 v[191:192], v[191:192], v[193:194], v[191:192]
	v_fma_f64 v[193:194], -v[189:190], v[191:192], 1.0
	v_fma_f64 v[191:192], v[191:192], v[193:194], v[191:192]
	v_mul_f64 v[193:194], v[195:196], v[191:192]
	v_fma_f64 v[189:190], -v[189:190], v[193:194], v[195:196]
	v_div_fmas_f64 v[189:190], v[189:190], v[191:192], v[193:194]
	v_div_fixup_f64 v[189:190], v[189:190], v[176:177], v[174:175]
	v_fma_f64 v[174:175], v[174:175], v[189:190], v[176:177]
	v_div_scale_f64 v[176:177], null, v[174:175], v[174:175], 1.0
	v_rcp_f64_e32 v[191:192], v[176:177]
	v_fma_f64 v[193:194], -v[176:177], v[191:192], 1.0
	v_fma_f64 v[191:192], v[191:192], v[193:194], v[191:192]
	v_fma_f64 v[193:194], -v[176:177], v[191:192], 1.0
	v_fma_f64 v[191:192], v[191:192], v[193:194], v[191:192]
	v_div_scale_f64 v[193:194], vcc_lo, 1.0, v[174:175], 1.0
	v_mul_f64 v[195:196], v[193:194], v[191:192]
	v_fma_f64 v[176:177], -v[176:177], v[195:196], v[193:194]
	v_div_fmas_f64 v[176:177], v[176:177], v[191:192], v[195:196]
	v_div_fixup_f64 v[176:177], v[176:177], v[174:175], 1.0
	v_mul_f64 v[174:175], v[189:190], v[176:177]
	v_xor_b32_e32 v177, 0x80000000, v177
.LBB84_322:
	s_andn2_saveexec_b32 s1, s1
	s_cbranch_execz .LBB84_324
; %bb.323:
	v_div_scale_f64 v[189:190], null, v[174:175], v[174:175], v[176:177]
	v_div_scale_f64 v[195:196], vcc_lo, v[176:177], v[174:175], v[176:177]
	v_rcp_f64_e32 v[191:192], v[189:190]
	v_fma_f64 v[193:194], -v[189:190], v[191:192], 1.0
	v_fma_f64 v[191:192], v[191:192], v[193:194], v[191:192]
	v_fma_f64 v[193:194], -v[189:190], v[191:192], 1.0
	v_fma_f64 v[191:192], v[191:192], v[193:194], v[191:192]
	v_mul_f64 v[193:194], v[195:196], v[191:192]
	v_fma_f64 v[189:190], -v[189:190], v[193:194], v[195:196]
	v_div_fmas_f64 v[189:190], v[189:190], v[191:192], v[193:194]
	v_div_fixup_f64 v[189:190], v[189:190], v[174:175], v[176:177]
	v_fma_f64 v[174:175], v[176:177], v[189:190], v[174:175]
	v_div_scale_f64 v[176:177], null, v[174:175], v[174:175], 1.0
	v_rcp_f64_e32 v[191:192], v[176:177]
	v_fma_f64 v[193:194], -v[176:177], v[191:192], 1.0
	v_fma_f64 v[191:192], v[191:192], v[193:194], v[191:192]
	v_fma_f64 v[193:194], -v[176:177], v[191:192], 1.0
	v_fma_f64 v[191:192], v[191:192], v[193:194], v[191:192]
	v_div_scale_f64 v[193:194], vcc_lo, 1.0, v[174:175], 1.0
	v_mul_f64 v[195:196], v[193:194], v[191:192]
	v_fma_f64 v[176:177], -v[176:177], v[195:196], v[193:194]
	v_div_fmas_f64 v[176:177], v[176:177], v[191:192], v[195:196]
	v_div_fixup_f64 v[174:175], v[176:177], v[174:175], 1.0
	v_mul_f64 v[176:177], v[189:190], -v[174:175]
.LBB84_324:
	s_or_b32 exec_lo, exec_lo, s1
.LBB84_325:
	s_or_b32 exec_lo, exec_lo, s0
	s_mov_b32 s0, exec_lo
	v_cmpx_ne_u32_e64 v188, v182
	s_xor_b32 s0, exec_lo, s0
	s_cbranch_execz .LBB84_331
; %bb.326:
	s_mov_b32 s1, exec_lo
	v_cmpx_eq_u32_e32 15, v188
	s_cbranch_execz .LBB84_330
; %bb.327:
	v_cmp_ne_u32_e32 vcc_lo, 15, v182
	s_xor_b32 s2, s16, -1
	s_and_b32 s3, s2, vcc_lo
	s_and_saveexec_b32 s2, s3
	s_cbranch_execz .LBB84_329
; %bb.328:
	v_ashrrev_i32_e32 v183, 31, v182
	v_lshlrev_b64 v[188:189], 2, v[182:183]
	v_add_co_u32 v188, vcc_lo, v180, v188
	v_add_co_ci_u32_e64 v189, null, v181, v189, vcc_lo
	s_clause 0x1
	global_load_dword v0, v[188:189], off
	global_load_dword v183, v[180:181], off offset:60
	s_waitcnt vmcnt(1)
	global_store_dword v[180:181], v0, off offset:60
	s_waitcnt vmcnt(0)
	global_store_dword v[188:189], v183, off
.LBB84_329:
	s_or_b32 exec_lo, exec_lo, s2
	v_mov_b32_e32 v188, v182
	v_mov_b32_e32 v0, v182
.LBB84_330:
	s_or_b32 exec_lo, exec_lo, s1
.LBB84_331:
	s_andn2_saveexec_b32 s0, s0
	s_cbranch_execz .LBB84_333
; %bb.332:
	v_mov_b32_e32 v188, 15
	ds_write2_b64 v1, v[106:107], v[108:109] offset0:32 offset1:33
	ds_write2_b64 v1, v[102:103], v[104:105] offset0:34 offset1:35
	;; [unrolled: 1-line block ×27, first 2 shown]
.LBB84_333:
	s_or_b32 exec_lo, exec_lo, s0
	s_mov_b32 s0, exec_lo
	s_waitcnt lgkmcnt(0)
	s_waitcnt_vscnt null, 0x0
	s_barrier
	buffer_gl0_inv
	v_cmpx_lt_i32_e32 15, v188
	s_cbranch_execz .LBB84_335
; %bb.334:
	v_mul_f64 v[182:183], v[176:177], v[112:113]
	v_mul_f64 v[112:113], v[174:175], v[112:113]
	v_fma_f64 v[182:183], v[174:175], v[110:111], -v[182:183]
	v_fma_f64 v[112:113], v[176:177], v[110:111], v[112:113]
	ds_read2_b64 v[174:177], v1 offset0:32 offset1:33
	s_waitcnt lgkmcnt(0)
	v_mul_f64 v[110:111], v[176:177], v[112:113]
	v_fma_f64 v[110:111], v[174:175], v[182:183], -v[110:111]
	v_mul_f64 v[174:175], v[174:175], v[112:113]
	v_add_f64 v[106:107], v[106:107], -v[110:111]
	v_fma_f64 v[174:175], v[176:177], v[182:183], v[174:175]
	v_add_f64 v[108:109], v[108:109], -v[174:175]
	ds_read2_b64 v[174:177], v1 offset0:34 offset1:35
	s_waitcnt lgkmcnt(0)
	v_mul_f64 v[110:111], v[176:177], v[112:113]
	v_fma_f64 v[110:111], v[174:175], v[182:183], -v[110:111]
	v_mul_f64 v[174:175], v[174:175], v[112:113]
	v_add_f64 v[102:103], v[102:103], -v[110:111]
	v_fma_f64 v[174:175], v[176:177], v[182:183], v[174:175]
	v_add_f64 v[104:105], v[104:105], -v[174:175]
	;; [unrolled: 8-line block ×26, first 2 shown]
	ds_read2_b64 v[174:177], v1 offset0:84 offset1:85
	s_waitcnt lgkmcnt(0)
	v_mul_f64 v[110:111], v[176:177], v[112:113]
	v_fma_f64 v[110:111], v[174:175], v[182:183], -v[110:111]
	v_mul_f64 v[174:175], v[174:175], v[112:113]
	v_add_f64 v[2:3], v[2:3], -v[110:111]
	v_fma_f64 v[174:175], v[176:177], v[182:183], v[174:175]
	v_mov_b32_e32 v110, v182
	v_mov_b32_e32 v111, v183
	v_add_f64 v[4:5], v[4:5], -v[174:175]
.LBB84_335:
	s_or_b32 exec_lo, exec_lo, s0
	v_lshl_add_u32 v174, v188, 4, v1
	s_barrier
	buffer_gl0_inv
	v_mov_b32_e32 v182, 16
	ds_write2_b64 v174, v[106:107], v[108:109] offset1:1
	s_waitcnt lgkmcnt(0)
	s_barrier
	buffer_gl0_inv
	ds_read2_b64 v[174:177], v1 offset0:32 offset1:33
	s_cmp_lt_i32 s18, 18
	s_cbranch_scc1 .LBB84_338
; %bb.336:
	v_add3_u32 v183, v184, 0, 0x110
	v_mov_b32_e32 v182, 16
	s_mov_b32 s1, 17
	s_inst_prefetch 0x1
	.p2align	6
.LBB84_337:                             ; =>This Inner Loop Header: Depth=1
	s_waitcnt lgkmcnt(0)
	v_cmp_gt_f64_e32 vcc_lo, 0, v[176:177]
	v_cmp_gt_f64_e64 s0, 0, v[174:175]
	ds_read2_b64 v[189:192], v183 offset1:1
	v_xor_b32_e32 v194, 0x80000000, v175
	v_xor_b32_e32 v196, 0x80000000, v177
	v_mov_b32_e32 v193, v174
	v_mov_b32_e32 v195, v176
	v_add_nc_u32_e32 v183, 16, v183
	s_waitcnt lgkmcnt(0)
	v_xor_b32_e32 v198, 0x80000000, v192
	v_cndmask_b32_e64 v194, v175, v194, s0
	v_cndmask_b32_e32 v196, v177, v196, vcc_lo
	v_cmp_gt_f64_e32 vcc_lo, 0, v[191:192]
	v_cmp_gt_f64_e64 s0, 0, v[189:190]
	v_mov_b32_e32 v197, v191
	v_add_f64 v[193:194], v[193:194], v[195:196]
	v_xor_b32_e32 v196, 0x80000000, v190
	v_mov_b32_e32 v195, v189
	v_cndmask_b32_e32 v198, v192, v198, vcc_lo
	v_cndmask_b32_e64 v196, v190, v196, s0
	v_add_f64 v[195:196], v[195:196], v[197:198]
	v_cmp_lt_f64_e32 vcc_lo, v[193:194], v[195:196]
	v_cndmask_b32_e32 v175, v175, v190, vcc_lo
	v_cndmask_b32_e32 v174, v174, v189, vcc_lo
	;; [unrolled: 1-line block ×4, first 2 shown]
	v_cndmask_b32_e64 v182, v182, s1, vcc_lo
	s_add_i32 s1, s1, 1
	s_cmp_lg_u32 s18, s1
	s_cbranch_scc1 .LBB84_337
.LBB84_338:
	s_inst_prefetch 0x2
	s_waitcnt lgkmcnt(0)
	v_cmp_eq_f64_e32 vcc_lo, 0, v[174:175]
	v_cmp_eq_f64_e64 s0, 0, v[176:177]
	s_and_b32 s0, vcc_lo, s0
	s_and_saveexec_b32 s1, s0
	s_xor_b32 s0, exec_lo, s1
; %bb.339:
	v_cmp_ne_u32_e32 vcc_lo, 0, v187
	v_cndmask_b32_e32 v187, 17, v187, vcc_lo
; %bb.340:
	s_andn2_saveexec_b32 s0, s0
	s_cbranch_execz .LBB84_346
; %bb.341:
	v_cmp_ngt_f64_e64 s1, |v[174:175]|, |v[176:177]|
	s_and_saveexec_b32 s2, s1
	s_xor_b32 s1, exec_lo, s2
	s_cbranch_execz .LBB84_343
; %bb.342:
	v_div_scale_f64 v[189:190], null, v[176:177], v[176:177], v[174:175]
	v_div_scale_f64 v[195:196], vcc_lo, v[174:175], v[176:177], v[174:175]
	v_rcp_f64_e32 v[191:192], v[189:190]
	v_fma_f64 v[193:194], -v[189:190], v[191:192], 1.0
	v_fma_f64 v[191:192], v[191:192], v[193:194], v[191:192]
	v_fma_f64 v[193:194], -v[189:190], v[191:192], 1.0
	v_fma_f64 v[191:192], v[191:192], v[193:194], v[191:192]
	v_mul_f64 v[193:194], v[195:196], v[191:192]
	v_fma_f64 v[189:190], -v[189:190], v[193:194], v[195:196]
	v_div_fmas_f64 v[189:190], v[189:190], v[191:192], v[193:194]
	v_div_fixup_f64 v[189:190], v[189:190], v[176:177], v[174:175]
	v_fma_f64 v[174:175], v[174:175], v[189:190], v[176:177]
	v_div_scale_f64 v[176:177], null, v[174:175], v[174:175], 1.0
	v_rcp_f64_e32 v[191:192], v[176:177]
	v_fma_f64 v[193:194], -v[176:177], v[191:192], 1.0
	v_fma_f64 v[191:192], v[191:192], v[193:194], v[191:192]
	v_fma_f64 v[193:194], -v[176:177], v[191:192], 1.0
	v_fma_f64 v[191:192], v[191:192], v[193:194], v[191:192]
	v_div_scale_f64 v[193:194], vcc_lo, 1.0, v[174:175], 1.0
	v_mul_f64 v[195:196], v[193:194], v[191:192]
	v_fma_f64 v[176:177], -v[176:177], v[195:196], v[193:194]
	v_div_fmas_f64 v[176:177], v[176:177], v[191:192], v[195:196]
	v_div_fixup_f64 v[176:177], v[176:177], v[174:175], 1.0
	v_mul_f64 v[174:175], v[189:190], v[176:177]
	v_xor_b32_e32 v177, 0x80000000, v177
.LBB84_343:
	s_andn2_saveexec_b32 s1, s1
	s_cbranch_execz .LBB84_345
; %bb.344:
	v_div_scale_f64 v[189:190], null, v[174:175], v[174:175], v[176:177]
	v_div_scale_f64 v[195:196], vcc_lo, v[176:177], v[174:175], v[176:177]
	v_rcp_f64_e32 v[191:192], v[189:190]
	v_fma_f64 v[193:194], -v[189:190], v[191:192], 1.0
	v_fma_f64 v[191:192], v[191:192], v[193:194], v[191:192]
	v_fma_f64 v[193:194], -v[189:190], v[191:192], 1.0
	v_fma_f64 v[191:192], v[191:192], v[193:194], v[191:192]
	v_mul_f64 v[193:194], v[195:196], v[191:192]
	v_fma_f64 v[189:190], -v[189:190], v[193:194], v[195:196]
	v_div_fmas_f64 v[189:190], v[189:190], v[191:192], v[193:194]
	v_div_fixup_f64 v[189:190], v[189:190], v[174:175], v[176:177]
	v_fma_f64 v[174:175], v[176:177], v[189:190], v[174:175]
	v_div_scale_f64 v[176:177], null, v[174:175], v[174:175], 1.0
	v_rcp_f64_e32 v[191:192], v[176:177]
	v_fma_f64 v[193:194], -v[176:177], v[191:192], 1.0
	v_fma_f64 v[191:192], v[191:192], v[193:194], v[191:192]
	v_fma_f64 v[193:194], -v[176:177], v[191:192], 1.0
	v_fma_f64 v[191:192], v[191:192], v[193:194], v[191:192]
	v_div_scale_f64 v[193:194], vcc_lo, 1.0, v[174:175], 1.0
	v_mul_f64 v[195:196], v[193:194], v[191:192]
	v_fma_f64 v[176:177], -v[176:177], v[195:196], v[193:194]
	v_div_fmas_f64 v[176:177], v[176:177], v[191:192], v[195:196]
	v_div_fixup_f64 v[174:175], v[176:177], v[174:175], 1.0
	v_mul_f64 v[176:177], v[189:190], -v[174:175]
.LBB84_345:
	s_or_b32 exec_lo, exec_lo, s1
.LBB84_346:
	s_or_b32 exec_lo, exec_lo, s0
	s_mov_b32 s0, exec_lo
	v_cmpx_ne_u32_e64 v188, v182
	s_xor_b32 s0, exec_lo, s0
	s_cbranch_execz .LBB84_352
; %bb.347:
	s_mov_b32 s1, exec_lo
	v_cmpx_eq_u32_e32 16, v188
	s_cbranch_execz .LBB84_351
; %bb.348:
	v_cmp_ne_u32_e32 vcc_lo, 16, v182
	s_xor_b32 s2, s16, -1
	s_and_b32 s3, s2, vcc_lo
	s_and_saveexec_b32 s2, s3
	s_cbranch_execz .LBB84_350
; %bb.349:
	v_ashrrev_i32_e32 v183, 31, v182
	v_lshlrev_b64 v[188:189], 2, v[182:183]
	v_add_co_u32 v188, vcc_lo, v180, v188
	v_add_co_ci_u32_e64 v189, null, v181, v189, vcc_lo
	s_clause 0x1
	global_load_dword v0, v[188:189], off
	global_load_dword v183, v[180:181], off offset:64
	s_waitcnt vmcnt(1)
	global_store_dword v[180:181], v0, off offset:64
	s_waitcnt vmcnt(0)
	global_store_dword v[188:189], v183, off
.LBB84_350:
	s_or_b32 exec_lo, exec_lo, s2
	v_mov_b32_e32 v188, v182
	v_mov_b32_e32 v0, v182
.LBB84_351:
	s_or_b32 exec_lo, exec_lo, s1
.LBB84_352:
	s_andn2_saveexec_b32 s0, s0
	s_cbranch_execz .LBB84_354
; %bb.353:
	v_mov_b32_e32 v188, 16
	ds_write2_b64 v1, v[102:103], v[104:105] offset0:34 offset1:35
	ds_write2_b64 v1, v[98:99], v[100:101] offset0:36 offset1:37
	;; [unrolled: 1-line block ×26, first 2 shown]
.LBB84_354:
	s_or_b32 exec_lo, exec_lo, s0
	s_mov_b32 s0, exec_lo
	s_waitcnt lgkmcnt(0)
	s_waitcnt_vscnt null, 0x0
	s_barrier
	buffer_gl0_inv
	v_cmpx_lt_i32_e32 16, v188
	s_cbranch_execz .LBB84_356
; %bb.355:
	v_mul_f64 v[182:183], v[176:177], v[108:109]
	v_mul_f64 v[108:109], v[174:175], v[108:109]
	v_fma_f64 v[182:183], v[174:175], v[106:107], -v[182:183]
	v_fma_f64 v[108:109], v[176:177], v[106:107], v[108:109]
	ds_read2_b64 v[174:177], v1 offset0:34 offset1:35
	s_waitcnt lgkmcnt(0)
	v_mul_f64 v[106:107], v[176:177], v[108:109]
	v_fma_f64 v[106:107], v[174:175], v[182:183], -v[106:107]
	v_mul_f64 v[174:175], v[174:175], v[108:109]
	v_add_f64 v[102:103], v[102:103], -v[106:107]
	v_fma_f64 v[174:175], v[176:177], v[182:183], v[174:175]
	v_add_f64 v[104:105], v[104:105], -v[174:175]
	ds_read2_b64 v[174:177], v1 offset0:36 offset1:37
	s_waitcnt lgkmcnt(0)
	v_mul_f64 v[106:107], v[176:177], v[108:109]
	v_fma_f64 v[106:107], v[174:175], v[182:183], -v[106:107]
	v_mul_f64 v[174:175], v[174:175], v[108:109]
	v_add_f64 v[98:99], v[98:99], -v[106:107]
	v_fma_f64 v[174:175], v[176:177], v[182:183], v[174:175]
	v_add_f64 v[100:101], v[100:101], -v[174:175]
	;; [unrolled: 8-line block ×25, first 2 shown]
	ds_read2_b64 v[174:177], v1 offset0:84 offset1:85
	s_waitcnt lgkmcnt(0)
	v_mul_f64 v[106:107], v[176:177], v[108:109]
	v_fma_f64 v[106:107], v[174:175], v[182:183], -v[106:107]
	v_mul_f64 v[174:175], v[174:175], v[108:109]
	v_add_f64 v[2:3], v[2:3], -v[106:107]
	v_fma_f64 v[174:175], v[176:177], v[182:183], v[174:175]
	v_mov_b32_e32 v106, v182
	v_mov_b32_e32 v107, v183
	v_add_f64 v[4:5], v[4:5], -v[174:175]
.LBB84_356:
	s_or_b32 exec_lo, exec_lo, s0
	v_lshl_add_u32 v174, v188, 4, v1
	s_barrier
	buffer_gl0_inv
	v_mov_b32_e32 v182, 17
	ds_write2_b64 v174, v[102:103], v[104:105] offset1:1
	s_waitcnt lgkmcnt(0)
	s_barrier
	buffer_gl0_inv
	ds_read2_b64 v[174:177], v1 offset0:34 offset1:35
	s_cmp_lt_i32 s18, 19
	s_cbranch_scc1 .LBB84_359
; %bb.357:
	v_add3_u32 v183, v184, 0, 0x120
	v_mov_b32_e32 v182, 17
	s_mov_b32 s1, 18
	s_inst_prefetch 0x1
	.p2align	6
.LBB84_358:                             ; =>This Inner Loop Header: Depth=1
	s_waitcnt lgkmcnt(0)
	v_cmp_gt_f64_e32 vcc_lo, 0, v[176:177]
	v_cmp_gt_f64_e64 s0, 0, v[174:175]
	ds_read2_b64 v[189:192], v183 offset1:1
	v_xor_b32_e32 v194, 0x80000000, v175
	v_xor_b32_e32 v196, 0x80000000, v177
	v_mov_b32_e32 v193, v174
	v_mov_b32_e32 v195, v176
	v_add_nc_u32_e32 v183, 16, v183
	s_waitcnt lgkmcnt(0)
	v_xor_b32_e32 v198, 0x80000000, v192
	v_cndmask_b32_e64 v194, v175, v194, s0
	v_cndmask_b32_e32 v196, v177, v196, vcc_lo
	v_cmp_gt_f64_e32 vcc_lo, 0, v[191:192]
	v_cmp_gt_f64_e64 s0, 0, v[189:190]
	v_mov_b32_e32 v197, v191
	v_add_f64 v[193:194], v[193:194], v[195:196]
	v_xor_b32_e32 v196, 0x80000000, v190
	v_mov_b32_e32 v195, v189
	v_cndmask_b32_e32 v198, v192, v198, vcc_lo
	v_cndmask_b32_e64 v196, v190, v196, s0
	v_add_f64 v[195:196], v[195:196], v[197:198]
	v_cmp_lt_f64_e32 vcc_lo, v[193:194], v[195:196]
	v_cndmask_b32_e32 v175, v175, v190, vcc_lo
	v_cndmask_b32_e32 v174, v174, v189, vcc_lo
	;; [unrolled: 1-line block ×4, first 2 shown]
	v_cndmask_b32_e64 v182, v182, s1, vcc_lo
	s_add_i32 s1, s1, 1
	s_cmp_lg_u32 s18, s1
	s_cbranch_scc1 .LBB84_358
.LBB84_359:
	s_inst_prefetch 0x2
	s_waitcnt lgkmcnt(0)
	v_cmp_eq_f64_e32 vcc_lo, 0, v[174:175]
	v_cmp_eq_f64_e64 s0, 0, v[176:177]
	s_and_b32 s0, vcc_lo, s0
	s_and_saveexec_b32 s1, s0
	s_xor_b32 s0, exec_lo, s1
; %bb.360:
	v_cmp_ne_u32_e32 vcc_lo, 0, v187
	v_cndmask_b32_e32 v187, 18, v187, vcc_lo
; %bb.361:
	s_andn2_saveexec_b32 s0, s0
	s_cbranch_execz .LBB84_367
; %bb.362:
	v_cmp_ngt_f64_e64 s1, |v[174:175]|, |v[176:177]|
	s_and_saveexec_b32 s2, s1
	s_xor_b32 s1, exec_lo, s2
	s_cbranch_execz .LBB84_364
; %bb.363:
	v_div_scale_f64 v[189:190], null, v[176:177], v[176:177], v[174:175]
	v_div_scale_f64 v[195:196], vcc_lo, v[174:175], v[176:177], v[174:175]
	v_rcp_f64_e32 v[191:192], v[189:190]
	v_fma_f64 v[193:194], -v[189:190], v[191:192], 1.0
	v_fma_f64 v[191:192], v[191:192], v[193:194], v[191:192]
	v_fma_f64 v[193:194], -v[189:190], v[191:192], 1.0
	v_fma_f64 v[191:192], v[191:192], v[193:194], v[191:192]
	v_mul_f64 v[193:194], v[195:196], v[191:192]
	v_fma_f64 v[189:190], -v[189:190], v[193:194], v[195:196]
	v_div_fmas_f64 v[189:190], v[189:190], v[191:192], v[193:194]
	v_div_fixup_f64 v[189:190], v[189:190], v[176:177], v[174:175]
	v_fma_f64 v[174:175], v[174:175], v[189:190], v[176:177]
	v_div_scale_f64 v[176:177], null, v[174:175], v[174:175], 1.0
	v_rcp_f64_e32 v[191:192], v[176:177]
	v_fma_f64 v[193:194], -v[176:177], v[191:192], 1.0
	v_fma_f64 v[191:192], v[191:192], v[193:194], v[191:192]
	v_fma_f64 v[193:194], -v[176:177], v[191:192], 1.0
	v_fma_f64 v[191:192], v[191:192], v[193:194], v[191:192]
	v_div_scale_f64 v[193:194], vcc_lo, 1.0, v[174:175], 1.0
	v_mul_f64 v[195:196], v[193:194], v[191:192]
	v_fma_f64 v[176:177], -v[176:177], v[195:196], v[193:194]
	v_div_fmas_f64 v[176:177], v[176:177], v[191:192], v[195:196]
	v_div_fixup_f64 v[176:177], v[176:177], v[174:175], 1.0
	v_mul_f64 v[174:175], v[189:190], v[176:177]
	v_xor_b32_e32 v177, 0x80000000, v177
.LBB84_364:
	s_andn2_saveexec_b32 s1, s1
	s_cbranch_execz .LBB84_366
; %bb.365:
	v_div_scale_f64 v[189:190], null, v[174:175], v[174:175], v[176:177]
	v_div_scale_f64 v[195:196], vcc_lo, v[176:177], v[174:175], v[176:177]
	v_rcp_f64_e32 v[191:192], v[189:190]
	v_fma_f64 v[193:194], -v[189:190], v[191:192], 1.0
	v_fma_f64 v[191:192], v[191:192], v[193:194], v[191:192]
	v_fma_f64 v[193:194], -v[189:190], v[191:192], 1.0
	v_fma_f64 v[191:192], v[191:192], v[193:194], v[191:192]
	v_mul_f64 v[193:194], v[195:196], v[191:192]
	v_fma_f64 v[189:190], -v[189:190], v[193:194], v[195:196]
	v_div_fmas_f64 v[189:190], v[189:190], v[191:192], v[193:194]
	v_div_fixup_f64 v[189:190], v[189:190], v[174:175], v[176:177]
	v_fma_f64 v[174:175], v[176:177], v[189:190], v[174:175]
	v_div_scale_f64 v[176:177], null, v[174:175], v[174:175], 1.0
	v_rcp_f64_e32 v[191:192], v[176:177]
	v_fma_f64 v[193:194], -v[176:177], v[191:192], 1.0
	v_fma_f64 v[191:192], v[191:192], v[193:194], v[191:192]
	v_fma_f64 v[193:194], -v[176:177], v[191:192], 1.0
	v_fma_f64 v[191:192], v[191:192], v[193:194], v[191:192]
	v_div_scale_f64 v[193:194], vcc_lo, 1.0, v[174:175], 1.0
	v_mul_f64 v[195:196], v[193:194], v[191:192]
	v_fma_f64 v[176:177], -v[176:177], v[195:196], v[193:194]
	v_div_fmas_f64 v[176:177], v[176:177], v[191:192], v[195:196]
	v_div_fixup_f64 v[174:175], v[176:177], v[174:175], 1.0
	v_mul_f64 v[176:177], v[189:190], -v[174:175]
.LBB84_366:
	s_or_b32 exec_lo, exec_lo, s1
.LBB84_367:
	s_or_b32 exec_lo, exec_lo, s0
	s_mov_b32 s0, exec_lo
	v_cmpx_ne_u32_e64 v188, v182
	s_xor_b32 s0, exec_lo, s0
	s_cbranch_execz .LBB84_373
; %bb.368:
	s_mov_b32 s1, exec_lo
	v_cmpx_eq_u32_e32 17, v188
	s_cbranch_execz .LBB84_372
; %bb.369:
	v_cmp_ne_u32_e32 vcc_lo, 17, v182
	s_xor_b32 s2, s16, -1
	s_and_b32 s3, s2, vcc_lo
	s_and_saveexec_b32 s2, s3
	s_cbranch_execz .LBB84_371
; %bb.370:
	v_ashrrev_i32_e32 v183, 31, v182
	v_lshlrev_b64 v[188:189], 2, v[182:183]
	v_add_co_u32 v188, vcc_lo, v180, v188
	v_add_co_ci_u32_e64 v189, null, v181, v189, vcc_lo
	s_clause 0x1
	global_load_dword v0, v[188:189], off
	global_load_dword v183, v[180:181], off offset:68
	s_waitcnt vmcnt(1)
	global_store_dword v[180:181], v0, off offset:68
	s_waitcnt vmcnt(0)
	global_store_dword v[188:189], v183, off
.LBB84_371:
	s_or_b32 exec_lo, exec_lo, s2
	v_mov_b32_e32 v188, v182
	v_mov_b32_e32 v0, v182
.LBB84_372:
	s_or_b32 exec_lo, exec_lo, s1
.LBB84_373:
	s_andn2_saveexec_b32 s0, s0
	s_cbranch_execz .LBB84_375
; %bb.374:
	v_mov_b32_e32 v188, 17
	ds_write2_b64 v1, v[98:99], v[100:101] offset0:36 offset1:37
	ds_write2_b64 v1, v[94:95], v[96:97] offset0:38 offset1:39
	;; [unrolled: 1-line block ×25, first 2 shown]
.LBB84_375:
	s_or_b32 exec_lo, exec_lo, s0
	s_mov_b32 s0, exec_lo
	s_waitcnt lgkmcnt(0)
	s_waitcnt_vscnt null, 0x0
	s_barrier
	buffer_gl0_inv
	v_cmpx_lt_i32_e32 17, v188
	s_cbranch_execz .LBB84_377
; %bb.376:
	v_mul_f64 v[182:183], v[176:177], v[104:105]
	v_mul_f64 v[104:105], v[174:175], v[104:105]
	v_fma_f64 v[182:183], v[174:175], v[102:103], -v[182:183]
	v_fma_f64 v[104:105], v[176:177], v[102:103], v[104:105]
	ds_read2_b64 v[174:177], v1 offset0:36 offset1:37
	s_waitcnt lgkmcnt(0)
	v_mul_f64 v[102:103], v[176:177], v[104:105]
	v_fma_f64 v[102:103], v[174:175], v[182:183], -v[102:103]
	v_mul_f64 v[174:175], v[174:175], v[104:105]
	v_add_f64 v[98:99], v[98:99], -v[102:103]
	v_fma_f64 v[174:175], v[176:177], v[182:183], v[174:175]
	v_add_f64 v[100:101], v[100:101], -v[174:175]
	ds_read2_b64 v[174:177], v1 offset0:38 offset1:39
	s_waitcnt lgkmcnt(0)
	v_mul_f64 v[102:103], v[176:177], v[104:105]
	v_fma_f64 v[102:103], v[174:175], v[182:183], -v[102:103]
	v_mul_f64 v[174:175], v[174:175], v[104:105]
	v_add_f64 v[94:95], v[94:95], -v[102:103]
	v_fma_f64 v[174:175], v[176:177], v[182:183], v[174:175]
	v_add_f64 v[96:97], v[96:97], -v[174:175]
	;; [unrolled: 8-line block ×24, first 2 shown]
	ds_read2_b64 v[174:177], v1 offset0:84 offset1:85
	s_waitcnt lgkmcnt(0)
	v_mul_f64 v[102:103], v[176:177], v[104:105]
	v_fma_f64 v[102:103], v[174:175], v[182:183], -v[102:103]
	v_mul_f64 v[174:175], v[174:175], v[104:105]
	v_add_f64 v[2:3], v[2:3], -v[102:103]
	v_fma_f64 v[174:175], v[176:177], v[182:183], v[174:175]
	v_mov_b32_e32 v102, v182
	v_mov_b32_e32 v103, v183
	v_add_f64 v[4:5], v[4:5], -v[174:175]
.LBB84_377:
	s_or_b32 exec_lo, exec_lo, s0
	v_lshl_add_u32 v174, v188, 4, v1
	s_barrier
	buffer_gl0_inv
	v_mov_b32_e32 v182, 18
	ds_write2_b64 v174, v[98:99], v[100:101] offset1:1
	s_waitcnt lgkmcnt(0)
	s_barrier
	buffer_gl0_inv
	ds_read2_b64 v[174:177], v1 offset0:36 offset1:37
	s_cmp_lt_i32 s18, 20
	s_cbranch_scc1 .LBB84_380
; %bb.378:
	v_add3_u32 v183, v184, 0, 0x130
	v_mov_b32_e32 v182, 18
	s_mov_b32 s1, 19
	s_inst_prefetch 0x1
	.p2align	6
.LBB84_379:                             ; =>This Inner Loop Header: Depth=1
	s_waitcnt lgkmcnt(0)
	v_cmp_gt_f64_e32 vcc_lo, 0, v[176:177]
	v_cmp_gt_f64_e64 s0, 0, v[174:175]
	ds_read2_b64 v[189:192], v183 offset1:1
	v_xor_b32_e32 v194, 0x80000000, v175
	v_xor_b32_e32 v196, 0x80000000, v177
	v_mov_b32_e32 v193, v174
	v_mov_b32_e32 v195, v176
	v_add_nc_u32_e32 v183, 16, v183
	s_waitcnt lgkmcnt(0)
	v_xor_b32_e32 v198, 0x80000000, v192
	v_cndmask_b32_e64 v194, v175, v194, s0
	v_cndmask_b32_e32 v196, v177, v196, vcc_lo
	v_cmp_gt_f64_e32 vcc_lo, 0, v[191:192]
	v_cmp_gt_f64_e64 s0, 0, v[189:190]
	v_mov_b32_e32 v197, v191
	v_add_f64 v[193:194], v[193:194], v[195:196]
	v_xor_b32_e32 v196, 0x80000000, v190
	v_mov_b32_e32 v195, v189
	v_cndmask_b32_e32 v198, v192, v198, vcc_lo
	v_cndmask_b32_e64 v196, v190, v196, s0
	v_add_f64 v[195:196], v[195:196], v[197:198]
	v_cmp_lt_f64_e32 vcc_lo, v[193:194], v[195:196]
	v_cndmask_b32_e32 v175, v175, v190, vcc_lo
	v_cndmask_b32_e32 v174, v174, v189, vcc_lo
	;; [unrolled: 1-line block ×4, first 2 shown]
	v_cndmask_b32_e64 v182, v182, s1, vcc_lo
	s_add_i32 s1, s1, 1
	s_cmp_lg_u32 s18, s1
	s_cbranch_scc1 .LBB84_379
.LBB84_380:
	s_inst_prefetch 0x2
	s_waitcnt lgkmcnt(0)
	v_cmp_eq_f64_e32 vcc_lo, 0, v[174:175]
	v_cmp_eq_f64_e64 s0, 0, v[176:177]
	s_and_b32 s0, vcc_lo, s0
	s_and_saveexec_b32 s1, s0
	s_xor_b32 s0, exec_lo, s1
; %bb.381:
	v_cmp_ne_u32_e32 vcc_lo, 0, v187
	v_cndmask_b32_e32 v187, 19, v187, vcc_lo
; %bb.382:
	s_andn2_saveexec_b32 s0, s0
	s_cbranch_execz .LBB84_388
; %bb.383:
	v_cmp_ngt_f64_e64 s1, |v[174:175]|, |v[176:177]|
	s_and_saveexec_b32 s2, s1
	s_xor_b32 s1, exec_lo, s2
	s_cbranch_execz .LBB84_385
; %bb.384:
	v_div_scale_f64 v[189:190], null, v[176:177], v[176:177], v[174:175]
	v_div_scale_f64 v[195:196], vcc_lo, v[174:175], v[176:177], v[174:175]
	v_rcp_f64_e32 v[191:192], v[189:190]
	v_fma_f64 v[193:194], -v[189:190], v[191:192], 1.0
	v_fma_f64 v[191:192], v[191:192], v[193:194], v[191:192]
	v_fma_f64 v[193:194], -v[189:190], v[191:192], 1.0
	v_fma_f64 v[191:192], v[191:192], v[193:194], v[191:192]
	v_mul_f64 v[193:194], v[195:196], v[191:192]
	v_fma_f64 v[189:190], -v[189:190], v[193:194], v[195:196]
	v_div_fmas_f64 v[189:190], v[189:190], v[191:192], v[193:194]
	v_div_fixup_f64 v[189:190], v[189:190], v[176:177], v[174:175]
	v_fma_f64 v[174:175], v[174:175], v[189:190], v[176:177]
	v_div_scale_f64 v[176:177], null, v[174:175], v[174:175], 1.0
	v_rcp_f64_e32 v[191:192], v[176:177]
	v_fma_f64 v[193:194], -v[176:177], v[191:192], 1.0
	v_fma_f64 v[191:192], v[191:192], v[193:194], v[191:192]
	v_fma_f64 v[193:194], -v[176:177], v[191:192], 1.0
	v_fma_f64 v[191:192], v[191:192], v[193:194], v[191:192]
	v_div_scale_f64 v[193:194], vcc_lo, 1.0, v[174:175], 1.0
	v_mul_f64 v[195:196], v[193:194], v[191:192]
	v_fma_f64 v[176:177], -v[176:177], v[195:196], v[193:194]
	v_div_fmas_f64 v[176:177], v[176:177], v[191:192], v[195:196]
	v_div_fixup_f64 v[176:177], v[176:177], v[174:175], 1.0
	v_mul_f64 v[174:175], v[189:190], v[176:177]
	v_xor_b32_e32 v177, 0x80000000, v177
.LBB84_385:
	s_andn2_saveexec_b32 s1, s1
	s_cbranch_execz .LBB84_387
; %bb.386:
	v_div_scale_f64 v[189:190], null, v[174:175], v[174:175], v[176:177]
	v_div_scale_f64 v[195:196], vcc_lo, v[176:177], v[174:175], v[176:177]
	v_rcp_f64_e32 v[191:192], v[189:190]
	v_fma_f64 v[193:194], -v[189:190], v[191:192], 1.0
	v_fma_f64 v[191:192], v[191:192], v[193:194], v[191:192]
	v_fma_f64 v[193:194], -v[189:190], v[191:192], 1.0
	v_fma_f64 v[191:192], v[191:192], v[193:194], v[191:192]
	v_mul_f64 v[193:194], v[195:196], v[191:192]
	v_fma_f64 v[189:190], -v[189:190], v[193:194], v[195:196]
	v_div_fmas_f64 v[189:190], v[189:190], v[191:192], v[193:194]
	v_div_fixup_f64 v[189:190], v[189:190], v[174:175], v[176:177]
	v_fma_f64 v[174:175], v[176:177], v[189:190], v[174:175]
	v_div_scale_f64 v[176:177], null, v[174:175], v[174:175], 1.0
	v_rcp_f64_e32 v[191:192], v[176:177]
	v_fma_f64 v[193:194], -v[176:177], v[191:192], 1.0
	v_fma_f64 v[191:192], v[191:192], v[193:194], v[191:192]
	v_fma_f64 v[193:194], -v[176:177], v[191:192], 1.0
	v_fma_f64 v[191:192], v[191:192], v[193:194], v[191:192]
	v_div_scale_f64 v[193:194], vcc_lo, 1.0, v[174:175], 1.0
	v_mul_f64 v[195:196], v[193:194], v[191:192]
	v_fma_f64 v[176:177], -v[176:177], v[195:196], v[193:194]
	v_div_fmas_f64 v[176:177], v[176:177], v[191:192], v[195:196]
	v_div_fixup_f64 v[174:175], v[176:177], v[174:175], 1.0
	v_mul_f64 v[176:177], v[189:190], -v[174:175]
.LBB84_387:
	s_or_b32 exec_lo, exec_lo, s1
.LBB84_388:
	s_or_b32 exec_lo, exec_lo, s0
	s_mov_b32 s0, exec_lo
	v_cmpx_ne_u32_e64 v188, v182
	s_xor_b32 s0, exec_lo, s0
	s_cbranch_execz .LBB84_394
; %bb.389:
	s_mov_b32 s1, exec_lo
	v_cmpx_eq_u32_e32 18, v188
	s_cbranch_execz .LBB84_393
; %bb.390:
	v_cmp_ne_u32_e32 vcc_lo, 18, v182
	s_xor_b32 s2, s16, -1
	s_and_b32 s3, s2, vcc_lo
	s_and_saveexec_b32 s2, s3
	s_cbranch_execz .LBB84_392
; %bb.391:
	v_ashrrev_i32_e32 v183, 31, v182
	v_lshlrev_b64 v[188:189], 2, v[182:183]
	v_add_co_u32 v188, vcc_lo, v180, v188
	v_add_co_ci_u32_e64 v189, null, v181, v189, vcc_lo
	s_clause 0x1
	global_load_dword v0, v[188:189], off
	global_load_dword v183, v[180:181], off offset:72
	s_waitcnt vmcnt(1)
	global_store_dword v[180:181], v0, off offset:72
	s_waitcnt vmcnt(0)
	global_store_dword v[188:189], v183, off
.LBB84_392:
	s_or_b32 exec_lo, exec_lo, s2
	v_mov_b32_e32 v188, v182
	v_mov_b32_e32 v0, v182
.LBB84_393:
	s_or_b32 exec_lo, exec_lo, s1
.LBB84_394:
	s_andn2_saveexec_b32 s0, s0
	s_cbranch_execz .LBB84_396
; %bb.395:
	v_mov_b32_e32 v188, 18
	ds_write2_b64 v1, v[94:95], v[96:97] offset0:38 offset1:39
	ds_write2_b64 v1, v[90:91], v[92:93] offset0:40 offset1:41
	;; [unrolled: 1-line block ×24, first 2 shown]
.LBB84_396:
	s_or_b32 exec_lo, exec_lo, s0
	s_mov_b32 s0, exec_lo
	s_waitcnt lgkmcnt(0)
	s_waitcnt_vscnt null, 0x0
	s_barrier
	buffer_gl0_inv
	v_cmpx_lt_i32_e32 18, v188
	s_cbranch_execz .LBB84_398
; %bb.397:
	v_mul_f64 v[182:183], v[176:177], v[100:101]
	v_mul_f64 v[100:101], v[174:175], v[100:101]
	v_fma_f64 v[182:183], v[174:175], v[98:99], -v[182:183]
	v_fma_f64 v[100:101], v[176:177], v[98:99], v[100:101]
	ds_read2_b64 v[174:177], v1 offset0:38 offset1:39
	s_waitcnt lgkmcnt(0)
	v_mul_f64 v[98:99], v[176:177], v[100:101]
	v_fma_f64 v[98:99], v[174:175], v[182:183], -v[98:99]
	v_mul_f64 v[174:175], v[174:175], v[100:101]
	v_add_f64 v[94:95], v[94:95], -v[98:99]
	v_fma_f64 v[174:175], v[176:177], v[182:183], v[174:175]
	v_add_f64 v[96:97], v[96:97], -v[174:175]
	ds_read2_b64 v[174:177], v1 offset0:40 offset1:41
	s_waitcnt lgkmcnt(0)
	v_mul_f64 v[98:99], v[176:177], v[100:101]
	v_fma_f64 v[98:99], v[174:175], v[182:183], -v[98:99]
	v_mul_f64 v[174:175], v[174:175], v[100:101]
	v_add_f64 v[90:91], v[90:91], -v[98:99]
	v_fma_f64 v[174:175], v[176:177], v[182:183], v[174:175]
	v_add_f64 v[92:93], v[92:93], -v[174:175]
	;; [unrolled: 8-line block ×23, first 2 shown]
	ds_read2_b64 v[174:177], v1 offset0:84 offset1:85
	s_waitcnt lgkmcnt(0)
	v_mul_f64 v[98:99], v[176:177], v[100:101]
	v_fma_f64 v[98:99], v[174:175], v[182:183], -v[98:99]
	v_mul_f64 v[174:175], v[174:175], v[100:101]
	v_add_f64 v[2:3], v[2:3], -v[98:99]
	v_fma_f64 v[174:175], v[176:177], v[182:183], v[174:175]
	v_mov_b32_e32 v98, v182
	v_mov_b32_e32 v99, v183
	v_add_f64 v[4:5], v[4:5], -v[174:175]
.LBB84_398:
	s_or_b32 exec_lo, exec_lo, s0
	v_lshl_add_u32 v174, v188, 4, v1
	s_barrier
	buffer_gl0_inv
	v_mov_b32_e32 v182, 19
	ds_write2_b64 v174, v[94:95], v[96:97] offset1:1
	s_waitcnt lgkmcnt(0)
	s_barrier
	buffer_gl0_inv
	ds_read2_b64 v[174:177], v1 offset0:38 offset1:39
	s_cmp_lt_i32 s18, 21
	s_cbranch_scc1 .LBB84_401
; %bb.399:
	v_add3_u32 v183, v184, 0, 0x140
	v_mov_b32_e32 v182, 19
	s_mov_b32 s1, 20
	s_inst_prefetch 0x1
	.p2align	6
.LBB84_400:                             ; =>This Inner Loop Header: Depth=1
	s_waitcnt lgkmcnt(0)
	v_cmp_gt_f64_e32 vcc_lo, 0, v[176:177]
	v_cmp_gt_f64_e64 s0, 0, v[174:175]
	ds_read2_b64 v[189:192], v183 offset1:1
	v_xor_b32_e32 v194, 0x80000000, v175
	v_xor_b32_e32 v196, 0x80000000, v177
	v_mov_b32_e32 v193, v174
	v_mov_b32_e32 v195, v176
	v_add_nc_u32_e32 v183, 16, v183
	s_waitcnt lgkmcnt(0)
	v_xor_b32_e32 v198, 0x80000000, v192
	v_cndmask_b32_e64 v194, v175, v194, s0
	v_cndmask_b32_e32 v196, v177, v196, vcc_lo
	v_cmp_gt_f64_e32 vcc_lo, 0, v[191:192]
	v_cmp_gt_f64_e64 s0, 0, v[189:190]
	v_mov_b32_e32 v197, v191
	v_add_f64 v[193:194], v[193:194], v[195:196]
	v_xor_b32_e32 v196, 0x80000000, v190
	v_mov_b32_e32 v195, v189
	v_cndmask_b32_e32 v198, v192, v198, vcc_lo
	v_cndmask_b32_e64 v196, v190, v196, s0
	v_add_f64 v[195:196], v[195:196], v[197:198]
	v_cmp_lt_f64_e32 vcc_lo, v[193:194], v[195:196]
	v_cndmask_b32_e32 v175, v175, v190, vcc_lo
	v_cndmask_b32_e32 v174, v174, v189, vcc_lo
	;; [unrolled: 1-line block ×4, first 2 shown]
	v_cndmask_b32_e64 v182, v182, s1, vcc_lo
	s_add_i32 s1, s1, 1
	s_cmp_lg_u32 s18, s1
	s_cbranch_scc1 .LBB84_400
.LBB84_401:
	s_inst_prefetch 0x2
	s_waitcnt lgkmcnt(0)
	v_cmp_eq_f64_e32 vcc_lo, 0, v[174:175]
	v_cmp_eq_f64_e64 s0, 0, v[176:177]
	s_and_b32 s0, vcc_lo, s0
	s_and_saveexec_b32 s1, s0
	s_xor_b32 s0, exec_lo, s1
; %bb.402:
	v_cmp_ne_u32_e32 vcc_lo, 0, v187
	v_cndmask_b32_e32 v187, 20, v187, vcc_lo
; %bb.403:
	s_andn2_saveexec_b32 s0, s0
	s_cbranch_execz .LBB84_409
; %bb.404:
	v_cmp_ngt_f64_e64 s1, |v[174:175]|, |v[176:177]|
	s_and_saveexec_b32 s2, s1
	s_xor_b32 s1, exec_lo, s2
	s_cbranch_execz .LBB84_406
; %bb.405:
	v_div_scale_f64 v[189:190], null, v[176:177], v[176:177], v[174:175]
	v_div_scale_f64 v[195:196], vcc_lo, v[174:175], v[176:177], v[174:175]
	v_rcp_f64_e32 v[191:192], v[189:190]
	v_fma_f64 v[193:194], -v[189:190], v[191:192], 1.0
	v_fma_f64 v[191:192], v[191:192], v[193:194], v[191:192]
	v_fma_f64 v[193:194], -v[189:190], v[191:192], 1.0
	v_fma_f64 v[191:192], v[191:192], v[193:194], v[191:192]
	v_mul_f64 v[193:194], v[195:196], v[191:192]
	v_fma_f64 v[189:190], -v[189:190], v[193:194], v[195:196]
	v_div_fmas_f64 v[189:190], v[189:190], v[191:192], v[193:194]
	v_div_fixup_f64 v[189:190], v[189:190], v[176:177], v[174:175]
	v_fma_f64 v[174:175], v[174:175], v[189:190], v[176:177]
	v_div_scale_f64 v[176:177], null, v[174:175], v[174:175], 1.0
	v_rcp_f64_e32 v[191:192], v[176:177]
	v_fma_f64 v[193:194], -v[176:177], v[191:192], 1.0
	v_fma_f64 v[191:192], v[191:192], v[193:194], v[191:192]
	v_fma_f64 v[193:194], -v[176:177], v[191:192], 1.0
	v_fma_f64 v[191:192], v[191:192], v[193:194], v[191:192]
	v_div_scale_f64 v[193:194], vcc_lo, 1.0, v[174:175], 1.0
	v_mul_f64 v[195:196], v[193:194], v[191:192]
	v_fma_f64 v[176:177], -v[176:177], v[195:196], v[193:194]
	v_div_fmas_f64 v[176:177], v[176:177], v[191:192], v[195:196]
	v_div_fixup_f64 v[176:177], v[176:177], v[174:175], 1.0
	v_mul_f64 v[174:175], v[189:190], v[176:177]
	v_xor_b32_e32 v177, 0x80000000, v177
.LBB84_406:
	s_andn2_saveexec_b32 s1, s1
	s_cbranch_execz .LBB84_408
; %bb.407:
	v_div_scale_f64 v[189:190], null, v[174:175], v[174:175], v[176:177]
	v_div_scale_f64 v[195:196], vcc_lo, v[176:177], v[174:175], v[176:177]
	v_rcp_f64_e32 v[191:192], v[189:190]
	v_fma_f64 v[193:194], -v[189:190], v[191:192], 1.0
	v_fma_f64 v[191:192], v[191:192], v[193:194], v[191:192]
	v_fma_f64 v[193:194], -v[189:190], v[191:192], 1.0
	v_fma_f64 v[191:192], v[191:192], v[193:194], v[191:192]
	v_mul_f64 v[193:194], v[195:196], v[191:192]
	v_fma_f64 v[189:190], -v[189:190], v[193:194], v[195:196]
	v_div_fmas_f64 v[189:190], v[189:190], v[191:192], v[193:194]
	v_div_fixup_f64 v[189:190], v[189:190], v[174:175], v[176:177]
	v_fma_f64 v[174:175], v[176:177], v[189:190], v[174:175]
	v_div_scale_f64 v[176:177], null, v[174:175], v[174:175], 1.0
	v_rcp_f64_e32 v[191:192], v[176:177]
	v_fma_f64 v[193:194], -v[176:177], v[191:192], 1.0
	v_fma_f64 v[191:192], v[191:192], v[193:194], v[191:192]
	v_fma_f64 v[193:194], -v[176:177], v[191:192], 1.0
	v_fma_f64 v[191:192], v[191:192], v[193:194], v[191:192]
	v_div_scale_f64 v[193:194], vcc_lo, 1.0, v[174:175], 1.0
	v_mul_f64 v[195:196], v[193:194], v[191:192]
	v_fma_f64 v[176:177], -v[176:177], v[195:196], v[193:194]
	v_div_fmas_f64 v[176:177], v[176:177], v[191:192], v[195:196]
	v_div_fixup_f64 v[174:175], v[176:177], v[174:175], 1.0
	v_mul_f64 v[176:177], v[189:190], -v[174:175]
.LBB84_408:
	s_or_b32 exec_lo, exec_lo, s1
.LBB84_409:
	s_or_b32 exec_lo, exec_lo, s0
	s_mov_b32 s0, exec_lo
	v_cmpx_ne_u32_e64 v188, v182
	s_xor_b32 s0, exec_lo, s0
	s_cbranch_execz .LBB84_415
; %bb.410:
	s_mov_b32 s1, exec_lo
	v_cmpx_eq_u32_e32 19, v188
	s_cbranch_execz .LBB84_414
; %bb.411:
	v_cmp_ne_u32_e32 vcc_lo, 19, v182
	s_xor_b32 s2, s16, -1
	s_and_b32 s3, s2, vcc_lo
	s_and_saveexec_b32 s2, s3
	s_cbranch_execz .LBB84_413
; %bb.412:
	v_ashrrev_i32_e32 v183, 31, v182
	v_lshlrev_b64 v[188:189], 2, v[182:183]
	v_add_co_u32 v188, vcc_lo, v180, v188
	v_add_co_ci_u32_e64 v189, null, v181, v189, vcc_lo
	s_clause 0x1
	global_load_dword v0, v[188:189], off
	global_load_dword v183, v[180:181], off offset:76
	s_waitcnt vmcnt(1)
	global_store_dword v[180:181], v0, off offset:76
	s_waitcnt vmcnt(0)
	global_store_dword v[188:189], v183, off
.LBB84_413:
	s_or_b32 exec_lo, exec_lo, s2
	v_mov_b32_e32 v188, v182
	v_mov_b32_e32 v0, v182
.LBB84_414:
	s_or_b32 exec_lo, exec_lo, s1
.LBB84_415:
	s_andn2_saveexec_b32 s0, s0
	s_cbranch_execz .LBB84_417
; %bb.416:
	v_mov_b32_e32 v188, 19
	ds_write2_b64 v1, v[90:91], v[92:93] offset0:40 offset1:41
	ds_write2_b64 v1, v[86:87], v[88:89] offset0:42 offset1:43
	;; [unrolled: 1-line block ×23, first 2 shown]
.LBB84_417:
	s_or_b32 exec_lo, exec_lo, s0
	s_mov_b32 s0, exec_lo
	s_waitcnt lgkmcnt(0)
	s_waitcnt_vscnt null, 0x0
	s_barrier
	buffer_gl0_inv
	v_cmpx_lt_i32_e32 19, v188
	s_cbranch_execz .LBB84_419
; %bb.418:
	v_mul_f64 v[182:183], v[176:177], v[96:97]
	v_mul_f64 v[96:97], v[174:175], v[96:97]
	v_fma_f64 v[182:183], v[174:175], v[94:95], -v[182:183]
	v_fma_f64 v[96:97], v[176:177], v[94:95], v[96:97]
	ds_read2_b64 v[174:177], v1 offset0:40 offset1:41
	s_waitcnt lgkmcnt(0)
	v_mul_f64 v[94:95], v[176:177], v[96:97]
	v_fma_f64 v[94:95], v[174:175], v[182:183], -v[94:95]
	v_mul_f64 v[174:175], v[174:175], v[96:97]
	v_add_f64 v[90:91], v[90:91], -v[94:95]
	v_fma_f64 v[174:175], v[176:177], v[182:183], v[174:175]
	v_add_f64 v[92:93], v[92:93], -v[174:175]
	ds_read2_b64 v[174:177], v1 offset0:42 offset1:43
	s_waitcnt lgkmcnt(0)
	v_mul_f64 v[94:95], v[176:177], v[96:97]
	v_fma_f64 v[94:95], v[174:175], v[182:183], -v[94:95]
	v_mul_f64 v[174:175], v[174:175], v[96:97]
	v_add_f64 v[86:87], v[86:87], -v[94:95]
	v_fma_f64 v[174:175], v[176:177], v[182:183], v[174:175]
	v_add_f64 v[88:89], v[88:89], -v[174:175]
	;; [unrolled: 8-line block ×22, first 2 shown]
	ds_read2_b64 v[174:177], v1 offset0:84 offset1:85
	s_waitcnt lgkmcnt(0)
	v_mul_f64 v[94:95], v[176:177], v[96:97]
	v_fma_f64 v[94:95], v[174:175], v[182:183], -v[94:95]
	v_mul_f64 v[174:175], v[174:175], v[96:97]
	v_add_f64 v[2:3], v[2:3], -v[94:95]
	v_fma_f64 v[174:175], v[176:177], v[182:183], v[174:175]
	v_mov_b32_e32 v94, v182
	v_mov_b32_e32 v95, v183
	v_add_f64 v[4:5], v[4:5], -v[174:175]
.LBB84_419:
	s_or_b32 exec_lo, exec_lo, s0
	v_lshl_add_u32 v174, v188, 4, v1
	s_barrier
	buffer_gl0_inv
	v_mov_b32_e32 v182, 20
	ds_write2_b64 v174, v[90:91], v[92:93] offset1:1
	s_waitcnt lgkmcnt(0)
	s_barrier
	buffer_gl0_inv
	ds_read2_b64 v[174:177], v1 offset0:40 offset1:41
	s_cmp_lt_i32 s18, 22
	s_cbranch_scc1 .LBB84_422
; %bb.420:
	v_add3_u32 v183, v184, 0, 0x150
	v_mov_b32_e32 v182, 20
	s_mov_b32 s1, 21
	s_inst_prefetch 0x1
	.p2align	6
.LBB84_421:                             ; =>This Inner Loop Header: Depth=1
	s_waitcnt lgkmcnt(0)
	v_cmp_gt_f64_e32 vcc_lo, 0, v[176:177]
	v_cmp_gt_f64_e64 s0, 0, v[174:175]
	ds_read2_b64 v[189:192], v183 offset1:1
	v_xor_b32_e32 v194, 0x80000000, v175
	v_xor_b32_e32 v196, 0x80000000, v177
	v_mov_b32_e32 v193, v174
	v_mov_b32_e32 v195, v176
	v_add_nc_u32_e32 v183, 16, v183
	s_waitcnt lgkmcnt(0)
	v_xor_b32_e32 v198, 0x80000000, v192
	v_cndmask_b32_e64 v194, v175, v194, s0
	v_cndmask_b32_e32 v196, v177, v196, vcc_lo
	v_cmp_gt_f64_e32 vcc_lo, 0, v[191:192]
	v_cmp_gt_f64_e64 s0, 0, v[189:190]
	v_mov_b32_e32 v197, v191
	v_add_f64 v[193:194], v[193:194], v[195:196]
	v_xor_b32_e32 v196, 0x80000000, v190
	v_mov_b32_e32 v195, v189
	v_cndmask_b32_e32 v198, v192, v198, vcc_lo
	v_cndmask_b32_e64 v196, v190, v196, s0
	v_add_f64 v[195:196], v[195:196], v[197:198]
	v_cmp_lt_f64_e32 vcc_lo, v[193:194], v[195:196]
	v_cndmask_b32_e32 v175, v175, v190, vcc_lo
	v_cndmask_b32_e32 v174, v174, v189, vcc_lo
	;; [unrolled: 1-line block ×4, first 2 shown]
	v_cndmask_b32_e64 v182, v182, s1, vcc_lo
	s_add_i32 s1, s1, 1
	s_cmp_lg_u32 s18, s1
	s_cbranch_scc1 .LBB84_421
.LBB84_422:
	s_inst_prefetch 0x2
	s_waitcnt lgkmcnt(0)
	v_cmp_eq_f64_e32 vcc_lo, 0, v[174:175]
	v_cmp_eq_f64_e64 s0, 0, v[176:177]
	s_and_b32 s0, vcc_lo, s0
	s_and_saveexec_b32 s1, s0
	s_xor_b32 s0, exec_lo, s1
; %bb.423:
	v_cmp_ne_u32_e32 vcc_lo, 0, v187
	v_cndmask_b32_e32 v187, 21, v187, vcc_lo
; %bb.424:
	s_andn2_saveexec_b32 s0, s0
	s_cbranch_execz .LBB84_430
; %bb.425:
	v_cmp_ngt_f64_e64 s1, |v[174:175]|, |v[176:177]|
	s_and_saveexec_b32 s2, s1
	s_xor_b32 s1, exec_lo, s2
	s_cbranch_execz .LBB84_427
; %bb.426:
	v_div_scale_f64 v[189:190], null, v[176:177], v[176:177], v[174:175]
	v_div_scale_f64 v[195:196], vcc_lo, v[174:175], v[176:177], v[174:175]
	v_rcp_f64_e32 v[191:192], v[189:190]
	v_fma_f64 v[193:194], -v[189:190], v[191:192], 1.0
	v_fma_f64 v[191:192], v[191:192], v[193:194], v[191:192]
	v_fma_f64 v[193:194], -v[189:190], v[191:192], 1.0
	v_fma_f64 v[191:192], v[191:192], v[193:194], v[191:192]
	v_mul_f64 v[193:194], v[195:196], v[191:192]
	v_fma_f64 v[189:190], -v[189:190], v[193:194], v[195:196]
	v_div_fmas_f64 v[189:190], v[189:190], v[191:192], v[193:194]
	v_div_fixup_f64 v[189:190], v[189:190], v[176:177], v[174:175]
	v_fma_f64 v[174:175], v[174:175], v[189:190], v[176:177]
	v_div_scale_f64 v[176:177], null, v[174:175], v[174:175], 1.0
	v_rcp_f64_e32 v[191:192], v[176:177]
	v_fma_f64 v[193:194], -v[176:177], v[191:192], 1.0
	v_fma_f64 v[191:192], v[191:192], v[193:194], v[191:192]
	v_fma_f64 v[193:194], -v[176:177], v[191:192], 1.0
	v_fma_f64 v[191:192], v[191:192], v[193:194], v[191:192]
	v_div_scale_f64 v[193:194], vcc_lo, 1.0, v[174:175], 1.0
	v_mul_f64 v[195:196], v[193:194], v[191:192]
	v_fma_f64 v[176:177], -v[176:177], v[195:196], v[193:194]
	v_div_fmas_f64 v[176:177], v[176:177], v[191:192], v[195:196]
	v_div_fixup_f64 v[176:177], v[176:177], v[174:175], 1.0
	v_mul_f64 v[174:175], v[189:190], v[176:177]
	v_xor_b32_e32 v177, 0x80000000, v177
.LBB84_427:
	s_andn2_saveexec_b32 s1, s1
	s_cbranch_execz .LBB84_429
; %bb.428:
	v_div_scale_f64 v[189:190], null, v[174:175], v[174:175], v[176:177]
	v_div_scale_f64 v[195:196], vcc_lo, v[176:177], v[174:175], v[176:177]
	v_rcp_f64_e32 v[191:192], v[189:190]
	v_fma_f64 v[193:194], -v[189:190], v[191:192], 1.0
	v_fma_f64 v[191:192], v[191:192], v[193:194], v[191:192]
	v_fma_f64 v[193:194], -v[189:190], v[191:192], 1.0
	v_fma_f64 v[191:192], v[191:192], v[193:194], v[191:192]
	v_mul_f64 v[193:194], v[195:196], v[191:192]
	v_fma_f64 v[189:190], -v[189:190], v[193:194], v[195:196]
	v_div_fmas_f64 v[189:190], v[189:190], v[191:192], v[193:194]
	v_div_fixup_f64 v[189:190], v[189:190], v[174:175], v[176:177]
	v_fma_f64 v[174:175], v[176:177], v[189:190], v[174:175]
	v_div_scale_f64 v[176:177], null, v[174:175], v[174:175], 1.0
	v_rcp_f64_e32 v[191:192], v[176:177]
	v_fma_f64 v[193:194], -v[176:177], v[191:192], 1.0
	v_fma_f64 v[191:192], v[191:192], v[193:194], v[191:192]
	v_fma_f64 v[193:194], -v[176:177], v[191:192], 1.0
	v_fma_f64 v[191:192], v[191:192], v[193:194], v[191:192]
	v_div_scale_f64 v[193:194], vcc_lo, 1.0, v[174:175], 1.0
	v_mul_f64 v[195:196], v[193:194], v[191:192]
	v_fma_f64 v[176:177], -v[176:177], v[195:196], v[193:194]
	v_div_fmas_f64 v[176:177], v[176:177], v[191:192], v[195:196]
	v_div_fixup_f64 v[174:175], v[176:177], v[174:175], 1.0
	v_mul_f64 v[176:177], v[189:190], -v[174:175]
.LBB84_429:
	s_or_b32 exec_lo, exec_lo, s1
.LBB84_430:
	s_or_b32 exec_lo, exec_lo, s0
	s_mov_b32 s0, exec_lo
	v_cmpx_ne_u32_e64 v188, v182
	s_xor_b32 s0, exec_lo, s0
	s_cbranch_execz .LBB84_436
; %bb.431:
	s_mov_b32 s1, exec_lo
	v_cmpx_eq_u32_e32 20, v188
	s_cbranch_execz .LBB84_435
; %bb.432:
	v_cmp_ne_u32_e32 vcc_lo, 20, v182
	s_xor_b32 s2, s16, -1
	s_and_b32 s3, s2, vcc_lo
	s_and_saveexec_b32 s2, s3
	s_cbranch_execz .LBB84_434
; %bb.433:
	v_ashrrev_i32_e32 v183, 31, v182
	v_lshlrev_b64 v[188:189], 2, v[182:183]
	v_add_co_u32 v188, vcc_lo, v180, v188
	v_add_co_ci_u32_e64 v189, null, v181, v189, vcc_lo
	s_clause 0x1
	global_load_dword v0, v[188:189], off
	global_load_dword v183, v[180:181], off offset:80
	s_waitcnt vmcnt(1)
	global_store_dword v[180:181], v0, off offset:80
	s_waitcnt vmcnt(0)
	global_store_dword v[188:189], v183, off
.LBB84_434:
	s_or_b32 exec_lo, exec_lo, s2
	v_mov_b32_e32 v188, v182
	v_mov_b32_e32 v0, v182
.LBB84_435:
	s_or_b32 exec_lo, exec_lo, s1
.LBB84_436:
	s_andn2_saveexec_b32 s0, s0
	s_cbranch_execz .LBB84_438
; %bb.437:
	v_mov_b32_e32 v188, 20
	ds_write2_b64 v1, v[86:87], v[88:89] offset0:42 offset1:43
	ds_write2_b64 v1, v[82:83], v[84:85] offset0:44 offset1:45
	;; [unrolled: 1-line block ×22, first 2 shown]
.LBB84_438:
	s_or_b32 exec_lo, exec_lo, s0
	s_mov_b32 s0, exec_lo
	s_waitcnt lgkmcnt(0)
	s_waitcnt_vscnt null, 0x0
	s_barrier
	buffer_gl0_inv
	v_cmpx_lt_i32_e32 20, v188
	s_cbranch_execz .LBB84_440
; %bb.439:
	v_mul_f64 v[182:183], v[176:177], v[92:93]
	v_mul_f64 v[92:93], v[174:175], v[92:93]
	v_fma_f64 v[182:183], v[174:175], v[90:91], -v[182:183]
	v_fma_f64 v[92:93], v[176:177], v[90:91], v[92:93]
	ds_read2_b64 v[174:177], v1 offset0:42 offset1:43
	s_waitcnt lgkmcnt(0)
	v_mul_f64 v[90:91], v[176:177], v[92:93]
	v_fma_f64 v[90:91], v[174:175], v[182:183], -v[90:91]
	v_mul_f64 v[174:175], v[174:175], v[92:93]
	v_add_f64 v[86:87], v[86:87], -v[90:91]
	v_fma_f64 v[174:175], v[176:177], v[182:183], v[174:175]
	v_add_f64 v[88:89], v[88:89], -v[174:175]
	ds_read2_b64 v[174:177], v1 offset0:44 offset1:45
	s_waitcnt lgkmcnt(0)
	v_mul_f64 v[90:91], v[176:177], v[92:93]
	v_fma_f64 v[90:91], v[174:175], v[182:183], -v[90:91]
	v_mul_f64 v[174:175], v[174:175], v[92:93]
	v_add_f64 v[82:83], v[82:83], -v[90:91]
	v_fma_f64 v[174:175], v[176:177], v[182:183], v[174:175]
	v_add_f64 v[84:85], v[84:85], -v[174:175]
	;; [unrolled: 8-line block ×21, first 2 shown]
	ds_read2_b64 v[174:177], v1 offset0:84 offset1:85
	s_waitcnt lgkmcnt(0)
	v_mul_f64 v[90:91], v[176:177], v[92:93]
	v_fma_f64 v[90:91], v[174:175], v[182:183], -v[90:91]
	v_mul_f64 v[174:175], v[174:175], v[92:93]
	v_add_f64 v[2:3], v[2:3], -v[90:91]
	v_fma_f64 v[174:175], v[176:177], v[182:183], v[174:175]
	v_mov_b32_e32 v90, v182
	v_mov_b32_e32 v91, v183
	v_add_f64 v[4:5], v[4:5], -v[174:175]
.LBB84_440:
	s_or_b32 exec_lo, exec_lo, s0
	v_lshl_add_u32 v174, v188, 4, v1
	s_barrier
	buffer_gl0_inv
	v_mov_b32_e32 v182, 21
	ds_write2_b64 v174, v[86:87], v[88:89] offset1:1
	s_waitcnt lgkmcnt(0)
	s_barrier
	buffer_gl0_inv
	ds_read2_b64 v[174:177], v1 offset0:42 offset1:43
	s_cmp_lt_i32 s18, 23
	s_cbranch_scc1 .LBB84_443
; %bb.441:
	v_add3_u32 v183, v184, 0, 0x160
	v_mov_b32_e32 v182, 21
	s_mov_b32 s1, 22
	s_inst_prefetch 0x1
	.p2align	6
.LBB84_442:                             ; =>This Inner Loop Header: Depth=1
	s_waitcnt lgkmcnt(0)
	v_cmp_gt_f64_e32 vcc_lo, 0, v[176:177]
	v_cmp_gt_f64_e64 s0, 0, v[174:175]
	ds_read2_b64 v[189:192], v183 offset1:1
	v_xor_b32_e32 v194, 0x80000000, v175
	v_xor_b32_e32 v196, 0x80000000, v177
	v_mov_b32_e32 v193, v174
	v_mov_b32_e32 v195, v176
	v_add_nc_u32_e32 v183, 16, v183
	s_waitcnt lgkmcnt(0)
	v_xor_b32_e32 v198, 0x80000000, v192
	v_cndmask_b32_e64 v194, v175, v194, s0
	v_cndmask_b32_e32 v196, v177, v196, vcc_lo
	v_cmp_gt_f64_e32 vcc_lo, 0, v[191:192]
	v_cmp_gt_f64_e64 s0, 0, v[189:190]
	v_mov_b32_e32 v197, v191
	v_add_f64 v[193:194], v[193:194], v[195:196]
	v_xor_b32_e32 v196, 0x80000000, v190
	v_mov_b32_e32 v195, v189
	v_cndmask_b32_e32 v198, v192, v198, vcc_lo
	v_cndmask_b32_e64 v196, v190, v196, s0
	v_add_f64 v[195:196], v[195:196], v[197:198]
	v_cmp_lt_f64_e32 vcc_lo, v[193:194], v[195:196]
	v_cndmask_b32_e32 v175, v175, v190, vcc_lo
	v_cndmask_b32_e32 v174, v174, v189, vcc_lo
	;; [unrolled: 1-line block ×4, first 2 shown]
	v_cndmask_b32_e64 v182, v182, s1, vcc_lo
	s_add_i32 s1, s1, 1
	s_cmp_lg_u32 s18, s1
	s_cbranch_scc1 .LBB84_442
.LBB84_443:
	s_inst_prefetch 0x2
	s_waitcnt lgkmcnt(0)
	v_cmp_eq_f64_e32 vcc_lo, 0, v[174:175]
	v_cmp_eq_f64_e64 s0, 0, v[176:177]
	s_and_b32 s0, vcc_lo, s0
	s_and_saveexec_b32 s1, s0
	s_xor_b32 s0, exec_lo, s1
; %bb.444:
	v_cmp_ne_u32_e32 vcc_lo, 0, v187
	v_cndmask_b32_e32 v187, 22, v187, vcc_lo
; %bb.445:
	s_andn2_saveexec_b32 s0, s0
	s_cbranch_execz .LBB84_451
; %bb.446:
	v_cmp_ngt_f64_e64 s1, |v[174:175]|, |v[176:177]|
	s_and_saveexec_b32 s2, s1
	s_xor_b32 s1, exec_lo, s2
	s_cbranch_execz .LBB84_448
; %bb.447:
	v_div_scale_f64 v[189:190], null, v[176:177], v[176:177], v[174:175]
	v_div_scale_f64 v[195:196], vcc_lo, v[174:175], v[176:177], v[174:175]
	v_rcp_f64_e32 v[191:192], v[189:190]
	v_fma_f64 v[193:194], -v[189:190], v[191:192], 1.0
	v_fma_f64 v[191:192], v[191:192], v[193:194], v[191:192]
	v_fma_f64 v[193:194], -v[189:190], v[191:192], 1.0
	v_fma_f64 v[191:192], v[191:192], v[193:194], v[191:192]
	v_mul_f64 v[193:194], v[195:196], v[191:192]
	v_fma_f64 v[189:190], -v[189:190], v[193:194], v[195:196]
	v_div_fmas_f64 v[189:190], v[189:190], v[191:192], v[193:194]
	v_div_fixup_f64 v[189:190], v[189:190], v[176:177], v[174:175]
	v_fma_f64 v[174:175], v[174:175], v[189:190], v[176:177]
	v_div_scale_f64 v[176:177], null, v[174:175], v[174:175], 1.0
	v_rcp_f64_e32 v[191:192], v[176:177]
	v_fma_f64 v[193:194], -v[176:177], v[191:192], 1.0
	v_fma_f64 v[191:192], v[191:192], v[193:194], v[191:192]
	v_fma_f64 v[193:194], -v[176:177], v[191:192], 1.0
	v_fma_f64 v[191:192], v[191:192], v[193:194], v[191:192]
	v_div_scale_f64 v[193:194], vcc_lo, 1.0, v[174:175], 1.0
	v_mul_f64 v[195:196], v[193:194], v[191:192]
	v_fma_f64 v[176:177], -v[176:177], v[195:196], v[193:194]
	v_div_fmas_f64 v[176:177], v[176:177], v[191:192], v[195:196]
	v_div_fixup_f64 v[176:177], v[176:177], v[174:175], 1.0
	v_mul_f64 v[174:175], v[189:190], v[176:177]
	v_xor_b32_e32 v177, 0x80000000, v177
.LBB84_448:
	s_andn2_saveexec_b32 s1, s1
	s_cbranch_execz .LBB84_450
; %bb.449:
	v_div_scale_f64 v[189:190], null, v[174:175], v[174:175], v[176:177]
	v_div_scale_f64 v[195:196], vcc_lo, v[176:177], v[174:175], v[176:177]
	v_rcp_f64_e32 v[191:192], v[189:190]
	v_fma_f64 v[193:194], -v[189:190], v[191:192], 1.0
	v_fma_f64 v[191:192], v[191:192], v[193:194], v[191:192]
	v_fma_f64 v[193:194], -v[189:190], v[191:192], 1.0
	v_fma_f64 v[191:192], v[191:192], v[193:194], v[191:192]
	v_mul_f64 v[193:194], v[195:196], v[191:192]
	v_fma_f64 v[189:190], -v[189:190], v[193:194], v[195:196]
	v_div_fmas_f64 v[189:190], v[189:190], v[191:192], v[193:194]
	v_div_fixup_f64 v[189:190], v[189:190], v[174:175], v[176:177]
	v_fma_f64 v[174:175], v[176:177], v[189:190], v[174:175]
	v_div_scale_f64 v[176:177], null, v[174:175], v[174:175], 1.0
	v_rcp_f64_e32 v[191:192], v[176:177]
	v_fma_f64 v[193:194], -v[176:177], v[191:192], 1.0
	v_fma_f64 v[191:192], v[191:192], v[193:194], v[191:192]
	v_fma_f64 v[193:194], -v[176:177], v[191:192], 1.0
	v_fma_f64 v[191:192], v[191:192], v[193:194], v[191:192]
	v_div_scale_f64 v[193:194], vcc_lo, 1.0, v[174:175], 1.0
	v_mul_f64 v[195:196], v[193:194], v[191:192]
	v_fma_f64 v[176:177], -v[176:177], v[195:196], v[193:194]
	v_div_fmas_f64 v[176:177], v[176:177], v[191:192], v[195:196]
	v_div_fixup_f64 v[174:175], v[176:177], v[174:175], 1.0
	v_mul_f64 v[176:177], v[189:190], -v[174:175]
.LBB84_450:
	s_or_b32 exec_lo, exec_lo, s1
.LBB84_451:
	s_or_b32 exec_lo, exec_lo, s0
	s_mov_b32 s0, exec_lo
	v_cmpx_ne_u32_e64 v188, v182
	s_xor_b32 s0, exec_lo, s0
	s_cbranch_execz .LBB84_457
; %bb.452:
	s_mov_b32 s1, exec_lo
	v_cmpx_eq_u32_e32 21, v188
	s_cbranch_execz .LBB84_456
; %bb.453:
	v_cmp_ne_u32_e32 vcc_lo, 21, v182
	s_xor_b32 s2, s16, -1
	s_and_b32 s3, s2, vcc_lo
	s_and_saveexec_b32 s2, s3
	s_cbranch_execz .LBB84_455
; %bb.454:
	v_ashrrev_i32_e32 v183, 31, v182
	v_lshlrev_b64 v[188:189], 2, v[182:183]
	v_add_co_u32 v188, vcc_lo, v180, v188
	v_add_co_ci_u32_e64 v189, null, v181, v189, vcc_lo
	s_clause 0x1
	global_load_dword v0, v[188:189], off
	global_load_dword v183, v[180:181], off offset:84
	s_waitcnt vmcnt(1)
	global_store_dword v[180:181], v0, off offset:84
	s_waitcnt vmcnt(0)
	global_store_dword v[188:189], v183, off
.LBB84_455:
	s_or_b32 exec_lo, exec_lo, s2
	v_mov_b32_e32 v188, v182
	v_mov_b32_e32 v0, v182
.LBB84_456:
	s_or_b32 exec_lo, exec_lo, s1
.LBB84_457:
	s_andn2_saveexec_b32 s0, s0
	s_cbranch_execz .LBB84_459
; %bb.458:
	v_mov_b32_e32 v188, 21
	ds_write2_b64 v1, v[82:83], v[84:85] offset0:44 offset1:45
	ds_write2_b64 v1, v[78:79], v[80:81] offset0:46 offset1:47
	;; [unrolled: 1-line block ×21, first 2 shown]
.LBB84_459:
	s_or_b32 exec_lo, exec_lo, s0
	s_mov_b32 s0, exec_lo
	s_waitcnt lgkmcnt(0)
	s_waitcnt_vscnt null, 0x0
	s_barrier
	buffer_gl0_inv
	v_cmpx_lt_i32_e32 21, v188
	s_cbranch_execz .LBB84_461
; %bb.460:
	v_mul_f64 v[182:183], v[176:177], v[88:89]
	v_mul_f64 v[88:89], v[174:175], v[88:89]
	v_fma_f64 v[182:183], v[174:175], v[86:87], -v[182:183]
	v_fma_f64 v[88:89], v[176:177], v[86:87], v[88:89]
	ds_read2_b64 v[174:177], v1 offset0:44 offset1:45
	s_waitcnt lgkmcnt(0)
	v_mul_f64 v[86:87], v[176:177], v[88:89]
	v_fma_f64 v[86:87], v[174:175], v[182:183], -v[86:87]
	v_mul_f64 v[174:175], v[174:175], v[88:89]
	v_add_f64 v[82:83], v[82:83], -v[86:87]
	v_fma_f64 v[174:175], v[176:177], v[182:183], v[174:175]
	v_add_f64 v[84:85], v[84:85], -v[174:175]
	ds_read2_b64 v[174:177], v1 offset0:46 offset1:47
	s_waitcnt lgkmcnt(0)
	v_mul_f64 v[86:87], v[176:177], v[88:89]
	v_fma_f64 v[86:87], v[174:175], v[182:183], -v[86:87]
	v_mul_f64 v[174:175], v[174:175], v[88:89]
	v_add_f64 v[78:79], v[78:79], -v[86:87]
	v_fma_f64 v[174:175], v[176:177], v[182:183], v[174:175]
	v_add_f64 v[80:81], v[80:81], -v[174:175]
	;; [unrolled: 8-line block ×20, first 2 shown]
	ds_read2_b64 v[174:177], v1 offset0:84 offset1:85
	s_waitcnt lgkmcnt(0)
	v_mul_f64 v[86:87], v[176:177], v[88:89]
	v_fma_f64 v[86:87], v[174:175], v[182:183], -v[86:87]
	v_mul_f64 v[174:175], v[174:175], v[88:89]
	v_add_f64 v[2:3], v[2:3], -v[86:87]
	v_fma_f64 v[174:175], v[176:177], v[182:183], v[174:175]
	v_mov_b32_e32 v86, v182
	v_mov_b32_e32 v87, v183
	v_add_f64 v[4:5], v[4:5], -v[174:175]
.LBB84_461:
	s_or_b32 exec_lo, exec_lo, s0
	v_lshl_add_u32 v174, v188, 4, v1
	s_barrier
	buffer_gl0_inv
	v_mov_b32_e32 v182, 22
	ds_write2_b64 v174, v[82:83], v[84:85] offset1:1
	s_waitcnt lgkmcnt(0)
	s_barrier
	buffer_gl0_inv
	ds_read2_b64 v[174:177], v1 offset0:44 offset1:45
	s_cmp_lt_i32 s18, 24
	s_cbranch_scc1 .LBB84_464
; %bb.462:
	v_add3_u32 v183, v184, 0, 0x170
	v_mov_b32_e32 v182, 22
	s_mov_b32 s1, 23
	s_inst_prefetch 0x1
	.p2align	6
.LBB84_463:                             ; =>This Inner Loop Header: Depth=1
	s_waitcnt lgkmcnt(0)
	v_cmp_gt_f64_e32 vcc_lo, 0, v[176:177]
	v_cmp_gt_f64_e64 s0, 0, v[174:175]
	ds_read2_b64 v[189:192], v183 offset1:1
	v_xor_b32_e32 v194, 0x80000000, v175
	v_xor_b32_e32 v196, 0x80000000, v177
	v_mov_b32_e32 v193, v174
	v_mov_b32_e32 v195, v176
	v_add_nc_u32_e32 v183, 16, v183
	s_waitcnt lgkmcnt(0)
	v_xor_b32_e32 v198, 0x80000000, v192
	v_cndmask_b32_e64 v194, v175, v194, s0
	v_cndmask_b32_e32 v196, v177, v196, vcc_lo
	v_cmp_gt_f64_e32 vcc_lo, 0, v[191:192]
	v_cmp_gt_f64_e64 s0, 0, v[189:190]
	v_mov_b32_e32 v197, v191
	v_add_f64 v[193:194], v[193:194], v[195:196]
	v_xor_b32_e32 v196, 0x80000000, v190
	v_mov_b32_e32 v195, v189
	v_cndmask_b32_e32 v198, v192, v198, vcc_lo
	v_cndmask_b32_e64 v196, v190, v196, s0
	v_add_f64 v[195:196], v[195:196], v[197:198]
	v_cmp_lt_f64_e32 vcc_lo, v[193:194], v[195:196]
	v_cndmask_b32_e32 v175, v175, v190, vcc_lo
	v_cndmask_b32_e32 v174, v174, v189, vcc_lo
	;; [unrolled: 1-line block ×4, first 2 shown]
	v_cndmask_b32_e64 v182, v182, s1, vcc_lo
	s_add_i32 s1, s1, 1
	s_cmp_lg_u32 s18, s1
	s_cbranch_scc1 .LBB84_463
.LBB84_464:
	s_inst_prefetch 0x2
	s_waitcnt lgkmcnt(0)
	v_cmp_eq_f64_e32 vcc_lo, 0, v[174:175]
	v_cmp_eq_f64_e64 s0, 0, v[176:177]
	s_and_b32 s0, vcc_lo, s0
	s_and_saveexec_b32 s1, s0
	s_xor_b32 s0, exec_lo, s1
; %bb.465:
	v_cmp_ne_u32_e32 vcc_lo, 0, v187
	v_cndmask_b32_e32 v187, 23, v187, vcc_lo
; %bb.466:
	s_andn2_saveexec_b32 s0, s0
	s_cbranch_execz .LBB84_472
; %bb.467:
	v_cmp_ngt_f64_e64 s1, |v[174:175]|, |v[176:177]|
	s_and_saveexec_b32 s2, s1
	s_xor_b32 s1, exec_lo, s2
	s_cbranch_execz .LBB84_469
; %bb.468:
	v_div_scale_f64 v[189:190], null, v[176:177], v[176:177], v[174:175]
	v_div_scale_f64 v[195:196], vcc_lo, v[174:175], v[176:177], v[174:175]
	v_rcp_f64_e32 v[191:192], v[189:190]
	v_fma_f64 v[193:194], -v[189:190], v[191:192], 1.0
	v_fma_f64 v[191:192], v[191:192], v[193:194], v[191:192]
	v_fma_f64 v[193:194], -v[189:190], v[191:192], 1.0
	v_fma_f64 v[191:192], v[191:192], v[193:194], v[191:192]
	v_mul_f64 v[193:194], v[195:196], v[191:192]
	v_fma_f64 v[189:190], -v[189:190], v[193:194], v[195:196]
	v_div_fmas_f64 v[189:190], v[189:190], v[191:192], v[193:194]
	v_div_fixup_f64 v[189:190], v[189:190], v[176:177], v[174:175]
	v_fma_f64 v[174:175], v[174:175], v[189:190], v[176:177]
	v_div_scale_f64 v[176:177], null, v[174:175], v[174:175], 1.0
	v_rcp_f64_e32 v[191:192], v[176:177]
	v_fma_f64 v[193:194], -v[176:177], v[191:192], 1.0
	v_fma_f64 v[191:192], v[191:192], v[193:194], v[191:192]
	v_fma_f64 v[193:194], -v[176:177], v[191:192], 1.0
	v_fma_f64 v[191:192], v[191:192], v[193:194], v[191:192]
	v_div_scale_f64 v[193:194], vcc_lo, 1.0, v[174:175], 1.0
	v_mul_f64 v[195:196], v[193:194], v[191:192]
	v_fma_f64 v[176:177], -v[176:177], v[195:196], v[193:194]
	v_div_fmas_f64 v[176:177], v[176:177], v[191:192], v[195:196]
	v_div_fixup_f64 v[176:177], v[176:177], v[174:175], 1.0
	v_mul_f64 v[174:175], v[189:190], v[176:177]
	v_xor_b32_e32 v177, 0x80000000, v177
.LBB84_469:
	s_andn2_saveexec_b32 s1, s1
	s_cbranch_execz .LBB84_471
; %bb.470:
	v_div_scale_f64 v[189:190], null, v[174:175], v[174:175], v[176:177]
	v_div_scale_f64 v[195:196], vcc_lo, v[176:177], v[174:175], v[176:177]
	v_rcp_f64_e32 v[191:192], v[189:190]
	v_fma_f64 v[193:194], -v[189:190], v[191:192], 1.0
	v_fma_f64 v[191:192], v[191:192], v[193:194], v[191:192]
	v_fma_f64 v[193:194], -v[189:190], v[191:192], 1.0
	v_fma_f64 v[191:192], v[191:192], v[193:194], v[191:192]
	v_mul_f64 v[193:194], v[195:196], v[191:192]
	v_fma_f64 v[189:190], -v[189:190], v[193:194], v[195:196]
	v_div_fmas_f64 v[189:190], v[189:190], v[191:192], v[193:194]
	v_div_fixup_f64 v[189:190], v[189:190], v[174:175], v[176:177]
	v_fma_f64 v[174:175], v[176:177], v[189:190], v[174:175]
	v_div_scale_f64 v[176:177], null, v[174:175], v[174:175], 1.0
	v_rcp_f64_e32 v[191:192], v[176:177]
	v_fma_f64 v[193:194], -v[176:177], v[191:192], 1.0
	v_fma_f64 v[191:192], v[191:192], v[193:194], v[191:192]
	v_fma_f64 v[193:194], -v[176:177], v[191:192], 1.0
	v_fma_f64 v[191:192], v[191:192], v[193:194], v[191:192]
	v_div_scale_f64 v[193:194], vcc_lo, 1.0, v[174:175], 1.0
	v_mul_f64 v[195:196], v[193:194], v[191:192]
	v_fma_f64 v[176:177], -v[176:177], v[195:196], v[193:194]
	v_div_fmas_f64 v[176:177], v[176:177], v[191:192], v[195:196]
	v_div_fixup_f64 v[174:175], v[176:177], v[174:175], 1.0
	v_mul_f64 v[176:177], v[189:190], -v[174:175]
.LBB84_471:
	s_or_b32 exec_lo, exec_lo, s1
.LBB84_472:
	s_or_b32 exec_lo, exec_lo, s0
	s_mov_b32 s0, exec_lo
	v_cmpx_ne_u32_e64 v188, v182
	s_xor_b32 s0, exec_lo, s0
	s_cbranch_execz .LBB84_478
; %bb.473:
	s_mov_b32 s1, exec_lo
	v_cmpx_eq_u32_e32 22, v188
	s_cbranch_execz .LBB84_477
; %bb.474:
	v_cmp_ne_u32_e32 vcc_lo, 22, v182
	s_xor_b32 s2, s16, -1
	s_and_b32 s3, s2, vcc_lo
	s_and_saveexec_b32 s2, s3
	s_cbranch_execz .LBB84_476
; %bb.475:
	v_ashrrev_i32_e32 v183, 31, v182
	v_lshlrev_b64 v[188:189], 2, v[182:183]
	v_add_co_u32 v188, vcc_lo, v180, v188
	v_add_co_ci_u32_e64 v189, null, v181, v189, vcc_lo
	s_clause 0x1
	global_load_dword v0, v[188:189], off
	global_load_dword v183, v[180:181], off offset:88
	s_waitcnt vmcnt(1)
	global_store_dword v[180:181], v0, off offset:88
	s_waitcnt vmcnt(0)
	global_store_dword v[188:189], v183, off
.LBB84_476:
	s_or_b32 exec_lo, exec_lo, s2
	v_mov_b32_e32 v188, v182
	v_mov_b32_e32 v0, v182
.LBB84_477:
	s_or_b32 exec_lo, exec_lo, s1
.LBB84_478:
	s_andn2_saveexec_b32 s0, s0
	s_cbranch_execz .LBB84_480
; %bb.479:
	v_mov_b32_e32 v188, 22
	ds_write2_b64 v1, v[78:79], v[80:81] offset0:46 offset1:47
	ds_write2_b64 v1, v[74:75], v[76:77] offset0:48 offset1:49
	;; [unrolled: 1-line block ×20, first 2 shown]
.LBB84_480:
	s_or_b32 exec_lo, exec_lo, s0
	s_mov_b32 s0, exec_lo
	s_waitcnt lgkmcnt(0)
	s_waitcnt_vscnt null, 0x0
	s_barrier
	buffer_gl0_inv
	v_cmpx_lt_i32_e32 22, v188
	s_cbranch_execz .LBB84_482
; %bb.481:
	v_mul_f64 v[182:183], v[176:177], v[84:85]
	v_mul_f64 v[84:85], v[174:175], v[84:85]
	v_fma_f64 v[182:183], v[174:175], v[82:83], -v[182:183]
	v_fma_f64 v[84:85], v[176:177], v[82:83], v[84:85]
	ds_read2_b64 v[174:177], v1 offset0:46 offset1:47
	s_waitcnt lgkmcnt(0)
	v_mul_f64 v[82:83], v[176:177], v[84:85]
	v_fma_f64 v[82:83], v[174:175], v[182:183], -v[82:83]
	v_mul_f64 v[174:175], v[174:175], v[84:85]
	v_add_f64 v[78:79], v[78:79], -v[82:83]
	v_fma_f64 v[174:175], v[176:177], v[182:183], v[174:175]
	v_add_f64 v[80:81], v[80:81], -v[174:175]
	ds_read2_b64 v[174:177], v1 offset0:48 offset1:49
	s_waitcnt lgkmcnt(0)
	v_mul_f64 v[82:83], v[176:177], v[84:85]
	v_fma_f64 v[82:83], v[174:175], v[182:183], -v[82:83]
	v_mul_f64 v[174:175], v[174:175], v[84:85]
	v_add_f64 v[74:75], v[74:75], -v[82:83]
	v_fma_f64 v[174:175], v[176:177], v[182:183], v[174:175]
	v_add_f64 v[76:77], v[76:77], -v[174:175]
	;; [unrolled: 8-line block ×19, first 2 shown]
	ds_read2_b64 v[174:177], v1 offset0:84 offset1:85
	s_waitcnt lgkmcnt(0)
	v_mul_f64 v[82:83], v[176:177], v[84:85]
	v_fma_f64 v[82:83], v[174:175], v[182:183], -v[82:83]
	v_mul_f64 v[174:175], v[174:175], v[84:85]
	v_add_f64 v[2:3], v[2:3], -v[82:83]
	v_fma_f64 v[174:175], v[176:177], v[182:183], v[174:175]
	v_mov_b32_e32 v82, v182
	v_mov_b32_e32 v83, v183
	v_add_f64 v[4:5], v[4:5], -v[174:175]
.LBB84_482:
	s_or_b32 exec_lo, exec_lo, s0
	v_lshl_add_u32 v174, v188, 4, v1
	s_barrier
	buffer_gl0_inv
	v_mov_b32_e32 v182, 23
	ds_write2_b64 v174, v[78:79], v[80:81] offset1:1
	s_waitcnt lgkmcnt(0)
	s_barrier
	buffer_gl0_inv
	ds_read2_b64 v[174:177], v1 offset0:46 offset1:47
	s_cmp_lt_i32 s18, 25
	s_cbranch_scc1 .LBB84_485
; %bb.483:
	v_add3_u32 v183, v184, 0, 0x180
	v_mov_b32_e32 v182, 23
	s_mov_b32 s1, 24
	s_inst_prefetch 0x1
	.p2align	6
.LBB84_484:                             ; =>This Inner Loop Header: Depth=1
	s_waitcnt lgkmcnt(0)
	v_cmp_gt_f64_e32 vcc_lo, 0, v[176:177]
	v_cmp_gt_f64_e64 s0, 0, v[174:175]
	ds_read2_b64 v[189:192], v183 offset1:1
	v_xor_b32_e32 v194, 0x80000000, v175
	v_xor_b32_e32 v196, 0x80000000, v177
	v_mov_b32_e32 v193, v174
	v_mov_b32_e32 v195, v176
	v_add_nc_u32_e32 v183, 16, v183
	s_waitcnt lgkmcnt(0)
	v_xor_b32_e32 v198, 0x80000000, v192
	v_cndmask_b32_e64 v194, v175, v194, s0
	v_cndmask_b32_e32 v196, v177, v196, vcc_lo
	v_cmp_gt_f64_e32 vcc_lo, 0, v[191:192]
	v_cmp_gt_f64_e64 s0, 0, v[189:190]
	v_mov_b32_e32 v197, v191
	v_add_f64 v[193:194], v[193:194], v[195:196]
	v_xor_b32_e32 v196, 0x80000000, v190
	v_mov_b32_e32 v195, v189
	v_cndmask_b32_e32 v198, v192, v198, vcc_lo
	v_cndmask_b32_e64 v196, v190, v196, s0
	v_add_f64 v[195:196], v[195:196], v[197:198]
	v_cmp_lt_f64_e32 vcc_lo, v[193:194], v[195:196]
	v_cndmask_b32_e32 v175, v175, v190, vcc_lo
	v_cndmask_b32_e32 v174, v174, v189, vcc_lo
	;; [unrolled: 1-line block ×4, first 2 shown]
	v_cndmask_b32_e64 v182, v182, s1, vcc_lo
	s_add_i32 s1, s1, 1
	s_cmp_lg_u32 s18, s1
	s_cbranch_scc1 .LBB84_484
.LBB84_485:
	s_inst_prefetch 0x2
	s_waitcnt lgkmcnt(0)
	v_cmp_eq_f64_e32 vcc_lo, 0, v[174:175]
	v_cmp_eq_f64_e64 s0, 0, v[176:177]
	s_and_b32 s0, vcc_lo, s0
	s_and_saveexec_b32 s1, s0
	s_xor_b32 s0, exec_lo, s1
; %bb.486:
	v_cmp_ne_u32_e32 vcc_lo, 0, v187
	v_cndmask_b32_e32 v187, 24, v187, vcc_lo
; %bb.487:
	s_andn2_saveexec_b32 s0, s0
	s_cbranch_execz .LBB84_493
; %bb.488:
	v_cmp_ngt_f64_e64 s1, |v[174:175]|, |v[176:177]|
	s_and_saveexec_b32 s2, s1
	s_xor_b32 s1, exec_lo, s2
	s_cbranch_execz .LBB84_490
; %bb.489:
	v_div_scale_f64 v[189:190], null, v[176:177], v[176:177], v[174:175]
	v_div_scale_f64 v[195:196], vcc_lo, v[174:175], v[176:177], v[174:175]
	v_rcp_f64_e32 v[191:192], v[189:190]
	v_fma_f64 v[193:194], -v[189:190], v[191:192], 1.0
	v_fma_f64 v[191:192], v[191:192], v[193:194], v[191:192]
	v_fma_f64 v[193:194], -v[189:190], v[191:192], 1.0
	v_fma_f64 v[191:192], v[191:192], v[193:194], v[191:192]
	v_mul_f64 v[193:194], v[195:196], v[191:192]
	v_fma_f64 v[189:190], -v[189:190], v[193:194], v[195:196]
	v_div_fmas_f64 v[189:190], v[189:190], v[191:192], v[193:194]
	v_div_fixup_f64 v[189:190], v[189:190], v[176:177], v[174:175]
	v_fma_f64 v[174:175], v[174:175], v[189:190], v[176:177]
	v_div_scale_f64 v[176:177], null, v[174:175], v[174:175], 1.0
	v_rcp_f64_e32 v[191:192], v[176:177]
	v_fma_f64 v[193:194], -v[176:177], v[191:192], 1.0
	v_fma_f64 v[191:192], v[191:192], v[193:194], v[191:192]
	v_fma_f64 v[193:194], -v[176:177], v[191:192], 1.0
	v_fma_f64 v[191:192], v[191:192], v[193:194], v[191:192]
	v_div_scale_f64 v[193:194], vcc_lo, 1.0, v[174:175], 1.0
	v_mul_f64 v[195:196], v[193:194], v[191:192]
	v_fma_f64 v[176:177], -v[176:177], v[195:196], v[193:194]
	v_div_fmas_f64 v[176:177], v[176:177], v[191:192], v[195:196]
	v_div_fixup_f64 v[176:177], v[176:177], v[174:175], 1.0
	v_mul_f64 v[174:175], v[189:190], v[176:177]
	v_xor_b32_e32 v177, 0x80000000, v177
.LBB84_490:
	s_andn2_saveexec_b32 s1, s1
	s_cbranch_execz .LBB84_492
; %bb.491:
	v_div_scale_f64 v[189:190], null, v[174:175], v[174:175], v[176:177]
	v_div_scale_f64 v[195:196], vcc_lo, v[176:177], v[174:175], v[176:177]
	v_rcp_f64_e32 v[191:192], v[189:190]
	v_fma_f64 v[193:194], -v[189:190], v[191:192], 1.0
	v_fma_f64 v[191:192], v[191:192], v[193:194], v[191:192]
	v_fma_f64 v[193:194], -v[189:190], v[191:192], 1.0
	v_fma_f64 v[191:192], v[191:192], v[193:194], v[191:192]
	v_mul_f64 v[193:194], v[195:196], v[191:192]
	v_fma_f64 v[189:190], -v[189:190], v[193:194], v[195:196]
	v_div_fmas_f64 v[189:190], v[189:190], v[191:192], v[193:194]
	v_div_fixup_f64 v[189:190], v[189:190], v[174:175], v[176:177]
	v_fma_f64 v[174:175], v[176:177], v[189:190], v[174:175]
	v_div_scale_f64 v[176:177], null, v[174:175], v[174:175], 1.0
	v_rcp_f64_e32 v[191:192], v[176:177]
	v_fma_f64 v[193:194], -v[176:177], v[191:192], 1.0
	v_fma_f64 v[191:192], v[191:192], v[193:194], v[191:192]
	v_fma_f64 v[193:194], -v[176:177], v[191:192], 1.0
	v_fma_f64 v[191:192], v[191:192], v[193:194], v[191:192]
	v_div_scale_f64 v[193:194], vcc_lo, 1.0, v[174:175], 1.0
	v_mul_f64 v[195:196], v[193:194], v[191:192]
	v_fma_f64 v[176:177], -v[176:177], v[195:196], v[193:194]
	v_div_fmas_f64 v[176:177], v[176:177], v[191:192], v[195:196]
	v_div_fixup_f64 v[174:175], v[176:177], v[174:175], 1.0
	v_mul_f64 v[176:177], v[189:190], -v[174:175]
.LBB84_492:
	s_or_b32 exec_lo, exec_lo, s1
.LBB84_493:
	s_or_b32 exec_lo, exec_lo, s0
	s_mov_b32 s0, exec_lo
	v_cmpx_ne_u32_e64 v188, v182
	s_xor_b32 s0, exec_lo, s0
	s_cbranch_execz .LBB84_499
; %bb.494:
	s_mov_b32 s1, exec_lo
	v_cmpx_eq_u32_e32 23, v188
	s_cbranch_execz .LBB84_498
; %bb.495:
	v_cmp_ne_u32_e32 vcc_lo, 23, v182
	s_xor_b32 s2, s16, -1
	s_and_b32 s3, s2, vcc_lo
	s_and_saveexec_b32 s2, s3
	s_cbranch_execz .LBB84_497
; %bb.496:
	v_ashrrev_i32_e32 v183, 31, v182
	v_lshlrev_b64 v[188:189], 2, v[182:183]
	v_add_co_u32 v188, vcc_lo, v180, v188
	v_add_co_ci_u32_e64 v189, null, v181, v189, vcc_lo
	s_clause 0x1
	global_load_dword v0, v[188:189], off
	global_load_dword v183, v[180:181], off offset:92
	s_waitcnt vmcnt(1)
	global_store_dword v[180:181], v0, off offset:92
	s_waitcnt vmcnt(0)
	global_store_dword v[188:189], v183, off
.LBB84_497:
	s_or_b32 exec_lo, exec_lo, s2
	v_mov_b32_e32 v188, v182
	v_mov_b32_e32 v0, v182
.LBB84_498:
	s_or_b32 exec_lo, exec_lo, s1
.LBB84_499:
	s_andn2_saveexec_b32 s0, s0
	s_cbranch_execz .LBB84_501
; %bb.500:
	v_mov_b32_e32 v188, 23
	ds_write2_b64 v1, v[74:75], v[76:77] offset0:48 offset1:49
	ds_write2_b64 v1, v[70:71], v[72:73] offset0:50 offset1:51
	;; [unrolled: 1-line block ×19, first 2 shown]
.LBB84_501:
	s_or_b32 exec_lo, exec_lo, s0
	s_mov_b32 s0, exec_lo
	s_waitcnt lgkmcnt(0)
	s_waitcnt_vscnt null, 0x0
	s_barrier
	buffer_gl0_inv
	v_cmpx_lt_i32_e32 23, v188
	s_cbranch_execz .LBB84_503
; %bb.502:
	v_mul_f64 v[182:183], v[176:177], v[80:81]
	v_mul_f64 v[80:81], v[174:175], v[80:81]
	v_fma_f64 v[182:183], v[174:175], v[78:79], -v[182:183]
	v_fma_f64 v[80:81], v[176:177], v[78:79], v[80:81]
	ds_read2_b64 v[174:177], v1 offset0:48 offset1:49
	s_waitcnt lgkmcnt(0)
	v_mul_f64 v[78:79], v[176:177], v[80:81]
	v_fma_f64 v[78:79], v[174:175], v[182:183], -v[78:79]
	v_mul_f64 v[174:175], v[174:175], v[80:81]
	v_add_f64 v[74:75], v[74:75], -v[78:79]
	v_fma_f64 v[174:175], v[176:177], v[182:183], v[174:175]
	v_add_f64 v[76:77], v[76:77], -v[174:175]
	ds_read2_b64 v[174:177], v1 offset0:50 offset1:51
	s_waitcnt lgkmcnt(0)
	v_mul_f64 v[78:79], v[176:177], v[80:81]
	v_fma_f64 v[78:79], v[174:175], v[182:183], -v[78:79]
	v_mul_f64 v[174:175], v[174:175], v[80:81]
	v_add_f64 v[70:71], v[70:71], -v[78:79]
	v_fma_f64 v[174:175], v[176:177], v[182:183], v[174:175]
	v_add_f64 v[72:73], v[72:73], -v[174:175]
	;; [unrolled: 8-line block ×18, first 2 shown]
	ds_read2_b64 v[174:177], v1 offset0:84 offset1:85
	s_waitcnt lgkmcnt(0)
	v_mul_f64 v[78:79], v[176:177], v[80:81]
	v_fma_f64 v[78:79], v[174:175], v[182:183], -v[78:79]
	v_mul_f64 v[174:175], v[174:175], v[80:81]
	v_add_f64 v[2:3], v[2:3], -v[78:79]
	v_fma_f64 v[174:175], v[176:177], v[182:183], v[174:175]
	v_mov_b32_e32 v78, v182
	v_mov_b32_e32 v79, v183
	v_add_f64 v[4:5], v[4:5], -v[174:175]
.LBB84_503:
	s_or_b32 exec_lo, exec_lo, s0
	v_lshl_add_u32 v174, v188, 4, v1
	s_barrier
	buffer_gl0_inv
	v_mov_b32_e32 v182, 24
	ds_write2_b64 v174, v[74:75], v[76:77] offset1:1
	s_waitcnt lgkmcnt(0)
	s_barrier
	buffer_gl0_inv
	ds_read2_b64 v[174:177], v1 offset0:48 offset1:49
	s_cmp_lt_i32 s18, 26
	s_cbranch_scc1 .LBB84_506
; %bb.504:
	v_add3_u32 v183, v184, 0, 0x190
	v_mov_b32_e32 v182, 24
	s_mov_b32 s1, 25
	s_inst_prefetch 0x1
	.p2align	6
.LBB84_505:                             ; =>This Inner Loop Header: Depth=1
	s_waitcnt lgkmcnt(0)
	v_cmp_gt_f64_e32 vcc_lo, 0, v[176:177]
	v_cmp_gt_f64_e64 s0, 0, v[174:175]
	ds_read2_b64 v[189:192], v183 offset1:1
	v_xor_b32_e32 v194, 0x80000000, v175
	v_xor_b32_e32 v196, 0x80000000, v177
	v_mov_b32_e32 v193, v174
	v_mov_b32_e32 v195, v176
	v_add_nc_u32_e32 v183, 16, v183
	s_waitcnt lgkmcnt(0)
	v_xor_b32_e32 v198, 0x80000000, v192
	v_cndmask_b32_e64 v194, v175, v194, s0
	v_cndmask_b32_e32 v196, v177, v196, vcc_lo
	v_cmp_gt_f64_e32 vcc_lo, 0, v[191:192]
	v_cmp_gt_f64_e64 s0, 0, v[189:190]
	v_mov_b32_e32 v197, v191
	v_add_f64 v[193:194], v[193:194], v[195:196]
	v_xor_b32_e32 v196, 0x80000000, v190
	v_mov_b32_e32 v195, v189
	v_cndmask_b32_e32 v198, v192, v198, vcc_lo
	v_cndmask_b32_e64 v196, v190, v196, s0
	v_add_f64 v[195:196], v[195:196], v[197:198]
	v_cmp_lt_f64_e32 vcc_lo, v[193:194], v[195:196]
	v_cndmask_b32_e32 v175, v175, v190, vcc_lo
	v_cndmask_b32_e32 v174, v174, v189, vcc_lo
	;; [unrolled: 1-line block ×4, first 2 shown]
	v_cndmask_b32_e64 v182, v182, s1, vcc_lo
	s_add_i32 s1, s1, 1
	s_cmp_lg_u32 s18, s1
	s_cbranch_scc1 .LBB84_505
.LBB84_506:
	s_inst_prefetch 0x2
	s_waitcnt lgkmcnt(0)
	v_cmp_eq_f64_e32 vcc_lo, 0, v[174:175]
	v_cmp_eq_f64_e64 s0, 0, v[176:177]
	s_and_b32 s0, vcc_lo, s0
	s_and_saveexec_b32 s1, s0
	s_xor_b32 s0, exec_lo, s1
; %bb.507:
	v_cmp_ne_u32_e32 vcc_lo, 0, v187
	v_cndmask_b32_e32 v187, 25, v187, vcc_lo
; %bb.508:
	s_andn2_saveexec_b32 s0, s0
	s_cbranch_execz .LBB84_514
; %bb.509:
	v_cmp_ngt_f64_e64 s1, |v[174:175]|, |v[176:177]|
	s_and_saveexec_b32 s2, s1
	s_xor_b32 s1, exec_lo, s2
	s_cbranch_execz .LBB84_511
; %bb.510:
	v_div_scale_f64 v[189:190], null, v[176:177], v[176:177], v[174:175]
	v_div_scale_f64 v[195:196], vcc_lo, v[174:175], v[176:177], v[174:175]
	v_rcp_f64_e32 v[191:192], v[189:190]
	v_fma_f64 v[193:194], -v[189:190], v[191:192], 1.0
	v_fma_f64 v[191:192], v[191:192], v[193:194], v[191:192]
	v_fma_f64 v[193:194], -v[189:190], v[191:192], 1.0
	v_fma_f64 v[191:192], v[191:192], v[193:194], v[191:192]
	v_mul_f64 v[193:194], v[195:196], v[191:192]
	v_fma_f64 v[189:190], -v[189:190], v[193:194], v[195:196]
	v_div_fmas_f64 v[189:190], v[189:190], v[191:192], v[193:194]
	v_div_fixup_f64 v[189:190], v[189:190], v[176:177], v[174:175]
	v_fma_f64 v[174:175], v[174:175], v[189:190], v[176:177]
	v_div_scale_f64 v[176:177], null, v[174:175], v[174:175], 1.0
	v_rcp_f64_e32 v[191:192], v[176:177]
	v_fma_f64 v[193:194], -v[176:177], v[191:192], 1.0
	v_fma_f64 v[191:192], v[191:192], v[193:194], v[191:192]
	v_fma_f64 v[193:194], -v[176:177], v[191:192], 1.0
	v_fma_f64 v[191:192], v[191:192], v[193:194], v[191:192]
	v_div_scale_f64 v[193:194], vcc_lo, 1.0, v[174:175], 1.0
	v_mul_f64 v[195:196], v[193:194], v[191:192]
	v_fma_f64 v[176:177], -v[176:177], v[195:196], v[193:194]
	v_div_fmas_f64 v[176:177], v[176:177], v[191:192], v[195:196]
	v_div_fixup_f64 v[176:177], v[176:177], v[174:175], 1.0
	v_mul_f64 v[174:175], v[189:190], v[176:177]
	v_xor_b32_e32 v177, 0x80000000, v177
.LBB84_511:
	s_andn2_saveexec_b32 s1, s1
	s_cbranch_execz .LBB84_513
; %bb.512:
	v_div_scale_f64 v[189:190], null, v[174:175], v[174:175], v[176:177]
	v_div_scale_f64 v[195:196], vcc_lo, v[176:177], v[174:175], v[176:177]
	v_rcp_f64_e32 v[191:192], v[189:190]
	v_fma_f64 v[193:194], -v[189:190], v[191:192], 1.0
	v_fma_f64 v[191:192], v[191:192], v[193:194], v[191:192]
	v_fma_f64 v[193:194], -v[189:190], v[191:192], 1.0
	v_fma_f64 v[191:192], v[191:192], v[193:194], v[191:192]
	v_mul_f64 v[193:194], v[195:196], v[191:192]
	v_fma_f64 v[189:190], -v[189:190], v[193:194], v[195:196]
	v_div_fmas_f64 v[189:190], v[189:190], v[191:192], v[193:194]
	v_div_fixup_f64 v[189:190], v[189:190], v[174:175], v[176:177]
	v_fma_f64 v[174:175], v[176:177], v[189:190], v[174:175]
	v_div_scale_f64 v[176:177], null, v[174:175], v[174:175], 1.0
	v_rcp_f64_e32 v[191:192], v[176:177]
	v_fma_f64 v[193:194], -v[176:177], v[191:192], 1.0
	v_fma_f64 v[191:192], v[191:192], v[193:194], v[191:192]
	v_fma_f64 v[193:194], -v[176:177], v[191:192], 1.0
	v_fma_f64 v[191:192], v[191:192], v[193:194], v[191:192]
	v_div_scale_f64 v[193:194], vcc_lo, 1.0, v[174:175], 1.0
	v_mul_f64 v[195:196], v[193:194], v[191:192]
	v_fma_f64 v[176:177], -v[176:177], v[195:196], v[193:194]
	v_div_fmas_f64 v[176:177], v[176:177], v[191:192], v[195:196]
	v_div_fixup_f64 v[174:175], v[176:177], v[174:175], 1.0
	v_mul_f64 v[176:177], v[189:190], -v[174:175]
.LBB84_513:
	s_or_b32 exec_lo, exec_lo, s1
.LBB84_514:
	s_or_b32 exec_lo, exec_lo, s0
	s_mov_b32 s0, exec_lo
	v_cmpx_ne_u32_e64 v188, v182
	s_xor_b32 s0, exec_lo, s0
	s_cbranch_execz .LBB84_520
; %bb.515:
	s_mov_b32 s1, exec_lo
	v_cmpx_eq_u32_e32 24, v188
	s_cbranch_execz .LBB84_519
; %bb.516:
	v_cmp_ne_u32_e32 vcc_lo, 24, v182
	s_xor_b32 s2, s16, -1
	s_and_b32 s3, s2, vcc_lo
	s_and_saveexec_b32 s2, s3
	s_cbranch_execz .LBB84_518
; %bb.517:
	v_ashrrev_i32_e32 v183, 31, v182
	v_lshlrev_b64 v[188:189], 2, v[182:183]
	v_add_co_u32 v188, vcc_lo, v180, v188
	v_add_co_ci_u32_e64 v189, null, v181, v189, vcc_lo
	s_clause 0x1
	global_load_dword v0, v[188:189], off
	global_load_dword v183, v[180:181], off offset:96
	s_waitcnt vmcnt(1)
	global_store_dword v[180:181], v0, off offset:96
	s_waitcnt vmcnt(0)
	global_store_dword v[188:189], v183, off
.LBB84_518:
	s_or_b32 exec_lo, exec_lo, s2
	v_mov_b32_e32 v188, v182
	v_mov_b32_e32 v0, v182
.LBB84_519:
	s_or_b32 exec_lo, exec_lo, s1
.LBB84_520:
	s_andn2_saveexec_b32 s0, s0
	s_cbranch_execz .LBB84_522
; %bb.521:
	v_mov_b32_e32 v188, 24
	ds_write2_b64 v1, v[70:71], v[72:73] offset0:50 offset1:51
	ds_write2_b64 v1, v[66:67], v[68:69] offset0:52 offset1:53
	;; [unrolled: 1-line block ×18, first 2 shown]
.LBB84_522:
	s_or_b32 exec_lo, exec_lo, s0
	s_mov_b32 s0, exec_lo
	s_waitcnt lgkmcnt(0)
	s_waitcnt_vscnt null, 0x0
	s_barrier
	buffer_gl0_inv
	v_cmpx_lt_i32_e32 24, v188
	s_cbranch_execz .LBB84_524
; %bb.523:
	v_mul_f64 v[182:183], v[176:177], v[76:77]
	v_mul_f64 v[76:77], v[174:175], v[76:77]
	v_fma_f64 v[182:183], v[174:175], v[74:75], -v[182:183]
	v_fma_f64 v[76:77], v[176:177], v[74:75], v[76:77]
	ds_read2_b64 v[174:177], v1 offset0:50 offset1:51
	s_waitcnt lgkmcnt(0)
	v_mul_f64 v[74:75], v[176:177], v[76:77]
	v_fma_f64 v[74:75], v[174:175], v[182:183], -v[74:75]
	v_mul_f64 v[174:175], v[174:175], v[76:77]
	v_add_f64 v[70:71], v[70:71], -v[74:75]
	v_fma_f64 v[174:175], v[176:177], v[182:183], v[174:175]
	v_add_f64 v[72:73], v[72:73], -v[174:175]
	ds_read2_b64 v[174:177], v1 offset0:52 offset1:53
	s_waitcnt lgkmcnt(0)
	v_mul_f64 v[74:75], v[176:177], v[76:77]
	v_fma_f64 v[74:75], v[174:175], v[182:183], -v[74:75]
	v_mul_f64 v[174:175], v[174:175], v[76:77]
	v_add_f64 v[66:67], v[66:67], -v[74:75]
	v_fma_f64 v[174:175], v[176:177], v[182:183], v[174:175]
	v_add_f64 v[68:69], v[68:69], -v[174:175]
	;; [unrolled: 8-line block ×17, first 2 shown]
	ds_read2_b64 v[174:177], v1 offset0:84 offset1:85
	s_waitcnt lgkmcnt(0)
	v_mul_f64 v[74:75], v[176:177], v[76:77]
	v_fma_f64 v[74:75], v[174:175], v[182:183], -v[74:75]
	v_mul_f64 v[174:175], v[174:175], v[76:77]
	v_add_f64 v[2:3], v[2:3], -v[74:75]
	v_fma_f64 v[174:175], v[176:177], v[182:183], v[174:175]
	v_mov_b32_e32 v74, v182
	v_mov_b32_e32 v75, v183
	v_add_f64 v[4:5], v[4:5], -v[174:175]
.LBB84_524:
	s_or_b32 exec_lo, exec_lo, s0
	v_lshl_add_u32 v174, v188, 4, v1
	s_barrier
	buffer_gl0_inv
	v_mov_b32_e32 v182, 25
	ds_write2_b64 v174, v[70:71], v[72:73] offset1:1
	s_waitcnt lgkmcnt(0)
	s_barrier
	buffer_gl0_inv
	ds_read2_b64 v[174:177], v1 offset0:50 offset1:51
	s_cmp_lt_i32 s18, 27
	s_cbranch_scc1 .LBB84_527
; %bb.525:
	v_add3_u32 v183, v184, 0, 0x1a0
	v_mov_b32_e32 v182, 25
	s_mov_b32 s1, 26
	s_inst_prefetch 0x1
	.p2align	6
.LBB84_526:                             ; =>This Inner Loop Header: Depth=1
	s_waitcnt lgkmcnt(0)
	v_cmp_gt_f64_e32 vcc_lo, 0, v[176:177]
	v_cmp_gt_f64_e64 s0, 0, v[174:175]
	ds_read2_b64 v[189:192], v183 offset1:1
	v_xor_b32_e32 v194, 0x80000000, v175
	v_xor_b32_e32 v196, 0x80000000, v177
	v_mov_b32_e32 v193, v174
	v_mov_b32_e32 v195, v176
	v_add_nc_u32_e32 v183, 16, v183
	s_waitcnt lgkmcnt(0)
	v_xor_b32_e32 v198, 0x80000000, v192
	v_cndmask_b32_e64 v194, v175, v194, s0
	v_cndmask_b32_e32 v196, v177, v196, vcc_lo
	v_cmp_gt_f64_e32 vcc_lo, 0, v[191:192]
	v_cmp_gt_f64_e64 s0, 0, v[189:190]
	v_mov_b32_e32 v197, v191
	v_add_f64 v[193:194], v[193:194], v[195:196]
	v_xor_b32_e32 v196, 0x80000000, v190
	v_mov_b32_e32 v195, v189
	v_cndmask_b32_e32 v198, v192, v198, vcc_lo
	v_cndmask_b32_e64 v196, v190, v196, s0
	v_add_f64 v[195:196], v[195:196], v[197:198]
	v_cmp_lt_f64_e32 vcc_lo, v[193:194], v[195:196]
	v_cndmask_b32_e32 v175, v175, v190, vcc_lo
	v_cndmask_b32_e32 v174, v174, v189, vcc_lo
	;; [unrolled: 1-line block ×4, first 2 shown]
	v_cndmask_b32_e64 v182, v182, s1, vcc_lo
	s_add_i32 s1, s1, 1
	s_cmp_lg_u32 s18, s1
	s_cbranch_scc1 .LBB84_526
.LBB84_527:
	s_inst_prefetch 0x2
	s_waitcnt lgkmcnt(0)
	v_cmp_eq_f64_e32 vcc_lo, 0, v[174:175]
	v_cmp_eq_f64_e64 s0, 0, v[176:177]
	s_and_b32 s0, vcc_lo, s0
	s_and_saveexec_b32 s1, s0
	s_xor_b32 s0, exec_lo, s1
; %bb.528:
	v_cmp_ne_u32_e32 vcc_lo, 0, v187
	v_cndmask_b32_e32 v187, 26, v187, vcc_lo
; %bb.529:
	s_andn2_saveexec_b32 s0, s0
	s_cbranch_execz .LBB84_535
; %bb.530:
	v_cmp_ngt_f64_e64 s1, |v[174:175]|, |v[176:177]|
	s_and_saveexec_b32 s2, s1
	s_xor_b32 s1, exec_lo, s2
	s_cbranch_execz .LBB84_532
; %bb.531:
	v_div_scale_f64 v[189:190], null, v[176:177], v[176:177], v[174:175]
	v_div_scale_f64 v[195:196], vcc_lo, v[174:175], v[176:177], v[174:175]
	v_rcp_f64_e32 v[191:192], v[189:190]
	v_fma_f64 v[193:194], -v[189:190], v[191:192], 1.0
	v_fma_f64 v[191:192], v[191:192], v[193:194], v[191:192]
	v_fma_f64 v[193:194], -v[189:190], v[191:192], 1.0
	v_fma_f64 v[191:192], v[191:192], v[193:194], v[191:192]
	v_mul_f64 v[193:194], v[195:196], v[191:192]
	v_fma_f64 v[189:190], -v[189:190], v[193:194], v[195:196]
	v_div_fmas_f64 v[189:190], v[189:190], v[191:192], v[193:194]
	v_div_fixup_f64 v[189:190], v[189:190], v[176:177], v[174:175]
	v_fma_f64 v[174:175], v[174:175], v[189:190], v[176:177]
	v_div_scale_f64 v[176:177], null, v[174:175], v[174:175], 1.0
	v_rcp_f64_e32 v[191:192], v[176:177]
	v_fma_f64 v[193:194], -v[176:177], v[191:192], 1.0
	v_fma_f64 v[191:192], v[191:192], v[193:194], v[191:192]
	v_fma_f64 v[193:194], -v[176:177], v[191:192], 1.0
	v_fma_f64 v[191:192], v[191:192], v[193:194], v[191:192]
	v_div_scale_f64 v[193:194], vcc_lo, 1.0, v[174:175], 1.0
	v_mul_f64 v[195:196], v[193:194], v[191:192]
	v_fma_f64 v[176:177], -v[176:177], v[195:196], v[193:194]
	v_div_fmas_f64 v[176:177], v[176:177], v[191:192], v[195:196]
	v_div_fixup_f64 v[176:177], v[176:177], v[174:175], 1.0
	v_mul_f64 v[174:175], v[189:190], v[176:177]
	v_xor_b32_e32 v177, 0x80000000, v177
.LBB84_532:
	s_andn2_saveexec_b32 s1, s1
	s_cbranch_execz .LBB84_534
; %bb.533:
	v_div_scale_f64 v[189:190], null, v[174:175], v[174:175], v[176:177]
	v_div_scale_f64 v[195:196], vcc_lo, v[176:177], v[174:175], v[176:177]
	v_rcp_f64_e32 v[191:192], v[189:190]
	v_fma_f64 v[193:194], -v[189:190], v[191:192], 1.0
	v_fma_f64 v[191:192], v[191:192], v[193:194], v[191:192]
	v_fma_f64 v[193:194], -v[189:190], v[191:192], 1.0
	v_fma_f64 v[191:192], v[191:192], v[193:194], v[191:192]
	v_mul_f64 v[193:194], v[195:196], v[191:192]
	v_fma_f64 v[189:190], -v[189:190], v[193:194], v[195:196]
	v_div_fmas_f64 v[189:190], v[189:190], v[191:192], v[193:194]
	v_div_fixup_f64 v[189:190], v[189:190], v[174:175], v[176:177]
	v_fma_f64 v[174:175], v[176:177], v[189:190], v[174:175]
	v_div_scale_f64 v[176:177], null, v[174:175], v[174:175], 1.0
	v_rcp_f64_e32 v[191:192], v[176:177]
	v_fma_f64 v[193:194], -v[176:177], v[191:192], 1.0
	v_fma_f64 v[191:192], v[191:192], v[193:194], v[191:192]
	v_fma_f64 v[193:194], -v[176:177], v[191:192], 1.0
	v_fma_f64 v[191:192], v[191:192], v[193:194], v[191:192]
	v_div_scale_f64 v[193:194], vcc_lo, 1.0, v[174:175], 1.0
	v_mul_f64 v[195:196], v[193:194], v[191:192]
	v_fma_f64 v[176:177], -v[176:177], v[195:196], v[193:194]
	v_div_fmas_f64 v[176:177], v[176:177], v[191:192], v[195:196]
	v_div_fixup_f64 v[174:175], v[176:177], v[174:175], 1.0
	v_mul_f64 v[176:177], v[189:190], -v[174:175]
.LBB84_534:
	s_or_b32 exec_lo, exec_lo, s1
.LBB84_535:
	s_or_b32 exec_lo, exec_lo, s0
	s_mov_b32 s0, exec_lo
	v_cmpx_ne_u32_e64 v188, v182
	s_xor_b32 s0, exec_lo, s0
	s_cbranch_execz .LBB84_541
; %bb.536:
	s_mov_b32 s1, exec_lo
	v_cmpx_eq_u32_e32 25, v188
	s_cbranch_execz .LBB84_540
; %bb.537:
	v_cmp_ne_u32_e32 vcc_lo, 25, v182
	s_xor_b32 s2, s16, -1
	s_and_b32 s3, s2, vcc_lo
	s_and_saveexec_b32 s2, s3
	s_cbranch_execz .LBB84_539
; %bb.538:
	v_ashrrev_i32_e32 v183, 31, v182
	v_lshlrev_b64 v[188:189], 2, v[182:183]
	v_add_co_u32 v188, vcc_lo, v180, v188
	v_add_co_ci_u32_e64 v189, null, v181, v189, vcc_lo
	s_clause 0x1
	global_load_dword v0, v[188:189], off
	global_load_dword v183, v[180:181], off offset:100
	s_waitcnt vmcnt(1)
	global_store_dword v[180:181], v0, off offset:100
	s_waitcnt vmcnt(0)
	global_store_dword v[188:189], v183, off
.LBB84_539:
	s_or_b32 exec_lo, exec_lo, s2
	v_mov_b32_e32 v188, v182
	v_mov_b32_e32 v0, v182
.LBB84_540:
	s_or_b32 exec_lo, exec_lo, s1
.LBB84_541:
	s_andn2_saveexec_b32 s0, s0
	s_cbranch_execz .LBB84_543
; %bb.542:
	v_mov_b32_e32 v188, 25
	ds_write2_b64 v1, v[66:67], v[68:69] offset0:52 offset1:53
	ds_write2_b64 v1, v[62:63], v[64:65] offset0:54 offset1:55
	;; [unrolled: 1-line block ×17, first 2 shown]
.LBB84_543:
	s_or_b32 exec_lo, exec_lo, s0
	s_mov_b32 s0, exec_lo
	s_waitcnt lgkmcnt(0)
	s_waitcnt_vscnt null, 0x0
	s_barrier
	buffer_gl0_inv
	v_cmpx_lt_i32_e32 25, v188
	s_cbranch_execz .LBB84_545
; %bb.544:
	v_mul_f64 v[182:183], v[176:177], v[72:73]
	v_mul_f64 v[72:73], v[174:175], v[72:73]
	v_fma_f64 v[182:183], v[174:175], v[70:71], -v[182:183]
	v_fma_f64 v[72:73], v[176:177], v[70:71], v[72:73]
	ds_read2_b64 v[174:177], v1 offset0:52 offset1:53
	s_waitcnt lgkmcnt(0)
	v_mul_f64 v[70:71], v[176:177], v[72:73]
	v_fma_f64 v[70:71], v[174:175], v[182:183], -v[70:71]
	v_mul_f64 v[174:175], v[174:175], v[72:73]
	v_add_f64 v[66:67], v[66:67], -v[70:71]
	v_fma_f64 v[174:175], v[176:177], v[182:183], v[174:175]
	v_add_f64 v[68:69], v[68:69], -v[174:175]
	ds_read2_b64 v[174:177], v1 offset0:54 offset1:55
	s_waitcnt lgkmcnt(0)
	v_mul_f64 v[70:71], v[176:177], v[72:73]
	v_fma_f64 v[70:71], v[174:175], v[182:183], -v[70:71]
	v_mul_f64 v[174:175], v[174:175], v[72:73]
	v_add_f64 v[62:63], v[62:63], -v[70:71]
	v_fma_f64 v[174:175], v[176:177], v[182:183], v[174:175]
	v_add_f64 v[64:65], v[64:65], -v[174:175]
	;; [unrolled: 8-line block ×16, first 2 shown]
	ds_read2_b64 v[174:177], v1 offset0:84 offset1:85
	s_waitcnt lgkmcnt(0)
	v_mul_f64 v[70:71], v[176:177], v[72:73]
	v_fma_f64 v[70:71], v[174:175], v[182:183], -v[70:71]
	v_mul_f64 v[174:175], v[174:175], v[72:73]
	v_add_f64 v[2:3], v[2:3], -v[70:71]
	v_fma_f64 v[174:175], v[176:177], v[182:183], v[174:175]
	v_mov_b32_e32 v70, v182
	v_mov_b32_e32 v71, v183
	v_add_f64 v[4:5], v[4:5], -v[174:175]
.LBB84_545:
	s_or_b32 exec_lo, exec_lo, s0
	v_lshl_add_u32 v174, v188, 4, v1
	s_barrier
	buffer_gl0_inv
	v_mov_b32_e32 v182, 26
	ds_write2_b64 v174, v[66:67], v[68:69] offset1:1
	s_waitcnt lgkmcnt(0)
	s_barrier
	buffer_gl0_inv
	ds_read2_b64 v[174:177], v1 offset0:52 offset1:53
	s_cmp_lt_i32 s18, 28
	s_cbranch_scc1 .LBB84_548
; %bb.546:
	v_add3_u32 v183, v184, 0, 0x1b0
	v_mov_b32_e32 v182, 26
	s_mov_b32 s1, 27
	s_inst_prefetch 0x1
	.p2align	6
.LBB84_547:                             ; =>This Inner Loop Header: Depth=1
	s_waitcnt lgkmcnt(0)
	v_cmp_gt_f64_e32 vcc_lo, 0, v[176:177]
	v_cmp_gt_f64_e64 s0, 0, v[174:175]
	ds_read2_b64 v[189:192], v183 offset1:1
	v_xor_b32_e32 v194, 0x80000000, v175
	v_xor_b32_e32 v196, 0x80000000, v177
	v_mov_b32_e32 v193, v174
	v_mov_b32_e32 v195, v176
	v_add_nc_u32_e32 v183, 16, v183
	s_waitcnt lgkmcnt(0)
	v_xor_b32_e32 v198, 0x80000000, v192
	v_cndmask_b32_e64 v194, v175, v194, s0
	v_cndmask_b32_e32 v196, v177, v196, vcc_lo
	v_cmp_gt_f64_e32 vcc_lo, 0, v[191:192]
	v_cmp_gt_f64_e64 s0, 0, v[189:190]
	v_mov_b32_e32 v197, v191
	v_add_f64 v[193:194], v[193:194], v[195:196]
	v_xor_b32_e32 v196, 0x80000000, v190
	v_mov_b32_e32 v195, v189
	v_cndmask_b32_e32 v198, v192, v198, vcc_lo
	v_cndmask_b32_e64 v196, v190, v196, s0
	v_add_f64 v[195:196], v[195:196], v[197:198]
	v_cmp_lt_f64_e32 vcc_lo, v[193:194], v[195:196]
	v_cndmask_b32_e32 v175, v175, v190, vcc_lo
	v_cndmask_b32_e32 v174, v174, v189, vcc_lo
	v_cndmask_b32_e32 v177, v177, v192, vcc_lo
	v_cndmask_b32_e32 v176, v176, v191, vcc_lo
	v_cndmask_b32_e64 v182, v182, s1, vcc_lo
	s_add_i32 s1, s1, 1
	s_cmp_lg_u32 s18, s1
	s_cbranch_scc1 .LBB84_547
.LBB84_548:
	s_inst_prefetch 0x2
	s_waitcnt lgkmcnt(0)
	v_cmp_eq_f64_e32 vcc_lo, 0, v[174:175]
	v_cmp_eq_f64_e64 s0, 0, v[176:177]
	s_and_b32 s0, vcc_lo, s0
	s_and_saveexec_b32 s1, s0
	s_xor_b32 s0, exec_lo, s1
; %bb.549:
	v_cmp_ne_u32_e32 vcc_lo, 0, v187
	v_cndmask_b32_e32 v187, 27, v187, vcc_lo
; %bb.550:
	s_andn2_saveexec_b32 s0, s0
	s_cbranch_execz .LBB84_556
; %bb.551:
	v_cmp_ngt_f64_e64 s1, |v[174:175]|, |v[176:177]|
	s_and_saveexec_b32 s2, s1
	s_xor_b32 s1, exec_lo, s2
	s_cbranch_execz .LBB84_553
; %bb.552:
	v_div_scale_f64 v[189:190], null, v[176:177], v[176:177], v[174:175]
	v_div_scale_f64 v[195:196], vcc_lo, v[174:175], v[176:177], v[174:175]
	v_rcp_f64_e32 v[191:192], v[189:190]
	v_fma_f64 v[193:194], -v[189:190], v[191:192], 1.0
	v_fma_f64 v[191:192], v[191:192], v[193:194], v[191:192]
	v_fma_f64 v[193:194], -v[189:190], v[191:192], 1.0
	v_fma_f64 v[191:192], v[191:192], v[193:194], v[191:192]
	v_mul_f64 v[193:194], v[195:196], v[191:192]
	v_fma_f64 v[189:190], -v[189:190], v[193:194], v[195:196]
	v_div_fmas_f64 v[189:190], v[189:190], v[191:192], v[193:194]
	v_div_fixup_f64 v[189:190], v[189:190], v[176:177], v[174:175]
	v_fma_f64 v[174:175], v[174:175], v[189:190], v[176:177]
	v_div_scale_f64 v[176:177], null, v[174:175], v[174:175], 1.0
	v_rcp_f64_e32 v[191:192], v[176:177]
	v_fma_f64 v[193:194], -v[176:177], v[191:192], 1.0
	v_fma_f64 v[191:192], v[191:192], v[193:194], v[191:192]
	v_fma_f64 v[193:194], -v[176:177], v[191:192], 1.0
	v_fma_f64 v[191:192], v[191:192], v[193:194], v[191:192]
	v_div_scale_f64 v[193:194], vcc_lo, 1.0, v[174:175], 1.0
	v_mul_f64 v[195:196], v[193:194], v[191:192]
	v_fma_f64 v[176:177], -v[176:177], v[195:196], v[193:194]
	v_div_fmas_f64 v[176:177], v[176:177], v[191:192], v[195:196]
	v_div_fixup_f64 v[176:177], v[176:177], v[174:175], 1.0
	v_mul_f64 v[174:175], v[189:190], v[176:177]
	v_xor_b32_e32 v177, 0x80000000, v177
.LBB84_553:
	s_andn2_saveexec_b32 s1, s1
	s_cbranch_execz .LBB84_555
; %bb.554:
	v_div_scale_f64 v[189:190], null, v[174:175], v[174:175], v[176:177]
	v_div_scale_f64 v[195:196], vcc_lo, v[176:177], v[174:175], v[176:177]
	v_rcp_f64_e32 v[191:192], v[189:190]
	v_fma_f64 v[193:194], -v[189:190], v[191:192], 1.0
	v_fma_f64 v[191:192], v[191:192], v[193:194], v[191:192]
	v_fma_f64 v[193:194], -v[189:190], v[191:192], 1.0
	v_fma_f64 v[191:192], v[191:192], v[193:194], v[191:192]
	v_mul_f64 v[193:194], v[195:196], v[191:192]
	v_fma_f64 v[189:190], -v[189:190], v[193:194], v[195:196]
	v_div_fmas_f64 v[189:190], v[189:190], v[191:192], v[193:194]
	v_div_fixup_f64 v[189:190], v[189:190], v[174:175], v[176:177]
	v_fma_f64 v[174:175], v[176:177], v[189:190], v[174:175]
	v_div_scale_f64 v[176:177], null, v[174:175], v[174:175], 1.0
	v_rcp_f64_e32 v[191:192], v[176:177]
	v_fma_f64 v[193:194], -v[176:177], v[191:192], 1.0
	v_fma_f64 v[191:192], v[191:192], v[193:194], v[191:192]
	v_fma_f64 v[193:194], -v[176:177], v[191:192], 1.0
	v_fma_f64 v[191:192], v[191:192], v[193:194], v[191:192]
	v_div_scale_f64 v[193:194], vcc_lo, 1.0, v[174:175], 1.0
	v_mul_f64 v[195:196], v[193:194], v[191:192]
	v_fma_f64 v[176:177], -v[176:177], v[195:196], v[193:194]
	v_div_fmas_f64 v[176:177], v[176:177], v[191:192], v[195:196]
	v_div_fixup_f64 v[174:175], v[176:177], v[174:175], 1.0
	v_mul_f64 v[176:177], v[189:190], -v[174:175]
.LBB84_555:
	s_or_b32 exec_lo, exec_lo, s1
.LBB84_556:
	s_or_b32 exec_lo, exec_lo, s0
	s_mov_b32 s0, exec_lo
	v_cmpx_ne_u32_e64 v188, v182
	s_xor_b32 s0, exec_lo, s0
	s_cbranch_execz .LBB84_562
; %bb.557:
	s_mov_b32 s1, exec_lo
	v_cmpx_eq_u32_e32 26, v188
	s_cbranch_execz .LBB84_561
; %bb.558:
	v_cmp_ne_u32_e32 vcc_lo, 26, v182
	s_xor_b32 s2, s16, -1
	s_and_b32 s3, s2, vcc_lo
	s_and_saveexec_b32 s2, s3
	s_cbranch_execz .LBB84_560
; %bb.559:
	v_ashrrev_i32_e32 v183, 31, v182
	v_lshlrev_b64 v[188:189], 2, v[182:183]
	v_add_co_u32 v188, vcc_lo, v180, v188
	v_add_co_ci_u32_e64 v189, null, v181, v189, vcc_lo
	s_clause 0x1
	global_load_dword v0, v[188:189], off
	global_load_dword v183, v[180:181], off offset:104
	s_waitcnt vmcnt(1)
	global_store_dword v[180:181], v0, off offset:104
	s_waitcnt vmcnt(0)
	global_store_dword v[188:189], v183, off
.LBB84_560:
	s_or_b32 exec_lo, exec_lo, s2
	v_mov_b32_e32 v188, v182
	v_mov_b32_e32 v0, v182
.LBB84_561:
	s_or_b32 exec_lo, exec_lo, s1
.LBB84_562:
	s_andn2_saveexec_b32 s0, s0
	s_cbranch_execz .LBB84_564
; %bb.563:
	v_mov_b32_e32 v188, 26
	ds_write2_b64 v1, v[62:63], v[64:65] offset0:54 offset1:55
	ds_write2_b64 v1, v[58:59], v[60:61] offset0:56 offset1:57
	;; [unrolled: 1-line block ×16, first 2 shown]
.LBB84_564:
	s_or_b32 exec_lo, exec_lo, s0
	s_mov_b32 s0, exec_lo
	s_waitcnt lgkmcnt(0)
	s_waitcnt_vscnt null, 0x0
	s_barrier
	buffer_gl0_inv
	v_cmpx_lt_i32_e32 26, v188
	s_cbranch_execz .LBB84_566
; %bb.565:
	v_mul_f64 v[182:183], v[174:175], v[68:69]
	v_mul_f64 v[68:69], v[176:177], v[68:69]
	v_fma_f64 v[182:183], v[176:177], v[66:67], v[182:183]
	v_fma_f64 v[66:67], v[174:175], v[66:67], -v[68:69]
	ds_read2_b64 v[174:177], v1 offset0:54 offset1:55
	s_waitcnt lgkmcnt(0)
	v_mul_f64 v[68:69], v[176:177], v[182:183]
	v_fma_f64 v[68:69], v[174:175], v[66:67], -v[68:69]
	v_mul_f64 v[174:175], v[174:175], v[182:183]
	v_add_f64 v[62:63], v[62:63], -v[68:69]
	v_fma_f64 v[174:175], v[176:177], v[66:67], v[174:175]
	v_add_f64 v[64:65], v[64:65], -v[174:175]
	ds_read2_b64 v[174:177], v1 offset0:56 offset1:57
	s_waitcnt lgkmcnt(0)
	v_mul_f64 v[68:69], v[176:177], v[182:183]
	v_fma_f64 v[68:69], v[174:175], v[66:67], -v[68:69]
	v_mul_f64 v[174:175], v[174:175], v[182:183]
	v_add_f64 v[58:59], v[58:59], -v[68:69]
	v_fma_f64 v[174:175], v[176:177], v[66:67], v[174:175]
	v_add_f64 v[60:61], v[60:61], -v[174:175]
	;; [unrolled: 8-line block ×15, first 2 shown]
	ds_read2_b64 v[174:177], v1 offset0:84 offset1:85
	s_waitcnt lgkmcnt(0)
	v_mul_f64 v[68:69], v[176:177], v[182:183]
	v_fma_f64 v[68:69], v[174:175], v[66:67], -v[68:69]
	v_mul_f64 v[174:175], v[174:175], v[182:183]
	v_add_f64 v[2:3], v[2:3], -v[68:69]
	v_fma_f64 v[174:175], v[176:177], v[66:67], v[174:175]
	v_mov_b32_e32 v68, v182
	v_mov_b32_e32 v69, v183
	v_add_f64 v[4:5], v[4:5], -v[174:175]
.LBB84_566:
	s_or_b32 exec_lo, exec_lo, s0
	v_lshl_add_u32 v174, v188, 4, v1
	s_barrier
	buffer_gl0_inv
	v_mov_b32_e32 v182, 27
	ds_write2_b64 v174, v[62:63], v[64:65] offset1:1
	s_waitcnt lgkmcnt(0)
	s_barrier
	buffer_gl0_inv
	ds_read2_b64 v[174:177], v1 offset0:54 offset1:55
	s_cmp_lt_i32 s18, 29
	s_cbranch_scc1 .LBB84_569
; %bb.567:
	v_add3_u32 v183, v184, 0, 0x1c0
	v_mov_b32_e32 v182, 27
	s_mov_b32 s1, 28
	s_inst_prefetch 0x1
	.p2align	6
.LBB84_568:                             ; =>This Inner Loop Header: Depth=1
	s_waitcnt lgkmcnt(0)
	v_cmp_gt_f64_e32 vcc_lo, 0, v[176:177]
	v_cmp_gt_f64_e64 s0, 0, v[174:175]
	ds_read2_b64 v[189:192], v183 offset1:1
	v_xor_b32_e32 v194, 0x80000000, v175
	v_xor_b32_e32 v196, 0x80000000, v177
	v_mov_b32_e32 v193, v174
	v_mov_b32_e32 v195, v176
	v_add_nc_u32_e32 v183, 16, v183
	s_waitcnt lgkmcnt(0)
	v_xor_b32_e32 v198, 0x80000000, v192
	v_cndmask_b32_e64 v194, v175, v194, s0
	v_cndmask_b32_e32 v196, v177, v196, vcc_lo
	v_cmp_gt_f64_e32 vcc_lo, 0, v[191:192]
	v_cmp_gt_f64_e64 s0, 0, v[189:190]
	v_mov_b32_e32 v197, v191
	v_add_f64 v[193:194], v[193:194], v[195:196]
	v_xor_b32_e32 v196, 0x80000000, v190
	v_mov_b32_e32 v195, v189
	v_cndmask_b32_e32 v198, v192, v198, vcc_lo
	v_cndmask_b32_e64 v196, v190, v196, s0
	v_add_f64 v[195:196], v[195:196], v[197:198]
	v_cmp_lt_f64_e32 vcc_lo, v[193:194], v[195:196]
	v_cndmask_b32_e32 v175, v175, v190, vcc_lo
	v_cndmask_b32_e32 v174, v174, v189, vcc_lo
	;; [unrolled: 1-line block ×4, first 2 shown]
	v_cndmask_b32_e64 v182, v182, s1, vcc_lo
	s_add_i32 s1, s1, 1
	s_cmp_lg_u32 s18, s1
	s_cbranch_scc1 .LBB84_568
.LBB84_569:
	s_inst_prefetch 0x2
	s_waitcnt lgkmcnt(0)
	v_cmp_eq_f64_e32 vcc_lo, 0, v[174:175]
	v_cmp_eq_f64_e64 s0, 0, v[176:177]
	s_and_b32 s0, vcc_lo, s0
	s_and_saveexec_b32 s1, s0
	s_xor_b32 s0, exec_lo, s1
; %bb.570:
	v_cmp_ne_u32_e32 vcc_lo, 0, v187
	v_cndmask_b32_e32 v187, 28, v187, vcc_lo
; %bb.571:
	s_andn2_saveexec_b32 s0, s0
	s_cbranch_execz .LBB84_577
; %bb.572:
	v_cmp_ngt_f64_e64 s1, |v[174:175]|, |v[176:177]|
	s_and_saveexec_b32 s2, s1
	s_xor_b32 s1, exec_lo, s2
	s_cbranch_execz .LBB84_574
; %bb.573:
	v_div_scale_f64 v[189:190], null, v[176:177], v[176:177], v[174:175]
	v_div_scale_f64 v[195:196], vcc_lo, v[174:175], v[176:177], v[174:175]
	v_rcp_f64_e32 v[191:192], v[189:190]
	v_fma_f64 v[193:194], -v[189:190], v[191:192], 1.0
	v_fma_f64 v[191:192], v[191:192], v[193:194], v[191:192]
	v_fma_f64 v[193:194], -v[189:190], v[191:192], 1.0
	v_fma_f64 v[191:192], v[191:192], v[193:194], v[191:192]
	v_mul_f64 v[193:194], v[195:196], v[191:192]
	v_fma_f64 v[189:190], -v[189:190], v[193:194], v[195:196]
	v_div_fmas_f64 v[189:190], v[189:190], v[191:192], v[193:194]
	v_div_fixup_f64 v[189:190], v[189:190], v[176:177], v[174:175]
	v_fma_f64 v[174:175], v[174:175], v[189:190], v[176:177]
	v_div_scale_f64 v[176:177], null, v[174:175], v[174:175], 1.0
	v_rcp_f64_e32 v[191:192], v[176:177]
	v_fma_f64 v[193:194], -v[176:177], v[191:192], 1.0
	v_fma_f64 v[191:192], v[191:192], v[193:194], v[191:192]
	v_fma_f64 v[193:194], -v[176:177], v[191:192], 1.0
	v_fma_f64 v[191:192], v[191:192], v[193:194], v[191:192]
	v_div_scale_f64 v[193:194], vcc_lo, 1.0, v[174:175], 1.0
	v_mul_f64 v[195:196], v[193:194], v[191:192]
	v_fma_f64 v[176:177], -v[176:177], v[195:196], v[193:194]
	v_div_fmas_f64 v[176:177], v[176:177], v[191:192], v[195:196]
	v_div_fixup_f64 v[176:177], v[176:177], v[174:175], 1.0
	v_mul_f64 v[174:175], v[189:190], v[176:177]
	v_xor_b32_e32 v177, 0x80000000, v177
.LBB84_574:
	s_andn2_saveexec_b32 s1, s1
	s_cbranch_execz .LBB84_576
; %bb.575:
	v_div_scale_f64 v[189:190], null, v[174:175], v[174:175], v[176:177]
	v_div_scale_f64 v[195:196], vcc_lo, v[176:177], v[174:175], v[176:177]
	v_rcp_f64_e32 v[191:192], v[189:190]
	v_fma_f64 v[193:194], -v[189:190], v[191:192], 1.0
	v_fma_f64 v[191:192], v[191:192], v[193:194], v[191:192]
	v_fma_f64 v[193:194], -v[189:190], v[191:192], 1.0
	v_fma_f64 v[191:192], v[191:192], v[193:194], v[191:192]
	v_mul_f64 v[193:194], v[195:196], v[191:192]
	v_fma_f64 v[189:190], -v[189:190], v[193:194], v[195:196]
	v_div_fmas_f64 v[189:190], v[189:190], v[191:192], v[193:194]
	v_div_fixup_f64 v[189:190], v[189:190], v[174:175], v[176:177]
	v_fma_f64 v[174:175], v[176:177], v[189:190], v[174:175]
	v_div_scale_f64 v[176:177], null, v[174:175], v[174:175], 1.0
	v_rcp_f64_e32 v[191:192], v[176:177]
	v_fma_f64 v[193:194], -v[176:177], v[191:192], 1.0
	v_fma_f64 v[191:192], v[191:192], v[193:194], v[191:192]
	v_fma_f64 v[193:194], -v[176:177], v[191:192], 1.0
	v_fma_f64 v[191:192], v[191:192], v[193:194], v[191:192]
	v_div_scale_f64 v[193:194], vcc_lo, 1.0, v[174:175], 1.0
	v_mul_f64 v[195:196], v[193:194], v[191:192]
	v_fma_f64 v[176:177], -v[176:177], v[195:196], v[193:194]
	v_div_fmas_f64 v[176:177], v[176:177], v[191:192], v[195:196]
	v_div_fixup_f64 v[174:175], v[176:177], v[174:175], 1.0
	v_mul_f64 v[176:177], v[189:190], -v[174:175]
.LBB84_576:
	s_or_b32 exec_lo, exec_lo, s1
.LBB84_577:
	s_or_b32 exec_lo, exec_lo, s0
	s_mov_b32 s0, exec_lo
	v_cmpx_ne_u32_e64 v188, v182
	s_xor_b32 s0, exec_lo, s0
	s_cbranch_execz .LBB84_583
; %bb.578:
	s_mov_b32 s1, exec_lo
	v_cmpx_eq_u32_e32 27, v188
	s_cbranch_execz .LBB84_582
; %bb.579:
	v_cmp_ne_u32_e32 vcc_lo, 27, v182
	s_xor_b32 s2, s16, -1
	s_and_b32 s3, s2, vcc_lo
	s_and_saveexec_b32 s2, s3
	s_cbranch_execz .LBB84_581
; %bb.580:
	v_ashrrev_i32_e32 v183, 31, v182
	v_lshlrev_b64 v[188:189], 2, v[182:183]
	v_add_co_u32 v188, vcc_lo, v180, v188
	v_add_co_ci_u32_e64 v189, null, v181, v189, vcc_lo
	s_clause 0x1
	global_load_dword v0, v[188:189], off
	global_load_dword v183, v[180:181], off offset:108
	s_waitcnt vmcnt(1)
	global_store_dword v[180:181], v0, off offset:108
	s_waitcnt vmcnt(0)
	global_store_dword v[188:189], v183, off
.LBB84_581:
	s_or_b32 exec_lo, exec_lo, s2
	v_mov_b32_e32 v188, v182
	v_mov_b32_e32 v0, v182
.LBB84_582:
	s_or_b32 exec_lo, exec_lo, s1
.LBB84_583:
	s_andn2_saveexec_b32 s0, s0
	s_cbranch_execz .LBB84_585
; %bb.584:
	v_mov_b32_e32 v188, 27
	ds_write2_b64 v1, v[58:59], v[60:61] offset0:56 offset1:57
	ds_write2_b64 v1, v[54:55], v[56:57] offset0:58 offset1:59
	;; [unrolled: 1-line block ×15, first 2 shown]
.LBB84_585:
	s_or_b32 exec_lo, exec_lo, s0
	s_mov_b32 s0, exec_lo
	s_waitcnt lgkmcnt(0)
	s_waitcnt_vscnt null, 0x0
	s_barrier
	buffer_gl0_inv
	v_cmpx_lt_i32_e32 27, v188
	s_cbranch_execz .LBB84_587
; %bb.586:
	v_mul_f64 v[182:183], v[174:175], v[64:65]
	v_mul_f64 v[64:65], v[176:177], v[64:65]
	v_fma_f64 v[182:183], v[176:177], v[62:63], v[182:183]
	v_fma_f64 v[62:63], v[174:175], v[62:63], -v[64:65]
	ds_read2_b64 v[174:177], v1 offset0:56 offset1:57
	s_waitcnt lgkmcnt(0)
	v_mul_f64 v[64:65], v[176:177], v[182:183]
	v_fma_f64 v[64:65], v[174:175], v[62:63], -v[64:65]
	v_mul_f64 v[174:175], v[174:175], v[182:183]
	v_add_f64 v[58:59], v[58:59], -v[64:65]
	v_fma_f64 v[174:175], v[176:177], v[62:63], v[174:175]
	v_add_f64 v[60:61], v[60:61], -v[174:175]
	ds_read2_b64 v[174:177], v1 offset0:58 offset1:59
	s_waitcnt lgkmcnt(0)
	v_mul_f64 v[64:65], v[176:177], v[182:183]
	v_fma_f64 v[64:65], v[174:175], v[62:63], -v[64:65]
	v_mul_f64 v[174:175], v[174:175], v[182:183]
	v_add_f64 v[54:55], v[54:55], -v[64:65]
	v_fma_f64 v[174:175], v[176:177], v[62:63], v[174:175]
	v_add_f64 v[56:57], v[56:57], -v[174:175]
	;; [unrolled: 8-line block ×14, first 2 shown]
	ds_read2_b64 v[174:177], v1 offset0:84 offset1:85
	s_waitcnt lgkmcnt(0)
	v_mul_f64 v[64:65], v[176:177], v[182:183]
	v_fma_f64 v[64:65], v[174:175], v[62:63], -v[64:65]
	v_mul_f64 v[174:175], v[174:175], v[182:183]
	v_add_f64 v[2:3], v[2:3], -v[64:65]
	v_fma_f64 v[174:175], v[176:177], v[62:63], v[174:175]
	v_mov_b32_e32 v64, v182
	v_mov_b32_e32 v65, v183
	v_add_f64 v[4:5], v[4:5], -v[174:175]
.LBB84_587:
	s_or_b32 exec_lo, exec_lo, s0
	v_lshl_add_u32 v174, v188, 4, v1
	s_barrier
	buffer_gl0_inv
	v_mov_b32_e32 v182, 28
	ds_write2_b64 v174, v[58:59], v[60:61] offset1:1
	s_waitcnt lgkmcnt(0)
	s_barrier
	buffer_gl0_inv
	ds_read2_b64 v[174:177], v1 offset0:56 offset1:57
	s_cmp_lt_i32 s18, 30
	s_cbranch_scc1 .LBB84_590
; %bb.588:
	v_add3_u32 v183, v184, 0, 0x1d0
	v_mov_b32_e32 v182, 28
	s_mov_b32 s1, 29
	s_inst_prefetch 0x1
	.p2align	6
.LBB84_589:                             ; =>This Inner Loop Header: Depth=1
	s_waitcnt lgkmcnt(0)
	v_cmp_gt_f64_e32 vcc_lo, 0, v[176:177]
	v_cmp_gt_f64_e64 s0, 0, v[174:175]
	ds_read2_b64 v[189:192], v183 offset1:1
	v_xor_b32_e32 v194, 0x80000000, v175
	v_xor_b32_e32 v196, 0x80000000, v177
	v_mov_b32_e32 v193, v174
	v_mov_b32_e32 v195, v176
	v_add_nc_u32_e32 v183, 16, v183
	s_waitcnt lgkmcnt(0)
	v_xor_b32_e32 v198, 0x80000000, v192
	v_cndmask_b32_e64 v194, v175, v194, s0
	v_cndmask_b32_e32 v196, v177, v196, vcc_lo
	v_cmp_gt_f64_e32 vcc_lo, 0, v[191:192]
	v_cmp_gt_f64_e64 s0, 0, v[189:190]
	v_mov_b32_e32 v197, v191
	v_add_f64 v[193:194], v[193:194], v[195:196]
	v_xor_b32_e32 v196, 0x80000000, v190
	v_mov_b32_e32 v195, v189
	v_cndmask_b32_e32 v198, v192, v198, vcc_lo
	v_cndmask_b32_e64 v196, v190, v196, s0
	v_add_f64 v[195:196], v[195:196], v[197:198]
	v_cmp_lt_f64_e32 vcc_lo, v[193:194], v[195:196]
	v_cndmask_b32_e32 v175, v175, v190, vcc_lo
	v_cndmask_b32_e32 v174, v174, v189, vcc_lo
	;; [unrolled: 1-line block ×4, first 2 shown]
	v_cndmask_b32_e64 v182, v182, s1, vcc_lo
	s_add_i32 s1, s1, 1
	s_cmp_lg_u32 s18, s1
	s_cbranch_scc1 .LBB84_589
.LBB84_590:
	s_inst_prefetch 0x2
	s_waitcnt lgkmcnt(0)
	v_cmp_eq_f64_e32 vcc_lo, 0, v[174:175]
	v_cmp_eq_f64_e64 s0, 0, v[176:177]
	s_and_b32 s0, vcc_lo, s0
	s_and_saveexec_b32 s1, s0
	s_xor_b32 s0, exec_lo, s1
; %bb.591:
	v_cmp_ne_u32_e32 vcc_lo, 0, v187
	v_cndmask_b32_e32 v187, 29, v187, vcc_lo
; %bb.592:
	s_andn2_saveexec_b32 s0, s0
	s_cbranch_execz .LBB84_598
; %bb.593:
	v_cmp_ngt_f64_e64 s1, |v[174:175]|, |v[176:177]|
	s_and_saveexec_b32 s2, s1
	s_xor_b32 s1, exec_lo, s2
	s_cbranch_execz .LBB84_595
; %bb.594:
	v_div_scale_f64 v[189:190], null, v[176:177], v[176:177], v[174:175]
	v_div_scale_f64 v[195:196], vcc_lo, v[174:175], v[176:177], v[174:175]
	v_rcp_f64_e32 v[191:192], v[189:190]
	v_fma_f64 v[193:194], -v[189:190], v[191:192], 1.0
	v_fma_f64 v[191:192], v[191:192], v[193:194], v[191:192]
	v_fma_f64 v[193:194], -v[189:190], v[191:192], 1.0
	v_fma_f64 v[191:192], v[191:192], v[193:194], v[191:192]
	v_mul_f64 v[193:194], v[195:196], v[191:192]
	v_fma_f64 v[189:190], -v[189:190], v[193:194], v[195:196]
	v_div_fmas_f64 v[189:190], v[189:190], v[191:192], v[193:194]
	v_div_fixup_f64 v[189:190], v[189:190], v[176:177], v[174:175]
	v_fma_f64 v[174:175], v[174:175], v[189:190], v[176:177]
	v_div_scale_f64 v[176:177], null, v[174:175], v[174:175], 1.0
	v_rcp_f64_e32 v[191:192], v[176:177]
	v_fma_f64 v[193:194], -v[176:177], v[191:192], 1.0
	v_fma_f64 v[191:192], v[191:192], v[193:194], v[191:192]
	v_fma_f64 v[193:194], -v[176:177], v[191:192], 1.0
	v_fma_f64 v[191:192], v[191:192], v[193:194], v[191:192]
	v_div_scale_f64 v[193:194], vcc_lo, 1.0, v[174:175], 1.0
	v_mul_f64 v[195:196], v[193:194], v[191:192]
	v_fma_f64 v[176:177], -v[176:177], v[195:196], v[193:194]
	v_div_fmas_f64 v[176:177], v[176:177], v[191:192], v[195:196]
	v_div_fixup_f64 v[176:177], v[176:177], v[174:175], 1.0
	v_mul_f64 v[174:175], v[189:190], v[176:177]
	v_xor_b32_e32 v177, 0x80000000, v177
.LBB84_595:
	s_andn2_saveexec_b32 s1, s1
	s_cbranch_execz .LBB84_597
; %bb.596:
	v_div_scale_f64 v[189:190], null, v[174:175], v[174:175], v[176:177]
	v_div_scale_f64 v[195:196], vcc_lo, v[176:177], v[174:175], v[176:177]
	v_rcp_f64_e32 v[191:192], v[189:190]
	v_fma_f64 v[193:194], -v[189:190], v[191:192], 1.0
	v_fma_f64 v[191:192], v[191:192], v[193:194], v[191:192]
	v_fma_f64 v[193:194], -v[189:190], v[191:192], 1.0
	v_fma_f64 v[191:192], v[191:192], v[193:194], v[191:192]
	v_mul_f64 v[193:194], v[195:196], v[191:192]
	v_fma_f64 v[189:190], -v[189:190], v[193:194], v[195:196]
	v_div_fmas_f64 v[189:190], v[189:190], v[191:192], v[193:194]
	v_div_fixup_f64 v[189:190], v[189:190], v[174:175], v[176:177]
	v_fma_f64 v[174:175], v[176:177], v[189:190], v[174:175]
	v_div_scale_f64 v[176:177], null, v[174:175], v[174:175], 1.0
	v_rcp_f64_e32 v[191:192], v[176:177]
	v_fma_f64 v[193:194], -v[176:177], v[191:192], 1.0
	v_fma_f64 v[191:192], v[191:192], v[193:194], v[191:192]
	v_fma_f64 v[193:194], -v[176:177], v[191:192], 1.0
	v_fma_f64 v[191:192], v[191:192], v[193:194], v[191:192]
	v_div_scale_f64 v[193:194], vcc_lo, 1.0, v[174:175], 1.0
	v_mul_f64 v[195:196], v[193:194], v[191:192]
	v_fma_f64 v[176:177], -v[176:177], v[195:196], v[193:194]
	v_div_fmas_f64 v[176:177], v[176:177], v[191:192], v[195:196]
	v_div_fixup_f64 v[174:175], v[176:177], v[174:175], 1.0
	v_mul_f64 v[176:177], v[189:190], -v[174:175]
.LBB84_597:
	s_or_b32 exec_lo, exec_lo, s1
.LBB84_598:
	s_or_b32 exec_lo, exec_lo, s0
	s_mov_b32 s0, exec_lo
	v_cmpx_ne_u32_e64 v188, v182
	s_xor_b32 s0, exec_lo, s0
	s_cbranch_execz .LBB84_604
; %bb.599:
	s_mov_b32 s1, exec_lo
	v_cmpx_eq_u32_e32 28, v188
	s_cbranch_execz .LBB84_603
; %bb.600:
	v_cmp_ne_u32_e32 vcc_lo, 28, v182
	s_xor_b32 s2, s16, -1
	s_and_b32 s3, s2, vcc_lo
	s_and_saveexec_b32 s2, s3
	s_cbranch_execz .LBB84_602
; %bb.601:
	v_ashrrev_i32_e32 v183, 31, v182
	v_lshlrev_b64 v[188:189], 2, v[182:183]
	v_add_co_u32 v188, vcc_lo, v180, v188
	v_add_co_ci_u32_e64 v189, null, v181, v189, vcc_lo
	s_clause 0x1
	global_load_dword v0, v[188:189], off
	global_load_dword v183, v[180:181], off offset:112
	s_waitcnt vmcnt(1)
	global_store_dword v[180:181], v0, off offset:112
	s_waitcnt vmcnt(0)
	global_store_dword v[188:189], v183, off
.LBB84_602:
	s_or_b32 exec_lo, exec_lo, s2
	v_mov_b32_e32 v188, v182
	v_mov_b32_e32 v0, v182
.LBB84_603:
	s_or_b32 exec_lo, exec_lo, s1
.LBB84_604:
	s_andn2_saveexec_b32 s0, s0
	s_cbranch_execz .LBB84_606
; %bb.605:
	v_mov_b32_e32 v188, 28
	ds_write2_b64 v1, v[54:55], v[56:57] offset0:58 offset1:59
	ds_write2_b64 v1, v[50:51], v[52:53] offset0:60 offset1:61
	;; [unrolled: 1-line block ×14, first 2 shown]
.LBB84_606:
	s_or_b32 exec_lo, exec_lo, s0
	s_mov_b32 s0, exec_lo
	s_waitcnt lgkmcnt(0)
	s_waitcnt_vscnt null, 0x0
	s_barrier
	buffer_gl0_inv
	v_cmpx_lt_i32_e32 28, v188
	s_cbranch_execz .LBB84_608
; %bb.607:
	v_mul_f64 v[182:183], v[174:175], v[60:61]
	v_mul_f64 v[60:61], v[176:177], v[60:61]
	v_fma_f64 v[182:183], v[176:177], v[58:59], v[182:183]
	v_fma_f64 v[58:59], v[174:175], v[58:59], -v[60:61]
	ds_read2_b64 v[174:177], v1 offset0:58 offset1:59
	s_waitcnt lgkmcnt(0)
	v_mul_f64 v[60:61], v[176:177], v[182:183]
	v_fma_f64 v[60:61], v[174:175], v[58:59], -v[60:61]
	v_mul_f64 v[174:175], v[174:175], v[182:183]
	v_add_f64 v[54:55], v[54:55], -v[60:61]
	v_fma_f64 v[174:175], v[176:177], v[58:59], v[174:175]
	v_add_f64 v[56:57], v[56:57], -v[174:175]
	ds_read2_b64 v[174:177], v1 offset0:60 offset1:61
	s_waitcnt lgkmcnt(0)
	v_mul_f64 v[60:61], v[176:177], v[182:183]
	v_fma_f64 v[60:61], v[174:175], v[58:59], -v[60:61]
	v_mul_f64 v[174:175], v[174:175], v[182:183]
	v_add_f64 v[50:51], v[50:51], -v[60:61]
	v_fma_f64 v[174:175], v[176:177], v[58:59], v[174:175]
	v_add_f64 v[52:53], v[52:53], -v[174:175]
	;; [unrolled: 8-line block ×13, first 2 shown]
	ds_read2_b64 v[174:177], v1 offset0:84 offset1:85
	s_waitcnt lgkmcnt(0)
	v_mul_f64 v[60:61], v[176:177], v[182:183]
	v_fma_f64 v[60:61], v[174:175], v[58:59], -v[60:61]
	v_mul_f64 v[174:175], v[174:175], v[182:183]
	v_add_f64 v[2:3], v[2:3], -v[60:61]
	v_fma_f64 v[174:175], v[176:177], v[58:59], v[174:175]
	v_mov_b32_e32 v60, v182
	v_mov_b32_e32 v61, v183
	v_add_f64 v[4:5], v[4:5], -v[174:175]
.LBB84_608:
	s_or_b32 exec_lo, exec_lo, s0
	v_lshl_add_u32 v174, v188, 4, v1
	s_barrier
	buffer_gl0_inv
	v_mov_b32_e32 v182, 29
	ds_write2_b64 v174, v[54:55], v[56:57] offset1:1
	s_waitcnt lgkmcnt(0)
	s_barrier
	buffer_gl0_inv
	ds_read2_b64 v[174:177], v1 offset0:58 offset1:59
	s_cmp_lt_i32 s18, 31
	s_cbranch_scc1 .LBB84_611
; %bb.609:
	v_add3_u32 v183, v184, 0, 0x1e0
	v_mov_b32_e32 v182, 29
	s_mov_b32 s1, 30
	s_inst_prefetch 0x1
	.p2align	6
.LBB84_610:                             ; =>This Inner Loop Header: Depth=1
	s_waitcnt lgkmcnt(0)
	v_cmp_gt_f64_e32 vcc_lo, 0, v[176:177]
	v_cmp_gt_f64_e64 s0, 0, v[174:175]
	ds_read2_b64 v[189:192], v183 offset1:1
	v_xor_b32_e32 v194, 0x80000000, v175
	v_xor_b32_e32 v196, 0x80000000, v177
	v_mov_b32_e32 v193, v174
	v_mov_b32_e32 v195, v176
	v_add_nc_u32_e32 v183, 16, v183
	s_waitcnt lgkmcnt(0)
	v_xor_b32_e32 v198, 0x80000000, v192
	v_cndmask_b32_e64 v194, v175, v194, s0
	v_cndmask_b32_e32 v196, v177, v196, vcc_lo
	v_cmp_gt_f64_e32 vcc_lo, 0, v[191:192]
	v_cmp_gt_f64_e64 s0, 0, v[189:190]
	v_mov_b32_e32 v197, v191
	v_add_f64 v[193:194], v[193:194], v[195:196]
	v_xor_b32_e32 v196, 0x80000000, v190
	v_mov_b32_e32 v195, v189
	v_cndmask_b32_e32 v198, v192, v198, vcc_lo
	v_cndmask_b32_e64 v196, v190, v196, s0
	v_add_f64 v[195:196], v[195:196], v[197:198]
	v_cmp_lt_f64_e32 vcc_lo, v[193:194], v[195:196]
	v_cndmask_b32_e32 v175, v175, v190, vcc_lo
	v_cndmask_b32_e32 v174, v174, v189, vcc_lo
	;; [unrolled: 1-line block ×4, first 2 shown]
	v_cndmask_b32_e64 v182, v182, s1, vcc_lo
	s_add_i32 s1, s1, 1
	s_cmp_lg_u32 s18, s1
	s_cbranch_scc1 .LBB84_610
.LBB84_611:
	s_inst_prefetch 0x2
	s_waitcnt lgkmcnt(0)
	v_cmp_eq_f64_e32 vcc_lo, 0, v[174:175]
	v_cmp_eq_f64_e64 s0, 0, v[176:177]
	s_and_b32 s0, vcc_lo, s0
	s_and_saveexec_b32 s1, s0
	s_xor_b32 s0, exec_lo, s1
; %bb.612:
	v_cmp_ne_u32_e32 vcc_lo, 0, v187
	v_cndmask_b32_e32 v187, 30, v187, vcc_lo
; %bb.613:
	s_andn2_saveexec_b32 s0, s0
	s_cbranch_execz .LBB84_619
; %bb.614:
	v_cmp_ngt_f64_e64 s1, |v[174:175]|, |v[176:177]|
	s_and_saveexec_b32 s2, s1
	s_xor_b32 s1, exec_lo, s2
	s_cbranch_execz .LBB84_616
; %bb.615:
	v_div_scale_f64 v[189:190], null, v[176:177], v[176:177], v[174:175]
	v_div_scale_f64 v[195:196], vcc_lo, v[174:175], v[176:177], v[174:175]
	v_rcp_f64_e32 v[191:192], v[189:190]
	v_fma_f64 v[193:194], -v[189:190], v[191:192], 1.0
	v_fma_f64 v[191:192], v[191:192], v[193:194], v[191:192]
	v_fma_f64 v[193:194], -v[189:190], v[191:192], 1.0
	v_fma_f64 v[191:192], v[191:192], v[193:194], v[191:192]
	v_mul_f64 v[193:194], v[195:196], v[191:192]
	v_fma_f64 v[189:190], -v[189:190], v[193:194], v[195:196]
	v_div_fmas_f64 v[189:190], v[189:190], v[191:192], v[193:194]
	v_div_fixup_f64 v[189:190], v[189:190], v[176:177], v[174:175]
	v_fma_f64 v[174:175], v[174:175], v[189:190], v[176:177]
	v_div_scale_f64 v[176:177], null, v[174:175], v[174:175], 1.0
	v_rcp_f64_e32 v[191:192], v[176:177]
	v_fma_f64 v[193:194], -v[176:177], v[191:192], 1.0
	v_fma_f64 v[191:192], v[191:192], v[193:194], v[191:192]
	v_fma_f64 v[193:194], -v[176:177], v[191:192], 1.0
	v_fma_f64 v[191:192], v[191:192], v[193:194], v[191:192]
	v_div_scale_f64 v[193:194], vcc_lo, 1.0, v[174:175], 1.0
	v_mul_f64 v[195:196], v[193:194], v[191:192]
	v_fma_f64 v[176:177], -v[176:177], v[195:196], v[193:194]
	v_div_fmas_f64 v[176:177], v[176:177], v[191:192], v[195:196]
	v_div_fixup_f64 v[176:177], v[176:177], v[174:175], 1.0
	v_mul_f64 v[174:175], v[189:190], v[176:177]
	v_xor_b32_e32 v177, 0x80000000, v177
.LBB84_616:
	s_andn2_saveexec_b32 s1, s1
	s_cbranch_execz .LBB84_618
; %bb.617:
	v_div_scale_f64 v[189:190], null, v[174:175], v[174:175], v[176:177]
	v_div_scale_f64 v[195:196], vcc_lo, v[176:177], v[174:175], v[176:177]
	v_rcp_f64_e32 v[191:192], v[189:190]
	v_fma_f64 v[193:194], -v[189:190], v[191:192], 1.0
	v_fma_f64 v[191:192], v[191:192], v[193:194], v[191:192]
	v_fma_f64 v[193:194], -v[189:190], v[191:192], 1.0
	v_fma_f64 v[191:192], v[191:192], v[193:194], v[191:192]
	v_mul_f64 v[193:194], v[195:196], v[191:192]
	v_fma_f64 v[189:190], -v[189:190], v[193:194], v[195:196]
	v_div_fmas_f64 v[189:190], v[189:190], v[191:192], v[193:194]
	v_div_fixup_f64 v[189:190], v[189:190], v[174:175], v[176:177]
	v_fma_f64 v[174:175], v[176:177], v[189:190], v[174:175]
	v_div_scale_f64 v[176:177], null, v[174:175], v[174:175], 1.0
	v_rcp_f64_e32 v[191:192], v[176:177]
	v_fma_f64 v[193:194], -v[176:177], v[191:192], 1.0
	v_fma_f64 v[191:192], v[191:192], v[193:194], v[191:192]
	v_fma_f64 v[193:194], -v[176:177], v[191:192], 1.0
	v_fma_f64 v[191:192], v[191:192], v[193:194], v[191:192]
	v_div_scale_f64 v[193:194], vcc_lo, 1.0, v[174:175], 1.0
	v_mul_f64 v[195:196], v[193:194], v[191:192]
	v_fma_f64 v[176:177], -v[176:177], v[195:196], v[193:194]
	v_div_fmas_f64 v[176:177], v[176:177], v[191:192], v[195:196]
	v_div_fixup_f64 v[174:175], v[176:177], v[174:175], 1.0
	v_mul_f64 v[176:177], v[189:190], -v[174:175]
.LBB84_618:
	s_or_b32 exec_lo, exec_lo, s1
.LBB84_619:
	s_or_b32 exec_lo, exec_lo, s0
	s_mov_b32 s0, exec_lo
	v_cmpx_ne_u32_e64 v188, v182
	s_xor_b32 s0, exec_lo, s0
	s_cbranch_execz .LBB84_625
; %bb.620:
	s_mov_b32 s1, exec_lo
	v_cmpx_eq_u32_e32 29, v188
	s_cbranch_execz .LBB84_624
; %bb.621:
	v_cmp_ne_u32_e32 vcc_lo, 29, v182
	s_xor_b32 s2, s16, -1
	s_and_b32 s3, s2, vcc_lo
	s_and_saveexec_b32 s2, s3
	s_cbranch_execz .LBB84_623
; %bb.622:
	v_ashrrev_i32_e32 v183, 31, v182
	v_lshlrev_b64 v[188:189], 2, v[182:183]
	v_add_co_u32 v188, vcc_lo, v180, v188
	v_add_co_ci_u32_e64 v189, null, v181, v189, vcc_lo
	s_clause 0x1
	global_load_dword v0, v[188:189], off
	global_load_dword v183, v[180:181], off offset:116
	s_waitcnt vmcnt(1)
	global_store_dword v[180:181], v0, off offset:116
	s_waitcnt vmcnt(0)
	global_store_dword v[188:189], v183, off
.LBB84_623:
	s_or_b32 exec_lo, exec_lo, s2
	v_mov_b32_e32 v188, v182
	v_mov_b32_e32 v0, v182
.LBB84_624:
	s_or_b32 exec_lo, exec_lo, s1
.LBB84_625:
	s_andn2_saveexec_b32 s0, s0
	s_cbranch_execz .LBB84_627
; %bb.626:
	v_mov_b32_e32 v188, 29
	ds_write2_b64 v1, v[50:51], v[52:53] offset0:60 offset1:61
	ds_write2_b64 v1, v[46:47], v[48:49] offset0:62 offset1:63
	;; [unrolled: 1-line block ×13, first 2 shown]
.LBB84_627:
	s_or_b32 exec_lo, exec_lo, s0
	s_mov_b32 s0, exec_lo
	s_waitcnt lgkmcnt(0)
	s_waitcnt_vscnt null, 0x0
	s_barrier
	buffer_gl0_inv
	v_cmpx_lt_i32_e32 29, v188
	s_cbranch_execz .LBB84_629
; %bb.628:
	v_mul_f64 v[182:183], v[174:175], v[56:57]
	v_mul_f64 v[56:57], v[176:177], v[56:57]
	v_fma_f64 v[182:183], v[176:177], v[54:55], v[182:183]
	v_fma_f64 v[54:55], v[174:175], v[54:55], -v[56:57]
	ds_read2_b64 v[174:177], v1 offset0:60 offset1:61
	s_waitcnt lgkmcnt(0)
	v_mul_f64 v[56:57], v[176:177], v[182:183]
	v_fma_f64 v[56:57], v[174:175], v[54:55], -v[56:57]
	v_mul_f64 v[174:175], v[174:175], v[182:183]
	v_add_f64 v[50:51], v[50:51], -v[56:57]
	v_fma_f64 v[174:175], v[176:177], v[54:55], v[174:175]
	v_add_f64 v[52:53], v[52:53], -v[174:175]
	ds_read2_b64 v[174:177], v1 offset0:62 offset1:63
	s_waitcnt lgkmcnt(0)
	v_mul_f64 v[56:57], v[176:177], v[182:183]
	v_fma_f64 v[56:57], v[174:175], v[54:55], -v[56:57]
	v_mul_f64 v[174:175], v[174:175], v[182:183]
	v_add_f64 v[46:47], v[46:47], -v[56:57]
	v_fma_f64 v[174:175], v[176:177], v[54:55], v[174:175]
	v_add_f64 v[48:49], v[48:49], -v[174:175]
	;; [unrolled: 8-line block ×12, first 2 shown]
	ds_read2_b64 v[174:177], v1 offset0:84 offset1:85
	s_waitcnt lgkmcnt(0)
	v_mul_f64 v[56:57], v[176:177], v[182:183]
	v_fma_f64 v[56:57], v[174:175], v[54:55], -v[56:57]
	v_mul_f64 v[174:175], v[174:175], v[182:183]
	v_add_f64 v[2:3], v[2:3], -v[56:57]
	v_fma_f64 v[174:175], v[176:177], v[54:55], v[174:175]
	v_mov_b32_e32 v56, v182
	v_mov_b32_e32 v57, v183
	v_add_f64 v[4:5], v[4:5], -v[174:175]
.LBB84_629:
	s_or_b32 exec_lo, exec_lo, s0
	v_lshl_add_u32 v174, v188, 4, v1
	s_barrier
	buffer_gl0_inv
	v_mov_b32_e32 v182, 30
	ds_write2_b64 v174, v[50:51], v[52:53] offset1:1
	s_waitcnt lgkmcnt(0)
	s_barrier
	buffer_gl0_inv
	ds_read2_b64 v[174:177], v1 offset0:60 offset1:61
	s_cmp_lt_i32 s18, 32
	s_cbranch_scc1 .LBB84_632
; %bb.630:
	v_add3_u32 v183, v184, 0, 0x1f0
	v_mov_b32_e32 v182, 30
	s_mov_b32 s1, 31
	s_inst_prefetch 0x1
	.p2align	6
.LBB84_631:                             ; =>This Inner Loop Header: Depth=1
	s_waitcnt lgkmcnt(0)
	v_cmp_gt_f64_e32 vcc_lo, 0, v[176:177]
	v_cmp_gt_f64_e64 s0, 0, v[174:175]
	ds_read2_b64 v[189:192], v183 offset1:1
	v_xor_b32_e32 v194, 0x80000000, v175
	v_xor_b32_e32 v196, 0x80000000, v177
	v_mov_b32_e32 v193, v174
	v_mov_b32_e32 v195, v176
	v_add_nc_u32_e32 v183, 16, v183
	s_waitcnt lgkmcnt(0)
	v_xor_b32_e32 v198, 0x80000000, v192
	v_cndmask_b32_e64 v194, v175, v194, s0
	v_cndmask_b32_e32 v196, v177, v196, vcc_lo
	v_cmp_gt_f64_e32 vcc_lo, 0, v[191:192]
	v_cmp_gt_f64_e64 s0, 0, v[189:190]
	v_mov_b32_e32 v197, v191
	v_add_f64 v[193:194], v[193:194], v[195:196]
	v_xor_b32_e32 v196, 0x80000000, v190
	v_mov_b32_e32 v195, v189
	v_cndmask_b32_e32 v198, v192, v198, vcc_lo
	v_cndmask_b32_e64 v196, v190, v196, s0
	v_add_f64 v[195:196], v[195:196], v[197:198]
	v_cmp_lt_f64_e32 vcc_lo, v[193:194], v[195:196]
	v_cndmask_b32_e32 v175, v175, v190, vcc_lo
	v_cndmask_b32_e32 v174, v174, v189, vcc_lo
	;; [unrolled: 1-line block ×4, first 2 shown]
	v_cndmask_b32_e64 v182, v182, s1, vcc_lo
	s_add_i32 s1, s1, 1
	s_cmp_lg_u32 s18, s1
	s_cbranch_scc1 .LBB84_631
.LBB84_632:
	s_inst_prefetch 0x2
	s_waitcnt lgkmcnt(0)
	v_cmp_eq_f64_e32 vcc_lo, 0, v[174:175]
	v_cmp_eq_f64_e64 s0, 0, v[176:177]
	s_and_b32 s0, vcc_lo, s0
	s_and_saveexec_b32 s1, s0
	s_xor_b32 s0, exec_lo, s1
; %bb.633:
	v_cmp_ne_u32_e32 vcc_lo, 0, v187
	v_cndmask_b32_e32 v187, 31, v187, vcc_lo
; %bb.634:
	s_andn2_saveexec_b32 s0, s0
	s_cbranch_execz .LBB84_640
; %bb.635:
	v_cmp_ngt_f64_e64 s1, |v[174:175]|, |v[176:177]|
	s_and_saveexec_b32 s2, s1
	s_xor_b32 s1, exec_lo, s2
	s_cbranch_execz .LBB84_637
; %bb.636:
	v_div_scale_f64 v[189:190], null, v[176:177], v[176:177], v[174:175]
	v_div_scale_f64 v[195:196], vcc_lo, v[174:175], v[176:177], v[174:175]
	v_rcp_f64_e32 v[191:192], v[189:190]
	v_fma_f64 v[193:194], -v[189:190], v[191:192], 1.0
	v_fma_f64 v[191:192], v[191:192], v[193:194], v[191:192]
	v_fma_f64 v[193:194], -v[189:190], v[191:192], 1.0
	v_fma_f64 v[191:192], v[191:192], v[193:194], v[191:192]
	v_mul_f64 v[193:194], v[195:196], v[191:192]
	v_fma_f64 v[189:190], -v[189:190], v[193:194], v[195:196]
	v_div_fmas_f64 v[189:190], v[189:190], v[191:192], v[193:194]
	v_div_fixup_f64 v[189:190], v[189:190], v[176:177], v[174:175]
	v_fma_f64 v[174:175], v[174:175], v[189:190], v[176:177]
	v_div_scale_f64 v[176:177], null, v[174:175], v[174:175], 1.0
	v_rcp_f64_e32 v[191:192], v[176:177]
	v_fma_f64 v[193:194], -v[176:177], v[191:192], 1.0
	v_fma_f64 v[191:192], v[191:192], v[193:194], v[191:192]
	v_fma_f64 v[193:194], -v[176:177], v[191:192], 1.0
	v_fma_f64 v[191:192], v[191:192], v[193:194], v[191:192]
	v_div_scale_f64 v[193:194], vcc_lo, 1.0, v[174:175], 1.0
	v_mul_f64 v[195:196], v[193:194], v[191:192]
	v_fma_f64 v[176:177], -v[176:177], v[195:196], v[193:194]
	v_div_fmas_f64 v[176:177], v[176:177], v[191:192], v[195:196]
	v_div_fixup_f64 v[176:177], v[176:177], v[174:175], 1.0
	v_mul_f64 v[174:175], v[189:190], v[176:177]
	v_xor_b32_e32 v177, 0x80000000, v177
.LBB84_637:
	s_andn2_saveexec_b32 s1, s1
	s_cbranch_execz .LBB84_639
; %bb.638:
	v_div_scale_f64 v[189:190], null, v[174:175], v[174:175], v[176:177]
	v_div_scale_f64 v[195:196], vcc_lo, v[176:177], v[174:175], v[176:177]
	v_rcp_f64_e32 v[191:192], v[189:190]
	v_fma_f64 v[193:194], -v[189:190], v[191:192], 1.0
	v_fma_f64 v[191:192], v[191:192], v[193:194], v[191:192]
	v_fma_f64 v[193:194], -v[189:190], v[191:192], 1.0
	v_fma_f64 v[191:192], v[191:192], v[193:194], v[191:192]
	v_mul_f64 v[193:194], v[195:196], v[191:192]
	v_fma_f64 v[189:190], -v[189:190], v[193:194], v[195:196]
	v_div_fmas_f64 v[189:190], v[189:190], v[191:192], v[193:194]
	v_div_fixup_f64 v[189:190], v[189:190], v[174:175], v[176:177]
	v_fma_f64 v[174:175], v[176:177], v[189:190], v[174:175]
	v_div_scale_f64 v[176:177], null, v[174:175], v[174:175], 1.0
	v_rcp_f64_e32 v[191:192], v[176:177]
	v_fma_f64 v[193:194], -v[176:177], v[191:192], 1.0
	v_fma_f64 v[191:192], v[191:192], v[193:194], v[191:192]
	v_fma_f64 v[193:194], -v[176:177], v[191:192], 1.0
	v_fma_f64 v[191:192], v[191:192], v[193:194], v[191:192]
	v_div_scale_f64 v[193:194], vcc_lo, 1.0, v[174:175], 1.0
	v_mul_f64 v[195:196], v[193:194], v[191:192]
	v_fma_f64 v[176:177], -v[176:177], v[195:196], v[193:194]
	v_div_fmas_f64 v[176:177], v[176:177], v[191:192], v[195:196]
	v_div_fixup_f64 v[174:175], v[176:177], v[174:175], 1.0
	v_mul_f64 v[176:177], v[189:190], -v[174:175]
.LBB84_639:
	s_or_b32 exec_lo, exec_lo, s1
.LBB84_640:
	s_or_b32 exec_lo, exec_lo, s0
	s_mov_b32 s0, exec_lo
	v_cmpx_ne_u32_e64 v188, v182
	s_xor_b32 s0, exec_lo, s0
	s_cbranch_execz .LBB84_646
; %bb.641:
	s_mov_b32 s1, exec_lo
	v_cmpx_eq_u32_e32 30, v188
	s_cbranch_execz .LBB84_645
; %bb.642:
	v_cmp_ne_u32_e32 vcc_lo, 30, v182
	s_xor_b32 s2, s16, -1
	s_and_b32 s3, s2, vcc_lo
	s_and_saveexec_b32 s2, s3
	s_cbranch_execz .LBB84_644
; %bb.643:
	v_ashrrev_i32_e32 v183, 31, v182
	v_lshlrev_b64 v[188:189], 2, v[182:183]
	v_add_co_u32 v188, vcc_lo, v180, v188
	v_add_co_ci_u32_e64 v189, null, v181, v189, vcc_lo
	s_clause 0x1
	global_load_dword v0, v[188:189], off
	global_load_dword v183, v[180:181], off offset:120
	s_waitcnt vmcnt(1)
	global_store_dword v[180:181], v0, off offset:120
	s_waitcnt vmcnt(0)
	global_store_dword v[188:189], v183, off
.LBB84_644:
	s_or_b32 exec_lo, exec_lo, s2
	v_mov_b32_e32 v188, v182
	v_mov_b32_e32 v0, v182
.LBB84_645:
	s_or_b32 exec_lo, exec_lo, s1
.LBB84_646:
	s_andn2_saveexec_b32 s0, s0
	s_cbranch_execz .LBB84_648
; %bb.647:
	v_mov_b32_e32 v188, 30
	ds_write2_b64 v1, v[46:47], v[48:49] offset0:62 offset1:63
	ds_write2_b64 v1, v[42:43], v[44:45] offset0:64 offset1:65
	;; [unrolled: 1-line block ×12, first 2 shown]
.LBB84_648:
	s_or_b32 exec_lo, exec_lo, s0
	s_mov_b32 s0, exec_lo
	s_waitcnt lgkmcnt(0)
	s_waitcnt_vscnt null, 0x0
	s_barrier
	buffer_gl0_inv
	v_cmpx_lt_i32_e32 30, v188
	s_cbranch_execz .LBB84_650
; %bb.649:
	v_mul_f64 v[182:183], v[174:175], v[52:53]
	v_mul_f64 v[52:53], v[176:177], v[52:53]
	v_fma_f64 v[182:183], v[176:177], v[50:51], v[182:183]
	v_fma_f64 v[50:51], v[174:175], v[50:51], -v[52:53]
	ds_read2_b64 v[174:177], v1 offset0:62 offset1:63
	s_waitcnt lgkmcnt(0)
	v_mul_f64 v[52:53], v[176:177], v[182:183]
	v_fma_f64 v[52:53], v[174:175], v[50:51], -v[52:53]
	v_mul_f64 v[174:175], v[174:175], v[182:183]
	v_add_f64 v[46:47], v[46:47], -v[52:53]
	v_fma_f64 v[174:175], v[176:177], v[50:51], v[174:175]
	v_add_f64 v[48:49], v[48:49], -v[174:175]
	ds_read2_b64 v[174:177], v1 offset0:64 offset1:65
	s_waitcnt lgkmcnt(0)
	v_mul_f64 v[52:53], v[176:177], v[182:183]
	v_fma_f64 v[52:53], v[174:175], v[50:51], -v[52:53]
	v_mul_f64 v[174:175], v[174:175], v[182:183]
	v_add_f64 v[42:43], v[42:43], -v[52:53]
	v_fma_f64 v[174:175], v[176:177], v[50:51], v[174:175]
	v_add_f64 v[44:45], v[44:45], -v[174:175]
	;; [unrolled: 8-line block ×11, first 2 shown]
	ds_read2_b64 v[174:177], v1 offset0:84 offset1:85
	s_waitcnt lgkmcnt(0)
	v_mul_f64 v[52:53], v[176:177], v[182:183]
	v_fma_f64 v[52:53], v[174:175], v[50:51], -v[52:53]
	v_mul_f64 v[174:175], v[174:175], v[182:183]
	v_add_f64 v[2:3], v[2:3], -v[52:53]
	v_fma_f64 v[174:175], v[176:177], v[50:51], v[174:175]
	v_mov_b32_e32 v52, v182
	v_mov_b32_e32 v53, v183
	v_add_f64 v[4:5], v[4:5], -v[174:175]
.LBB84_650:
	s_or_b32 exec_lo, exec_lo, s0
	v_lshl_add_u32 v174, v188, 4, v1
	s_barrier
	buffer_gl0_inv
	v_mov_b32_e32 v182, 31
	ds_write2_b64 v174, v[46:47], v[48:49] offset1:1
	s_waitcnt lgkmcnt(0)
	s_barrier
	buffer_gl0_inv
	ds_read2_b64 v[174:177], v1 offset0:62 offset1:63
	s_cmp_lt_i32 s18, 33
	s_cbranch_scc1 .LBB84_653
; %bb.651:
	v_add3_u32 v183, v184, 0, 0x200
	v_mov_b32_e32 v182, 31
	s_mov_b32 s1, 32
	s_inst_prefetch 0x1
	.p2align	6
.LBB84_652:                             ; =>This Inner Loop Header: Depth=1
	s_waitcnt lgkmcnt(0)
	v_cmp_gt_f64_e32 vcc_lo, 0, v[176:177]
	v_cmp_gt_f64_e64 s0, 0, v[174:175]
	ds_read2_b64 v[189:192], v183 offset1:1
	v_xor_b32_e32 v194, 0x80000000, v175
	v_xor_b32_e32 v196, 0x80000000, v177
	v_mov_b32_e32 v193, v174
	v_mov_b32_e32 v195, v176
	v_add_nc_u32_e32 v183, 16, v183
	s_waitcnt lgkmcnt(0)
	v_xor_b32_e32 v198, 0x80000000, v192
	v_cndmask_b32_e64 v194, v175, v194, s0
	v_cndmask_b32_e32 v196, v177, v196, vcc_lo
	v_cmp_gt_f64_e32 vcc_lo, 0, v[191:192]
	v_cmp_gt_f64_e64 s0, 0, v[189:190]
	v_mov_b32_e32 v197, v191
	v_add_f64 v[193:194], v[193:194], v[195:196]
	v_xor_b32_e32 v196, 0x80000000, v190
	v_mov_b32_e32 v195, v189
	v_cndmask_b32_e32 v198, v192, v198, vcc_lo
	v_cndmask_b32_e64 v196, v190, v196, s0
	v_add_f64 v[195:196], v[195:196], v[197:198]
	v_cmp_lt_f64_e32 vcc_lo, v[193:194], v[195:196]
	v_cndmask_b32_e32 v175, v175, v190, vcc_lo
	v_cndmask_b32_e32 v174, v174, v189, vcc_lo
	;; [unrolled: 1-line block ×4, first 2 shown]
	v_cndmask_b32_e64 v182, v182, s1, vcc_lo
	s_add_i32 s1, s1, 1
	s_cmp_lg_u32 s18, s1
	s_cbranch_scc1 .LBB84_652
.LBB84_653:
	s_inst_prefetch 0x2
	s_waitcnt lgkmcnt(0)
	v_cmp_eq_f64_e32 vcc_lo, 0, v[174:175]
	v_cmp_eq_f64_e64 s0, 0, v[176:177]
	s_and_b32 s0, vcc_lo, s0
	s_and_saveexec_b32 s1, s0
	s_xor_b32 s0, exec_lo, s1
; %bb.654:
	v_cmp_ne_u32_e32 vcc_lo, 0, v187
	v_cndmask_b32_e32 v187, 32, v187, vcc_lo
; %bb.655:
	s_andn2_saveexec_b32 s0, s0
	s_cbranch_execz .LBB84_661
; %bb.656:
	v_cmp_ngt_f64_e64 s1, |v[174:175]|, |v[176:177]|
	s_and_saveexec_b32 s2, s1
	s_xor_b32 s1, exec_lo, s2
	s_cbranch_execz .LBB84_658
; %bb.657:
	v_div_scale_f64 v[189:190], null, v[176:177], v[176:177], v[174:175]
	v_div_scale_f64 v[195:196], vcc_lo, v[174:175], v[176:177], v[174:175]
	v_rcp_f64_e32 v[191:192], v[189:190]
	v_fma_f64 v[193:194], -v[189:190], v[191:192], 1.0
	v_fma_f64 v[191:192], v[191:192], v[193:194], v[191:192]
	v_fma_f64 v[193:194], -v[189:190], v[191:192], 1.0
	v_fma_f64 v[191:192], v[191:192], v[193:194], v[191:192]
	v_mul_f64 v[193:194], v[195:196], v[191:192]
	v_fma_f64 v[189:190], -v[189:190], v[193:194], v[195:196]
	v_div_fmas_f64 v[189:190], v[189:190], v[191:192], v[193:194]
	v_div_fixup_f64 v[189:190], v[189:190], v[176:177], v[174:175]
	v_fma_f64 v[174:175], v[174:175], v[189:190], v[176:177]
	v_div_scale_f64 v[176:177], null, v[174:175], v[174:175], 1.0
	v_rcp_f64_e32 v[191:192], v[176:177]
	v_fma_f64 v[193:194], -v[176:177], v[191:192], 1.0
	v_fma_f64 v[191:192], v[191:192], v[193:194], v[191:192]
	v_fma_f64 v[193:194], -v[176:177], v[191:192], 1.0
	v_fma_f64 v[191:192], v[191:192], v[193:194], v[191:192]
	v_div_scale_f64 v[193:194], vcc_lo, 1.0, v[174:175], 1.0
	v_mul_f64 v[195:196], v[193:194], v[191:192]
	v_fma_f64 v[176:177], -v[176:177], v[195:196], v[193:194]
	v_div_fmas_f64 v[176:177], v[176:177], v[191:192], v[195:196]
	v_div_fixup_f64 v[176:177], v[176:177], v[174:175], 1.0
	v_mul_f64 v[174:175], v[189:190], v[176:177]
	v_xor_b32_e32 v177, 0x80000000, v177
.LBB84_658:
	s_andn2_saveexec_b32 s1, s1
	s_cbranch_execz .LBB84_660
; %bb.659:
	v_div_scale_f64 v[189:190], null, v[174:175], v[174:175], v[176:177]
	v_div_scale_f64 v[195:196], vcc_lo, v[176:177], v[174:175], v[176:177]
	v_rcp_f64_e32 v[191:192], v[189:190]
	v_fma_f64 v[193:194], -v[189:190], v[191:192], 1.0
	v_fma_f64 v[191:192], v[191:192], v[193:194], v[191:192]
	v_fma_f64 v[193:194], -v[189:190], v[191:192], 1.0
	v_fma_f64 v[191:192], v[191:192], v[193:194], v[191:192]
	v_mul_f64 v[193:194], v[195:196], v[191:192]
	v_fma_f64 v[189:190], -v[189:190], v[193:194], v[195:196]
	v_div_fmas_f64 v[189:190], v[189:190], v[191:192], v[193:194]
	v_div_fixup_f64 v[189:190], v[189:190], v[174:175], v[176:177]
	v_fma_f64 v[174:175], v[176:177], v[189:190], v[174:175]
	v_div_scale_f64 v[176:177], null, v[174:175], v[174:175], 1.0
	v_rcp_f64_e32 v[191:192], v[176:177]
	v_fma_f64 v[193:194], -v[176:177], v[191:192], 1.0
	v_fma_f64 v[191:192], v[191:192], v[193:194], v[191:192]
	v_fma_f64 v[193:194], -v[176:177], v[191:192], 1.0
	v_fma_f64 v[191:192], v[191:192], v[193:194], v[191:192]
	v_div_scale_f64 v[193:194], vcc_lo, 1.0, v[174:175], 1.0
	v_mul_f64 v[195:196], v[193:194], v[191:192]
	v_fma_f64 v[176:177], -v[176:177], v[195:196], v[193:194]
	v_div_fmas_f64 v[176:177], v[176:177], v[191:192], v[195:196]
	v_div_fixup_f64 v[174:175], v[176:177], v[174:175], 1.0
	v_mul_f64 v[176:177], v[189:190], -v[174:175]
.LBB84_660:
	s_or_b32 exec_lo, exec_lo, s1
.LBB84_661:
	s_or_b32 exec_lo, exec_lo, s0
	s_mov_b32 s0, exec_lo
	v_cmpx_ne_u32_e64 v188, v182
	s_xor_b32 s0, exec_lo, s0
	s_cbranch_execz .LBB84_667
; %bb.662:
	s_mov_b32 s1, exec_lo
	v_cmpx_eq_u32_e32 31, v188
	s_cbranch_execz .LBB84_666
; %bb.663:
	v_cmp_ne_u32_e32 vcc_lo, 31, v182
	s_xor_b32 s2, s16, -1
	s_and_b32 s3, s2, vcc_lo
	s_and_saveexec_b32 s2, s3
	s_cbranch_execz .LBB84_665
; %bb.664:
	v_ashrrev_i32_e32 v183, 31, v182
	v_lshlrev_b64 v[188:189], 2, v[182:183]
	v_add_co_u32 v188, vcc_lo, v180, v188
	v_add_co_ci_u32_e64 v189, null, v181, v189, vcc_lo
	s_clause 0x1
	global_load_dword v0, v[188:189], off
	global_load_dword v183, v[180:181], off offset:124
	s_waitcnt vmcnt(1)
	global_store_dword v[180:181], v0, off offset:124
	s_waitcnt vmcnt(0)
	global_store_dword v[188:189], v183, off
.LBB84_665:
	s_or_b32 exec_lo, exec_lo, s2
	v_mov_b32_e32 v188, v182
	v_mov_b32_e32 v0, v182
.LBB84_666:
	s_or_b32 exec_lo, exec_lo, s1
.LBB84_667:
	s_andn2_saveexec_b32 s0, s0
	s_cbranch_execz .LBB84_669
; %bb.668:
	v_mov_b32_e32 v188, 31
	ds_write2_b64 v1, v[42:43], v[44:45] offset0:64 offset1:65
	ds_write2_b64 v1, v[38:39], v[40:41] offset0:66 offset1:67
	;; [unrolled: 1-line block ×11, first 2 shown]
.LBB84_669:
	s_or_b32 exec_lo, exec_lo, s0
	s_mov_b32 s0, exec_lo
	s_waitcnt lgkmcnt(0)
	s_waitcnt_vscnt null, 0x0
	s_barrier
	buffer_gl0_inv
	v_cmpx_lt_i32_e32 31, v188
	s_cbranch_execz .LBB84_671
; %bb.670:
	v_mul_f64 v[182:183], v[174:175], v[48:49]
	v_mul_f64 v[48:49], v[176:177], v[48:49]
	v_fma_f64 v[182:183], v[176:177], v[46:47], v[182:183]
	v_fma_f64 v[46:47], v[174:175], v[46:47], -v[48:49]
	ds_read2_b64 v[174:177], v1 offset0:64 offset1:65
	s_waitcnt lgkmcnt(0)
	v_mul_f64 v[48:49], v[176:177], v[182:183]
	v_fma_f64 v[48:49], v[174:175], v[46:47], -v[48:49]
	v_mul_f64 v[174:175], v[174:175], v[182:183]
	v_add_f64 v[42:43], v[42:43], -v[48:49]
	v_fma_f64 v[174:175], v[176:177], v[46:47], v[174:175]
	v_add_f64 v[44:45], v[44:45], -v[174:175]
	ds_read2_b64 v[174:177], v1 offset0:66 offset1:67
	s_waitcnt lgkmcnt(0)
	v_mul_f64 v[48:49], v[176:177], v[182:183]
	v_fma_f64 v[48:49], v[174:175], v[46:47], -v[48:49]
	v_mul_f64 v[174:175], v[174:175], v[182:183]
	v_add_f64 v[38:39], v[38:39], -v[48:49]
	v_fma_f64 v[174:175], v[176:177], v[46:47], v[174:175]
	v_add_f64 v[40:41], v[40:41], -v[174:175]
	;; [unrolled: 8-line block ×10, first 2 shown]
	ds_read2_b64 v[174:177], v1 offset0:84 offset1:85
	s_waitcnt lgkmcnt(0)
	v_mul_f64 v[48:49], v[176:177], v[182:183]
	v_fma_f64 v[48:49], v[174:175], v[46:47], -v[48:49]
	v_mul_f64 v[174:175], v[174:175], v[182:183]
	v_add_f64 v[2:3], v[2:3], -v[48:49]
	v_fma_f64 v[174:175], v[176:177], v[46:47], v[174:175]
	v_mov_b32_e32 v48, v182
	v_mov_b32_e32 v49, v183
	v_add_f64 v[4:5], v[4:5], -v[174:175]
.LBB84_671:
	s_or_b32 exec_lo, exec_lo, s0
	v_lshl_add_u32 v174, v188, 4, v1
	s_barrier
	buffer_gl0_inv
	v_mov_b32_e32 v182, 32
	ds_write2_b64 v174, v[42:43], v[44:45] offset1:1
	s_waitcnt lgkmcnt(0)
	s_barrier
	buffer_gl0_inv
	ds_read2_b64 v[174:177], v1 offset0:64 offset1:65
	s_cmp_lt_i32 s18, 34
	s_cbranch_scc1 .LBB84_674
; %bb.672:
	v_add3_u32 v183, v184, 0, 0x210
	v_mov_b32_e32 v182, 32
	s_mov_b32 s1, 33
	s_inst_prefetch 0x1
	.p2align	6
.LBB84_673:                             ; =>This Inner Loop Header: Depth=1
	s_waitcnt lgkmcnt(0)
	v_cmp_gt_f64_e32 vcc_lo, 0, v[176:177]
	v_cmp_gt_f64_e64 s0, 0, v[174:175]
	ds_read2_b64 v[189:192], v183 offset1:1
	v_xor_b32_e32 v194, 0x80000000, v175
	v_xor_b32_e32 v196, 0x80000000, v177
	v_mov_b32_e32 v193, v174
	v_mov_b32_e32 v195, v176
	v_add_nc_u32_e32 v183, 16, v183
	s_waitcnt lgkmcnt(0)
	v_xor_b32_e32 v198, 0x80000000, v192
	v_cndmask_b32_e64 v194, v175, v194, s0
	v_cndmask_b32_e32 v196, v177, v196, vcc_lo
	v_cmp_gt_f64_e32 vcc_lo, 0, v[191:192]
	v_cmp_gt_f64_e64 s0, 0, v[189:190]
	v_mov_b32_e32 v197, v191
	v_add_f64 v[193:194], v[193:194], v[195:196]
	v_xor_b32_e32 v196, 0x80000000, v190
	v_mov_b32_e32 v195, v189
	v_cndmask_b32_e32 v198, v192, v198, vcc_lo
	v_cndmask_b32_e64 v196, v190, v196, s0
	v_add_f64 v[195:196], v[195:196], v[197:198]
	v_cmp_lt_f64_e32 vcc_lo, v[193:194], v[195:196]
	v_cndmask_b32_e32 v175, v175, v190, vcc_lo
	v_cndmask_b32_e32 v174, v174, v189, vcc_lo
	v_cndmask_b32_e32 v177, v177, v192, vcc_lo
	v_cndmask_b32_e32 v176, v176, v191, vcc_lo
	v_cndmask_b32_e64 v182, v182, s1, vcc_lo
	s_add_i32 s1, s1, 1
	s_cmp_lg_u32 s18, s1
	s_cbranch_scc1 .LBB84_673
.LBB84_674:
	s_inst_prefetch 0x2
	s_waitcnt lgkmcnt(0)
	v_cmp_eq_f64_e32 vcc_lo, 0, v[174:175]
	v_cmp_eq_f64_e64 s0, 0, v[176:177]
	s_and_b32 s0, vcc_lo, s0
	s_and_saveexec_b32 s1, s0
	s_xor_b32 s0, exec_lo, s1
; %bb.675:
	v_cmp_ne_u32_e32 vcc_lo, 0, v187
	v_cndmask_b32_e32 v187, 33, v187, vcc_lo
; %bb.676:
	s_andn2_saveexec_b32 s0, s0
	s_cbranch_execz .LBB84_682
; %bb.677:
	v_cmp_ngt_f64_e64 s1, |v[174:175]|, |v[176:177]|
	s_and_saveexec_b32 s2, s1
	s_xor_b32 s1, exec_lo, s2
	s_cbranch_execz .LBB84_679
; %bb.678:
	v_div_scale_f64 v[189:190], null, v[176:177], v[176:177], v[174:175]
	v_div_scale_f64 v[195:196], vcc_lo, v[174:175], v[176:177], v[174:175]
	v_rcp_f64_e32 v[191:192], v[189:190]
	v_fma_f64 v[193:194], -v[189:190], v[191:192], 1.0
	v_fma_f64 v[191:192], v[191:192], v[193:194], v[191:192]
	v_fma_f64 v[193:194], -v[189:190], v[191:192], 1.0
	v_fma_f64 v[191:192], v[191:192], v[193:194], v[191:192]
	v_mul_f64 v[193:194], v[195:196], v[191:192]
	v_fma_f64 v[189:190], -v[189:190], v[193:194], v[195:196]
	v_div_fmas_f64 v[189:190], v[189:190], v[191:192], v[193:194]
	v_div_fixup_f64 v[189:190], v[189:190], v[176:177], v[174:175]
	v_fma_f64 v[174:175], v[174:175], v[189:190], v[176:177]
	v_div_scale_f64 v[176:177], null, v[174:175], v[174:175], 1.0
	v_rcp_f64_e32 v[191:192], v[176:177]
	v_fma_f64 v[193:194], -v[176:177], v[191:192], 1.0
	v_fma_f64 v[191:192], v[191:192], v[193:194], v[191:192]
	v_fma_f64 v[193:194], -v[176:177], v[191:192], 1.0
	v_fma_f64 v[191:192], v[191:192], v[193:194], v[191:192]
	v_div_scale_f64 v[193:194], vcc_lo, 1.0, v[174:175], 1.0
	v_mul_f64 v[195:196], v[193:194], v[191:192]
	v_fma_f64 v[176:177], -v[176:177], v[195:196], v[193:194]
	v_div_fmas_f64 v[176:177], v[176:177], v[191:192], v[195:196]
	v_div_fixup_f64 v[176:177], v[176:177], v[174:175], 1.0
	v_mul_f64 v[174:175], v[189:190], v[176:177]
	v_xor_b32_e32 v177, 0x80000000, v177
.LBB84_679:
	s_andn2_saveexec_b32 s1, s1
	s_cbranch_execz .LBB84_681
; %bb.680:
	v_div_scale_f64 v[189:190], null, v[174:175], v[174:175], v[176:177]
	v_div_scale_f64 v[195:196], vcc_lo, v[176:177], v[174:175], v[176:177]
	v_rcp_f64_e32 v[191:192], v[189:190]
	v_fma_f64 v[193:194], -v[189:190], v[191:192], 1.0
	v_fma_f64 v[191:192], v[191:192], v[193:194], v[191:192]
	v_fma_f64 v[193:194], -v[189:190], v[191:192], 1.0
	v_fma_f64 v[191:192], v[191:192], v[193:194], v[191:192]
	v_mul_f64 v[193:194], v[195:196], v[191:192]
	v_fma_f64 v[189:190], -v[189:190], v[193:194], v[195:196]
	v_div_fmas_f64 v[189:190], v[189:190], v[191:192], v[193:194]
	v_div_fixup_f64 v[189:190], v[189:190], v[174:175], v[176:177]
	v_fma_f64 v[174:175], v[176:177], v[189:190], v[174:175]
	v_div_scale_f64 v[176:177], null, v[174:175], v[174:175], 1.0
	v_rcp_f64_e32 v[191:192], v[176:177]
	v_fma_f64 v[193:194], -v[176:177], v[191:192], 1.0
	v_fma_f64 v[191:192], v[191:192], v[193:194], v[191:192]
	v_fma_f64 v[193:194], -v[176:177], v[191:192], 1.0
	v_fma_f64 v[191:192], v[191:192], v[193:194], v[191:192]
	v_div_scale_f64 v[193:194], vcc_lo, 1.0, v[174:175], 1.0
	v_mul_f64 v[195:196], v[193:194], v[191:192]
	v_fma_f64 v[176:177], -v[176:177], v[195:196], v[193:194]
	v_div_fmas_f64 v[176:177], v[176:177], v[191:192], v[195:196]
	v_div_fixup_f64 v[174:175], v[176:177], v[174:175], 1.0
	v_mul_f64 v[176:177], v[189:190], -v[174:175]
.LBB84_681:
	s_or_b32 exec_lo, exec_lo, s1
.LBB84_682:
	s_or_b32 exec_lo, exec_lo, s0
	s_mov_b32 s0, exec_lo
	v_cmpx_ne_u32_e64 v188, v182
	s_xor_b32 s0, exec_lo, s0
	s_cbranch_execz .LBB84_688
; %bb.683:
	s_mov_b32 s1, exec_lo
	v_cmpx_eq_u32_e32 32, v188
	s_cbranch_execz .LBB84_687
; %bb.684:
	v_cmp_ne_u32_e32 vcc_lo, 32, v182
	s_xor_b32 s2, s16, -1
	s_and_b32 s3, s2, vcc_lo
	s_and_saveexec_b32 s2, s3
	s_cbranch_execz .LBB84_686
; %bb.685:
	v_ashrrev_i32_e32 v183, 31, v182
	v_lshlrev_b64 v[188:189], 2, v[182:183]
	v_add_co_u32 v188, vcc_lo, v180, v188
	v_add_co_ci_u32_e64 v189, null, v181, v189, vcc_lo
	s_clause 0x1
	global_load_dword v0, v[188:189], off
	global_load_dword v183, v[180:181], off offset:128
	s_waitcnt vmcnt(1)
	global_store_dword v[180:181], v0, off offset:128
	s_waitcnt vmcnt(0)
	global_store_dword v[188:189], v183, off
.LBB84_686:
	s_or_b32 exec_lo, exec_lo, s2
	v_mov_b32_e32 v188, v182
	v_mov_b32_e32 v0, v182
.LBB84_687:
	s_or_b32 exec_lo, exec_lo, s1
.LBB84_688:
	s_andn2_saveexec_b32 s0, s0
	s_cbranch_execz .LBB84_690
; %bb.689:
	v_mov_b32_e32 v188, 32
	ds_write2_b64 v1, v[38:39], v[40:41] offset0:66 offset1:67
	ds_write2_b64 v1, v[34:35], v[36:37] offset0:68 offset1:69
	;; [unrolled: 1-line block ×10, first 2 shown]
.LBB84_690:
	s_or_b32 exec_lo, exec_lo, s0
	s_mov_b32 s0, exec_lo
	s_waitcnt lgkmcnt(0)
	s_waitcnt_vscnt null, 0x0
	s_barrier
	buffer_gl0_inv
	v_cmpx_lt_i32_e32 32, v188
	s_cbranch_execz .LBB84_692
; %bb.691:
	v_mul_f64 v[182:183], v[174:175], v[44:45]
	v_mul_f64 v[44:45], v[176:177], v[44:45]
	v_fma_f64 v[182:183], v[176:177], v[42:43], v[182:183]
	v_fma_f64 v[42:43], v[174:175], v[42:43], -v[44:45]
	ds_read2_b64 v[174:177], v1 offset0:66 offset1:67
	s_waitcnt lgkmcnt(0)
	v_mul_f64 v[44:45], v[176:177], v[182:183]
	v_fma_f64 v[44:45], v[174:175], v[42:43], -v[44:45]
	v_mul_f64 v[174:175], v[174:175], v[182:183]
	v_add_f64 v[38:39], v[38:39], -v[44:45]
	v_fma_f64 v[174:175], v[176:177], v[42:43], v[174:175]
	v_add_f64 v[40:41], v[40:41], -v[174:175]
	ds_read2_b64 v[174:177], v1 offset0:68 offset1:69
	s_waitcnt lgkmcnt(0)
	v_mul_f64 v[44:45], v[176:177], v[182:183]
	v_fma_f64 v[44:45], v[174:175], v[42:43], -v[44:45]
	v_mul_f64 v[174:175], v[174:175], v[182:183]
	v_add_f64 v[34:35], v[34:35], -v[44:45]
	v_fma_f64 v[174:175], v[176:177], v[42:43], v[174:175]
	v_add_f64 v[36:37], v[36:37], -v[174:175]
	ds_read2_b64 v[174:177], v1 offset0:70 offset1:71
	s_waitcnt lgkmcnt(0)
	v_mul_f64 v[44:45], v[176:177], v[182:183]
	v_fma_f64 v[44:45], v[174:175], v[42:43], -v[44:45]
	v_mul_f64 v[174:175], v[174:175], v[182:183]
	v_add_f64 v[30:31], v[30:31], -v[44:45]
	v_fma_f64 v[174:175], v[176:177], v[42:43], v[174:175]
	v_add_f64 v[32:33], v[32:33], -v[174:175]
	ds_read2_b64 v[174:177], v1 offset0:72 offset1:73
	s_waitcnt lgkmcnt(0)
	v_mul_f64 v[44:45], v[176:177], v[182:183]
	v_fma_f64 v[44:45], v[174:175], v[42:43], -v[44:45]
	v_mul_f64 v[174:175], v[174:175], v[182:183]
	v_add_f64 v[26:27], v[26:27], -v[44:45]
	v_fma_f64 v[174:175], v[176:177], v[42:43], v[174:175]
	v_add_f64 v[28:29], v[28:29], -v[174:175]
	ds_read2_b64 v[174:177], v1 offset0:74 offset1:75
	s_waitcnt lgkmcnt(0)
	v_mul_f64 v[44:45], v[176:177], v[182:183]
	v_fma_f64 v[44:45], v[174:175], v[42:43], -v[44:45]
	v_mul_f64 v[174:175], v[174:175], v[182:183]
	v_add_f64 v[22:23], v[22:23], -v[44:45]
	v_fma_f64 v[174:175], v[176:177], v[42:43], v[174:175]
	v_add_f64 v[24:25], v[24:25], -v[174:175]
	ds_read2_b64 v[174:177], v1 offset0:76 offset1:77
	s_waitcnt lgkmcnt(0)
	v_mul_f64 v[44:45], v[176:177], v[182:183]
	v_fma_f64 v[44:45], v[174:175], v[42:43], -v[44:45]
	v_mul_f64 v[174:175], v[174:175], v[182:183]
	v_add_f64 v[18:19], v[18:19], -v[44:45]
	v_fma_f64 v[174:175], v[176:177], v[42:43], v[174:175]
	v_add_f64 v[20:21], v[20:21], -v[174:175]
	ds_read2_b64 v[174:177], v1 offset0:78 offset1:79
	s_waitcnt lgkmcnt(0)
	v_mul_f64 v[44:45], v[176:177], v[182:183]
	v_fma_f64 v[44:45], v[174:175], v[42:43], -v[44:45]
	v_mul_f64 v[174:175], v[174:175], v[182:183]
	v_add_f64 v[14:15], v[14:15], -v[44:45]
	v_fma_f64 v[174:175], v[176:177], v[42:43], v[174:175]
	v_add_f64 v[16:17], v[16:17], -v[174:175]
	ds_read2_b64 v[174:177], v1 offset0:80 offset1:81
	s_waitcnt lgkmcnt(0)
	v_mul_f64 v[44:45], v[176:177], v[182:183]
	v_fma_f64 v[44:45], v[174:175], v[42:43], -v[44:45]
	v_mul_f64 v[174:175], v[174:175], v[182:183]
	v_add_f64 v[10:11], v[10:11], -v[44:45]
	v_fma_f64 v[174:175], v[176:177], v[42:43], v[174:175]
	v_add_f64 v[12:13], v[12:13], -v[174:175]
	ds_read2_b64 v[174:177], v1 offset0:82 offset1:83
	s_waitcnt lgkmcnt(0)
	v_mul_f64 v[44:45], v[176:177], v[182:183]
	v_fma_f64 v[44:45], v[174:175], v[42:43], -v[44:45]
	v_mul_f64 v[174:175], v[174:175], v[182:183]
	v_add_f64 v[6:7], v[6:7], -v[44:45]
	v_fma_f64 v[174:175], v[176:177], v[42:43], v[174:175]
	v_add_f64 v[8:9], v[8:9], -v[174:175]
	ds_read2_b64 v[174:177], v1 offset0:84 offset1:85
	s_waitcnt lgkmcnt(0)
	v_mul_f64 v[44:45], v[176:177], v[182:183]
	v_fma_f64 v[44:45], v[174:175], v[42:43], -v[44:45]
	v_mul_f64 v[174:175], v[174:175], v[182:183]
	v_add_f64 v[2:3], v[2:3], -v[44:45]
	v_fma_f64 v[174:175], v[176:177], v[42:43], v[174:175]
	v_mov_b32_e32 v44, v182
	v_mov_b32_e32 v45, v183
	v_add_f64 v[4:5], v[4:5], -v[174:175]
.LBB84_692:
	s_or_b32 exec_lo, exec_lo, s0
	v_lshl_add_u32 v174, v188, 4, v1
	s_barrier
	buffer_gl0_inv
	v_mov_b32_e32 v182, 33
	ds_write2_b64 v174, v[38:39], v[40:41] offset1:1
	s_waitcnt lgkmcnt(0)
	s_barrier
	buffer_gl0_inv
	ds_read2_b64 v[174:177], v1 offset0:66 offset1:67
	s_cmp_lt_i32 s18, 35
	s_cbranch_scc1 .LBB84_695
; %bb.693:
	v_add3_u32 v183, v184, 0, 0x220
	v_mov_b32_e32 v182, 33
	s_mov_b32 s1, 34
	s_inst_prefetch 0x1
	.p2align	6
.LBB84_694:                             ; =>This Inner Loop Header: Depth=1
	s_waitcnt lgkmcnt(0)
	v_cmp_gt_f64_e32 vcc_lo, 0, v[176:177]
	v_cmp_gt_f64_e64 s0, 0, v[174:175]
	ds_read2_b64 v[189:192], v183 offset1:1
	v_xor_b32_e32 v194, 0x80000000, v175
	v_xor_b32_e32 v196, 0x80000000, v177
	v_mov_b32_e32 v193, v174
	v_mov_b32_e32 v195, v176
	v_add_nc_u32_e32 v183, 16, v183
	s_waitcnt lgkmcnt(0)
	v_xor_b32_e32 v198, 0x80000000, v192
	v_cndmask_b32_e64 v194, v175, v194, s0
	v_cndmask_b32_e32 v196, v177, v196, vcc_lo
	v_cmp_gt_f64_e32 vcc_lo, 0, v[191:192]
	v_cmp_gt_f64_e64 s0, 0, v[189:190]
	v_mov_b32_e32 v197, v191
	v_add_f64 v[193:194], v[193:194], v[195:196]
	v_xor_b32_e32 v196, 0x80000000, v190
	v_mov_b32_e32 v195, v189
	v_cndmask_b32_e32 v198, v192, v198, vcc_lo
	v_cndmask_b32_e64 v196, v190, v196, s0
	v_add_f64 v[195:196], v[195:196], v[197:198]
	v_cmp_lt_f64_e32 vcc_lo, v[193:194], v[195:196]
	v_cndmask_b32_e32 v175, v175, v190, vcc_lo
	v_cndmask_b32_e32 v174, v174, v189, vcc_lo
	;; [unrolled: 1-line block ×4, first 2 shown]
	v_cndmask_b32_e64 v182, v182, s1, vcc_lo
	s_add_i32 s1, s1, 1
	s_cmp_lg_u32 s18, s1
	s_cbranch_scc1 .LBB84_694
.LBB84_695:
	s_inst_prefetch 0x2
	s_waitcnt lgkmcnt(0)
	v_cmp_eq_f64_e32 vcc_lo, 0, v[174:175]
	v_cmp_eq_f64_e64 s0, 0, v[176:177]
	s_and_b32 s0, vcc_lo, s0
	s_and_saveexec_b32 s1, s0
	s_xor_b32 s0, exec_lo, s1
; %bb.696:
	v_cmp_ne_u32_e32 vcc_lo, 0, v187
	v_cndmask_b32_e32 v187, 34, v187, vcc_lo
; %bb.697:
	s_andn2_saveexec_b32 s0, s0
	s_cbranch_execz .LBB84_703
; %bb.698:
	v_cmp_ngt_f64_e64 s1, |v[174:175]|, |v[176:177]|
	s_and_saveexec_b32 s2, s1
	s_xor_b32 s1, exec_lo, s2
	s_cbranch_execz .LBB84_700
; %bb.699:
	v_div_scale_f64 v[189:190], null, v[176:177], v[176:177], v[174:175]
	v_div_scale_f64 v[195:196], vcc_lo, v[174:175], v[176:177], v[174:175]
	v_rcp_f64_e32 v[191:192], v[189:190]
	v_fma_f64 v[193:194], -v[189:190], v[191:192], 1.0
	v_fma_f64 v[191:192], v[191:192], v[193:194], v[191:192]
	v_fma_f64 v[193:194], -v[189:190], v[191:192], 1.0
	v_fma_f64 v[191:192], v[191:192], v[193:194], v[191:192]
	v_mul_f64 v[193:194], v[195:196], v[191:192]
	v_fma_f64 v[189:190], -v[189:190], v[193:194], v[195:196]
	v_div_fmas_f64 v[189:190], v[189:190], v[191:192], v[193:194]
	v_div_fixup_f64 v[189:190], v[189:190], v[176:177], v[174:175]
	v_fma_f64 v[174:175], v[174:175], v[189:190], v[176:177]
	v_div_scale_f64 v[176:177], null, v[174:175], v[174:175], 1.0
	v_rcp_f64_e32 v[191:192], v[176:177]
	v_fma_f64 v[193:194], -v[176:177], v[191:192], 1.0
	v_fma_f64 v[191:192], v[191:192], v[193:194], v[191:192]
	v_fma_f64 v[193:194], -v[176:177], v[191:192], 1.0
	v_fma_f64 v[191:192], v[191:192], v[193:194], v[191:192]
	v_div_scale_f64 v[193:194], vcc_lo, 1.0, v[174:175], 1.0
	v_mul_f64 v[195:196], v[193:194], v[191:192]
	v_fma_f64 v[176:177], -v[176:177], v[195:196], v[193:194]
	v_div_fmas_f64 v[176:177], v[176:177], v[191:192], v[195:196]
	v_div_fixup_f64 v[176:177], v[176:177], v[174:175], 1.0
	v_mul_f64 v[174:175], v[189:190], v[176:177]
	v_xor_b32_e32 v177, 0x80000000, v177
.LBB84_700:
	s_andn2_saveexec_b32 s1, s1
	s_cbranch_execz .LBB84_702
; %bb.701:
	v_div_scale_f64 v[189:190], null, v[174:175], v[174:175], v[176:177]
	v_div_scale_f64 v[195:196], vcc_lo, v[176:177], v[174:175], v[176:177]
	v_rcp_f64_e32 v[191:192], v[189:190]
	v_fma_f64 v[193:194], -v[189:190], v[191:192], 1.0
	v_fma_f64 v[191:192], v[191:192], v[193:194], v[191:192]
	v_fma_f64 v[193:194], -v[189:190], v[191:192], 1.0
	v_fma_f64 v[191:192], v[191:192], v[193:194], v[191:192]
	v_mul_f64 v[193:194], v[195:196], v[191:192]
	v_fma_f64 v[189:190], -v[189:190], v[193:194], v[195:196]
	v_div_fmas_f64 v[189:190], v[189:190], v[191:192], v[193:194]
	v_div_fixup_f64 v[189:190], v[189:190], v[174:175], v[176:177]
	v_fma_f64 v[174:175], v[176:177], v[189:190], v[174:175]
	v_div_scale_f64 v[176:177], null, v[174:175], v[174:175], 1.0
	v_rcp_f64_e32 v[191:192], v[176:177]
	v_fma_f64 v[193:194], -v[176:177], v[191:192], 1.0
	v_fma_f64 v[191:192], v[191:192], v[193:194], v[191:192]
	v_fma_f64 v[193:194], -v[176:177], v[191:192], 1.0
	v_fma_f64 v[191:192], v[191:192], v[193:194], v[191:192]
	v_div_scale_f64 v[193:194], vcc_lo, 1.0, v[174:175], 1.0
	v_mul_f64 v[195:196], v[193:194], v[191:192]
	v_fma_f64 v[176:177], -v[176:177], v[195:196], v[193:194]
	v_div_fmas_f64 v[176:177], v[176:177], v[191:192], v[195:196]
	v_div_fixup_f64 v[174:175], v[176:177], v[174:175], 1.0
	v_mul_f64 v[176:177], v[189:190], -v[174:175]
.LBB84_702:
	s_or_b32 exec_lo, exec_lo, s1
.LBB84_703:
	s_or_b32 exec_lo, exec_lo, s0
	s_mov_b32 s0, exec_lo
	v_cmpx_ne_u32_e64 v188, v182
	s_xor_b32 s0, exec_lo, s0
	s_cbranch_execz .LBB84_709
; %bb.704:
	s_mov_b32 s1, exec_lo
	v_cmpx_eq_u32_e32 33, v188
	s_cbranch_execz .LBB84_708
; %bb.705:
	v_cmp_ne_u32_e32 vcc_lo, 33, v182
	s_xor_b32 s2, s16, -1
	s_and_b32 s3, s2, vcc_lo
	s_and_saveexec_b32 s2, s3
	s_cbranch_execz .LBB84_707
; %bb.706:
	v_ashrrev_i32_e32 v183, 31, v182
	v_lshlrev_b64 v[188:189], 2, v[182:183]
	v_add_co_u32 v188, vcc_lo, v180, v188
	v_add_co_ci_u32_e64 v189, null, v181, v189, vcc_lo
	s_clause 0x1
	global_load_dword v0, v[188:189], off
	global_load_dword v183, v[180:181], off offset:132
	s_waitcnt vmcnt(1)
	global_store_dword v[180:181], v0, off offset:132
	s_waitcnt vmcnt(0)
	global_store_dword v[188:189], v183, off
.LBB84_707:
	s_or_b32 exec_lo, exec_lo, s2
	v_mov_b32_e32 v188, v182
	v_mov_b32_e32 v0, v182
.LBB84_708:
	s_or_b32 exec_lo, exec_lo, s1
.LBB84_709:
	s_andn2_saveexec_b32 s0, s0
	s_cbranch_execz .LBB84_711
; %bb.710:
	v_mov_b32_e32 v188, 33
	ds_write2_b64 v1, v[34:35], v[36:37] offset0:68 offset1:69
	ds_write2_b64 v1, v[30:31], v[32:33] offset0:70 offset1:71
	;; [unrolled: 1-line block ×9, first 2 shown]
.LBB84_711:
	s_or_b32 exec_lo, exec_lo, s0
	s_mov_b32 s0, exec_lo
	s_waitcnt lgkmcnt(0)
	s_waitcnt_vscnt null, 0x0
	s_barrier
	buffer_gl0_inv
	v_cmpx_lt_i32_e32 33, v188
	s_cbranch_execz .LBB84_713
; %bb.712:
	v_mul_f64 v[182:183], v[174:175], v[40:41]
	v_mul_f64 v[40:41], v[176:177], v[40:41]
	v_fma_f64 v[182:183], v[176:177], v[38:39], v[182:183]
	v_fma_f64 v[38:39], v[174:175], v[38:39], -v[40:41]
	ds_read2_b64 v[174:177], v1 offset0:68 offset1:69
	s_waitcnt lgkmcnt(0)
	v_mul_f64 v[40:41], v[176:177], v[182:183]
	v_fma_f64 v[40:41], v[174:175], v[38:39], -v[40:41]
	v_mul_f64 v[174:175], v[174:175], v[182:183]
	v_add_f64 v[34:35], v[34:35], -v[40:41]
	v_fma_f64 v[174:175], v[176:177], v[38:39], v[174:175]
	v_add_f64 v[36:37], v[36:37], -v[174:175]
	ds_read2_b64 v[174:177], v1 offset0:70 offset1:71
	s_waitcnt lgkmcnt(0)
	v_mul_f64 v[40:41], v[176:177], v[182:183]
	v_fma_f64 v[40:41], v[174:175], v[38:39], -v[40:41]
	v_mul_f64 v[174:175], v[174:175], v[182:183]
	v_add_f64 v[30:31], v[30:31], -v[40:41]
	v_fma_f64 v[174:175], v[176:177], v[38:39], v[174:175]
	v_add_f64 v[32:33], v[32:33], -v[174:175]
	;; [unrolled: 8-line block ×8, first 2 shown]
	ds_read2_b64 v[174:177], v1 offset0:84 offset1:85
	s_waitcnt lgkmcnt(0)
	v_mul_f64 v[40:41], v[176:177], v[182:183]
	v_fma_f64 v[40:41], v[174:175], v[38:39], -v[40:41]
	v_mul_f64 v[174:175], v[174:175], v[182:183]
	v_add_f64 v[2:3], v[2:3], -v[40:41]
	v_fma_f64 v[174:175], v[176:177], v[38:39], v[174:175]
	v_mov_b32_e32 v40, v182
	v_mov_b32_e32 v41, v183
	v_add_f64 v[4:5], v[4:5], -v[174:175]
.LBB84_713:
	s_or_b32 exec_lo, exec_lo, s0
	v_lshl_add_u32 v174, v188, 4, v1
	s_barrier
	buffer_gl0_inv
	v_mov_b32_e32 v182, 34
	ds_write2_b64 v174, v[34:35], v[36:37] offset1:1
	s_waitcnt lgkmcnt(0)
	s_barrier
	buffer_gl0_inv
	ds_read2_b64 v[174:177], v1 offset0:68 offset1:69
	s_cmp_lt_i32 s18, 36
	s_cbranch_scc1 .LBB84_716
; %bb.714:
	v_add3_u32 v183, v184, 0, 0x230
	v_mov_b32_e32 v182, 34
	s_mov_b32 s1, 35
	s_inst_prefetch 0x1
	.p2align	6
.LBB84_715:                             ; =>This Inner Loop Header: Depth=1
	s_waitcnt lgkmcnt(0)
	v_cmp_gt_f64_e32 vcc_lo, 0, v[176:177]
	v_cmp_gt_f64_e64 s0, 0, v[174:175]
	ds_read2_b64 v[189:192], v183 offset1:1
	v_xor_b32_e32 v194, 0x80000000, v175
	v_xor_b32_e32 v196, 0x80000000, v177
	v_mov_b32_e32 v193, v174
	v_mov_b32_e32 v195, v176
	v_add_nc_u32_e32 v183, 16, v183
	s_waitcnt lgkmcnt(0)
	v_xor_b32_e32 v198, 0x80000000, v192
	v_cndmask_b32_e64 v194, v175, v194, s0
	v_cndmask_b32_e32 v196, v177, v196, vcc_lo
	v_cmp_gt_f64_e32 vcc_lo, 0, v[191:192]
	v_cmp_gt_f64_e64 s0, 0, v[189:190]
	v_mov_b32_e32 v197, v191
	v_add_f64 v[193:194], v[193:194], v[195:196]
	v_xor_b32_e32 v196, 0x80000000, v190
	v_mov_b32_e32 v195, v189
	v_cndmask_b32_e32 v198, v192, v198, vcc_lo
	v_cndmask_b32_e64 v196, v190, v196, s0
	v_add_f64 v[195:196], v[195:196], v[197:198]
	v_cmp_lt_f64_e32 vcc_lo, v[193:194], v[195:196]
	v_cndmask_b32_e32 v175, v175, v190, vcc_lo
	v_cndmask_b32_e32 v174, v174, v189, vcc_lo
	;; [unrolled: 1-line block ×4, first 2 shown]
	v_cndmask_b32_e64 v182, v182, s1, vcc_lo
	s_add_i32 s1, s1, 1
	s_cmp_lg_u32 s18, s1
	s_cbranch_scc1 .LBB84_715
.LBB84_716:
	s_inst_prefetch 0x2
	s_waitcnt lgkmcnt(0)
	v_cmp_eq_f64_e32 vcc_lo, 0, v[174:175]
	v_cmp_eq_f64_e64 s0, 0, v[176:177]
	s_and_b32 s0, vcc_lo, s0
	s_and_saveexec_b32 s1, s0
	s_xor_b32 s0, exec_lo, s1
; %bb.717:
	v_cmp_ne_u32_e32 vcc_lo, 0, v187
	v_cndmask_b32_e32 v187, 35, v187, vcc_lo
; %bb.718:
	s_andn2_saveexec_b32 s0, s0
	s_cbranch_execz .LBB84_724
; %bb.719:
	v_cmp_ngt_f64_e64 s1, |v[174:175]|, |v[176:177]|
	s_and_saveexec_b32 s2, s1
	s_xor_b32 s1, exec_lo, s2
	s_cbranch_execz .LBB84_721
; %bb.720:
	v_div_scale_f64 v[189:190], null, v[176:177], v[176:177], v[174:175]
	v_div_scale_f64 v[195:196], vcc_lo, v[174:175], v[176:177], v[174:175]
	v_rcp_f64_e32 v[191:192], v[189:190]
	v_fma_f64 v[193:194], -v[189:190], v[191:192], 1.0
	v_fma_f64 v[191:192], v[191:192], v[193:194], v[191:192]
	v_fma_f64 v[193:194], -v[189:190], v[191:192], 1.0
	v_fma_f64 v[191:192], v[191:192], v[193:194], v[191:192]
	v_mul_f64 v[193:194], v[195:196], v[191:192]
	v_fma_f64 v[189:190], -v[189:190], v[193:194], v[195:196]
	v_div_fmas_f64 v[189:190], v[189:190], v[191:192], v[193:194]
	v_div_fixup_f64 v[189:190], v[189:190], v[176:177], v[174:175]
	v_fma_f64 v[174:175], v[174:175], v[189:190], v[176:177]
	v_div_scale_f64 v[176:177], null, v[174:175], v[174:175], 1.0
	v_rcp_f64_e32 v[191:192], v[176:177]
	v_fma_f64 v[193:194], -v[176:177], v[191:192], 1.0
	v_fma_f64 v[191:192], v[191:192], v[193:194], v[191:192]
	v_fma_f64 v[193:194], -v[176:177], v[191:192], 1.0
	v_fma_f64 v[191:192], v[191:192], v[193:194], v[191:192]
	v_div_scale_f64 v[193:194], vcc_lo, 1.0, v[174:175], 1.0
	v_mul_f64 v[195:196], v[193:194], v[191:192]
	v_fma_f64 v[176:177], -v[176:177], v[195:196], v[193:194]
	v_div_fmas_f64 v[176:177], v[176:177], v[191:192], v[195:196]
	v_div_fixup_f64 v[176:177], v[176:177], v[174:175], 1.0
	v_mul_f64 v[174:175], v[189:190], v[176:177]
	v_xor_b32_e32 v177, 0x80000000, v177
.LBB84_721:
	s_andn2_saveexec_b32 s1, s1
	s_cbranch_execz .LBB84_723
; %bb.722:
	v_div_scale_f64 v[189:190], null, v[174:175], v[174:175], v[176:177]
	v_div_scale_f64 v[195:196], vcc_lo, v[176:177], v[174:175], v[176:177]
	v_rcp_f64_e32 v[191:192], v[189:190]
	v_fma_f64 v[193:194], -v[189:190], v[191:192], 1.0
	v_fma_f64 v[191:192], v[191:192], v[193:194], v[191:192]
	v_fma_f64 v[193:194], -v[189:190], v[191:192], 1.0
	v_fma_f64 v[191:192], v[191:192], v[193:194], v[191:192]
	v_mul_f64 v[193:194], v[195:196], v[191:192]
	v_fma_f64 v[189:190], -v[189:190], v[193:194], v[195:196]
	v_div_fmas_f64 v[189:190], v[189:190], v[191:192], v[193:194]
	v_div_fixup_f64 v[189:190], v[189:190], v[174:175], v[176:177]
	v_fma_f64 v[174:175], v[176:177], v[189:190], v[174:175]
	v_div_scale_f64 v[176:177], null, v[174:175], v[174:175], 1.0
	v_rcp_f64_e32 v[191:192], v[176:177]
	v_fma_f64 v[193:194], -v[176:177], v[191:192], 1.0
	v_fma_f64 v[191:192], v[191:192], v[193:194], v[191:192]
	v_fma_f64 v[193:194], -v[176:177], v[191:192], 1.0
	v_fma_f64 v[191:192], v[191:192], v[193:194], v[191:192]
	v_div_scale_f64 v[193:194], vcc_lo, 1.0, v[174:175], 1.0
	v_mul_f64 v[195:196], v[193:194], v[191:192]
	v_fma_f64 v[176:177], -v[176:177], v[195:196], v[193:194]
	v_div_fmas_f64 v[176:177], v[176:177], v[191:192], v[195:196]
	v_div_fixup_f64 v[174:175], v[176:177], v[174:175], 1.0
	v_mul_f64 v[176:177], v[189:190], -v[174:175]
.LBB84_723:
	s_or_b32 exec_lo, exec_lo, s1
.LBB84_724:
	s_or_b32 exec_lo, exec_lo, s0
	s_mov_b32 s0, exec_lo
	v_cmpx_ne_u32_e64 v188, v182
	s_xor_b32 s0, exec_lo, s0
	s_cbranch_execz .LBB84_730
; %bb.725:
	s_mov_b32 s1, exec_lo
	v_cmpx_eq_u32_e32 34, v188
	s_cbranch_execz .LBB84_729
; %bb.726:
	v_cmp_ne_u32_e32 vcc_lo, 34, v182
	s_xor_b32 s2, s16, -1
	s_and_b32 s3, s2, vcc_lo
	s_and_saveexec_b32 s2, s3
	s_cbranch_execz .LBB84_728
; %bb.727:
	v_ashrrev_i32_e32 v183, 31, v182
	v_lshlrev_b64 v[188:189], 2, v[182:183]
	v_add_co_u32 v188, vcc_lo, v180, v188
	v_add_co_ci_u32_e64 v189, null, v181, v189, vcc_lo
	s_clause 0x1
	global_load_dword v0, v[188:189], off
	global_load_dword v183, v[180:181], off offset:136
	s_waitcnt vmcnt(1)
	global_store_dword v[180:181], v0, off offset:136
	s_waitcnt vmcnt(0)
	global_store_dword v[188:189], v183, off
.LBB84_728:
	s_or_b32 exec_lo, exec_lo, s2
	v_mov_b32_e32 v188, v182
	v_mov_b32_e32 v0, v182
.LBB84_729:
	s_or_b32 exec_lo, exec_lo, s1
.LBB84_730:
	s_andn2_saveexec_b32 s0, s0
	s_cbranch_execz .LBB84_732
; %bb.731:
	v_mov_b32_e32 v188, 34
	ds_write2_b64 v1, v[30:31], v[32:33] offset0:70 offset1:71
	ds_write2_b64 v1, v[26:27], v[28:29] offset0:72 offset1:73
	;; [unrolled: 1-line block ×8, first 2 shown]
.LBB84_732:
	s_or_b32 exec_lo, exec_lo, s0
	s_mov_b32 s0, exec_lo
	s_waitcnt lgkmcnt(0)
	s_waitcnt_vscnt null, 0x0
	s_barrier
	buffer_gl0_inv
	v_cmpx_lt_i32_e32 34, v188
	s_cbranch_execz .LBB84_734
; %bb.733:
	v_mul_f64 v[182:183], v[174:175], v[36:37]
	v_mul_f64 v[36:37], v[176:177], v[36:37]
	ds_read2_b64 v[189:192], v1 offset0:70 offset1:71
	ds_read2_b64 v[193:196], v1 offset0:72 offset1:73
	;; [unrolled: 1-line block ×8, first 2 shown]
	v_fma_f64 v[176:177], v[176:177], v[34:35], v[182:183]
	v_fma_f64 v[34:35], v[174:175], v[34:35], -v[36:37]
	s_waitcnt lgkmcnt(7)
	v_mul_f64 v[36:37], v[191:192], v[176:177]
	v_mul_f64 v[174:175], v[189:190], v[176:177]
	s_waitcnt lgkmcnt(6)
	v_mul_f64 v[182:183], v[195:196], v[176:177]
	v_mul_f64 v[221:222], v[193:194], v[176:177]
	;; [unrolled: 3-line block ×8, first 2 shown]
	v_fma_f64 v[36:37], v[189:190], v[34:35], -v[36:37]
	v_fma_f64 v[174:175], v[191:192], v[34:35], v[174:175]
	v_fma_f64 v[182:183], v[193:194], v[34:35], -v[182:183]
	v_fma_f64 v[189:190], v[195:196], v[34:35], v[221:222]
	;; [unrolled: 2-line block ×8, first 2 shown]
	v_add_f64 v[30:31], v[30:31], -v[36:37]
	v_add_f64 v[32:33], v[32:33], -v[174:175]
	v_add_f64 v[26:27], v[26:27], -v[182:183]
	v_add_f64 v[28:29], v[28:29], -v[189:190]
	v_add_f64 v[22:23], v[22:23], -v[191:192]
	v_add_f64 v[24:25], v[24:25], -v[193:194]
	v_add_f64 v[18:19], v[18:19], -v[195:196]
	v_add_f64 v[20:21], v[20:21], -v[197:198]
	v_add_f64 v[14:15], v[14:15], -v[199:200]
	v_add_f64 v[16:17], v[16:17], -v[201:202]
	v_add_f64 v[10:11], v[10:11], -v[203:204]
	v_add_f64 v[12:13], v[12:13], -v[205:206]
	v_add_f64 v[6:7], v[6:7], -v[207:208]
	v_add_f64 v[8:9], v[8:9], -v[209:210]
	v_add_f64 v[2:3], v[2:3], -v[211:212]
	v_add_f64 v[4:5], v[4:5], -v[213:214]
	v_mov_b32_e32 v36, v176
	v_mov_b32_e32 v37, v177
.LBB84_734:
	s_or_b32 exec_lo, exec_lo, s0
	v_lshl_add_u32 v174, v188, 4, v1
	s_barrier
	buffer_gl0_inv
	v_mov_b32_e32 v182, 35
	ds_write2_b64 v174, v[30:31], v[32:33] offset1:1
	s_waitcnt lgkmcnt(0)
	s_barrier
	buffer_gl0_inv
	ds_read2_b64 v[174:177], v1 offset0:70 offset1:71
	s_cmp_lt_i32 s18, 37
	s_cbranch_scc1 .LBB84_737
; %bb.735:
	v_add3_u32 v183, v184, 0, 0x240
	v_mov_b32_e32 v182, 35
	s_mov_b32 s1, 36
	s_inst_prefetch 0x1
	.p2align	6
.LBB84_736:                             ; =>This Inner Loop Header: Depth=1
	s_waitcnt lgkmcnt(0)
	v_cmp_gt_f64_e32 vcc_lo, 0, v[176:177]
	v_cmp_gt_f64_e64 s0, 0, v[174:175]
	ds_read2_b64 v[189:192], v183 offset1:1
	v_xor_b32_e32 v194, 0x80000000, v175
	v_xor_b32_e32 v196, 0x80000000, v177
	v_mov_b32_e32 v193, v174
	v_mov_b32_e32 v195, v176
	v_add_nc_u32_e32 v183, 16, v183
	s_waitcnt lgkmcnt(0)
	v_xor_b32_e32 v198, 0x80000000, v192
	v_cndmask_b32_e64 v194, v175, v194, s0
	v_cndmask_b32_e32 v196, v177, v196, vcc_lo
	v_cmp_gt_f64_e32 vcc_lo, 0, v[191:192]
	v_cmp_gt_f64_e64 s0, 0, v[189:190]
	v_mov_b32_e32 v197, v191
	v_add_f64 v[193:194], v[193:194], v[195:196]
	v_xor_b32_e32 v196, 0x80000000, v190
	v_mov_b32_e32 v195, v189
	v_cndmask_b32_e32 v198, v192, v198, vcc_lo
	v_cndmask_b32_e64 v196, v190, v196, s0
	v_add_f64 v[195:196], v[195:196], v[197:198]
	v_cmp_lt_f64_e32 vcc_lo, v[193:194], v[195:196]
	v_cndmask_b32_e32 v175, v175, v190, vcc_lo
	v_cndmask_b32_e32 v174, v174, v189, vcc_lo
	;; [unrolled: 1-line block ×4, first 2 shown]
	v_cndmask_b32_e64 v182, v182, s1, vcc_lo
	s_add_i32 s1, s1, 1
	s_cmp_lg_u32 s18, s1
	s_cbranch_scc1 .LBB84_736
.LBB84_737:
	s_inst_prefetch 0x2
	s_waitcnt lgkmcnt(0)
	v_cmp_eq_f64_e32 vcc_lo, 0, v[174:175]
	v_cmp_eq_f64_e64 s0, 0, v[176:177]
	s_and_b32 s0, vcc_lo, s0
	s_and_saveexec_b32 s1, s0
	s_xor_b32 s0, exec_lo, s1
; %bb.738:
	v_cmp_ne_u32_e32 vcc_lo, 0, v187
	v_cndmask_b32_e32 v187, 36, v187, vcc_lo
; %bb.739:
	s_andn2_saveexec_b32 s0, s0
	s_cbranch_execz .LBB84_745
; %bb.740:
	v_cmp_ngt_f64_e64 s1, |v[174:175]|, |v[176:177]|
	s_and_saveexec_b32 s2, s1
	s_xor_b32 s1, exec_lo, s2
	s_cbranch_execz .LBB84_742
; %bb.741:
	v_div_scale_f64 v[189:190], null, v[176:177], v[176:177], v[174:175]
	v_div_scale_f64 v[195:196], vcc_lo, v[174:175], v[176:177], v[174:175]
	v_rcp_f64_e32 v[191:192], v[189:190]
	v_fma_f64 v[193:194], -v[189:190], v[191:192], 1.0
	v_fma_f64 v[191:192], v[191:192], v[193:194], v[191:192]
	v_fma_f64 v[193:194], -v[189:190], v[191:192], 1.0
	v_fma_f64 v[191:192], v[191:192], v[193:194], v[191:192]
	v_mul_f64 v[193:194], v[195:196], v[191:192]
	v_fma_f64 v[189:190], -v[189:190], v[193:194], v[195:196]
	v_div_fmas_f64 v[189:190], v[189:190], v[191:192], v[193:194]
	v_div_fixup_f64 v[189:190], v[189:190], v[176:177], v[174:175]
	v_fma_f64 v[174:175], v[174:175], v[189:190], v[176:177]
	v_div_scale_f64 v[176:177], null, v[174:175], v[174:175], 1.0
	v_rcp_f64_e32 v[191:192], v[176:177]
	v_fma_f64 v[193:194], -v[176:177], v[191:192], 1.0
	v_fma_f64 v[191:192], v[191:192], v[193:194], v[191:192]
	v_fma_f64 v[193:194], -v[176:177], v[191:192], 1.0
	v_fma_f64 v[191:192], v[191:192], v[193:194], v[191:192]
	v_div_scale_f64 v[193:194], vcc_lo, 1.0, v[174:175], 1.0
	v_mul_f64 v[195:196], v[193:194], v[191:192]
	v_fma_f64 v[176:177], -v[176:177], v[195:196], v[193:194]
	v_div_fmas_f64 v[176:177], v[176:177], v[191:192], v[195:196]
	v_div_fixup_f64 v[176:177], v[176:177], v[174:175], 1.0
	v_mul_f64 v[174:175], v[189:190], v[176:177]
	v_xor_b32_e32 v177, 0x80000000, v177
.LBB84_742:
	s_andn2_saveexec_b32 s1, s1
	s_cbranch_execz .LBB84_744
; %bb.743:
	v_div_scale_f64 v[189:190], null, v[174:175], v[174:175], v[176:177]
	v_div_scale_f64 v[195:196], vcc_lo, v[176:177], v[174:175], v[176:177]
	v_rcp_f64_e32 v[191:192], v[189:190]
	v_fma_f64 v[193:194], -v[189:190], v[191:192], 1.0
	v_fma_f64 v[191:192], v[191:192], v[193:194], v[191:192]
	v_fma_f64 v[193:194], -v[189:190], v[191:192], 1.0
	v_fma_f64 v[191:192], v[191:192], v[193:194], v[191:192]
	v_mul_f64 v[193:194], v[195:196], v[191:192]
	v_fma_f64 v[189:190], -v[189:190], v[193:194], v[195:196]
	v_div_fmas_f64 v[189:190], v[189:190], v[191:192], v[193:194]
	v_div_fixup_f64 v[189:190], v[189:190], v[174:175], v[176:177]
	v_fma_f64 v[174:175], v[176:177], v[189:190], v[174:175]
	v_div_scale_f64 v[176:177], null, v[174:175], v[174:175], 1.0
	v_rcp_f64_e32 v[191:192], v[176:177]
	v_fma_f64 v[193:194], -v[176:177], v[191:192], 1.0
	v_fma_f64 v[191:192], v[191:192], v[193:194], v[191:192]
	v_fma_f64 v[193:194], -v[176:177], v[191:192], 1.0
	v_fma_f64 v[191:192], v[191:192], v[193:194], v[191:192]
	v_div_scale_f64 v[193:194], vcc_lo, 1.0, v[174:175], 1.0
	v_mul_f64 v[195:196], v[193:194], v[191:192]
	v_fma_f64 v[176:177], -v[176:177], v[195:196], v[193:194]
	v_div_fmas_f64 v[176:177], v[176:177], v[191:192], v[195:196]
	v_div_fixup_f64 v[174:175], v[176:177], v[174:175], 1.0
	v_mul_f64 v[176:177], v[189:190], -v[174:175]
.LBB84_744:
	s_or_b32 exec_lo, exec_lo, s1
.LBB84_745:
	s_or_b32 exec_lo, exec_lo, s0
	s_mov_b32 s0, exec_lo
	v_cmpx_ne_u32_e64 v188, v182
	s_xor_b32 s0, exec_lo, s0
	s_cbranch_execz .LBB84_751
; %bb.746:
	s_mov_b32 s1, exec_lo
	v_cmpx_eq_u32_e32 35, v188
	s_cbranch_execz .LBB84_750
; %bb.747:
	v_cmp_ne_u32_e32 vcc_lo, 35, v182
	s_xor_b32 s2, s16, -1
	s_and_b32 s3, s2, vcc_lo
	s_and_saveexec_b32 s2, s3
	s_cbranch_execz .LBB84_749
; %bb.748:
	v_ashrrev_i32_e32 v183, 31, v182
	v_lshlrev_b64 v[188:189], 2, v[182:183]
	v_add_co_u32 v188, vcc_lo, v180, v188
	v_add_co_ci_u32_e64 v189, null, v181, v189, vcc_lo
	s_clause 0x1
	global_load_dword v0, v[188:189], off
	global_load_dword v183, v[180:181], off offset:140
	s_waitcnt vmcnt(1)
	global_store_dword v[180:181], v0, off offset:140
	s_waitcnt vmcnt(0)
	global_store_dword v[188:189], v183, off
.LBB84_749:
	s_or_b32 exec_lo, exec_lo, s2
	v_mov_b32_e32 v188, v182
	v_mov_b32_e32 v0, v182
.LBB84_750:
	s_or_b32 exec_lo, exec_lo, s1
.LBB84_751:
	s_andn2_saveexec_b32 s0, s0
	s_cbranch_execz .LBB84_753
; %bb.752:
	v_mov_b32_e32 v188, 35
	ds_write2_b64 v1, v[26:27], v[28:29] offset0:72 offset1:73
	ds_write2_b64 v1, v[22:23], v[24:25] offset0:74 offset1:75
	;; [unrolled: 1-line block ×7, first 2 shown]
.LBB84_753:
	s_or_b32 exec_lo, exec_lo, s0
	s_mov_b32 s0, exec_lo
	s_waitcnt lgkmcnt(0)
	s_waitcnt_vscnt null, 0x0
	s_barrier
	buffer_gl0_inv
	v_cmpx_lt_i32_e32 35, v188
	s_cbranch_execz .LBB84_755
; %bb.754:
	v_mul_f64 v[182:183], v[174:175], v[32:33]
	v_mul_f64 v[32:33], v[176:177], v[32:33]
	ds_read2_b64 v[189:192], v1 offset0:72 offset1:73
	ds_read2_b64 v[193:196], v1 offset0:74 offset1:75
	ds_read2_b64 v[197:200], v1 offset0:76 offset1:77
	ds_read2_b64 v[201:204], v1 offset0:78 offset1:79
	ds_read2_b64 v[205:208], v1 offset0:80 offset1:81
	ds_read2_b64 v[209:212], v1 offset0:82 offset1:83
	ds_read2_b64 v[213:216], v1 offset0:84 offset1:85
	v_fma_f64 v[176:177], v[176:177], v[30:31], v[182:183]
	v_fma_f64 v[30:31], v[174:175], v[30:31], -v[32:33]
	s_waitcnt lgkmcnt(6)
	v_mul_f64 v[32:33], v[191:192], v[176:177]
	v_mul_f64 v[174:175], v[189:190], v[176:177]
	s_waitcnt lgkmcnt(5)
	v_mul_f64 v[182:183], v[195:196], v[176:177]
	v_mul_f64 v[217:218], v[193:194], v[176:177]
	;; [unrolled: 3-line block ×7, first 2 shown]
	v_fma_f64 v[32:33], v[189:190], v[30:31], -v[32:33]
	v_fma_f64 v[174:175], v[191:192], v[30:31], v[174:175]
	v_fma_f64 v[182:183], v[193:194], v[30:31], -v[182:183]
	v_fma_f64 v[189:190], v[195:196], v[30:31], v[217:218]
	;; [unrolled: 2-line block ×7, first 2 shown]
	v_add_f64 v[26:27], v[26:27], -v[32:33]
	v_add_f64 v[28:29], v[28:29], -v[174:175]
	;; [unrolled: 1-line block ×14, first 2 shown]
	v_mov_b32_e32 v32, v176
	v_mov_b32_e32 v33, v177
.LBB84_755:
	s_or_b32 exec_lo, exec_lo, s0
	v_lshl_add_u32 v174, v188, 4, v1
	s_barrier
	buffer_gl0_inv
	v_mov_b32_e32 v182, 36
	ds_write2_b64 v174, v[26:27], v[28:29] offset1:1
	s_waitcnt lgkmcnt(0)
	s_barrier
	buffer_gl0_inv
	ds_read2_b64 v[174:177], v1 offset0:72 offset1:73
	s_cmp_lt_i32 s18, 38
	s_cbranch_scc1 .LBB84_758
; %bb.756:
	v_add3_u32 v183, v184, 0, 0x250
	v_mov_b32_e32 v182, 36
	s_mov_b32 s1, 37
	s_inst_prefetch 0x1
	.p2align	6
.LBB84_757:                             ; =>This Inner Loop Header: Depth=1
	s_waitcnt lgkmcnt(0)
	v_cmp_gt_f64_e32 vcc_lo, 0, v[176:177]
	v_cmp_gt_f64_e64 s0, 0, v[174:175]
	ds_read2_b64 v[189:192], v183 offset1:1
	v_xor_b32_e32 v194, 0x80000000, v175
	v_xor_b32_e32 v196, 0x80000000, v177
	v_mov_b32_e32 v193, v174
	v_mov_b32_e32 v195, v176
	v_add_nc_u32_e32 v183, 16, v183
	s_waitcnt lgkmcnt(0)
	v_xor_b32_e32 v198, 0x80000000, v192
	v_cndmask_b32_e64 v194, v175, v194, s0
	v_cndmask_b32_e32 v196, v177, v196, vcc_lo
	v_cmp_gt_f64_e32 vcc_lo, 0, v[191:192]
	v_cmp_gt_f64_e64 s0, 0, v[189:190]
	v_mov_b32_e32 v197, v191
	v_add_f64 v[193:194], v[193:194], v[195:196]
	v_xor_b32_e32 v196, 0x80000000, v190
	v_mov_b32_e32 v195, v189
	v_cndmask_b32_e32 v198, v192, v198, vcc_lo
	v_cndmask_b32_e64 v196, v190, v196, s0
	v_add_f64 v[195:196], v[195:196], v[197:198]
	v_cmp_lt_f64_e32 vcc_lo, v[193:194], v[195:196]
	v_cndmask_b32_e32 v175, v175, v190, vcc_lo
	v_cndmask_b32_e32 v174, v174, v189, vcc_lo
	;; [unrolled: 1-line block ×4, first 2 shown]
	v_cndmask_b32_e64 v182, v182, s1, vcc_lo
	s_add_i32 s1, s1, 1
	s_cmp_lg_u32 s18, s1
	s_cbranch_scc1 .LBB84_757
.LBB84_758:
	s_inst_prefetch 0x2
	s_waitcnt lgkmcnt(0)
	v_cmp_eq_f64_e32 vcc_lo, 0, v[174:175]
	v_cmp_eq_f64_e64 s0, 0, v[176:177]
	s_and_b32 s0, vcc_lo, s0
	s_and_saveexec_b32 s1, s0
	s_xor_b32 s0, exec_lo, s1
; %bb.759:
	v_cmp_ne_u32_e32 vcc_lo, 0, v187
	v_cndmask_b32_e32 v187, 37, v187, vcc_lo
; %bb.760:
	s_andn2_saveexec_b32 s0, s0
	s_cbranch_execz .LBB84_766
; %bb.761:
	v_cmp_ngt_f64_e64 s1, |v[174:175]|, |v[176:177]|
	s_and_saveexec_b32 s2, s1
	s_xor_b32 s1, exec_lo, s2
	s_cbranch_execz .LBB84_763
; %bb.762:
	v_div_scale_f64 v[189:190], null, v[176:177], v[176:177], v[174:175]
	v_div_scale_f64 v[195:196], vcc_lo, v[174:175], v[176:177], v[174:175]
	v_rcp_f64_e32 v[191:192], v[189:190]
	v_fma_f64 v[193:194], -v[189:190], v[191:192], 1.0
	v_fma_f64 v[191:192], v[191:192], v[193:194], v[191:192]
	v_fma_f64 v[193:194], -v[189:190], v[191:192], 1.0
	v_fma_f64 v[191:192], v[191:192], v[193:194], v[191:192]
	v_mul_f64 v[193:194], v[195:196], v[191:192]
	v_fma_f64 v[189:190], -v[189:190], v[193:194], v[195:196]
	v_div_fmas_f64 v[189:190], v[189:190], v[191:192], v[193:194]
	v_div_fixup_f64 v[189:190], v[189:190], v[176:177], v[174:175]
	v_fma_f64 v[174:175], v[174:175], v[189:190], v[176:177]
	v_div_scale_f64 v[176:177], null, v[174:175], v[174:175], 1.0
	v_rcp_f64_e32 v[191:192], v[176:177]
	v_fma_f64 v[193:194], -v[176:177], v[191:192], 1.0
	v_fma_f64 v[191:192], v[191:192], v[193:194], v[191:192]
	v_fma_f64 v[193:194], -v[176:177], v[191:192], 1.0
	v_fma_f64 v[191:192], v[191:192], v[193:194], v[191:192]
	v_div_scale_f64 v[193:194], vcc_lo, 1.0, v[174:175], 1.0
	v_mul_f64 v[195:196], v[193:194], v[191:192]
	v_fma_f64 v[176:177], -v[176:177], v[195:196], v[193:194]
	v_div_fmas_f64 v[176:177], v[176:177], v[191:192], v[195:196]
	v_div_fixup_f64 v[176:177], v[176:177], v[174:175], 1.0
	v_mul_f64 v[174:175], v[189:190], v[176:177]
	v_xor_b32_e32 v177, 0x80000000, v177
.LBB84_763:
	s_andn2_saveexec_b32 s1, s1
	s_cbranch_execz .LBB84_765
; %bb.764:
	v_div_scale_f64 v[189:190], null, v[174:175], v[174:175], v[176:177]
	v_div_scale_f64 v[195:196], vcc_lo, v[176:177], v[174:175], v[176:177]
	v_rcp_f64_e32 v[191:192], v[189:190]
	v_fma_f64 v[193:194], -v[189:190], v[191:192], 1.0
	v_fma_f64 v[191:192], v[191:192], v[193:194], v[191:192]
	v_fma_f64 v[193:194], -v[189:190], v[191:192], 1.0
	v_fma_f64 v[191:192], v[191:192], v[193:194], v[191:192]
	v_mul_f64 v[193:194], v[195:196], v[191:192]
	v_fma_f64 v[189:190], -v[189:190], v[193:194], v[195:196]
	v_div_fmas_f64 v[189:190], v[189:190], v[191:192], v[193:194]
	v_div_fixup_f64 v[189:190], v[189:190], v[174:175], v[176:177]
	v_fma_f64 v[174:175], v[176:177], v[189:190], v[174:175]
	v_div_scale_f64 v[176:177], null, v[174:175], v[174:175], 1.0
	v_rcp_f64_e32 v[191:192], v[176:177]
	v_fma_f64 v[193:194], -v[176:177], v[191:192], 1.0
	v_fma_f64 v[191:192], v[191:192], v[193:194], v[191:192]
	v_fma_f64 v[193:194], -v[176:177], v[191:192], 1.0
	v_fma_f64 v[191:192], v[191:192], v[193:194], v[191:192]
	v_div_scale_f64 v[193:194], vcc_lo, 1.0, v[174:175], 1.0
	v_mul_f64 v[195:196], v[193:194], v[191:192]
	v_fma_f64 v[176:177], -v[176:177], v[195:196], v[193:194]
	v_div_fmas_f64 v[176:177], v[176:177], v[191:192], v[195:196]
	v_div_fixup_f64 v[174:175], v[176:177], v[174:175], 1.0
	v_mul_f64 v[176:177], v[189:190], -v[174:175]
.LBB84_765:
	s_or_b32 exec_lo, exec_lo, s1
.LBB84_766:
	s_or_b32 exec_lo, exec_lo, s0
	s_mov_b32 s0, exec_lo
	v_cmpx_ne_u32_e64 v188, v182
	s_xor_b32 s0, exec_lo, s0
	s_cbranch_execz .LBB84_772
; %bb.767:
	s_mov_b32 s1, exec_lo
	v_cmpx_eq_u32_e32 36, v188
	s_cbranch_execz .LBB84_771
; %bb.768:
	v_cmp_ne_u32_e32 vcc_lo, 36, v182
	s_xor_b32 s2, s16, -1
	s_and_b32 s3, s2, vcc_lo
	s_and_saveexec_b32 s2, s3
	s_cbranch_execz .LBB84_770
; %bb.769:
	v_ashrrev_i32_e32 v183, 31, v182
	v_lshlrev_b64 v[188:189], 2, v[182:183]
	v_add_co_u32 v188, vcc_lo, v180, v188
	v_add_co_ci_u32_e64 v189, null, v181, v189, vcc_lo
	s_clause 0x1
	global_load_dword v0, v[188:189], off
	global_load_dword v183, v[180:181], off offset:144
	s_waitcnt vmcnt(1)
	global_store_dword v[180:181], v0, off offset:144
	s_waitcnt vmcnt(0)
	global_store_dword v[188:189], v183, off
.LBB84_770:
	s_or_b32 exec_lo, exec_lo, s2
	v_mov_b32_e32 v188, v182
	v_mov_b32_e32 v0, v182
.LBB84_771:
	s_or_b32 exec_lo, exec_lo, s1
.LBB84_772:
	s_andn2_saveexec_b32 s0, s0
	s_cbranch_execz .LBB84_774
; %bb.773:
	v_mov_b32_e32 v188, 36
	ds_write2_b64 v1, v[22:23], v[24:25] offset0:74 offset1:75
	ds_write2_b64 v1, v[18:19], v[20:21] offset0:76 offset1:77
	;; [unrolled: 1-line block ×6, first 2 shown]
.LBB84_774:
	s_or_b32 exec_lo, exec_lo, s0
	s_mov_b32 s0, exec_lo
	s_waitcnt lgkmcnt(0)
	s_waitcnt_vscnt null, 0x0
	s_barrier
	buffer_gl0_inv
	v_cmpx_lt_i32_e32 36, v188
	s_cbranch_execz .LBB84_776
; %bb.775:
	v_mul_f64 v[182:183], v[174:175], v[28:29]
	v_mul_f64 v[28:29], v[176:177], v[28:29]
	ds_read2_b64 v[189:192], v1 offset0:74 offset1:75
	ds_read2_b64 v[193:196], v1 offset0:76 offset1:77
	;; [unrolled: 1-line block ×6, first 2 shown]
	v_fma_f64 v[176:177], v[176:177], v[26:27], v[182:183]
	v_fma_f64 v[26:27], v[174:175], v[26:27], -v[28:29]
	s_waitcnt lgkmcnt(5)
	v_mul_f64 v[28:29], v[191:192], v[176:177]
	v_mul_f64 v[174:175], v[189:190], v[176:177]
	s_waitcnt lgkmcnt(4)
	v_mul_f64 v[182:183], v[195:196], v[176:177]
	v_mul_f64 v[213:214], v[193:194], v[176:177]
	;; [unrolled: 3-line block ×6, first 2 shown]
	v_fma_f64 v[28:29], v[189:190], v[26:27], -v[28:29]
	v_fma_f64 v[174:175], v[191:192], v[26:27], v[174:175]
	v_fma_f64 v[182:183], v[193:194], v[26:27], -v[182:183]
	v_fma_f64 v[189:190], v[195:196], v[26:27], v[213:214]
	v_fma_f64 v[191:192], v[197:198], v[26:27], -v[215:216]
	v_fma_f64 v[193:194], v[199:200], v[26:27], v[217:218]
	v_fma_f64 v[195:196], v[201:202], v[26:27], -v[219:220]
	v_fma_f64 v[197:198], v[203:204], v[26:27], v[221:222]
	v_fma_f64 v[199:200], v[205:206], v[26:27], -v[223:224]
	v_fma_f64 v[201:202], v[207:208], v[26:27], v[225:226]
	v_fma_f64 v[203:204], v[209:210], v[26:27], -v[227:228]
	v_fma_f64 v[205:206], v[211:212], v[26:27], v[229:230]
	v_add_f64 v[22:23], v[22:23], -v[28:29]
	v_add_f64 v[24:25], v[24:25], -v[174:175]
	;; [unrolled: 1-line block ×12, first 2 shown]
	v_mov_b32_e32 v28, v176
	v_mov_b32_e32 v29, v177
.LBB84_776:
	s_or_b32 exec_lo, exec_lo, s0
	v_lshl_add_u32 v174, v188, 4, v1
	s_barrier
	buffer_gl0_inv
	v_mov_b32_e32 v182, 37
	ds_write2_b64 v174, v[22:23], v[24:25] offset1:1
	s_waitcnt lgkmcnt(0)
	s_barrier
	buffer_gl0_inv
	ds_read2_b64 v[174:177], v1 offset0:74 offset1:75
	s_cmp_lt_i32 s18, 39
	s_cbranch_scc1 .LBB84_779
; %bb.777:
	v_add3_u32 v183, v184, 0, 0x260
	v_mov_b32_e32 v182, 37
	s_mov_b32 s1, 38
	s_inst_prefetch 0x1
	.p2align	6
.LBB84_778:                             ; =>This Inner Loop Header: Depth=1
	s_waitcnt lgkmcnt(0)
	v_cmp_gt_f64_e32 vcc_lo, 0, v[176:177]
	v_cmp_gt_f64_e64 s0, 0, v[174:175]
	ds_read2_b64 v[189:192], v183 offset1:1
	v_xor_b32_e32 v194, 0x80000000, v175
	v_xor_b32_e32 v196, 0x80000000, v177
	v_mov_b32_e32 v193, v174
	v_mov_b32_e32 v195, v176
	v_add_nc_u32_e32 v183, 16, v183
	s_waitcnt lgkmcnt(0)
	v_xor_b32_e32 v198, 0x80000000, v192
	v_cndmask_b32_e64 v194, v175, v194, s0
	v_cndmask_b32_e32 v196, v177, v196, vcc_lo
	v_cmp_gt_f64_e32 vcc_lo, 0, v[191:192]
	v_cmp_gt_f64_e64 s0, 0, v[189:190]
	v_mov_b32_e32 v197, v191
	v_add_f64 v[193:194], v[193:194], v[195:196]
	v_xor_b32_e32 v196, 0x80000000, v190
	v_mov_b32_e32 v195, v189
	v_cndmask_b32_e32 v198, v192, v198, vcc_lo
	v_cndmask_b32_e64 v196, v190, v196, s0
	v_add_f64 v[195:196], v[195:196], v[197:198]
	v_cmp_lt_f64_e32 vcc_lo, v[193:194], v[195:196]
	v_cndmask_b32_e32 v175, v175, v190, vcc_lo
	v_cndmask_b32_e32 v174, v174, v189, vcc_lo
	;; [unrolled: 1-line block ×4, first 2 shown]
	v_cndmask_b32_e64 v182, v182, s1, vcc_lo
	s_add_i32 s1, s1, 1
	s_cmp_lg_u32 s18, s1
	s_cbranch_scc1 .LBB84_778
.LBB84_779:
	s_inst_prefetch 0x2
	s_waitcnt lgkmcnt(0)
	v_cmp_eq_f64_e32 vcc_lo, 0, v[174:175]
	v_cmp_eq_f64_e64 s0, 0, v[176:177]
	s_and_b32 s0, vcc_lo, s0
	s_and_saveexec_b32 s1, s0
	s_xor_b32 s0, exec_lo, s1
; %bb.780:
	v_cmp_ne_u32_e32 vcc_lo, 0, v187
	v_cndmask_b32_e32 v187, 38, v187, vcc_lo
; %bb.781:
	s_andn2_saveexec_b32 s0, s0
	s_cbranch_execz .LBB84_787
; %bb.782:
	v_cmp_ngt_f64_e64 s1, |v[174:175]|, |v[176:177]|
	s_and_saveexec_b32 s2, s1
	s_xor_b32 s1, exec_lo, s2
	s_cbranch_execz .LBB84_784
; %bb.783:
	v_div_scale_f64 v[189:190], null, v[176:177], v[176:177], v[174:175]
	v_div_scale_f64 v[195:196], vcc_lo, v[174:175], v[176:177], v[174:175]
	v_rcp_f64_e32 v[191:192], v[189:190]
	v_fma_f64 v[193:194], -v[189:190], v[191:192], 1.0
	v_fma_f64 v[191:192], v[191:192], v[193:194], v[191:192]
	v_fma_f64 v[193:194], -v[189:190], v[191:192], 1.0
	v_fma_f64 v[191:192], v[191:192], v[193:194], v[191:192]
	v_mul_f64 v[193:194], v[195:196], v[191:192]
	v_fma_f64 v[189:190], -v[189:190], v[193:194], v[195:196]
	v_div_fmas_f64 v[189:190], v[189:190], v[191:192], v[193:194]
	v_div_fixup_f64 v[189:190], v[189:190], v[176:177], v[174:175]
	v_fma_f64 v[174:175], v[174:175], v[189:190], v[176:177]
	v_div_scale_f64 v[176:177], null, v[174:175], v[174:175], 1.0
	v_rcp_f64_e32 v[191:192], v[176:177]
	v_fma_f64 v[193:194], -v[176:177], v[191:192], 1.0
	v_fma_f64 v[191:192], v[191:192], v[193:194], v[191:192]
	v_fma_f64 v[193:194], -v[176:177], v[191:192], 1.0
	v_fma_f64 v[191:192], v[191:192], v[193:194], v[191:192]
	v_div_scale_f64 v[193:194], vcc_lo, 1.0, v[174:175], 1.0
	v_mul_f64 v[195:196], v[193:194], v[191:192]
	v_fma_f64 v[176:177], -v[176:177], v[195:196], v[193:194]
	v_div_fmas_f64 v[176:177], v[176:177], v[191:192], v[195:196]
	v_div_fixup_f64 v[176:177], v[176:177], v[174:175], 1.0
	v_mul_f64 v[174:175], v[189:190], v[176:177]
	v_xor_b32_e32 v177, 0x80000000, v177
.LBB84_784:
	s_andn2_saveexec_b32 s1, s1
	s_cbranch_execz .LBB84_786
; %bb.785:
	v_div_scale_f64 v[189:190], null, v[174:175], v[174:175], v[176:177]
	v_div_scale_f64 v[195:196], vcc_lo, v[176:177], v[174:175], v[176:177]
	v_rcp_f64_e32 v[191:192], v[189:190]
	v_fma_f64 v[193:194], -v[189:190], v[191:192], 1.0
	v_fma_f64 v[191:192], v[191:192], v[193:194], v[191:192]
	v_fma_f64 v[193:194], -v[189:190], v[191:192], 1.0
	v_fma_f64 v[191:192], v[191:192], v[193:194], v[191:192]
	v_mul_f64 v[193:194], v[195:196], v[191:192]
	v_fma_f64 v[189:190], -v[189:190], v[193:194], v[195:196]
	v_div_fmas_f64 v[189:190], v[189:190], v[191:192], v[193:194]
	v_div_fixup_f64 v[189:190], v[189:190], v[174:175], v[176:177]
	v_fma_f64 v[174:175], v[176:177], v[189:190], v[174:175]
	v_div_scale_f64 v[176:177], null, v[174:175], v[174:175], 1.0
	v_rcp_f64_e32 v[191:192], v[176:177]
	v_fma_f64 v[193:194], -v[176:177], v[191:192], 1.0
	v_fma_f64 v[191:192], v[191:192], v[193:194], v[191:192]
	v_fma_f64 v[193:194], -v[176:177], v[191:192], 1.0
	v_fma_f64 v[191:192], v[191:192], v[193:194], v[191:192]
	v_div_scale_f64 v[193:194], vcc_lo, 1.0, v[174:175], 1.0
	v_mul_f64 v[195:196], v[193:194], v[191:192]
	v_fma_f64 v[176:177], -v[176:177], v[195:196], v[193:194]
	v_div_fmas_f64 v[176:177], v[176:177], v[191:192], v[195:196]
	v_div_fixup_f64 v[174:175], v[176:177], v[174:175], 1.0
	v_mul_f64 v[176:177], v[189:190], -v[174:175]
.LBB84_786:
	s_or_b32 exec_lo, exec_lo, s1
.LBB84_787:
	s_or_b32 exec_lo, exec_lo, s0
	s_mov_b32 s0, exec_lo
	v_cmpx_ne_u32_e64 v188, v182
	s_xor_b32 s0, exec_lo, s0
	s_cbranch_execz .LBB84_793
; %bb.788:
	s_mov_b32 s1, exec_lo
	v_cmpx_eq_u32_e32 37, v188
	s_cbranch_execz .LBB84_792
; %bb.789:
	v_cmp_ne_u32_e32 vcc_lo, 37, v182
	s_xor_b32 s2, s16, -1
	s_and_b32 s3, s2, vcc_lo
	s_and_saveexec_b32 s2, s3
	s_cbranch_execz .LBB84_791
; %bb.790:
	v_ashrrev_i32_e32 v183, 31, v182
	v_lshlrev_b64 v[188:189], 2, v[182:183]
	v_add_co_u32 v188, vcc_lo, v180, v188
	v_add_co_ci_u32_e64 v189, null, v181, v189, vcc_lo
	s_clause 0x1
	global_load_dword v0, v[188:189], off
	global_load_dword v183, v[180:181], off offset:148
	s_waitcnt vmcnt(1)
	global_store_dword v[180:181], v0, off offset:148
	s_waitcnt vmcnt(0)
	global_store_dword v[188:189], v183, off
.LBB84_791:
	s_or_b32 exec_lo, exec_lo, s2
	v_mov_b32_e32 v188, v182
	v_mov_b32_e32 v0, v182
.LBB84_792:
	s_or_b32 exec_lo, exec_lo, s1
.LBB84_793:
	s_andn2_saveexec_b32 s0, s0
	s_cbranch_execz .LBB84_795
; %bb.794:
	v_mov_b32_e32 v188, 37
	ds_write2_b64 v1, v[18:19], v[20:21] offset0:76 offset1:77
	ds_write2_b64 v1, v[14:15], v[16:17] offset0:78 offset1:79
	;; [unrolled: 1-line block ×5, first 2 shown]
.LBB84_795:
	s_or_b32 exec_lo, exec_lo, s0
	s_mov_b32 s0, exec_lo
	s_waitcnt lgkmcnt(0)
	s_waitcnt_vscnt null, 0x0
	s_barrier
	buffer_gl0_inv
	v_cmpx_lt_i32_e32 37, v188
	s_cbranch_execz .LBB84_797
; %bb.796:
	v_mul_f64 v[182:183], v[174:175], v[24:25]
	v_mul_f64 v[24:25], v[176:177], v[24:25]
	ds_read2_b64 v[189:192], v1 offset0:76 offset1:77
	ds_read2_b64 v[193:196], v1 offset0:78 offset1:79
	;; [unrolled: 1-line block ×5, first 2 shown]
	v_fma_f64 v[176:177], v[176:177], v[22:23], v[182:183]
	v_fma_f64 v[22:23], v[174:175], v[22:23], -v[24:25]
	s_waitcnt lgkmcnt(4)
	v_mul_f64 v[24:25], v[191:192], v[176:177]
	v_mul_f64 v[174:175], v[189:190], v[176:177]
	s_waitcnt lgkmcnt(3)
	v_mul_f64 v[182:183], v[195:196], v[176:177]
	v_mul_f64 v[209:210], v[193:194], v[176:177]
	;; [unrolled: 3-line block ×5, first 2 shown]
	v_fma_f64 v[24:25], v[189:190], v[22:23], -v[24:25]
	v_fma_f64 v[174:175], v[191:192], v[22:23], v[174:175]
	v_fma_f64 v[182:183], v[193:194], v[22:23], -v[182:183]
	v_fma_f64 v[189:190], v[195:196], v[22:23], v[209:210]
	;; [unrolled: 2-line block ×5, first 2 shown]
	v_add_f64 v[18:19], v[18:19], -v[24:25]
	v_add_f64 v[20:21], v[20:21], -v[174:175]
	;; [unrolled: 1-line block ×10, first 2 shown]
	v_mov_b32_e32 v24, v176
	v_mov_b32_e32 v25, v177
.LBB84_797:
	s_or_b32 exec_lo, exec_lo, s0
	v_lshl_add_u32 v174, v188, 4, v1
	s_barrier
	buffer_gl0_inv
	v_mov_b32_e32 v182, 38
	ds_write2_b64 v174, v[18:19], v[20:21] offset1:1
	s_waitcnt lgkmcnt(0)
	s_barrier
	buffer_gl0_inv
	ds_read2_b64 v[174:177], v1 offset0:76 offset1:77
	s_cmp_lt_i32 s18, 40
	s_cbranch_scc1 .LBB84_800
; %bb.798:
	v_add3_u32 v183, v184, 0, 0x270
	v_mov_b32_e32 v182, 38
	s_mov_b32 s1, 39
	s_inst_prefetch 0x1
	.p2align	6
.LBB84_799:                             ; =>This Inner Loop Header: Depth=1
	s_waitcnt lgkmcnt(0)
	v_cmp_gt_f64_e32 vcc_lo, 0, v[176:177]
	v_cmp_gt_f64_e64 s0, 0, v[174:175]
	ds_read2_b64 v[189:192], v183 offset1:1
	v_xor_b32_e32 v194, 0x80000000, v175
	v_xor_b32_e32 v196, 0x80000000, v177
	v_mov_b32_e32 v193, v174
	v_mov_b32_e32 v195, v176
	v_add_nc_u32_e32 v183, 16, v183
	s_waitcnt lgkmcnt(0)
	v_xor_b32_e32 v198, 0x80000000, v192
	v_cndmask_b32_e64 v194, v175, v194, s0
	v_cndmask_b32_e32 v196, v177, v196, vcc_lo
	v_cmp_gt_f64_e32 vcc_lo, 0, v[191:192]
	v_cmp_gt_f64_e64 s0, 0, v[189:190]
	v_mov_b32_e32 v197, v191
	v_add_f64 v[193:194], v[193:194], v[195:196]
	v_xor_b32_e32 v196, 0x80000000, v190
	v_mov_b32_e32 v195, v189
	v_cndmask_b32_e32 v198, v192, v198, vcc_lo
	v_cndmask_b32_e64 v196, v190, v196, s0
	v_add_f64 v[195:196], v[195:196], v[197:198]
	v_cmp_lt_f64_e32 vcc_lo, v[193:194], v[195:196]
	v_cndmask_b32_e32 v175, v175, v190, vcc_lo
	v_cndmask_b32_e32 v174, v174, v189, vcc_lo
	;; [unrolled: 1-line block ×4, first 2 shown]
	v_cndmask_b32_e64 v182, v182, s1, vcc_lo
	s_add_i32 s1, s1, 1
	s_cmp_lg_u32 s18, s1
	s_cbranch_scc1 .LBB84_799
.LBB84_800:
	s_inst_prefetch 0x2
	s_waitcnt lgkmcnt(0)
	v_cmp_eq_f64_e32 vcc_lo, 0, v[174:175]
	v_cmp_eq_f64_e64 s0, 0, v[176:177]
	s_and_b32 s0, vcc_lo, s0
	s_and_saveexec_b32 s1, s0
	s_xor_b32 s0, exec_lo, s1
; %bb.801:
	v_cmp_ne_u32_e32 vcc_lo, 0, v187
	v_cndmask_b32_e32 v187, 39, v187, vcc_lo
; %bb.802:
	s_andn2_saveexec_b32 s0, s0
	s_cbranch_execz .LBB84_808
; %bb.803:
	v_cmp_ngt_f64_e64 s1, |v[174:175]|, |v[176:177]|
	s_and_saveexec_b32 s2, s1
	s_xor_b32 s1, exec_lo, s2
	s_cbranch_execz .LBB84_805
; %bb.804:
	v_div_scale_f64 v[189:190], null, v[176:177], v[176:177], v[174:175]
	v_div_scale_f64 v[195:196], vcc_lo, v[174:175], v[176:177], v[174:175]
	v_rcp_f64_e32 v[191:192], v[189:190]
	v_fma_f64 v[193:194], -v[189:190], v[191:192], 1.0
	v_fma_f64 v[191:192], v[191:192], v[193:194], v[191:192]
	v_fma_f64 v[193:194], -v[189:190], v[191:192], 1.0
	v_fma_f64 v[191:192], v[191:192], v[193:194], v[191:192]
	v_mul_f64 v[193:194], v[195:196], v[191:192]
	v_fma_f64 v[189:190], -v[189:190], v[193:194], v[195:196]
	v_div_fmas_f64 v[189:190], v[189:190], v[191:192], v[193:194]
	v_div_fixup_f64 v[189:190], v[189:190], v[176:177], v[174:175]
	v_fma_f64 v[174:175], v[174:175], v[189:190], v[176:177]
	v_div_scale_f64 v[176:177], null, v[174:175], v[174:175], 1.0
	v_rcp_f64_e32 v[191:192], v[176:177]
	v_fma_f64 v[193:194], -v[176:177], v[191:192], 1.0
	v_fma_f64 v[191:192], v[191:192], v[193:194], v[191:192]
	v_fma_f64 v[193:194], -v[176:177], v[191:192], 1.0
	v_fma_f64 v[191:192], v[191:192], v[193:194], v[191:192]
	v_div_scale_f64 v[193:194], vcc_lo, 1.0, v[174:175], 1.0
	v_mul_f64 v[195:196], v[193:194], v[191:192]
	v_fma_f64 v[176:177], -v[176:177], v[195:196], v[193:194]
	v_div_fmas_f64 v[176:177], v[176:177], v[191:192], v[195:196]
	v_div_fixup_f64 v[176:177], v[176:177], v[174:175], 1.0
	v_mul_f64 v[174:175], v[189:190], v[176:177]
	v_xor_b32_e32 v177, 0x80000000, v177
.LBB84_805:
	s_andn2_saveexec_b32 s1, s1
	s_cbranch_execz .LBB84_807
; %bb.806:
	v_div_scale_f64 v[189:190], null, v[174:175], v[174:175], v[176:177]
	v_div_scale_f64 v[195:196], vcc_lo, v[176:177], v[174:175], v[176:177]
	v_rcp_f64_e32 v[191:192], v[189:190]
	v_fma_f64 v[193:194], -v[189:190], v[191:192], 1.0
	v_fma_f64 v[191:192], v[191:192], v[193:194], v[191:192]
	v_fma_f64 v[193:194], -v[189:190], v[191:192], 1.0
	v_fma_f64 v[191:192], v[191:192], v[193:194], v[191:192]
	v_mul_f64 v[193:194], v[195:196], v[191:192]
	v_fma_f64 v[189:190], -v[189:190], v[193:194], v[195:196]
	v_div_fmas_f64 v[189:190], v[189:190], v[191:192], v[193:194]
	v_div_fixup_f64 v[189:190], v[189:190], v[174:175], v[176:177]
	v_fma_f64 v[174:175], v[176:177], v[189:190], v[174:175]
	v_div_scale_f64 v[176:177], null, v[174:175], v[174:175], 1.0
	v_rcp_f64_e32 v[191:192], v[176:177]
	v_fma_f64 v[193:194], -v[176:177], v[191:192], 1.0
	v_fma_f64 v[191:192], v[191:192], v[193:194], v[191:192]
	v_fma_f64 v[193:194], -v[176:177], v[191:192], 1.0
	v_fma_f64 v[191:192], v[191:192], v[193:194], v[191:192]
	v_div_scale_f64 v[193:194], vcc_lo, 1.0, v[174:175], 1.0
	v_mul_f64 v[195:196], v[193:194], v[191:192]
	v_fma_f64 v[176:177], -v[176:177], v[195:196], v[193:194]
	v_div_fmas_f64 v[176:177], v[176:177], v[191:192], v[195:196]
	v_div_fixup_f64 v[174:175], v[176:177], v[174:175], 1.0
	v_mul_f64 v[176:177], v[189:190], -v[174:175]
.LBB84_807:
	s_or_b32 exec_lo, exec_lo, s1
.LBB84_808:
	s_or_b32 exec_lo, exec_lo, s0
	s_mov_b32 s0, exec_lo
	v_cmpx_ne_u32_e64 v188, v182
	s_xor_b32 s0, exec_lo, s0
	s_cbranch_execz .LBB84_814
; %bb.809:
	s_mov_b32 s1, exec_lo
	v_cmpx_eq_u32_e32 38, v188
	s_cbranch_execz .LBB84_813
; %bb.810:
	v_cmp_ne_u32_e32 vcc_lo, 38, v182
	s_xor_b32 s2, s16, -1
	s_and_b32 s3, s2, vcc_lo
	s_and_saveexec_b32 s2, s3
	s_cbranch_execz .LBB84_812
; %bb.811:
	v_ashrrev_i32_e32 v183, 31, v182
	v_lshlrev_b64 v[188:189], 2, v[182:183]
	v_add_co_u32 v188, vcc_lo, v180, v188
	v_add_co_ci_u32_e64 v189, null, v181, v189, vcc_lo
	s_clause 0x1
	global_load_dword v0, v[188:189], off
	global_load_dword v183, v[180:181], off offset:152
	s_waitcnt vmcnt(1)
	global_store_dword v[180:181], v0, off offset:152
	s_waitcnt vmcnt(0)
	global_store_dword v[188:189], v183, off
.LBB84_812:
	s_or_b32 exec_lo, exec_lo, s2
	v_mov_b32_e32 v188, v182
	v_mov_b32_e32 v0, v182
.LBB84_813:
	s_or_b32 exec_lo, exec_lo, s1
.LBB84_814:
	s_andn2_saveexec_b32 s0, s0
	s_cbranch_execz .LBB84_816
; %bb.815:
	v_mov_b32_e32 v188, 38
	ds_write2_b64 v1, v[14:15], v[16:17] offset0:78 offset1:79
	ds_write2_b64 v1, v[10:11], v[12:13] offset0:80 offset1:81
	;; [unrolled: 1-line block ×4, first 2 shown]
.LBB84_816:
	s_or_b32 exec_lo, exec_lo, s0
	s_mov_b32 s0, exec_lo
	s_waitcnt lgkmcnt(0)
	s_waitcnt_vscnt null, 0x0
	s_barrier
	buffer_gl0_inv
	v_cmpx_lt_i32_e32 38, v188
	s_cbranch_execz .LBB84_818
; %bb.817:
	v_mul_f64 v[182:183], v[174:175], v[20:21]
	v_mul_f64 v[20:21], v[176:177], v[20:21]
	ds_read2_b64 v[189:192], v1 offset0:78 offset1:79
	ds_read2_b64 v[193:196], v1 offset0:80 offset1:81
	;; [unrolled: 1-line block ×4, first 2 shown]
	v_fma_f64 v[176:177], v[176:177], v[18:19], v[182:183]
	v_fma_f64 v[18:19], v[174:175], v[18:19], -v[20:21]
	s_waitcnt lgkmcnt(3)
	v_mul_f64 v[20:21], v[191:192], v[176:177]
	v_mul_f64 v[174:175], v[189:190], v[176:177]
	s_waitcnt lgkmcnt(2)
	v_mul_f64 v[182:183], v[195:196], v[176:177]
	v_mul_f64 v[205:206], v[193:194], v[176:177]
	;; [unrolled: 3-line block ×4, first 2 shown]
	v_fma_f64 v[20:21], v[189:190], v[18:19], -v[20:21]
	v_fma_f64 v[174:175], v[191:192], v[18:19], v[174:175]
	v_fma_f64 v[182:183], v[193:194], v[18:19], -v[182:183]
	v_fma_f64 v[189:190], v[195:196], v[18:19], v[205:206]
	;; [unrolled: 2-line block ×4, first 2 shown]
	v_add_f64 v[14:15], v[14:15], -v[20:21]
	v_add_f64 v[16:17], v[16:17], -v[174:175]
	;; [unrolled: 1-line block ×8, first 2 shown]
	v_mov_b32_e32 v20, v176
	v_mov_b32_e32 v21, v177
.LBB84_818:
	s_or_b32 exec_lo, exec_lo, s0
	v_lshl_add_u32 v174, v188, 4, v1
	s_barrier
	buffer_gl0_inv
	v_mov_b32_e32 v182, 39
	ds_write2_b64 v174, v[14:15], v[16:17] offset1:1
	s_waitcnt lgkmcnt(0)
	s_barrier
	buffer_gl0_inv
	ds_read2_b64 v[174:177], v1 offset0:78 offset1:79
	s_cmp_lt_i32 s18, 41
	s_cbranch_scc1 .LBB84_821
; %bb.819:
	v_add3_u32 v183, v184, 0, 0x280
	v_mov_b32_e32 v182, 39
	s_mov_b32 s1, 40
	s_inst_prefetch 0x1
	.p2align	6
.LBB84_820:                             ; =>This Inner Loop Header: Depth=1
	s_waitcnt lgkmcnt(0)
	v_cmp_gt_f64_e32 vcc_lo, 0, v[176:177]
	v_cmp_gt_f64_e64 s0, 0, v[174:175]
	ds_read2_b64 v[189:192], v183 offset1:1
	v_xor_b32_e32 v194, 0x80000000, v175
	v_xor_b32_e32 v196, 0x80000000, v177
	v_mov_b32_e32 v193, v174
	v_mov_b32_e32 v195, v176
	v_add_nc_u32_e32 v183, 16, v183
	s_waitcnt lgkmcnt(0)
	v_xor_b32_e32 v198, 0x80000000, v192
	v_cndmask_b32_e64 v194, v175, v194, s0
	v_cndmask_b32_e32 v196, v177, v196, vcc_lo
	v_cmp_gt_f64_e32 vcc_lo, 0, v[191:192]
	v_cmp_gt_f64_e64 s0, 0, v[189:190]
	v_mov_b32_e32 v197, v191
	v_add_f64 v[193:194], v[193:194], v[195:196]
	v_xor_b32_e32 v196, 0x80000000, v190
	v_mov_b32_e32 v195, v189
	v_cndmask_b32_e32 v198, v192, v198, vcc_lo
	v_cndmask_b32_e64 v196, v190, v196, s0
	v_add_f64 v[195:196], v[195:196], v[197:198]
	v_cmp_lt_f64_e32 vcc_lo, v[193:194], v[195:196]
	v_cndmask_b32_e32 v175, v175, v190, vcc_lo
	v_cndmask_b32_e32 v174, v174, v189, vcc_lo
	;; [unrolled: 1-line block ×4, first 2 shown]
	v_cndmask_b32_e64 v182, v182, s1, vcc_lo
	s_add_i32 s1, s1, 1
	s_cmp_lg_u32 s18, s1
	s_cbranch_scc1 .LBB84_820
.LBB84_821:
	s_inst_prefetch 0x2
	s_waitcnt lgkmcnt(0)
	v_cmp_eq_f64_e32 vcc_lo, 0, v[174:175]
	v_cmp_eq_f64_e64 s0, 0, v[176:177]
	s_and_b32 s0, vcc_lo, s0
	s_and_saveexec_b32 s1, s0
	s_xor_b32 s0, exec_lo, s1
; %bb.822:
	v_cmp_ne_u32_e32 vcc_lo, 0, v187
	v_cndmask_b32_e32 v187, 40, v187, vcc_lo
; %bb.823:
	s_andn2_saveexec_b32 s0, s0
	s_cbranch_execz .LBB84_829
; %bb.824:
	v_cmp_ngt_f64_e64 s1, |v[174:175]|, |v[176:177]|
	s_and_saveexec_b32 s2, s1
	s_xor_b32 s1, exec_lo, s2
	s_cbranch_execz .LBB84_826
; %bb.825:
	v_div_scale_f64 v[189:190], null, v[176:177], v[176:177], v[174:175]
	v_div_scale_f64 v[195:196], vcc_lo, v[174:175], v[176:177], v[174:175]
	v_rcp_f64_e32 v[191:192], v[189:190]
	v_fma_f64 v[193:194], -v[189:190], v[191:192], 1.0
	v_fma_f64 v[191:192], v[191:192], v[193:194], v[191:192]
	v_fma_f64 v[193:194], -v[189:190], v[191:192], 1.0
	v_fma_f64 v[191:192], v[191:192], v[193:194], v[191:192]
	v_mul_f64 v[193:194], v[195:196], v[191:192]
	v_fma_f64 v[189:190], -v[189:190], v[193:194], v[195:196]
	v_div_fmas_f64 v[189:190], v[189:190], v[191:192], v[193:194]
	v_div_fixup_f64 v[189:190], v[189:190], v[176:177], v[174:175]
	v_fma_f64 v[174:175], v[174:175], v[189:190], v[176:177]
	v_div_scale_f64 v[176:177], null, v[174:175], v[174:175], 1.0
	v_rcp_f64_e32 v[191:192], v[176:177]
	v_fma_f64 v[193:194], -v[176:177], v[191:192], 1.0
	v_fma_f64 v[191:192], v[191:192], v[193:194], v[191:192]
	v_fma_f64 v[193:194], -v[176:177], v[191:192], 1.0
	v_fma_f64 v[191:192], v[191:192], v[193:194], v[191:192]
	v_div_scale_f64 v[193:194], vcc_lo, 1.0, v[174:175], 1.0
	v_mul_f64 v[195:196], v[193:194], v[191:192]
	v_fma_f64 v[176:177], -v[176:177], v[195:196], v[193:194]
	v_div_fmas_f64 v[176:177], v[176:177], v[191:192], v[195:196]
	v_div_fixup_f64 v[176:177], v[176:177], v[174:175], 1.0
	v_mul_f64 v[174:175], v[189:190], v[176:177]
	v_xor_b32_e32 v177, 0x80000000, v177
.LBB84_826:
	s_andn2_saveexec_b32 s1, s1
	s_cbranch_execz .LBB84_828
; %bb.827:
	v_div_scale_f64 v[189:190], null, v[174:175], v[174:175], v[176:177]
	v_div_scale_f64 v[195:196], vcc_lo, v[176:177], v[174:175], v[176:177]
	v_rcp_f64_e32 v[191:192], v[189:190]
	v_fma_f64 v[193:194], -v[189:190], v[191:192], 1.0
	v_fma_f64 v[191:192], v[191:192], v[193:194], v[191:192]
	v_fma_f64 v[193:194], -v[189:190], v[191:192], 1.0
	v_fma_f64 v[191:192], v[191:192], v[193:194], v[191:192]
	v_mul_f64 v[193:194], v[195:196], v[191:192]
	v_fma_f64 v[189:190], -v[189:190], v[193:194], v[195:196]
	v_div_fmas_f64 v[189:190], v[189:190], v[191:192], v[193:194]
	v_div_fixup_f64 v[189:190], v[189:190], v[174:175], v[176:177]
	v_fma_f64 v[174:175], v[176:177], v[189:190], v[174:175]
	v_div_scale_f64 v[176:177], null, v[174:175], v[174:175], 1.0
	v_rcp_f64_e32 v[191:192], v[176:177]
	v_fma_f64 v[193:194], -v[176:177], v[191:192], 1.0
	v_fma_f64 v[191:192], v[191:192], v[193:194], v[191:192]
	v_fma_f64 v[193:194], -v[176:177], v[191:192], 1.0
	v_fma_f64 v[191:192], v[191:192], v[193:194], v[191:192]
	v_div_scale_f64 v[193:194], vcc_lo, 1.0, v[174:175], 1.0
	v_mul_f64 v[195:196], v[193:194], v[191:192]
	v_fma_f64 v[176:177], -v[176:177], v[195:196], v[193:194]
	v_div_fmas_f64 v[176:177], v[176:177], v[191:192], v[195:196]
	v_div_fixup_f64 v[174:175], v[176:177], v[174:175], 1.0
	v_mul_f64 v[176:177], v[189:190], -v[174:175]
.LBB84_828:
	s_or_b32 exec_lo, exec_lo, s1
.LBB84_829:
	s_or_b32 exec_lo, exec_lo, s0
	s_mov_b32 s0, exec_lo
	v_cmpx_ne_u32_e64 v188, v182
	s_xor_b32 s0, exec_lo, s0
	s_cbranch_execz .LBB84_835
; %bb.830:
	s_mov_b32 s1, exec_lo
	v_cmpx_eq_u32_e32 39, v188
	s_cbranch_execz .LBB84_834
; %bb.831:
	v_cmp_ne_u32_e32 vcc_lo, 39, v182
	s_xor_b32 s2, s16, -1
	s_and_b32 s3, s2, vcc_lo
	s_and_saveexec_b32 s2, s3
	s_cbranch_execz .LBB84_833
; %bb.832:
	v_ashrrev_i32_e32 v183, 31, v182
	v_lshlrev_b64 v[188:189], 2, v[182:183]
	v_add_co_u32 v188, vcc_lo, v180, v188
	v_add_co_ci_u32_e64 v189, null, v181, v189, vcc_lo
	s_clause 0x1
	global_load_dword v0, v[188:189], off
	global_load_dword v183, v[180:181], off offset:156
	s_waitcnt vmcnt(1)
	global_store_dword v[180:181], v0, off offset:156
	s_waitcnt vmcnt(0)
	global_store_dword v[188:189], v183, off
.LBB84_833:
	s_or_b32 exec_lo, exec_lo, s2
	v_mov_b32_e32 v188, v182
	v_mov_b32_e32 v0, v182
.LBB84_834:
	s_or_b32 exec_lo, exec_lo, s1
.LBB84_835:
	s_andn2_saveexec_b32 s0, s0
	s_cbranch_execz .LBB84_837
; %bb.836:
	v_mov_b32_e32 v188, 39
	ds_write2_b64 v1, v[10:11], v[12:13] offset0:80 offset1:81
	ds_write2_b64 v1, v[6:7], v[8:9] offset0:82 offset1:83
	;; [unrolled: 1-line block ×3, first 2 shown]
.LBB84_837:
	s_or_b32 exec_lo, exec_lo, s0
	s_mov_b32 s0, exec_lo
	s_waitcnt lgkmcnt(0)
	s_waitcnt_vscnt null, 0x0
	s_barrier
	buffer_gl0_inv
	v_cmpx_lt_i32_e32 39, v188
	s_cbranch_execz .LBB84_839
; %bb.838:
	v_mul_f64 v[182:183], v[174:175], v[16:17]
	v_mul_f64 v[16:17], v[176:177], v[16:17]
	ds_read2_b64 v[189:192], v1 offset0:80 offset1:81
	ds_read2_b64 v[193:196], v1 offset0:82 offset1:83
	;; [unrolled: 1-line block ×3, first 2 shown]
	v_fma_f64 v[176:177], v[176:177], v[14:15], v[182:183]
	v_fma_f64 v[14:15], v[174:175], v[14:15], -v[16:17]
	s_waitcnt lgkmcnt(2)
	v_mul_f64 v[16:17], v[191:192], v[176:177]
	v_mul_f64 v[174:175], v[189:190], v[176:177]
	s_waitcnt lgkmcnt(1)
	v_mul_f64 v[182:183], v[195:196], v[176:177]
	v_mul_f64 v[201:202], v[193:194], v[176:177]
	;; [unrolled: 3-line block ×3, first 2 shown]
	v_fma_f64 v[16:17], v[189:190], v[14:15], -v[16:17]
	v_fma_f64 v[174:175], v[191:192], v[14:15], v[174:175]
	v_fma_f64 v[182:183], v[193:194], v[14:15], -v[182:183]
	v_fma_f64 v[189:190], v[195:196], v[14:15], v[201:202]
	;; [unrolled: 2-line block ×3, first 2 shown]
	v_add_f64 v[10:11], v[10:11], -v[16:17]
	v_add_f64 v[12:13], v[12:13], -v[174:175]
	;; [unrolled: 1-line block ×6, first 2 shown]
	v_mov_b32_e32 v16, v176
	v_mov_b32_e32 v17, v177
.LBB84_839:
	s_or_b32 exec_lo, exec_lo, s0
	v_lshl_add_u32 v174, v188, 4, v1
	s_barrier
	buffer_gl0_inv
	v_mov_b32_e32 v182, 40
	ds_write2_b64 v174, v[10:11], v[12:13] offset1:1
	s_waitcnt lgkmcnt(0)
	s_barrier
	buffer_gl0_inv
	ds_read2_b64 v[174:177], v1 offset0:80 offset1:81
	s_cmp_lt_i32 s18, 42
	s_cbranch_scc1 .LBB84_842
; %bb.840:
	v_add3_u32 v183, v184, 0, 0x290
	v_mov_b32_e32 v182, 40
	s_mov_b32 s1, 41
	s_inst_prefetch 0x1
	.p2align	6
.LBB84_841:                             ; =>This Inner Loop Header: Depth=1
	s_waitcnt lgkmcnt(0)
	v_cmp_gt_f64_e32 vcc_lo, 0, v[176:177]
	v_cmp_gt_f64_e64 s0, 0, v[174:175]
	ds_read2_b64 v[189:192], v183 offset1:1
	v_xor_b32_e32 v194, 0x80000000, v175
	v_xor_b32_e32 v196, 0x80000000, v177
	v_mov_b32_e32 v193, v174
	v_mov_b32_e32 v195, v176
	v_add_nc_u32_e32 v183, 16, v183
	s_waitcnt lgkmcnt(0)
	v_xor_b32_e32 v198, 0x80000000, v192
	v_cndmask_b32_e64 v194, v175, v194, s0
	v_cndmask_b32_e32 v196, v177, v196, vcc_lo
	v_cmp_gt_f64_e32 vcc_lo, 0, v[191:192]
	v_cmp_gt_f64_e64 s0, 0, v[189:190]
	v_mov_b32_e32 v197, v191
	v_add_f64 v[193:194], v[193:194], v[195:196]
	v_xor_b32_e32 v196, 0x80000000, v190
	v_mov_b32_e32 v195, v189
	v_cndmask_b32_e32 v198, v192, v198, vcc_lo
	v_cndmask_b32_e64 v196, v190, v196, s0
	v_add_f64 v[195:196], v[195:196], v[197:198]
	v_cmp_lt_f64_e32 vcc_lo, v[193:194], v[195:196]
	v_cndmask_b32_e32 v175, v175, v190, vcc_lo
	v_cndmask_b32_e32 v174, v174, v189, vcc_lo
	;; [unrolled: 1-line block ×4, first 2 shown]
	v_cndmask_b32_e64 v182, v182, s1, vcc_lo
	s_add_i32 s1, s1, 1
	s_cmp_lg_u32 s18, s1
	s_cbranch_scc1 .LBB84_841
.LBB84_842:
	s_inst_prefetch 0x2
	s_waitcnt lgkmcnt(0)
	v_cmp_eq_f64_e32 vcc_lo, 0, v[174:175]
	v_cmp_eq_f64_e64 s0, 0, v[176:177]
	s_and_b32 s0, vcc_lo, s0
	s_and_saveexec_b32 s1, s0
	s_xor_b32 s0, exec_lo, s1
; %bb.843:
	v_cmp_ne_u32_e32 vcc_lo, 0, v187
	v_cndmask_b32_e32 v187, 41, v187, vcc_lo
; %bb.844:
	s_andn2_saveexec_b32 s0, s0
	s_cbranch_execz .LBB84_850
; %bb.845:
	v_cmp_ngt_f64_e64 s1, |v[174:175]|, |v[176:177]|
	s_and_saveexec_b32 s2, s1
	s_xor_b32 s1, exec_lo, s2
	s_cbranch_execz .LBB84_847
; %bb.846:
	v_div_scale_f64 v[189:190], null, v[176:177], v[176:177], v[174:175]
	v_div_scale_f64 v[195:196], vcc_lo, v[174:175], v[176:177], v[174:175]
	v_rcp_f64_e32 v[191:192], v[189:190]
	v_fma_f64 v[193:194], -v[189:190], v[191:192], 1.0
	v_fma_f64 v[191:192], v[191:192], v[193:194], v[191:192]
	v_fma_f64 v[193:194], -v[189:190], v[191:192], 1.0
	v_fma_f64 v[191:192], v[191:192], v[193:194], v[191:192]
	v_mul_f64 v[193:194], v[195:196], v[191:192]
	v_fma_f64 v[189:190], -v[189:190], v[193:194], v[195:196]
	v_div_fmas_f64 v[189:190], v[189:190], v[191:192], v[193:194]
	v_div_fixup_f64 v[189:190], v[189:190], v[176:177], v[174:175]
	v_fma_f64 v[174:175], v[174:175], v[189:190], v[176:177]
	v_div_scale_f64 v[176:177], null, v[174:175], v[174:175], 1.0
	v_rcp_f64_e32 v[191:192], v[176:177]
	v_fma_f64 v[193:194], -v[176:177], v[191:192], 1.0
	v_fma_f64 v[191:192], v[191:192], v[193:194], v[191:192]
	v_fma_f64 v[193:194], -v[176:177], v[191:192], 1.0
	v_fma_f64 v[191:192], v[191:192], v[193:194], v[191:192]
	v_div_scale_f64 v[193:194], vcc_lo, 1.0, v[174:175], 1.0
	v_mul_f64 v[195:196], v[193:194], v[191:192]
	v_fma_f64 v[176:177], -v[176:177], v[195:196], v[193:194]
	v_div_fmas_f64 v[176:177], v[176:177], v[191:192], v[195:196]
	v_div_fixup_f64 v[176:177], v[176:177], v[174:175], 1.0
	v_mul_f64 v[174:175], v[189:190], v[176:177]
	v_xor_b32_e32 v177, 0x80000000, v177
.LBB84_847:
	s_andn2_saveexec_b32 s1, s1
	s_cbranch_execz .LBB84_849
; %bb.848:
	v_div_scale_f64 v[189:190], null, v[174:175], v[174:175], v[176:177]
	v_div_scale_f64 v[195:196], vcc_lo, v[176:177], v[174:175], v[176:177]
	v_rcp_f64_e32 v[191:192], v[189:190]
	v_fma_f64 v[193:194], -v[189:190], v[191:192], 1.0
	v_fma_f64 v[191:192], v[191:192], v[193:194], v[191:192]
	v_fma_f64 v[193:194], -v[189:190], v[191:192], 1.0
	v_fma_f64 v[191:192], v[191:192], v[193:194], v[191:192]
	v_mul_f64 v[193:194], v[195:196], v[191:192]
	v_fma_f64 v[189:190], -v[189:190], v[193:194], v[195:196]
	v_div_fmas_f64 v[189:190], v[189:190], v[191:192], v[193:194]
	v_div_fixup_f64 v[189:190], v[189:190], v[174:175], v[176:177]
	v_fma_f64 v[174:175], v[176:177], v[189:190], v[174:175]
	v_div_scale_f64 v[176:177], null, v[174:175], v[174:175], 1.0
	v_rcp_f64_e32 v[191:192], v[176:177]
	v_fma_f64 v[193:194], -v[176:177], v[191:192], 1.0
	v_fma_f64 v[191:192], v[191:192], v[193:194], v[191:192]
	v_fma_f64 v[193:194], -v[176:177], v[191:192], 1.0
	v_fma_f64 v[191:192], v[191:192], v[193:194], v[191:192]
	v_div_scale_f64 v[193:194], vcc_lo, 1.0, v[174:175], 1.0
	v_mul_f64 v[195:196], v[193:194], v[191:192]
	v_fma_f64 v[176:177], -v[176:177], v[195:196], v[193:194]
	v_div_fmas_f64 v[176:177], v[176:177], v[191:192], v[195:196]
	v_div_fixup_f64 v[174:175], v[176:177], v[174:175], 1.0
	v_mul_f64 v[176:177], v[189:190], -v[174:175]
.LBB84_849:
	s_or_b32 exec_lo, exec_lo, s1
.LBB84_850:
	s_or_b32 exec_lo, exec_lo, s0
	s_mov_b32 s0, exec_lo
	v_cmpx_ne_u32_e64 v188, v182
	s_xor_b32 s0, exec_lo, s0
	s_cbranch_execz .LBB84_856
; %bb.851:
	s_mov_b32 s1, exec_lo
	v_cmpx_eq_u32_e32 40, v188
	s_cbranch_execz .LBB84_855
; %bb.852:
	v_cmp_ne_u32_e32 vcc_lo, 40, v182
	s_xor_b32 s2, s16, -1
	s_and_b32 s3, s2, vcc_lo
	s_and_saveexec_b32 s2, s3
	s_cbranch_execz .LBB84_854
; %bb.853:
	v_ashrrev_i32_e32 v183, 31, v182
	v_lshlrev_b64 v[188:189], 2, v[182:183]
	v_add_co_u32 v188, vcc_lo, v180, v188
	v_add_co_ci_u32_e64 v189, null, v181, v189, vcc_lo
	s_clause 0x1
	global_load_dword v0, v[188:189], off
	global_load_dword v183, v[180:181], off offset:160
	s_waitcnt vmcnt(1)
	global_store_dword v[180:181], v0, off offset:160
	s_waitcnt vmcnt(0)
	global_store_dword v[188:189], v183, off
.LBB84_854:
	s_or_b32 exec_lo, exec_lo, s2
	v_mov_b32_e32 v188, v182
	v_mov_b32_e32 v0, v182
.LBB84_855:
	s_or_b32 exec_lo, exec_lo, s1
.LBB84_856:
	s_andn2_saveexec_b32 s0, s0
	s_cbranch_execz .LBB84_858
; %bb.857:
	v_mov_b32_e32 v188, 40
	ds_write2_b64 v1, v[6:7], v[8:9] offset0:82 offset1:83
	ds_write2_b64 v1, v[2:3], v[4:5] offset0:84 offset1:85
.LBB84_858:
	s_or_b32 exec_lo, exec_lo, s0
	s_mov_b32 s0, exec_lo
	s_waitcnt lgkmcnt(0)
	s_waitcnt_vscnt null, 0x0
	s_barrier
	buffer_gl0_inv
	v_cmpx_lt_i32_e32 40, v188
	s_cbranch_execz .LBB84_860
; %bb.859:
	v_mul_f64 v[182:183], v[174:175], v[12:13]
	v_mul_f64 v[12:13], v[176:177], v[12:13]
	ds_read2_b64 v[189:192], v1 offset0:82 offset1:83
	ds_read2_b64 v[193:196], v1 offset0:84 offset1:85
	v_fma_f64 v[176:177], v[176:177], v[10:11], v[182:183]
	v_fma_f64 v[10:11], v[174:175], v[10:11], -v[12:13]
	s_waitcnt lgkmcnt(1)
	v_mul_f64 v[12:13], v[191:192], v[176:177]
	v_mul_f64 v[174:175], v[189:190], v[176:177]
	s_waitcnt lgkmcnt(0)
	v_mul_f64 v[182:183], v[195:196], v[176:177]
	v_mul_f64 v[197:198], v[193:194], v[176:177]
	v_fma_f64 v[12:13], v[189:190], v[10:11], -v[12:13]
	v_fma_f64 v[174:175], v[191:192], v[10:11], v[174:175]
	v_fma_f64 v[182:183], v[193:194], v[10:11], -v[182:183]
	v_fma_f64 v[189:190], v[195:196], v[10:11], v[197:198]
	v_add_f64 v[6:7], v[6:7], -v[12:13]
	v_add_f64 v[8:9], v[8:9], -v[174:175]
	;; [unrolled: 1-line block ×4, first 2 shown]
	v_mov_b32_e32 v12, v176
	v_mov_b32_e32 v13, v177
.LBB84_860:
	s_or_b32 exec_lo, exec_lo, s0
	v_lshl_add_u32 v174, v188, 4, v1
	s_barrier
	buffer_gl0_inv
	v_mov_b32_e32 v182, 41
	ds_write2_b64 v174, v[6:7], v[8:9] offset1:1
	s_waitcnt lgkmcnt(0)
	s_barrier
	buffer_gl0_inv
	ds_read2_b64 v[174:177], v1 offset0:82 offset1:83
	s_cmp_lt_i32 s18, 43
	s_cbranch_scc1 .LBB84_863
; %bb.861:
	v_add3_u32 v183, v184, 0, 0x2a0
	v_mov_b32_e32 v182, 41
	s_mov_b32 s1, 42
	s_inst_prefetch 0x1
	.p2align	6
.LBB84_862:                             ; =>This Inner Loop Header: Depth=1
	s_waitcnt lgkmcnt(0)
	v_cmp_gt_f64_e32 vcc_lo, 0, v[176:177]
	v_cmp_gt_f64_e64 s0, 0, v[174:175]
	ds_read2_b64 v[189:192], v183 offset1:1
	v_xor_b32_e32 v194, 0x80000000, v175
	v_xor_b32_e32 v196, 0x80000000, v177
	v_mov_b32_e32 v193, v174
	v_mov_b32_e32 v195, v176
	v_add_nc_u32_e32 v183, 16, v183
	s_waitcnt lgkmcnt(0)
	v_xor_b32_e32 v198, 0x80000000, v192
	v_cndmask_b32_e64 v194, v175, v194, s0
	v_cndmask_b32_e32 v196, v177, v196, vcc_lo
	v_cmp_gt_f64_e32 vcc_lo, 0, v[191:192]
	v_cmp_gt_f64_e64 s0, 0, v[189:190]
	v_mov_b32_e32 v197, v191
	v_add_f64 v[193:194], v[193:194], v[195:196]
	v_xor_b32_e32 v196, 0x80000000, v190
	v_mov_b32_e32 v195, v189
	v_cndmask_b32_e32 v198, v192, v198, vcc_lo
	v_cndmask_b32_e64 v196, v190, v196, s0
	v_add_f64 v[195:196], v[195:196], v[197:198]
	v_cmp_lt_f64_e32 vcc_lo, v[193:194], v[195:196]
	v_cndmask_b32_e32 v175, v175, v190, vcc_lo
	v_cndmask_b32_e32 v174, v174, v189, vcc_lo
	v_cndmask_b32_e32 v177, v177, v192, vcc_lo
	v_cndmask_b32_e32 v176, v176, v191, vcc_lo
	v_cndmask_b32_e64 v182, v182, s1, vcc_lo
	s_add_i32 s1, s1, 1
	s_cmp_lg_u32 s18, s1
	s_cbranch_scc1 .LBB84_862
.LBB84_863:
	s_inst_prefetch 0x2
	s_waitcnt lgkmcnt(0)
	v_cmp_eq_f64_e32 vcc_lo, 0, v[174:175]
	v_cmp_eq_f64_e64 s0, 0, v[176:177]
	s_and_b32 s0, vcc_lo, s0
	s_and_saveexec_b32 s1, s0
	s_xor_b32 s0, exec_lo, s1
; %bb.864:
	v_cmp_ne_u32_e32 vcc_lo, 0, v187
	v_cndmask_b32_e32 v187, 42, v187, vcc_lo
; %bb.865:
	s_andn2_saveexec_b32 s0, s0
	s_cbranch_execz .LBB84_871
; %bb.866:
	v_cmp_ngt_f64_e64 s1, |v[174:175]|, |v[176:177]|
	s_and_saveexec_b32 s2, s1
	s_xor_b32 s1, exec_lo, s2
	s_cbranch_execz .LBB84_868
; %bb.867:
	v_div_scale_f64 v[189:190], null, v[176:177], v[176:177], v[174:175]
	v_div_scale_f64 v[195:196], vcc_lo, v[174:175], v[176:177], v[174:175]
	v_rcp_f64_e32 v[191:192], v[189:190]
	v_fma_f64 v[193:194], -v[189:190], v[191:192], 1.0
	v_fma_f64 v[191:192], v[191:192], v[193:194], v[191:192]
	v_fma_f64 v[193:194], -v[189:190], v[191:192], 1.0
	v_fma_f64 v[191:192], v[191:192], v[193:194], v[191:192]
	v_mul_f64 v[193:194], v[195:196], v[191:192]
	v_fma_f64 v[189:190], -v[189:190], v[193:194], v[195:196]
	v_div_fmas_f64 v[189:190], v[189:190], v[191:192], v[193:194]
	v_div_fixup_f64 v[189:190], v[189:190], v[176:177], v[174:175]
	v_fma_f64 v[174:175], v[174:175], v[189:190], v[176:177]
	v_div_scale_f64 v[176:177], null, v[174:175], v[174:175], 1.0
	v_rcp_f64_e32 v[191:192], v[176:177]
	v_fma_f64 v[193:194], -v[176:177], v[191:192], 1.0
	v_fma_f64 v[191:192], v[191:192], v[193:194], v[191:192]
	v_fma_f64 v[193:194], -v[176:177], v[191:192], 1.0
	v_fma_f64 v[191:192], v[191:192], v[193:194], v[191:192]
	v_div_scale_f64 v[193:194], vcc_lo, 1.0, v[174:175], 1.0
	v_mul_f64 v[195:196], v[193:194], v[191:192]
	v_fma_f64 v[176:177], -v[176:177], v[195:196], v[193:194]
	v_div_fmas_f64 v[176:177], v[176:177], v[191:192], v[195:196]
	v_div_fixup_f64 v[176:177], v[176:177], v[174:175], 1.0
	v_mul_f64 v[174:175], v[189:190], v[176:177]
	v_xor_b32_e32 v177, 0x80000000, v177
.LBB84_868:
	s_andn2_saveexec_b32 s1, s1
	s_cbranch_execz .LBB84_870
; %bb.869:
	v_div_scale_f64 v[189:190], null, v[174:175], v[174:175], v[176:177]
	v_div_scale_f64 v[195:196], vcc_lo, v[176:177], v[174:175], v[176:177]
	v_rcp_f64_e32 v[191:192], v[189:190]
	v_fma_f64 v[193:194], -v[189:190], v[191:192], 1.0
	v_fma_f64 v[191:192], v[191:192], v[193:194], v[191:192]
	v_fma_f64 v[193:194], -v[189:190], v[191:192], 1.0
	v_fma_f64 v[191:192], v[191:192], v[193:194], v[191:192]
	v_mul_f64 v[193:194], v[195:196], v[191:192]
	v_fma_f64 v[189:190], -v[189:190], v[193:194], v[195:196]
	v_div_fmas_f64 v[189:190], v[189:190], v[191:192], v[193:194]
	v_div_fixup_f64 v[189:190], v[189:190], v[174:175], v[176:177]
	v_fma_f64 v[174:175], v[176:177], v[189:190], v[174:175]
	v_div_scale_f64 v[176:177], null, v[174:175], v[174:175], 1.0
	v_rcp_f64_e32 v[191:192], v[176:177]
	v_fma_f64 v[193:194], -v[176:177], v[191:192], 1.0
	v_fma_f64 v[191:192], v[191:192], v[193:194], v[191:192]
	v_fma_f64 v[193:194], -v[176:177], v[191:192], 1.0
	v_fma_f64 v[191:192], v[191:192], v[193:194], v[191:192]
	v_div_scale_f64 v[193:194], vcc_lo, 1.0, v[174:175], 1.0
	v_mul_f64 v[195:196], v[193:194], v[191:192]
	v_fma_f64 v[176:177], -v[176:177], v[195:196], v[193:194]
	v_div_fmas_f64 v[176:177], v[176:177], v[191:192], v[195:196]
	v_div_fixup_f64 v[174:175], v[176:177], v[174:175], 1.0
	v_mul_f64 v[176:177], v[189:190], -v[174:175]
.LBB84_870:
	s_or_b32 exec_lo, exec_lo, s1
.LBB84_871:
	s_or_b32 exec_lo, exec_lo, s0
	s_mov_b32 s0, exec_lo
	v_cmpx_ne_u32_e64 v188, v182
	s_xor_b32 s0, exec_lo, s0
	s_cbranch_execz .LBB84_877
; %bb.872:
	s_mov_b32 s1, exec_lo
	v_cmpx_eq_u32_e32 41, v188
	s_cbranch_execz .LBB84_876
; %bb.873:
	v_cmp_ne_u32_e32 vcc_lo, 41, v182
	s_xor_b32 s2, s16, -1
	s_and_b32 s3, s2, vcc_lo
	s_and_saveexec_b32 s2, s3
	s_cbranch_execz .LBB84_875
; %bb.874:
	v_ashrrev_i32_e32 v183, 31, v182
	v_lshlrev_b64 v[188:189], 2, v[182:183]
	v_add_co_u32 v188, vcc_lo, v180, v188
	v_add_co_ci_u32_e64 v189, null, v181, v189, vcc_lo
	s_clause 0x1
	global_load_dword v0, v[188:189], off
	global_load_dword v183, v[180:181], off offset:164
	s_waitcnt vmcnt(1)
	global_store_dword v[180:181], v0, off offset:164
	s_waitcnt vmcnt(0)
	global_store_dword v[188:189], v183, off
.LBB84_875:
	s_or_b32 exec_lo, exec_lo, s2
	v_mov_b32_e32 v188, v182
	v_mov_b32_e32 v0, v182
.LBB84_876:
	s_or_b32 exec_lo, exec_lo, s1
.LBB84_877:
	s_andn2_saveexec_b32 s0, s0
; %bb.878:
	v_mov_b32_e32 v188, 41
	ds_write2_b64 v1, v[2:3], v[4:5] offset0:84 offset1:85
; %bb.879:
	s_or_b32 exec_lo, exec_lo, s0
	s_mov_b32 s0, exec_lo
	s_waitcnt lgkmcnt(0)
	s_waitcnt_vscnt null, 0x0
	s_barrier
	buffer_gl0_inv
	v_cmpx_lt_i32_e32 41, v188
	s_cbranch_execz .LBB84_881
; %bb.880:
	v_mul_f64 v[182:183], v[174:175], v[8:9]
	v_mul_f64 v[8:9], v[176:177], v[8:9]
	ds_read2_b64 v[189:192], v1 offset0:84 offset1:85
	v_fma_f64 v[176:177], v[176:177], v[6:7], v[182:183]
	v_fma_f64 v[6:7], v[174:175], v[6:7], -v[8:9]
	s_waitcnt lgkmcnt(0)
	v_mul_f64 v[8:9], v[191:192], v[176:177]
	v_mul_f64 v[174:175], v[189:190], v[176:177]
	v_fma_f64 v[8:9], v[189:190], v[6:7], -v[8:9]
	v_fma_f64 v[174:175], v[191:192], v[6:7], v[174:175]
	v_add_f64 v[2:3], v[2:3], -v[8:9]
	v_add_f64 v[4:5], v[4:5], -v[174:175]
	v_mov_b32_e32 v8, v176
	v_mov_b32_e32 v9, v177
.LBB84_881:
	s_or_b32 exec_lo, exec_lo, s0
	v_lshl_add_u32 v174, v188, 4, v1
	s_barrier
	buffer_gl0_inv
	v_mov_b32_e32 v182, 42
	ds_write2_b64 v174, v[2:3], v[4:5] offset1:1
	s_waitcnt lgkmcnt(0)
	s_barrier
	buffer_gl0_inv
	ds_read2_b64 v[174:177], v1 offset0:84 offset1:85
	s_cmp_lt_i32 s18, 44
	s_cbranch_scc1 .LBB84_884
; %bb.882:
	v_add3_u32 v1, v184, 0, 0x2b0
	v_mov_b32_e32 v182, 42
	s_mov_b32 s1, 43
	s_inst_prefetch 0x1
	.p2align	6
.LBB84_883:                             ; =>This Inner Loop Header: Depth=1
	s_waitcnt lgkmcnt(0)
	v_cmp_gt_f64_e32 vcc_lo, 0, v[176:177]
	v_cmp_gt_f64_e64 s0, 0, v[174:175]
	ds_read2_b64 v[189:192], v1 offset1:1
	v_xor_b32_e32 v184, 0x80000000, v175
	v_xor_b32_e32 v194, 0x80000000, v177
	v_mov_b32_e32 v183, v174
	v_mov_b32_e32 v193, v176
	v_add_nc_u32_e32 v1, 16, v1
	s_waitcnt lgkmcnt(0)
	v_xor_b32_e32 v196, 0x80000000, v192
	v_cndmask_b32_e64 v184, v175, v184, s0
	v_cndmask_b32_e32 v194, v177, v194, vcc_lo
	v_cmp_gt_f64_e32 vcc_lo, 0, v[191:192]
	v_cmp_gt_f64_e64 s0, 0, v[189:190]
	v_mov_b32_e32 v195, v191
	v_add_f64 v[183:184], v[183:184], v[193:194]
	v_xor_b32_e32 v194, 0x80000000, v190
	v_mov_b32_e32 v193, v189
	v_cndmask_b32_e32 v196, v192, v196, vcc_lo
	v_cndmask_b32_e64 v194, v190, v194, s0
	v_add_f64 v[193:194], v[193:194], v[195:196]
	v_cmp_lt_f64_e32 vcc_lo, v[183:184], v[193:194]
	v_cndmask_b32_e32 v175, v175, v190, vcc_lo
	v_cndmask_b32_e32 v174, v174, v189, vcc_lo
	;; [unrolled: 1-line block ×4, first 2 shown]
	v_cndmask_b32_e64 v182, v182, s1, vcc_lo
	s_add_i32 s1, s1, 1
	s_cmp_lg_u32 s18, s1
	s_cbranch_scc1 .LBB84_883
.LBB84_884:
	s_inst_prefetch 0x2
	s_waitcnt lgkmcnt(0)
	v_cmp_eq_f64_e32 vcc_lo, 0, v[174:175]
	v_cmp_eq_f64_e64 s0, 0, v[176:177]
	s_and_b32 s0, vcc_lo, s0
	s_and_saveexec_b32 s1, s0
	s_xor_b32 s0, exec_lo, s1
; %bb.885:
	v_cmp_ne_u32_e32 vcc_lo, 0, v187
	v_cndmask_b32_e32 v187, 43, v187, vcc_lo
; %bb.886:
	s_andn2_saveexec_b32 s0, s0
	s_cbranch_execz .LBB84_892
; %bb.887:
	v_cmp_ngt_f64_e64 s1, |v[174:175]|, |v[176:177]|
	s_and_saveexec_b32 s2, s1
	s_xor_b32 s1, exec_lo, s2
	s_cbranch_execz .LBB84_889
; %bb.888:
	v_div_scale_f64 v[183:184], null, v[176:177], v[176:177], v[174:175]
	v_div_scale_f64 v[193:194], vcc_lo, v[174:175], v[176:177], v[174:175]
	v_rcp_f64_e32 v[189:190], v[183:184]
	v_fma_f64 v[191:192], -v[183:184], v[189:190], 1.0
	v_fma_f64 v[189:190], v[189:190], v[191:192], v[189:190]
	v_fma_f64 v[191:192], -v[183:184], v[189:190], 1.0
	v_fma_f64 v[189:190], v[189:190], v[191:192], v[189:190]
	v_mul_f64 v[191:192], v[193:194], v[189:190]
	v_fma_f64 v[183:184], -v[183:184], v[191:192], v[193:194]
	v_div_fmas_f64 v[183:184], v[183:184], v[189:190], v[191:192]
	v_div_fixup_f64 v[183:184], v[183:184], v[176:177], v[174:175]
	v_fma_f64 v[174:175], v[174:175], v[183:184], v[176:177]
	v_div_scale_f64 v[176:177], null, v[174:175], v[174:175], 1.0
	v_rcp_f64_e32 v[189:190], v[176:177]
	v_fma_f64 v[191:192], -v[176:177], v[189:190], 1.0
	v_fma_f64 v[189:190], v[189:190], v[191:192], v[189:190]
	v_fma_f64 v[191:192], -v[176:177], v[189:190], 1.0
	v_fma_f64 v[189:190], v[189:190], v[191:192], v[189:190]
	v_div_scale_f64 v[191:192], vcc_lo, 1.0, v[174:175], 1.0
	v_mul_f64 v[193:194], v[191:192], v[189:190]
	v_fma_f64 v[176:177], -v[176:177], v[193:194], v[191:192]
	v_div_fmas_f64 v[176:177], v[176:177], v[189:190], v[193:194]
	v_div_fixup_f64 v[176:177], v[176:177], v[174:175], 1.0
	v_mul_f64 v[174:175], v[183:184], v[176:177]
	v_xor_b32_e32 v177, 0x80000000, v177
.LBB84_889:
	s_andn2_saveexec_b32 s1, s1
	s_cbranch_execz .LBB84_891
; %bb.890:
	v_div_scale_f64 v[183:184], null, v[174:175], v[174:175], v[176:177]
	v_div_scale_f64 v[193:194], vcc_lo, v[176:177], v[174:175], v[176:177]
	v_rcp_f64_e32 v[189:190], v[183:184]
	v_fma_f64 v[191:192], -v[183:184], v[189:190], 1.0
	v_fma_f64 v[189:190], v[189:190], v[191:192], v[189:190]
	v_fma_f64 v[191:192], -v[183:184], v[189:190], 1.0
	v_fma_f64 v[189:190], v[189:190], v[191:192], v[189:190]
	v_mul_f64 v[191:192], v[193:194], v[189:190]
	v_fma_f64 v[183:184], -v[183:184], v[191:192], v[193:194]
	v_div_fmas_f64 v[183:184], v[183:184], v[189:190], v[191:192]
	v_div_fixup_f64 v[183:184], v[183:184], v[174:175], v[176:177]
	v_fma_f64 v[174:175], v[176:177], v[183:184], v[174:175]
	v_div_scale_f64 v[176:177], null, v[174:175], v[174:175], 1.0
	v_rcp_f64_e32 v[189:190], v[176:177]
	v_fma_f64 v[191:192], -v[176:177], v[189:190], 1.0
	v_fma_f64 v[189:190], v[189:190], v[191:192], v[189:190]
	v_fma_f64 v[191:192], -v[176:177], v[189:190], 1.0
	v_fma_f64 v[189:190], v[189:190], v[191:192], v[189:190]
	v_div_scale_f64 v[191:192], vcc_lo, 1.0, v[174:175], 1.0
	v_mul_f64 v[193:194], v[191:192], v[189:190]
	v_fma_f64 v[176:177], -v[176:177], v[193:194], v[191:192]
	v_div_fmas_f64 v[176:177], v[176:177], v[189:190], v[193:194]
	v_div_fixup_f64 v[174:175], v[176:177], v[174:175], 1.0
	v_mul_f64 v[176:177], v[183:184], -v[174:175]
.LBB84_891:
	s_or_b32 exec_lo, exec_lo, s1
.LBB84_892:
	s_or_b32 exec_lo, exec_lo, s0
	v_mov_b32_e32 v183, 42
	s_mov_b32 s0, exec_lo
	v_cmpx_ne_u32_e64 v188, v182
	s_cbranch_execz .LBB84_898
; %bb.893:
	s_mov_b32 s1, exec_lo
	v_cmpx_eq_u32_e32 42, v188
	s_cbranch_execz .LBB84_897
; %bb.894:
	v_cmp_ne_u32_e32 vcc_lo, 42, v182
	s_xor_b32 s2, s16, -1
	s_and_b32 s3, s2, vcc_lo
	s_and_saveexec_b32 s2, s3
	s_cbranch_execz .LBB84_896
; %bb.895:
	v_ashrrev_i32_e32 v183, 31, v182
	v_lshlrev_b64 v[0:1], 2, v[182:183]
	v_add_co_u32 v0, vcc_lo, v180, v0
	v_add_co_ci_u32_e64 v1, null, v181, v1, vcc_lo
	s_clause 0x1
	global_load_dword v183, v[0:1], off
	global_load_dword v184, v[180:181], off offset:168
	s_waitcnt vmcnt(1)
	global_store_dword v[180:181], v183, off offset:168
	s_waitcnt vmcnt(0)
	global_store_dword v[0:1], v184, off
.LBB84_896:
	s_or_b32 exec_lo, exec_lo, s2
	v_mov_b32_e32 v188, v182
	v_mov_b32_e32 v0, v182
.LBB84_897:
	s_or_b32 exec_lo, exec_lo, s1
	v_mov_b32_e32 v183, v188
.LBB84_898:
	s_or_b32 exec_lo, exec_lo, s0
	s_mov_b32 s0, exec_lo
	s_waitcnt_vscnt null, 0x0
	s_barrier
	buffer_gl0_inv
	v_cmpx_lt_i32_e32 42, v183
	s_cbranch_execz .LBB84_900
; %bb.899:
	v_mul_f64 v[180:181], v[176:177], v[4:5]
	v_mul_f64 v[4:5], v[174:175], v[4:5]
	v_fma_f64 v[174:175], v[174:175], v[2:3], -v[180:181]
	v_fma_f64 v[4:5], v[176:177], v[2:3], v[4:5]
	v_mov_b32_e32 v2, v174
	v_mov_b32_e32 v3, v175
.LBB84_900:
	s_or_b32 exec_lo, exec_lo, s0
	v_ashrrev_i32_e32 v184, 31, v183
	s_mov_b32 s0, exec_lo
	s_barrier
	buffer_gl0_inv
	v_cmpx_gt_i32_e32 43, v183
	s_cbranch_execz .LBB84_902
; %bb.901:
	v_mul_lo_u32 v1, s15, v178
	v_mul_lo_u32 v176, s14, v179
	v_mad_u64_u32 v[174:175], null, s14, v178, 0
	s_lshl_b64 s[2:3], s[12:13], 2
	v_add3_u32 v0, v0, s17, 1
	v_add3_u32 v175, v175, v176, v1
	v_lshlrev_b64 v[174:175], 2, v[174:175]
	v_add_co_u32 v1, vcc_lo, s10, v174
	v_add_co_ci_u32_e64 v176, null, s11, v175, vcc_lo
	v_lshlrev_b64 v[174:175], 2, v[183:184]
	v_add_co_u32 v1, vcc_lo, v1, s2
	v_add_co_ci_u32_e64 v176, null, s3, v176, vcc_lo
	v_add_co_u32 v174, vcc_lo, v1, v174
	v_add_co_ci_u32_e64 v175, null, v176, v175, vcc_lo
	global_store_dword v[174:175], v0, off
.LBB84_902:
	s_or_b32 exec_lo, exec_lo, s0
	s_mov_b32 s1, exec_lo
	v_cmpx_eq_u32_e32 0, v183
	s_cbranch_execz .LBB84_905
; %bb.903:
	v_lshlrev_b64 v[0:1], 2, v[178:179]
	v_cmp_ne_u32_e64 s0, 0, v187
	v_add_co_u32 v0, vcc_lo, s4, v0
	v_add_co_ci_u32_e64 v1, null, s5, v1, vcc_lo
	global_load_dword v174, v[0:1], off
	s_waitcnt vmcnt(0)
	v_cmp_eq_u32_e32 vcc_lo, 0, v174
	s_and_b32 s0, vcc_lo, s0
	s_and_b32 exec_lo, exec_lo, s0
	s_cbranch_execz .LBB84_905
; %bb.904:
	v_add_nc_u32_e32 v174, s17, v187
	global_store_dword v[0:1], v174, off
.LBB84_905:
	s_or_b32 exec_lo, exec_lo, s1
	v_lshlrev_b64 v[174:175], 4, v[183:184]
	v_add3_u32 v0, s6, s6, v183
	v_add_nc_u32_e32 v176, s6, v0
	v_add_co_u32 v174, vcc_lo, v185, v174
	v_add_co_ci_u32_e64 v175, null, v186, v175, vcc_lo
	v_ashrrev_i32_e32 v1, 31, v0
	v_ashrrev_i32_e32 v177, 31, v176
	global_store_dwordx4 v[174:175], v[170:173], off
	v_add_nc_u32_e32 v172, s6, v176
	v_lshlrev_b64 v[0:1], 4, v[0:1]
	v_add_co_u32 v170, vcc_lo, v174, s8
	v_add_co_ci_u32_e64 v171, null, s9, v175, vcc_lo
	v_add_nc_u32_e32 v174, s6, v172
	v_add_co_u32 v0, vcc_lo, v185, v0
	v_ashrrev_i32_e32 v173, 31, v172
	v_add_co_ci_u32_e64 v1, null, v186, v1, vcc_lo
	v_ashrrev_i32_e32 v175, 31, v174
	v_lshlrev_b64 v[176:177], 4, v[176:177]
	global_store_dwordx4 v[170:171], v[162:165], off
	global_store_dwordx4 v[0:1], v[166:169], off
	v_lshlrev_b64 v[0:1], 4, v[172:173]
	v_add_nc_u32_e32 v166, s6, v174
	v_lshlrev_b64 v[164:165], 4, v[174:175]
	v_add_co_u32 v162, vcc_lo, v185, v176
	v_add_co_ci_u32_e64 v163, null, v186, v177, vcc_lo
	v_add_co_u32 v0, vcc_lo, v185, v0
	v_add_co_ci_u32_e64 v1, null, v186, v1, vcc_lo
	v_add_co_u32 v164, vcc_lo, v185, v164
	v_add_nc_u32_e32 v168, s6, v166
	v_add_co_ci_u32_e64 v165, null, v186, v165, vcc_lo
	v_ashrrev_i32_e32 v167, 31, v166
	global_store_dwordx4 v[162:163], v[158:161], off
	global_store_dwordx4 v[0:1], v[154:157], off
	global_store_dwordx4 v[164:165], v[150:153], off
	v_add_nc_u32_e32 v150, s6, v168
	v_ashrrev_i32_e32 v169, 31, v168
	v_lshlrev_b64 v[158:159], 4, v[166:167]
	v_add_nc_u32_e32 v154, s6, v150
	v_lshlrev_b64 v[0:1], 4, v[168:169]
	v_ashrrev_i32_e32 v151, 31, v150
	v_add_co_u32 v152, vcc_lo, v185, v158
	v_add_nc_u32_e32 v156, s6, v154
	v_add_co_ci_u32_e64 v153, null, v186, v159, vcc_lo
	v_add_co_u32 v0, vcc_lo, v185, v0
	v_ashrrev_i32_e32 v155, 31, v154
	v_add_co_ci_u32_e64 v1, null, v186, v1, vcc_lo
	v_ashrrev_i32_e32 v157, 31, v156
	v_lshlrev_b64 v[150:151], 4, v[150:151]
	global_store_dwordx4 v[152:153], v[146:149], off
	global_store_dwordx4 v[0:1], v[142:145], off
	v_lshlrev_b64 v[0:1], 4, v[154:155]
	v_add_nc_u32_e32 v146, s6, v156
	v_lshlrev_b64 v[144:145], 4, v[156:157]
	v_add_co_u32 v142, vcc_lo, v185, v150
	v_add_co_ci_u32_e64 v143, null, v186, v151, vcc_lo
	v_add_co_u32 v0, vcc_lo, v185, v0
	v_add_co_ci_u32_e64 v1, null, v186, v1, vcc_lo
	v_add_co_u32 v144, vcc_lo, v185, v144
	v_add_nc_u32_e32 v148, s6, v146
	v_add_co_ci_u32_e64 v145, null, v186, v145, vcc_lo
	v_ashrrev_i32_e32 v147, 31, v146
	global_store_dwordx4 v[142:143], v[138:141], off
	global_store_dwordx4 v[0:1], v[134:137], off
	global_store_dwordx4 v[144:145], v[130:133], off
	v_add_nc_u32_e32 v130, s6, v148
	v_ashrrev_i32_e32 v149, 31, v148
	v_lshlrev_b64 v[138:139], 4, v[146:147]
	v_add_nc_u32_e32 v134, s6, v130
	v_lshlrev_b64 v[0:1], 4, v[148:149]
	v_ashrrev_i32_e32 v131, 31, v130
	v_add_co_u32 v132, vcc_lo, v185, v138
	v_add_nc_u32_e32 v136, s6, v134
	v_add_co_ci_u32_e64 v133, null, v186, v139, vcc_lo
	;; [unrolled: 30-line block ×6, first 2 shown]
	v_add_co_u32 v0, vcc_lo, v185, v0
	v_ashrrev_i32_e32 v55, 31, v54
	v_add_co_ci_u32_e64 v1, null, v186, v1, vcc_lo
	v_ashrrev_i32_e32 v57, 31, v56
	v_lshlrev_b64 v[50:51], 4, v[50:51]
	global_store_dwordx4 v[52:53], v[46:49], off
	global_store_dwordx4 v[0:1], v[42:45], off
	v_lshlrev_b64 v[0:1], 4, v[54:55]
	v_add_nc_u32_e32 v46, s6, v56
	v_lshlrev_b64 v[44:45], 4, v[56:57]
	v_add_co_u32 v42, vcc_lo, v185, v50
	v_add_co_ci_u32_e64 v43, null, v186, v51, vcc_lo
	v_add_co_u32 v0, vcc_lo, v185, v0
	v_add_nc_u32_e32 v48, s6, v46
	v_add_co_ci_u32_e64 v1, null, v186, v1, vcc_lo
	v_add_co_u32 v44, vcc_lo, v185, v44
	v_ashrrev_i32_e32 v47, 31, v46
	v_add_co_ci_u32_e64 v45, null, v186, v45, vcc_lo
	v_ashrrev_i32_e32 v49, 31, v48
	global_store_dwordx4 v[42:43], v[38:41], off
	v_lshlrev_b64 v[38:39], 4, v[46:47]
	global_store_dwordx4 v[0:1], v[34:37], off
	global_store_dwordx4 v[44:45], v[30:33], off
	v_add_nc_u32_e32 v30, s6, v48
	v_lshlrev_b64 v[0:1], 4, v[48:49]
	v_add_co_u32 v32, vcc_lo, v185, v38
	v_add_nc_u32_e32 v34, s6, v30
	v_add_co_ci_u32_e64 v33, null, v186, v39, vcc_lo
	v_add_co_u32 v0, vcc_lo, v185, v0
	v_add_co_ci_u32_e64 v1, null, v186, v1, vcc_lo
	v_add_nc_u32_e32 v36, s6, v34
	v_ashrrev_i32_e32 v31, 31, v30
	global_store_dwordx4 v[32:33], v[26:29], off
	global_store_dwordx4 v[0:1], v[22:25], off
	v_ashrrev_i32_e32 v35, 31, v34
	v_add_nc_u32_e32 v22, s6, v36
	v_lshlrev_b64 v[26:27], 4, v[30:31]
	v_ashrrev_i32_e32 v37, 31, v36
	v_lshlrev_b64 v[0:1], 4, v[34:35]
	v_add_nc_u32_e32 v28, s6, v22
	v_ashrrev_i32_e32 v23, 31, v22
	v_add_co_u32 v24, vcc_lo, v185, v26
	v_add_co_ci_u32_e64 v25, null, v186, v27, vcc_lo
	v_ashrrev_i32_e32 v29, 31, v28
	v_lshlrev_b64 v[26:27], 4, v[36:37]
	v_lshlrev_b64 v[22:23], 4, v[22:23]
	v_add_co_u32 v0, vcc_lo, v185, v0
	v_lshlrev_b64 v[28:29], 4, v[28:29]
	v_add_co_ci_u32_e64 v1, null, v186, v1, vcc_lo
	v_add_co_u32 v26, vcc_lo, v185, v26
	v_add_co_ci_u32_e64 v27, null, v186, v27, vcc_lo
	v_add_co_u32 v22, vcc_lo, v185, v22
	;; [unrolled: 2-line block ×3, first 2 shown]
	v_add_co_ci_u32_e64 v29, null, v186, v29, vcc_lo
	global_store_dwordx4 v[24:25], v[18:21], off
	global_store_dwordx4 v[0:1], v[14:17], off
	;; [unrolled: 1-line block ×5, first 2 shown]
.LBB84_906:
	s_endpgm
	.section	.rodata,"a",@progbits
	.p2align	6, 0x0
	.amdhsa_kernel _ZN9rocsolver6v33100L18getf2_small_kernelILi43E19rocblas_complex_numIdEiiPS3_EEvT1_T3_lS5_lPS5_llPT2_S5_S5_S7_l
		.amdhsa_group_segment_fixed_size 0
		.amdhsa_private_segment_fixed_size 0
		.amdhsa_kernarg_size 352
		.amdhsa_user_sgpr_count 6
		.amdhsa_user_sgpr_private_segment_buffer 1
		.amdhsa_user_sgpr_dispatch_ptr 0
		.amdhsa_user_sgpr_queue_ptr 0
		.amdhsa_user_sgpr_kernarg_segment_ptr 1
		.amdhsa_user_sgpr_dispatch_id 0
		.amdhsa_user_sgpr_flat_scratch_init 0
		.amdhsa_user_sgpr_private_segment_size 0
		.amdhsa_wavefront_size32 1
		.amdhsa_uses_dynamic_stack 0
		.amdhsa_system_sgpr_private_segment_wavefront_offset 0
		.amdhsa_system_sgpr_workgroup_id_x 1
		.amdhsa_system_sgpr_workgroup_id_y 1
		.amdhsa_system_sgpr_workgroup_id_z 0
		.amdhsa_system_sgpr_workgroup_info 0
		.amdhsa_system_vgpr_workitem_id 1
		.amdhsa_next_free_vgpr 247
		.amdhsa_next_free_sgpr 19
		.amdhsa_reserve_vcc 1
		.amdhsa_reserve_flat_scratch 0
		.amdhsa_float_round_mode_32 0
		.amdhsa_float_round_mode_16_64 0
		.amdhsa_float_denorm_mode_32 3
		.amdhsa_float_denorm_mode_16_64 3
		.amdhsa_dx10_clamp 1
		.amdhsa_ieee_mode 1
		.amdhsa_fp16_overflow 0
		.amdhsa_workgroup_processor_mode 1
		.amdhsa_memory_ordered 1
		.amdhsa_forward_progress 1
		.amdhsa_shared_vgpr_count 0
		.amdhsa_exception_fp_ieee_invalid_op 0
		.amdhsa_exception_fp_denorm_src 0
		.amdhsa_exception_fp_ieee_div_zero 0
		.amdhsa_exception_fp_ieee_overflow 0
		.amdhsa_exception_fp_ieee_underflow 0
		.amdhsa_exception_fp_ieee_inexact 0
		.amdhsa_exception_int_div_zero 0
	.end_amdhsa_kernel
	.section	.text._ZN9rocsolver6v33100L18getf2_small_kernelILi43E19rocblas_complex_numIdEiiPS3_EEvT1_T3_lS5_lPS5_llPT2_S5_S5_S7_l,"axG",@progbits,_ZN9rocsolver6v33100L18getf2_small_kernelILi43E19rocblas_complex_numIdEiiPS3_EEvT1_T3_lS5_lPS5_llPT2_S5_S5_S7_l,comdat
.Lfunc_end84:
	.size	_ZN9rocsolver6v33100L18getf2_small_kernelILi43E19rocblas_complex_numIdEiiPS3_EEvT1_T3_lS5_lPS5_llPT2_S5_S5_S7_l, .Lfunc_end84-_ZN9rocsolver6v33100L18getf2_small_kernelILi43E19rocblas_complex_numIdEiiPS3_EEvT1_T3_lS5_lPS5_llPT2_S5_S5_S7_l
                                        ; -- End function
	.set _ZN9rocsolver6v33100L18getf2_small_kernelILi43E19rocblas_complex_numIdEiiPS3_EEvT1_T3_lS5_lPS5_llPT2_S5_S5_S7_l.num_vgpr, 247
	.set _ZN9rocsolver6v33100L18getf2_small_kernelILi43E19rocblas_complex_numIdEiiPS3_EEvT1_T3_lS5_lPS5_llPT2_S5_S5_S7_l.num_agpr, 0
	.set _ZN9rocsolver6v33100L18getf2_small_kernelILi43E19rocblas_complex_numIdEiiPS3_EEvT1_T3_lS5_lPS5_llPT2_S5_S5_S7_l.numbered_sgpr, 19
	.set _ZN9rocsolver6v33100L18getf2_small_kernelILi43E19rocblas_complex_numIdEiiPS3_EEvT1_T3_lS5_lPS5_llPT2_S5_S5_S7_l.num_named_barrier, 0
	.set _ZN9rocsolver6v33100L18getf2_small_kernelILi43E19rocblas_complex_numIdEiiPS3_EEvT1_T3_lS5_lPS5_llPT2_S5_S5_S7_l.private_seg_size, 0
	.set _ZN9rocsolver6v33100L18getf2_small_kernelILi43E19rocblas_complex_numIdEiiPS3_EEvT1_T3_lS5_lPS5_llPT2_S5_S5_S7_l.uses_vcc, 1
	.set _ZN9rocsolver6v33100L18getf2_small_kernelILi43E19rocblas_complex_numIdEiiPS3_EEvT1_T3_lS5_lPS5_llPT2_S5_S5_S7_l.uses_flat_scratch, 0
	.set _ZN9rocsolver6v33100L18getf2_small_kernelILi43E19rocblas_complex_numIdEiiPS3_EEvT1_T3_lS5_lPS5_llPT2_S5_S5_S7_l.has_dyn_sized_stack, 0
	.set _ZN9rocsolver6v33100L18getf2_small_kernelILi43E19rocblas_complex_numIdEiiPS3_EEvT1_T3_lS5_lPS5_llPT2_S5_S5_S7_l.has_recursion, 0
	.set _ZN9rocsolver6v33100L18getf2_small_kernelILi43E19rocblas_complex_numIdEiiPS3_EEvT1_T3_lS5_lPS5_llPT2_S5_S5_S7_l.has_indirect_call, 0
	.section	.AMDGPU.csdata,"",@progbits
; Kernel info:
; codeLenInByte = 107624
; TotalNumSgprs: 21
; NumVgprs: 247
; ScratchSize: 0
; MemoryBound: 0
; FloatMode: 240
; IeeeMode: 1
; LDSByteSize: 0 bytes/workgroup (compile time only)
; SGPRBlocks: 0
; VGPRBlocks: 30
; NumSGPRsForWavesPerEU: 21
; NumVGPRsForWavesPerEU: 247
; Occupancy: 4
; WaveLimiterHint : 0
; COMPUTE_PGM_RSRC2:SCRATCH_EN: 0
; COMPUTE_PGM_RSRC2:USER_SGPR: 6
; COMPUTE_PGM_RSRC2:TRAP_HANDLER: 0
; COMPUTE_PGM_RSRC2:TGID_X_EN: 1
; COMPUTE_PGM_RSRC2:TGID_Y_EN: 1
; COMPUTE_PGM_RSRC2:TGID_Z_EN: 0
; COMPUTE_PGM_RSRC2:TIDIG_COMP_CNT: 1
	.section	.text._ZN9rocsolver6v33100L23getf2_npvt_small_kernelILi43E19rocblas_complex_numIdEiiPS3_EEvT1_T3_lS5_lPT2_S5_S5_,"axG",@progbits,_ZN9rocsolver6v33100L23getf2_npvt_small_kernelILi43E19rocblas_complex_numIdEiiPS3_EEvT1_T3_lS5_lPT2_S5_S5_,comdat
	.globl	_ZN9rocsolver6v33100L23getf2_npvt_small_kernelILi43E19rocblas_complex_numIdEiiPS3_EEvT1_T3_lS5_lPT2_S5_S5_ ; -- Begin function _ZN9rocsolver6v33100L23getf2_npvt_small_kernelILi43E19rocblas_complex_numIdEiiPS3_EEvT1_T3_lS5_lPT2_S5_S5_
	.p2align	8
	.type	_ZN9rocsolver6v33100L23getf2_npvt_small_kernelILi43E19rocblas_complex_numIdEiiPS3_EEvT1_T3_lS5_lPT2_S5_S5_,@function
_ZN9rocsolver6v33100L23getf2_npvt_small_kernelILi43E19rocblas_complex_numIdEiiPS3_EEvT1_T3_lS5_lPT2_S5_S5_: ; @_ZN9rocsolver6v33100L23getf2_npvt_small_kernelILi43E19rocblas_complex_numIdEiiPS3_EEvT1_T3_lS5_lPT2_S5_S5_
; %bb.0:
	s_mov_b64 s[18:19], s[2:3]
	s_mov_b64 s[16:17], s[0:1]
	s_clause 0x1
	s_load_dword s0, s[4:5], 0x44
	s_load_dwordx2 s[12:13], s[4:5], 0x30
	s_add_u32 s16, s16, s8
	s_addc_u32 s17, s17, 0
	s_waitcnt lgkmcnt(0)
	s_lshr_b32 s14, s0, 16
	s_mov_b32 s0, exec_lo
	v_mad_u64_u32 v[2:3], null, s7, s14, v[1:2]
	v_cmpx_gt_i32_e64 s12, v2
	s_cbranch_execz .LBB85_392
; %bb.1:
	s_clause 0x2
	s_load_dwordx4 s[8:11], s[4:5], 0x20
	s_load_dword s6, s[4:5], 0x18
	s_load_dwordx4 s[0:3], s[4:5], 0x8
	v_ashrrev_i32_e32 v3, 31, v2
	v_mad_u32_u24 v253, 0x2b0, v1, 0
	v_lshlrev_b32_e32 v1, 4, v1
	s_mulk_i32 s14, 0x2b0
	v_add3_u32 v255, 0, s14, v1
	s_waitcnt lgkmcnt(0)
	v_mul_lo_u32 v5, s9, v2
	v_mul_lo_u32 v7, s8, v3
	buffer_store_dword v2, off, s[16:19], 0 offset:776 ; 4-byte Folded Spill
	buffer_store_dword v3, off, s[16:19], 0 offset:780 ; 4-byte Folded Spill
	v_add3_u32 v4, s6, s6, v0
	s_lshl_b64 s[2:3], s[2:3], 4
	s_ashr_i32 s7, s6, 31
	v_add_nc_u32_e32 v6, s6, v4
	v_add_nc_u32_e32 v8, s6, v6
	;; [unrolled: 1-line block ×3, first 2 shown]
	v_ashrrev_i32_e32 v9, 31, v8
	v_add_nc_u32_e32 v12, s6, v10
	v_ashrrev_i32_e32 v11, 31, v10
	v_lshlrev_b64 v[8:9], 4, v[8:9]
	v_add_nc_u32_e32 v14, s6, v12
	v_ashrrev_i32_e32 v13, 31, v12
	v_lshlrev_b64 v[10:11], 4, v[10:11]
	v_ashrrev_i32_e32 v15, 31, v14
	v_mad_u64_u32 v[2:3], null, s8, v2, 0
	v_add3_u32 v3, v3, v7, v5
	v_ashrrev_i32_e32 v5, 31, v4
	v_ashrrev_i32_e32 v7, 31, v6
	v_lshlrev_b64 v[2:3], 4, v[2:3]
	v_lshlrev_b64 v[4:5], 4, v[4:5]
	;; [unrolled: 1-line block ×3, first 2 shown]
	v_add_co_u32 v2, vcc_lo, s0, v2
	v_add_co_ci_u32_e64 v3, null, s1, v3, vcc_lo
	s_lshl_b64 s[0:1], s[6:7], 4
	v_add_co_u32 v2, vcc_lo, v2, s2
	v_add_co_ci_u32_e64 v3, null, s3, v3, vcc_lo
	v_add_co_u32 v40, vcc_lo, v2, v4
	v_add_co_ci_u32_e64 v41, null, v3, v5, vcc_lo
	v_add_co_u32 v36, vcc_lo, v2, v6
	v_add_nc_u32_e32 v6, s6, v14
	v_lshlrev_b64 v[4:5], 4, v[12:13]
	v_add_co_ci_u32_e64 v37, null, v3, v7, vcc_lo
	v_add_co_u32 v38, vcc_lo, v2, v8
	v_add_co_ci_u32_e64 v39, null, v3, v9, vcc_lo
	v_add_co_u32 v42, vcc_lo, v2, v10
	v_ashrrev_i32_e32 v7, 31, v6
	v_add_nc_u32_e32 v10, s6, v6
	v_lshlrev_b64 v[8:9], 4, v[14:15]
	v_add_co_ci_u32_e64 v43, null, v3, v11, vcc_lo
	v_add_co_u32 v44, vcc_lo, v2, v4
	v_add_co_ci_u32_e64 v45, null, v3, v5, vcc_lo
	v_lshlrev_b64 v[4:5], 4, v[6:7]
	v_ashrrev_i32_e32 v11, 31, v10
	v_add_nc_u32_e32 v6, s6, v10
	v_add_co_u32 v46, vcc_lo, v2, v8
	v_add_co_ci_u32_e64 v47, null, v3, v9, vcc_lo
	v_lshlrev_b64 v[8:9], 4, v[10:11]
	v_ashrrev_i32_e32 v7, 31, v6
	v_add_nc_u32_e32 v10, s6, v6
	;; [unrolled: 5-line block ×32, first 2 shown]
	v_add_co_u32 v175, vcc_lo, v2, v4
	v_add_co_ci_u32_e64 v176, null, v3, v5, vcc_lo
	v_lshlrev_b64 v[4:5], 4, v[6:7]
	v_add_nc_u32_e32 v6, s6, v10
	v_ashrrev_i32_e32 v11, 31, v10
	v_add_co_u32 v179, vcc_lo, v2, v8
	v_add_co_ci_u32_e64 v180, null, v3, v9, vcc_lo
	v_ashrrev_i32_e32 v7, 31, v6
	v_lshlrev_b64 v[8:9], 4, v[10:11]
	v_add_co_u32 v10, vcc_lo, v2, v4
	v_add_co_ci_u32_e64 v11, null, v3, v5, vcc_lo
	v_lshlrev_b64 v[4:5], 4, v[6:7]
	v_lshlrev_b32_e32 v6, 4, v0
	v_add_co_u32 v7, vcc_lo, v2, v8
	v_add_co_ci_u32_e64 v8, null, v3, v9, vcc_lo
	v_add_co_u32 v177, vcc_lo, v2, v4
	v_add_co_ci_u32_e64 v178, null, v3, v5, vcc_lo
	;; [unrolled: 2-line block ×4, first 2 shown]
	buffer_store_dword v2, off, s[16:19], 0 offset:320 ; 4-byte Folded Spill
	buffer_store_dword v3, off, s[16:19], 0 offset:324 ; 4-byte Folded Spill
	v_cmp_ne_u32_e64 s1, 0, v0
	v_cmp_eq_u32_e64 s0, 0, v0
	global_load_dwordx4 v[32:35], v[2:3], off
	s_waitcnt vmcnt(0)
	buffer_store_dword v32, off, s[16:19], 0 offset:160 ; 4-byte Folded Spill
	buffer_store_dword v33, off, s[16:19], 0 offset:164 ; 4-byte Folded Spill
	;; [unrolled: 1-line block ×6, first 2 shown]
	global_load_dwordx4 v[1:4], v[4:5], off
	s_waitcnt vmcnt(0)
	buffer_store_dword v1, off, s[16:19], 0 offset:144 ; 4-byte Folded Spill
	buffer_store_dword v2, off, s[16:19], 0 offset:148 ; 4-byte Folded Spill
	;; [unrolled: 1-line block ×6, first 2 shown]
	global_load_dwordx4 v[161:164], v[40:41], off
	buffer_store_dword v36, off, s[16:19], 0 offset:352 ; 4-byte Folded Spill
	buffer_store_dword v37, off, s[16:19], 0 offset:356 ; 4-byte Folded Spill
	global_load_dwordx4 v[157:160], v[36:37], off
	buffer_store_dword v38, off, s[16:19], 0 offset:360 ; 4-byte Folded Spill
	buffer_store_dword v39, off, s[16:19], 0 offset:364 ; 4-byte Folded Spill
	global_load_dwordx4 v[1:4], v[38:39], off
	s_waitcnt vmcnt(0)
	buffer_store_dword v1, off, s[16:19], 0 offset:128 ; 4-byte Folded Spill
	buffer_store_dword v2, off, s[16:19], 0 offset:132 ; 4-byte Folded Spill
	;; [unrolled: 1-line block ×6, first 2 shown]
	global_load_dwordx4 v[149:152], v[42:43], off
	buffer_store_dword v44, off, s[16:19], 0 offset:424 ; 4-byte Folded Spill
	buffer_store_dword v45, off, s[16:19], 0 offset:428 ; 4-byte Folded Spill
	global_load_dwordx4 v[205:208], v[44:45], off
	buffer_store_dword v46, off, s[16:19], 0 offset:416 ; 4-byte Folded Spill
	buffer_store_dword v47, off, s[16:19], 0 offset:420 ; 4-byte Folded Spill
	;; [unrolled: 3-line block ×19, first 2 shown]
	global_load_dwordx4 v[1:4], v[145:146], off
	s_waitcnt vmcnt(0)
	buffer_store_dword v1, off, s[16:19], 0 offset:112 ; 4-byte Folded Spill
	buffer_store_dword v2, off, s[16:19], 0 offset:116 ; 4-byte Folded Spill
	buffer_store_dword v3, off, s[16:19], 0 offset:120 ; 4-byte Folded Spill
	buffer_store_dword v4, off, s[16:19], 0 offset:124 ; 4-byte Folded Spill
	buffer_store_dword v153, off, s[16:19], 0 offset:544 ; 4-byte Folded Spill
	buffer_store_dword v154, off, s[16:19], 0 offset:548 ; 4-byte Folded Spill
	global_load_dwordx4 v[1:4], v[153:154], off
	s_waitcnt vmcnt(0)
	buffer_store_dword v1, off, s[16:19], 0 offset:96 ; 4-byte Folded Spill
	buffer_store_dword v2, off, s[16:19], 0 offset:100 ; 4-byte Folded Spill
	buffer_store_dword v3, off, s[16:19], 0 offset:104 ; 4-byte Folded Spill
	buffer_store_dword v4, off, s[16:19], 0 offset:108 ; 4-byte Folded Spill
	buffer_store_dword v14, off, s[16:19], 0 offset:184 ; 4-byte Folded Spill
	buffer_store_dword v15, off, s[16:19], 0 offset:188 ; 4-byte Folded Spill
	;; [unrolled: 8-line block ×7, first 2 shown]
	global_load_dwordx4 v[1:4], v[24:25], off
	s_waitcnt vmcnt(0)
	buffer_store_dword v1, off, s[16:19], 0 ; 4-byte Folded Spill
	buffer_store_dword v2, off, s[16:19], 0 offset:4 ; 4-byte Folded Spill
	buffer_store_dword v3, off, s[16:19], 0 offset:8 ; 4-byte Folded Spill
	;; [unrolled: 1-line block ×5, first 2 shown]
	global_load_dwordx4 v[233:236], v[26:27], off
	buffer_store_dword v28, off, s[16:19], 0 offset:240 ; 4-byte Folded Spill
	buffer_store_dword v29, off, s[16:19], 0 offset:244 ; 4-byte Folded Spill
	global_load_dwordx4 v[213:216], v[28:29], off
	buffer_store_dword v30, off, s[16:19], 0 offset:248 ; 4-byte Folded Spill
	buffer_store_dword v31, off, s[16:19], 0 offset:252 ; 4-byte Folded Spill
	global_load_dwordx4 v[33:36], v[30:31], off
	buffer_store_dword v165, off, s[16:19], 0 offset:256 ; 4-byte Folded Spill
	buffer_store_dword v166, off, s[16:19], 0 offset:260 ; 4-byte Folded Spill
	global_load_dwordx4 v[29:32], v[165:166], off
	buffer_store_dword v169, off, s[16:19], 0 offset:264 ; 4-byte Folded Spill
	buffer_store_dword v170, off, s[16:19], 0 offset:268 ; 4-byte Folded Spill
	global_load_dwordx4 v[25:28], v[169:170], off
	buffer_store_dword v173, off, s[16:19], 0 offset:272 ; 4-byte Folded Spill
	buffer_store_dword v174, off, s[16:19], 0 offset:276 ; 4-byte Folded Spill
	global_load_dwordx4 v[21:24], v[173:174], off
	buffer_store_dword v175, off, s[16:19], 0 offset:280 ; 4-byte Folded Spill
	buffer_store_dword v176, off, s[16:19], 0 offset:284 ; 4-byte Folded Spill
	global_load_dwordx4 v[17:20], v[175:176], off
	buffer_store_dword v179, off, s[16:19], 0 offset:312 ; 4-byte Folded Spill
	buffer_store_dword v180, off, s[16:19], 0 offset:316 ; 4-byte Folded Spill
	global_load_dwordx4 v[13:16], v[179:180], off
	buffer_store_dword v10, off, s[16:19], 0 offset:288 ; 4-byte Folded Spill
	buffer_store_dword v11, off, s[16:19], 0 offset:292 ; 4-byte Folded Spill
	global_load_dwordx4 v[9:12], v[10:11], off
	buffer_store_dword v7, off, s[16:19], 0 offset:296 ; 4-byte Folded Spill
	buffer_store_dword v8, off, s[16:19], 0 offset:300 ; 4-byte Folded Spill
	global_load_dwordx4 v[5:8], v[7:8], off
	buffer_store_dword v177, off, s[16:19], 0 offset:304 ; 4-byte Folded Spill
	buffer_store_dword v178, off, s[16:19], 0 offset:308 ; 4-byte Folded Spill
	global_load_dwordx4 v[1:4], v[177:178], off
	s_and_saveexec_b32 s3, s0
	s_cbranch_execz .LBB85_8
; %bb.2:
	s_clause 0x3
	buffer_load_dword v173, off, s[16:19], 0 offset:160
	buffer_load_dword v174, off, s[16:19], 0 offset:164
	;; [unrolled: 1-line block ×4, first 2 shown]
	s_waitcnt vmcnt(0)
	ds_write2_b64 v255, v[173:174], v[175:176] offset1:1
	s_clause 0x3
	buffer_load_dword v173, off, s[16:19], 0 offset:144
	buffer_load_dword v174, off, s[16:19], 0 offset:148
	;; [unrolled: 1-line block ×4, first 2 shown]
	s_waitcnt vmcnt(0)
	ds_write2_b64 v253, v[173:174], v[175:176] offset0:2 offset1:3
	ds_write2_b64 v253, v[161:162], v[163:164] offset0:4 offset1:5
	;; [unrolled: 1-line block ×3, first 2 shown]
	s_clause 0x3
	buffer_load_dword v153, off, s[16:19], 0 offset:128
	buffer_load_dword v154, off, s[16:19], 0 offset:132
	;; [unrolled: 1-line block ×4, first 2 shown]
	s_waitcnt vmcnt(0)
	ds_write2_b64 v253, v[153:154], v[155:156] offset0:8 offset1:9
	ds_write2_b64 v253, v[149:150], v[151:152] offset0:10 offset1:11
	;; [unrolled: 1-line block ×20, first 2 shown]
	s_clause 0x3
	buffer_load_dword v37, off, s[16:19], 0 offset:112
	buffer_load_dword v38, off, s[16:19], 0 offset:116
	buffer_load_dword v39, off, s[16:19], 0 offset:120
	buffer_load_dword v40, off, s[16:19], 0 offset:124
	s_waitcnt vmcnt(0)
	ds_write2_b64 v253, v[37:38], v[39:40] offset0:48 offset1:49
	s_clause 0x3
	buffer_load_dword v37, off, s[16:19], 0 offset:96
	buffer_load_dword v38, off, s[16:19], 0 offset:100
	buffer_load_dword v39, off, s[16:19], 0 offset:104
	buffer_load_dword v40, off, s[16:19], 0 offset:108
	s_waitcnt vmcnt(0)
	ds_write2_b64 v253, v[37:38], v[39:40] offset0:50 offset1:51
	;; [unrolled: 7-line block ×7, first 2 shown]
	s_clause 0x3
	buffer_load_dword v37, off, s[16:19], 0
	buffer_load_dword v38, off, s[16:19], 0 offset:4
	buffer_load_dword v39, off, s[16:19], 0 offset:8
	;; [unrolled: 1-line block ×3, first 2 shown]
	s_waitcnt vmcnt(0)
	ds_write2_b64 v253, v[37:38], v[39:40] offset0:62 offset1:63
	ds_write2_b64 v253, v[233:234], v[235:236] offset0:64 offset1:65
	;; [unrolled: 1-line block ×12, first 2 shown]
	ds_read2_b64 v[173:176], v255 offset1:1
	s_waitcnt lgkmcnt(0)
	v_cmp_neq_f64_e32 vcc_lo, 0, v[173:174]
	v_cmp_neq_f64_e64 s2, 0, v[175:176]
	s_or_b32 s2, vcc_lo, s2
	s_and_b32 exec_lo, exec_lo, s2
	s_cbranch_execz .LBB85_8
; %bb.3:
	v_cmp_ngt_f64_e64 s2, |v[173:174]|, |v[175:176]|
                                        ; implicit-def: $vgpr177_vgpr178
	s_and_saveexec_b32 s4, s2
	s_xor_b32 s2, exec_lo, s4
                                        ; implicit-def: $vgpr179_vgpr180
	s_cbranch_execz .LBB85_5
; %bb.4:
	v_div_scale_f64 v[177:178], null, v[175:176], v[175:176], v[173:174]
	v_div_scale_f64 v[183:184], vcc_lo, v[173:174], v[175:176], v[173:174]
	v_rcp_f64_e32 v[179:180], v[177:178]
	v_fma_f64 v[181:182], -v[177:178], v[179:180], 1.0
	v_fma_f64 v[179:180], v[179:180], v[181:182], v[179:180]
	v_fma_f64 v[181:182], -v[177:178], v[179:180], 1.0
	v_fma_f64 v[179:180], v[179:180], v[181:182], v[179:180]
	v_mul_f64 v[181:182], v[183:184], v[179:180]
	v_fma_f64 v[177:178], -v[177:178], v[181:182], v[183:184]
	v_div_fmas_f64 v[177:178], v[177:178], v[179:180], v[181:182]
	v_div_fixup_f64 v[177:178], v[177:178], v[175:176], v[173:174]
	v_fma_f64 v[173:174], v[173:174], v[177:178], v[175:176]
	v_div_scale_f64 v[175:176], null, v[173:174], v[173:174], 1.0
	v_rcp_f64_e32 v[179:180], v[175:176]
	v_fma_f64 v[181:182], -v[175:176], v[179:180], 1.0
	v_fma_f64 v[179:180], v[179:180], v[181:182], v[179:180]
	v_fma_f64 v[181:182], -v[175:176], v[179:180], 1.0
	v_fma_f64 v[179:180], v[179:180], v[181:182], v[179:180]
	v_div_scale_f64 v[181:182], vcc_lo, 1.0, v[173:174], 1.0
	v_mul_f64 v[183:184], v[181:182], v[179:180]
	v_fma_f64 v[175:176], -v[175:176], v[183:184], v[181:182]
	v_div_fmas_f64 v[175:176], v[175:176], v[179:180], v[183:184]
	v_div_fixup_f64 v[179:180], v[175:176], v[173:174], 1.0
                                        ; implicit-def: $vgpr173_vgpr174
	v_mul_f64 v[177:178], v[177:178], v[179:180]
	v_xor_b32_e32 v180, 0x80000000, v180
.LBB85_5:
	s_andn2_saveexec_b32 s2, s2
	s_cbranch_execz .LBB85_7
; %bb.6:
	v_div_scale_f64 v[177:178], null, v[173:174], v[173:174], v[175:176]
	v_div_scale_f64 v[183:184], vcc_lo, v[175:176], v[173:174], v[175:176]
	v_rcp_f64_e32 v[179:180], v[177:178]
	v_fma_f64 v[181:182], -v[177:178], v[179:180], 1.0
	v_fma_f64 v[179:180], v[179:180], v[181:182], v[179:180]
	v_fma_f64 v[181:182], -v[177:178], v[179:180], 1.0
	v_fma_f64 v[179:180], v[179:180], v[181:182], v[179:180]
	v_mul_f64 v[181:182], v[183:184], v[179:180]
	v_fma_f64 v[177:178], -v[177:178], v[181:182], v[183:184]
	v_div_fmas_f64 v[177:178], v[177:178], v[179:180], v[181:182]
	v_div_fixup_f64 v[179:180], v[177:178], v[173:174], v[175:176]
	v_fma_f64 v[173:174], v[175:176], v[179:180], v[173:174]
	v_div_scale_f64 v[175:176], null, v[173:174], v[173:174], 1.0
	v_rcp_f64_e32 v[177:178], v[175:176]
	v_fma_f64 v[181:182], -v[175:176], v[177:178], 1.0
	v_fma_f64 v[177:178], v[177:178], v[181:182], v[177:178]
	v_fma_f64 v[181:182], -v[175:176], v[177:178], 1.0
	v_fma_f64 v[177:178], v[177:178], v[181:182], v[177:178]
	v_div_scale_f64 v[181:182], vcc_lo, 1.0, v[173:174], 1.0
	v_mul_f64 v[183:184], v[181:182], v[177:178]
	v_fma_f64 v[175:176], -v[175:176], v[183:184], v[181:182]
	v_div_fmas_f64 v[175:176], v[175:176], v[177:178], v[183:184]
	v_div_fixup_f64 v[177:178], v[175:176], v[173:174], 1.0
	v_mul_f64 v[179:180], v[179:180], -v[177:178]
.LBB85_7:
	s_or_b32 exec_lo, exec_lo, s2
	ds_write2_b64 v255, v[177:178], v[179:180] offset1:1
.LBB85_8:
	s_or_b32 exec_lo, exec_lo, s3
	s_waitcnt vmcnt(0) lgkmcnt(0)
	s_waitcnt_vscnt null, 0x0
	s_barrier
	buffer_gl0_inv
	ds_read2_b64 v[173:176], v255 offset1:1
	s_waitcnt lgkmcnt(0)
	buffer_store_dword v173, off, s[16:19], 0 offset:336 ; 4-byte Folded Spill
	buffer_store_dword v174, off, s[16:19], 0 offset:340 ; 4-byte Folded Spill
	buffer_store_dword v175, off, s[16:19], 0 offset:344 ; 4-byte Folded Spill
	buffer_store_dword v176, off, s[16:19], 0 offset:348 ; 4-byte Folded Spill
	s_and_saveexec_b32 s2, s1
	s_cbranch_execz .LBB85_10
; %bb.9:
	s_clause 0x7
	buffer_load_dword v179, off, s[16:19], 0 offset:160
	buffer_load_dword v180, off, s[16:19], 0 offset:164
	;; [unrolled: 1-line block ×8, first 2 shown]
	s_waitcnt vmcnt(2)
	v_mul_f64 v[171:172], v[175:176], v[181:182]
	s_waitcnt vmcnt(0)
	v_mul_f64 v[173:174], v[177:178], v[181:182]
	v_fma_f64 v[181:182], v[177:178], v[179:180], v[171:172]
	v_fma_f64 v[173:174], v[175:176], v[179:180], -v[173:174]
	ds_read2_b64 v[175:178], v253 offset0:2 offset1:3
	s_waitcnt lgkmcnt(0)
	v_mul_f64 v[169:170], v[177:178], v[181:182]
	v_fma_f64 v[169:170], v[175:176], v[173:174], -v[169:170]
	v_mul_f64 v[175:176], v[175:176], v[181:182]
	v_fma_f64 v[175:176], v[177:178], v[173:174], v[175:176]
	s_clause 0x3
	buffer_load_dword v177, off, s[16:19], 0 offset:144
	buffer_load_dword v178, off, s[16:19], 0 offset:148
	;; [unrolled: 1-line block ×4, first 2 shown]
	s_waitcnt vmcnt(2)
	v_add_f64 v[177:178], v[177:178], -v[169:170]
	s_waitcnt vmcnt(0)
	v_add_f64 v[179:180], v[179:180], -v[175:176]
	buffer_store_dword v177, off, s[16:19], 0 offset:144 ; 4-byte Folded Spill
	buffer_store_dword v178, off, s[16:19], 0 offset:148 ; 4-byte Folded Spill
	;; [unrolled: 1-line block ×4, first 2 shown]
	ds_read2_b64 v[175:178], v253 offset0:4 offset1:5
	v_mov_b32_e32 v180, v174
	v_mov_b32_e32 v179, v173
	s_waitcnt lgkmcnt(0)
	v_mul_f64 v[169:170], v[177:178], v[181:182]
	v_fma_f64 v[169:170], v[175:176], v[173:174], -v[169:170]
	v_mul_f64 v[175:176], v[175:176], v[181:182]
	v_add_f64 v[161:162], v[161:162], -v[169:170]
	v_fma_f64 v[175:176], v[177:178], v[173:174], v[175:176]
	v_add_f64 v[163:164], v[163:164], -v[175:176]
	ds_read2_b64 v[175:178], v253 offset0:6 offset1:7
	s_waitcnt lgkmcnt(0)
	v_mul_f64 v[169:170], v[177:178], v[181:182]
	v_fma_f64 v[169:170], v[175:176], v[173:174], -v[169:170]
	v_mul_f64 v[175:176], v[175:176], v[181:182]
	v_add_f64 v[157:158], v[157:158], -v[169:170]
	v_fma_f64 v[175:176], v[177:178], v[173:174], v[175:176]
	v_add_f64 v[159:160], v[159:160], -v[175:176]
	ds_read2_b64 v[175:178], v253 offset0:8 offset1:9
	s_clause 0x3
	buffer_load_dword v153, off, s[16:19], 0 offset:128
	buffer_load_dword v154, off, s[16:19], 0 offset:132
	;; [unrolled: 1-line block ×4, first 2 shown]
	s_waitcnt lgkmcnt(0)
	v_mul_f64 v[169:170], v[177:178], v[181:182]
	v_fma_f64 v[169:170], v[175:176], v[173:174], -v[169:170]
	v_mul_f64 v[175:176], v[175:176], v[181:182]
	v_fma_f64 v[175:176], v[177:178], v[173:174], v[175:176]
	s_waitcnt vmcnt(2)
	v_add_f64 v[153:154], v[153:154], -v[169:170]
	s_waitcnt vmcnt(0)
	v_add_f64 v[155:156], v[155:156], -v[175:176]
	buffer_store_dword v153, off, s[16:19], 0 offset:128 ; 4-byte Folded Spill
	buffer_store_dword v154, off, s[16:19], 0 offset:132 ; 4-byte Folded Spill
	;; [unrolled: 1-line block ×4, first 2 shown]
	ds_read2_b64 v[175:178], v253 offset0:10 offset1:11
	s_waitcnt lgkmcnt(0)
	v_mul_f64 v[169:170], v[177:178], v[181:182]
	v_fma_f64 v[169:170], v[175:176], v[173:174], -v[169:170]
	v_mul_f64 v[175:176], v[175:176], v[181:182]
	v_add_f64 v[149:150], v[149:150], -v[169:170]
	v_fma_f64 v[175:176], v[177:178], v[173:174], v[175:176]
	v_add_f64 v[151:152], v[151:152], -v[175:176]
	ds_read2_b64 v[175:178], v253 offset0:12 offset1:13
	s_waitcnt lgkmcnt(0)
	v_mul_f64 v[169:170], v[177:178], v[181:182]
	v_fma_f64 v[169:170], v[175:176], v[173:174], -v[169:170]
	v_mul_f64 v[175:176], v[175:176], v[181:182]
	v_add_f64 v[205:206], v[205:206], -v[169:170]
	v_fma_f64 v[175:176], v[177:178], v[173:174], v[175:176]
	v_add_f64 v[207:208], v[207:208], -v[175:176]
	;; [unrolled: 8-line block ×19, first 2 shown]
	ds_read2_b64 v[175:178], v253 offset0:48 offset1:49
	s_clause 0x3
	buffer_load_dword v37, off, s[16:19], 0 offset:112
	buffer_load_dword v38, off, s[16:19], 0 offset:116
	buffer_load_dword v39, off, s[16:19], 0 offset:120
	buffer_load_dword v40, off, s[16:19], 0 offset:124
	s_waitcnt lgkmcnt(0)
	v_mul_f64 v[169:170], v[177:178], v[181:182]
	v_fma_f64 v[169:170], v[175:176], v[173:174], -v[169:170]
	v_mul_f64 v[175:176], v[175:176], v[181:182]
	v_fma_f64 v[175:176], v[177:178], v[173:174], v[175:176]
	s_waitcnt vmcnt(2)
	v_add_f64 v[37:38], v[37:38], -v[169:170]
	s_waitcnt vmcnt(0)
	v_add_f64 v[39:40], v[39:40], -v[175:176]
	buffer_store_dword v37, off, s[16:19], 0 offset:112 ; 4-byte Folded Spill
	buffer_store_dword v38, off, s[16:19], 0 offset:116 ; 4-byte Folded Spill
	buffer_store_dword v39, off, s[16:19], 0 offset:120 ; 4-byte Folded Spill
	buffer_store_dword v40, off, s[16:19], 0 offset:124 ; 4-byte Folded Spill
	ds_read2_b64 v[175:178], v253 offset0:50 offset1:51
	s_clause 0x3
	buffer_load_dword v37, off, s[16:19], 0 offset:96
	buffer_load_dword v38, off, s[16:19], 0 offset:100
	buffer_load_dword v39, off, s[16:19], 0 offset:104
	buffer_load_dword v40, off, s[16:19], 0 offset:108
	s_waitcnt lgkmcnt(0)
	v_mul_f64 v[169:170], v[177:178], v[181:182]
	v_fma_f64 v[169:170], v[175:176], v[173:174], -v[169:170]
	v_mul_f64 v[175:176], v[175:176], v[181:182]
	v_fma_f64 v[175:176], v[177:178], v[173:174], v[175:176]
	s_waitcnt vmcnt(2)
	v_add_f64 v[37:38], v[37:38], -v[169:170]
	s_waitcnt vmcnt(0)
	v_add_f64 v[39:40], v[39:40], -v[175:176]
	buffer_store_dword v37, off, s[16:19], 0 offset:96 ; 4-byte Folded Spill
	buffer_store_dword v38, off, s[16:19], 0 offset:100 ; 4-byte Folded Spill
	buffer_store_dword v39, off, s[16:19], 0 offset:104 ; 4-byte Folded Spill
	buffer_store_dword v40, off, s[16:19], 0 offset:108 ; 4-byte Folded Spill
	;; [unrolled: 19-line block ×7, first 2 shown]
	ds_read2_b64 v[175:178], v253 offset0:62 offset1:63
	s_clause 0x3
	buffer_load_dword v37, off, s[16:19], 0
	buffer_load_dword v38, off, s[16:19], 0 offset:4
	buffer_load_dword v39, off, s[16:19], 0 offset:8
	;; [unrolled: 1-line block ×3, first 2 shown]
	s_waitcnt lgkmcnt(0)
	v_mul_f64 v[169:170], v[177:178], v[181:182]
	v_fma_f64 v[169:170], v[175:176], v[173:174], -v[169:170]
	v_mul_f64 v[175:176], v[175:176], v[181:182]
	v_fma_f64 v[175:176], v[177:178], v[173:174], v[175:176]
	s_waitcnt vmcnt(2)
	v_add_f64 v[37:38], v[37:38], -v[169:170]
	s_waitcnt vmcnt(0)
	v_add_f64 v[39:40], v[39:40], -v[175:176]
	buffer_store_dword v37, off, s[16:19], 0 ; 4-byte Folded Spill
	buffer_store_dword v38, off, s[16:19], 0 offset:4 ; 4-byte Folded Spill
	buffer_store_dword v39, off, s[16:19], 0 offset:8 ; 4-byte Folded Spill
	;; [unrolled: 1-line block ×3, first 2 shown]
	ds_read2_b64 v[175:178], v253 offset0:64 offset1:65
	s_waitcnt lgkmcnt(0)
	v_mul_f64 v[169:170], v[177:178], v[181:182]
	v_fma_f64 v[169:170], v[175:176], v[173:174], -v[169:170]
	v_mul_f64 v[175:176], v[175:176], v[181:182]
	v_add_f64 v[233:234], v[233:234], -v[169:170]
	v_fma_f64 v[175:176], v[177:178], v[173:174], v[175:176]
	v_add_f64 v[235:236], v[235:236], -v[175:176]
	ds_read2_b64 v[175:178], v253 offset0:66 offset1:67
	s_waitcnt lgkmcnt(0)
	v_mul_f64 v[169:170], v[177:178], v[181:182]
	v_fma_f64 v[169:170], v[175:176], v[173:174], -v[169:170]
	v_mul_f64 v[175:176], v[175:176], v[181:182]
	v_add_f64 v[213:214], v[213:214], -v[169:170]
	v_fma_f64 v[175:176], v[177:178], v[173:174], v[175:176]
	v_add_f64 v[215:216], v[215:216], -v[175:176]
	;; [unrolled: 8-line block ×10, first 2 shown]
	ds_read2_b64 v[175:178], v253 offset0:84 offset1:85
	s_waitcnt lgkmcnt(0)
	v_mul_f64 v[169:170], v[177:178], v[181:182]
	v_fma_f64 v[169:170], v[175:176], v[173:174], -v[169:170]
	v_mul_f64 v[175:176], v[175:176], v[181:182]
	buffer_store_dword v179, off, s[16:19], 0 offset:160 ; 4-byte Folded Spill
	buffer_store_dword v180, off, s[16:19], 0 offset:164 ; 4-byte Folded Spill
	;; [unrolled: 1-line block ×4, first 2 shown]
	v_add_f64 v[1:2], v[1:2], -v[169:170]
	v_fma_f64 v[175:176], v[177:178], v[173:174], v[175:176]
	v_add_f64 v[3:4], v[3:4], -v[175:176]
.LBB85_10:
	s_or_b32 exec_lo, exec_lo, s2
	s_mov_b32 s2, exec_lo
	s_waitcnt_vscnt null, 0x0
	s_barrier
	buffer_gl0_inv
	v_cmpx_eq_u32_e32 1, v0
	s_cbranch_execz .LBB85_17
; %bb.11:
	s_clause 0x3
	buffer_load_dword v173, off, s[16:19], 0 offset:144
	buffer_load_dword v174, off, s[16:19], 0 offset:148
	;; [unrolled: 1-line block ×4, first 2 shown]
	s_waitcnt vmcnt(0)
	ds_write2_b64 v255, v[173:174], v[175:176] offset1:1
	ds_write2_b64 v253, v[161:162], v[163:164] offset0:4 offset1:5
	ds_write2_b64 v253, v[157:158], v[159:160] offset0:6 offset1:7
	s_clause 0x3
	buffer_load_dword v153, off, s[16:19], 0 offset:128
	buffer_load_dword v154, off, s[16:19], 0 offset:132
	;; [unrolled: 1-line block ×4, first 2 shown]
	s_waitcnt vmcnt(0)
	ds_write2_b64 v253, v[153:154], v[155:156] offset0:8 offset1:9
	ds_write2_b64 v253, v[149:150], v[151:152] offset0:10 offset1:11
	;; [unrolled: 1-line block ×20, first 2 shown]
	s_clause 0x3
	buffer_load_dword v37, off, s[16:19], 0 offset:112
	buffer_load_dword v38, off, s[16:19], 0 offset:116
	buffer_load_dword v39, off, s[16:19], 0 offset:120
	buffer_load_dword v40, off, s[16:19], 0 offset:124
	s_waitcnt vmcnt(0)
	ds_write2_b64 v253, v[37:38], v[39:40] offset0:48 offset1:49
	s_clause 0x3
	buffer_load_dword v37, off, s[16:19], 0 offset:96
	buffer_load_dword v38, off, s[16:19], 0 offset:100
	buffer_load_dword v39, off, s[16:19], 0 offset:104
	buffer_load_dword v40, off, s[16:19], 0 offset:108
	s_waitcnt vmcnt(0)
	ds_write2_b64 v253, v[37:38], v[39:40] offset0:50 offset1:51
	;; [unrolled: 7-line block ×7, first 2 shown]
	s_clause 0x3
	buffer_load_dword v37, off, s[16:19], 0
	buffer_load_dword v38, off, s[16:19], 0 offset:4
	buffer_load_dword v39, off, s[16:19], 0 offset:8
	;; [unrolled: 1-line block ×3, first 2 shown]
	s_waitcnt vmcnt(0)
	ds_write2_b64 v253, v[37:38], v[39:40] offset0:62 offset1:63
	ds_write2_b64 v253, v[233:234], v[235:236] offset0:64 offset1:65
	;; [unrolled: 1-line block ×12, first 2 shown]
	ds_read2_b64 v[173:176], v255 offset1:1
	s_waitcnt lgkmcnt(0)
	v_cmp_neq_f64_e32 vcc_lo, 0, v[173:174]
	v_cmp_neq_f64_e64 s1, 0, v[175:176]
	s_or_b32 s1, vcc_lo, s1
	s_and_b32 exec_lo, exec_lo, s1
	s_cbranch_execz .LBB85_17
; %bb.12:
	v_cmp_ngt_f64_e64 s1, |v[173:174]|, |v[175:176]|
                                        ; implicit-def: $vgpr177_vgpr178
	s_and_saveexec_b32 s3, s1
	s_xor_b32 s1, exec_lo, s3
                                        ; implicit-def: $vgpr179_vgpr180
	s_cbranch_execz .LBB85_14
; %bb.13:
	v_div_scale_f64 v[177:178], null, v[175:176], v[175:176], v[173:174]
	v_div_scale_f64 v[183:184], vcc_lo, v[173:174], v[175:176], v[173:174]
	v_rcp_f64_e32 v[179:180], v[177:178]
	v_fma_f64 v[181:182], -v[177:178], v[179:180], 1.0
	v_fma_f64 v[179:180], v[179:180], v[181:182], v[179:180]
	v_fma_f64 v[181:182], -v[177:178], v[179:180], 1.0
	v_fma_f64 v[179:180], v[179:180], v[181:182], v[179:180]
	v_mul_f64 v[181:182], v[183:184], v[179:180]
	v_fma_f64 v[177:178], -v[177:178], v[181:182], v[183:184]
	v_div_fmas_f64 v[177:178], v[177:178], v[179:180], v[181:182]
	v_div_fixup_f64 v[177:178], v[177:178], v[175:176], v[173:174]
	v_fma_f64 v[173:174], v[173:174], v[177:178], v[175:176]
	v_div_scale_f64 v[175:176], null, v[173:174], v[173:174], 1.0
	v_rcp_f64_e32 v[179:180], v[175:176]
	v_fma_f64 v[181:182], -v[175:176], v[179:180], 1.0
	v_fma_f64 v[179:180], v[179:180], v[181:182], v[179:180]
	v_fma_f64 v[181:182], -v[175:176], v[179:180], 1.0
	v_fma_f64 v[179:180], v[179:180], v[181:182], v[179:180]
	v_div_scale_f64 v[181:182], vcc_lo, 1.0, v[173:174], 1.0
	v_mul_f64 v[183:184], v[181:182], v[179:180]
	v_fma_f64 v[175:176], -v[175:176], v[183:184], v[181:182]
	v_div_fmas_f64 v[175:176], v[175:176], v[179:180], v[183:184]
	v_div_fixup_f64 v[179:180], v[175:176], v[173:174], 1.0
                                        ; implicit-def: $vgpr173_vgpr174
	v_mul_f64 v[177:178], v[177:178], v[179:180]
	v_xor_b32_e32 v180, 0x80000000, v180
.LBB85_14:
	s_andn2_saveexec_b32 s1, s1
	s_cbranch_execz .LBB85_16
; %bb.15:
	v_div_scale_f64 v[177:178], null, v[173:174], v[173:174], v[175:176]
	v_div_scale_f64 v[183:184], vcc_lo, v[175:176], v[173:174], v[175:176]
	v_rcp_f64_e32 v[179:180], v[177:178]
	v_fma_f64 v[181:182], -v[177:178], v[179:180], 1.0
	v_fma_f64 v[179:180], v[179:180], v[181:182], v[179:180]
	v_fma_f64 v[181:182], -v[177:178], v[179:180], 1.0
	v_fma_f64 v[179:180], v[179:180], v[181:182], v[179:180]
	v_mul_f64 v[181:182], v[183:184], v[179:180]
	v_fma_f64 v[177:178], -v[177:178], v[181:182], v[183:184]
	v_div_fmas_f64 v[177:178], v[177:178], v[179:180], v[181:182]
	v_div_fixup_f64 v[179:180], v[177:178], v[173:174], v[175:176]
	v_fma_f64 v[173:174], v[175:176], v[179:180], v[173:174]
	v_div_scale_f64 v[175:176], null, v[173:174], v[173:174], 1.0
	v_rcp_f64_e32 v[177:178], v[175:176]
	v_fma_f64 v[181:182], -v[175:176], v[177:178], 1.0
	v_fma_f64 v[177:178], v[177:178], v[181:182], v[177:178]
	v_fma_f64 v[181:182], -v[175:176], v[177:178], 1.0
	v_fma_f64 v[177:178], v[177:178], v[181:182], v[177:178]
	v_div_scale_f64 v[181:182], vcc_lo, 1.0, v[173:174], 1.0
	v_mul_f64 v[183:184], v[181:182], v[177:178]
	v_fma_f64 v[175:176], -v[175:176], v[183:184], v[181:182]
	v_div_fmas_f64 v[175:176], v[175:176], v[177:178], v[183:184]
	v_div_fixup_f64 v[177:178], v[175:176], v[173:174], 1.0
	v_mul_f64 v[179:180], v[179:180], -v[177:178]
.LBB85_16:
	s_or_b32 exec_lo, exec_lo, s1
	ds_write2_b64 v255, v[177:178], v[179:180] offset1:1
.LBB85_17:
	s_or_b32 exec_lo, exec_lo, s2
	s_waitcnt lgkmcnt(0)
	s_barrier
	buffer_gl0_inv
	ds_read2_b64 v[189:192], v255 offset1:1
	s_mov_b32 s1, exec_lo
	v_cmpx_lt_u32_e32 1, v0
	s_cbranch_execz .LBB85_19
; %bb.18:
	s_clause 0x3
	buffer_load_dword v177, off, s[16:19], 0 offset:144
	buffer_load_dword v178, off, s[16:19], 0 offset:148
	;; [unrolled: 1-line block ×4, first 2 shown]
	s_waitcnt vmcnt(0) lgkmcnt(0)
	v_mul_f64 v[167:168], v[189:190], v[179:180]
	v_mul_f64 v[173:174], v[191:192], v[179:180]
	v_fma_f64 v[179:180], v[191:192], v[177:178], v[167:168]
	v_fma_f64 v[173:174], v[189:190], v[177:178], -v[173:174]
	ds_read2_b64 v[175:178], v253 offset0:4 offset1:5
	s_waitcnt lgkmcnt(0)
	v_mul_f64 v[165:166], v[177:178], v[179:180]
	v_fma_f64 v[165:166], v[175:176], v[173:174], -v[165:166]
	v_mul_f64 v[175:176], v[175:176], v[179:180]
	v_add_f64 v[161:162], v[161:162], -v[165:166]
	v_fma_f64 v[175:176], v[177:178], v[173:174], v[175:176]
	v_add_f64 v[163:164], v[163:164], -v[175:176]
	ds_read2_b64 v[175:178], v253 offset0:6 offset1:7
	s_waitcnt lgkmcnt(0)
	v_mul_f64 v[165:166], v[177:178], v[179:180]
	v_fma_f64 v[165:166], v[175:176], v[173:174], -v[165:166]
	v_mul_f64 v[175:176], v[175:176], v[179:180]
	v_add_f64 v[157:158], v[157:158], -v[165:166]
	v_fma_f64 v[175:176], v[177:178], v[173:174], v[175:176]
	v_add_f64 v[159:160], v[159:160], -v[175:176]
	ds_read2_b64 v[175:178], v253 offset0:8 offset1:9
	s_clause 0x3
	buffer_load_dword v153, off, s[16:19], 0 offset:128
	buffer_load_dword v154, off, s[16:19], 0 offset:132
	;; [unrolled: 1-line block ×4, first 2 shown]
	s_waitcnt lgkmcnt(0)
	v_mul_f64 v[165:166], v[177:178], v[179:180]
	v_fma_f64 v[165:166], v[175:176], v[173:174], -v[165:166]
	v_mul_f64 v[175:176], v[175:176], v[179:180]
	v_fma_f64 v[175:176], v[177:178], v[173:174], v[175:176]
	s_waitcnt vmcnt(2)
	v_add_f64 v[153:154], v[153:154], -v[165:166]
	s_waitcnt vmcnt(0)
	v_add_f64 v[155:156], v[155:156], -v[175:176]
	buffer_store_dword v153, off, s[16:19], 0 offset:128 ; 4-byte Folded Spill
	buffer_store_dword v154, off, s[16:19], 0 offset:132 ; 4-byte Folded Spill
	;; [unrolled: 1-line block ×4, first 2 shown]
	ds_read2_b64 v[175:178], v253 offset0:10 offset1:11
	s_waitcnt lgkmcnt(0)
	v_mul_f64 v[165:166], v[177:178], v[179:180]
	v_fma_f64 v[165:166], v[175:176], v[173:174], -v[165:166]
	v_mul_f64 v[175:176], v[175:176], v[179:180]
	v_add_f64 v[149:150], v[149:150], -v[165:166]
	v_fma_f64 v[175:176], v[177:178], v[173:174], v[175:176]
	v_add_f64 v[151:152], v[151:152], -v[175:176]
	ds_read2_b64 v[175:178], v253 offset0:12 offset1:13
	s_waitcnt lgkmcnt(0)
	v_mul_f64 v[165:166], v[177:178], v[179:180]
	v_fma_f64 v[165:166], v[175:176], v[173:174], -v[165:166]
	v_mul_f64 v[175:176], v[175:176], v[179:180]
	v_add_f64 v[205:206], v[205:206], -v[165:166]
	v_fma_f64 v[175:176], v[177:178], v[173:174], v[175:176]
	v_add_f64 v[207:208], v[207:208], -v[175:176]
	;; [unrolled: 8-line block ×19, first 2 shown]
	ds_read2_b64 v[175:178], v253 offset0:48 offset1:49
	s_clause 0x3
	buffer_load_dword v37, off, s[16:19], 0 offset:112
	buffer_load_dword v38, off, s[16:19], 0 offset:116
	buffer_load_dword v39, off, s[16:19], 0 offset:120
	buffer_load_dword v40, off, s[16:19], 0 offset:124
	s_waitcnt lgkmcnt(0)
	v_mul_f64 v[165:166], v[177:178], v[179:180]
	v_fma_f64 v[165:166], v[175:176], v[173:174], -v[165:166]
	v_mul_f64 v[175:176], v[175:176], v[179:180]
	v_fma_f64 v[175:176], v[177:178], v[173:174], v[175:176]
	s_waitcnt vmcnt(2)
	v_add_f64 v[37:38], v[37:38], -v[165:166]
	s_waitcnt vmcnt(0)
	v_add_f64 v[39:40], v[39:40], -v[175:176]
	buffer_store_dword v37, off, s[16:19], 0 offset:112 ; 4-byte Folded Spill
	buffer_store_dword v38, off, s[16:19], 0 offset:116 ; 4-byte Folded Spill
	buffer_store_dword v39, off, s[16:19], 0 offset:120 ; 4-byte Folded Spill
	buffer_store_dword v40, off, s[16:19], 0 offset:124 ; 4-byte Folded Spill
	ds_read2_b64 v[175:178], v253 offset0:50 offset1:51
	s_clause 0x3
	buffer_load_dword v37, off, s[16:19], 0 offset:96
	buffer_load_dword v38, off, s[16:19], 0 offset:100
	buffer_load_dword v39, off, s[16:19], 0 offset:104
	buffer_load_dword v40, off, s[16:19], 0 offset:108
	s_waitcnt lgkmcnt(0)
	v_mul_f64 v[165:166], v[177:178], v[179:180]
	v_fma_f64 v[165:166], v[175:176], v[173:174], -v[165:166]
	v_mul_f64 v[175:176], v[175:176], v[179:180]
	v_fma_f64 v[175:176], v[177:178], v[173:174], v[175:176]
	s_waitcnt vmcnt(2)
	v_add_f64 v[37:38], v[37:38], -v[165:166]
	s_waitcnt vmcnt(0)
	v_add_f64 v[39:40], v[39:40], -v[175:176]
	buffer_store_dword v37, off, s[16:19], 0 offset:96 ; 4-byte Folded Spill
	buffer_store_dword v38, off, s[16:19], 0 offset:100 ; 4-byte Folded Spill
	buffer_store_dword v39, off, s[16:19], 0 offset:104 ; 4-byte Folded Spill
	buffer_store_dword v40, off, s[16:19], 0 offset:108 ; 4-byte Folded Spill
	;; [unrolled: 19-line block ×7, first 2 shown]
	ds_read2_b64 v[175:178], v253 offset0:62 offset1:63
	s_clause 0x3
	buffer_load_dword v37, off, s[16:19], 0
	buffer_load_dword v38, off, s[16:19], 0 offset:4
	buffer_load_dword v39, off, s[16:19], 0 offset:8
	;; [unrolled: 1-line block ×3, first 2 shown]
	s_waitcnt lgkmcnt(0)
	v_mul_f64 v[165:166], v[177:178], v[179:180]
	v_fma_f64 v[165:166], v[175:176], v[173:174], -v[165:166]
	v_mul_f64 v[175:176], v[175:176], v[179:180]
	v_fma_f64 v[175:176], v[177:178], v[173:174], v[175:176]
	s_waitcnt vmcnt(2)
	v_add_f64 v[37:38], v[37:38], -v[165:166]
	s_waitcnt vmcnt(0)
	v_add_f64 v[39:40], v[39:40], -v[175:176]
	buffer_store_dword v37, off, s[16:19], 0 ; 4-byte Folded Spill
	buffer_store_dword v38, off, s[16:19], 0 offset:4 ; 4-byte Folded Spill
	buffer_store_dword v39, off, s[16:19], 0 offset:8 ; 4-byte Folded Spill
	;; [unrolled: 1-line block ×3, first 2 shown]
	ds_read2_b64 v[175:178], v253 offset0:64 offset1:65
	s_waitcnt lgkmcnt(0)
	v_mul_f64 v[165:166], v[177:178], v[179:180]
	v_fma_f64 v[165:166], v[175:176], v[173:174], -v[165:166]
	v_mul_f64 v[175:176], v[175:176], v[179:180]
	v_add_f64 v[233:234], v[233:234], -v[165:166]
	v_fma_f64 v[175:176], v[177:178], v[173:174], v[175:176]
	v_add_f64 v[235:236], v[235:236], -v[175:176]
	ds_read2_b64 v[175:178], v253 offset0:66 offset1:67
	s_waitcnt lgkmcnt(0)
	v_mul_f64 v[165:166], v[177:178], v[179:180]
	v_fma_f64 v[165:166], v[175:176], v[173:174], -v[165:166]
	v_mul_f64 v[175:176], v[175:176], v[179:180]
	v_add_f64 v[213:214], v[213:214], -v[165:166]
	v_fma_f64 v[175:176], v[177:178], v[173:174], v[175:176]
	v_add_f64 v[215:216], v[215:216], -v[175:176]
	;; [unrolled: 8-line block ×10, first 2 shown]
	ds_read2_b64 v[175:178], v253 offset0:84 offset1:85
	s_waitcnt lgkmcnt(0)
	v_mul_f64 v[165:166], v[177:178], v[179:180]
	v_fma_f64 v[165:166], v[175:176], v[173:174], -v[165:166]
	v_mul_f64 v[175:176], v[175:176], v[179:180]
	v_add_f64 v[1:2], v[1:2], -v[165:166]
	v_fma_f64 v[175:176], v[177:178], v[173:174], v[175:176]
	v_mov_b32_e32 v178, v174
	v_mov_b32_e32 v177, v173
	buffer_store_dword v177, off, s[16:19], 0 offset:144 ; 4-byte Folded Spill
	buffer_store_dword v178, off, s[16:19], 0 offset:148 ; 4-byte Folded Spill
	;; [unrolled: 1-line block ×4, first 2 shown]
	v_add_f64 v[3:4], v[3:4], -v[175:176]
.LBB85_19:
	s_or_b32 exec_lo, exec_lo, s1
	s_mov_b32 s2, exec_lo
	s_waitcnt lgkmcnt(0)
	s_waitcnt_vscnt null, 0x0
	s_barrier
	buffer_gl0_inv
	v_cmpx_eq_u32_e32 2, v0
	s_cbranch_execz .LBB85_26
; %bb.20:
	ds_write2_b64 v255, v[161:162], v[163:164] offset1:1
	ds_write2_b64 v253, v[157:158], v[159:160] offset0:6 offset1:7
	s_clause 0x3
	buffer_load_dword v153, off, s[16:19], 0 offset:128
	buffer_load_dword v154, off, s[16:19], 0 offset:132
	;; [unrolled: 1-line block ×4, first 2 shown]
	s_waitcnt vmcnt(0)
	ds_write2_b64 v253, v[153:154], v[155:156] offset0:8 offset1:9
	ds_write2_b64 v253, v[149:150], v[151:152] offset0:10 offset1:11
	;; [unrolled: 1-line block ×20, first 2 shown]
	s_clause 0x3
	buffer_load_dword v37, off, s[16:19], 0 offset:112
	buffer_load_dword v38, off, s[16:19], 0 offset:116
	buffer_load_dword v39, off, s[16:19], 0 offset:120
	buffer_load_dword v40, off, s[16:19], 0 offset:124
	s_waitcnt vmcnt(0)
	ds_write2_b64 v253, v[37:38], v[39:40] offset0:48 offset1:49
	s_clause 0x3
	buffer_load_dword v37, off, s[16:19], 0 offset:96
	buffer_load_dword v38, off, s[16:19], 0 offset:100
	buffer_load_dword v39, off, s[16:19], 0 offset:104
	buffer_load_dword v40, off, s[16:19], 0 offset:108
	s_waitcnt vmcnt(0)
	ds_write2_b64 v253, v[37:38], v[39:40] offset0:50 offset1:51
	s_clause 0x3
	buffer_load_dword v37, off, s[16:19], 0 offset:80
	buffer_load_dword v38, off, s[16:19], 0 offset:84
	buffer_load_dword v39, off, s[16:19], 0 offset:88
	buffer_load_dword v40, off, s[16:19], 0 offset:92
	s_waitcnt vmcnt(0)
	ds_write2_b64 v253, v[37:38], v[39:40] offset0:52 offset1:53
	s_clause 0x3
	buffer_load_dword v37, off, s[16:19], 0 offset:64
	buffer_load_dword v38, off, s[16:19], 0 offset:68
	buffer_load_dword v39, off, s[16:19], 0 offset:72
	buffer_load_dword v40, off, s[16:19], 0 offset:76
	s_waitcnt vmcnt(0)
	ds_write2_b64 v253, v[37:38], v[39:40] offset0:54 offset1:55
	s_clause 0x3
	buffer_load_dword v37, off, s[16:19], 0 offset:48
	buffer_load_dword v38, off, s[16:19], 0 offset:52
	buffer_load_dword v39, off, s[16:19], 0 offset:56
	buffer_load_dword v40, off, s[16:19], 0 offset:60
	s_waitcnt vmcnt(0)
	ds_write2_b64 v253, v[37:38], v[39:40] offset0:56 offset1:57
	s_clause 0x3
	buffer_load_dword v37, off, s[16:19], 0 offset:32
	buffer_load_dword v38, off, s[16:19], 0 offset:36
	buffer_load_dword v39, off, s[16:19], 0 offset:40
	buffer_load_dword v40, off, s[16:19], 0 offset:44
	s_waitcnt vmcnt(0)
	ds_write2_b64 v253, v[37:38], v[39:40] offset0:58 offset1:59
	s_clause 0x3
	buffer_load_dword v37, off, s[16:19], 0 offset:16
	buffer_load_dword v38, off, s[16:19], 0 offset:20
	buffer_load_dword v39, off, s[16:19], 0 offset:24
	buffer_load_dword v40, off, s[16:19], 0 offset:28
	s_waitcnt vmcnt(0)
	ds_write2_b64 v253, v[37:38], v[39:40] offset0:60 offset1:61
	s_clause 0x3
	buffer_load_dword v37, off, s[16:19], 0
	buffer_load_dword v38, off, s[16:19], 0 offset:4
	buffer_load_dword v39, off, s[16:19], 0 offset:8
	;; [unrolled: 1-line block ×3, first 2 shown]
	s_waitcnt vmcnt(0)
	ds_write2_b64 v253, v[37:38], v[39:40] offset0:62 offset1:63
	ds_write2_b64 v253, v[233:234], v[235:236] offset0:64 offset1:65
	;; [unrolled: 1-line block ×12, first 2 shown]
	ds_read2_b64 v[173:176], v255 offset1:1
	s_waitcnt lgkmcnt(0)
	v_cmp_neq_f64_e32 vcc_lo, 0, v[173:174]
	v_cmp_neq_f64_e64 s1, 0, v[175:176]
	s_or_b32 s1, vcc_lo, s1
	s_and_b32 exec_lo, exec_lo, s1
	s_cbranch_execz .LBB85_26
; %bb.21:
	v_cmp_ngt_f64_e64 s1, |v[173:174]|, |v[175:176]|
                                        ; implicit-def: $vgpr177_vgpr178
	s_and_saveexec_b32 s3, s1
	s_xor_b32 s1, exec_lo, s3
                                        ; implicit-def: $vgpr179_vgpr180
	s_cbranch_execz .LBB85_23
; %bb.22:
	v_div_scale_f64 v[177:178], null, v[175:176], v[175:176], v[173:174]
	v_div_scale_f64 v[183:184], vcc_lo, v[173:174], v[175:176], v[173:174]
	v_rcp_f64_e32 v[179:180], v[177:178]
	v_fma_f64 v[181:182], -v[177:178], v[179:180], 1.0
	v_fma_f64 v[179:180], v[179:180], v[181:182], v[179:180]
	v_fma_f64 v[181:182], -v[177:178], v[179:180], 1.0
	v_fma_f64 v[179:180], v[179:180], v[181:182], v[179:180]
	v_mul_f64 v[181:182], v[183:184], v[179:180]
	v_fma_f64 v[177:178], -v[177:178], v[181:182], v[183:184]
	v_div_fmas_f64 v[177:178], v[177:178], v[179:180], v[181:182]
	v_div_fixup_f64 v[177:178], v[177:178], v[175:176], v[173:174]
	v_fma_f64 v[173:174], v[173:174], v[177:178], v[175:176]
	v_div_scale_f64 v[175:176], null, v[173:174], v[173:174], 1.0
	v_rcp_f64_e32 v[179:180], v[175:176]
	v_fma_f64 v[181:182], -v[175:176], v[179:180], 1.0
	v_fma_f64 v[179:180], v[179:180], v[181:182], v[179:180]
	v_fma_f64 v[181:182], -v[175:176], v[179:180], 1.0
	v_fma_f64 v[179:180], v[179:180], v[181:182], v[179:180]
	v_div_scale_f64 v[181:182], vcc_lo, 1.0, v[173:174], 1.0
	v_mul_f64 v[183:184], v[181:182], v[179:180]
	v_fma_f64 v[175:176], -v[175:176], v[183:184], v[181:182]
	v_div_fmas_f64 v[175:176], v[175:176], v[179:180], v[183:184]
	v_div_fixup_f64 v[179:180], v[175:176], v[173:174], 1.0
                                        ; implicit-def: $vgpr173_vgpr174
	v_mul_f64 v[177:178], v[177:178], v[179:180]
	v_xor_b32_e32 v180, 0x80000000, v180
.LBB85_23:
	s_andn2_saveexec_b32 s1, s1
	s_cbranch_execz .LBB85_25
; %bb.24:
	v_div_scale_f64 v[177:178], null, v[173:174], v[173:174], v[175:176]
	v_div_scale_f64 v[183:184], vcc_lo, v[175:176], v[173:174], v[175:176]
	v_rcp_f64_e32 v[179:180], v[177:178]
	v_fma_f64 v[181:182], -v[177:178], v[179:180], 1.0
	v_fma_f64 v[179:180], v[179:180], v[181:182], v[179:180]
	v_fma_f64 v[181:182], -v[177:178], v[179:180], 1.0
	v_fma_f64 v[179:180], v[179:180], v[181:182], v[179:180]
	v_mul_f64 v[181:182], v[183:184], v[179:180]
	v_fma_f64 v[177:178], -v[177:178], v[181:182], v[183:184]
	v_div_fmas_f64 v[177:178], v[177:178], v[179:180], v[181:182]
	v_div_fixup_f64 v[179:180], v[177:178], v[173:174], v[175:176]
	v_fma_f64 v[173:174], v[175:176], v[179:180], v[173:174]
	v_div_scale_f64 v[175:176], null, v[173:174], v[173:174], 1.0
	v_rcp_f64_e32 v[177:178], v[175:176]
	v_fma_f64 v[181:182], -v[175:176], v[177:178], 1.0
	v_fma_f64 v[177:178], v[177:178], v[181:182], v[177:178]
	v_fma_f64 v[181:182], -v[175:176], v[177:178], 1.0
	v_fma_f64 v[177:178], v[177:178], v[181:182], v[177:178]
	v_div_scale_f64 v[181:182], vcc_lo, 1.0, v[173:174], 1.0
	v_mul_f64 v[183:184], v[181:182], v[177:178]
	v_fma_f64 v[175:176], -v[175:176], v[183:184], v[181:182]
	v_div_fmas_f64 v[175:176], v[175:176], v[177:178], v[183:184]
	v_div_fixup_f64 v[177:178], v[175:176], v[173:174], 1.0
	v_mul_f64 v[179:180], v[179:180], -v[177:178]
.LBB85_25:
	s_or_b32 exec_lo, exec_lo, s1
	ds_write2_b64 v255, v[177:178], v[179:180] offset1:1
.LBB85_26:
	s_or_b32 exec_lo, exec_lo, s2
	s_waitcnt lgkmcnt(0)
	s_barrier
	buffer_gl0_inv
	ds_read2_b64 v[229:232], v255 offset1:1
	s_mov_b32 s1, exec_lo
	v_cmpx_lt_u32_e32 2, v0
	s_cbranch_execz .LBB85_28
; %bb.27:
	s_waitcnt lgkmcnt(0)
	v_mul_f64 v[173:174], v[231:232], v[163:164]
	v_mul_f64 v[163:164], v[229:230], v[163:164]
	ds_read2_b64 v[175:178], v253 offset0:6 offset1:7
	v_fma_f64 v[173:174], v[229:230], v[161:162], -v[173:174]
	v_fma_f64 v[163:164], v[231:232], v[161:162], v[163:164]
	s_waitcnt lgkmcnt(0)
	v_mul_f64 v[161:162], v[177:178], v[163:164]
	v_fma_f64 v[161:162], v[175:176], v[173:174], -v[161:162]
	v_mul_f64 v[175:176], v[175:176], v[163:164]
	v_add_f64 v[157:158], v[157:158], -v[161:162]
	v_fma_f64 v[175:176], v[177:178], v[173:174], v[175:176]
	v_add_f64 v[159:160], v[159:160], -v[175:176]
	ds_read2_b64 v[175:178], v253 offset0:8 offset1:9
	s_clause 0x3
	buffer_load_dword v153, off, s[16:19], 0 offset:128
	buffer_load_dword v154, off, s[16:19], 0 offset:132
	;; [unrolled: 1-line block ×4, first 2 shown]
	s_waitcnt lgkmcnt(0)
	v_mul_f64 v[161:162], v[177:178], v[163:164]
	v_fma_f64 v[161:162], v[175:176], v[173:174], -v[161:162]
	v_mul_f64 v[175:176], v[175:176], v[163:164]
	v_fma_f64 v[175:176], v[177:178], v[173:174], v[175:176]
	s_waitcnt vmcnt(2)
	v_add_f64 v[153:154], v[153:154], -v[161:162]
	s_waitcnt vmcnt(0)
	v_add_f64 v[155:156], v[155:156], -v[175:176]
	buffer_store_dword v153, off, s[16:19], 0 offset:128 ; 4-byte Folded Spill
	buffer_store_dword v154, off, s[16:19], 0 offset:132 ; 4-byte Folded Spill
	;; [unrolled: 1-line block ×4, first 2 shown]
	ds_read2_b64 v[175:178], v253 offset0:10 offset1:11
	s_waitcnt lgkmcnt(0)
	v_mul_f64 v[161:162], v[177:178], v[163:164]
	v_fma_f64 v[161:162], v[175:176], v[173:174], -v[161:162]
	v_mul_f64 v[175:176], v[175:176], v[163:164]
	v_add_f64 v[149:150], v[149:150], -v[161:162]
	v_fma_f64 v[175:176], v[177:178], v[173:174], v[175:176]
	v_add_f64 v[151:152], v[151:152], -v[175:176]
	ds_read2_b64 v[175:178], v253 offset0:12 offset1:13
	s_waitcnt lgkmcnt(0)
	v_mul_f64 v[161:162], v[177:178], v[163:164]
	v_fma_f64 v[161:162], v[175:176], v[173:174], -v[161:162]
	v_mul_f64 v[175:176], v[175:176], v[163:164]
	v_add_f64 v[205:206], v[205:206], -v[161:162]
	v_fma_f64 v[175:176], v[177:178], v[173:174], v[175:176]
	v_add_f64 v[207:208], v[207:208], -v[175:176]
	;; [unrolled: 8-line block ×19, first 2 shown]
	ds_read2_b64 v[175:178], v253 offset0:48 offset1:49
	s_clause 0x3
	buffer_load_dword v37, off, s[16:19], 0 offset:112
	buffer_load_dword v38, off, s[16:19], 0 offset:116
	buffer_load_dword v39, off, s[16:19], 0 offset:120
	buffer_load_dword v40, off, s[16:19], 0 offset:124
	s_waitcnt lgkmcnt(0)
	v_mul_f64 v[161:162], v[177:178], v[163:164]
	v_fma_f64 v[161:162], v[175:176], v[173:174], -v[161:162]
	v_mul_f64 v[175:176], v[175:176], v[163:164]
	v_fma_f64 v[175:176], v[177:178], v[173:174], v[175:176]
	s_waitcnt vmcnt(2)
	v_add_f64 v[37:38], v[37:38], -v[161:162]
	s_waitcnt vmcnt(0)
	v_add_f64 v[39:40], v[39:40], -v[175:176]
	buffer_store_dword v37, off, s[16:19], 0 offset:112 ; 4-byte Folded Spill
	buffer_store_dword v38, off, s[16:19], 0 offset:116 ; 4-byte Folded Spill
	buffer_store_dword v39, off, s[16:19], 0 offset:120 ; 4-byte Folded Spill
	buffer_store_dword v40, off, s[16:19], 0 offset:124 ; 4-byte Folded Spill
	ds_read2_b64 v[175:178], v253 offset0:50 offset1:51
	s_clause 0x3
	buffer_load_dword v37, off, s[16:19], 0 offset:96
	buffer_load_dword v38, off, s[16:19], 0 offset:100
	buffer_load_dword v39, off, s[16:19], 0 offset:104
	buffer_load_dword v40, off, s[16:19], 0 offset:108
	s_waitcnt lgkmcnt(0)
	v_mul_f64 v[161:162], v[177:178], v[163:164]
	v_fma_f64 v[161:162], v[175:176], v[173:174], -v[161:162]
	v_mul_f64 v[175:176], v[175:176], v[163:164]
	v_fma_f64 v[175:176], v[177:178], v[173:174], v[175:176]
	s_waitcnt vmcnt(2)
	v_add_f64 v[37:38], v[37:38], -v[161:162]
	s_waitcnt vmcnt(0)
	v_add_f64 v[39:40], v[39:40], -v[175:176]
	buffer_store_dword v37, off, s[16:19], 0 offset:96 ; 4-byte Folded Spill
	buffer_store_dword v38, off, s[16:19], 0 offset:100 ; 4-byte Folded Spill
	buffer_store_dword v39, off, s[16:19], 0 offset:104 ; 4-byte Folded Spill
	buffer_store_dword v40, off, s[16:19], 0 offset:108 ; 4-byte Folded Spill
	;; [unrolled: 19-line block ×7, first 2 shown]
	ds_read2_b64 v[175:178], v253 offset0:62 offset1:63
	s_clause 0x3
	buffer_load_dword v37, off, s[16:19], 0
	buffer_load_dword v38, off, s[16:19], 0 offset:4
	buffer_load_dword v39, off, s[16:19], 0 offset:8
	buffer_load_dword v40, off, s[16:19], 0 offset:12
	s_waitcnt lgkmcnt(0)
	v_mul_f64 v[161:162], v[177:178], v[163:164]
	v_fma_f64 v[161:162], v[175:176], v[173:174], -v[161:162]
	v_mul_f64 v[175:176], v[175:176], v[163:164]
	v_fma_f64 v[175:176], v[177:178], v[173:174], v[175:176]
	s_waitcnt vmcnt(2)
	v_add_f64 v[37:38], v[37:38], -v[161:162]
	s_waitcnt vmcnt(0)
	v_add_f64 v[39:40], v[39:40], -v[175:176]
	buffer_store_dword v37, off, s[16:19], 0 ; 4-byte Folded Spill
	buffer_store_dword v38, off, s[16:19], 0 offset:4 ; 4-byte Folded Spill
	buffer_store_dword v39, off, s[16:19], 0 offset:8 ; 4-byte Folded Spill
	;; [unrolled: 1-line block ×3, first 2 shown]
	ds_read2_b64 v[175:178], v253 offset0:64 offset1:65
	s_waitcnt lgkmcnt(0)
	v_mul_f64 v[161:162], v[177:178], v[163:164]
	v_fma_f64 v[161:162], v[175:176], v[173:174], -v[161:162]
	v_mul_f64 v[175:176], v[175:176], v[163:164]
	v_add_f64 v[233:234], v[233:234], -v[161:162]
	v_fma_f64 v[175:176], v[177:178], v[173:174], v[175:176]
	v_add_f64 v[235:236], v[235:236], -v[175:176]
	ds_read2_b64 v[175:178], v253 offset0:66 offset1:67
	s_waitcnt lgkmcnt(0)
	v_mul_f64 v[161:162], v[177:178], v[163:164]
	v_fma_f64 v[161:162], v[175:176], v[173:174], -v[161:162]
	v_mul_f64 v[175:176], v[175:176], v[163:164]
	v_add_f64 v[213:214], v[213:214], -v[161:162]
	v_fma_f64 v[175:176], v[177:178], v[173:174], v[175:176]
	v_add_f64 v[215:216], v[215:216], -v[175:176]
	;; [unrolled: 8-line block ×10, first 2 shown]
	ds_read2_b64 v[175:178], v253 offset0:84 offset1:85
	s_waitcnt lgkmcnt(0)
	v_mul_f64 v[161:162], v[177:178], v[163:164]
	v_fma_f64 v[161:162], v[175:176], v[173:174], -v[161:162]
	v_mul_f64 v[175:176], v[175:176], v[163:164]
	v_add_f64 v[1:2], v[1:2], -v[161:162]
	v_fma_f64 v[175:176], v[177:178], v[173:174], v[175:176]
	v_mov_b32_e32 v161, v173
	v_mov_b32_e32 v162, v174
	v_add_f64 v[3:4], v[3:4], -v[175:176]
.LBB85_28:
	s_or_b32 exec_lo, exec_lo, s1
	s_mov_b32 s2, exec_lo
	s_waitcnt lgkmcnt(0)
	s_waitcnt_vscnt null, 0x0
	s_barrier
	buffer_gl0_inv
	v_cmpx_eq_u32_e32 3, v0
	s_cbranch_execz .LBB85_35
; %bb.29:
	ds_write2_b64 v255, v[157:158], v[159:160] offset1:1
	s_clause 0x3
	buffer_load_dword v153, off, s[16:19], 0 offset:128
	buffer_load_dword v154, off, s[16:19], 0 offset:132
	;; [unrolled: 1-line block ×4, first 2 shown]
	s_waitcnt vmcnt(0)
	ds_write2_b64 v253, v[153:154], v[155:156] offset0:8 offset1:9
	ds_write2_b64 v253, v[149:150], v[151:152] offset0:10 offset1:11
	;; [unrolled: 1-line block ×20, first 2 shown]
	s_clause 0x3
	buffer_load_dword v37, off, s[16:19], 0 offset:112
	buffer_load_dword v38, off, s[16:19], 0 offset:116
	buffer_load_dword v39, off, s[16:19], 0 offset:120
	buffer_load_dword v40, off, s[16:19], 0 offset:124
	s_waitcnt vmcnt(0)
	ds_write2_b64 v253, v[37:38], v[39:40] offset0:48 offset1:49
	s_clause 0x3
	buffer_load_dword v37, off, s[16:19], 0 offset:96
	buffer_load_dword v38, off, s[16:19], 0 offset:100
	buffer_load_dword v39, off, s[16:19], 0 offset:104
	buffer_load_dword v40, off, s[16:19], 0 offset:108
	s_waitcnt vmcnt(0)
	ds_write2_b64 v253, v[37:38], v[39:40] offset0:50 offset1:51
	;; [unrolled: 7-line block ×7, first 2 shown]
	s_clause 0x3
	buffer_load_dword v37, off, s[16:19], 0
	buffer_load_dword v38, off, s[16:19], 0 offset:4
	buffer_load_dword v39, off, s[16:19], 0 offset:8
	buffer_load_dword v40, off, s[16:19], 0 offset:12
	s_waitcnt vmcnt(0)
	ds_write2_b64 v253, v[37:38], v[39:40] offset0:62 offset1:63
	ds_write2_b64 v253, v[233:234], v[235:236] offset0:64 offset1:65
	;; [unrolled: 1-line block ×12, first 2 shown]
	ds_read2_b64 v[173:176], v255 offset1:1
	s_waitcnt lgkmcnt(0)
	v_cmp_neq_f64_e32 vcc_lo, 0, v[173:174]
	v_cmp_neq_f64_e64 s1, 0, v[175:176]
	s_or_b32 s1, vcc_lo, s1
	s_and_b32 exec_lo, exec_lo, s1
	s_cbranch_execz .LBB85_35
; %bb.30:
	v_cmp_ngt_f64_e64 s1, |v[173:174]|, |v[175:176]|
                                        ; implicit-def: $vgpr177_vgpr178
	s_and_saveexec_b32 s3, s1
	s_xor_b32 s1, exec_lo, s3
                                        ; implicit-def: $vgpr179_vgpr180
	s_cbranch_execz .LBB85_32
; %bb.31:
	v_div_scale_f64 v[177:178], null, v[175:176], v[175:176], v[173:174]
	v_div_scale_f64 v[183:184], vcc_lo, v[173:174], v[175:176], v[173:174]
	v_rcp_f64_e32 v[179:180], v[177:178]
	v_fma_f64 v[181:182], -v[177:178], v[179:180], 1.0
	v_fma_f64 v[179:180], v[179:180], v[181:182], v[179:180]
	v_fma_f64 v[181:182], -v[177:178], v[179:180], 1.0
	v_fma_f64 v[179:180], v[179:180], v[181:182], v[179:180]
	v_mul_f64 v[181:182], v[183:184], v[179:180]
	v_fma_f64 v[177:178], -v[177:178], v[181:182], v[183:184]
	v_div_fmas_f64 v[177:178], v[177:178], v[179:180], v[181:182]
	v_div_fixup_f64 v[177:178], v[177:178], v[175:176], v[173:174]
	v_fma_f64 v[173:174], v[173:174], v[177:178], v[175:176]
	v_div_scale_f64 v[175:176], null, v[173:174], v[173:174], 1.0
	v_rcp_f64_e32 v[179:180], v[175:176]
	v_fma_f64 v[181:182], -v[175:176], v[179:180], 1.0
	v_fma_f64 v[179:180], v[179:180], v[181:182], v[179:180]
	v_fma_f64 v[181:182], -v[175:176], v[179:180], 1.0
	v_fma_f64 v[179:180], v[179:180], v[181:182], v[179:180]
	v_div_scale_f64 v[181:182], vcc_lo, 1.0, v[173:174], 1.0
	v_mul_f64 v[183:184], v[181:182], v[179:180]
	v_fma_f64 v[175:176], -v[175:176], v[183:184], v[181:182]
	v_div_fmas_f64 v[175:176], v[175:176], v[179:180], v[183:184]
	v_div_fixup_f64 v[179:180], v[175:176], v[173:174], 1.0
                                        ; implicit-def: $vgpr173_vgpr174
	v_mul_f64 v[177:178], v[177:178], v[179:180]
	v_xor_b32_e32 v180, 0x80000000, v180
.LBB85_32:
	s_andn2_saveexec_b32 s1, s1
	s_cbranch_execz .LBB85_34
; %bb.33:
	v_div_scale_f64 v[177:178], null, v[173:174], v[173:174], v[175:176]
	v_div_scale_f64 v[183:184], vcc_lo, v[175:176], v[173:174], v[175:176]
	v_rcp_f64_e32 v[179:180], v[177:178]
	v_fma_f64 v[181:182], -v[177:178], v[179:180], 1.0
	v_fma_f64 v[179:180], v[179:180], v[181:182], v[179:180]
	v_fma_f64 v[181:182], -v[177:178], v[179:180], 1.0
	v_fma_f64 v[179:180], v[179:180], v[181:182], v[179:180]
	v_mul_f64 v[181:182], v[183:184], v[179:180]
	v_fma_f64 v[177:178], -v[177:178], v[181:182], v[183:184]
	v_div_fmas_f64 v[177:178], v[177:178], v[179:180], v[181:182]
	v_div_fixup_f64 v[179:180], v[177:178], v[173:174], v[175:176]
	v_fma_f64 v[173:174], v[175:176], v[179:180], v[173:174]
	v_div_scale_f64 v[175:176], null, v[173:174], v[173:174], 1.0
	v_rcp_f64_e32 v[177:178], v[175:176]
	v_fma_f64 v[181:182], -v[175:176], v[177:178], 1.0
	v_fma_f64 v[177:178], v[177:178], v[181:182], v[177:178]
	v_fma_f64 v[181:182], -v[175:176], v[177:178], 1.0
	v_fma_f64 v[177:178], v[177:178], v[181:182], v[177:178]
	v_div_scale_f64 v[181:182], vcc_lo, 1.0, v[173:174], 1.0
	v_mul_f64 v[183:184], v[181:182], v[177:178]
	v_fma_f64 v[175:176], -v[175:176], v[183:184], v[181:182]
	v_div_fmas_f64 v[175:176], v[175:176], v[177:178], v[183:184]
	v_div_fixup_f64 v[177:178], v[175:176], v[173:174], 1.0
	v_mul_f64 v[179:180], v[179:180], -v[177:178]
.LBB85_34:
	s_or_b32 exec_lo, exec_lo, s1
	ds_write2_b64 v255, v[177:178], v[179:180] offset1:1
.LBB85_35:
	s_or_b32 exec_lo, exec_lo, s2
	s_waitcnt lgkmcnt(0)
	s_barrier
	buffer_gl0_inv
	ds_read2_b64 v[153:156], v255 offset1:1
	s_mov_b32 s1, exec_lo
	s_waitcnt lgkmcnt(0)
	buffer_store_dword v153, off, s[16:19], 0 offset:384 ; 4-byte Folded Spill
	buffer_store_dword v154, off, s[16:19], 0 offset:388 ; 4-byte Folded Spill
	;; [unrolled: 1-line block ×4, first 2 shown]
	v_cmpx_lt_u32_e32 3, v0
	s_cbranch_execz .LBB85_37
; %bb.36:
	s_clause 0x3
	buffer_load_dword v153, off, s[16:19], 0 offset:384
	buffer_load_dword v154, off, s[16:19], 0 offset:388
	;; [unrolled: 1-line block ×4, first 2 shown]
	ds_read2_b64 v[175:178], v253 offset0:8 offset1:9
	s_waitcnt vmcnt(0)
	v_mul_f64 v[173:174], v[155:156], v[159:160]
	v_mul_f64 v[159:160], v[153:154], v[159:160]
	v_fma_f64 v[173:174], v[153:154], v[157:158], -v[173:174]
	v_fma_f64 v[159:160], v[155:156], v[157:158], v[159:160]
	s_clause 0x3
	buffer_load_dword v153, off, s[16:19], 0 offset:128
	buffer_load_dword v154, off, s[16:19], 0 offset:132
	;; [unrolled: 1-line block ×4, first 2 shown]
	s_waitcnt lgkmcnt(0)
	v_mul_f64 v[157:158], v[177:178], v[159:160]
	v_fma_f64 v[157:158], v[175:176], v[173:174], -v[157:158]
	v_mul_f64 v[175:176], v[175:176], v[159:160]
	v_fma_f64 v[175:176], v[177:178], v[173:174], v[175:176]
	s_waitcnt vmcnt(2)
	v_add_f64 v[153:154], v[153:154], -v[157:158]
	s_waitcnt vmcnt(0)
	v_add_f64 v[155:156], v[155:156], -v[175:176]
	buffer_store_dword v153, off, s[16:19], 0 offset:128 ; 4-byte Folded Spill
	buffer_store_dword v154, off, s[16:19], 0 offset:132 ; 4-byte Folded Spill
	;; [unrolled: 1-line block ×4, first 2 shown]
	ds_read2_b64 v[175:178], v253 offset0:10 offset1:11
	s_waitcnt lgkmcnt(0)
	v_mul_f64 v[157:158], v[177:178], v[159:160]
	v_fma_f64 v[157:158], v[175:176], v[173:174], -v[157:158]
	v_mul_f64 v[175:176], v[175:176], v[159:160]
	v_add_f64 v[149:150], v[149:150], -v[157:158]
	v_fma_f64 v[175:176], v[177:178], v[173:174], v[175:176]
	v_add_f64 v[151:152], v[151:152], -v[175:176]
	ds_read2_b64 v[175:178], v253 offset0:12 offset1:13
	s_waitcnt lgkmcnt(0)
	v_mul_f64 v[157:158], v[177:178], v[159:160]
	v_fma_f64 v[157:158], v[175:176], v[173:174], -v[157:158]
	v_mul_f64 v[175:176], v[175:176], v[159:160]
	v_add_f64 v[205:206], v[205:206], -v[157:158]
	v_fma_f64 v[175:176], v[177:178], v[173:174], v[175:176]
	v_add_f64 v[207:208], v[207:208], -v[175:176]
	;; [unrolled: 8-line block ×19, first 2 shown]
	ds_read2_b64 v[175:178], v253 offset0:48 offset1:49
	s_clause 0x3
	buffer_load_dword v37, off, s[16:19], 0 offset:112
	buffer_load_dword v38, off, s[16:19], 0 offset:116
	buffer_load_dword v39, off, s[16:19], 0 offset:120
	buffer_load_dword v40, off, s[16:19], 0 offset:124
	s_waitcnt lgkmcnt(0)
	v_mul_f64 v[157:158], v[177:178], v[159:160]
	v_fma_f64 v[157:158], v[175:176], v[173:174], -v[157:158]
	v_mul_f64 v[175:176], v[175:176], v[159:160]
	v_fma_f64 v[175:176], v[177:178], v[173:174], v[175:176]
	s_waitcnt vmcnt(2)
	v_add_f64 v[37:38], v[37:38], -v[157:158]
	s_waitcnt vmcnt(0)
	v_add_f64 v[39:40], v[39:40], -v[175:176]
	buffer_store_dword v37, off, s[16:19], 0 offset:112 ; 4-byte Folded Spill
	buffer_store_dword v38, off, s[16:19], 0 offset:116 ; 4-byte Folded Spill
	buffer_store_dword v39, off, s[16:19], 0 offset:120 ; 4-byte Folded Spill
	buffer_store_dword v40, off, s[16:19], 0 offset:124 ; 4-byte Folded Spill
	ds_read2_b64 v[175:178], v253 offset0:50 offset1:51
	s_clause 0x3
	buffer_load_dword v37, off, s[16:19], 0 offset:96
	buffer_load_dword v38, off, s[16:19], 0 offset:100
	buffer_load_dword v39, off, s[16:19], 0 offset:104
	buffer_load_dword v40, off, s[16:19], 0 offset:108
	s_waitcnt lgkmcnt(0)
	v_mul_f64 v[157:158], v[177:178], v[159:160]
	v_fma_f64 v[157:158], v[175:176], v[173:174], -v[157:158]
	v_mul_f64 v[175:176], v[175:176], v[159:160]
	v_fma_f64 v[175:176], v[177:178], v[173:174], v[175:176]
	s_waitcnt vmcnt(2)
	v_add_f64 v[37:38], v[37:38], -v[157:158]
	s_waitcnt vmcnt(0)
	v_add_f64 v[39:40], v[39:40], -v[175:176]
	buffer_store_dword v37, off, s[16:19], 0 offset:96 ; 4-byte Folded Spill
	buffer_store_dword v38, off, s[16:19], 0 offset:100 ; 4-byte Folded Spill
	buffer_store_dword v39, off, s[16:19], 0 offset:104 ; 4-byte Folded Spill
	buffer_store_dword v40, off, s[16:19], 0 offset:108 ; 4-byte Folded Spill
	;; [unrolled: 19-line block ×7, first 2 shown]
	ds_read2_b64 v[175:178], v253 offset0:62 offset1:63
	s_clause 0x3
	buffer_load_dword v37, off, s[16:19], 0
	buffer_load_dword v38, off, s[16:19], 0 offset:4
	buffer_load_dword v39, off, s[16:19], 0 offset:8
	;; [unrolled: 1-line block ×3, first 2 shown]
	s_waitcnt lgkmcnt(0)
	v_mul_f64 v[157:158], v[177:178], v[159:160]
	v_fma_f64 v[157:158], v[175:176], v[173:174], -v[157:158]
	v_mul_f64 v[175:176], v[175:176], v[159:160]
	v_fma_f64 v[175:176], v[177:178], v[173:174], v[175:176]
	s_waitcnt vmcnt(2)
	v_add_f64 v[37:38], v[37:38], -v[157:158]
	s_waitcnt vmcnt(0)
	v_add_f64 v[39:40], v[39:40], -v[175:176]
	buffer_store_dword v37, off, s[16:19], 0 ; 4-byte Folded Spill
	buffer_store_dword v38, off, s[16:19], 0 offset:4 ; 4-byte Folded Spill
	buffer_store_dword v39, off, s[16:19], 0 offset:8 ; 4-byte Folded Spill
	;; [unrolled: 1-line block ×3, first 2 shown]
	ds_read2_b64 v[175:178], v253 offset0:64 offset1:65
	s_waitcnt lgkmcnt(0)
	v_mul_f64 v[157:158], v[177:178], v[159:160]
	v_fma_f64 v[157:158], v[175:176], v[173:174], -v[157:158]
	v_mul_f64 v[175:176], v[175:176], v[159:160]
	v_add_f64 v[233:234], v[233:234], -v[157:158]
	v_fma_f64 v[175:176], v[177:178], v[173:174], v[175:176]
	v_add_f64 v[235:236], v[235:236], -v[175:176]
	ds_read2_b64 v[175:178], v253 offset0:66 offset1:67
	s_waitcnt lgkmcnt(0)
	v_mul_f64 v[157:158], v[177:178], v[159:160]
	v_fma_f64 v[157:158], v[175:176], v[173:174], -v[157:158]
	v_mul_f64 v[175:176], v[175:176], v[159:160]
	v_add_f64 v[213:214], v[213:214], -v[157:158]
	v_fma_f64 v[175:176], v[177:178], v[173:174], v[175:176]
	v_add_f64 v[215:216], v[215:216], -v[175:176]
	;; [unrolled: 8-line block ×10, first 2 shown]
	ds_read2_b64 v[175:178], v253 offset0:84 offset1:85
	s_waitcnt lgkmcnt(0)
	v_mul_f64 v[157:158], v[177:178], v[159:160]
	v_fma_f64 v[157:158], v[175:176], v[173:174], -v[157:158]
	v_mul_f64 v[175:176], v[175:176], v[159:160]
	v_add_f64 v[1:2], v[1:2], -v[157:158]
	v_fma_f64 v[175:176], v[177:178], v[173:174], v[175:176]
	v_mov_b32_e32 v157, v173
	v_mov_b32_e32 v158, v174
	v_add_f64 v[3:4], v[3:4], -v[175:176]
.LBB85_37:
	s_or_b32 exec_lo, exec_lo, s1
	s_mov_b32 s2, exec_lo
	s_waitcnt_vscnt null, 0x0
	s_barrier
	buffer_gl0_inv
	v_cmpx_eq_u32_e32 4, v0
	s_cbranch_execz .LBB85_44
; %bb.38:
	s_clause 0x3
	buffer_load_dword v153, off, s[16:19], 0 offset:128
	buffer_load_dword v154, off, s[16:19], 0 offset:132
	;; [unrolled: 1-line block ×4, first 2 shown]
	s_waitcnt vmcnt(0)
	ds_write2_b64 v255, v[153:154], v[155:156] offset1:1
	ds_write2_b64 v253, v[149:150], v[151:152] offset0:10 offset1:11
	ds_write2_b64 v253, v[205:206], v[207:208] offset0:12 offset1:13
	;; [unrolled: 1-line block ×19, first 2 shown]
	s_clause 0x3
	buffer_load_dword v37, off, s[16:19], 0 offset:112
	buffer_load_dword v38, off, s[16:19], 0 offset:116
	buffer_load_dword v39, off, s[16:19], 0 offset:120
	buffer_load_dword v40, off, s[16:19], 0 offset:124
	s_waitcnt vmcnt(0)
	ds_write2_b64 v253, v[37:38], v[39:40] offset0:48 offset1:49
	s_clause 0x3
	buffer_load_dword v37, off, s[16:19], 0 offset:96
	buffer_load_dword v38, off, s[16:19], 0 offset:100
	buffer_load_dword v39, off, s[16:19], 0 offset:104
	buffer_load_dword v40, off, s[16:19], 0 offset:108
	s_waitcnt vmcnt(0)
	ds_write2_b64 v253, v[37:38], v[39:40] offset0:50 offset1:51
	s_clause 0x3
	buffer_load_dword v37, off, s[16:19], 0 offset:80
	buffer_load_dword v38, off, s[16:19], 0 offset:84
	buffer_load_dword v39, off, s[16:19], 0 offset:88
	buffer_load_dword v40, off, s[16:19], 0 offset:92
	s_waitcnt vmcnt(0)
	ds_write2_b64 v253, v[37:38], v[39:40] offset0:52 offset1:53
	s_clause 0x3
	buffer_load_dword v37, off, s[16:19], 0 offset:64
	buffer_load_dword v38, off, s[16:19], 0 offset:68
	buffer_load_dword v39, off, s[16:19], 0 offset:72
	buffer_load_dword v40, off, s[16:19], 0 offset:76
	s_waitcnt vmcnt(0)
	ds_write2_b64 v253, v[37:38], v[39:40] offset0:54 offset1:55
	s_clause 0x3
	buffer_load_dword v37, off, s[16:19], 0 offset:48
	buffer_load_dword v38, off, s[16:19], 0 offset:52
	buffer_load_dword v39, off, s[16:19], 0 offset:56
	buffer_load_dword v40, off, s[16:19], 0 offset:60
	s_waitcnt vmcnt(0)
	ds_write2_b64 v253, v[37:38], v[39:40] offset0:56 offset1:57
	s_clause 0x3
	buffer_load_dword v37, off, s[16:19], 0 offset:32
	buffer_load_dword v38, off, s[16:19], 0 offset:36
	buffer_load_dword v39, off, s[16:19], 0 offset:40
	buffer_load_dword v40, off, s[16:19], 0 offset:44
	s_waitcnt vmcnt(0)
	ds_write2_b64 v253, v[37:38], v[39:40] offset0:58 offset1:59
	s_clause 0x3
	buffer_load_dword v37, off, s[16:19], 0 offset:16
	buffer_load_dword v38, off, s[16:19], 0 offset:20
	buffer_load_dword v39, off, s[16:19], 0 offset:24
	buffer_load_dword v40, off, s[16:19], 0 offset:28
	s_waitcnt vmcnt(0)
	ds_write2_b64 v253, v[37:38], v[39:40] offset0:60 offset1:61
	s_clause 0x3
	buffer_load_dword v37, off, s[16:19], 0
	buffer_load_dword v38, off, s[16:19], 0 offset:4
	buffer_load_dword v39, off, s[16:19], 0 offset:8
	;; [unrolled: 1-line block ×3, first 2 shown]
	s_waitcnt vmcnt(0)
	ds_write2_b64 v253, v[37:38], v[39:40] offset0:62 offset1:63
	ds_write2_b64 v253, v[233:234], v[235:236] offset0:64 offset1:65
	ds_write2_b64 v253, v[213:214], v[215:216] offset0:66 offset1:67
	ds_write2_b64 v253, v[33:34], v[35:36] offset0:68 offset1:69
	ds_write2_b64 v253, v[29:30], v[31:32] offset0:70 offset1:71
	ds_write2_b64 v253, v[25:26], v[27:28] offset0:72 offset1:73
	ds_write2_b64 v253, v[21:22], v[23:24] offset0:74 offset1:75
	ds_write2_b64 v253, v[17:18], v[19:20] offset0:76 offset1:77
	ds_write2_b64 v253, v[13:14], v[15:16] offset0:78 offset1:79
	ds_write2_b64 v253, v[9:10], v[11:12] offset0:80 offset1:81
	ds_write2_b64 v253, v[5:6], v[7:8] offset0:82 offset1:83
	ds_write2_b64 v253, v[1:2], v[3:4] offset0:84 offset1:85
	ds_read2_b64 v[173:176], v255 offset1:1
	s_waitcnt lgkmcnt(0)
	v_cmp_neq_f64_e32 vcc_lo, 0, v[173:174]
	v_cmp_neq_f64_e64 s1, 0, v[175:176]
	s_or_b32 s1, vcc_lo, s1
	s_and_b32 exec_lo, exec_lo, s1
	s_cbranch_execz .LBB85_44
; %bb.39:
	v_cmp_ngt_f64_e64 s1, |v[173:174]|, |v[175:176]|
                                        ; implicit-def: $vgpr177_vgpr178
	s_and_saveexec_b32 s3, s1
	s_xor_b32 s1, exec_lo, s3
                                        ; implicit-def: $vgpr179_vgpr180
	s_cbranch_execz .LBB85_41
; %bb.40:
	v_div_scale_f64 v[177:178], null, v[175:176], v[175:176], v[173:174]
	v_div_scale_f64 v[183:184], vcc_lo, v[173:174], v[175:176], v[173:174]
	v_rcp_f64_e32 v[179:180], v[177:178]
	v_fma_f64 v[181:182], -v[177:178], v[179:180], 1.0
	v_fma_f64 v[179:180], v[179:180], v[181:182], v[179:180]
	v_fma_f64 v[181:182], -v[177:178], v[179:180], 1.0
	v_fma_f64 v[179:180], v[179:180], v[181:182], v[179:180]
	v_mul_f64 v[181:182], v[183:184], v[179:180]
	v_fma_f64 v[177:178], -v[177:178], v[181:182], v[183:184]
	v_div_fmas_f64 v[177:178], v[177:178], v[179:180], v[181:182]
	v_div_fixup_f64 v[177:178], v[177:178], v[175:176], v[173:174]
	v_fma_f64 v[173:174], v[173:174], v[177:178], v[175:176]
	v_div_scale_f64 v[175:176], null, v[173:174], v[173:174], 1.0
	v_rcp_f64_e32 v[179:180], v[175:176]
	v_fma_f64 v[181:182], -v[175:176], v[179:180], 1.0
	v_fma_f64 v[179:180], v[179:180], v[181:182], v[179:180]
	v_fma_f64 v[181:182], -v[175:176], v[179:180], 1.0
	v_fma_f64 v[179:180], v[179:180], v[181:182], v[179:180]
	v_div_scale_f64 v[181:182], vcc_lo, 1.0, v[173:174], 1.0
	v_mul_f64 v[183:184], v[181:182], v[179:180]
	v_fma_f64 v[175:176], -v[175:176], v[183:184], v[181:182]
	v_div_fmas_f64 v[175:176], v[175:176], v[179:180], v[183:184]
	v_div_fixup_f64 v[179:180], v[175:176], v[173:174], 1.0
                                        ; implicit-def: $vgpr173_vgpr174
	v_mul_f64 v[177:178], v[177:178], v[179:180]
	v_xor_b32_e32 v180, 0x80000000, v180
.LBB85_41:
	s_andn2_saveexec_b32 s1, s1
	s_cbranch_execz .LBB85_43
; %bb.42:
	v_div_scale_f64 v[177:178], null, v[173:174], v[173:174], v[175:176]
	v_div_scale_f64 v[183:184], vcc_lo, v[175:176], v[173:174], v[175:176]
	v_rcp_f64_e32 v[179:180], v[177:178]
	v_fma_f64 v[181:182], -v[177:178], v[179:180], 1.0
	v_fma_f64 v[179:180], v[179:180], v[181:182], v[179:180]
	v_fma_f64 v[181:182], -v[177:178], v[179:180], 1.0
	v_fma_f64 v[179:180], v[179:180], v[181:182], v[179:180]
	v_mul_f64 v[181:182], v[183:184], v[179:180]
	v_fma_f64 v[177:178], -v[177:178], v[181:182], v[183:184]
	v_div_fmas_f64 v[177:178], v[177:178], v[179:180], v[181:182]
	v_div_fixup_f64 v[179:180], v[177:178], v[173:174], v[175:176]
	v_fma_f64 v[173:174], v[175:176], v[179:180], v[173:174]
	v_div_scale_f64 v[175:176], null, v[173:174], v[173:174], 1.0
	v_rcp_f64_e32 v[177:178], v[175:176]
	v_fma_f64 v[181:182], -v[175:176], v[177:178], 1.0
	v_fma_f64 v[177:178], v[177:178], v[181:182], v[177:178]
	v_fma_f64 v[181:182], -v[175:176], v[177:178], 1.0
	v_fma_f64 v[177:178], v[177:178], v[181:182], v[177:178]
	v_div_scale_f64 v[181:182], vcc_lo, 1.0, v[173:174], 1.0
	v_mul_f64 v[183:184], v[181:182], v[177:178]
	v_fma_f64 v[175:176], -v[175:176], v[183:184], v[181:182]
	v_div_fmas_f64 v[175:176], v[175:176], v[177:178], v[183:184]
	v_div_fixup_f64 v[177:178], v[175:176], v[173:174], 1.0
	v_mul_f64 v[179:180], v[179:180], -v[177:178]
.LBB85_43:
	s_or_b32 exec_lo, exec_lo, s1
	ds_write2_b64 v255, v[177:178], v[179:180] offset1:1
.LBB85_44:
	s_or_b32 exec_lo, exec_lo, s2
	s_waitcnt lgkmcnt(0)
	s_barrier
	buffer_gl0_inv
	ds_read2_b64 v[153:156], v255 offset1:1
	s_mov_b32 s1, exec_lo
	s_waitcnt lgkmcnt(0)
	buffer_store_dword v153, off, s[16:19], 0 offset:400 ; 4-byte Folded Spill
	buffer_store_dword v154, off, s[16:19], 0 offset:404 ; 4-byte Folded Spill
	buffer_store_dword v155, off, s[16:19], 0 offset:408 ; 4-byte Folded Spill
	buffer_store_dword v156, off, s[16:19], 0 offset:412 ; 4-byte Folded Spill
	v_cmpx_lt_u32_e32 4, v0
	s_cbranch_execz .LBB85_46
; %bb.45:
	s_clause 0x7
	buffer_load_dword v175, off, s[16:19], 0 offset:400
	buffer_load_dword v176, off, s[16:19], 0 offset:404
	;; [unrolled: 1-line block ×8, first 2 shown]
	s_waitcnt vmcnt(0)
	v_mul_f64 v[173:174], v[177:178], v[155:156]
	v_mul_f64 v[155:156], v[175:176], v[155:156]
	v_fma_f64 v[173:174], v[175:176], v[153:154], -v[173:174]
	v_fma_f64 v[155:156], v[177:178], v[153:154], v[155:156]
	ds_read2_b64 v[175:178], v253 offset0:10 offset1:11
	s_waitcnt lgkmcnt(0)
	v_mul_f64 v[153:154], v[177:178], v[155:156]
	v_fma_f64 v[153:154], v[175:176], v[173:174], -v[153:154]
	v_mul_f64 v[175:176], v[175:176], v[155:156]
	v_add_f64 v[149:150], v[149:150], -v[153:154]
	v_fma_f64 v[175:176], v[177:178], v[173:174], v[175:176]
	v_add_f64 v[151:152], v[151:152], -v[175:176]
	ds_read2_b64 v[175:178], v253 offset0:12 offset1:13
	s_waitcnt lgkmcnt(0)
	v_mul_f64 v[153:154], v[177:178], v[155:156]
	v_fma_f64 v[153:154], v[175:176], v[173:174], -v[153:154]
	v_mul_f64 v[175:176], v[175:176], v[155:156]
	v_add_f64 v[205:206], v[205:206], -v[153:154]
	v_fma_f64 v[175:176], v[177:178], v[173:174], v[175:176]
	v_add_f64 v[207:208], v[207:208], -v[175:176]
	;; [unrolled: 8-line block ×19, first 2 shown]
	ds_read2_b64 v[175:178], v253 offset0:48 offset1:49
	s_clause 0x3
	buffer_load_dword v37, off, s[16:19], 0 offset:112
	buffer_load_dword v38, off, s[16:19], 0 offset:116
	buffer_load_dword v39, off, s[16:19], 0 offset:120
	buffer_load_dword v40, off, s[16:19], 0 offset:124
	s_waitcnt lgkmcnt(0)
	v_mul_f64 v[153:154], v[177:178], v[155:156]
	v_fma_f64 v[153:154], v[175:176], v[173:174], -v[153:154]
	v_mul_f64 v[175:176], v[175:176], v[155:156]
	v_fma_f64 v[175:176], v[177:178], v[173:174], v[175:176]
	s_waitcnt vmcnt(2)
	v_add_f64 v[37:38], v[37:38], -v[153:154]
	s_waitcnt vmcnt(0)
	v_add_f64 v[39:40], v[39:40], -v[175:176]
	buffer_store_dword v37, off, s[16:19], 0 offset:112 ; 4-byte Folded Spill
	buffer_store_dword v38, off, s[16:19], 0 offset:116 ; 4-byte Folded Spill
	buffer_store_dword v39, off, s[16:19], 0 offset:120 ; 4-byte Folded Spill
	buffer_store_dword v40, off, s[16:19], 0 offset:124 ; 4-byte Folded Spill
	ds_read2_b64 v[175:178], v253 offset0:50 offset1:51
	s_clause 0x3
	buffer_load_dword v37, off, s[16:19], 0 offset:96
	buffer_load_dword v38, off, s[16:19], 0 offset:100
	buffer_load_dword v39, off, s[16:19], 0 offset:104
	buffer_load_dword v40, off, s[16:19], 0 offset:108
	s_waitcnt lgkmcnt(0)
	v_mul_f64 v[153:154], v[177:178], v[155:156]
	v_fma_f64 v[153:154], v[175:176], v[173:174], -v[153:154]
	v_mul_f64 v[175:176], v[175:176], v[155:156]
	v_fma_f64 v[175:176], v[177:178], v[173:174], v[175:176]
	s_waitcnt vmcnt(2)
	v_add_f64 v[37:38], v[37:38], -v[153:154]
	s_waitcnt vmcnt(0)
	v_add_f64 v[39:40], v[39:40], -v[175:176]
	buffer_store_dword v37, off, s[16:19], 0 offset:96 ; 4-byte Folded Spill
	buffer_store_dword v38, off, s[16:19], 0 offset:100 ; 4-byte Folded Spill
	buffer_store_dword v39, off, s[16:19], 0 offset:104 ; 4-byte Folded Spill
	buffer_store_dword v40, off, s[16:19], 0 offset:108 ; 4-byte Folded Spill
	;; [unrolled: 19-line block ×7, first 2 shown]
	ds_read2_b64 v[175:178], v253 offset0:62 offset1:63
	s_clause 0x3
	buffer_load_dword v37, off, s[16:19], 0
	buffer_load_dword v38, off, s[16:19], 0 offset:4
	buffer_load_dword v39, off, s[16:19], 0 offset:8
	;; [unrolled: 1-line block ×3, first 2 shown]
	s_waitcnt lgkmcnt(0)
	v_mul_f64 v[153:154], v[177:178], v[155:156]
	v_fma_f64 v[153:154], v[175:176], v[173:174], -v[153:154]
	v_mul_f64 v[175:176], v[175:176], v[155:156]
	v_fma_f64 v[175:176], v[177:178], v[173:174], v[175:176]
	s_waitcnt vmcnt(2)
	v_add_f64 v[37:38], v[37:38], -v[153:154]
	s_waitcnt vmcnt(0)
	v_add_f64 v[39:40], v[39:40], -v[175:176]
	buffer_store_dword v37, off, s[16:19], 0 ; 4-byte Folded Spill
	buffer_store_dword v38, off, s[16:19], 0 offset:4 ; 4-byte Folded Spill
	buffer_store_dword v39, off, s[16:19], 0 offset:8 ; 4-byte Folded Spill
	;; [unrolled: 1-line block ×3, first 2 shown]
	ds_read2_b64 v[175:178], v253 offset0:64 offset1:65
	s_waitcnt lgkmcnt(0)
	v_mul_f64 v[153:154], v[177:178], v[155:156]
	v_fma_f64 v[153:154], v[175:176], v[173:174], -v[153:154]
	v_mul_f64 v[175:176], v[175:176], v[155:156]
	v_add_f64 v[233:234], v[233:234], -v[153:154]
	v_fma_f64 v[175:176], v[177:178], v[173:174], v[175:176]
	v_add_f64 v[235:236], v[235:236], -v[175:176]
	ds_read2_b64 v[175:178], v253 offset0:66 offset1:67
	s_waitcnt lgkmcnt(0)
	v_mul_f64 v[153:154], v[177:178], v[155:156]
	v_fma_f64 v[153:154], v[175:176], v[173:174], -v[153:154]
	v_mul_f64 v[175:176], v[175:176], v[155:156]
	v_add_f64 v[213:214], v[213:214], -v[153:154]
	v_fma_f64 v[175:176], v[177:178], v[173:174], v[175:176]
	v_add_f64 v[215:216], v[215:216], -v[175:176]
	;; [unrolled: 8-line block ×10, first 2 shown]
	ds_read2_b64 v[175:178], v253 offset0:84 offset1:85
	s_waitcnt lgkmcnt(0)
	v_mul_f64 v[153:154], v[177:178], v[155:156]
	v_fma_f64 v[153:154], v[175:176], v[173:174], -v[153:154]
	v_mul_f64 v[175:176], v[175:176], v[155:156]
	v_add_f64 v[1:2], v[1:2], -v[153:154]
	v_fma_f64 v[175:176], v[177:178], v[173:174], v[175:176]
	v_mov_b32_e32 v153, v173
	v_mov_b32_e32 v154, v174
	buffer_store_dword v153, off, s[16:19], 0 offset:128 ; 4-byte Folded Spill
	buffer_store_dword v154, off, s[16:19], 0 offset:132 ; 4-byte Folded Spill
	;; [unrolled: 1-line block ×4, first 2 shown]
	v_add_f64 v[3:4], v[3:4], -v[175:176]
.LBB85_46:
	s_or_b32 exec_lo, exec_lo, s1
	s_mov_b32 s2, exec_lo
	s_waitcnt_vscnt null, 0x0
	s_barrier
	buffer_gl0_inv
	v_cmpx_eq_u32_e32 5, v0
	s_cbranch_execz .LBB85_53
; %bb.47:
	ds_write2_b64 v255, v[149:150], v[151:152] offset1:1
	ds_write2_b64 v253, v[205:206], v[207:208] offset0:12 offset1:13
	ds_write2_b64 v253, v[209:210], v[211:212] offset0:14 offset1:15
	;; [unrolled: 1-line block ×18, first 2 shown]
	s_clause 0x3
	buffer_load_dword v37, off, s[16:19], 0 offset:112
	buffer_load_dword v38, off, s[16:19], 0 offset:116
	buffer_load_dword v39, off, s[16:19], 0 offset:120
	buffer_load_dword v40, off, s[16:19], 0 offset:124
	s_waitcnt vmcnt(0)
	ds_write2_b64 v253, v[37:38], v[39:40] offset0:48 offset1:49
	s_clause 0x3
	buffer_load_dword v37, off, s[16:19], 0 offset:96
	buffer_load_dword v38, off, s[16:19], 0 offset:100
	buffer_load_dword v39, off, s[16:19], 0 offset:104
	buffer_load_dword v40, off, s[16:19], 0 offset:108
	s_waitcnt vmcnt(0)
	ds_write2_b64 v253, v[37:38], v[39:40] offset0:50 offset1:51
	;; [unrolled: 7-line block ×7, first 2 shown]
	s_clause 0x3
	buffer_load_dword v37, off, s[16:19], 0
	buffer_load_dword v38, off, s[16:19], 0 offset:4
	buffer_load_dword v39, off, s[16:19], 0 offset:8
	;; [unrolled: 1-line block ×3, first 2 shown]
	s_waitcnt vmcnt(0)
	ds_write2_b64 v253, v[37:38], v[39:40] offset0:62 offset1:63
	ds_write2_b64 v253, v[233:234], v[235:236] offset0:64 offset1:65
	;; [unrolled: 1-line block ×12, first 2 shown]
	ds_read2_b64 v[173:176], v255 offset1:1
	s_waitcnt lgkmcnt(0)
	v_cmp_neq_f64_e32 vcc_lo, 0, v[173:174]
	v_cmp_neq_f64_e64 s1, 0, v[175:176]
	s_or_b32 s1, vcc_lo, s1
	s_and_b32 exec_lo, exec_lo, s1
	s_cbranch_execz .LBB85_53
; %bb.48:
	v_cmp_ngt_f64_e64 s1, |v[173:174]|, |v[175:176]|
                                        ; implicit-def: $vgpr177_vgpr178
	s_and_saveexec_b32 s3, s1
	s_xor_b32 s1, exec_lo, s3
                                        ; implicit-def: $vgpr179_vgpr180
	s_cbranch_execz .LBB85_50
; %bb.49:
	v_div_scale_f64 v[177:178], null, v[175:176], v[175:176], v[173:174]
	v_div_scale_f64 v[183:184], vcc_lo, v[173:174], v[175:176], v[173:174]
	v_rcp_f64_e32 v[179:180], v[177:178]
	v_fma_f64 v[181:182], -v[177:178], v[179:180], 1.0
	v_fma_f64 v[179:180], v[179:180], v[181:182], v[179:180]
	v_fma_f64 v[181:182], -v[177:178], v[179:180], 1.0
	v_fma_f64 v[179:180], v[179:180], v[181:182], v[179:180]
	v_mul_f64 v[181:182], v[183:184], v[179:180]
	v_fma_f64 v[177:178], -v[177:178], v[181:182], v[183:184]
	v_div_fmas_f64 v[177:178], v[177:178], v[179:180], v[181:182]
	v_div_fixup_f64 v[177:178], v[177:178], v[175:176], v[173:174]
	v_fma_f64 v[173:174], v[173:174], v[177:178], v[175:176]
	v_div_scale_f64 v[175:176], null, v[173:174], v[173:174], 1.0
	v_rcp_f64_e32 v[179:180], v[175:176]
	v_fma_f64 v[181:182], -v[175:176], v[179:180], 1.0
	v_fma_f64 v[179:180], v[179:180], v[181:182], v[179:180]
	v_fma_f64 v[181:182], -v[175:176], v[179:180], 1.0
	v_fma_f64 v[179:180], v[179:180], v[181:182], v[179:180]
	v_div_scale_f64 v[181:182], vcc_lo, 1.0, v[173:174], 1.0
	v_mul_f64 v[183:184], v[181:182], v[179:180]
	v_fma_f64 v[175:176], -v[175:176], v[183:184], v[181:182]
	v_div_fmas_f64 v[175:176], v[175:176], v[179:180], v[183:184]
	v_div_fixup_f64 v[179:180], v[175:176], v[173:174], 1.0
                                        ; implicit-def: $vgpr173_vgpr174
	v_mul_f64 v[177:178], v[177:178], v[179:180]
	v_xor_b32_e32 v180, 0x80000000, v180
.LBB85_50:
	s_andn2_saveexec_b32 s1, s1
	s_cbranch_execz .LBB85_52
; %bb.51:
	v_div_scale_f64 v[177:178], null, v[173:174], v[173:174], v[175:176]
	v_div_scale_f64 v[183:184], vcc_lo, v[175:176], v[173:174], v[175:176]
	v_rcp_f64_e32 v[179:180], v[177:178]
	v_fma_f64 v[181:182], -v[177:178], v[179:180], 1.0
	v_fma_f64 v[179:180], v[179:180], v[181:182], v[179:180]
	v_fma_f64 v[181:182], -v[177:178], v[179:180], 1.0
	v_fma_f64 v[179:180], v[179:180], v[181:182], v[179:180]
	v_mul_f64 v[181:182], v[183:184], v[179:180]
	v_fma_f64 v[177:178], -v[177:178], v[181:182], v[183:184]
	v_div_fmas_f64 v[177:178], v[177:178], v[179:180], v[181:182]
	v_div_fixup_f64 v[179:180], v[177:178], v[173:174], v[175:176]
	v_fma_f64 v[173:174], v[175:176], v[179:180], v[173:174]
	v_div_scale_f64 v[175:176], null, v[173:174], v[173:174], 1.0
	v_rcp_f64_e32 v[177:178], v[175:176]
	v_fma_f64 v[181:182], -v[175:176], v[177:178], 1.0
	v_fma_f64 v[177:178], v[177:178], v[181:182], v[177:178]
	v_fma_f64 v[181:182], -v[175:176], v[177:178], 1.0
	v_fma_f64 v[177:178], v[177:178], v[181:182], v[177:178]
	v_div_scale_f64 v[181:182], vcc_lo, 1.0, v[173:174], 1.0
	v_mul_f64 v[183:184], v[181:182], v[177:178]
	v_fma_f64 v[175:176], -v[175:176], v[183:184], v[181:182]
	v_div_fmas_f64 v[175:176], v[175:176], v[177:178], v[183:184]
	v_div_fixup_f64 v[177:178], v[175:176], v[173:174], 1.0
	v_mul_f64 v[179:180], v[179:180], -v[177:178]
.LBB85_52:
	s_or_b32 exec_lo, exec_lo, s1
	ds_write2_b64 v255, v[177:178], v[179:180] offset1:1
.LBB85_53:
	s_or_b32 exec_lo, exec_lo, s2
	s_waitcnt lgkmcnt(0)
	s_barrier
	buffer_gl0_inv
	ds_read2_b64 v[153:156], v255 offset1:1
	s_mov_b32 s1, exec_lo
	v_cmpx_lt_u32_e32 5, v0
	s_cbranch_execz .LBB85_55
; %bb.54:
	s_waitcnt lgkmcnt(0)
	v_mul_f64 v[173:174], v[155:156], v[151:152]
	v_mul_f64 v[151:152], v[153:154], v[151:152]
	ds_read2_b64 v[175:178], v253 offset0:12 offset1:13
	v_fma_f64 v[173:174], v[153:154], v[149:150], -v[173:174]
	v_fma_f64 v[151:152], v[155:156], v[149:150], v[151:152]
	s_waitcnt lgkmcnt(0)
	v_mul_f64 v[149:150], v[177:178], v[151:152]
	v_fma_f64 v[149:150], v[175:176], v[173:174], -v[149:150]
	v_mul_f64 v[175:176], v[175:176], v[151:152]
	v_add_f64 v[205:206], v[205:206], -v[149:150]
	v_fma_f64 v[175:176], v[177:178], v[173:174], v[175:176]
	v_add_f64 v[207:208], v[207:208], -v[175:176]
	ds_read2_b64 v[175:178], v253 offset0:14 offset1:15
	s_waitcnt lgkmcnt(0)
	v_mul_f64 v[149:150], v[177:178], v[151:152]
	v_fma_f64 v[149:150], v[175:176], v[173:174], -v[149:150]
	v_mul_f64 v[175:176], v[175:176], v[151:152]
	v_add_f64 v[209:210], v[209:210], -v[149:150]
	v_fma_f64 v[175:176], v[177:178], v[173:174], v[175:176]
	v_add_f64 v[211:212], v[211:212], -v[175:176]
	ds_read2_b64 v[175:178], v253 offset0:16 offset1:17
	;; [unrolled: 8-line block ×18, first 2 shown]
	s_clause 0x3
	buffer_load_dword v37, off, s[16:19], 0 offset:112
	buffer_load_dword v38, off, s[16:19], 0 offset:116
	buffer_load_dword v39, off, s[16:19], 0 offset:120
	buffer_load_dword v40, off, s[16:19], 0 offset:124
	s_waitcnt lgkmcnt(0)
	v_mul_f64 v[149:150], v[177:178], v[151:152]
	v_fma_f64 v[149:150], v[175:176], v[173:174], -v[149:150]
	v_mul_f64 v[175:176], v[175:176], v[151:152]
	v_fma_f64 v[175:176], v[177:178], v[173:174], v[175:176]
	s_waitcnt vmcnt(2)
	v_add_f64 v[37:38], v[37:38], -v[149:150]
	s_waitcnt vmcnt(0)
	v_add_f64 v[39:40], v[39:40], -v[175:176]
	buffer_store_dword v37, off, s[16:19], 0 offset:112 ; 4-byte Folded Spill
	buffer_store_dword v38, off, s[16:19], 0 offset:116 ; 4-byte Folded Spill
	buffer_store_dword v39, off, s[16:19], 0 offset:120 ; 4-byte Folded Spill
	buffer_store_dword v40, off, s[16:19], 0 offset:124 ; 4-byte Folded Spill
	ds_read2_b64 v[175:178], v253 offset0:50 offset1:51
	s_clause 0x3
	buffer_load_dword v37, off, s[16:19], 0 offset:96
	buffer_load_dword v38, off, s[16:19], 0 offset:100
	buffer_load_dword v39, off, s[16:19], 0 offset:104
	buffer_load_dword v40, off, s[16:19], 0 offset:108
	s_waitcnt lgkmcnt(0)
	v_mul_f64 v[149:150], v[177:178], v[151:152]
	v_fma_f64 v[149:150], v[175:176], v[173:174], -v[149:150]
	v_mul_f64 v[175:176], v[175:176], v[151:152]
	v_fma_f64 v[175:176], v[177:178], v[173:174], v[175:176]
	s_waitcnt vmcnt(2)
	v_add_f64 v[37:38], v[37:38], -v[149:150]
	s_waitcnt vmcnt(0)
	v_add_f64 v[39:40], v[39:40], -v[175:176]
	buffer_store_dword v37, off, s[16:19], 0 offset:96 ; 4-byte Folded Spill
	buffer_store_dword v38, off, s[16:19], 0 offset:100 ; 4-byte Folded Spill
	buffer_store_dword v39, off, s[16:19], 0 offset:104 ; 4-byte Folded Spill
	buffer_store_dword v40, off, s[16:19], 0 offset:108 ; 4-byte Folded Spill
	ds_read2_b64 v[175:178], v253 offset0:52 offset1:53
	;; [unrolled: 19-line block ×7, first 2 shown]
	s_clause 0x3
	buffer_load_dword v37, off, s[16:19], 0
	buffer_load_dword v38, off, s[16:19], 0 offset:4
	buffer_load_dword v39, off, s[16:19], 0 offset:8
	;; [unrolled: 1-line block ×3, first 2 shown]
	s_waitcnt lgkmcnt(0)
	v_mul_f64 v[149:150], v[177:178], v[151:152]
	v_fma_f64 v[149:150], v[175:176], v[173:174], -v[149:150]
	v_mul_f64 v[175:176], v[175:176], v[151:152]
	v_fma_f64 v[175:176], v[177:178], v[173:174], v[175:176]
	s_waitcnt vmcnt(2)
	v_add_f64 v[37:38], v[37:38], -v[149:150]
	s_waitcnt vmcnt(0)
	v_add_f64 v[39:40], v[39:40], -v[175:176]
	buffer_store_dword v37, off, s[16:19], 0 ; 4-byte Folded Spill
	buffer_store_dword v38, off, s[16:19], 0 offset:4 ; 4-byte Folded Spill
	buffer_store_dword v39, off, s[16:19], 0 offset:8 ; 4-byte Folded Spill
	;; [unrolled: 1-line block ×3, first 2 shown]
	ds_read2_b64 v[175:178], v253 offset0:64 offset1:65
	s_waitcnt lgkmcnt(0)
	v_mul_f64 v[149:150], v[177:178], v[151:152]
	v_fma_f64 v[149:150], v[175:176], v[173:174], -v[149:150]
	v_mul_f64 v[175:176], v[175:176], v[151:152]
	v_add_f64 v[233:234], v[233:234], -v[149:150]
	v_fma_f64 v[175:176], v[177:178], v[173:174], v[175:176]
	v_add_f64 v[235:236], v[235:236], -v[175:176]
	ds_read2_b64 v[175:178], v253 offset0:66 offset1:67
	s_waitcnt lgkmcnt(0)
	v_mul_f64 v[149:150], v[177:178], v[151:152]
	v_fma_f64 v[149:150], v[175:176], v[173:174], -v[149:150]
	v_mul_f64 v[175:176], v[175:176], v[151:152]
	v_add_f64 v[213:214], v[213:214], -v[149:150]
	v_fma_f64 v[175:176], v[177:178], v[173:174], v[175:176]
	v_add_f64 v[215:216], v[215:216], -v[175:176]
	;; [unrolled: 8-line block ×10, first 2 shown]
	ds_read2_b64 v[175:178], v253 offset0:84 offset1:85
	s_waitcnt lgkmcnt(0)
	v_mul_f64 v[149:150], v[177:178], v[151:152]
	v_fma_f64 v[149:150], v[175:176], v[173:174], -v[149:150]
	v_mul_f64 v[175:176], v[175:176], v[151:152]
	v_add_f64 v[1:2], v[1:2], -v[149:150]
	v_fma_f64 v[175:176], v[177:178], v[173:174], v[175:176]
	v_mov_b32_e32 v149, v173
	v_mov_b32_e32 v150, v174
	v_add_f64 v[3:4], v[3:4], -v[175:176]
.LBB85_55:
	s_or_b32 exec_lo, exec_lo, s1
	s_mov_b32 s2, exec_lo
	s_waitcnt lgkmcnt(0)
	s_waitcnt_vscnt null, 0x0
	s_barrier
	buffer_gl0_inv
	v_cmpx_eq_u32_e32 6, v0
	s_cbranch_execz .LBB85_62
; %bb.56:
	ds_write2_b64 v255, v[205:206], v[207:208] offset1:1
	ds_write2_b64 v253, v[209:210], v[211:212] offset0:14 offset1:15
	ds_write2_b64 v253, v[137:138], v[139:140] offset0:16 offset1:17
	;; [unrolled: 1-line block ×17, first 2 shown]
	s_clause 0x3
	buffer_load_dword v37, off, s[16:19], 0 offset:112
	buffer_load_dword v38, off, s[16:19], 0 offset:116
	buffer_load_dword v39, off, s[16:19], 0 offset:120
	buffer_load_dword v40, off, s[16:19], 0 offset:124
	s_waitcnt vmcnt(0)
	ds_write2_b64 v253, v[37:38], v[39:40] offset0:48 offset1:49
	s_clause 0x3
	buffer_load_dword v37, off, s[16:19], 0 offset:96
	buffer_load_dword v38, off, s[16:19], 0 offset:100
	buffer_load_dword v39, off, s[16:19], 0 offset:104
	buffer_load_dword v40, off, s[16:19], 0 offset:108
	s_waitcnt vmcnt(0)
	ds_write2_b64 v253, v[37:38], v[39:40] offset0:50 offset1:51
	;; [unrolled: 7-line block ×7, first 2 shown]
	s_clause 0x3
	buffer_load_dword v37, off, s[16:19], 0
	buffer_load_dword v38, off, s[16:19], 0 offset:4
	buffer_load_dword v39, off, s[16:19], 0 offset:8
	;; [unrolled: 1-line block ×3, first 2 shown]
	s_waitcnt vmcnt(0)
	ds_write2_b64 v253, v[37:38], v[39:40] offset0:62 offset1:63
	ds_write2_b64 v253, v[233:234], v[235:236] offset0:64 offset1:65
	;; [unrolled: 1-line block ×12, first 2 shown]
	ds_read2_b64 v[173:176], v255 offset1:1
	s_waitcnt lgkmcnt(0)
	v_cmp_neq_f64_e32 vcc_lo, 0, v[173:174]
	v_cmp_neq_f64_e64 s1, 0, v[175:176]
	s_or_b32 s1, vcc_lo, s1
	s_and_b32 exec_lo, exec_lo, s1
	s_cbranch_execz .LBB85_62
; %bb.57:
	v_cmp_ngt_f64_e64 s1, |v[173:174]|, |v[175:176]|
                                        ; implicit-def: $vgpr177_vgpr178
	s_and_saveexec_b32 s3, s1
	s_xor_b32 s1, exec_lo, s3
                                        ; implicit-def: $vgpr179_vgpr180
	s_cbranch_execz .LBB85_59
; %bb.58:
	v_div_scale_f64 v[177:178], null, v[175:176], v[175:176], v[173:174]
	v_div_scale_f64 v[183:184], vcc_lo, v[173:174], v[175:176], v[173:174]
	v_rcp_f64_e32 v[179:180], v[177:178]
	v_fma_f64 v[181:182], -v[177:178], v[179:180], 1.0
	v_fma_f64 v[179:180], v[179:180], v[181:182], v[179:180]
	v_fma_f64 v[181:182], -v[177:178], v[179:180], 1.0
	v_fma_f64 v[179:180], v[179:180], v[181:182], v[179:180]
	v_mul_f64 v[181:182], v[183:184], v[179:180]
	v_fma_f64 v[177:178], -v[177:178], v[181:182], v[183:184]
	v_div_fmas_f64 v[177:178], v[177:178], v[179:180], v[181:182]
	v_div_fixup_f64 v[177:178], v[177:178], v[175:176], v[173:174]
	v_fma_f64 v[173:174], v[173:174], v[177:178], v[175:176]
	v_div_scale_f64 v[175:176], null, v[173:174], v[173:174], 1.0
	v_rcp_f64_e32 v[179:180], v[175:176]
	v_fma_f64 v[181:182], -v[175:176], v[179:180], 1.0
	v_fma_f64 v[179:180], v[179:180], v[181:182], v[179:180]
	v_fma_f64 v[181:182], -v[175:176], v[179:180], 1.0
	v_fma_f64 v[179:180], v[179:180], v[181:182], v[179:180]
	v_div_scale_f64 v[181:182], vcc_lo, 1.0, v[173:174], 1.0
	v_mul_f64 v[183:184], v[181:182], v[179:180]
	v_fma_f64 v[175:176], -v[175:176], v[183:184], v[181:182]
	v_div_fmas_f64 v[175:176], v[175:176], v[179:180], v[183:184]
	v_div_fixup_f64 v[179:180], v[175:176], v[173:174], 1.0
                                        ; implicit-def: $vgpr173_vgpr174
	v_mul_f64 v[177:178], v[177:178], v[179:180]
	v_xor_b32_e32 v180, 0x80000000, v180
.LBB85_59:
	s_andn2_saveexec_b32 s1, s1
	s_cbranch_execz .LBB85_61
; %bb.60:
	v_div_scale_f64 v[177:178], null, v[173:174], v[173:174], v[175:176]
	v_div_scale_f64 v[183:184], vcc_lo, v[175:176], v[173:174], v[175:176]
	v_rcp_f64_e32 v[179:180], v[177:178]
	v_fma_f64 v[181:182], -v[177:178], v[179:180], 1.0
	v_fma_f64 v[179:180], v[179:180], v[181:182], v[179:180]
	v_fma_f64 v[181:182], -v[177:178], v[179:180], 1.0
	v_fma_f64 v[179:180], v[179:180], v[181:182], v[179:180]
	v_mul_f64 v[181:182], v[183:184], v[179:180]
	v_fma_f64 v[177:178], -v[177:178], v[181:182], v[183:184]
	v_div_fmas_f64 v[177:178], v[177:178], v[179:180], v[181:182]
	v_div_fixup_f64 v[179:180], v[177:178], v[173:174], v[175:176]
	v_fma_f64 v[173:174], v[175:176], v[179:180], v[173:174]
	v_div_scale_f64 v[175:176], null, v[173:174], v[173:174], 1.0
	v_rcp_f64_e32 v[177:178], v[175:176]
	v_fma_f64 v[181:182], -v[175:176], v[177:178], 1.0
	v_fma_f64 v[177:178], v[177:178], v[181:182], v[177:178]
	v_fma_f64 v[181:182], -v[175:176], v[177:178], 1.0
	v_fma_f64 v[177:178], v[177:178], v[181:182], v[177:178]
	v_div_scale_f64 v[181:182], vcc_lo, 1.0, v[173:174], 1.0
	v_mul_f64 v[183:184], v[181:182], v[177:178]
	v_fma_f64 v[175:176], -v[175:176], v[183:184], v[181:182]
	v_div_fmas_f64 v[175:176], v[175:176], v[177:178], v[183:184]
	v_div_fixup_f64 v[177:178], v[175:176], v[173:174], 1.0
	v_mul_f64 v[179:180], v[179:180], -v[177:178]
.LBB85_61:
	s_or_b32 exec_lo, exec_lo, s1
	ds_write2_b64 v255, v[177:178], v[179:180] offset1:1
.LBB85_62:
	s_or_b32 exec_lo, exec_lo, s2
	s_waitcnt lgkmcnt(0)
	s_barrier
	buffer_gl0_inv
	ds_read2_b64 v[197:200], v255 offset1:1
	s_mov_b32 s1, exec_lo
	v_cmpx_lt_u32_e32 6, v0
	s_cbranch_execz .LBB85_64
; %bb.63:
	s_waitcnt lgkmcnt(0)
	v_mul_f64 v[147:148], v[197:198], v[207:208]
	v_mul_f64 v[173:174], v[199:200], v[207:208]
	ds_read2_b64 v[175:178], v253 offset0:14 offset1:15
	v_fma_f64 v[207:208], v[199:200], v[205:206], v[147:148]
	v_fma_f64 v[173:174], v[197:198], v[205:206], -v[173:174]
	s_waitcnt lgkmcnt(0)
	v_mul_f64 v[145:146], v[177:178], v[207:208]
	v_mov_b32_e32 v206, v174
	v_mov_b32_e32 v205, v173
	v_fma_f64 v[145:146], v[175:176], v[173:174], -v[145:146]
	v_mul_f64 v[175:176], v[175:176], v[207:208]
	v_add_f64 v[209:210], v[209:210], -v[145:146]
	v_fma_f64 v[175:176], v[177:178], v[173:174], v[175:176]
	v_add_f64 v[211:212], v[211:212], -v[175:176]
	ds_read2_b64 v[175:178], v253 offset0:16 offset1:17
	s_waitcnt lgkmcnt(0)
	v_mul_f64 v[145:146], v[177:178], v[207:208]
	v_fma_f64 v[145:146], v[175:176], v[173:174], -v[145:146]
	v_mul_f64 v[175:176], v[175:176], v[207:208]
	v_add_f64 v[137:138], v[137:138], -v[145:146]
	v_fma_f64 v[175:176], v[177:178], v[173:174], v[175:176]
	v_add_f64 v[139:140], v[139:140], -v[175:176]
	ds_read2_b64 v[175:178], v253 offset0:18 offset1:19
	s_waitcnt lgkmcnt(0)
	v_mul_f64 v[145:146], v[177:178], v[207:208]
	;; [unrolled: 8-line block ×16, first 2 shown]
	v_fma_f64 v[145:146], v[175:176], v[173:174], -v[145:146]
	v_mul_f64 v[175:176], v[175:176], v[207:208]
	v_add_f64 v[77:78], v[77:78], -v[145:146]
	v_fma_f64 v[175:176], v[177:178], v[173:174], v[175:176]
	v_add_f64 v[79:80], v[79:80], -v[175:176]
	ds_read2_b64 v[175:178], v253 offset0:48 offset1:49
	s_clause 0x3
	buffer_load_dword v37, off, s[16:19], 0 offset:112
	buffer_load_dword v38, off, s[16:19], 0 offset:116
	buffer_load_dword v39, off, s[16:19], 0 offset:120
	buffer_load_dword v40, off, s[16:19], 0 offset:124
	s_waitcnt lgkmcnt(0)
	v_mul_f64 v[145:146], v[177:178], v[207:208]
	v_fma_f64 v[145:146], v[175:176], v[173:174], -v[145:146]
	v_mul_f64 v[175:176], v[175:176], v[207:208]
	v_fma_f64 v[175:176], v[177:178], v[173:174], v[175:176]
	s_waitcnt vmcnt(2)
	v_add_f64 v[37:38], v[37:38], -v[145:146]
	s_waitcnt vmcnt(0)
	v_add_f64 v[39:40], v[39:40], -v[175:176]
	buffer_store_dword v37, off, s[16:19], 0 offset:112 ; 4-byte Folded Spill
	buffer_store_dword v38, off, s[16:19], 0 offset:116 ; 4-byte Folded Spill
	buffer_store_dword v39, off, s[16:19], 0 offset:120 ; 4-byte Folded Spill
	buffer_store_dword v40, off, s[16:19], 0 offset:124 ; 4-byte Folded Spill
	ds_read2_b64 v[175:178], v253 offset0:50 offset1:51
	s_clause 0x3
	buffer_load_dword v37, off, s[16:19], 0 offset:96
	buffer_load_dword v38, off, s[16:19], 0 offset:100
	buffer_load_dword v39, off, s[16:19], 0 offset:104
	buffer_load_dword v40, off, s[16:19], 0 offset:108
	s_waitcnt lgkmcnt(0)
	v_mul_f64 v[145:146], v[177:178], v[207:208]
	v_fma_f64 v[145:146], v[175:176], v[173:174], -v[145:146]
	v_mul_f64 v[175:176], v[175:176], v[207:208]
	v_fma_f64 v[175:176], v[177:178], v[173:174], v[175:176]
	s_waitcnt vmcnt(2)
	v_add_f64 v[37:38], v[37:38], -v[145:146]
	s_waitcnt vmcnt(0)
	v_add_f64 v[39:40], v[39:40], -v[175:176]
	buffer_store_dword v37, off, s[16:19], 0 offset:96 ; 4-byte Folded Spill
	buffer_store_dword v38, off, s[16:19], 0 offset:100 ; 4-byte Folded Spill
	buffer_store_dword v39, off, s[16:19], 0 offset:104 ; 4-byte Folded Spill
	buffer_store_dword v40, off, s[16:19], 0 offset:108 ; 4-byte Folded Spill
	;; [unrolled: 19-line block ×7, first 2 shown]
	ds_read2_b64 v[175:178], v253 offset0:62 offset1:63
	s_clause 0x3
	buffer_load_dword v37, off, s[16:19], 0
	buffer_load_dword v38, off, s[16:19], 0 offset:4
	buffer_load_dword v39, off, s[16:19], 0 offset:8
	;; [unrolled: 1-line block ×3, first 2 shown]
	s_waitcnt lgkmcnt(0)
	v_mul_f64 v[145:146], v[177:178], v[207:208]
	v_fma_f64 v[145:146], v[175:176], v[173:174], -v[145:146]
	v_mul_f64 v[175:176], v[175:176], v[207:208]
	v_fma_f64 v[175:176], v[177:178], v[173:174], v[175:176]
	s_waitcnt vmcnt(2)
	v_add_f64 v[37:38], v[37:38], -v[145:146]
	s_waitcnt vmcnt(0)
	v_add_f64 v[39:40], v[39:40], -v[175:176]
	buffer_store_dword v37, off, s[16:19], 0 ; 4-byte Folded Spill
	buffer_store_dword v38, off, s[16:19], 0 offset:4 ; 4-byte Folded Spill
	buffer_store_dword v39, off, s[16:19], 0 offset:8 ; 4-byte Folded Spill
	;; [unrolled: 1-line block ×3, first 2 shown]
	ds_read2_b64 v[175:178], v253 offset0:64 offset1:65
	s_waitcnt lgkmcnt(0)
	v_mul_f64 v[145:146], v[177:178], v[207:208]
	v_fma_f64 v[145:146], v[175:176], v[173:174], -v[145:146]
	v_mul_f64 v[175:176], v[175:176], v[207:208]
	v_add_f64 v[233:234], v[233:234], -v[145:146]
	v_fma_f64 v[175:176], v[177:178], v[173:174], v[175:176]
	v_add_f64 v[235:236], v[235:236], -v[175:176]
	ds_read2_b64 v[175:178], v253 offset0:66 offset1:67
	s_waitcnt lgkmcnt(0)
	v_mul_f64 v[145:146], v[177:178], v[207:208]
	v_fma_f64 v[145:146], v[175:176], v[173:174], -v[145:146]
	v_mul_f64 v[175:176], v[175:176], v[207:208]
	v_add_f64 v[213:214], v[213:214], -v[145:146]
	v_fma_f64 v[175:176], v[177:178], v[173:174], v[175:176]
	v_add_f64 v[215:216], v[215:216], -v[175:176]
	ds_read2_b64 v[175:178], v253 offset0:68 offset1:69
	s_waitcnt lgkmcnt(0)
	v_mul_f64 v[145:146], v[177:178], v[207:208]
	v_fma_f64 v[145:146], v[175:176], v[173:174], -v[145:146]
	v_mul_f64 v[175:176], v[175:176], v[207:208]
	v_add_f64 v[33:34], v[33:34], -v[145:146]
	v_fma_f64 v[175:176], v[177:178], v[173:174], v[175:176]
	v_add_f64 v[35:36], v[35:36], -v[175:176]
	ds_read2_b64 v[175:178], v253 offset0:70 offset1:71
	s_waitcnt lgkmcnt(0)
	v_mul_f64 v[145:146], v[177:178], v[207:208]
	v_fma_f64 v[145:146], v[175:176], v[173:174], -v[145:146]
	v_mul_f64 v[175:176], v[175:176], v[207:208]
	v_add_f64 v[29:30], v[29:30], -v[145:146]
	v_fma_f64 v[175:176], v[177:178], v[173:174], v[175:176]
	v_add_f64 v[31:32], v[31:32], -v[175:176]
	ds_read2_b64 v[175:178], v253 offset0:72 offset1:73
	s_waitcnt lgkmcnt(0)
	v_mul_f64 v[145:146], v[177:178], v[207:208]
	v_fma_f64 v[145:146], v[175:176], v[173:174], -v[145:146]
	v_mul_f64 v[175:176], v[175:176], v[207:208]
	v_add_f64 v[25:26], v[25:26], -v[145:146]
	v_fma_f64 v[175:176], v[177:178], v[173:174], v[175:176]
	v_add_f64 v[27:28], v[27:28], -v[175:176]
	ds_read2_b64 v[175:178], v253 offset0:74 offset1:75
	s_waitcnt lgkmcnt(0)
	v_mul_f64 v[145:146], v[177:178], v[207:208]
	v_fma_f64 v[145:146], v[175:176], v[173:174], -v[145:146]
	v_mul_f64 v[175:176], v[175:176], v[207:208]
	v_add_f64 v[21:22], v[21:22], -v[145:146]
	v_fma_f64 v[175:176], v[177:178], v[173:174], v[175:176]
	v_add_f64 v[23:24], v[23:24], -v[175:176]
	ds_read2_b64 v[175:178], v253 offset0:76 offset1:77
	s_waitcnt lgkmcnt(0)
	v_mul_f64 v[145:146], v[177:178], v[207:208]
	v_fma_f64 v[145:146], v[175:176], v[173:174], -v[145:146]
	v_mul_f64 v[175:176], v[175:176], v[207:208]
	v_add_f64 v[17:18], v[17:18], -v[145:146]
	v_fma_f64 v[175:176], v[177:178], v[173:174], v[175:176]
	v_add_f64 v[19:20], v[19:20], -v[175:176]
	ds_read2_b64 v[175:178], v253 offset0:78 offset1:79
	s_waitcnt lgkmcnt(0)
	v_mul_f64 v[145:146], v[177:178], v[207:208]
	v_fma_f64 v[145:146], v[175:176], v[173:174], -v[145:146]
	v_mul_f64 v[175:176], v[175:176], v[207:208]
	v_add_f64 v[13:14], v[13:14], -v[145:146]
	v_fma_f64 v[175:176], v[177:178], v[173:174], v[175:176]
	v_add_f64 v[15:16], v[15:16], -v[175:176]
	ds_read2_b64 v[175:178], v253 offset0:80 offset1:81
	s_waitcnt lgkmcnt(0)
	v_mul_f64 v[145:146], v[177:178], v[207:208]
	v_fma_f64 v[145:146], v[175:176], v[173:174], -v[145:146]
	v_mul_f64 v[175:176], v[175:176], v[207:208]
	v_add_f64 v[9:10], v[9:10], -v[145:146]
	v_fma_f64 v[175:176], v[177:178], v[173:174], v[175:176]
	v_add_f64 v[11:12], v[11:12], -v[175:176]
	ds_read2_b64 v[175:178], v253 offset0:82 offset1:83
	s_waitcnt lgkmcnt(0)
	v_mul_f64 v[145:146], v[177:178], v[207:208]
	v_fma_f64 v[145:146], v[175:176], v[173:174], -v[145:146]
	v_mul_f64 v[175:176], v[175:176], v[207:208]
	v_add_f64 v[5:6], v[5:6], -v[145:146]
	v_fma_f64 v[175:176], v[177:178], v[173:174], v[175:176]
	v_add_f64 v[7:8], v[7:8], -v[175:176]
	ds_read2_b64 v[175:178], v253 offset0:84 offset1:85
	s_waitcnt lgkmcnt(0)
	v_mul_f64 v[145:146], v[177:178], v[207:208]
	v_fma_f64 v[145:146], v[175:176], v[173:174], -v[145:146]
	v_mul_f64 v[175:176], v[175:176], v[207:208]
	v_add_f64 v[1:2], v[1:2], -v[145:146]
	v_fma_f64 v[175:176], v[177:178], v[173:174], v[175:176]
	v_add_f64 v[3:4], v[3:4], -v[175:176]
.LBB85_64:
	s_or_b32 exec_lo, exec_lo, s1
	s_mov_b32 s2, exec_lo
	s_waitcnt lgkmcnt(0)
	s_waitcnt_vscnt null, 0x0
	s_barrier
	buffer_gl0_inv
	v_cmpx_eq_u32_e32 7, v0
	s_cbranch_execz .LBB85_71
; %bb.65:
	ds_write2_b64 v255, v[209:210], v[211:212] offset1:1
	ds_write2_b64 v253, v[137:138], v[139:140] offset0:16 offset1:17
	ds_write2_b64 v253, v[133:134], v[135:136] offset0:18 offset1:19
	;; [unrolled: 1-line block ×16, first 2 shown]
	s_clause 0x3
	buffer_load_dword v37, off, s[16:19], 0 offset:112
	buffer_load_dword v38, off, s[16:19], 0 offset:116
	buffer_load_dword v39, off, s[16:19], 0 offset:120
	buffer_load_dword v40, off, s[16:19], 0 offset:124
	s_waitcnt vmcnt(0)
	ds_write2_b64 v253, v[37:38], v[39:40] offset0:48 offset1:49
	s_clause 0x3
	buffer_load_dword v37, off, s[16:19], 0 offset:96
	buffer_load_dword v38, off, s[16:19], 0 offset:100
	buffer_load_dword v39, off, s[16:19], 0 offset:104
	buffer_load_dword v40, off, s[16:19], 0 offset:108
	s_waitcnt vmcnt(0)
	ds_write2_b64 v253, v[37:38], v[39:40] offset0:50 offset1:51
	s_clause 0x3
	buffer_load_dword v37, off, s[16:19], 0 offset:80
	buffer_load_dword v38, off, s[16:19], 0 offset:84
	buffer_load_dword v39, off, s[16:19], 0 offset:88
	buffer_load_dword v40, off, s[16:19], 0 offset:92
	s_waitcnt vmcnt(0)
	ds_write2_b64 v253, v[37:38], v[39:40] offset0:52 offset1:53
	s_clause 0x3
	buffer_load_dword v37, off, s[16:19], 0 offset:64
	buffer_load_dword v38, off, s[16:19], 0 offset:68
	buffer_load_dword v39, off, s[16:19], 0 offset:72
	buffer_load_dword v40, off, s[16:19], 0 offset:76
	s_waitcnt vmcnt(0)
	ds_write2_b64 v253, v[37:38], v[39:40] offset0:54 offset1:55
	s_clause 0x3
	buffer_load_dword v37, off, s[16:19], 0 offset:48
	buffer_load_dword v38, off, s[16:19], 0 offset:52
	buffer_load_dword v39, off, s[16:19], 0 offset:56
	buffer_load_dword v40, off, s[16:19], 0 offset:60
	s_waitcnt vmcnt(0)
	ds_write2_b64 v253, v[37:38], v[39:40] offset0:56 offset1:57
	s_clause 0x3
	buffer_load_dword v37, off, s[16:19], 0 offset:32
	buffer_load_dword v38, off, s[16:19], 0 offset:36
	buffer_load_dword v39, off, s[16:19], 0 offset:40
	buffer_load_dword v40, off, s[16:19], 0 offset:44
	s_waitcnt vmcnt(0)
	ds_write2_b64 v253, v[37:38], v[39:40] offset0:58 offset1:59
	s_clause 0x3
	buffer_load_dword v37, off, s[16:19], 0 offset:16
	buffer_load_dword v38, off, s[16:19], 0 offset:20
	buffer_load_dword v39, off, s[16:19], 0 offset:24
	buffer_load_dword v40, off, s[16:19], 0 offset:28
	s_waitcnt vmcnt(0)
	ds_write2_b64 v253, v[37:38], v[39:40] offset0:60 offset1:61
	s_clause 0x3
	buffer_load_dword v37, off, s[16:19], 0
	buffer_load_dword v38, off, s[16:19], 0 offset:4
	buffer_load_dword v39, off, s[16:19], 0 offset:8
	buffer_load_dword v40, off, s[16:19], 0 offset:12
	s_waitcnt vmcnt(0)
	ds_write2_b64 v253, v[37:38], v[39:40] offset0:62 offset1:63
	ds_write2_b64 v253, v[233:234], v[235:236] offset0:64 offset1:65
	;; [unrolled: 1-line block ×12, first 2 shown]
	ds_read2_b64 v[173:176], v255 offset1:1
	s_waitcnt lgkmcnt(0)
	v_cmp_neq_f64_e32 vcc_lo, 0, v[173:174]
	v_cmp_neq_f64_e64 s1, 0, v[175:176]
	s_or_b32 s1, vcc_lo, s1
	s_and_b32 exec_lo, exec_lo, s1
	s_cbranch_execz .LBB85_71
; %bb.66:
	v_cmp_ngt_f64_e64 s1, |v[173:174]|, |v[175:176]|
                                        ; implicit-def: $vgpr177_vgpr178
	s_and_saveexec_b32 s3, s1
	s_xor_b32 s1, exec_lo, s3
                                        ; implicit-def: $vgpr179_vgpr180
	s_cbranch_execz .LBB85_68
; %bb.67:
	v_div_scale_f64 v[177:178], null, v[175:176], v[175:176], v[173:174]
	v_div_scale_f64 v[183:184], vcc_lo, v[173:174], v[175:176], v[173:174]
	v_rcp_f64_e32 v[179:180], v[177:178]
	v_fma_f64 v[181:182], -v[177:178], v[179:180], 1.0
	v_fma_f64 v[179:180], v[179:180], v[181:182], v[179:180]
	v_fma_f64 v[181:182], -v[177:178], v[179:180], 1.0
	v_fma_f64 v[179:180], v[179:180], v[181:182], v[179:180]
	v_mul_f64 v[181:182], v[183:184], v[179:180]
	v_fma_f64 v[177:178], -v[177:178], v[181:182], v[183:184]
	v_div_fmas_f64 v[177:178], v[177:178], v[179:180], v[181:182]
	v_div_fixup_f64 v[177:178], v[177:178], v[175:176], v[173:174]
	v_fma_f64 v[173:174], v[173:174], v[177:178], v[175:176]
	v_div_scale_f64 v[175:176], null, v[173:174], v[173:174], 1.0
	v_rcp_f64_e32 v[179:180], v[175:176]
	v_fma_f64 v[181:182], -v[175:176], v[179:180], 1.0
	v_fma_f64 v[179:180], v[179:180], v[181:182], v[179:180]
	v_fma_f64 v[181:182], -v[175:176], v[179:180], 1.0
	v_fma_f64 v[179:180], v[179:180], v[181:182], v[179:180]
	v_div_scale_f64 v[181:182], vcc_lo, 1.0, v[173:174], 1.0
	v_mul_f64 v[183:184], v[181:182], v[179:180]
	v_fma_f64 v[175:176], -v[175:176], v[183:184], v[181:182]
	v_div_fmas_f64 v[175:176], v[175:176], v[179:180], v[183:184]
	v_div_fixup_f64 v[179:180], v[175:176], v[173:174], 1.0
                                        ; implicit-def: $vgpr173_vgpr174
	v_mul_f64 v[177:178], v[177:178], v[179:180]
	v_xor_b32_e32 v180, 0x80000000, v180
.LBB85_68:
	s_andn2_saveexec_b32 s1, s1
	s_cbranch_execz .LBB85_70
; %bb.69:
	v_div_scale_f64 v[177:178], null, v[173:174], v[173:174], v[175:176]
	v_div_scale_f64 v[183:184], vcc_lo, v[175:176], v[173:174], v[175:176]
	v_rcp_f64_e32 v[179:180], v[177:178]
	v_fma_f64 v[181:182], -v[177:178], v[179:180], 1.0
	v_fma_f64 v[179:180], v[179:180], v[181:182], v[179:180]
	v_fma_f64 v[181:182], -v[177:178], v[179:180], 1.0
	v_fma_f64 v[179:180], v[179:180], v[181:182], v[179:180]
	v_mul_f64 v[181:182], v[183:184], v[179:180]
	v_fma_f64 v[177:178], -v[177:178], v[181:182], v[183:184]
	v_div_fmas_f64 v[177:178], v[177:178], v[179:180], v[181:182]
	v_div_fixup_f64 v[179:180], v[177:178], v[173:174], v[175:176]
	v_fma_f64 v[173:174], v[175:176], v[179:180], v[173:174]
	v_div_scale_f64 v[175:176], null, v[173:174], v[173:174], 1.0
	v_rcp_f64_e32 v[177:178], v[175:176]
	v_fma_f64 v[181:182], -v[175:176], v[177:178], 1.0
	v_fma_f64 v[177:178], v[177:178], v[181:182], v[177:178]
	v_fma_f64 v[181:182], -v[175:176], v[177:178], 1.0
	v_fma_f64 v[177:178], v[177:178], v[181:182], v[177:178]
	v_div_scale_f64 v[181:182], vcc_lo, 1.0, v[173:174], 1.0
	v_mul_f64 v[183:184], v[181:182], v[177:178]
	v_fma_f64 v[175:176], -v[175:176], v[183:184], v[181:182]
	v_div_fmas_f64 v[175:176], v[175:176], v[177:178], v[183:184]
	v_div_fixup_f64 v[177:178], v[175:176], v[173:174], 1.0
	v_mul_f64 v[179:180], v[179:180], -v[177:178]
.LBB85_70:
	s_or_b32 exec_lo, exec_lo, s1
	ds_write2_b64 v255, v[177:178], v[179:180] offset1:1
.LBB85_71:
	s_or_b32 exec_lo, exec_lo, s2
	s_waitcnt lgkmcnt(0)
	s_barrier
	buffer_gl0_inv
	ds_read2_b64 v[201:204], v255 offset1:1
	s_mov_b32 s1, exec_lo
	v_cmpx_lt_u32_e32 7, v0
	s_cbranch_execz .LBB85_73
; %bb.72:
	s_waitcnt lgkmcnt(0)
	v_mul_f64 v[143:144], v[201:202], v[211:212]
	v_mul_f64 v[173:174], v[203:204], v[211:212]
	ds_read2_b64 v[175:178], v253 offset0:16 offset1:17
	v_fma_f64 v[211:212], v[203:204], v[209:210], v[143:144]
	v_fma_f64 v[173:174], v[201:202], v[209:210], -v[173:174]
	s_waitcnt lgkmcnt(0)
	v_mul_f64 v[141:142], v[177:178], v[211:212]
	v_mov_b32_e32 v210, v174
	v_mov_b32_e32 v209, v173
	v_fma_f64 v[141:142], v[175:176], v[173:174], -v[141:142]
	v_mul_f64 v[175:176], v[175:176], v[211:212]
	v_add_f64 v[137:138], v[137:138], -v[141:142]
	v_fma_f64 v[175:176], v[177:178], v[173:174], v[175:176]
	v_add_f64 v[139:140], v[139:140], -v[175:176]
	ds_read2_b64 v[175:178], v253 offset0:18 offset1:19
	s_waitcnt lgkmcnt(0)
	v_mul_f64 v[141:142], v[177:178], v[211:212]
	v_fma_f64 v[141:142], v[175:176], v[173:174], -v[141:142]
	v_mul_f64 v[175:176], v[175:176], v[211:212]
	v_add_f64 v[133:134], v[133:134], -v[141:142]
	v_fma_f64 v[175:176], v[177:178], v[173:174], v[175:176]
	v_add_f64 v[135:136], v[135:136], -v[175:176]
	ds_read2_b64 v[175:178], v253 offset0:20 offset1:21
	s_waitcnt lgkmcnt(0)
	v_mul_f64 v[141:142], v[177:178], v[211:212]
	;; [unrolled: 8-line block ×15, first 2 shown]
	v_fma_f64 v[141:142], v[175:176], v[173:174], -v[141:142]
	v_mul_f64 v[175:176], v[175:176], v[211:212]
	v_add_f64 v[77:78], v[77:78], -v[141:142]
	v_fma_f64 v[175:176], v[177:178], v[173:174], v[175:176]
	v_add_f64 v[79:80], v[79:80], -v[175:176]
	ds_read2_b64 v[175:178], v253 offset0:48 offset1:49
	s_clause 0x3
	buffer_load_dword v37, off, s[16:19], 0 offset:112
	buffer_load_dword v38, off, s[16:19], 0 offset:116
	buffer_load_dword v39, off, s[16:19], 0 offset:120
	buffer_load_dword v40, off, s[16:19], 0 offset:124
	s_waitcnt lgkmcnt(0)
	v_mul_f64 v[141:142], v[177:178], v[211:212]
	v_fma_f64 v[141:142], v[175:176], v[173:174], -v[141:142]
	v_mul_f64 v[175:176], v[175:176], v[211:212]
	v_fma_f64 v[175:176], v[177:178], v[173:174], v[175:176]
	s_waitcnt vmcnt(2)
	v_add_f64 v[37:38], v[37:38], -v[141:142]
	s_waitcnt vmcnt(0)
	v_add_f64 v[39:40], v[39:40], -v[175:176]
	buffer_store_dword v37, off, s[16:19], 0 offset:112 ; 4-byte Folded Spill
	buffer_store_dword v38, off, s[16:19], 0 offset:116 ; 4-byte Folded Spill
	buffer_store_dword v39, off, s[16:19], 0 offset:120 ; 4-byte Folded Spill
	buffer_store_dword v40, off, s[16:19], 0 offset:124 ; 4-byte Folded Spill
	ds_read2_b64 v[175:178], v253 offset0:50 offset1:51
	s_clause 0x3
	buffer_load_dword v37, off, s[16:19], 0 offset:96
	buffer_load_dword v38, off, s[16:19], 0 offset:100
	buffer_load_dword v39, off, s[16:19], 0 offset:104
	buffer_load_dword v40, off, s[16:19], 0 offset:108
	s_waitcnt lgkmcnt(0)
	v_mul_f64 v[141:142], v[177:178], v[211:212]
	v_fma_f64 v[141:142], v[175:176], v[173:174], -v[141:142]
	v_mul_f64 v[175:176], v[175:176], v[211:212]
	v_fma_f64 v[175:176], v[177:178], v[173:174], v[175:176]
	s_waitcnt vmcnt(2)
	v_add_f64 v[37:38], v[37:38], -v[141:142]
	s_waitcnt vmcnt(0)
	v_add_f64 v[39:40], v[39:40], -v[175:176]
	buffer_store_dword v37, off, s[16:19], 0 offset:96 ; 4-byte Folded Spill
	buffer_store_dword v38, off, s[16:19], 0 offset:100 ; 4-byte Folded Spill
	buffer_store_dword v39, off, s[16:19], 0 offset:104 ; 4-byte Folded Spill
	buffer_store_dword v40, off, s[16:19], 0 offset:108 ; 4-byte Folded Spill
	ds_read2_b64 v[175:178], v253 offset0:52 offset1:53
	s_clause 0x3
	buffer_load_dword v37, off, s[16:19], 0 offset:80
	buffer_load_dword v38, off, s[16:19], 0 offset:84
	buffer_load_dword v39, off, s[16:19], 0 offset:88
	buffer_load_dword v40, off, s[16:19], 0 offset:92
	s_waitcnt lgkmcnt(0)
	v_mul_f64 v[141:142], v[177:178], v[211:212]
	v_fma_f64 v[141:142], v[175:176], v[173:174], -v[141:142]
	v_mul_f64 v[175:176], v[175:176], v[211:212]
	v_fma_f64 v[175:176], v[177:178], v[173:174], v[175:176]
	s_waitcnt vmcnt(2)
	v_add_f64 v[37:38], v[37:38], -v[141:142]
	s_waitcnt vmcnt(0)
	v_add_f64 v[39:40], v[39:40], -v[175:176]
	buffer_store_dword v37, off, s[16:19], 0 offset:80 ; 4-byte Folded Spill
	buffer_store_dword v38, off, s[16:19], 0 offset:84 ; 4-byte Folded Spill
	buffer_store_dword v39, off, s[16:19], 0 offset:88 ; 4-byte Folded Spill
	buffer_store_dword v40, off, s[16:19], 0 offset:92 ; 4-byte Folded Spill
	ds_read2_b64 v[175:178], v253 offset0:54 offset1:55
	s_clause 0x3
	buffer_load_dword v37, off, s[16:19], 0 offset:64
	buffer_load_dword v38, off, s[16:19], 0 offset:68
	buffer_load_dword v39, off, s[16:19], 0 offset:72
	buffer_load_dword v40, off, s[16:19], 0 offset:76
	s_waitcnt lgkmcnt(0)
	v_mul_f64 v[141:142], v[177:178], v[211:212]
	v_fma_f64 v[141:142], v[175:176], v[173:174], -v[141:142]
	v_mul_f64 v[175:176], v[175:176], v[211:212]
	v_fma_f64 v[175:176], v[177:178], v[173:174], v[175:176]
	s_waitcnt vmcnt(2)
	v_add_f64 v[37:38], v[37:38], -v[141:142]
	s_waitcnt vmcnt(0)
	v_add_f64 v[39:40], v[39:40], -v[175:176]
	buffer_store_dword v37, off, s[16:19], 0 offset:64 ; 4-byte Folded Spill
	buffer_store_dword v38, off, s[16:19], 0 offset:68 ; 4-byte Folded Spill
	buffer_store_dword v39, off, s[16:19], 0 offset:72 ; 4-byte Folded Spill
	buffer_store_dword v40, off, s[16:19], 0 offset:76 ; 4-byte Folded Spill
	ds_read2_b64 v[175:178], v253 offset0:56 offset1:57
	s_clause 0x3
	buffer_load_dword v37, off, s[16:19], 0 offset:48
	buffer_load_dword v38, off, s[16:19], 0 offset:52
	buffer_load_dword v39, off, s[16:19], 0 offset:56
	buffer_load_dword v40, off, s[16:19], 0 offset:60
	s_waitcnt lgkmcnt(0)
	v_mul_f64 v[141:142], v[177:178], v[211:212]
	v_fma_f64 v[141:142], v[175:176], v[173:174], -v[141:142]
	v_mul_f64 v[175:176], v[175:176], v[211:212]
	v_fma_f64 v[175:176], v[177:178], v[173:174], v[175:176]
	s_waitcnt vmcnt(2)
	v_add_f64 v[37:38], v[37:38], -v[141:142]
	s_waitcnt vmcnt(0)
	v_add_f64 v[39:40], v[39:40], -v[175:176]
	buffer_store_dword v37, off, s[16:19], 0 offset:48 ; 4-byte Folded Spill
	buffer_store_dword v38, off, s[16:19], 0 offset:52 ; 4-byte Folded Spill
	buffer_store_dword v39, off, s[16:19], 0 offset:56 ; 4-byte Folded Spill
	buffer_store_dword v40, off, s[16:19], 0 offset:60 ; 4-byte Folded Spill
	ds_read2_b64 v[175:178], v253 offset0:58 offset1:59
	s_clause 0x3
	buffer_load_dword v37, off, s[16:19], 0 offset:32
	buffer_load_dword v38, off, s[16:19], 0 offset:36
	buffer_load_dword v39, off, s[16:19], 0 offset:40
	buffer_load_dword v40, off, s[16:19], 0 offset:44
	s_waitcnt lgkmcnt(0)
	v_mul_f64 v[141:142], v[177:178], v[211:212]
	v_fma_f64 v[141:142], v[175:176], v[173:174], -v[141:142]
	v_mul_f64 v[175:176], v[175:176], v[211:212]
	v_fma_f64 v[175:176], v[177:178], v[173:174], v[175:176]
	s_waitcnt vmcnt(2)
	v_add_f64 v[37:38], v[37:38], -v[141:142]
	s_waitcnt vmcnt(0)
	v_add_f64 v[39:40], v[39:40], -v[175:176]
	buffer_store_dword v37, off, s[16:19], 0 offset:32 ; 4-byte Folded Spill
	buffer_store_dword v38, off, s[16:19], 0 offset:36 ; 4-byte Folded Spill
	buffer_store_dword v39, off, s[16:19], 0 offset:40 ; 4-byte Folded Spill
	buffer_store_dword v40, off, s[16:19], 0 offset:44 ; 4-byte Folded Spill
	ds_read2_b64 v[175:178], v253 offset0:60 offset1:61
	s_clause 0x3
	buffer_load_dword v37, off, s[16:19], 0 offset:16
	buffer_load_dword v38, off, s[16:19], 0 offset:20
	buffer_load_dword v39, off, s[16:19], 0 offset:24
	buffer_load_dword v40, off, s[16:19], 0 offset:28
	s_waitcnt lgkmcnt(0)
	v_mul_f64 v[141:142], v[177:178], v[211:212]
	v_fma_f64 v[141:142], v[175:176], v[173:174], -v[141:142]
	v_mul_f64 v[175:176], v[175:176], v[211:212]
	v_fma_f64 v[175:176], v[177:178], v[173:174], v[175:176]
	s_waitcnt vmcnt(2)
	v_add_f64 v[37:38], v[37:38], -v[141:142]
	s_waitcnt vmcnt(0)
	v_add_f64 v[39:40], v[39:40], -v[175:176]
	buffer_store_dword v37, off, s[16:19], 0 offset:16 ; 4-byte Folded Spill
	buffer_store_dword v38, off, s[16:19], 0 offset:20 ; 4-byte Folded Spill
	buffer_store_dword v39, off, s[16:19], 0 offset:24 ; 4-byte Folded Spill
	buffer_store_dword v40, off, s[16:19], 0 offset:28 ; 4-byte Folded Spill
	ds_read2_b64 v[175:178], v253 offset0:62 offset1:63
	s_clause 0x3
	buffer_load_dword v37, off, s[16:19], 0
	buffer_load_dword v38, off, s[16:19], 0 offset:4
	buffer_load_dword v39, off, s[16:19], 0 offset:8
	;; [unrolled: 1-line block ×3, first 2 shown]
	s_waitcnt lgkmcnt(0)
	v_mul_f64 v[141:142], v[177:178], v[211:212]
	v_fma_f64 v[141:142], v[175:176], v[173:174], -v[141:142]
	v_mul_f64 v[175:176], v[175:176], v[211:212]
	v_fma_f64 v[175:176], v[177:178], v[173:174], v[175:176]
	s_waitcnt vmcnt(2)
	v_add_f64 v[37:38], v[37:38], -v[141:142]
	s_waitcnt vmcnt(0)
	v_add_f64 v[39:40], v[39:40], -v[175:176]
	buffer_store_dword v37, off, s[16:19], 0 ; 4-byte Folded Spill
	buffer_store_dword v38, off, s[16:19], 0 offset:4 ; 4-byte Folded Spill
	buffer_store_dword v39, off, s[16:19], 0 offset:8 ; 4-byte Folded Spill
	;; [unrolled: 1-line block ×3, first 2 shown]
	ds_read2_b64 v[175:178], v253 offset0:64 offset1:65
	s_waitcnt lgkmcnt(0)
	v_mul_f64 v[141:142], v[177:178], v[211:212]
	v_fma_f64 v[141:142], v[175:176], v[173:174], -v[141:142]
	v_mul_f64 v[175:176], v[175:176], v[211:212]
	v_add_f64 v[233:234], v[233:234], -v[141:142]
	v_fma_f64 v[175:176], v[177:178], v[173:174], v[175:176]
	v_add_f64 v[235:236], v[235:236], -v[175:176]
	ds_read2_b64 v[175:178], v253 offset0:66 offset1:67
	s_waitcnt lgkmcnt(0)
	v_mul_f64 v[141:142], v[177:178], v[211:212]
	v_fma_f64 v[141:142], v[175:176], v[173:174], -v[141:142]
	v_mul_f64 v[175:176], v[175:176], v[211:212]
	v_add_f64 v[213:214], v[213:214], -v[141:142]
	v_fma_f64 v[175:176], v[177:178], v[173:174], v[175:176]
	v_add_f64 v[215:216], v[215:216], -v[175:176]
	;; [unrolled: 8-line block ×11, first 2 shown]
.LBB85_73:
	s_or_b32 exec_lo, exec_lo, s1
	s_mov_b32 s2, exec_lo
	s_waitcnt lgkmcnt(0)
	s_waitcnt_vscnt null, 0x0
	s_barrier
	buffer_gl0_inv
	v_cmpx_eq_u32_e32 8, v0
	s_cbranch_execz .LBB85_80
; %bb.74:
	ds_write2_b64 v255, v[137:138], v[139:140] offset1:1
	ds_write2_b64 v253, v[133:134], v[135:136] offset0:18 offset1:19
	ds_write2_b64 v253, v[129:130], v[131:132] offset0:20 offset1:21
	;; [unrolled: 1-line block ×15, first 2 shown]
	s_clause 0x3
	buffer_load_dword v37, off, s[16:19], 0 offset:112
	buffer_load_dword v38, off, s[16:19], 0 offset:116
	buffer_load_dword v39, off, s[16:19], 0 offset:120
	buffer_load_dword v40, off, s[16:19], 0 offset:124
	s_waitcnt vmcnt(0)
	ds_write2_b64 v253, v[37:38], v[39:40] offset0:48 offset1:49
	s_clause 0x3
	buffer_load_dword v37, off, s[16:19], 0 offset:96
	buffer_load_dword v38, off, s[16:19], 0 offset:100
	buffer_load_dword v39, off, s[16:19], 0 offset:104
	buffer_load_dword v40, off, s[16:19], 0 offset:108
	s_waitcnt vmcnt(0)
	ds_write2_b64 v253, v[37:38], v[39:40] offset0:50 offset1:51
	s_clause 0x3
	buffer_load_dword v37, off, s[16:19], 0 offset:80
	buffer_load_dword v38, off, s[16:19], 0 offset:84
	buffer_load_dword v39, off, s[16:19], 0 offset:88
	buffer_load_dword v40, off, s[16:19], 0 offset:92
	s_waitcnt vmcnt(0)
	ds_write2_b64 v253, v[37:38], v[39:40] offset0:52 offset1:53
	s_clause 0x3
	buffer_load_dword v37, off, s[16:19], 0 offset:64
	buffer_load_dword v38, off, s[16:19], 0 offset:68
	buffer_load_dword v39, off, s[16:19], 0 offset:72
	buffer_load_dword v40, off, s[16:19], 0 offset:76
	s_waitcnt vmcnt(0)
	ds_write2_b64 v253, v[37:38], v[39:40] offset0:54 offset1:55
	s_clause 0x3
	buffer_load_dword v37, off, s[16:19], 0 offset:48
	buffer_load_dword v38, off, s[16:19], 0 offset:52
	buffer_load_dword v39, off, s[16:19], 0 offset:56
	buffer_load_dword v40, off, s[16:19], 0 offset:60
	s_waitcnt vmcnt(0)
	ds_write2_b64 v253, v[37:38], v[39:40] offset0:56 offset1:57
	s_clause 0x3
	buffer_load_dword v37, off, s[16:19], 0 offset:32
	buffer_load_dword v38, off, s[16:19], 0 offset:36
	buffer_load_dword v39, off, s[16:19], 0 offset:40
	buffer_load_dword v40, off, s[16:19], 0 offset:44
	s_waitcnt vmcnt(0)
	ds_write2_b64 v253, v[37:38], v[39:40] offset0:58 offset1:59
	s_clause 0x3
	buffer_load_dword v37, off, s[16:19], 0 offset:16
	buffer_load_dword v38, off, s[16:19], 0 offset:20
	buffer_load_dword v39, off, s[16:19], 0 offset:24
	buffer_load_dword v40, off, s[16:19], 0 offset:28
	s_waitcnt vmcnt(0)
	ds_write2_b64 v253, v[37:38], v[39:40] offset0:60 offset1:61
	s_clause 0x3
	buffer_load_dword v37, off, s[16:19], 0
	buffer_load_dword v38, off, s[16:19], 0 offset:4
	buffer_load_dword v39, off, s[16:19], 0 offset:8
	;; [unrolled: 1-line block ×3, first 2 shown]
	s_waitcnt vmcnt(0)
	ds_write2_b64 v253, v[37:38], v[39:40] offset0:62 offset1:63
	ds_write2_b64 v253, v[233:234], v[235:236] offset0:64 offset1:65
	;; [unrolled: 1-line block ×12, first 2 shown]
	ds_read2_b64 v[173:176], v255 offset1:1
	s_waitcnt lgkmcnt(0)
	v_cmp_neq_f64_e32 vcc_lo, 0, v[173:174]
	v_cmp_neq_f64_e64 s1, 0, v[175:176]
	s_or_b32 s1, vcc_lo, s1
	s_and_b32 exec_lo, exec_lo, s1
	s_cbranch_execz .LBB85_80
; %bb.75:
	v_cmp_ngt_f64_e64 s1, |v[173:174]|, |v[175:176]|
                                        ; implicit-def: $vgpr177_vgpr178
	s_and_saveexec_b32 s3, s1
	s_xor_b32 s1, exec_lo, s3
                                        ; implicit-def: $vgpr179_vgpr180
	s_cbranch_execz .LBB85_77
; %bb.76:
	v_div_scale_f64 v[177:178], null, v[175:176], v[175:176], v[173:174]
	v_div_scale_f64 v[183:184], vcc_lo, v[173:174], v[175:176], v[173:174]
	v_rcp_f64_e32 v[179:180], v[177:178]
	v_fma_f64 v[181:182], -v[177:178], v[179:180], 1.0
	v_fma_f64 v[179:180], v[179:180], v[181:182], v[179:180]
	v_fma_f64 v[181:182], -v[177:178], v[179:180], 1.0
	v_fma_f64 v[179:180], v[179:180], v[181:182], v[179:180]
	v_mul_f64 v[181:182], v[183:184], v[179:180]
	v_fma_f64 v[177:178], -v[177:178], v[181:182], v[183:184]
	v_div_fmas_f64 v[177:178], v[177:178], v[179:180], v[181:182]
	v_div_fixup_f64 v[177:178], v[177:178], v[175:176], v[173:174]
	v_fma_f64 v[173:174], v[173:174], v[177:178], v[175:176]
	v_div_scale_f64 v[175:176], null, v[173:174], v[173:174], 1.0
	v_rcp_f64_e32 v[179:180], v[175:176]
	v_fma_f64 v[181:182], -v[175:176], v[179:180], 1.0
	v_fma_f64 v[179:180], v[179:180], v[181:182], v[179:180]
	v_fma_f64 v[181:182], -v[175:176], v[179:180], 1.0
	v_fma_f64 v[179:180], v[179:180], v[181:182], v[179:180]
	v_div_scale_f64 v[181:182], vcc_lo, 1.0, v[173:174], 1.0
	v_mul_f64 v[183:184], v[181:182], v[179:180]
	v_fma_f64 v[175:176], -v[175:176], v[183:184], v[181:182]
	v_div_fmas_f64 v[175:176], v[175:176], v[179:180], v[183:184]
	v_div_fixup_f64 v[179:180], v[175:176], v[173:174], 1.0
                                        ; implicit-def: $vgpr173_vgpr174
	v_mul_f64 v[177:178], v[177:178], v[179:180]
	v_xor_b32_e32 v180, 0x80000000, v180
.LBB85_77:
	s_andn2_saveexec_b32 s1, s1
	s_cbranch_execz .LBB85_79
; %bb.78:
	v_div_scale_f64 v[177:178], null, v[173:174], v[173:174], v[175:176]
	v_div_scale_f64 v[183:184], vcc_lo, v[175:176], v[173:174], v[175:176]
	v_rcp_f64_e32 v[179:180], v[177:178]
	v_fma_f64 v[181:182], -v[177:178], v[179:180], 1.0
	v_fma_f64 v[179:180], v[179:180], v[181:182], v[179:180]
	v_fma_f64 v[181:182], -v[177:178], v[179:180], 1.0
	v_fma_f64 v[179:180], v[179:180], v[181:182], v[179:180]
	v_mul_f64 v[181:182], v[183:184], v[179:180]
	v_fma_f64 v[177:178], -v[177:178], v[181:182], v[183:184]
	v_div_fmas_f64 v[177:178], v[177:178], v[179:180], v[181:182]
	v_div_fixup_f64 v[179:180], v[177:178], v[173:174], v[175:176]
	v_fma_f64 v[173:174], v[175:176], v[179:180], v[173:174]
	v_div_scale_f64 v[175:176], null, v[173:174], v[173:174], 1.0
	v_rcp_f64_e32 v[177:178], v[175:176]
	v_fma_f64 v[181:182], -v[175:176], v[177:178], 1.0
	v_fma_f64 v[177:178], v[177:178], v[181:182], v[177:178]
	v_fma_f64 v[181:182], -v[175:176], v[177:178], 1.0
	v_fma_f64 v[177:178], v[177:178], v[181:182], v[177:178]
	v_div_scale_f64 v[181:182], vcc_lo, 1.0, v[173:174], 1.0
	v_mul_f64 v[183:184], v[181:182], v[177:178]
	v_fma_f64 v[175:176], -v[175:176], v[183:184], v[181:182]
	v_div_fmas_f64 v[175:176], v[175:176], v[177:178], v[183:184]
	v_div_fixup_f64 v[177:178], v[175:176], v[173:174], 1.0
	v_mul_f64 v[179:180], v[179:180], -v[177:178]
.LBB85_79:
	s_or_b32 exec_lo, exec_lo, s1
	ds_write2_b64 v255, v[177:178], v[179:180] offset1:1
.LBB85_80:
	s_or_b32 exec_lo, exec_lo, s2
	s_waitcnt lgkmcnt(0)
	s_barrier
	buffer_gl0_inv
	ds_read2_b64 v[165:168], v255 offset1:1
	s_mov_b32 s1, exec_lo
	s_waitcnt lgkmcnt(0)
	buffer_store_dword v165, off, s[16:19], 0 offset:560 ; 4-byte Folded Spill
	buffer_store_dword v166, off, s[16:19], 0 offset:564 ; 4-byte Folded Spill
	;; [unrolled: 1-line block ×4, first 2 shown]
	v_cmpx_lt_u32_e32 8, v0
	s_cbranch_execz .LBB85_82
; %bb.81:
	s_clause 0x3
	buffer_load_dword v165, off, s[16:19], 0 offset:560
	buffer_load_dword v166, off, s[16:19], 0 offset:564
	;; [unrolled: 1-line block ×4, first 2 shown]
	ds_read2_b64 v[175:178], v253 offset0:18 offset1:19
	s_waitcnt vmcnt(0)
	v_mul_f64 v[173:174], v[167:168], v[139:140]
	v_mul_f64 v[139:140], v[165:166], v[139:140]
	v_fma_f64 v[173:174], v[165:166], v[137:138], -v[173:174]
	v_fma_f64 v[139:140], v[167:168], v[137:138], v[139:140]
	s_waitcnt lgkmcnt(0)
	v_mul_f64 v[137:138], v[177:178], v[139:140]
	v_fma_f64 v[137:138], v[175:176], v[173:174], -v[137:138]
	v_mul_f64 v[175:176], v[175:176], v[139:140]
	v_add_f64 v[133:134], v[133:134], -v[137:138]
	v_fma_f64 v[175:176], v[177:178], v[173:174], v[175:176]
	v_add_f64 v[135:136], v[135:136], -v[175:176]
	ds_read2_b64 v[175:178], v253 offset0:20 offset1:21
	s_waitcnt lgkmcnt(0)
	v_mul_f64 v[137:138], v[177:178], v[139:140]
	v_fma_f64 v[137:138], v[175:176], v[173:174], -v[137:138]
	v_mul_f64 v[175:176], v[175:176], v[139:140]
	v_add_f64 v[129:130], v[129:130], -v[137:138]
	v_fma_f64 v[175:176], v[177:178], v[173:174], v[175:176]
	v_add_f64 v[131:132], v[131:132], -v[175:176]
	ds_read2_b64 v[175:178], v253 offset0:22 offset1:23
	;; [unrolled: 8-line block ×15, first 2 shown]
	s_clause 0x3
	buffer_load_dword v37, off, s[16:19], 0 offset:112
	buffer_load_dword v38, off, s[16:19], 0 offset:116
	buffer_load_dword v39, off, s[16:19], 0 offset:120
	buffer_load_dword v40, off, s[16:19], 0 offset:124
	s_waitcnt lgkmcnt(0)
	v_mul_f64 v[137:138], v[177:178], v[139:140]
	v_fma_f64 v[137:138], v[175:176], v[173:174], -v[137:138]
	v_mul_f64 v[175:176], v[175:176], v[139:140]
	v_fma_f64 v[175:176], v[177:178], v[173:174], v[175:176]
	s_waitcnt vmcnt(2)
	v_add_f64 v[37:38], v[37:38], -v[137:138]
	s_waitcnt vmcnt(0)
	v_add_f64 v[39:40], v[39:40], -v[175:176]
	buffer_store_dword v37, off, s[16:19], 0 offset:112 ; 4-byte Folded Spill
	buffer_store_dword v38, off, s[16:19], 0 offset:116 ; 4-byte Folded Spill
	buffer_store_dword v39, off, s[16:19], 0 offset:120 ; 4-byte Folded Spill
	buffer_store_dword v40, off, s[16:19], 0 offset:124 ; 4-byte Folded Spill
	ds_read2_b64 v[175:178], v253 offset0:50 offset1:51
	s_clause 0x3
	buffer_load_dword v37, off, s[16:19], 0 offset:96
	buffer_load_dword v38, off, s[16:19], 0 offset:100
	buffer_load_dword v39, off, s[16:19], 0 offset:104
	buffer_load_dword v40, off, s[16:19], 0 offset:108
	s_waitcnt lgkmcnt(0)
	v_mul_f64 v[137:138], v[177:178], v[139:140]
	v_fma_f64 v[137:138], v[175:176], v[173:174], -v[137:138]
	v_mul_f64 v[175:176], v[175:176], v[139:140]
	v_fma_f64 v[175:176], v[177:178], v[173:174], v[175:176]
	s_waitcnt vmcnt(2)
	v_add_f64 v[37:38], v[37:38], -v[137:138]
	s_waitcnt vmcnt(0)
	v_add_f64 v[39:40], v[39:40], -v[175:176]
	buffer_store_dword v37, off, s[16:19], 0 offset:96 ; 4-byte Folded Spill
	buffer_store_dword v38, off, s[16:19], 0 offset:100 ; 4-byte Folded Spill
	buffer_store_dword v39, off, s[16:19], 0 offset:104 ; 4-byte Folded Spill
	buffer_store_dword v40, off, s[16:19], 0 offset:108 ; 4-byte Folded Spill
	ds_read2_b64 v[175:178], v253 offset0:52 offset1:53
	;; [unrolled: 19-line block ×7, first 2 shown]
	s_clause 0x3
	buffer_load_dword v37, off, s[16:19], 0
	buffer_load_dword v38, off, s[16:19], 0 offset:4
	buffer_load_dword v39, off, s[16:19], 0 offset:8
	;; [unrolled: 1-line block ×3, first 2 shown]
	s_waitcnt lgkmcnt(0)
	v_mul_f64 v[137:138], v[177:178], v[139:140]
	v_fma_f64 v[137:138], v[175:176], v[173:174], -v[137:138]
	v_mul_f64 v[175:176], v[175:176], v[139:140]
	v_fma_f64 v[175:176], v[177:178], v[173:174], v[175:176]
	s_waitcnt vmcnt(2)
	v_add_f64 v[37:38], v[37:38], -v[137:138]
	s_waitcnt vmcnt(0)
	v_add_f64 v[39:40], v[39:40], -v[175:176]
	buffer_store_dword v37, off, s[16:19], 0 ; 4-byte Folded Spill
	buffer_store_dword v38, off, s[16:19], 0 offset:4 ; 4-byte Folded Spill
	buffer_store_dword v39, off, s[16:19], 0 offset:8 ; 4-byte Folded Spill
	;; [unrolled: 1-line block ×3, first 2 shown]
	ds_read2_b64 v[175:178], v253 offset0:64 offset1:65
	s_waitcnt lgkmcnt(0)
	v_mul_f64 v[137:138], v[177:178], v[139:140]
	v_fma_f64 v[137:138], v[175:176], v[173:174], -v[137:138]
	v_mul_f64 v[175:176], v[175:176], v[139:140]
	v_add_f64 v[233:234], v[233:234], -v[137:138]
	v_fma_f64 v[175:176], v[177:178], v[173:174], v[175:176]
	v_add_f64 v[235:236], v[235:236], -v[175:176]
	ds_read2_b64 v[175:178], v253 offset0:66 offset1:67
	s_waitcnt lgkmcnt(0)
	v_mul_f64 v[137:138], v[177:178], v[139:140]
	v_fma_f64 v[137:138], v[175:176], v[173:174], -v[137:138]
	v_mul_f64 v[175:176], v[175:176], v[139:140]
	v_add_f64 v[213:214], v[213:214], -v[137:138]
	v_fma_f64 v[175:176], v[177:178], v[173:174], v[175:176]
	v_add_f64 v[215:216], v[215:216], -v[175:176]
	;; [unrolled: 8-line block ×10, first 2 shown]
	ds_read2_b64 v[175:178], v253 offset0:84 offset1:85
	s_waitcnt lgkmcnt(0)
	v_mul_f64 v[137:138], v[177:178], v[139:140]
	v_fma_f64 v[137:138], v[175:176], v[173:174], -v[137:138]
	v_mul_f64 v[175:176], v[175:176], v[139:140]
	v_add_f64 v[1:2], v[1:2], -v[137:138]
	v_fma_f64 v[175:176], v[177:178], v[173:174], v[175:176]
	v_mov_b32_e32 v137, v173
	v_mov_b32_e32 v138, v174
	v_add_f64 v[3:4], v[3:4], -v[175:176]
.LBB85_82:
	s_or_b32 exec_lo, exec_lo, s1
	s_mov_b32 s2, exec_lo
	s_waitcnt_vscnt null, 0x0
	s_barrier
	buffer_gl0_inv
	v_cmpx_eq_u32_e32 9, v0
	s_cbranch_execz .LBB85_89
; %bb.83:
	ds_write2_b64 v255, v[133:134], v[135:136] offset1:1
	ds_write2_b64 v253, v[129:130], v[131:132] offset0:20 offset1:21
	ds_write2_b64 v253, v[125:126], v[127:128] offset0:22 offset1:23
	;; [unrolled: 1-line block ×14, first 2 shown]
	s_clause 0x3
	buffer_load_dword v37, off, s[16:19], 0 offset:112
	buffer_load_dword v38, off, s[16:19], 0 offset:116
	buffer_load_dword v39, off, s[16:19], 0 offset:120
	buffer_load_dword v40, off, s[16:19], 0 offset:124
	s_waitcnt vmcnt(0)
	ds_write2_b64 v253, v[37:38], v[39:40] offset0:48 offset1:49
	s_clause 0x3
	buffer_load_dword v37, off, s[16:19], 0 offset:96
	buffer_load_dword v38, off, s[16:19], 0 offset:100
	buffer_load_dword v39, off, s[16:19], 0 offset:104
	buffer_load_dword v40, off, s[16:19], 0 offset:108
	s_waitcnt vmcnt(0)
	ds_write2_b64 v253, v[37:38], v[39:40] offset0:50 offset1:51
	s_clause 0x3
	buffer_load_dword v37, off, s[16:19], 0 offset:80
	buffer_load_dword v38, off, s[16:19], 0 offset:84
	buffer_load_dword v39, off, s[16:19], 0 offset:88
	buffer_load_dword v40, off, s[16:19], 0 offset:92
	s_waitcnt vmcnt(0)
	ds_write2_b64 v253, v[37:38], v[39:40] offset0:52 offset1:53
	s_clause 0x3
	buffer_load_dword v37, off, s[16:19], 0 offset:64
	buffer_load_dword v38, off, s[16:19], 0 offset:68
	buffer_load_dword v39, off, s[16:19], 0 offset:72
	buffer_load_dword v40, off, s[16:19], 0 offset:76
	s_waitcnt vmcnt(0)
	ds_write2_b64 v253, v[37:38], v[39:40] offset0:54 offset1:55
	s_clause 0x3
	buffer_load_dword v37, off, s[16:19], 0 offset:48
	buffer_load_dword v38, off, s[16:19], 0 offset:52
	buffer_load_dword v39, off, s[16:19], 0 offset:56
	buffer_load_dword v40, off, s[16:19], 0 offset:60
	s_waitcnt vmcnt(0)
	ds_write2_b64 v253, v[37:38], v[39:40] offset0:56 offset1:57
	s_clause 0x3
	buffer_load_dword v37, off, s[16:19], 0 offset:32
	buffer_load_dword v38, off, s[16:19], 0 offset:36
	buffer_load_dword v39, off, s[16:19], 0 offset:40
	buffer_load_dword v40, off, s[16:19], 0 offset:44
	s_waitcnt vmcnt(0)
	ds_write2_b64 v253, v[37:38], v[39:40] offset0:58 offset1:59
	s_clause 0x3
	buffer_load_dword v37, off, s[16:19], 0 offset:16
	buffer_load_dword v38, off, s[16:19], 0 offset:20
	buffer_load_dword v39, off, s[16:19], 0 offset:24
	buffer_load_dword v40, off, s[16:19], 0 offset:28
	s_waitcnt vmcnt(0)
	ds_write2_b64 v253, v[37:38], v[39:40] offset0:60 offset1:61
	s_clause 0x3
	buffer_load_dword v37, off, s[16:19], 0
	buffer_load_dword v38, off, s[16:19], 0 offset:4
	buffer_load_dword v39, off, s[16:19], 0 offset:8
	;; [unrolled: 1-line block ×3, first 2 shown]
	s_waitcnt vmcnt(0)
	ds_write2_b64 v253, v[37:38], v[39:40] offset0:62 offset1:63
	ds_write2_b64 v253, v[233:234], v[235:236] offset0:64 offset1:65
	;; [unrolled: 1-line block ×12, first 2 shown]
	ds_read2_b64 v[173:176], v255 offset1:1
	s_waitcnt lgkmcnt(0)
	v_cmp_neq_f64_e32 vcc_lo, 0, v[173:174]
	v_cmp_neq_f64_e64 s1, 0, v[175:176]
	s_or_b32 s1, vcc_lo, s1
	s_and_b32 exec_lo, exec_lo, s1
	s_cbranch_execz .LBB85_89
; %bb.84:
	v_cmp_ngt_f64_e64 s1, |v[173:174]|, |v[175:176]|
                                        ; implicit-def: $vgpr177_vgpr178
	s_and_saveexec_b32 s3, s1
	s_xor_b32 s1, exec_lo, s3
                                        ; implicit-def: $vgpr179_vgpr180
	s_cbranch_execz .LBB85_86
; %bb.85:
	v_div_scale_f64 v[177:178], null, v[175:176], v[175:176], v[173:174]
	v_div_scale_f64 v[183:184], vcc_lo, v[173:174], v[175:176], v[173:174]
	v_rcp_f64_e32 v[179:180], v[177:178]
	v_fma_f64 v[181:182], -v[177:178], v[179:180], 1.0
	v_fma_f64 v[179:180], v[179:180], v[181:182], v[179:180]
	v_fma_f64 v[181:182], -v[177:178], v[179:180], 1.0
	v_fma_f64 v[179:180], v[179:180], v[181:182], v[179:180]
	v_mul_f64 v[181:182], v[183:184], v[179:180]
	v_fma_f64 v[177:178], -v[177:178], v[181:182], v[183:184]
	v_div_fmas_f64 v[177:178], v[177:178], v[179:180], v[181:182]
	v_div_fixup_f64 v[177:178], v[177:178], v[175:176], v[173:174]
	v_fma_f64 v[173:174], v[173:174], v[177:178], v[175:176]
	v_div_scale_f64 v[175:176], null, v[173:174], v[173:174], 1.0
	v_rcp_f64_e32 v[179:180], v[175:176]
	v_fma_f64 v[181:182], -v[175:176], v[179:180], 1.0
	v_fma_f64 v[179:180], v[179:180], v[181:182], v[179:180]
	v_fma_f64 v[181:182], -v[175:176], v[179:180], 1.0
	v_fma_f64 v[179:180], v[179:180], v[181:182], v[179:180]
	v_div_scale_f64 v[181:182], vcc_lo, 1.0, v[173:174], 1.0
	v_mul_f64 v[183:184], v[181:182], v[179:180]
	v_fma_f64 v[175:176], -v[175:176], v[183:184], v[181:182]
	v_div_fmas_f64 v[175:176], v[175:176], v[179:180], v[183:184]
	v_div_fixup_f64 v[179:180], v[175:176], v[173:174], 1.0
                                        ; implicit-def: $vgpr173_vgpr174
	v_mul_f64 v[177:178], v[177:178], v[179:180]
	v_xor_b32_e32 v180, 0x80000000, v180
.LBB85_86:
	s_andn2_saveexec_b32 s1, s1
	s_cbranch_execz .LBB85_88
; %bb.87:
	v_div_scale_f64 v[177:178], null, v[173:174], v[173:174], v[175:176]
	v_div_scale_f64 v[183:184], vcc_lo, v[175:176], v[173:174], v[175:176]
	v_rcp_f64_e32 v[179:180], v[177:178]
	v_fma_f64 v[181:182], -v[177:178], v[179:180], 1.0
	v_fma_f64 v[179:180], v[179:180], v[181:182], v[179:180]
	v_fma_f64 v[181:182], -v[177:178], v[179:180], 1.0
	v_fma_f64 v[179:180], v[179:180], v[181:182], v[179:180]
	v_mul_f64 v[181:182], v[183:184], v[179:180]
	v_fma_f64 v[177:178], -v[177:178], v[181:182], v[183:184]
	v_div_fmas_f64 v[177:178], v[177:178], v[179:180], v[181:182]
	v_div_fixup_f64 v[179:180], v[177:178], v[173:174], v[175:176]
	v_fma_f64 v[173:174], v[175:176], v[179:180], v[173:174]
	v_div_scale_f64 v[175:176], null, v[173:174], v[173:174], 1.0
	v_rcp_f64_e32 v[177:178], v[175:176]
	v_fma_f64 v[181:182], -v[175:176], v[177:178], 1.0
	v_fma_f64 v[177:178], v[177:178], v[181:182], v[177:178]
	v_fma_f64 v[181:182], -v[175:176], v[177:178], 1.0
	v_fma_f64 v[177:178], v[177:178], v[181:182], v[177:178]
	v_div_scale_f64 v[181:182], vcc_lo, 1.0, v[173:174], 1.0
	v_mul_f64 v[183:184], v[181:182], v[177:178]
	v_fma_f64 v[175:176], -v[175:176], v[183:184], v[181:182]
	v_div_fmas_f64 v[175:176], v[175:176], v[177:178], v[183:184]
	v_div_fixup_f64 v[177:178], v[175:176], v[173:174], 1.0
	v_mul_f64 v[179:180], v[179:180], -v[177:178]
.LBB85_88:
	s_or_b32 exec_lo, exec_lo, s1
	ds_write2_b64 v255, v[177:178], v[179:180] offset1:1
.LBB85_89:
	s_or_b32 exec_lo, exec_lo, s2
	s_waitcnt lgkmcnt(0)
	s_barrier
	buffer_gl0_inv
	ds_read2_b64 v[145:148], v255 offset1:1
	s_mov_b32 s1, exec_lo
	s_waitcnt lgkmcnt(0)
	buffer_store_dword v145, off, s[16:19], 0 offset:584 ; 4-byte Folded Spill
	buffer_store_dword v146, off, s[16:19], 0 offset:588 ; 4-byte Folded Spill
	buffer_store_dword v147, off, s[16:19], 0 offset:592 ; 4-byte Folded Spill
	buffer_store_dword v148, off, s[16:19], 0 offset:596 ; 4-byte Folded Spill
	v_cmpx_lt_u32_e32 9, v0
	s_cbranch_execz .LBB85_91
; %bb.90:
	s_clause 0x3
	buffer_load_dword v145, off, s[16:19], 0 offset:584
	buffer_load_dword v146, off, s[16:19], 0 offset:588
	;; [unrolled: 1-line block ×4, first 2 shown]
	ds_read2_b64 v[175:178], v253 offset0:20 offset1:21
	s_waitcnt vmcnt(0)
	v_mul_f64 v[173:174], v[147:148], v[135:136]
	v_mul_f64 v[135:136], v[145:146], v[135:136]
	v_fma_f64 v[173:174], v[145:146], v[133:134], -v[173:174]
	v_fma_f64 v[135:136], v[147:148], v[133:134], v[135:136]
	s_waitcnt lgkmcnt(0)
	v_mul_f64 v[133:134], v[177:178], v[135:136]
	v_fma_f64 v[133:134], v[175:176], v[173:174], -v[133:134]
	v_mul_f64 v[175:176], v[175:176], v[135:136]
	v_add_f64 v[129:130], v[129:130], -v[133:134]
	v_fma_f64 v[175:176], v[177:178], v[173:174], v[175:176]
	v_add_f64 v[131:132], v[131:132], -v[175:176]
	ds_read2_b64 v[175:178], v253 offset0:22 offset1:23
	s_waitcnt lgkmcnt(0)
	v_mul_f64 v[133:134], v[177:178], v[135:136]
	v_fma_f64 v[133:134], v[175:176], v[173:174], -v[133:134]
	v_mul_f64 v[175:176], v[175:176], v[135:136]
	v_add_f64 v[125:126], v[125:126], -v[133:134]
	v_fma_f64 v[175:176], v[177:178], v[173:174], v[175:176]
	v_add_f64 v[127:128], v[127:128], -v[175:176]
	ds_read2_b64 v[175:178], v253 offset0:24 offset1:25
	;; [unrolled: 8-line block ×14, first 2 shown]
	s_clause 0x3
	buffer_load_dword v37, off, s[16:19], 0 offset:112
	buffer_load_dword v38, off, s[16:19], 0 offset:116
	buffer_load_dword v39, off, s[16:19], 0 offset:120
	buffer_load_dword v40, off, s[16:19], 0 offset:124
	s_waitcnt lgkmcnt(0)
	v_mul_f64 v[133:134], v[177:178], v[135:136]
	v_fma_f64 v[133:134], v[175:176], v[173:174], -v[133:134]
	v_mul_f64 v[175:176], v[175:176], v[135:136]
	v_fma_f64 v[175:176], v[177:178], v[173:174], v[175:176]
	s_waitcnt vmcnt(2)
	v_add_f64 v[37:38], v[37:38], -v[133:134]
	s_waitcnt vmcnt(0)
	v_add_f64 v[39:40], v[39:40], -v[175:176]
	buffer_store_dword v37, off, s[16:19], 0 offset:112 ; 4-byte Folded Spill
	buffer_store_dword v38, off, s[16:19], 0 offset:116 ; 4-byte Folded Spill
	buffer_store_dword v39, off, s[16:19], 0 offset:120 ; 4-byte Folded Spill
	buffer_store_dword v40, off, s[16:19], 0 offset:124 ; 4-byte Folded Spill
	ds_read2_b64 v[175:178], v253 offset0:50 offset1:51
	s_clause 0x3
	buffer_load_dword v37, off, s[16:19], 0 offset:96
	buffer_load_dword v38, off, s[16:19], 0 offset:100
	buffer_load_dword v39, off, s[16:19], 0 offset:104
	buffer_load_dword v40, off, s[16:19], 0 offset:108
	s_waitcnt lgkmcnt(0)
	v_mul_f64 v[133:134], v[177:178], v[135:136]
	v_fma_f64 v[133:134], v[175:176], v[173:174], -v[133:134]
	v_mul_f64 v[175:176], v[175:176], v[135:136]
	v_fma_f64 v[175:176], v[177:178], v[173:174], v[175:176]
	s_waitcnt vmcnt(2)
	v_add_f64 v[37:38], v[37:38], -v[133:134]
	s_waitcnt vmcnt(0)
	v_add_f64 v[39:40], v[39:40], -v[175:176]
	buffer_store_dword v37, off, s[16:19], 0 offset:96 ; 4-byte Folded Spill
	buffer_store_dword v38, off, s[16:19], 0 offset:100 ; 4-byte Folded Spill
	buffer_store_dword v39, off, s[16:19], 0 offset:104 ; 4-byte Folded Spill
	buffer_store_dword v40, off, s[16:19], 0 offset:108 ; 4-byte Folded Spill
	ds_read2_b64 v[175:178], v253 offset0:52 offset1:53
	;; [unrolled: 19-line block ×7, first 2 shown]
	s_clause 0x3
	buffer_load_dword v37, off, s[16:19], 0
	buffer_load_dword v38, off, s[16:19], 0 offset:4
	buffer_load_dword v39, off, s[16:19], 0 offset:8
	;; [unrolled: 1-line block ×3, first 2 shown]
	s_waitcnt lgkmcnt(0)
	v_mul_f64 v[133:134], v[177:178], v[135:136]
	v_fma_f64 v[133:134], v[175:176], v[173:174], -v[133:134]
	v_mul_f64 v[175:176], v[175:176], v[135:136]
	v_fma_f64 v[175:176], v[177:178], v[173:174], v[175:176]
	s_waitcnt vmcnt(2)
	v_add_f64 v[37:38], v[37:38], -v[133:134]
	s_waitcnt vmcnt(0)
	v_add_f64 v[39:40], v[39:40], -v[175:176]
	buffer_store_dword v37, off, s[16:19], 0 ; 4-byte Folded Spill
	buffer_store_dword v38, off, s[16:19], 0 offset:4 ; 4-byte Folded Spill
	buffer_store_dword v39, off, s[16:19], 0 offset:8 ; 4-byte Folded Spill
	;; [unrolled: 1-line block ×3, first 2 shown]
	ds_read2_b64 v[175:178], v253 offset0:64 offset1:65
	s_waitcnt lgkmcnt(0)
	v_mul_f64 v[133:134], v[177:178], v[135:136]
	v_fma_f64 v[133:134], v[175:176], v[173:174], -v[133:134]
	v_mul_f64 v[175:176], v[175:176], v[135:136]
	v_add_f64 v[233:234], v[233:234], -v[133:134]
	v_fma_f64 v[175:176], v[177:178], v[173:174], v[175:176]
	v_add_f64 v[235:236], v[235:236], -v[175:176]
	ds_read2_b64 v[175:178], v253 offset0:66 offset1:67
	s_waitcnt lgkmcnt(0)
	v_mul_f64 v[133:134], v[177:178], v[135:136]
	v_fma_f64 v[133:134], v[175:176], v[173:174], -v[133:134]
	v_mul_f64 v[175:176], v[175:176], v[135:136]
	v_add_f64 v[213:214], v[213:214], -v[133:134]
	v_fma_f64 v[175:176], v[177:178], v[173:174], v[175:176]
	v_add_f64 v[215:216], v[215:216], -v[175:176]
	;; [unrolled: 8-line block ×10, first 2 shown]
	ds_read2_b64 v[175:178], v253 offset0:84 offset1:85
	s_waitcnt lgkmcnt(0)
	v_mul_f64 v[133:134], v[177:178], v[135:136]
	v_fma_f64 v[133:134], v[175:176], v[173:174], -v[133:134]
	v_mul_f64 v[175:176], v[175:176], v[135:136]
	v_add_f64 v[1:2], v[1:2], -v[133:134]
	v_fma_f64 v[175:176], v[177:178], v[173:174], v[175:176]
	v_mov_b32_e32 v133, v173
	v_mov_b32_e32 v134, v174
	v_add_f64 v[3:4], v[3:4], -v[175:176]
.LBB85_91:
	s_or_b32 exec_lo, exec_lo, s1
	s_mov_b32 s2, exec_lo
	s_waitcnt_vscnt null, 0x0
	s_barrier
	buffer_gl0_inv
	v_cmpx_eq_u32_e32 10, v0
	s_cbranch_execz .LBB85_98
; %bb.92:
	ds_write2_b64 v255, v[129:130], v[131:132] offset1:1
	ds_write2_b64 v253, v[125:126], v[127:128] offset0:22 offset1:23
	ds_write2_b64 v253, v[121:122], v[123:124] offset0:24 offset1:25
	;; [unrolled: 1-line block ×13, first 2 shown]
	s_clause 0x3
	buffer_load_dword v37, off, s[16:19], 0 offset:112
	buffer_load_dword v38, off, s[16:19], 0 offset:116
	buffer_load_dword v39, off, s[16:19], 0 offset:120
	buffer_load_dword v40, off, s[16:19], 0 offset:124
	s_waitcnt vmcnt(0)
	ds_write2_b64 v253, v[37:38], v[39:40] offset0:48 offset1:49
	s_clause 0x3
	buffer_load_dword v37, off, s[16:19], 0 offset:96
	buffer_load_dword v38, off, s[16:19], 0 offset:100
	buffer_load_dword v39, off, s[16:19], 0 offset:104
	buffer_load_dword v40, off, s[16:19], 0 offset:108
	s_waitcnt vmcnt(0)
	ds_write2_b64 v253, v[37:38], v[39:40] offset0:50 offset1:51
	;; [unrolled: 7-line block ×7, first 2 shown]
	s_clause 0x3
	buffer_load_dword v37, off, s[16:19], 0
	buffer_load_dword v38, off, s[16:19], 0 offset:4
	buffer_load_dword v39, off, s[16:19], 0 offset:8
	;; [unrolled: 1-line block ×3, first 2 shown]
	s_waitcnt vmcnt(0)
	ds_write2_b64 v253, v[37:38], v[39:40] offset0:62 offset1:63
	ds_write2_b64 v253, v[233:234], v[235:236] offset0:64 offset1:65
	ds_write2_b64 v253, v[213:214], v[215:216] offset0:66 offset1:67
	ds_write2_b64 v253, v[33:34], v[35:36] offset0:68 offset1:69
	ds_write2_b64 v253, v[29:30], v[31:32] offset0:70 offset1:71
	ds_write2_b64 v253, v[25:26], v[27:28] offset0:72 offset1:73
	ds_write2_b64 v253, v[21:22], v[23:24] offset0:74 offset1:75
	ds_write2_b64 v253, v[17:18], v[19:20] offset0:76 offset1:77
	ds_write2_b64 v253, v[13:14], v[15:16] offset0:78 offset1:79
	ds_write2_b64 v253, v[9:10], v[11:12] offset0:80 offset1:81
	ds_write2_b64 v253, v[5:6], v[7:8] offset0:82 offset1:83
	ds_write2_b64 v253, v[1:2], v[3:4] offset0:84 offset1:85
	ds_read2_b64 v[173:176], v255 offset1:1
	s_waitcnt lgkmcnt(0)
	v_cmp_neq_f64_e32 vcc_lo, 0, v[173:174]
	v_cmp_neq_f64_e64 s1, 0, v[175:176]
	s_or_b32 s1, vcc_lo, s1
	s_and_b32 exec_lo, exec_lo, s1
	s_cbranch_execz .LBB85_98
; %bb.93:
	v_cmp_ngt_f64_e64 s1, |v[173:174]|, |v[175:176]|
                                        ; implicit-def: $vgpr177_vgpr178
	s_and_saveexec_b32 s3, s1
	s_xor_b32 s1, exec_lo, s3
                                        ; implicit-def: $vgpr179_vgpr180
	s_cbranch_execz .LBB85_95
; %bb.94:
	v_div_scale_f64 v[177:178], null, v[175:176], v[175:176], v[173:174]
	v_div_scale_f64 v[183:184], vcc_lo, v[173:174], v[175:176], v[173:174]
	v_rcp_f64_e32 v[179:180], v[177:178]
	v_fma_f64 v[181:182], -v[177:178], v[179:180], 1.0
	v_fma_f64 v[179:180], v[179:180], v[181:182], v[179:180]
	v_fma_f64 v[181:182], -v[177:178], v[179:180], 1.0
	v_fma_f64 v[179:180], v[179:180], v[181:182], v[179:180]
	v_mul_f64 v[181:182], v[183:184], v[179:180]
	v_fma_f64 v[177:178], -v[177:178], v[181:182], v[183:184]
	v_div_fmas_f64 v[177:178], v[177:178], v[179:180], v[181:182]
	v_div_fixup_f64 v[177:178], v[177:178], v[175:176], v[173:174]
	v_fma_f64 v[173:174], v[173:174], v[177:178], v[175:176]
	v_div_scale_f64 v[175:176], null, v[173:174], v[173:174], 1.0
	v_rcp_f64_e32 v[179:180], v[175:176]
	v_fma_f64 v[181:182], -v[175:176], v[179:180], 1.0
	v_fma_f64 v[179:180], v[179:180], v[181:182], v[179:180]
	v_fma_f64 v[181:182], -v[175:176], v[179:180], 1.0
	v_fma_f64 v[179:180], v[179:180], v[181:182], v[179:180]
	v_div_scale_f64 v[181:182], vcc_lo, 1.0, v[173:174], 1.0
	v_mul_f64 v[183:184], v[181:182], v[179:180]
	v_fma_f64 v[175:176], -v[175:176], v[183:184], v[181:182]
	v_div_fmas_f64 v[175:176], v[175:176], v[179:180], v[183:184]
	v_div_fixup_f64 v[179:180], v[175:176], v[173:174], 1.0
                                        ; implicit-def: $vgpr173_vgpr174
	v_mul_f64 v[177:178], v[177:178], v[179:180]
	v_xor_b32_e32 v180, 0x80000000, v180
.LBB85_95:
	s_andn2_saveexec_b32 s1, s1
	s_cbranch_execz .LBB85_97
; %bb.96:
	v_div_scale_f64 v[177:178], null, v[173:174], v[173:174], v[175:176]
	v_div_scale_f64 v[183:184], vcc_lo, v[175:176], v[173:174], v[175:176]
	v_rcp_f64_e32 v[179:180], v[177:178]
	v_fma_f64 v[181:182], -v[177:178], v[179:180], 1.0
	v_fma_f64 v[179:180], v[179:180], v[181:182], v[179:180]
	v_fma_f64 v[181:182], -v[177:178], v[179:180], 1.0
	v_fma_f64 v[179:180], v[179:180], v[181:182], v[179:180]
	v_mul_f64 v[181:182], v[183:184], v[179:180]
	v_fma_f64 v[177:178], -v[177:178], v[181:182], v[183:184]
	v_div_fmas_f64 v[177:178], v[177:178], v[179:180], v[181:182]
	v_div_fixup_f64 v[179:180], v[177:178], v[173:174], v[175:176]
	v_fma_f64 v[173:174], v[175:176], v[179:180], v[173:174]
	v_div_scale_f64 v[175:176], null, v[173:174], v[173:174], 1.0
	v_rcp_f64_e32 v[177:178], v[175:176]
	v_fma_f64 v[181:182], -v[175:176], v[177:178], 1.0
	v_fma_f64 v[177:178], v[177:178], v[181:182], v[177:178]
	v_fma_f64 v[181:182], -v[175:176], v[177:178], 1.0
	v_fma_f64 v[177:178], v[177:178], v[181:182], v[177:178]
	v_div_scale_f64 v[181:182], vcc_lo, 1.0, v[173:174], 1.0
	v_mul_f64 v[183:184], v[181:182], v[177:178]
	v_fma_f64 v[175:176], -v[175:176], v[183:184], v[181:182]
	v_div_fmas_f64 v[175:176], v[175:176], v[177:178], v[183:184]
	v_div_fixup_f64 v[177:178], v[175:176], v[173:174], 1.0
	v_mul_f64 v[179:180], v[179:180], -v[177:178]
.LBB85_97:
	s_or_b32 exec_lo, exec_lo, s1
	ds_write2_b64 v255, v[177:178], v[179:180] offset1:1
.LBB85_98:
	s_or_b32 exec_lo, exec_lo, s2
	s_waitcnt lgkmcnt(0)
	s_barrier
	buffer_gl0_inv
	ds_read2_b64 v[141:144], v255 offset1:1
	s_mov_b32 s1, exec_lo
	s_waitcnt lgkmcnt(0)
	buffer_store_dword v141, off, s[16:19], 0 offset:600 ; 4-byte Folded Spill
	buffer_store_dword v142, off, s[16:19], 0 offset:604 ; 4-byte Folded Spill
	buffer_store_dword v143, off, s[16:19], 0 offset:608 ; 4-byte Folded Spill
	buffer_store_dword v144, off, s[16:19], 0 offset:612 ; 4-byte Folded Spill
	v_cmpx_lt_u32_e32 10, v0
	s_cbranch_execz .LBB85_100
; %bb.99:
	s_clause 0x3
	buffer_load_dword v141, off, s[16:19], 0 offset:600
	buffer_load_dword v142, off, s[16:19], 0 offset:604
	buffer_load_dword v143, off, s[16:19], 0 offset:608
	buffer_load_dword v144, off, s[16:19], 0 offset:612
	ds_read2_b64 v[175:178], v253 offset0:22 offset1:23
	s_waitcnt vmcnt(0)
	v_mul_f64 v[173:174], v[143:144], v[131:132]
	v_mul_f64 v[131:132], v[141:142], v[131:132]
	v_fma_f64 v[173:174], v[141:142], v[129:130], -v[173:174]
	v_fma_f64 v[131:132], v[143:144], v[129:130], v[131:132]
	s_waitcnt lgkmcnt(0)
	v_mul_f64 v[129:130], v[177:178], v[131:132]
	v_fma_f64 v[129:130], v[175:176], v[173:174], -v[129:130]
	v_mul_f64 v[175:176], v[175:176], v[131:132]
	v_add_f64 v[125:126], v[125:126], -v[129:130]
	v_fma_f64 v[175:176], v[177:178], v[173:174], v[175:176]
	v_add_f64 v[127:128], v[127:128], -v[175:176]
	ds_read2_b64 v[175:178], v253 offset0:24 offset1:25
	s_waitcnt lgkmcnt(0)
	v_mul_f64 v[129:130], v[177:178], v[131:132]
	v_fma_f64 v[129:130], v[175:176], v[173:174], -v[129:130]
	v_mul_f64 v[175:176], v[175:176], v[131:132]
	v_add_f64 v[121:122], v[121:122], -v[129:130]
	v_fma_f64 v[175:176], v[177:178], v[173:174], v[175:176]
	v_add_f64 v[123:124], v[123:124], -v[175:176]
	ds_read2_b64 v[175:178], v253 offset0:26 offset1:27
	;; [unrolled: 8-line block ×13, first 2 shown]
	s_clause 0x3
	buffer_load_dword v37, off, s[16:19], 0 offset:112
	buffer_load_dword v38, off, s[16:19], 0 offset:116
	buffer_load_dword v39, off, s[16:19], 0 offset:120
	buffer_load_dword v40, off, s[16:19], 0 offset:124
	s_waitcnt lgkmcnt(0)
	v_mul_f64 v[129:130], v[177:178], v[131:132]
	v_fma_f64 v[129:130], v[175:176], v[173:174], -v[129:130]
	v_mul_f64 v[175:176], v[175:176], v[131:132]
	v_fma_f64 v[175:176], v[177:178], v[173:174], v[175:176]
	s_waitcnt vmcnt(2)
	v_add_f64 v[37:38], v[37:38], -v[129:130]
	s_waitcnt vmcnt(0)
	v_add_f64 v[39:40], v[39:40], -v[175:176]
	buffer_store_dword v37, off, s[16:19], 0 offset:112 ; 4-byte Folded Spill
	buffer_store_dword v38, off, s[16:19], 0 offset:116 ; 4-byte Folded Spill
	buffer_store_dword v39, off, s[16:19], 0 offset:120 ; 4-byte Folded Spill
	buffer_store_dword v40, off, s[16:19], 0 offset:124 ; 4-byte Folded Spill
	ds_read2_b64 v[175:178], v253 offset0:50 offset1:51
	s_clause 0x3
	buffer_load_dword v37, off, s[16:19], 0 offset:96
	buffer_load_dword v38, off, s[16:19], 0 offset:100
	buffer_load_dword v39, off, s[16:19], 0 offset:104
	buffer_load_dword v40, off, s[16:19], 0 offset:108
	s_waitcnt lgkmcnt(0)
	v_mul_f64 v[129:130], v[177:178], v[131:132]
	v_fma_f64 v[129:130], v[175:176], v[173:174], -v[129:130]
	v_mul_f64 v[175:176], v[175:176], v[131:132]
	v_fma_f64 v[175:176], v[177:178], v[173:174], v[175:176]
	s_waitcnt vmcnt(2)
	v_add_f64 v[37:38], v[37:38], -v[129:130]
	s_waitcnt vmcnt(0)
	v_add_f64 v[39:40], v[39:40], -v[175:176]
	buffer_store_dword v37, off, s[16:19], 0 offset:96 ; 4-byte Folded Spill
	buffer_store_dword v38, off, s[16:19], 0 offset:100 ; 4-byte Folded Spill
	buffer_store_dword v39, off, s[16:19], 0 offset:104 ; 4-byte Folded Spill
	buffer_store_dword v40, off, s[16:19], 0 offset:108 ; 4-byte Folded Spill
	ds_read2_b64 v[175:178], v253 offset0:52 offset1:53
	;; [unrolled: 19-line block ×7, first 2 shown]
	s_clause 0x3
	buffer_load_dword v37, off, s[16:19], 0
	buffer_load_dword v38, off, s[16:19], 0 offset:4
	buffer_load_dword v39, off, s[16:19], 0 offset:8
	;; [unrolled: 1-line block ×3, first 2 shown]
	s_waitcnt lgkmcnt(0)
	v_mul_f64 v[129:130], v[177:178], v[131:132]
	v_fma_f64 v[129:130], v[175:176], v[173:174], -v[129:130]
	v_mul_f64 v[175:176], v[175:176], v[131:132]
	v_fma_f64 v[175:176], v[177:178], v[173:174], v[175:176]
	s_waitcnt vmcnt(2)
	v_add_f64 v[37:38], v[37:38], -v[129:130]
	s_waitcnt vmcnt(0)
	v_add_f64 v[39:40], v[39:40], -v[175:176]
	buffer_store_dword v37, off, s[16:19], 0 ; 4-byte Folded Spill
	buffer_store_dword v38, off, s[16:19], 0 offset:4 ; 4-byte Folded Spill
	buffer_store_dword v39, off, s[16:19], 0 offset:8 ; 4-byte Folded Spill
	;; [unrolled: 1-line block ×3, first 2 shown]
	ds_read2_b64 v[175:178], v253 offset0:64 offset1:65
	s_waitcnt lgkmcnt(0)
	v_mul_f64 v[129:130], v[177:178], v[131:132]
	v_fma_f64 v[129:130], v[175:176], v[173:174], -v[129:130]
	v_mul_f64 v[175:176], v[175:176], v[131:132]
	v_add_f64 v[233:234], v[233:234], -v[129:130]
	v_fma_f64 v[175:176], v[177:178], v[173:174], v[175:176]
	v_add_f64 v[235:236], v[235:236], -v[175:176]
	ds_read2_b64 v[175:178], v253 offset0:66 offset1:67
	s_waitcnt lgkmcnt(0)
	v_mul_f64 v[129:130], v[177:178], v[131:132]
	v_fma_f64 v[129:130], v[175:176], v[173:174], -v[129:130]
	v_mul_f64 v[175:176], v[175:176], v[131:132]
	v_add_f64 v[213:214], v[213:214], -v[129:130]
	v_fma_f64 v[175:176], v[177:178], v[173:174], v[175:176]
	v_add_f64 v[215:216], v[215:216], -v[175:176]
	;; [unrolled: 8-line block ×10, first 2 shown]
	ds_read2_b64 v[175:178], v253 offset0:84 offset1:85
	s_waitcnt lgkmcnt(0)
	v_mul_f64 v[129:130], v[177:178], v[131:132]
	v_fma_f64 v[129:130], v[175:176], v[173:174], -v[129:130]
	v_mul_f64 v[175:176], v[175:176], v[131:132]
	v_add_f64 v[1:2], v[1:2], -v[129:130]
	v_fma_f64 v[175:176], v[177:178], v[173:174], v[175:176]
	v_mov_b32_e32 v129, v173
	v_mov_b32_e32 v130, v174
	v_add_f64 v[3:4], v[3:4], -v[175:176]
.LBB85_100:
	s_or_b32 exec_lo, exec_lo, s1
	s_mov_b32 s2, exec_lo
	s_waitcnt_vscnt null, 0x0
	s_barrier
	buffer_gl0_inv
	v_cmpx_eq_u32_e32 11, v0
	s_cbranch_execz .LBB85_107
; %bb.101:
	ds_write2_b64 v255, v[125:126], v[127:128] offset1:1
	ds_write2_b64 v253, v[121:122], v[123:124] offset0:24 offset1:25
	ds_write2_b64 v253, v[117:118], v[119:120] offset0:26 offset1:27
	;; [unrolled: 1-line block ×12, first 2 shown]
	s_clause 0x3
	buffer_load_dword v37, off, s[16:19], 0 offset:112
	buffer_load_dword v38, off, s[16:19], 0 offset:116
	buffer_load_dword v39, off, s[16:19], 0 offset:120
	buffer_load_dword v40, off, s[16:19], 0 offset:124
	s_waitcnt vmcnt(0)
	ds_write2_b64 v253, v[37:38], v[39:40] offset0:48 offset1:49
	s_clause 0x3
	buffer_load_dword v37, off, s[16:19], 0 offset:96
	buffer_load_dword v38, off, s[16:19], 0 offset:100
	buffer_load_dword v39, off, s[16:19], 0 offset:104
	buffer_load_dword v40, off, s[16:19], 0 offset:108
	s_waitcnt vmcnt(0)
	ds_write2_b64 v253, v[37:38], v[39:40] offset0:50 offset1:51
	;; [unrolled: 7-line block ×7, first 2 shown]
	s_clause 0x3
	buffer_load_dword v37, off, s[16:19], 0
	buffer_load_dword v38, off, s[16:19], 0 offset:4
	buffer_load_dword v39, off, s[16:19], 0 offset:8
	buffer_load_dword v40, off, s[16:19], 0 offset:12
	s_waitcnt vmcnt(0)
	ds_write2_b64 v253, v[37:38], v[39:40] offset0:62 offset1:63
	ds_write2_b64 v253, v[233:234], v[235:236] offset0:64 offset1:65
	;; [unrolled: 1-line block ×12, first 2 shown]
	ds_read2_b64 v[173:176], v255 offset1:1
	s_waitcnt lgkmcnt(0)
	v_cmp_neq_f64_e32 vcc_lo, 0, v[173:174]
	v_cmp_neq_f64_e64 s1, 0, v[175:176]
	s_or_b32 s1, vcc_lo, s1
	s_and_b32 exec_lo, exec_lo, s1
	s_cbranch_execz .LBB85_107
; %bb.102:
	v_cmp_ngt_f64_e64 s1, |v[173:174]|, |v[175:176]|
                                        ; implicit-def: $vgpr177_vgpr178
	s_and_saveexec_b32 s3, s1
	s_xor_b32 s1, exec_lo, s3
                                        ; implicit-def: $vgpr179_vgpr180
	s_cbranch_execz .LBB85_104
; %bb.103:
	v_div_scale_f64 v[177:178], null, v[175:176], v[175:176], v[173:174]
	v_div_scale_f64 v[183:184], vcc_lo, v[173:174], v[175:176], v[173:174]
	v_rcp_f64_e32 v[179:180], v[177:178]
	v_fma_f64 v[181:182], -v[177:178], v[179:180], 1.0
	v_fma_f64 v[179:180], v[179:180], v[181:182], v[179:180]
	v_fma_f64 v[181:182], -v[177:178], v[179:180], 1.0
	v_fma_f64 v[179:180], v[179:180], v[181:182], v[179:180]
	v_mul_f64 v[181:182], v[183:184], v[179:180]
	v_fma_f64 v[177:178], -v[177:178], v[181:182], v[183:184]
	v_div_fmas_f64 v[177:178], v[177:178], v[179:180], v[181:182]
	v_div_fixup_f64 v[177:178], v[177:178], v[175:176], v[173:174]
	v_fma_f64 v[173:174], v[173:174], v[177:178], v[175:176]
	v_div_scale_f64 v[175:176], null, v[173:174], v[173:174], 1.0
	v_rcp_f64_e32 v[179:180], v[175:176]
	v_fma_f64 v[181:182], -v[175:176], v[179:180], 1.0
	v_fma_f64 v[179:180], v[179:180], v[181:182], v[179:180]
	v_fma_f64 v[181:182], -v[175:176], v[179:180], 1.0
	v_fma_f64 v[179:180], v[179:180], v[181:182], v[179:180]
	v_div_scale_f64 v[181:182], vcc_lo, 1.0, v[173:174], 1.0
	v_mul_f64 v[183:184], v[181:182], v[179:180]
	v_fma_f64 v[175:176], -v[175:176], v[183:184], v[181:182]
	v_div_fmas_f64 v[175:176], v[175:176], v[179:180], v[183:184]
	v_div_fixup_f64 v[179:180], v[175:176], v[173:174], 1.0
                                        ; implicit-def: $vgpr173_vgpr174
	v_mul_f64 v[177:178], v[177:178], v[179:180]
	v_xor_b32_e32 v180, 0x80000000, v180
.LBB85_104:
	s_andn2_saveexec_b32 s1, s1
	s_cbranch_execz .LBB85_106
; %bb.105:
	v_div_scale_f64 v[177:178], null, v[173:174], v[173:174], v[175:176]
	v_div_scale_f64 v[183:184], vcc_lo, v[175:176], v[173:174], v[175:176]
	v_rcp_f64_e32 v[179:180], v[177:178]
	v_fma_f64 v[181:182], -v[177:178], v[179:180], 1.0
	v_fma_f64 v[179:180], v[179:180], v[181:182], v[179:180]
	v_fma_f64 v[181:182], -v[177:178], v[179:180], 1.0
	v_fma_f64 v[179:180], v[179:180], v[181:182], v[179:180]
	v_mul_f64 v[181:182], v[183:184], v[179:180]
	v_fma_f64 v[177:178], -v[177:178], v[181:182], v[183:184]
	v_div_fmas_f64 v[177:178], v[177:178], v[179:180], v[181:182]
	v_div_fixup_f64 v[179:180], v[177:178], v[173:174], v[175:176]
	v_fma_f64 v[173:174], v[175:176], v[179:180], v[173:174]
	v_div_scale_f64 v[175:176], null, v[173:174], v[173:174], 1.0
	v_rcp_f64_e32 v[177:178], v[175:176]
	v_fma_f64 v[181:182], -v[175:176], v[177:178], 1.0
	v_fma_f64 v[177:178], v[177:178], v[181:182], v[177:178]
	v_fma_f64 v[181:182], -v[175:176], v[177:178], 1.0
	v_fma_f64 v[177:178], v[177:178], v[181:182], v[177:178]
	v_div_scale_f64 v[181:182], vcc_lo, 1.0, v[173:174], 1.0
	v_mul_f64 v[183:184], v[181:182], v[177:178]
	v_fma_f64 v[175:176], -v[175:176], v[183:184], v[181:182]
	v_div_fmas_f64 v[175:176], v[175:176], v[177:178], v[183:184]
	v_div_fixup_f64 v[177:178], v[175:176], v[173:174], 1.0
	v_mul_f64 v[179:180], v[179:180], -v[177:178]
.LBB85_106:
	s_or_b32 exec_lo, exec_lo, s1
	ds_write2_b64 v255, v[177:178], v[179:180] offset1:1
.LBB85_107:
	s_or_b32 exec_lo, exec_lo, s2
	s_waitcnt lgkmcnt(0)
	s_barrier
	buffer_gl0_inv
	ds_read2_b64 v[217:220], v255 offset1:1
	s_mov_b32 s1, exec_lo
	v_cmpx_lt_u32_e32 11, v0
	s_cbranch_execz .LBB85_109
; %bb.108:
	s_waitcnt lgkmcnt(0)
	v_mul_f64 v[173:174], v[219:220], v[127:128]
	v_mul_f64 v[127:128], v[217:218], v[127:128]
	ds_read2_b64 v[175:178], v253 offset0:24 offset1:25
	v_fma_f64 v[173:174], v[217:218], v[125:126], -v[173:174]
	v_fma_f64 v[127:128], v[219:220], v[125:126], v[127:128]
	s_waitcnt lgkmcnt(0)
	v_mul_f64 v[125:126], v[177:178], v[127:128]
	v_fma_f64 v[125:126], v[175:176], v[173:174], -v[125:126]
	v_mul_f64 v[175:176], v[175:176], v[127:128]
	v_add_f64 v[121:122], v[121:122], -v[125:126]
	v_fma_f64 v[175:176], v[177:178], v[173:174], v[175:176]
	v_add_f64 v[123:124], v[123:124], -v[175:176]
	ds_read2_b64 v[175:178], v253 offset0:26 offset1:27
	s_waitcnt lgkmcnt(0)
	v_mul_f64 v[125:126], v[177:178], v[127:128]
	v_fma_f64 v[125:126], v[175:176], v[173:174], -v[125:126]
	v_mul_f64 v[175:176], v[175:176], v[127:128]
	v_add_f64 v[117:118], v[117:118], -v[125:126]
	v_fma_f64 v[175:176], v[177:178], v[173:174], v[175:176]
	v_add_f64 v[119:120], v[119:120], -v[175:176]
	ds_read2_b64 v[175:178], v253 offset0:28 offset1:29
	s_waitcnt lgkmcnt(0)
	v_mul_f64 v[125:126], v[177:178], v[127:128]
	v_fma_f64 v[125:126], v[175:176], v[173:174], -v[125:126]
	v_mul_f64 v[175:176], v[175:176], v[127:128]
	v_add_f64 v[113:114], v[113:114], -v[125:126]
	v_fma_f64 v[175:176], v[177:178], v[173:174], v[175:176]
	v_add_f64 v[115:116], v[115:116], -v[175:176]
	ds_read2_b64 v[175:178], v253 offset0:30 offset1:31
	s_waitcnt lgkmcnt(0)
	v_mul_f64 v[125:126], v[177:178], v[127:128]
	v_fma_f64 v[125:126], v[175:176], v[173:174], -v[125:126]
	v_mul_f64 v[175:176], v[175:176], v[127:128]
	v_add_f64 v[109:110], v[109:110], -v[125:126]
	v_fma_f64 v[175:176], v[177:178], v[173:174], v[175:176]
	v_add_f64 v[111:112], v[111:112], -v[175:176]
	ds_read2_b64 v[175:178], v253 offset0:32 offset1:33
	s_waitcnt lgkmcnt(0)
	v_mul_f64 v[125:126], v[177:178], v[127:128]
	v_fma_f64 v[125:126], v[175:176], v[173:174], -v[125:126]
	v_mul_f64 v[175:176], v[175:176], v[127:128]
	v_add_f64 v[105:106], v[105:106], -v[125:126]
	v_fma_f64 v[175:176], v[177:178], v[173:174], v[175:176]
	v_add_f64 v[107:108], v[107:108], -v[175:176]
	ds_read2_b64 v[175:178], v253 offset0:34 offset1:35
	s_waitcnt lgkmcnt(0)
	v_mul_f64 v[125:126], v[177:178], v[127:128]
	v_fma_f64 v[125:126], v[175:176], v[173:174], -v[125:126]
	v_mul_f64 v[175:176], v[175:176], v[127:128]
	v_add_f64 v[101:102], v[101:102], -v[125:126]
	v_fma_f64 v[175:176], v[177:178], v[173:174], v[175:176]
	v_add_f64 v[103:104], v[103:104], -v[175:176]
	ds_read2_b64 v[175:178], v253 offset0:36 offset1:37
	s_waitcnt lgkmcnt(0)
	v_mul_f64 v[125:126], v[177:178], v[127:128]
	v_fma_f64 v[125:126], v[175:176], v[173:174], -v[125:126]
	v_mul_f64 v[175:176], v[175:176], v[127:128]
	v_add_f64 v[97:98], v[97:98], -v[125:126]
	v_fma_f64 v[175:176], v[177:178], v[173:174], v[175:176]
	v_add_f64 v[99:100], v[99:100], -v[175:176]
	ds_read2_b64 v[175:178], v253 offset0:38 offset1:39
	s_waitcnt lgkmcnt(0)
	v_mul_f64 v[125:126], v[177:178], v[127:128]
	v_fma_f64 v[125:126], v[175:176], v[173:174], -v[125:126]
	v_mul_f64 v[175:176], v[175:176], v[127:128]
	v_add_f64 v[93:94], v[93:94], -v[125:126]
	v_fma_f64 v[175:176], v[177:178], v[173:174], v[175:176]
	v_add_f64 v[95:96], v[95:96], -v[175:176]
	ds_read2_b64 v[175:178], v253 offset0:40 offset1:41
	s_waitcnt lgkmcnt(0)
	v_mul_f64 v[125:126], v[177:178], v[127:128]
	v_fma_f64 v[125:126], v[175:176], v[173:174], -v[125:126]
	v_mul_f64 v[175:176], v[175:176], v[127:128]
	v_add_f64 v[89:90], v[89:90], -v[125:126]
	v_fma_f64 v[175:176], v[177:178], v[173:174], v[175:176]
	v_add_f64 v[91:92], v[91:92], -v[175:176]
	ds_read2_b64 v[175:178], v253 offset0:42 offset1:43
	s_waitcnt lgkmcnt(0)
	v_mul_f64 v[125:126], v[177:178], v[127:128]
	v_fma_f64 v[125:126], v[175:176], v[173:174], -v[125:126]
	v_mul_f64 v[175:176], v[175:176], v[127:128]
	v_add_f64 v[85:86], v[85:86], -v[125:126]
	v_fma_f64 v[175:176], v[177:178], v[173:174], v[175:176]
	v_add_f64 v[87:88], v[87:88], -v[175:176]
	ds_read2_b64 v[175:178], v253 offset0:44 offset1:45
	s_waitcnt lgkmcnt(0)
	v_mul_f64 v[125:126], v[177:178], v[127:128]
	v_fma_f64 v[125:126], v[175:176], v[173:174], -v[125:126]
	v_mul_f64 v[175:176], v[175:176], v[127:128]
	v_add_f64 v[81:82], v[81:82], -v[125:126]
	v_fma_f64 v[175:176], v[177:178], v[173:174], v[175:176]
	v_add_f64 v[83:84], v[83:84], -v[175:176]
	ds_read2_b64 v[175:178], v253 offset0:46 offset1:47
	s_waitcnt lgkmcnt(0)
	v_mul_f64 v[125:126], v[177:178], v[127:128]
	v_fma_f64 v[125:126], v[175:176], v[173:174], -v[125:126]
	v_mul_f64 v[175:176], v[175:176], v[127:128]
	v_add_f64 v[77:78], v[77:78], -v[125:126]
	v_fma_f64 v[175:176], v[177:178], v[173:174], v[175:176]
	v_add_f64 v[79:80], v[79:80], -v[175:176]
	ds_read2_b64 v[175:178], v253 offset0:48 offset1:49
	s_clause 0x3
	buffer_load_dword v37, off, s[16:19], 0 offset:112
	buffer_load_dword v38, off, s[16:19], 0 offset:116
	buffer_load_dword v39, off, s[16:19], 0 offset:120
	buffer_load_dword v40, off, s[16:19], 0 offset:124
	s_waitcnt lgkmcnt(0)
	v_mul_f64 v[125:126], v[177:178], v[127:128]
	v_fma_f64 v[125:126], v[175:176], v[173:174], -v[125:126]
	v_mul_f64 v[175:176], v[175:176], v[127:128]
	v_fma_f64 v[175:176], v[177:178], v[173:174], v[175:176]
	s_waitcnt vmcnt(2)
	v_add_f64 v[37:38], v[37:38], -v[125:126]
	s_waitcnt vmcnt(0)
	v_add_f64 v[39:40], v[39:40], -v[175:176]
	buffer_store_dword v37, off, s[16:19], 0 offset:112 ; 4-byte Folded Spill
	buffer_store_dword v38, off, s[16:19], 0 offset:116 ; 4-byte Folded Spill
	buffer_store_dword v39, off, s[16:19], 0 offset:120 ; 4-byte Folded Spill
	buffer_store_dword v40, off, s[16:19], 0 offset:124 ; 4-byte Folded Spill
	ds_read2_b64 v[175:178], v253 offset0:50 offset1:51
	s_clause 0x3
	buffer_load_dword v37, off, s[16:19], 0 offset:96
	buffer_load_dword v38, off, s[16:19], 0 offset:100
	buffer_load_dword v39, off, s[16:19], 0 offset:104
	buffer_load_dword v40, off, s[16:19], 0 offset:108
	s_waitcnt lgkmcnt(0)
	v_mul_f64 v[125:126], v[177:178], v[127:128]
	v_fma_f64 v[125:126], v[175:176], v[173:174], -v[125:126]
	v_mul_f64 v[175:176], v[175:176], v[127:128]
	v_fma_f64 v[175:176], v[177:178], v[173:174], v[175:176]
	s_waitcnt vmcnt(2)
	v_add_f64 v[37:38], v[37:38], -v[125:126]
	s_waitcnt vmcnt(0)
	v_add_f64 v[39:40], v[39:40], -v[175:176]
	buffer_store_dword v37, off, s[16:19], 0 offset:96 ; 4-byte Folded Spill
	buffer_store_dword v38, off, s[16:19], 0 offset:100 ; 4-byte Folded Spill
	buffer_store_dword v39, off, s[16:19], 0 offset:104 ; 4-byte Folded Spill
	buffer_store_dword v40, off, s[16:19], 0 offset:108 ; 4-byte Folded Spill
	ds_read2_b64 v[175:178], v253 offset0:52 offset1:53
	;; [unrolled: 19-line block ×7, first 2 shown]
	s_clause 0x3
	buffer_load_dword v37, off, s[16:19], 0
	buffer_load_dword v38, off, s[16:19], 0 offset:4
	buffer_load_dword v39, off, s[16:19], 0 offset:8
	;; [unrolled: 1-line block ×3, first 2 shown]
	s_waitcnt lgkmcnt(0)
	v_mul_f64 v[125:126], v[177:178], v[127:128]
	v_fma_f64 v[125:126], v[175:176], v[173:174], -v[125:126]
	v_mul_f64 v[175:176], v[175:176], v[127:128]
	v_fma_f64 v[175:176], v[177:178], v[173:174], v[175:176]
	s_waitcnt vmcnt(2)
	v_add_f64 v[37:38], v[37:38], -v[125:126]
	s_waitcnt vmcnt(0)
	v_add_f64 v[39:40], v[39:40], -v[175:176]
	buffer_store_dword v37, off, s[16:19], 0 ; 4-byte Folded Spill
	buffer_store_dword v38, off, s[16:19], 0 offset:4 ; 4-byte Folded Spill
	buffer_store_dword v39, off, s[16:19], 0 offset:8 ; 4-byte Folded Spill
	;; [unrolled: 1-line block ×3, first 2 shown]
	ds_read2_b64 v[175:178], v253 offset0:64 offset1:65
	s_waitcnt lgkmcnt(0)
	v_mul_f64 v[125:126], v[177:178], v[127:128]
	v_fma_f64 v[125:126], v[175:176], v[173:174], -v[125:126]
	v_mul_f64 v[175:176], v[175:176], v[127:128]
	v_add_f64 v[233:234], v[233:234], -v[125:126]
	v_fma_f64 v[175:176], v[177:178], v[173:174], v[175:176]
	v_add_f64 v[235:236], v[235:236], -v[175:176]
	ds_read2_b64 v[175:178], v253 offset0:66 offset1:67
	s_waitcnt lgkmcnt(0)
	v_mul_f64 v[125:126], v[177:178], v[127:128]
	v_fma_f64 v[125:126], v[175:176], v[173:174], -v[125:126]
	v_mul_f64 v[175:176], v[175:176], v[127:128]
	v_add_f64 v[213:214], v[213:214], -v[125:126]
	v_fma_f64 v[175:176], v[177:178], v[173:174], v[175:176]
	v_add_f64 v[215:216], v[215:216], -v[175:176]
	;; [unrolled: 8-line block ×10, first 2 shown]
	ds_read2_b64 v[175:178], v253 offset0:84 offset1:85
	s_waitcnt lgkmcnt(0)
	v_mul_f64 v[125:126], v[177:178], v[127:128]
	v_fma_f64 v[125:126], v[175:176], v[173:174], -v[125:126]
	v_mul_f64 v[175:176], v[175:176], v[127:128]
	v_add_f64 v[1:2], v[1:2], -v[125:126]
	v_fma_f64 v[175:176], v[177:178], v[173:174], v[175:176]
	v_mov_b32_e32 v125, v173
	v_mov_b32_e32 v126, v174
	v_add_f64 v[3:4], v[3:4], -v[175:176]
.LBB85_109:
	s_or_b32 exec_lo, exec_lo, s1
	s_mov_b32 s2, exec_lo
	s_waitcnt lgkmcnt(0)
	s_waitcnt_vscnt null, 0x0
	s_barrier
	buffer_gl0_inv
	v_cmpx_eq_u32_e32 12, v0
	s_cbranch_execz .LBB85_116
; %bb.110:
	ds_write2_b64 v255, v[121:122], v[123:124] offset1:1
	ds_write2_b64 v253, v[117:118], v[119:120] offset0:26 offset1:27
	ds_write2_b64 v253, v[113:114], v[115:116] offset0:28 offset1:29
	;; [unrolled: 1-line block ×11, first 2 shown]
	s_clause 0x3
	buffer_load_dword v37, off, s[16:19], 0 offset:112
	buffer_load_dword v38, off, s[16:19], 0 offset:116
	buffer_load_dword v39, off, s[16:19], 0 offset:120
	buffer_load_dword v40, off, s[16:19], 0 offset:124
	s_waitcnt vmcnt(0)
	ds_write2_b64 v253, v[37:38], v[39:40] offset0:48 offset1:49
	s_clause 0x3
	buffer_load_dword v37, off, s[16:19], 0 offset:96
	buffer_load_dword v38, off, s[16:19], 0 offset:100
	buffer_load_dword v39, off, s[16:19], 0 offset:104
	buffer_load_dword v40, off, s[16:19], 0 offset:108
	s_waitcnt vmcnt(0)
	ds_write2_b64 v253, v[37:38], v[39:40] offset0:50 offset1:51
	;; [unrolled: 7-line block ×7, first 2 shown]
	s_clause 0x3
	buffer_load_dword v37, off, s[16:19], 0
	buffer_load_dword v38, off, s[16:19], 0 offset:4
	buffer_load_dword v39, off, s[16:19], 0 offset:8
	;; [unrolled: 1-line block ×3, first 2 shown]
	s_waitcnt vmcnt(0)
	ds_write2_b64 v253, v[37:38], v[39:40] offset0:62 offset1:63
	ds_write2_b64 v253, v[233:234], v[235:236] offset0:64 offset1:65
	;; [unrolled: 1-line block ×12, first 2 shown]
	ds_read2_b64 v[173:176], v255 offset1:1
	s_waitcnt lgkmcnt(0)
	v_cmp_neq_f64_e32 vcc_lo, 0, v[173:174]
	v_cmp_neq_f64_e64 s1, 0, v[175:176]
	s_or_b32 s1, vcc_lo, s1
	s_and_b32 exec_lo, exec_lo, s1
	s_cbranch_execz .LBB85_116
; %bb.111:
	v_cmp_ngt_f64_e64 s1, |v[173:174]|, |v[175:176]|
                                        ; implicit-def: $vgpr177_vgpr178
	s_and_saveexec_b32 s3, s1
	s_xor_b32 s1, exec_lo, s3
                                        ; implicit-def: $vgpr179_vgpr180
	s_cbranch_execz .LBB85_113
; %bb.112:
	v_div_scale_f64 v[177:178], null, v[175:176], v[175:176], v[173:174]
	v_div_scale_f64 v[183:184], vcc_lo, v[173:174], v[175:176], v[173:174]
	v_rcp_f64_e32 v[179:180], v[177:178]
	v_fma_f64 v[181:182], -v[177:178], v[179:180], 1.0
	v_fma_f64 v[179:180], v[179:180], v[181:182], v[179:180]
	v_fma_f64 v[181:182], -v[177:178], v[179:180], 1.0
	v_fma_f64 v[179:180], v[179:180], v[181:182], v[179:180]
	v_mul_f64 v[181:182], v[183:184], v[179:180]
	v_fma_f64 v[177:178], -v[177:178], v[181:182], v[183:184]
	v_div_fmas_f64 v[177:178], v[177:178], v[179:180], v[181:182]
	v_div_fixup_f64 v[177:178], v[177:178], v[175:176], v[173:174]
	v_fma_f64 v[173:174], v[173:174], v[177:178], v[175:176]
	v_div_scale_f64 v[175:176], null, v[173:174], v[173:174], 1.0
	v_rcp_f64_e32 v[179:180], v[175:176]
	v_fma_f64 v[181:182], -v[175:176], v[179:180], 1.0
	v_fma_f64 v[179:180], v[179:180], v[181:182], v[179:180]
	v_fma_f64 v[181:182], -v[175:176], v[179:180], 1.0
	v_fma_f64 v[179:180], v[179:180], v[181:182], v[179:180]
	v_div_scale_f64 v[181:182], vcc_lo, 1.0, v[173:174], 1.0
	v_mul_f64 v[183:184], v[181:182], v[179:180]
	v_fma_f64 v[175:176], -v[175:176], v[183:184], v[181:182]
	v_div_fmas_f64 v[175:176], v[175:176], v[179:180], v[183:184]
	v_div_fixup_f64 v[179:180], v[175:176], v[173:174], 1.0
                                        ; implicit-def: $vgpr173_vgpr174
	v_mul_f64 v[177:178], v[177:178], v[179:180]
	v_xor_b32_e32 v180, 0x80000000, v180
.LBB85_113:
	s_andn2_saveexec_b32 s1, s1
	s_cbranch_execz .LBB85_115
; %bb.114:
	v_div_scale_f64 v[177:178], null, v[173:174], v[173:174], v[175:176]
	v_div_scale_f64 v[183:184], vcc_lo, v[175:176], v[173:174], v[175:176]
	v_rcp_f64_e32 v[179:180], v[177:178]
	v_fma_f64 v[181:182], -v[177:178], v[179:180], 1.0
	v_fma_f64 v[179:180], v[179:180], v[181:182], v[179:180]
	v_fma_f64 v[181:182], -v[177:178], v[179:180], 1.0
	v_fma_f64 v[179:180], v[179:180], v[181:182], v[179:180]
	v_mul_f64 v[181:182], v[183:184], v[179:180]
	v_fma_f64 v[177:178], -v[177:178], v[181:182], v[183:184]
	v_div_fmas_f64 v[177:178], v[177:178], v[179:180], v[181:182]
	v_div_fixup_f64 v[179:180], v[177:178], v[173:174], v[175:176]
	v_fma_f64 v[173:174], v[175:176], v[179:180], v[173:174]
	v_div_scale_f64 v[175:176], null, v[173:174], v[173:174], 1.0
	v_rcp_f64_e32 v[177:178], v[175:176]
	v_fma_f64 v[181:182], -v[175:176], v[177:178], 1.0
	v_fma_f64 v[177:178], v[177:178], v[181:182], v[177:178]
	v_fma_f64 v[181:182], -v[175:176], v[177:178], 1.0
	v_fma_f64 v[177:178], v[177:178], v[181:182], v[177:178]
	v_div_scale_f64 v[181:182], vcc_lo, 1.0, v[173:174], 1.0
	v_mul_f64 v[183:184], v[181:182], v[177:178]
	v_fma_f64 v[175:176], -v[175:176], v[183:184], v[181:182]
	v_div_fmas_f64 v[175:176], v[175:176], v[177:178], v[183:184]
	v_div_fixup_f64 v[177:178], v[175:176], v[173:174], 1.0
	v_mul_f64 v[179:180], v[179:180], -v[177:178]
.LBB85_115:
	s_or_b32 exec_lo, exec_lo, s1
	ds_write2_b64 v255, v[177:178], v[179:180] offset1:1
.LBB85_116:
	s_or_b32 exec_lo, exec_lo, s2
	s_waitcnt lgkmcnt(0)
	s_barrier
	buffer_gl0_inv
	ds_read2_b64 v[221:224], v255 offset1:1
	s_mov_b32 s1, exec_lo
	v_cmpx_lt_u32_e32 12, v0
	s_cbranch_execz .LBB85_118
; %bb.117:
	s_waitcnt lgkmcnt(0)
	v_mul_f64 v[173:174], v[223:224], v[123:124]
	v_mul_f64 v[123:124], v[221:222], v[123:124]
	ds_read2_b64 v[175:178], v253 offset0:26 offset1:27
	v_fma_f64 v[173:174], v[221:222], v[121:122], -v[173:174]
	v_fma_f64 v[123:124], v[223:224], v[121:122], v[123:124]
	s_waitcnt lgkmcnt(0)
	v_mul_f64 v[121:122], v[177:178], v[123:124]
	v_fma_f64 v[121:122], v[175:176], v[173:174], -v[121:122]
	v_mul_f64 v[175:176], v[175:176], v[123:124]
	v_add_f64 v[117:118], v[117:118], -v[121:122]
	v_fma_f64 v[175:176], v[177:178], v[173:174], v[175:176]
	v_add_f64 v[119:120], v[119:120], -v[175:176]
	ds_read2_b64 v[175:178], v253 offset0:28 offset1:29
	s_waitcnt lgkmcnt(0)
	v_mul_f64 v[121:122], v[177:178], v[123:124]
	v_fma_f64 v[121:122], v[175:176], v[173:174], -v[121:122]
	v_mul_f64 v[175:176], v[175:176], v[123:124]
	v_add_f64 v[113:114], v[113:114], -v[121:122]
	v_fma_f64 v[175:176], v[177:178], v[173:174], v[175:176]
	v_add_f64 v[115:116], v[115:116], -v[175:176]
	ds_read2_b64 v[175:178], v253 offset0:30 offset1:31
	;; [unrolled: 8-line block ×11, first 2 shown]
	s_clause 0x3
	buffer_load_dword v37, off, s[16:19], 0 offset:112
	buffer_load_dword v38, off, s[16:19], 0 offset:116
	buffer_load_dword v39, off, s[16:19], 0 offset:120
	buffer_load_dword v40, off, s[16:19], 0 offset:124
	s_waitcnt lgkmcnt(0)
	v_mul_f64 v[121:122], v[177:178], v[123:124]
	v_fma_f64 v[121:122], v[175:176], v[173:174], -v[121:122]
	v_mul_f64 v[175:176], v[175:176], v[123:124]
	v_fma_f64 v[175:176], v[177:178], v[173:174], v[175:176]
	s_waitcnt vmcnt(2)
	v_add_f64 v[37:38], v[37:38], -v[121:122]
	s_waitcnt vmcnt(0)
	v_add_f64 v[39:40], v[39:40], -v[175:176]
	buffer_store_dword v37, off, s[16:19], 0 offset:112 ; 4-byte Folded Spill
	buffer_store_dword v38, off, s[16:19], 0 offset:116 ; 4-byte Folded Spill
	buffer_store_dword v39, off, s[16:19], 0 offset:120 ; 4-byte Folded Spill
	buffer_store_dword v40, off, s[16:19], 0 offset:124 ; 4-byte Folded Spill
	ds_read2_b64 v[175:178], v253 offset0:50 offset1:51
	s_clause 0x3
	buffer_load_dword v37, off, s[16:19], 0 offset:96
	buffer_load_dword v38, off, s[16:19], 0 offset:100
	buffer_load_dword v39, off, s[16:19], 0 offset:104
	buffer_load_dword v40, off, s[16:19], 0 offset:108
	s_waitcnt lgkmcnt(0)
	v_mul_f64 v[121:122], v[177:178], v[123:124]
	v_fma_f64 v[121:122], v[175:176], v[173:174], -v[121:122]
	v_mul_f64 v[175:176], v[175:176], v[123:124]
	v_fma_f64 v[175:176], v[177:178], v[173:174], v[175:176]
	s_waitcnt vmcnt(2)
	v_add_f64 v[37:38], v[37:38], -v[121:122]
	s_waitcnt vmcnt(0)
	v_add_f64 v[39:40], v[39:40], -v[175:176]
	buffer_store_dword v37, off, s[16:19], 0 offset:96 ; 4-byte Folded Spill
	buffer_store_dword v38, off, s[16:19], 0 offset:100 ; 4-byte Folded Spill
	buffer_store_dword v39, off, s[16:19], 0 offset:104 ; 4-byte Folded Spill
	buffer_store_dword v40, off, s[16:19], 0 offset:108 ; 4-byte Folded Spill
	ds_read2_b64 v[175:178], v253 offset0:52 offset1:53
	;; [unrolled: 19-line block ×7, first 2 shown]
	s_clause 0x3
	buffer_load_dword v37, off, s[16:19], 0
	buffer_load_dword v38, off, s[16:19], 0 offset:4
	buffer_load_dword v39, off, s[16:19], 0 offset:8
	;; [unrolled: 1-line block ×3, first 2 shown]
	s_waitcnt lgkmcnt(0)
	v_mul_f64 v[121:122], v[177:178], v[123:124]
	v_fma_f64 v[121:122], v[175:176], v[173:174], -v[121:122]
	v_mul_f64 v[175:176], v[175:176], v[123:124]
	v_fma_f64 v[175:176], v[177:178], v[173:174], v[175:176]
	s_waitcnt vmcnt(2)
	v_add_f64 v[37:38], v[37:38], -v[121:122]
	s_waitcnt vmcnt(0)
	v_add_f64 v[39:40], v[39:40], -v[175:176]
	buffer_store_dword v37, off, s[16:19], 0 ; 4-byte Folded Spill
	buffer_store_dword v38, off, s[16:19], 0 offset:4 ; 4-byte Folded Spill
	buffer_store_dword v39, off, s[16:19], 0 offset:8 ; 4-byte Folded Spill
	;; [unrolled: 1-line block ×3, first 2 shown]
	ds_read2_b64 v[175:178], v253 offset0:64 offset1:65
	s_waitcnt lgkmcnt(0)
	v_mul_f64 v[121:122], v[177:178], v[123:124]
	v_fma_f64 v[121:122], v[175:176], v[173:174], -v[121:122]
	v_mul_f64 v[175:176], v[175:176], v[123:124]
	v_add_f64 v[233:234], v[233:234], -v[121:122]
	v_fma_f64 v[175:176], v[177:178], v[173:174], v[175:176]
	v_add_f64 v[235:236], v[235:236], -v[175:176]
	ds_read2_b64 v[175:178], v253 offset0:66 offset1:67
	s_waitcnt lgkmcnt(0)
	v_mul_f64 v[121:122], v[177:178], v[123:124]
	v_fma_f64 v[121:122], v[175:176], v[173:174], -v[121:122]
	v_mul_f64 v[175:176], v[175:176], v[123:124]
	v_add_f64 v[213:214], v[213:214], -v[121:122]
	v_fma_f64 v[175:176], v[177:178], v[173:174], v[175:176]
	v_add_f64 v[215:216], v[215:216], -v[175:176]
	;; [unrolled: 8-line block ×10, first 2 shown]
	ds_read2_b64 v[175:178], v253 offset0:84 offset1:85
	s_waitcnt lgkmcnt(0)
	v_mul_f64 v[121:122], v[177:178], v[123:124]
	v_fma_f64 v[121:122], v[175:176], v[173:174], -v[121:122]
	v_mul_f64 v[175:176], v[175:176], v[123:124]
	v_add_f64 v[1:2], v[1:2], -v[121:122]
	v_fma_f64 v[175:176], v[177:178], v[173:174], v[175:176]
	v_mov_b32_e32 v121, v173
	v_mov_b32_e32 v122, v174
	v_add_f64 v[3:4], v[3:4], -v[175:176]
.LBB85_118:
	s_or_b32 exec_lo, exec_lo, s1
	s_mov_b32 s2, exec_lo
	s_waitcnt lgkmcnt(0)
	s_waitcnt_vscnt null, 0x0
	s_barrier
	buffer_gl0_inv
	v_cmpx_eq_u32_e32 13, v0
	s_cbranch_execz .LBB85_125
; %bb.119:
	ds_write2_b64 v255, v[117:118], v[119:120] offset1:1
	ds_write2_b64 v253, v[113:114], v[115:116] offset0:28 offset1:29
	ds_write2_b64 v253, v[109:110], v[111:112] offset0:30 offset1:31
	;; [unrolled: 1-line block ×10, first 2 shown]
	s_clause 0x3
	buffer_load_dword v37, off, s[16:19], 0 offset:112
	buffer_load_dword v38, off, s[16:19], 0 offset:116
	buffer_load_dword v39, off, s[16:19], 0 offset:120
	buffer_load_dword v40, off, s[16:19], 0 offset:124
	s_waitcnt vmcnt(0)
	ds_write2_b64 v253, v[37:38], v[39:40] offset0:48 offset1:49
	s_clause 0x3
	buffer_load_dword v37, off, s[16:19], 0 offset:96
	buffer_load_dword v38, off, s[16:19], 0 offset:100
	buffer_load_dword v39, off, s[16:19], 0 offset:104
	buffer_load_dword v40, off, s[16:19], 0 offset:108
	s_waitcnt vmcnt(0)
	ds_write2_b64 v253, v[37:38], v[39:40] offset0:50 offset1:51
	s_clause 0x3
	buffer_load_dword v37, off, s[16:19], 0 offset:80
	buffer_load_dword v38, off, s[16:19], 0 offset:84
	buffer_load_dword v39, off, s[16:19], 0 offset:88
	buffer_load_dword v40, off, s[16:19], 0 offset:92
	s_waitcnt vmcnt(0)
	ds_write2_b64 v253, v[37:38], v[39:40] offset0:52 offset1:53
	s_clause 0x3
	buffer_load_dword v37, off, s[16:19], 0 offset:64
	buffer_load_dword v38, off, s[16:19], 0 offset:68
	buffer_load_dword v39, off, s[16:19], 0 offset:72
	buffer_load_dword v40, off, s[16:19], 0 offset:76
	s_waitcnt vmcnt(0)
	ds_write2_b64 v253, v[37:38], v[39:40] offset0:54 offset1:55
	s_clause 0x3
	buffer_load_dword v37, off, s[16:19], 0 offset:48
	buffer_load_dword v38, off, s[16:19], 0 offset:52
	buffer_load_dword v39, off, s[16:19], 0 offset:56
	buffer_load_dword v40, off, s[16:19], 0 offset:60
	s_waitcnt vmcnt(0)
	ds_write2_b64 v253, v[37:38], v[39:40] offset0:56 offset1:57
	s_clause 0x3
	buffer_load_dword v37, off, s[16:19], 0 offset:32
	buffer_load_dword v38, off, s[16:19], 0 offset:36
	buffer_load_dword v39, off, s[16:19], 0 offset:40
	buffer_load_dword v40, off, s[16:19], 0 offset:44
	s_waitcnt vmcnt(0)
	ds_write2_b64 v253, v[37:38], v[39:40] offset0:58 offset1:59
	s_clause 0x3
	buffer_load_dword v37, off, s[16:19], 0 offset:16
	buffer_load_dword v38, off, s[16:19], 0 offset:20
	buffer_load_dword v39, off, s[16:19], 0 offset:24
	buffer_load_dword v40, off, s[16:19], 0 offset:28
	s_waitcnt vmcnt(0)
	ds_write2_b64 v253, v[37:38], v[39:40] offset0:60 offset1:61
	s_clause 0x3
	buffer_load_dword v37, off, s[16:19], 0
	buffer_load_dword v38, off, s[16:19], 0 offset:4
	buffer_load_dword v39, off, s[16:19], 0 offset:8
	;; [unrolled: 1-line block ×3, first 2 shown]
	s_waitcnt vmcnt(0)
	ds_write2_b64 v253, v[37:38], v[39:40] offset0:62 offset1:63
	ds_write2_b64 v253, v[233:234], v[235:236] offset0:64 offset1:65
	;; [unrolled: 1-line block ×12, first 2 shown]
	ds_read2_b64 v[173:176], v255 offset1:1
	s_waitcnt lgkmcnt(0)
	v_cmp_neq_f64_e32 vcc_lo, 0, v[173:174]
	v_cmp_neq_f64_e64 s1, 0, v[175:176]
	s_or_b32 s1, vcc_lo, s1
	s_and_b32 exec_lo, exec_lo, s1
	s_cbranch_execz .LBB85_125
; %bb.120:
	v_cmp_ngt_f64_e64 s1, |v[173:174]|, |v[175:176]|
                                        ; implicit-def: $vgpr177_vgpr178
	s_and_saveexec_b32 s3, s1
	s_xor_b32 s1, exec_lo, s3
                                        ; implicit-def: $vgpr179_vgpr180
	s_cbranch_execz .LBB85_122
; %bb.121:
	v_div_scale_f64 v[177:178], null, v[175:176], v[175:176], v[173:174]
	v_div_scale_f64 v[183:184], vcc_lo, v[173:174], v[175:176], v[173:174]
	v_rcp_f64_e32 v[179:180], v[177:178]
	v_fma_f64 v[181:182], -v[177:178], v[179:180], 1.0
	v_fma_f64 v[179:180], v[179:180], v[181:182], v[179:180]
	v_fma_f64 v[181:182], -v[177:178], v[179:180], 1.0
	v_fma_f64 v[179:180], v[179:180], v[181:182], v[179:180]
	v_mul_f64 v[181:182], v[183:184], v[179:180]
	v_fma_f64 v[177:178], -v[177:178], v[181:182], v[183:184]
	v_div_fmas_f64 v[177:178], v[177:178], v[179:180], v[181:182]
	v_div_fixup_f64 v[177:178], v[177:178], v[175:176], v[173:174]
	v_fma_f64 v[173:174], v[173:174], v[177:178], v[175:176]
	v_div_scale_f64 v[175:176], null, v[173:174], v[173:174], 1.0
	v_rcp_f64_e32 v[179:180], v[175:176]
	v_fma_f64 v[181:182], -v[175:176], v[179:180], 1.0
	v_fma_f64 v[179:180], v[179:180], v[181:182], v[179:180]
	v_fma_f64 v[181:182], -v[175:176], v[179:180], 1.0
	v_fma_f64 v[179:180], v[179:180], v[181:182], v[179:180]
	v_div_scale_f64 v[181:182], vcc_lo, 1.0, v[173:174], 1.0
	v_mul_f64 v[183:184], v[181:182], v[179:180]
	v_fma_f64 v[175:176], -v[175:176], v[183:184], v[181:182]
	v_div_fmas_f64 v[175:176], v[175:176], v[179:180], v[183:184]
	v_div_fixup_f64 v[179:180], v[175:176], v[173:174], 1.0
                                        ; implicit-def: $vgpr173_vgpr174
	v_mul_f64 v[177:178], v[177:178], v[179:180]
	v_xor_b32_e32 v180, 0x80000000, v180
.LBB85_122:
	s_andn2_saveexec_b32 s1, s1
	s_cbranch_execz .LBB85_124
; %bb.123:
	v_div_scale_f64 v[177:178], null, v[173:174], v[173:174], v[175:176]
	v_div_scale_f64 v[183:184], vcc_lo, v[175:176], v[173:174], v[175:176]
	v_rcp_f64_e32 v[179:180], v[177:178]
	v_fma_f64 v[181:182], -v[177:178], v[179:180], 1.0
	v_fma_f64 v[179:180], v[179:180], v[181:182], v[179:180]
	v_fma_f64 v[181:182], -v[177:178], v[179:180], 1.0
	v_fma_f64 v[179:180], v[179:180], v[181:182], v[179:180]
	v_mul_f64 v[181:182], v[183:184], v[179:180]
	v_fma_f64 v[177:178], -v[177:178], v[181:182], v[183:184]
	v_div_fmas_f64 v[177:178], v[177:178], v[179:180], v[181:182]
	v_div_fixup_f64 v[179:180], v[177:178], v[173:174], v[175:176]
	v_fma_f64 v[173:174], v[175:176], v[179:180], v[173:174]
	v_div_scale_f64 v[175:176], null, v[173:174], v[173:174], 1.0
	v_rcp_f64_e32 v[177:178], v[175:176]
	v_fma_f64 v[181:182], -v[175:176], v[177:178], 1.0
	v_fma_f64 v[177:178], v[177:178], v[181:182], v[177:178]
	v_fma_f64 v[181:182], -v[175:176], v[177:178], 1.0
	v_fma_f64 v[177:178], v[177:178], v[181:182], v[177:178]
	v_div_scale_f64 v[181:182], vcc_lo, 1.0, v[173:174], 1.0
	v_mul_f64 v[183:184], v[181:182], v[177:178]
	v_fma_f64 v[175:176], -v[175:176], v[183:184], v[181:182]
	v_div_fmas_f64 v[175:176], v[175:176], v[177:178], v[183:184]
	v_div_fixup_f64 v[177:178], v[175:176], v[173:174], 1.0
	v_mul_f64 v[179:180], v[179:180], -v[177:178]
.LBB85_124:
	s_or_b32 exec_lo, exec_lo, s1
	ds_write2_b64 v255, v[177:178], v[179:180] offset1:1
.LBB85_125:
	s_or_b32 exec_lo, exec_lo, s2
	s_waitcnt lgkmcnt(0)
	s_barrier
	buffer_gl0_inv
	ds_read2_b64 v[225:228], v255 offset1:1
	s_mov_b32 s1, exec_lo
	v_cmpx_lt_u32_e32 13, v0
	s_cbranch_execz .LBB85_127
; %bb.126:
	s_waitcnt lgkmcnt(0)
	v_mul_f64 v[173:174], v[227:228], v[119:120]
	v_mul_f64 v[119:120], v[225:226], v[119:120]
	ds_read2_b64 v[175:178], v253 offset0:28 offset1:29
	v_fma_f64 v[173:174], v[225:226], v[117:118], -v[173:174]
	v_fma_f64 v[119:120], v[227:228], v[117:118], v[119:120]
	s_waitcnt lgkmcnt(0)
	v_mul_f64 v[117:118], v[177:178], v[119:120]
	v_fma_f64 v[117:118], v[175:176], v[173:174], -v[117:118]
	v_mul_f64 v[175:176], v[175:176], v[119:120]
	v_add_f64 v[113:114], v[113:114], -v[117:118]
	v_fma_f64 v[175:176], v[177:178], v[173:174], v[175:176]
	v_add_f64 v[115:116], v[115:116], -v[175:176]
	ds_read2_b64 v[175:178], v253 offset0:30 offset1:31
	s_waitcnt lgkmcnt(0)
	v_mul_f64 v[117:118], v[177:178], v[119:120]
	v_fma_f64 v[117:118], v[175:176], v[173:174], -v[117:118]
	v_mul_f64 v[175:176], v[175:176], v[119:120]
	v_add_f64 v[109:110], v[109:110], -v[117:118]
	v_fma_f64 v[175:176], v[177:178], v[173:174], v[175:176]
	v_add_f64 v[111:112], v[111:112], -v[175:176]
	ds_read2_b64 v[175:178], v253 offset0:32 offset1:33
	;; [unrolled: 8-line block ×10, first 2 shown]
	s_clause 0x3
	buffer_load_dword v37, off, s[16:19], 0 offset:112
	buffer_load_dword v38, off, s[16:19], 0 offset:116
	buffer_load_dword v39, off, s[16:19], 0 offset:120
	buffer_load_dword v40, off, s[16:19], 0 offset:124
	s_waitcnt lgkmcnt(0)
	v_mul_f64 v[117:118], v[177:178], v[119:120]
	v_fma_f64 v[117:118], v[175:176], v[173:174], -v[117:118]
	v_mul_f64 v[175:176], v[175:176], v[119:120]
	v_fma_f64 v[175:176], v[177:178], v[173:174], v[175:176]
	s_waitcnt vmcnt(2)
	v_add_f64 v[37:38], v[37:38], -v[117:118]
	s_waitcnt vmcnt(0)
	v_add_f64 v[39:40], v[39:40], -v[175:176]
	buffer_store_dword v37, off, s[16:19], 0 offset:112 ; 4-byte Folded Spill
	buffer_store_dword v38, off, s[16:19], 0 offset:116 ; 4-byte Folded Spill
	buffer_store_dword v39, off, s[16:19], 0 offset:120 ; 4-byte Folded Spill
	buffer_store_dword v40, off, s[16:19], 0 offset:124 ; 4-byte Folded Spill
	ds_read2_b64 v[175:178], v253 offset0:50 offset1:51
	s_clause 0x3
	buffer_load_dword v37, off, s[16:19], 0 offset:96
	buffer_load_dword v38, off, s[16:19], 0 offset:100
	buffer_load_dword v39, off, s[16:19], 0 offset:104
	buffer_load_dword v40, off, s[16:19], 0 offset:108
	s_waitcnt lgkmcnt(0)
	v_mul_f64 v[117:118], v[177:178], v[119:120]
	v_fma_f64 v[117:118], v[175:176], v[173:174], -v[117:118]
	v_mul_f64 v[175:176], v[175:176], v[119:120]
	v_fma_f64 v[175:176], v[177:178], v[173:174], v[175:176]
	s_waitcnt vmcnt(2)
	v_add_f64 v[37:38], v[37:38], -v[117:118]
	s_waitcnt vmcnt(0)
	v_add_f64 v[39:40], v[39:40], -v[175:176]
	buffer_store_dword v37, off, s[16:19], 0 offset:96 ; 4-byte Folded Spill
	buffer_store_dword v38, off, s[16:19], 0 offset:100 ; 4-byte Folded Spill
	buffer_store_dword v39, off, s[16:19], 0 offset:104 ; 4-byte Folded Spill
	buffer_store_dword v40, off, s[16:19], 0 offset:108 ; 4-byte Folded Spill
	ds_read2_b64 v[175:178], v253 offset0:52 offset1:53
	;; [unrolled: 19-line block ×7, first 2 shown]
	s_clause 0x3
	buffer_load_dword v37, off, s[16:19], 0
	buffer_load_dword v38, off, s[16:19], 0 offset:4
	buffer_load_dword v39, off, s[16:19], 0 offset:8
	;; [unrolled: 1-line block ×3, first 2 shown]
	s_waitcnt lgkmcnt(0)
	v_mul_f64 v[117:118], v[177:178], v[119:120]
	v_fma_f64 v[117:118], v[175:176], v[173:174], -v[117:118]
	v_mul_f64 v[175:176], v[175:176], v[119:120]
	v_fma_f64 v[175:176], v[177:178], v[173:174], v[175:176]
	s_waitcnt vmcnt(2)
	v_add_f64 v[37:38], v[37:38], -v[117:118]
	s_waitcnt vmcnt(0)
	v_add_f64 v[39:40], v[39:40], -v[175:176]
	buffer_store_dword v37, off, s[16:19], 0 ; 4-byte Folded Spill
	buffer_store_dword v38, off, s[16:19], 0 offset:4 ; 4-byte Folded Spill
	buffer_store_dword v39, off, s[16:19], 0 offset:8 ; 4-byte Folded Spill
	;; [unrolled: 1-line block ×3, first 2 shown]
	ds_read2_b64 v[175:178], v253 offset0:64 offset1:65
	s_waitcnt lgkmcnt(0)
	v_mul_f64 v[117:118], v[177:178], v[119:120]
	v_fma_f64 v[117:118], v[175:176], v[173:174], -v[117:118]
	v_mul_f64 v[175:176], v[175:176], v[119:120]
	v_add_f64 v[233:234], v[233:234], -v[117:118]
	v_fma_f64 v[175:176], v[177:178], v[173:174], v[175:176]
	v_add_f64 v[235:236], v[235:236], -v[175:176]
	ds_read2_b64 v[175:178], v253 offset0:66 offset1:67
	s_waitcnt lgkmcnt(0)
	v_mul_f64 v[117:118], v[177:178], v[119:120]
	v_fma_f64 v[117:118], v[175:176], v[173:174], -v[117:118]
	v_mul_f64 v[175:176], v[175:176], v[119:120]
	v_add_f64 v[213:214], v[213:214], -v[117:118]
	v_fma_f64 v[175:176], v[177:178], v[173:174], v[175:176]
	v_add_f64 v[215:216], v[215:216], -v[175:176]
	;; [unrolled: 8-line block ×10, first 2 shown]
	ds_read2_b64 v[175:178], v253 offset0:84 offset1:85
	s_waitcnt lgkmcnt(0)
	v_mul_f64 v[117:118], v[177:178], v[119:120]
	v_fma_f64 v[117:118], v[175:176], v[173:174], -v[117:118]
	v_mul_f64 v[175:176], v[175:176], v[119:120]
	v_add_f64 v[1:2], v[1:2], -v[117:118]
	v_fma_f64 v[175:176], v[177:178], v[173:174], v[175:176]
	v_mov_b32_e32 v117, v173
	v_mov_b32_e32 v118, v174
	v_add_f64 v[3:4], v[3:4], -v[175:176]
.LBB85_127:
	s_or_b32 exec_lo, exec_lo, s1
	s_mov_b32 s2, exec_lo
	s_waitcnt lgkmcnt(0)
	s_waitcnt_vscnt null, 0x0
	s_barrier
	buffer_gl0_inv
	v_cmpx_eq_u32_e32 14, v0
	s_cbranch_execz .LBB85_134
; %bb.128:
	ds_write2_b64 v255, v[113:114], v[115:116] offset1:1
	ds_write2_b64 v253, v[109:110], v[111:112] offset0:30 offset1:31
	ds_write2_b64 v253, v[105:106], v[107:108] offset0:32 offset1:33
	;; [unrolled: 1-line block ×9, first 2 shown]
	s_clause 0x3
	buffer_load_dword v37, off, s[16:19], 0 offset:112
	buffer_load_dword v38, off, s[16:19], 0 offset:116
	buffer_load_dword v39, off, s[16:19], 0 offset:120
	buffer_load_dword v40, off, s[16:19], 0 offset:124
	s_waitcnt vmcnt(0)
	ds_write2_b64 v253, v[37:38], v[39:40] offset0:48 offset1:49
	s_clause 0x3
	buffer_load_dword v37, off, s[16:19], 0 offset:96
	buffer_load_dword v38, off, s[16:19], 0 offset:100
	buffer_load_dword v39, off, s[16:19], 0 offset:104
	buffer_load_dword v40, off, s[16:19], 0 offset:108
	s_waitcnt vmcnt(0)
	ds_write2_b64 v253, v[37:38], v[39:40] offset0:50 offset1:51
	;; [unrolled: 7-line block ×7, first 2 shown]
	s_clause 0x3
	buffer_load_dword v37, off, s[16:19], 0
	buffer_load_dword v38, off, s[16:19], 0 offset:4
	buffer_load_dword v39, off, s[16:19], 0 offset:8
	;; [unrolled: 1-line block ×3, first 2 shown]
	s_waitcnt vmcnt(0)
	ds_write2_b64 v253, v[37:38], v[39:40] offset0:62 offset1:63
	ds_write2_b64 v253, v[233:234], v[235:236] offset0:64 offset1:65
	;; [unrolled: 1-line block ×12, first 2 shown]
	ds_read2_b64 v[173:176], v255 offset1:1
	s_waitcnt lgkmcnt(0)
	v_cmp_neq_f64_e32 vcc_lo, 0, v[173:174]
	v_cmp_neq_f64_e64 s1, 0, v[175:176]
	s_or_b32 s1, vcc_lo, s1
	s_and_b32 exec_lo, exec_lo, s1
	s_cbranch_execz .LBB85_134
; %bb.129:
	v_cmp_ngt_f64_e64 s1, |v[173:174]|, |v[175:176]|
                                        ; implicit-def: $vgpr177_vgpr178
	s_and_saveexec_b32 s3, s1
	s_xor_b32 s1, exec_lo, s3
                                        ; implicit-def: $vgpr179_vgpr180
	s_cbranch_execz .LBB85_131
; %bb.130:
	v_div_scale_f64 v[177:178], null, v[175:176], v[175:176], v[173:174]
	v_div_scale_f64 v[183:184], vcc_lo, v[173:174], v[175:176], v[173:174]
	v_rcp_f64_e32 v[179:180], v[177:178]
	v_fma_f64 v[181:182], -v[177:178], v[179:180], 1.0
	v_fma_f64 v[179:180], v[179:180], v[181:182], v[179:180]
	v_fma_f64 v[181:182], -v[177:178], v[179:180], 1.0
	v_fma_f64 v[179:180], v[179:180], v[181:182], v[179:180]
	v_mul_f64 v[181:182], v[183:184], v[179:180]
	v_fma_f64 v[177:178], -v[177:178], v[181:182], v[183:184]
	v_div_fmas_f64 v[177:178], v[177:178], v[179:180], v[181:182]
	v_div_fixup_f64 v[177:178], v[177:178], v[175:176], v[173:174]
	v_fma_f64 v[173:174], v[173:174], v[177:178], v[175:176]
	v_div_scale_f64 v[175:176], null, v[173:174], v[173:174], 1.0
	v_rcp_f64_e32 v[179:180], v[175:176]
	v_fma_f64 v[181:182], -v[175:176], v[179:180], 1.0
	v_fma_f64 v[179:180], v[179:180], v[181:182], v[179:180]
	v_fma_f64 v[181:182], -v[175:176], v[179:180], 1.0
	v_fma_f64 v[179:180], v[179:180], v[181:182], v[179:180]
	v_div_scale_f64 v[181:182], vcc_lo, 1.0, v[173:174], 1.0
	v_mul_f64 v[183:184], v[181:182], v[179:180]
	v_fma_f64 v[175:176], -v[175:176], v[183:184], v[181:182]
	v_div_fmas_f64 v[175:176], v[175:176], v[179:180], v[183:184]
	v_div_fixup_f64 v[179:180], v[175:176], v[173:174], 1.0
                                        ; implicit-def: $vgpr173_vgpr174
	v_mul_f64 v[177:178], v[177:178], v[179:180]
	v_xor_b32_e32 v180, 0x80000000, v180
.LBB85_131:
	s_andn2_saveexec_b32 s1, s1
	s_cbranch_execz .LBB85_133
; %bb.132:
	v_div_scale_f64 v[177:178], null, v[173:174], v[173:174], v[175:176]
	v_div_scale_f64 v[183:184], vcc_lo, v[175:176], v[173:174], v[175:176]
	v_rcp_f64_e32 v[179:180], v[177:178]
	v_fma_f64 v[181:182], -v[177:178], v[179:180], 1.0
	v_fma_f64 v[179:180], v[179:180], v[181:182], v[179:180]
	v_fma_f64 v[181:182], -v[177:178], v[179:180], 1.0
	v_fma_f64 v[179:180], v[179:180], v[181:182], v[179:180]
	v_mul_f64 v[181:182], v[183:184], v[179:180]
	v_fma_f64 v[177:178], -v[177:178], v[181:182], v[183:184]
	v_div_fmas_f64 v[177:178], v[177:178], v[179:180], v[181:182]
	v_div_fixup_f64 v[179:180], v[177:178], v[173:174], v[175:176]
	v_fma_f64 v[173:174], v[175:176], v[179:180], v[173:174]
	v_div_scale_f64 v[175:176], null, v[173:174], v[173:174], 1.0
	v_rcp_f64_e32 v[177:178], v[175:176]
	v_fma_f64 v[181:182], -v[175:176], v[177:178], 1.0
	v_fma_f64 v[177:178], v[177:178], v[181:182], v[177:178]
	v_fma_f64 v[181:182], -v[175:176], v[177:178], 1.0
	v_fma_f64 v[177:178], v[177:178], v[181:182], v[177:178]
	v_div_scale_f64 v[181:182], vcc_lo, 1.0, v[173:174], 1.0
	v_mul_f64 v[183:184], v[181:182], v[177:178]
	v_fma_f64 v[175:176], -v[175:176], v[183:184], v[181:182]
	v_div_fmas_f64 v[175:176], v[175:176], v[177:178], v[183:184]
	v_div_fixup_f64 v[177:178], v[175:176], v[173:174], 1.0
	v_mul_f64 v[179:180], v[179:180], -v[177:178]
.LBB85_133:
	s_or_b32 exec_lo, exec_lo, s1
	ds_write2_b64 v255, v[177:178], v[179:180] offset1:1
.LBB85_134:
	s_or_b32 exec_lo, exec_lo, s2
	s_waitcnt lgkmcnt(0)
	s_barrier
	buffer_gl0_inv
	ds_read2_b64 v[165:168], v255 offset1:1
	s_mov_b32 s1, exec_lo
	v_cmpx_lt_u32_e32 14, v0
	s_cbranch_execz .LBB85_136
; %bb.135:
	s_waitcnt lgkmcnt(0)
	v_mul_f64 v[173:174], v[167:168], v[115:116]
	v_mul_f64 v[115:116], v[165:166], v[115:116]
	ds_read2_b64 v[175:178], v253 offset0:30 offset1:31
	v_fma_f64 v[173:174], v[165:166], v[113:114], -v[173:174]
	v_fma_f64 v[115:116], v[167:168], v[113:114], v[115:116]
	s_waitcnt lgkmcnt(0)
	v_mul_f64 v[113:114], v[177:178], v[115:116]
	v_fma_f64 v[113:114], v[175:176], v[173:174], -v[113:114]
	v_mul_f64 v[175:176], v[175:176], v[115:116]
	v_add_f64 v[109:110], v[109:110], -v[113:114]
	v_fma_f64 v[175:176], v[177:178], v[173:174], v[175:176]
	v_add_f64 v[111:112], v[111:112], -v[175:176]
	ds_read2_b64 v[175:178], v253 offset0:32 offset1:33
	s_waitcnt lgkmcnt(0)
	v_mul_f64 v[113:114], v[177:178], v[115:116]
	v_fma_f64 v[113:114], v[175:176], v[173:174], -v[113:114]
	v_mul_f64 v[175:176], v[175:176], v[115:116]
	v_add_f64 v[105:106], v[105:106], -v[113:114]
	v_fma_f64 v[175:176], v[177:178], v[173:174], v[175:176]
	v_add_f64 v[107:108], v[107:108], -v[175:176]
	ds_read2_b64 v[175:178], v253 offset0:34 offset1:35
	;; [unrolled: 8-line block ×9, first 2 shown]
	s_clause 0x3
	buffer_load_dword v37, off, s[16:19], 0 offset:112
	buffer_load_dword v38, off, s[16:19], 0 offset:116
	buffer_load_dword v39, off, s[16:19], 0 offset:120
	buffer_load_dword v40, off, s[16:19], 0 offset:124
	s_waitcnt lgkmcnt(0)
	v_mul_f64 v[113:114], v[177:178], v[115:116]
	v_fma_f64 v[113:114], v[175:176], v[173:174], -v[113:114]
	v_mul_f64 v[175:176], v[175:176], v[115:116]
	v_fma_f64 v[175:176], v[177:178], v[173:174], v[175:176]
	s_waitcnt vmcnt(2)
	v_add_f64 v[37:38], v[37:38], -v[113:114]
	s_waitcnt vmcnt(0)
	v_add_f64 v[39:40], v[39:40], -v[175:176]
	buffer_store_dword v37, off, s[16:19], 0 offset:112 ; 4-byte Folded Spill
	buffer_store_dword v38, off, s[16:19], 0 offset:116 ; 4-byte Folded Spill
	buffer_store_dword v39, off, s[16:19], 0 offset:120 ; 4-byte Folded Spill
	buffer_store_dword v40, off, s[16:19], 0 offset:124 ; 4-byte Folded Spill
	ds_read2_b64 v[175:178], v253 offset0:50 offset1:51
	s_clause 0x3
	buffer_load_dword v37, off, s[16:19], 0 offset:96
	buffer_load_dword v38, off, s[16:19], 0 offset:100
	buffer_load_dword v39, off, s[16:19], 0 offset:104
	buffer_load_dword v40, off, s[16:19], 0 offset:108
	s_waitcnt lgkmcnt(0)
	v_mul_f64 v[113:114], v[177:178], v[115:116]
	v_fma_f64 v[113:114], v[175:176], v[173:174], -v[113:114]
	v_mul_f64 v[175:176], v[175:176], v[115:116]
	v_fma_f64 v[175:176], v[177:178], v[173:174], v[175:176]
	s_waitcnt vmcnt(2)
	v_add_f64 v[37:38], v[37:38], -v[113:114]
	s_waitcnt vmcnt(0)
	v_add_f64 v[39:40], v[39:40], -v[175:176]
	buffer_store_dword v37, off, s[16:19], 0 offset:96 ; 4-byte Folded Spill
	buffer_store_dword v38, off, s[16:19], 0 offset:100 ; 4-byte Folded Spill
	buffer_store_dword v39, off, s[16:19], 0 offset:104 ; 4-byte Folded Spill
	buffer_store_dword v40, off, s[16:19], 0 offset:108 ; 4-byte Folded Spill
	ds_read2_b64 v[175:178], v253 offset0:52 offset1:53
	;; [unrolled: 19-line block ×7, first 2 shown]
	s_clause 0x3
	buffer_load_dword v37, off, s[16:19], 0
	buffer_load_dword v38, off, s[16:19], 0 offset:4
	buffer_load_dword v39, off, s[16:19], 0 offset:8
	;; [unrolled: 1-line block ×3, first 2 shown]
	s_waitcnt lgkmcnt(0)
	v_mul_f64 v[113:114], v[177:178], v[115:116]
	v_fma_f64 v[113:114], v[175:176], v[173:174], -v[113:114]
	v_mul_f64 v[175:176], v[175:176], v[115:116]
	v_fma_f64 v[175:176], v[177:178], v[173:174], v[175:176]
	s_waitcnt vmcnt(2)
	v_add_f64 v[37:38], v[37:38], -v[113:114]
	s_waitcnt vmcnt(0)
	v_add_f64 v[39:40], v[39:40], -v[175:176]
	buffer_store_dword v37, off, s[16:19], 0 ; 4-byte Folded Spill
	buffer_store_dword v38, off, s[16:19], 0 offset:4 ; 4-byte Folded Spill
	buffer_store_dword v39, off, s[16:19], 0 offset:8 ; 4-byte Folded Spill
	buffer_store_dword v40, off, s[16:19], 0 offset:12 ; 4-byte Folded Spill
	ds_read2_b64 v[175:178], v253 offset0:64 offset1:65
	s_waitcnt lgkmcnt(0)
	v_mul_f64 v[113:114], v[177:178], v[115:116]
	v_fma_f64 v[113:114], v[175:176], v[173:174], -v[113:114]
	v_mul_f64 v[175:176], v[175:176], v[115:116]
	v_add_f64 v[233:234], v[233:234], -v[113:114]
	v_fma_f64 v[175:176], v[177:178], v[173:174], v[175:176]
	v_add_f64 v[235:236], v[235:236], -v[175:176]
	ds_read2_b64 v[175:178], v253 offset0:66 offset1:67
	s_waitcnt lgkmcnt(0)
	v_mul_f64 v[113:114], v[177:178], v[115:116]
	v_fma_f64 v[113:114], v[175:176], v[173:174], -v[113:114]
	v_mul_f64 v[175:176], v[175:176], v[115:116]
	v_add_f64 v[213:214], v[213:214], -v[113:114]
	v_fma_f64 v[175:176], v[177:178], v[173:174], v[175:176]
	v_add_f64 v[215:216], v[215:216], -v[175:176]
	;; [unrolled: 8-line block ×10, first 2 shown]
	ds_read2_b64 v[175:178], v253 offset0:84 offset1:85
	s_waitcnt lgkmcnt(0)
	v_mul_f64 v[113:114], v[177:178], v[115:116]
	v_fma_f64 v[113:114], v[175:176], v[173:174], -v[113:114]
	v_mul_f64 v[175:176], v[175:176], v[115:116]
	v_add_f64 v[1:2], v[1:2], -v[113:114]
	v_fma_f64 v[175:176], v[177:178], v[173:174], v[175:176]
	v_mov_b32_e32 v113, v173
	v_mov_b32_e32 v114, v174
	v_add_f64 v[3:4], v[3:4], -v[175:176]
.LBB85_136:
	s_or_b32 exec_lo, exec_lo, s1
	s_mov_b32 s2, exec_lo
	s_waitcnt lgkmcnt(0)
	s_waitcnt_vscnt null, 0x0
	s_barrier
	buffer_gl0_inv
	v_cmpx_eq_u32_e32 15, v0
	s_cbranch_execz .LBB85_143
; %bb.137:
	ds_write2_b64 v255, v[109:110], v[111:112] offset1:1
	ds_write2_b64 v253, v[105:106], v[107:108] offset0:32 offset1:33
	ds_write2_b64 v253, v[101:102], v[103:104] offset0:34 offset1:35
	ds_write2_b64 v253, v[97:98], v[99:100] offset0:36 offset1:37
	ds_write2_b64 v253, v[93:94], v[95:96] offset0:38 offset1:39
	ds_write2_b64 v253, v[89:90], v[91:92] offset0:40 offset1:41
	ds_write2_b64 v253, v[85:86], v[87:88] offset0:42 offset1:43
	ds_write2_b64 v253, v[81:82], v[83:84] offset0:44 offset1:45
	ds_write2_b64 v253, v[77:78], v[79:80] offset0:46 offset1:47
	s_clause 0x3
	buffer_load_dword v37, off, s[16:19], 0 offset:112
	buffer_load_dword v38, off, s[16:19], 0 offset:116
	buffer_load_dword v39, off, s[16:19], 0 offset:120
	buffer_load_dword v40, off, s[16:19], 0 offset:124
	s_waitcnt vmcnt(0)
	ds_write2_b64 v253, v[37:38], v[39:40] offset0:48 offset1:49
	s_clause 0x3
	buffer_load_dword v37, off, s[16:19], 0 offset:96
	buffer_load_dword v38, off, s[16:19], 0 offset:100
	buffer_load_dword v39, off, s[16:19], 0 offset:104
	buffer_load_dword v40, off, s[16:19], 0 offset:108
	s_waitcnt vmcnt(0)
	ds_write2_b64 v253, v[37:38], v[39:40] offset0:50 offset1:51
	;; [unrolled: 7-line block ×7, first 2 shown]
	s_clause 0x3
	buffer_load_dword v37, off, s[16:19], 0
	buffer_load_dword v38, off, s[16:19], 0 offset:4
	buffer_load_dword v39, off, s[16:19], 0 offset:8
	;; [unrolled: 1-line block ×3, first 2 shown]
	s_waitcnt vmcnt(0)
	ds_write2_b64 v253, v[37:38], v[39:40] offset0:62 offset1:63
	ds_write2_b64 v253, v[233:234], v[235:236] offset0:64 offset1:65
	;; [unrolled: 1-line block ×12, first 2 shown]
	ds_read2_b64 v[173:176], v255 offset1:1
	s_waitcnt lgkmcnt(0)
	v_cmp_neq_f64_e32 vcc_lo, 0, v[173:174]
	v_cmp_neq_f64_e64 s1, 0, v[175:176]
	s_or_b32 s1, vcc_lo, s1
	s_and_b32 exec_lo, exec_lo, s1
	s_cbranch_execz .LBB85_143
; %bb.138:
	v_cmp_ngt_f64_e64 s1, |v[173:174]|, |v[175:176]|
                                        ; implicit-def: $vgpr177_vgpr178
	s_and_saveexec_b32 s3, s1
	s_xor_b32 s1, exec_lo, s3
                                        ; implicit-def: $vgpr179_vgpr180
	s_cbranch_execz .LBB85_140
; %bb.139:
	v_div_scale_f64 v[177:178], null, v[175:176], v[175:176], v[173:174]
	v_div_scale_f64 v[183:184], vcc_lo, v[173:174], v[175:176], v[173:174]
	v_rcp_f64_e32 v[179:180], v[177:178]
	v_fma_f64 v[181:182], -v[177:178], v[179:180], 1.0
	v_fma_f64 v[179:180], v[179:180], v[181:182], v[179:180]
	v_fma_f64 v[181:182], -v[177:178], v[179:180], 1.0
	v_fma_f64 v[179:180], v[179:180], v[181:182], v[179:180]
	v_mul_f64 v[181:182], v[183:184], v[179:180]
	v_fma_f64 v[177:178], -v[177:178], v[181:182], v[183:184]
	v_div_fmas_f64 v[177:178], v[177:178], v[179:180], v[181:182]
	v_div_fixup_f64 v[177:178], v[177:178], v[175:176], v[173:174]
	v_fma_f64 v[173:174], v[173:174], v[177:178], v[175:176]
	v_div_scale_f64 v[175:176], null, v[173:174], v[173:174], 1.0
	v_rcp_f64_e32 v[179:180], v[175:176]
	v_fma_f64 v[181:182], -v[175:176], v[179:180], 1.0
	v_fma_f64 v[179:180], v[179:180], v[181:182], v[179:180]
	v_fma_f64 v[181:182], -v[175:176], v[179:180], 1.0
	v_fma_f64 v[179:180], v[179:180], v[181:182], v[179:180]
	v_div_scale_f64 v[181:182], vcc_lo, 1.0, v[173:174], 1.0
	v_mul_f64 v[183:184], v[181:182], v[179:180]
	v_fma_f64 v[175:176], -v[175:176], v[183:184], v[181:182]
	v_div_fmas_f64 v[175:176], v[175:176], v[179:180], v[183:184]
	v_div_fixup_f64 v[179:180], v[175:176], v[173:174], 1.0
                                        ; implicit-def: $vgpr173_vgpr174
	v_mul_f64 v[177:178], v[177:178], v[179:180]
	v_xor_b32_e32 v180, 0x80000000, v180
.LBB85_140:
	s_andn2_saveexec_b32 s1, s1
	s_cbranch_execz .LBB85_142
; %bb.141:
	v_div_scale_f64 v[177:178], null, v[173:174], v[173:174], v[175:176]
	v_div_scale_f64 v[183:184], vcc_lo, v[175:176], v[173:174], v[175:176]
	v_rcp_f64_e32 v[179:180], v[177:178]
	v_fma_f64 v[181:182], -v[177:178], v[179:180], 1.0
	v_fma_f64 v[179:180], v[179:180], v[181:182], v[179:180]
	v_fma_f64 v[181:182], -v[177:178], v[179:180], 1.0
	v_fma_f64 v[179:180], v[179:180], v[181:182], v[179:180]
	v_mul_f64 v[181:182], v[183:184], v[179:180]
	v_fma_f64 v[177:178], -v[177:178], v[181:182], v[183:184]
	v_div_fmas_f64 v[177:178], v[177:178], v[179:180], v[181:182]
	v_div_fixup_f64 v[179:180], v[177:178], v[173:174], v[175:176]
	v_fma_f64 v[173:174], v[175:176], v[179:180], v[173:174]
	v_div_scale_f64 v[175:176], null, v[173:174], v[173:174], 1.0
	v_rcp_f64_e32 v[177:178], v[175:176]
	v_fma_f64 v[181:182], -v[175:176], v[177:178], 1.0
	v_fma_f64 v[177:178], v[177:178], v[181:182], v[177:178]
	v_fma_f64 v[181:182], -v[175:176], v[177:178], 1.0
	v_fma_f64 v[177:178], v[177:178], v[181:182], v[177:178]
	v_div_scale_f64 v[181:182], vcc_lo, 1.0, v[173:174], 1.0
	v_mul_f64 v[183:184], v[181:182], v[177:178]
	v_fma_f64 v[175:176], -v[175:176], v[183:184], v[181:182]
	v_div_fmas_f64 v[175:176], v[175:176], v[177:178], v[183:184]
	v_div_fixup_f64 v[177:178], v[175:176], v[173:174], 1.0
	v_mul_f64 v[179:180], v[179:180], -v[177:178]
.LBB85_142:
	s_or_b32 exec_lo, exec_lo, s1
	ds_write2_b64 v255, v[177:178], v[179:180] offset1:1
.LBB85_143:
	s_or_b32 exec_lo, exec_lo, s2
	s_waitcnt lgkmcnt(0)
	s_barrier
	buffer_gl0_inv
	ds_read2_b64 v[193:196], v255 offset1:1
	s_mov_b32 s1, exec_lo
	v_cmpx_lt_u32_e32 15, v0
	s_cbranch_execz .LBB85_145
; %bb.144:
	s_waitcnt lgkmcnt(0)
	v_mul_f64 v[173:174], v[195:196], v[111:112]
	v_mul_f64 v[111:112], v[193:194], v[111:112]
	ds_read2_b64 v[175:178], v253 offset0:32 offset1:33
	v_fma_f64 v[173:174], v[193:194], v[109:110], -v[173:174]
	v_fma_f64 v[111:112], v[195:196], v[109:110], v[111:112]
	s_waitcnt lgkmcnt(0)
	v_mul_f64 v[109:110], v[177:178], v[111:112]
	v_fma_f64 v[109:110], v[175:176], v[173:174], -v[109:110]
	v_mul_f64 v[175:176], v[175:176], v[111:112]
	v_add_f64 v[105:106], v[105:106], -v[109:110]
	v_fma_f64 v[175:176], v[177:178], v[173:174], v[175:176]
	v_add_f64 v[107:108], v[107:108], -v[175:176]
	ds_read2_b64 v[175:178], v253 offset0:34 offset1:35
	s_waitcnt lgkmcnt(0)
	v_mul_f64 v[109:110], v[177:178], v[111:112]
	v_fma_f64 v[109:110], v[175:176], v[173:174], -v[109:110]
	v_mul_f64 v[175:176], v[175:176], v[111:112]
	v_add_f64 v[101:102], v[101:102], -v[109:110]
	v_fma_f64 v[175:176], v[177:178], v[173:174], v[175:176]
	v_add_f64 v[103:104], v[103:104], -v[175:176]
	ds_read2_b64 v[175:178], v253 offset0:36 offset1:37
	;; [unrolled: 8-line block ×8, first 2 shown]
	s_clause 0x3
	buffer_load_dword v37, off, s[16:19], 0 offset:112
	buffer_load_dword v38, off, s[16:19], 0 offset:116
	buffer_load_dword v39, off, s[16:19], 0 offset:120
	buffer_load_dword v40, off, s[16:19], 0 offset:124
	s_waitcnt lgkmcnt(0)
	v_mul_f64 v[109:110], v[177:178], v[111:112]
	v_fma_f64 v[109:110], v[175:176], v[173:174], -v[109:110]
	v_mul_f64 v[175:176], v[175:176], v[111:112]
	v_fma_f64 v[175:176], v[177:178], v[173:174], v[175:176]
	s_waitcnt vmcnt(2)
	v_add_f64 v[37:38], v[37:38], -v[109:110]
	s_waitcnt vmcnt(0)
	v_add_f64 v[39:40], v[39:40], -v[175:176]
	buffer_store_dword v37, off, s[16:19], 0 offset:112 ; 4-byte Folded Spill
	buffer_store_dword v38, off, s[16:19], 0 offset:116 ; 4-byte Folded Spill
	buffer_store_dword v39, off, s[16:19], 0 offset:120 ; 4-byte Folded Spill
	buffer_store_dword v40, off, s[16:19], 0 offset:124 ; 4-byte Folded Spill
	ds_read2_b64 v[175:178], v253 offset0:50 offset1:51
	s_clause 0x3
	buffer_load_dword v37, off, s[16:19], 0 offset:96
	buffer_load_dword v38, off, s[16:19], 0 offset:100
	buffer_load_dword v39, off, s[16:19], 0 offset:104
	buffer_load_dword v40, off, s[16:19], 0 offset:108
	s_waitcnt lgkmcnt(0)
	v_mul_f64 v[109:110], v[177:178], v[111:112]
	v_fma_f64 v[109:110], v[175:176], v[173:174], -v[109:110]
	v_mul_f64 v[175:176], v[175:176], v[111:112]
	v_fma_f64 v[175:176], v[177:178], v[173:174], v[175:176]
	s_waitcnt vmcnt(2)
	v_add_f64 v[37:38], v[37:38], -v[109:110]
	s_waitcnt vmcnt(0)
	v_add_f64 v[39:40], v[39:40], -v[175:176]
	buffer_store_dword v37, off, s[16:19], 0 offset:96 ; 4-byte Folded Spill
	buffer_store_dword v38, off, s[16:19], 0 offset:100 ; 4-byte Folded Spill
	buffer_store_dword v39, off, s[16:19], 0 offset:104 ; 4-byte Folded Spill
	buffer_store_dword v40, off, s[16:19], 0 offset:108 ; 4-byte Folded Spill
	ds_read2_b64 v[175:178], v253 offset0:52 offset1:53
	;; [unrolled: 19-line block ×7, first 2 shown]
	s_clause 0x3
	buffer_load_dword v37, off, s[16:19], 0
	buffer_load_dword v38, off, s[16:19], 0 offset:4
	buffer_load_dword v39, off, s[16:19], 0 offset:8
	;; [unrolled: 1-line block ×3, first 2 shown]
	s_waitcnt lgkmcnt(0)
	v_mul_f64 v[109:110], v[177:178], v[111:112]
	v_fma_f64 v[109:110], v[175:176], v[173:174], -v[109:110]
	v_mul_f64 v[175:176], v[175:176], v[111:112]
	v_fma_f64 v[175:176], v[177:178], v[173:174], v[175:176]
	s_waitcnt vmcnt(2)
	v_add_f64 v[37:38], v[37:38], -v[109:110]
	s_waitcnt vmcnt(0)
	v_add_f64 v[39:40], v[39:40], -v[175:176]
	buffer_store_dword v37, off, s[16:19], 0 ; 4-byte Folded Spill
	buffer_store_dword v38, off, s[16:19], 0 offset:4 ; 4-byte Folded Spill
	buffer_store_dword v39, off, s[16:19], 0 offset:8 ; 4-byte Folded Spill
	;; [unrolled: 1-line block ×3, first 2 shown]
	ds_read2_b64 v[175:178], v253 offset0:64 offset1:65
	s_waitcnt lgkmcnt(0)
	v_mul_f64 v[109:110], v[177:178], v[111:112]
	v_fma_f64 v[109:110], v[175:176], v[173:174], -v[109:110]
	v_mul_f64 v[175:176], v[175:176], v[111:112]
	v_add_f64 v[233:234], v[233:234], -v[109:110]
	v_fma_f64 v[175:176], v[177:178], v[173:174], v[175:176]
	v_add_f64 v[235:236], v[235:236], -v[175:176]
	ds_read2_b64 v[175:178], v253 offset0:66 offset1:67
	s_waitcnt lgkmcnt(0)
	v_mul_f64 v[109:110], v[177:178], v[111:112]
	v_fma_f64 v[109:110], v[175:176], v[173:174], -v[109:110]
	v_mul_f64 v[175:176], v[175:176], v[111:112]
	v_add_f64 v[213:214], v[213:214], -v[109:110]
	v_fma_f64 v[175:176], v[177:178], v[173:174], v[175:176]
	v_add_f64 v[215:216], v[215:216], -v[175:176]
	;; [unrolled: 8-line block ×10, first 2 shown]
	ds_read2_b64 v[175:178], v253 offset0:84 offset1:85
	s_waitcnt lgkmcnt(0)
	v_mul_f64 v[109:110], v[177:178], v[111:112]
	v_fma_f64 v[109:110], v[175:176], v[173:174], -v[109:110]
	v_mul_f64 v[175:176], v[175:176], v[111:112]
	v_add_f64 v[1:2], v[1:2], -v[109:110]
	v_fma_f64 v[175:176], v[177:178], v[173:174], v[175:176]
	v_mov_b32_e32 v109, v173
	v_mov_b32_e32 v110, v174
	v_add_f64 v[3:4], v[3:4], -v[175:176]
.LBB85_145:
	s_or_b32 exec_lo, exec_lo, s1
	s_mov_b32 s2, exec_lo
	s_waitcnt lgkmcnt(0)
	s_waitcnt_vscnt null, 0x0
	s_barrier
	buffer_gl0_inv
	v_cmpx_eq_u32_e32 16, v0
	s_cbranch_execz .LBB85_152
; %bb.146:
	ds_write2_b64 v255, v[105:106], v[107:108] offset1:1
	ds_write2_b64 v253, v[101:102], v[103:104] offset0:34 offset1:35
	ds_write2_b64 v253, v[97:98], v[99:100] offset0:36 offset1:37
	;; [unrolled: 1-line block ×7, first 2 shown]
	s_clause 0x3
	buffer_load_dword v37, off, s[16:19], 0 offset:112
	buffer_load_dword v38, off, s[16:19], 0 offset:116
	buffer_load_dword v39, off, s[16:19], 0 offset:120
	buffer_load_dword v40, off, s[16:19], 0 offset:124
	s_waitcnt vmcnt(0)
	ds_write2_b64 v253, v[37:38], v[39:40] offset0:48 offset1:49
	s_clause 0x3
	buffer_load_dword v37, off, s[16:19], 0 offset:96
	buffer_load_dword v38, off, s[16:19], 0 offset:100
	buffer_load_dword v39, off, s[16:19], 0 offset:104
	buffer_load_dword v40, off, s[16:19], 0 offset:108
	s_waitcnt vmcnt(0)
	ds_write2_b64 v253, v[37:38], v[39:40] offset0:50 offset1:51
	;; [unrolled: 7-line block ×7, first 2 shown]
	s_clause 0x3
	buffer_load_dword v37, off, s[16:19], 0
	buffer_load_dword v38, off, s[16:19], 0 offset:4
	buffer_load_dword v39, off, s[16:19], 0 offset:8
	;; [unrolled: 1-line block ×3, first 2 shown]
	s_waitcnt vmcnt(0)
	ds_write2_b64 v253, v[37:38], v[39:40] offset0:62 offset1:63
	ds_write2_b64 v253, v[233:234], v[235:236] offset0:64 offset1:65
	;; [unrolled: 1-line block ×12, first 2 shown]
	ds_read2_b64 v[173:176], v255 offset1:1
	s_waitcnt lgkmcnt(0)
	v_cmp_neq_f64_e32 vcc_lo, 0, v[173:174]
	v_cmp_neq_f64_e64 s1, 0, v[175:176]
	s_or_b32 s1, vcc_lo, s1
	s_and_b32 exec_lo, exec_lo, s1
	s_cbranch_execz .LBB85_152
; %bb.147:
	v_cmp_ngt_f64_e64 s1, |v[173:174]|, |v[175:176]|
                                        ; implicit-def: $vgpr177_vgpr178
	s_and_saveexec_b32 s3, s1
	s_xor_b32 s1, exec_lo, s3
                                        ; implicit-def: $vgpr179_vgpr180
	s_cbranch_execz .LBB85_149
; %bb.148:
	v_div_scale_f64 v[177:178], null, v[175:176], v[175:176], v[173:174]
	v_div_scale_f64 v[183:184], vcc_lo, v[173:174], v[175:176], v[173:174]
	v_rcp_f64_e32 v[179:180], v[177:178]
	v_fma_f64 v[181:182], -v[177:178], v[179:180], 1.0
	v_fma_f64 v[179:180], v[179:180], v[181:182], v[179:180]
	v_fma_f64 v[181:182], -v[177:178], v[179:180], 1.0
	v_fma_f64 v[179:180], v[179:180], v[181:182], v[179:180]
	v_mul_f64 v[181:182], v[183:184], v[179:180]
	v_fma_f64 v[177:178], -v[177:178], v[181:182], v[183:184]
	v_div_fmas_f64 v[177:178], v[177:178], v[179:180], v[181:182]
	v_div_fixup_f64 v[177:178], v[177:178], v[175:176], v[173:174]
	v_fma_f64 v[173:174], v[173:174], v[177:178], v[175:176]
	v_div_scale_f64 v[175:176], null, v[173:174], v[173:174], 1.0
	v_rcp_f64_e32 v[179:180], v[175:176]
	v_fma_f64 v[181:182], -v[175:176], v[179:180], 1.0
	v_fma_f64 v[179:180], v[179:180], v[181:182], v[179:180]
	v_fma_f64 v[181:182], -v[175:176], v[179:180], 1.0
	v_fma_f64 v[179:180], v[179:180], v[181:182], v[179:180]
	v_div_scale_f64 v[181:182], vcc_lo, 1.0, v[173:174], 1.0
	v_mul_f64 v[183:184], v[181:182], v[179:180]
	v_fma_f64 v[175:176], -v[175:176], v[183:184], v[181:182]
	v_div_fmas_f64 v[175:176], v[175:176], v[179:180], v[183:184]
	v_div_fixup_f64 v[179:180], v[175:176], v[173:174], 1.0
                                        ; implicit-def: $vgpr173_vgpr174
	v_mul_f64 v[177:178], v[177:178], v[179:180]
	v_xor_b32_e32 v180, 0x80000000, v180
.LBB85_149:
	s_andn2_saveexec_b32 s1, s1
	s_cbranch_execz .LBB85_151
; %bb.150:
	v_div_scale_f64 v[177:178], null, v[173:174], v[173:174], v[175:176]
	v_div_scale_f64 v[183:184], vcc_lo, v[175:176], v[173:174], v[175:176]
	v_rcp_f64_e32 v[179:180], v[177:178]
	v_fma_f64 v[181:182], -v[177:178], v[179:180], 1.0
	v_fma_f64 v[179:180], v[179:180], v[181:182], v[179:180]
	v_fma_f64 v[181:182], -v[177:178], v[179:180], 1.0
	v_fma_f64 v[179:180], v[179:180], v[181:182], v[179:180]
	v_mul_f64 v[181:182], v[183:184], v[179:180]
	v_fma_f64 v[177:178], -v[177:178], v[181:182], v[183:184]
	v_div_fmas_f64 v[177:178], v[177:178], v[179:180], v[181:182]
	v_div_fixup_f64 v[179:180], v[177:178], v[173:174], v[175:176]
	v_fma_f64 v[173:174], v[175:176], v[179:180], v[173:174]
	v_div_scale_f64 v[175:176], null, v[173:174], v[173:174], 1.0
	v_rcp_f64_e32 v[177:178], v[175:176]
	v_fma_f64 v[181:182], -v[175:176], v[177:178], 1.0
	v_fma_f64 v[177:178], v[177:178], v[181:182], v[177:178]
	v_fma_f64 v[181:182], -v[175:176], v[177:178], 1.0
	v_fma_f64 v[177:178], v[177:178], v[181:182], v[177:178]
	v_div_scale_f64 v[181:182], vcc_lo, 1.0, v[173:174], 1.0
	v_mul_f64 v[183:184], v[181:182], v[177:178]
	v_fma_f64 v[175:176], -v[175:176], v[183:184], v[181:182]
	v_div_fmas_f64 v[175:176], v[175:176], v[177:178], v[183:184]
	v_div_fixup_f64 v[177:178], v[175:176], v[173:174], 1.0
	v_mul_f64 v[179:180], v[179:180], -v[177:178]
.LBB85_151:
	s_or_b32 exec_lo, exec_lo, s1
	ds_write2_b64 v255, v[177:178], v[179:180] offset1:1
.LBB85_152:
	s_or_b32 exec_lo, exec_lo, s2
	s_waitcnt lgkmcnt(0)
	s_barrier
	buffer_gl0_inv
	ds_read2_b64 v[145:148], v255 offset1:1
	s_mov_b32 s1, exec_lo
	v_cmpx_lt_u32_e32 16, v0
	s_cbranch_execz .LBB85_154
; %bb.153:
	s_waitcnt lgkmcnt(0)
	v_mul_f64 v[173:174], v[147:148], v[107:108]
	v_mul_f64 v[107:108], v[145:146], v[107:108]
	ds_read2_b64 v[175:178], v253 offset0:34 offset1:35
	v_fma_f64 v[173:174], v[145:146], v[105:106], -v[173:174]
	v_fma_f64 v[107:108], v[147:148], v[105:106], v[107:108]
	s_waitcnt lgkmcnt(0)
	v_mul_f64 v[105:106], v[177:178], v[107:108]
	v_fma_f64 v[105:106], v[175:176], v[173:174], -v[105:106]
	v_mul_f64 v[175:176], v[175:176], v[107:108]
	v_add_f64 v[101:102], v[101:102], -v[105:106]
	v_fma_f64 v[175:176], v[177:178], v[173:174], v[175:176]
	v_add_f64 v[103:104], v[103:104], -v[175:176]
	ds_read2_b64 v[175:178], v253 offset0:36 offset1:37
	s_waitcnt lgkmcnt(0)
	v_mul_f64 v[105:106], v[177:178], v[107:108]
	v_fma_f64 v[105:106], v[175:176], v[173:174], -v[105:106]
	v_mul_f64 v[175:176], v[175:176], v[107:108]
	v_add_f64 v[97:98], v[97:98], -v[105:106]
	v_fma_f64 v[175:176], v[177:178], v[173:174], v[175:176]
	v_add_f64 v[99:100], v[99:100], -v[175:176]
	ds_read2_b64 v[175:178], v253 offset0:38 offset1:39
	s_waitcnt lgkmcnt(0)
	v_mul_f64 v[105:106], v[177:178], v[107:108]
	v_fma_f64 v[105:106], v[175:176], v[173:174], -v[105:106]
	v_mul_f64 v[175:176], v[175:176], v[107:108]
	v_add_f64 v[93:94], v[93:94], -v[105:106]
	v_fma_f64 v[175:176], v[177:178], v[173:174], v[175:176]
	v_add_f64 v[95:96], v[95:96], -v[175:176]
	ds_read2_b64 v[175:178], v253 offset0:40 offset1:41
	s_waitcnt lgkmcnt(0)
	v_mul_f64 v[105:106], v[177:178], v[107:108]
	v_fma_f64 v[105:106], v[175:176], v[173:174], -v[105:106]
	v_mul_f64 v[175:176], v[175:176], v[107:108]
	v_add_f64 v[89:90], v[89:90], -v[105:106]
	v_fma_f64 v[175:176], v[177:178], v[173:174], v[175:176]
	v_add_f64 v[91:92], v[91:92], -v[175:176]
	ds_read2_b64 v[175:178], v253 offset0:42 offset1:43
	s_waitcnt lgkmcnt(0)
	v_mul_f64 v[105:106], v[177:178], v[107:108]
	v_fma_f64 v[105:106], v[175:176], v[173:174], -v[105:106]
	v_mul_f64 v[175:176], v[175:176], v[107:108]
	v_add_f64 v[85:86], v[85:86], -v[105:106]
	v_fma_f64 v[175:176], v[177:178], v[173:174], v[175:176]
	v_add_f64 v[87:88], v[87:88], -v[175:176]
	ds_read2_b64 v[175:178], v253 offset0:44 offset1:45
	s_waitcnt lgkmcnt(0)
	v_mul_f64 v[105:106], v[177:178], v[107:108]
	v_fma_f64 v[105:106], v[175:176], v[173:174], -v[105:106]
	v_mul_f64 v[175:176], v[175:176], v[107:108]
	v_add_f64 v[81:82], v[81:82], -v[105:106]
	v_fma_f64 v[175:176], v[177:178], v[173:174], v[175:176]
	v_add_f64 v[83:84], v[83:84], -v[175:176]
	ds_read2_b64 v[175:178], v253 offset0:46 offset1:47
	s_waitcnt lgkmcnt(0)
	v_mul_f64 v[105:106], v[177:178], v[107:108]
	v_fma_f64 v[105:106], v[175:176], v[173:174], -v[105:106]
	v_mul_f64 v[175:176], v[175:176], v[107:108]
	v_add_f64 v[77:78], v[77:78], -v[105:106]
	v_fma_f64 v[175:176], v[177:178], v[173:174], v[175:176]
	v_add_f64 v[79:80], v[79:80], -v[175:176]
	ds_read2_b64 v[175:178], v253 offset0:48 offset1:49
	s_clause 0x3
	buffer_load_dword v37, off, s[16:19], 0 offset:112
	buffer_load_dword v38, off, s[16:19], 0 offset:116
	buffer_load_dword v39, off, s[16:19], 0 offset:120
	buffer_load_dword v40, off, s[16:19], 0 offset:124
	s_waitcnt lgkmcnt(0)
	v_mul_f64 v[105:106], v[177:178], v[107:108]
	v_fma_f64 v[105:106], v[175:176], v[173:174], -v[105:106]
	v_mul_f64 v[175:176], v[175:176], v[107:108]
	v_fma_f64 v[175:176], v[177:178], v[173:174], v[175:176]
	s_waitcnt vmcnt(2)
	v_add_f64 v[37:38], v[37:38], -v[105:106]
	s_waitcnt vmcnt(0)
	v_add_f64 v[39:40], v[39:40], -v[175:176]
	buffer_store_dword v37, off, s[16:19], 0 offset:112 ; 4-byte Folded Spill
	buffer_store_dword v38, off, s[16:19], 0 offset:116 ; 4-byte Folded Spill
	buffer_store_dword v39, off, s[16:19], 0 offset:120 ; 4-byte Folded Spill
	buffer_store_dword v40, off, s[16:19], 0 offset:124 ; 4-byte Folded Spill
	ds_read2_b64 v[175:178], v253 offset0:50 offset1:51
	s_clause 0x3
	buffer_load_dword v37, off, s[16:19], 0 offset:96
	buffer_load_dword v38, off, s[16:19], 0 offset:100
	buffer_load_dword v39, off, s[16:19], 0 offset:104
	buffer_load_dword v40, off, s[16:19], 0 offset:108
	s_waitcnt lgkmcnt(0)
	v_mul_f64 v[105:106], v[177:178], v[107:108]
	v_fma_f64 v[105:106], v[175:176], v[173:174], -v[105:106]
	v_mul_f64 v[175:176], v[175:176], v[107:108]
	v_fma_f64 v[175:176], v[177:178], v[173:174], v[175:176]
	s_waitcnt vmcnt(2)
	v_add_f64 v[37:38], v[37:38], -v[105:106]
	s_waitcnt vmcnt(0)
	v_add_f64 v[39:40], v[39:40], -v[175:176]
	buffer_store_dword v37, off, s[16:19], 0 offset:96 ; 4-byte Folded Spill
	buffer_store_dword v38, off, s[16:19], 0 offset:100 ; 4-byte Folded Spill
	buffer_store_dword v39, off, s[16:19], 0 offset:104 ; 4-byte Folded Spill
	buffer_store_dword v40, off, s[16:19], 0 offset:108 ; 4-byte Folded Spill
	ds_read2_b64 v[175:178], v253 offset0:52 offset1:53
	;; [unrolled: 19-line block ×7, first 2 shown]
	s_clause 0x3
	buffer_load_dword v37, off, s[16:19], 0
	buffer_load_dword v38, off, s[16:19], 0 offset:4
	buffer_load_dword v39, off, s[16:19], 0 offset:8
	;; [unrolled: 1-line block ×3, first 2 shown]
	s_waitcnt lgkmcnt(0)
	v_mul_f64 v[105:106], v[177:178], v[107:108]
	v_fma_f64 v[105:106], v[175:176], v[173:174], -v[105:106]
	v_mul_f64 v[175:176], v[175:176], v[107:108]
	v_fma_f64 v[175:176], v[177:178], v[173:174], v[175:176]
	s_waitcnt vmcnt(2)
	v_add_f64 v[37:38], v[37:38], -v[105:106]
	s_waitcnt vmcnt(0)
	v_add_f64 v[39:40], v[39:40], -v[175:176]
	buffer_store_dword v37, off, s[16:19], 0 ; 4-byte Folded Spill
	buffer_store_dword v38, off, s[16:19], 0 offset:4 ; 4-byte Folded Spill
	buffer_store_dword v39, off, s[16:19], 0 offset:8 ; 4-byte Folded Spill
	;; [unrolled: 1-line block ×3, first 2 shown]
	ds_read2_b64 v[175:178], v253 offset0:64 offset1:65
	s_waitcnt lgkmcnt(0)
	v_mul_f64 v[105:106], v[177:178], v[107:108]
	v_fma_f64 v[105:106], v[175:176], v[173:174], -v[105:106]
	v_mul_f64 v[175:176], v[175:176], v[107:108]
	v_add_f64 v[233:234], v[233:234], -v[105:106]
	v_fma_f64 v[175:176], v[177:178], v[173:174], v[175:176]
	v_add_f64 v[235:236], v[235:236], -v[175:176]
	ds_read2_b64 v[175:178], v253 offset0:66 offset1:67
	s_waitcnt lgkmcnt(0)
	v_mul_f64 v[105:106], v[177:178], v[107:108]
	v_fma_f64 v[105:106], v[175:176], v[173:174], -v[105:106]
	v_mul_f64 v[175:176], v[175:176], v[107:108]
	v_add_f64 v[213:214], v[213:214], -v[105:106]
	v_fma_f64 v[175:176], v[177:178], v[173:174], v[175:176]
	v_add_f64 v[215:216], v[215:216], -v[175:176]
	;; [unrolled: 8-line block ×10, first 2 shown]
	ds_read2_b64 v[175:178], v253 offset0:84 offset1:85
	s_waitcnt lgkmcnt(0)
	v_mul_f64 v[105:106], v[177:178], v[107:108]
	v_fma_f64 v[105:106], v[175:176], v[173:174], -v[105:106]
	v_mul_f64 v[175:176], v[175:176], v[107:108]
	v_add_f64 v[1:2], v[1:2], -v[105:106]
	v_fma_f64 v[175:176], v[177:178], v[173:174], v[175:176]
	v_mov_b32_e32 v105, v173
	v_mov_b32_e32 v106, v174
	v_add_f64 v[3:4], v[3:4], -v[175:176]
.LBB85_154:
	s_or_b32 exec_lo, exec_lo, s1
	s_mov_b32 s2, exec_lo
	s_waitcnt lgkmcnt(0)
	s_waitcnt_vscnt null, 0x0
	s_barrier
	buffer_gl0_inv
	v_cmpx_eq_u32_e32 17, v0
	s_cbranch_execz .LBB85_161
; %bb.155:
	ds_write2_b64 v255, v[101:102], v[103:104] offset1:1
	ds_write2_b64 v253, v[97:98], v[99:100] offset0:36 offset1:37
	ds_write2_b64 v253, v[93:94], v[95:96] offset0:38 offset1:39
	;; [unrolled: 1-line block ×6, first 2 shown]
	s_clause 0x3
	buffer_load_dword v37, off, s[16:19], 0 offset:112
	buffer_load_dword v38, off, s[16:19], 0 offset:116
	buffer_load_dword v39, off, s[16:19], 0 offset:120
	buffer_load_dword v40, off, s[16:19], 0 offset:124
	s_waitcnt vmcnt(0)
	ds_write2_b64 v253, v[37:38], v[39:40] offset0:48 offset1:49
	s_clause 0x3
	buffer_load_dword v37, off, s[16:19], 0 offset:96
	buffer_load_dword v38, off, s[16:19], 0 offset:100
	buffer_load_dword v39, off, s[16:19], 0 offset:104
	buffer_load_dword v40, off, s[16:19], 0 offset:108
	s_waitcnt vmcnt(0)
	ds_write2_b64 v253, v[37:38], v[39:40] offset0:50 offset1:51
	;; [unrolled: 7-line block ×7, first 2 shown]
	s_clause 0x3
	buffer_load_dword v37, off, s[16:19], 0
	buffer_load_dword v38, off, s[16:19], 0 offset:4
	buffer_load_dword v39, off, s[16:19], 0 offset:8
	buffer_load_dword v40, off, s[16:19], 0 offset:12
	s_waitcnt vmcnt(0)
	ds_write2_b64 v253, v[37:38], v[39:40] offset0:62 offset1:63
	ds_write2_b64 v253, v[233:234], v[235:236] offset0:64 offset1:65
	;; [unrolled: 1-line block ×12, first 2 shown]
	ds_read2_b64 v[173:176], v255 offset1:1
	s_waitcnt lgkmcnt(0)
	v_cmp_neq_f64_e32 vcc_lo, 0, v[173:174]
	v_cmp_neq_f64_e64 s1, 0, v[175:176]
	s_or_b32 s1, vcc_lo, s1
	s_and_b32 exec_lo, exec_lo, s1
	s_cbranch_execz .LBB85_161
; %bb.156:
	v_cmp_ngt_f64_e64 s1, |v[173:174]|, |v[175:176]|
                                        ; implicit-def: $vgpr177_vgpr178
	s_and_saveexec_b32 s3, s1
	s_xor_b32 s1, exec_lo, s3
                                        ; implicit-def: $vgpr179_vgpr180
	s_cbranch_execz .LBB85_158
; %bb.157:
	v_div_scale_f64 v[177:178], null, v[175:176], v[175:176], v[173:174]
	v_div_scale_f64 v[183:184], vcc_lo, v[173:174], v[175:176], v[173:174]
	v_rcp_f64_e32 v[179:180], v[177:178]
	v_fma_f64 v[181:182], -v[177:178], v[179:180], 1.0
	v_fma_f64 v[179:180], v[179:180], v[181:182], v[179:180]
	v_fma_f64 v[181:182], -v[177:178], v[179:180], 1.0
	v_fma_f64 v[179:180], v[179:180], v[181:182], v[179:180]
	v_mul_f64 v[181:182], v[183:184], v[179:180]
	v_fma_f64 v[177:178], -v[177:178], v[181:182], v[183:184]
	v_div_fmas_f64 v[177:178], v[177:178], v[179:180], v[181:182]
	v_div_fixup_f64 v[177:178], v[177:178], v[175:176], v[173:174]
	v_fma_f64 v[173:174], v[173:174], v[177:178], v[175:176]
	v_div_scale_f64 v[175:176], null, v[173:174], v[173:174], 1.0
	v_rcp_f64_e32 v[179:180], v[175:176]
	v_fma_f64 v[181:182], -v[175:176], v[179:180], 1.0
	v_fma_f64 v[179:180], v[179:180], v[181:182], v[179:180]
	v_fma_f64 v[181:182], -v[175:176], v[179:180], 1.0
	v_fma_f64 v[179:180], v[179:180], v[181:182], v[179:180]
	v_div_scale_f64 v[181:182], vcc_lo, 1.0, v[173:174], 1.0
	v_mul_f64 v[183:184], v[181:182], v[179:180]
	v_fma_f64 v[175:176], -v[175:176], v[183:184], v[181:182]
	v_div_fmas_f64 v[175:176], v[175:176], v[179:180], v[183:184]
	v_div_fixup_f64 v[179:180], v[175:176], v[173:174], 1.0
                                        ; implicit-def: $vgpr173_vgpr174
	v_mul_f64 v[177:178], v[177:178], v[179:180]
	v_xor_b32_e32 v180, 0x80000000, v180
.LBB85_158:
	s_andn2_saveexec_b32 s1, s1
	s_cbranch_execz .LBB85_160
; %bb.159:
	v_div_scale_f64 v[177:178], null, v[173:174], v[173:174], v[175:176]
	v_div_scale_f64 v[183:184], vcc_lo, v[175:176], v[173:174], v[175:176]
	v_rcp_f64_e32 v[179:180], v[177:178]
	v_fma_f64 v[181:182], -v[177:178], v[179:180], 1.0
	v_fma_f64 v[179:180], v[179:180], v[181:182], v[179:180]
	v_fma_f64 v[181:182], -v[177:178], v[179:180], 1.0
	v_fma_f64 v[179:180], v[179:180], v[181:182], v[179:180]
	v_mul_f64 v[181:182], v[183:184], v[179:180]
	v_fma_f64 v[177:178], -v[177:178], v[181:182], v[183:184]
	v_div_fmas_f64 v[177:178], v[177:178], v[179:180], v[181:182]
	v_div_fixup_f64 v[179:180], v[177:178], v[173:174], v[175:176]
	v_fma_f64 v[173:174], v[175:176], v[179:180], v[173:174]
	v_div_scale_f64 v[175:176], null, v[173:174], v[173:174], 1.0
	v_rcp_f64_e32 v[177:178], v[175:176]
	v_fma_f64 v[181:182], -v[175:176], v[177:178], 1.0
	v_fma_f64 v[177:178], v[177:178], v[181:182], v[177:178]
	v_fma_f64 v[181:182], -v[175:176], v[177:178], 1.0
	v_fma_f64 v[177:178], v[177:178], v[181:182], v[177:178]
	v_div_scale_f64 v[181:182], vcc_lo, 1.0, v[173:174], 1.0
	v_mul_f64 v[183:184], v[181:182], v[177:178]
	v_fma_f64 v[175:176], -v[175:176], v[183:184], v[181:182]
	v_div_fmas_f64 v[175:176], v[175:176], v[177:178], v[183:184]
	v_div_fixup_f64 v[177:178], v[175:176], v[173:174], 1.0
	v_mul_f64 v[179:180], v[179:180], -v[177:178]
.LBB85_160:
	s_or_b32 exec_lo, exec_lo, s1
	ds_write2_b64 v255, v[177:178], v[179:180] offset1:1
.LBB85_161:
	s_or_b32 exec_lo, exec_lo, s2
	s_waitcnt lgkmcnt(0)
	s_barrier
	buffer_gl0_inv
	ds_read2_b64 v[37:40], v255 offset1:1
	s_mov_b32 s1, exec_lo
	s_waitcnt lgkmcnt(0)
	buffer_store_dword v37, off, s[16:19], 0 offset:616 ; 4-byte Folded Spill
	buffer_store_dword v38, off, s[16:19], 0 offset:620 ; 4-byte Folded Spill
	;; [unrolled: 1-line block ×4, first 2 shown]
	v_cmpx_lt_u32_e32 17, v0
	s_cbranch_execz .LBB85_163
; %bb.162:
	s_clause 0x3
	buffer_load_dword v37, off, s[16:19], 0 offset:616
	buffer_load_dword v38, off, s[16:19], 0 offset:620
	;; [unrolled: 1-line block ×4, first 2 shown]
	ds_read2_b64 v[175:178], v253 offset0:36 offset1:37
	s_waitcnt vmcnt(0)
	v_mul_f64 v[173:174], v[39:40], v[103:104]
	v_mul_f64 v[103:104], v[37:38], v[103:104]
	v_fma_f64 v[173:174], v[37:38], v[101:102], -v[173:174]
	v_fma_f64 v[103:104], v[39:40], v[101:102], v[103:104]
	s_waitcnt lgkmcnt(0)
	v_mul_f64 v[101:102], v[177:178], v[103:104]
	v_fma_f64 v[101:102], v[175:176], v[173:174], -v[101:102]
	v_mul_f64 v[175:176], v[175:176], v[103:104]
	v_add_f64 v[97:98], v[97:98], -v[101:102]
	v_fma_f64 v[175:176], v[177:178], v[173:174], v[175:176]
	v_add_f64 v[99:100], v[99:100], -v[175:176]
	ds_read2_b64 v[175:178], v253 offset0:38 offset1:39
	s_waitcnt lgkmcnt(0)
	v_mul_f64 v[101:102], v[177:178], v[103:104]
	v_fma_f64 v[101:102], v[175:176], v[173:174], -v[101:102]
	v_mul_f64 v[175:176], v[175:176], v[103:104]
	v_add_f64 v[93:94], v[93:94], -v[101:102]
	v_fma_f64 v[175:176], v[177:178], v[173:174], v[175:176]
	v_add_f64 v[95:96], v[95:96], -v[175:176]
	ds_read2_b64 v[175:178], v253 offset0:40 offset1:41
	s_waitcnt lgkmcnt(0)
	v_mul_f64 v[101:102], v[177:178], v[103:104]
	v_fma_f64 v[101:102], v[175:176], v[173:174], -v[101:102]
	v_mul_f64 v[175:176], v[175:176], v[103:104]
	v_add_f64 v[89:90], v[89:90], -v[101:102]
	v_fma_f64 v[175:176], v[177:178], v[173:174], v[175:176]
	v_add_f64 v[91:92], v[91:92], -v[175:176]
	ds_read2_b64 v[175:178], v253 offset0:42 offset1:43
	s_waitcnt lgkmcnt(0)
	v_mul_f64 v[101:102], v[177:178], v[103:104]
	v_fma_f64 v[101:102], v[175:176], v[173:174], -v[101:102]
	v_mul_f64 v[175:176], v[175:176], v[103:104]
	v_add_f64 v[85:86], v[85:86], -v[101:102]
	v_fma_f64 v[175:176], v[177:178], v[173:174], v[175:176]
	v_add_f64 v[87:88], v[87:88], -v[175:176]
	ds_read2_b64 v[175:178], v253 offset0:44 offset1:45
	s_waitcnt lgkmcnt(0)
	v_mul_f64 v[101:102], v[177:178], v[103:104]
	v_fma_f64 v[101:102], v[175:176], v[173:174], -v[101:102]
	v_mul_f64 v[175:176], v[175:176], v[103:104]
	v_add_f64 v[81:82], v[81:82], -v[101:102]
	v_fma_f64 v[175:176], v[177:178], v[173:174], v[175:176]
	v_add_f64 v[83:84], v[83:84], -v[175:176]
	ds_read2_b64 v[175:178], v253 offset0:46 offset1:47
	s_waitcnt lgkmcnt(0)
	v_mul_f64 v[101:102], v[177:178], v[103:104]
	v_fma_f64 v[101:102], v[175:176], v[173:174], -v[101:102]
	v_mul_f64 v[175:176], v[175:176], v[103:104]
	v_add_f64 v[77:78], v[77:78], -v[101:102]
	v_fma_f64 v[175:176], v[177:178], v[173:174], v[175:176]
	v_add_f64 v[79:80], v[79:80], -v[175:176]
	ds_read2_b64 v[175:178], v253 offset0:48 offset1:49
	s_clause 0x3
	buffer_load_dword v37, off, s[16:19], 0 offset:112
	buffer_load_dword v38, off, s[16:19], 0 offset:116
	buffer_load_dword v39, off, s[16:19], 0 offset:120
	buffer_load_dword v40, off, s[16:19], 0 offset:124
	s_waitcnt lgkmcnt(0)
	v_mul_f64 v[101:102], v[177:178], v[103:104]
	v_fma_f64 v[101:102], v[175:176], v[173:174], -v[101:102]
	v_mul_f64 v[175:176], v[175:176], v[103:104]
	v_fma_f64 v[175:176], v[177:178], v[173:174], v[175:176]
	s_waitcnt vmcnt(2)
	v_add_f64 v[37:38], v[37:38], -v[101:102]
	s_waitcnt vmcnt(0)
	v_add_f64 v[39:40], v[39:40], -v[175:176]
	buffer_store_dword v37, off, s[16:19], 0 offset:112 ; 4-byte Folded Spill
	buffer_store_dword v38, off, s[16:19], 0 offset:116 ; 4-byte Folded Spill
	buffer_store_dword v39, off, s[16:19], 0 offset:120 ; 4-byte Folded Spill
	buffer_store_dword v40, off, s[16:19], 0 offset:124 ; 4-byte Folded Spill
	ds_read2_b64 v[175:178], v253 offset0:50 offset1:51
	s_clause 0x3
	buffer_load_dword v37, off, s[16:19], 0 offset:96
	buffer_load_dword v38, off, s[16:19], 0 offset:100
	buffer_load_dword v39, off, s[16:19], 0 offset:104
	buffer_load_dword v40, off, s[16:19], 0 offset:108
	s_waitcnt lgkmcnt(0)
	v_mul_f64 v[101:102], v[177:178], v[103:104]
	v_fma_f64 v[101:102], v[175:176], v[173:174], -v[101:102]
	v_mul_f64 v[175:176], v[175:176], v[103:104]
	v_fma_f64 v[175:176], v[177:178], v[173:174], v[175:176]
	s_waitcnt vmcnt(2)
	v_add_f64 v[37:38], v[37:38], -v[101:102]
	s_waitcnt vmcnt(0)
	v_add_f64 v[39:40], v[39:40], -v[175:176]
	buffer_store_dword v37, off, s[16:19], 0 offset:96 ; 4-byte Folded Spill
	buffer_store_dword v38, off, s[16:19], 0 offset:100 ; 4-byte Folded Spill
	buffer_store_dword v39, off, s[16:19], 0 offset:104 ; 4-byte Folded Spill
	buffer_store_dword v40, off, s[16:19], 0 offset:108 ; 4-byte Folded Spill
	ds_read2_b64 v[175:178], v253 offset0:52 offset1:53
	;; [unrolled: 19-line block ×7, first 2 shown]
	s_clause 0x3
	buffer_load_dword v37, off, s[16:19], 0
	buffer_load_dword v38, off, s[16:19], 0 offset:4
	buffer_load_dword v39, off, s[16:19], 0 offset:8
	;; [unrolled: 1-line block ×3, first 2 shown]
	s_waitcnt lgkmcnt(0)
	v_mul_f64 v[101:102], v[177:178], v[103:104]
	v_fma_f64 v[101:102], v[175:176], v[173:174], -v[101:102]
	v_mul_f64 v[175:176], v[175:176], v[103:104]
	v_fma_f64 v[175:176], v[177:178], v[173:174], v[175:176]
	s_waitcnt vmcnt(2)
	v_add_f64 v[37:38], v[37:38], -v[101:102]
	s_waitcnt vmcnt(0)
	v_add_f64 v[39:40], v[39:40], -v[175:176]
	buffer_store_dword v37, off, s[16:19], 0 ; 4-byte Folded Spill
	buffer_store_dword v38, off, s[16:19], 0 offset:4 ; 4-byte Folded Spill
	buffer_store_dword v39, off, s[16:19], 0 offset:8 ; 4-byte Folded Spill
	;; [unrolled: 1-line block ×3, first 2 shown]
	ds_read2_b64 v[175:178], v253 offset0:64 offset1:65
	s_waitcnt lgkmcnt(0)
	v_mul_f64 v[101:102], v[177:178], v[103:104]
	v_fma_f64 v[101:102], v[175:176], v[173:174], -v[101:102]
	v_mul_f64 v[175:176], v[175:176], v[103:104]
	v_add_f64 v[233:234], v[233:234], -v[101:102]
	v_fma_f64 v[175:176], v[177:178], v[173:174], v[175:176]
	v_add_f64 v[235:236], v[235:236], -v[175:176]
	ds_read2_b64 v[175:178], v253 offset0:66 offset1:67
	s_waitcnt lgkmcnt(0)
	v_mul_f64 v[101:102], v[177:178], v[103:104]
	v_fma_f64 v[101:102], v[175:176], v[173:174], -v[101:102]
	v_mul_f64 v[175:176], v[175:176], v[103:104]
	v_add_f64 v[213:214], v[213:214], -v[101:102]
	v_fma_f64 v[175:176], v[177:178], v[173:174], v[175:176]
	v_add_f64 v[215:216], v[215:216], -v[175:176]
	;; [unrolled: 8-line block ×10, first 2 shown]
	ds_read2_b64 v[175:178], v253 offset0:84 offset1:85
	s_waitcnt lgkmcnt(0)
	v_mul_f64 v[101:102], v[177:178], v[103:104]
	v_fma_f64 v[101:102], v[175:176], v[173:174], -v[101:102]
	v_mul_f64 v[175:176], v[175:176], v[103:104]
	v_add_f64 v[1:2], v[1:2], -v[101:102]
	v_fma_f64 v[175:176], v[177:178], v[173:174], v[175:176]
	v_mov_b32_e32 v101, v173
	v_mov_b32_e32 v102, v174
	v_add_f64 v[3:4], v[3:4], -v[175:176]
.LBB85_163:
	s_or_b32 exec_lo, exec_lo, s1
	s_mov_b32 s2, exec_lo
	s_waitcnt_vscnt null, 0x0
	s_barrier
	buffer_gl0_inv
	v_cmpx_eq_u32_e32 18, v0
	s_cbranch_execz .LBB85_170
; %bb.164:
	ds_write2_b64 v255, v[97:98], v[99:100] offset1:1
	ds_write2_b64 v253, v[93:94], v[95:96] offset0:38 offset1:39
	ds_write2_b64 v253, v[89:90], v[91:92] offset0:40 offset1:41
	;; [unrolled: 1-line block ×5, first 2 shown]
	s_clause 0x3
	buffer_load_dword v37, off, s[16:19], 0 offset:112
	buffer_load_dword v38, off, s[16:19], 0 offset:116
	buffer_load_dword v39, off, s[16:19], 0 offset:120
	buffer_load_dword v40, off, s[16:19], 0 offset:124
	s_waitcnt vmcnt(0)
	ds_write2_b64 v253, v[37:38], v[39:40] offset0:48 offset1:49
	s_clause 0x3
	buffer_load_dword v37, off, s[16:19], 0 offset:96
	buffer_load_dword v38, off, s[16:19], 0 offset:100
	buffer_load_dword v39, off, s[16:19], 0 offset:104
	buffer_load_dword v40, off, s[16:19], 0 offset:108
	s_waitcnt vmcnt(0)
	ds_write2_b64 v253, v[37:38], v[39:40] offset0:50 offset1:51
	;; [unrolled: 7-line block ×7, first 2 shown]
	s_clause 0x3
	buffer_load_dword v37, off, s[16:19], 0
	buffer_load_dword v38, off, s[16:19], 0 offset:4
	buffer_load_dword v39, off, s[16:19], 0 offset:8
	;; [unrolled: 1-line block ×3, first 2 shown]
	s_waitcnt vmcnt(0)
	ds_write2_b64 v253, v[37:38], v[39:40] offset0:62 offset1:63
	ds_write2_b64 v253, v[233:234], v[235:236] offset0:64 offset1:65
	;; [unrolled: 1-line block ×12, first 2 shown]
	ds_read2_b64 v[173:176], v255 offset1:1
	s_waitcnt lgkmcnt(0)
	v_cmp_neq_f64_e32 vcc_lo, 0, v[173:174]
	v_cmp_neq_f64_e64 s1, 0, v[175:176]
	s_or_b32 s1, vcc_lo, s1
	s_and_b32 exec_lo, exec_lo, s1
	s_cbranch_execz .LBB85_170
; %bb.165:
	v_cmp_ngt_f64_e64 s1, |v[173:174]|, |v[175:176]|
                                        ; implicit-def: $vgpr177_vgpr178
	s_and_saveexec_b32 s3, s1
	s_xor_b32 s1, exec_lo, s3
                                        ; implicit-def: $vgpr179_vgpr180
	s_cbranch_execz .LBB85_167
; %bb.166:
	v_div_scale_f64 v[177:178], null, v[175:176], v[175:176], v[173:174]
	v_div_scale_f64 v[183:184], vcc_lo, v[173:174], v[175:176], v[173:174]
	v_rcp_f64_e32 v[179:180], v[177:178]
	v_fma_f64 v[181:182], -v[177:178], v[179:180], 1.0
	v_fma_f64 v[179:180], v[179:180], v[181:182], v[179:180]
	v_fma_f64 v[181:182], -v[177:178], v[179:180], 1.0
	v_fma_f64 v[179:180], v[179:180], v[181:182], v[179:180]
	v_mul_f64 v[181:182], v[183:184], v[179:180]
	v_fma_f64 v[177:178], -v[177:178], v[181:182], v[183:184]
	v_div_fmas_f64 v[177:178], v[177:178], v[179:180], v[181:182]
	v_div_fixup_f64 v[177:178], v[177:178], v[175:176], v[173:174]
	v_fma_f64 v[173:174], v[173:174], v[177:178], v[175:176]
	v_div_scale_f64 v[175:176], null, v[173:174], v[173:174], 1.0
	v_rcp_f64_e32 v[179:180], v[175:176]
	v_fma_f64 v[181:182], -v[175:176], v[179:180], 1.0
	v_fma_f64 v[179:180], v[179:180], v[181:182], v[179:180]
	v_fma_f64 v[181:182], -v[175:176], v[179:180], 1.0
	v_fma_f64 v[179:180], v[179:180], v[181:182], v[179:180]
	v_div_scale_f64 v[181:182], vcc_lo, 1.0, v[173:174], 1.0
	v_mul_f64 v[183:184], v[181:182], v[179:180]
	v_fma_f64 v[175:176], -v[175:176], v[183:184], v[181:182]
	v_div_fmas_f64 v[175:176], v[175:176], v[179:180], v[183:184]
	v_div_fixup_f64 v[179:180], v[175:176], v[173:174], 1.0
                                        ; implicit-def: $vgpr173_vgpr174
	v_mul_f64 v[177:178], v[177:178], v[179:180]
	v_xor_b32_e32 v180, 0x80000000, v180
.LBB85_167:
	s_andn2_saveexec_b32 s1, s1
	s_cbranch_execz .LBB85_169
; %bb.168:
	v_div_scale_f64 v[177:178], null, v[173:174], v[173:174], v[175:176]
	v_div_scale_f64 v[183:184], vcc_lo, v[175:176], v[173:174], v[175:176]
	v_rcp_f64_e32 v[179:180], v[177:178]
	v_fma_f64 v[181:182], -v[177:178], v[179:180], 1.0
	v_fma_f64 v[179:180], v[179:180], v[181:182], v[179:180]
	v_fma_f64 v[181:182], -v[177:178], v[179:180], 1.0
	v_fma_f64 v[179:180], v[179:180], v[181:182], v[179:180]
	v_mul_f64 v[181:182], v[183:184], v[179:180]
	v_fma_f64 v[177:178], -v[177:178], v[181:182], v[183:184]
	v_div_fmas_f64 v[177:178], v[177:178], v[179:180], v[181:182]
	v_div_fixup_f64 v[179:180], v[177:178], v[173:174], v[175:176]
	v_fma_f64 v[173:174], v[175:176], v[179:180], v[173:174]
	v_div_scale_f64 v[175:176], null, v[173:174], v[173:174], 1.0
	v_rcp_f64_e32 v[177:178], v[175:176]
	v_fma_f64 v[181:182], -v[175:176], v[177:178], 1.0
	v_fma_f64 v[177:178], v[177:178], v[181:182], v[177:178]
	v_fma_f64 v[181:182], -v[175:176], v[177:178], 1.0
	v_fma_f64 v[177:178], v[177:178], v[181:182], v[177:178]
	v_div_scale_f64 v[181:182], vcc_lo, 1.0, v[173:174], 1.0
	v_mul_f64 v[183:184], v[181:182], v[177:178]
	v_fma_f64 v[175:176], -v[175:176], v[183:184], v[181:182]
	v_div_fmas_f64 v[175:176], v[175:176], v[177:178], v[183:184]
	v_div_fixup_f64 v[177:178], v[175:176], v[173:174], 1.0
	v_mul_f64 v[179:180], v[179:180], -v[177:178]
.LBB85_169:
	s_or_b32 exec_lo, exec_lo, s1
	ds_write2_b64 v255, v[177:178], v[179:180] offset1:1
.LBB85_170:
	s_or_b32 exec_lo, exec_lo, s2
	s_waitcnt lgkmcnt(0)
	s_barrier
	buffer_gl0_inv
	ds_read2_b64 v[237:240], v255 offset1:1
	s_mov_b32 s1, exec_lo
	v_cmpx_lt_u32_e32 18, v0
	s_cbranch_execz .LBB85_172
; %bb.171:
	s_waitcnt lgkmcnt(0)
	v_mul_f64 v[173:174], v[239:240], v[99:100]
	v_mul_f64 v[99:100], v[237:238], v[99:100]
	ds_read2_b64 v[175:178], v253 offset0:38 offset1:39
	v_fma_f64 v[173:174], v[237:238], v[97:98], -v[173:174]
	v_fma_f64 v[99:100], v[239:240], v[97:98], v[99:100]
	s_waitcnt lgkmcnt(0)
	v_mul_f64 v[97:98], v[177:178], v[99:100]
	v_fma_f64 v[97:98], v[175:176], v[173:174], -v[97:98]
	v_mul_f64 v[175:176], v[175:176], v[99:100]
	v_add_f64 v[93:94], v[93:94], -v[97:98]
	v_fma_f64 v[175:176], v[177:178], v[173:174], v[175:176]
	v_add_f64 v[95:96], v[95:96], -v[175:176]
	ds_read2_b64 v[175:178], v253 offset0:40 offset1:41
	s_waitcnt lgkmcnt(0)
	v_mul_f64 v[97:98], v[177:178], v[99:100]
	v_fma_f64 v[97:98], v[175:176], v[173:174], -v[97:98]
	v_mul_f64 v[175:176], v[175:176], v[99:100]
	v_add_f64 v[89:90], v[89:90], -v[97:98]
	v_fma_f64 v[175:176], v[177:178], v[173:174], v[175:176]
	v_add_f64 v[91:92], v[91:92], -v[175:176]
	ds_read2_b64 v[175:178], v253 offset0:42 offset1:43
	;; [unrolled: 8-line block ×5, first 2 shown]
	s_clause 0x3
	buffer_load_dword v37, off, s[16:19], 0 offset:112
	buffer_load_dword v38, off, s[16:19], 0 offset:116
	buffer_load_dword v39, off, s[16:19], 0 offset:120
	buffer_load_dword v40, off, s[16:19], 0 offset:124
	s_waitcnt lgkmcnt(0)
	v_mul_f64 v[97:98], v[177:178], v[99:100]
	v_fma_f64 v[97:98], v[175:176], v[173:174], -v[97:98]
	v_mul_f64 v[175:176], v[175:176], v[99:100]
	v_fma_f64 v[175:176], v[177:178], v[173:174], v[175:176]
	s_waitcnt vmcnt(2)
	v_add_f64 v[37:38], v[37:38], -v[97:98]
	s_waitcnt vmcnt(0)
	v_add_f64 v[39:40], v[39:40], -v[175:176]
	buffer_store_dword v37, off, s[16:19], 0 offset:112 ; 4-byte Folded Spill
	buffer_store_dword v38, off, s[16:19], 0 offset:116 ; 4-byte Folded Spill
	buffer_store_dword v39, off, s[16:19], 0 offset:120 ; 4-byte Folded Spill
	buffer_store_dword v40, off, s[16:19], 0 offset:124 ; 4-byte Folded Spill
	ds_read2_b64 v[175:178], v253 offset0:50 offset1:51
	s_clause 0x3
	buffer_load_dword v37, off, s[16:19], 0 offset:96
	buffer_load_dword v38, off, s[16:19], 0 offset:100
	buffer_load_dword v39, off, s[16:19], 0 offset:104
	buffer_load_dword v40, off, s[16:19], 0 offset:108
	s_waitcnt lgkmcnt(0)
	v_mul_f64 v[97:98], v[177:178], v[99:100]
	v_fma_f64 v[97:98], v[175:176], v[173:174], -v[97:98]
	v_mul_f64 v[175:176], v[175:176], v[99:100]
	v_fma_f64 v[175:176], v[177:178], v[173:174], v[175:176]
	s_waitcnt vmcnt(2)
	v_add_f64 v[37:38], v[37:38], -v[97:98]
	s_waitcnt vmcnt(0)
	v_add_f64 v[39:40], v[39:40], -v[175:176]
	buffer_store_dword v37, off, s[16:19], 0 offset:96 ; 4-byte Folded Spill
	buffer_store_dword v38, off, s[16:19], 0 offset:100 ; 4-byte Folded Spill
	buffer_store_dword v39, off, s[16:19], 0 offset:104 ; 4-byte Folded Spill
	buffer_store_dword v40, off, s[16:19], 0 offset:108 ; 4-byte Folded Spill
	ds_read2_b64 v[175:178], v253 offset0:52 offset1:53
	;; [unrolled: 19-line block ×7, first 2 shown]
	s_clause 0x3
	buffer_load_dword v37, off, s[16:19], 0
	buffer_load_dword v38, off, s[16:19], 0 offset:4
	buffer_load_dword v39, off, s[16:19], 0 offset:8
	;; [unrolled: 1-line block ×3, first 2 shown]
	s_waitcnt lgkmcnt(0)
	v_mul_f64 v[97:98], v[177:178], v[99:100]
	v_fma_f64 v[97:98], v[175:176], v[173:174], -v[97:98]
	v_mul_f64 v[175:176], v[175:176], v[99:100]
	v_fma_f64 v[175:176], v[177:178], v[173:174], v[175:176]
	s_waitcnt vmcnt(2)
	v_add_f64 v[37:38], v[37:38], -v[97:98]
	s_waitcnt vmcnt(0)
	v_add_f64 v[39:40], v[39:40], -v[175:176]
	buffer_store_dword v37, off, s[16:19], 0 ; 4-byte Folded Spill
	buffer_store_dword v38, off, s[16:19], 0 offset:4 ; 4-byte Folded Spill
	buffer_store_dword v39, off, s[16:19], 0 offset:8 ; 4-byte Folded Spill
	;; [unrolled: 1-line block ×3, first 2 shown]
	ds_read2_b64 v[175:178], v253 offset0:64 offset1:65
	s_waitcnt lgkmcnt(0)
	v_mul_f64 v[97:98], v[177:178], v[99:100]
	v_fma_f64 v[97:98], v[175:176], v[173:174], -v[97:98]
	v_mul_f64 v[175:176], v[175:176], v[99:100]
	v_add_f64 v[233:234], v[233:234], -v[97:98]
	v_fma_f64 v[175:176], v[177:178], v[173:174], v[175:176]
	v_add_f64 v[235:236], v[235:236], -v[175:176]
	ds_read2_b64 v[175:178], v253 offset0:66 offset1:67
	s_waitcnt lgkmcnt(0)
	v_mul_f64 v[97:98], v[177:178], v[99:100]
	v_fma_f64 v[97:98], v[175:176], v[173:174], -v[97:98]
	v_mul_f64 v[175:176], v[175:176], v[99:100]
	v_add_f64 v[213:214], v[213:214], -v[97:98]
	v_fma_f64 v[175:176], v[177:178], v[173:174], v[175:176]
	v_add_f64 v[215:216], v[215:216], -v[175:176]
	;; [unrolled: 8-line block ×10, first 2 shown]
	ds_read2_b64 v[175:178], v253 offset0:84 offset1:85
	s_waitcnt lgkmcnt(0)
	v_mul_f64 v[97:98], v[177:178], v[99:100]
	v_fma_f64 v[97:98], v[175:176], v[173:174], -v[97:98]
	v_mul_f64 v[175:176], v[175:176], v[99:100]
	v_add_f64 v[1:2], v[1:2], -v[97:98]
	v_fma_f64 v[175:176], v[177:178], v[173:174], v[175:176]
	v_mov_b32_e32 v97, v173
	v_mov_b32_e32 v98, v174
	v_add_f64 v[3:4], v[3:4], -v[175:176]
.LBB85_172:
	s_or_b32 exec_lo, exec_lo, s1
	s_mov_b32 s2, exec_lo
	s_waitcnt lgkmcnt(0)
	s_waitcnt_vscnt null, 0x0
	s_barrier
	buffer_gl0_inv
	v_cmpx_eq_u32_e32 19, v0
	s_cbranch_execz .LBB85_179
; %bb.173:
	ds_write2_b64 v255, v[93:94], v[95:96] offset1:1
	ds_write2_b64 v253, v[89:90], v[91:92] offset0:40 offset1:41
	ds_write2_b64 v253, v[85:86], v[87:88] offset0:42 offset1:43
	;; [unrolled: 1-line block ×4, first 2 shown]
	s_clause 0x3
	buffer_load_dword v37, off, s[16:19], 0 offset:112
	buffer_load_dword v38, off, s[16:19], 0 offset:116
	buffer_load_dword v39, off, s[16:19], 0 offset:120
	buffer_load_dword v40, off, s[16:19], 0 offset:124
	s_waitcnt vmcnt(0)
	ds_write2_b64 v253, v[37:38], v[39:40] offset0:48 offset1:49
	s_clause 0x3
	buffer_load_dword v37, off, s[16:19], 0 offset:96
	buffer_load_dword v38, off, s[16:19], 0 offset:100
	buffer_load_dword v39, off, s[16:19], 0 offset:104
	buffer_load_dword v40, off, s[16:19], 0 offset:108
	s_waitcnt vmcnt(0)
	ds_write2_b64 v253, v[37:38], v[39:40] offset0:50 offset1:51
	;; [unrolled: 7-line block ×7, first 2 shown]
	s_clause 0x3
	buffer_load_dword v37, off, s[16:19], 0
	buffer_load_dword v38, off, s[16:19], 0 offset:4
	buffer_load_dword v39, off, s[16:19], 0 offset:8
	;; [unrolled: 1-line block ×3, first 2 shown]
	s_waitcnt vmcnt(0)
	ds_write2_b64 v253, v[37:38], v[39:40] offset0:62 offset1:63
	ds_write2_b64 v253, v[233:234], v[235:236] offset0:64 offset1:65
	;; [unrolled: 1-line block ×12, first 2 shown]
	ds_read2_b64 v[173:176], v255 offset1:1
	s_waitcnt lgkmcnt(0)
	v_cmp_neq_f64_e32 vcc_lo, 0, v[173:174]
	v_cmp_neq_f64_e64 s1, 0, v[175:176]
	s_or_b32 s1, vcc_lo, s1
	s_and_b32 exec_lo, exec_lo, s1
	s_cbranch_execz .LBB85_179
; %bb.174:
	v_cmp_ngt_f64_e64 s1, |v[173:174]|, |v[175:176]|
                                        ; implicit-def: $vgpr177_vgpr178
	s_and_saveexec_b32 s3, s1
	s_xor_b32 s1, exec_lo, s3
                                        ; implicit-def: $vgpr179_vgpr180
	s_cbranch_execz .LBB85_176
; %bb.175:
	v_div_scale_f64 v[177:178], null, v[175:176], v[175:176], v[173:174]
	v_div_scale_f64 v[183:184], vcc_lo, v[173:174], v[175:176], v[173:174]
	v_rcp_f64_e32 v[179:180], v[177:178]
	v_fma_f64 v[181:182], -v[177:178], v[179:180], 1.0
	v_fma_f64 v[179:180], v[179:180], v[181:182], v[179:180]
	v_fma_f64 v[181:182], -v[177:178], v[179:180], 1.0
	v_fma_f64 v[179:180], v[179:180], v[181:182], v[179:180]
	v_mul_f64 v[181:182], v[183:184], v[179:180]
	v_fma_f64 v[177:178], -v[177:178], v[181:182], v[183:184]
	v_div_fmas_f64 v[177:178], v[177:178], v[179:180], v[181:182]
	v_div_fixup_f64 v[177:178], v[177:178], v[175:176], v[173:174]
	v_fma_f64 v[173:174], v[173:174], v[177:178], v[175:176]
	v_div_scale_f64 v[175:176], null, v[173:174], v[173:174], 1.0
	v_rcp_f64_e32 v[179:180], v[175:176]
	v_fma_f64 v[181:182], -v[175:176], v[179:180], 1.0
	v_fma_f64 v[179:180], v[179:180], v[181:182], v[179:180]
	v_fma_f64 v[181:182], -v[175:176], v[179:180], 1.0
	v_fma_f64 v[179:180], v[179:180], v[181:182], v[179:180]
	v_div_scale_f64 v[181:182], vcc_lo, 1.0, v[173:174], 1.0
	v_mul_f64 v[183:184], v[181:182], v[179:180]
	v_fma_f64 v[175:176], -v[175:176], v[183:184], v[181:182]
	v_div_fmas_f64 v[175:176], v[175:176], v[179:180], v[183:184]
	v_div_fixup_f64 v[179:180], v[175:176], v[173:174], 1.0
                                        ; implicit-def: $vgpr173_vgpr174
	v_mul_f64 v[177:178], v[177:178], v[179:180]
	v_xor_b32_e32 v180, 0x80000000, v180
.LBB85_176:
	s_andn2_saveexec_b32 s1, s1
	s_cbranch_execz .LBB85_178
; %bb.177:
	v_div_scale_f64 v[177:178], null, v[173:174], v[173:174], v[175:176]
	v_div_scale_f64 v[183:184], vcc_lo, v[175:176], v[173:174], v[175:176]
	v_rcp_f64_e32 v[179:180], v[177:178]
	v_fma_f64 v[181:182], -v[177:178], v[179:180], 1.0
	v_fma_f64 v[179:180], v[179:180], v[181:182], v[179:180]
	v_fma_f64 v[181:182], -v[177:178], v[179:180], 1.0
	v_fma_f64 v[179:180], v[179:180], v[181:182], v[179:180]
	v_mul_f64 v[181:182], v[183:184], v[179:180]
	v_fma_f64 v[177:178], -v[177:178], v[181:182], v[183:184]
	v_div_fmas_f64 v[177:178], v[177:178], v[179:180], v[181:182]
	v_div_fixup_f64 v[179:180], v[177:178], v[173:174], v[175:176]
	v_fma_f64 v[173:174], v[175:176], v[179:180], v[173:174]
	v_div_scale_f64 v[175:176], null, v[173:174], v[173:174], 1.0
	v_rcp_f64_e32 v[177:178], v[175:176]
	v_fma_f64 v[181:182], -v[175:176], v[177:178], 1.0
	v_fma_f64 v[177:178], v[177:178], v[181:182], v[177:178]
	v_fma_f64 v[181:182], -v[175:176], v[177:178], 1.0
	v_fma_f64 v[177:178], v[177:178], v[181:182], v[177:178]
	v_div_scale_f64 v[181:182], vcc_lo, 1.0, v[173:174], 1.0
	v_mul_f64 v[183:184], v[181:182], v[177:178]
	v_fma_f64 v[175:176], -v[175:176], v[183:184], v[181:182]
	v_div_fmas_f64 v[175:176], v[175:176], v[177:178], v[183:184]
	v_div_fixup_f64 v[177:178], v[175:176], v[173:174], 1.0
	v_mul_f64 v[179:180], v[179:180], -v[177:178]
.LBB85_178:
	s_or_b32 exec_lo, exec_lo, s1
	ds_write2_b64 v255, v[177:178], v[179:180] offset1:1
.LBB85_179:
	s_or_b32 exec_lo, exec_lo, s2
	s_waitcnt lgkmcnt(0)
	s_barrier
	buffer_gl0_inv
	ds_read2_b64 v[241:244], v255 offset1:1
	s_mov_b32 s1, exec_lo
	v_cmpx_lt_u32_e32 19, v0
	s_cbranch_execz .LBB85_181
; %bb.180:
	s_waitcnt lgkmcnt(0)
	v_mul_f64 v[173:174], v[243:244], v[95:96]
	v_mul_f64 v[95:96], v[241:242], v[95:96]
	ds_read2_b64 v[175:178], v253 offset0:40 offset1:41
	v_fma_f64 v[173:174], v[241:242], v[93:94], -v[173:174]
	v_fma_f64 v[95:96], v[243:244], v[93:94], v[95:96]
	s_waitcnt lgkmcnt(0)
	v_mul_f64 v[93:94], v[177:178], v[95:96]
	v_fma_f64 v[93:94], v[175:176], v[173:174], -v[93:94]
	v_mul_f64 v[175:176], v[175:176], v[95:96]
	v_add_f64 v[89:90], v[89:90], -v[93:94]
	v_fma_f64 v[175:176], v[177:178], v[173:174], v[175:176]
	v_add_f64 v[91:92], v[91:92], -v[175:176]
	ds_read2_b64 v[175:178], v253 offset0:42 offset1:43
	s_waitcnt lgkmcnt(0)
	v_mul_f64 v[93:94], v[177:178], v[95:96]
	v_fma_f64 v[93:94], v[175:176], v[173:174], -v[93:94]
	v_mul_f64 v[175:176], v[175:176], v[95:96]
	v_add_f64 v[85:86], v[85:86], -v[93:94]
	v_fma_f64 v[175:176], v[177:178], v[173:174], v[175:176]
	v_add_f64 v[87:88], v[87:88], -v[175:176]
	ds_read2_b64 v[175:178], v253 offset0:44 offset1:45
	;; [unrolled: 8-line block ×4, first 2 shown]
	s_clause 0x3
	buffer_load_dword v37, off, s[16:19], 0 offset:112
	buffer_load_dword v38, off, s[16:19], 0 offset:116
	buffer_load_dword v39, off, s[16:19], 0 offset:120
	buffer_load_dword v40, off, s[16:19], 0 offset:124
	s_waitcnt lgkmcnt(0)
	v_mul_f64 v[93:94], v[177:178], v[95:96]
	v_fma_f64 v[93:94], v[175:176], v[173:174], -v[93:94]
	v_mul_f64 v[175:176], v[175:176], v[95:96]
	v_fma_f64 v[175:176], v[177:178], v[173:174], v[175:176]
	s_waitcnt vmcnt(2)
	v_add_f64 v[37:38], v[37:38], -v[93:94]
	s_waitcnt vmcnt(0)
	v_add_f64 v[39:40], v[39:40], -v[175:176]
	buffer_store_dword v37, off, s[16:19], 0 offset:112 ; 4-byte Folded Spill
	buffer_store_dword v38, off, s[16:19], 0 offset:116 ; 4-byte Folded Spill
	buffer_store_dword v39, off, s[16:19], 0 offset:120 ; 4-byte Folded Spill
	buffer_store_dword v40, off, s[16:19], 0 offset:124 ; 4-byte Folded Spill
	ds_read2_b64 v[175:178], v253 offset0:50 offset1:51
	s_clause 0x3
	buffer_load_dword v37, off, s[16:19], 0 offset:96
	buffer_load_dword v38, off, s[16:19], 0 offset:100
	buffer_load_dword v39, off, s[16:19], 0 offset:104
	buffer_load_dword v40, off, s[16:19], 0 offset:108
	s_waitcnt lgkmcnt(0)
	v_mul_f64 v[93:94], v[177:178], v[95:96]
	v_fma_f64 v[93:94], v[175:176], v[173:174], -v[93:94]
	v_mul_f64 v[175:176], v[175:176], v[95:96]
	v_fma_f64 v[175:176], v[177:178], v[173:174], v[175:176]
	s_waitcnt vmcnt(2)
	v_add_f64 v[37:38], v[37:38], -v[93:94]
	s_waitcnt vmcnt(0)
	v_add_f64 v[39:40], v[39:40], -v[175:176]
	buffer_store_dword v37, off, s[16:19], 0 offset:96 ; 4-byte Folded Spill
	buffer_store_dword v38, off, s[16:19], 0 offset:100 ; 4-byte Folded Spill
	buffer_store_dword v39, off, s[16:19], 0 offset:104 ; 4-byte Folded Spill
	buffer_store_dword v40, off, s[16:19], 0 offset:108 ; 4-byte Folded Spill
	ds_read2_b64 v[175:178], v253 offset0:52 offset1:53
	;; [unrolled: 19-line block ×7, first 2 shown]
	s_clause 0x3
	buffer_load_dword v37, off, s[16:19], 0
	buffer_load_dword v38, off, s[16:19], 0 offset:4
	buffer_load_dword v39, off, s[16:19], 0 offset:8
	;; [unrolled: 1-line block ×3, first 2 shown]
	s_waitcnt lgkmcnt(0)
	v_mul_f64 v[93:94], v[177:178], v[95:96]
	v_fma_f64 v[93:94], v[175:176], v[173:174], -v[93:94]
	v_mul_f64 v[175:176], v[175:176], v[95:96]
	v_fma_f64 v[175:176], v[177:178], v[173:174], v[175:176]
	s_waitcnt vmcnt(2)
	v_add_f64 v[37:38], v[37:38], -v[93:94]
	s_waitcnt vmcnt(0)
	v_add_f64 v[39:40], v[39:40], -v[175:176]
	buffer_store_dword v37, off, s[16:19], 0 ; 4-byte Folded Spill
	buffer_store_dword v38, off, s[16:19], 0 offset:4 ; 4-byte Folded Spill
	buffer_store_dword v39, off, s[16:19], 0 offset:8 ; 4-byte Folded Spill
	;; [unrolled: 1-line block ×3, first 2 shown]
	ds_read2_b64 v[175:178], v253 offset0:64 offset1:65
	s_waitcnt lgkmcnt(0)
	v_mul_f64 v[93:94], v[177:178], v[95:96]
	v_fma_f64 v[93:94], v[175:176], v[173:174], -v[93:94]
	v_mul_f64 v[175:176], v[175:176], v[95:96]
	v_add_f64 v[233:234], v[233:234], -v[93:94]
	v_fma_f64 v[175:176], v[177:178], v[173:174], v[175:176]
	v_add_f64 v[235:236], v[235:236], -v[175:176]
	ds_read2_b64 v[175:178], v253 offset0:66 offset1:67
	s_waitcnt lgkmcnt(0)
	v_mul_f64 v[93:94], v[177:178], v[95:96]
	v_fma_f64 v[93:94], v[175:176], v[173:174], -v[93:94]
	v_mul_f64 v[175:176], v[175:176], v[95:96]
	v_add_f64 v[213:214], v[213:214], -v[93:94]
	v_fma_f64 v[175:176], v[177:178], v[173:174], v[175:176]
	v_add_f64 v[215:216], v[215:216], -v[175:176]
	;; [unrolled: 8-line block ×10, first 2 shown]
	ds_read2_b64 v[175:178], v253 offset0:84 offset1:85
	s_waitcnt lgkmcnt(0)
	v_mul_f64 v[93:94], v[177:178], v[95:96]
	v_fma_f64 v[93:94], v[175:176], v[173:174], -v[93:94]
	v_mul_f64 v[175:176], v[175:176], v[95:96]
	v_add_f64 v[1:2], v[1:2], -v[93:94]
	v_fma_f64 v[175:176], v[177:178], v[173:174], v[175:176]
	v_mov_b32_e32 v93, v173
	v_mov_b32_e32 v94, v174
	v_add_f64 v[3:4], v[3:4], -v[175:176]
.LBB85_181:
	s_or_b32 exec_lo, exec_lo, s1
	s_mov_b32 s2, exec_lo
	s_waitcnt lgkmcnt(0)
	s_waitcnt_vscnt null, 0x0
	s_barrier
	buffer_gl0_inv
	v_cmpx_eq_u32_e32 20, v0
	s_cbranch_execz .LBB85_188
; %bb.182:
	ds_write2_b64 v255, v[89:90], v[91:92] offset1:1
	ds_write2_b64 v253, v[85:86], v[87:88] offset0:42 offset1:43
	ds_write2_b64 v253, v[81:82], v[83:84] offset0:44 offset1:45
	;; [unrolled: 1-line block ×3, first 2 shown]
	s_clause 0x3
	buffer_load_dword v37, off, s[16:19], 0 offset:112
	buffer_load_dword v38, off, s[16:19], 0 offset:116
	buffer_load_dword v39, off, s[16:19], 0 offset:120
	buffer_load_dword v40, off, s[16:19], 0 offset:124
	s_waitcnt vmcnt(0)
	ds_write2_b64 v253, v[37:38], v[39:40] offset0:48 offset1:49
	s_clause 0x3
	buffer_load_dword v37, off, s[16:19], 0 offset:96
	buffer_load_dword v38, off, s[16:19], 0 offset:100
	buffer_load_dword v39, off, s[16:19], 0 offset:104
	buffer_load_dword v40, off, s[16:19], 0 offset:108
	s_waitcnt vmcnt(0)
	ds_write2_b64 v253, v[37:38], v[39:40] offset0:50 offset1:51
	;; [unrolled: 7-line block ×7, first 2 shown]
	s_clause 0x3
	buffer_load_dword v37, off, s[16:19], 0
	buffer_load_dword v38, off, s[16:19], 0 offset:4
	buffer_load_dword v39, off, s[16:19], 0 offset:8
	;; [unrolled: 1-line block ×3, first 2 shown]
	s_waitcnt vmcnt(0)
	ds_write2_b64 v253, v[37:38], v[39:40] offset0:62 offset1:63
	ds_write2_b64 v253, v[233:234], v[235:236] offset0:64 offset1:65
	;; [unrolled: 1-line block ×12, first 2 shown]
	ds_read2_b64 v[173:176], v255 offset1:1
	s_waitcnt lgkmcnt(0)
	v_cmp_neq_f64_e32 vcc_lo, 0, v[173:174]
	v_cmp_neq_f64_e64 s1, 0, v[175:176]
	s_or_b32 s1, vcc_lo, s1
	s_and_b32 exec_lo, exec_lo, s1
	s_cbranch_execz .LBB85_188
; %bb.183:
	v_cmp_ngt_f64_e64 s1, |v[173:174]|, |v[175:176]|
                                        ; implicit-def: $vgpr177_vgpr178
	s_and_saveexec_b32 s3, s1
	s_xor_b32 s1, exec_lo, s3
                                        ; implicit-def: $vgpr179_vgpr180
	s_cbranch_execz .LBB85_185
; %bb.184:
	v_div_scale_f64 v[177:178], null, v[175:176], v[175:176], v[173:174]
	v_div_scale_f64 v[183:184], vcc_lo, v[173:174], v[175:176], v[173:174]
	v_rcp_f64_e32 v[179:180], v[177:178]
	v_fma_f64 v[181:182], -v[177:178], v[179:180], 1.0
	v_fma_f64 v[179:180], v[179:180], v[181:182], v[179:180]
	v_fma_f64 v[181:182], -v[177:178], v[179:180], 1.0
	v_fma_f64 v[179:180], v[179:180], v[181:182], v[179:180]
	v_mul_f64 v[181:182], v[183:184], v[179:180]
	v_fma_f64 v[177:178], -v[177:178], v[181:182], v[183:184]
	v_div_fmas_f64 v[177:178], v[177:178], v[179:180], v[181:182]
	v_div_fixup_f64 v[177:178], v[177:178], v[175:176], v[173:174]
	v_fma_f64 v[173:174], v[173:174], v[177:178], v[175:176]
	v_div_scale_f64 v[175:176], null, v[173:174], v[173:174], 1.0
	v_rcp_f64_e32 v[179:180], v[175:176]
	v_fma_f64 v[181:182], -v[175:176], v[179:180], 1.0
	v_fma_f64 v[179:180], v[179:180], v[181:182], v[179:180]
	v_fma_f64 v[181:182], -v[175:176], v[179:180], 1.0
	v_fma_f64 v[179:180], v[179:180], v[181:182], v[179:180]
	v_div_scale_f64 v[181:182], vcc_lo, 1.0, v[173:174], 1.0
	v_mul_f64 v[183:184], v[181:182], v[179:180]
	v_fma_f64 v[175:176], -v[175:176], v[183:184], v[181:182]
	v_div_fmas_f64 v[175:176], v[175:176], v[179:180], v[183:184]
	v_div_fixup_f64 v[179:180], v[175:176], v[173:174], 1.0
                                        ; implicit-def: $vgpr173_vgpr174
	v_mul_f64 v[177:178], v[177:178], v[179:180]
	v_xor_b32_e32 v180, 0x80000000, v180
.LBB85_185:
	s_andn2_saveexec_b32 s1, s1
	s_cbranch_execz .LBB85_187
; %bb.186:
	v_div_scale_f64 v[177:178], null, v[173:174], v[173:174], v[175:176]
	v_div_scale_f64 v[183:184], vcc_lo, v[175:176], v[173:174], v[175:176]
	v_rcp_f64_e32 v[179:180], v[177:178]
	v_fma_f64 v[181:182], -v[177:178], v[179:180], 1.0
	v_fma_f64 v[179:180], v[179:180], v[181:182], v[179:180]
	v_fma_f64 v[181:182], -v[177:178], v[179:180], 1.0
	v_fma_f64 v[179:180], v[179:180], v[181:182], v[179:180]
	v_mul_f64 v[181:182], v[183:184], v[179:180]
	v_fma_f64 v[177:178], -v[177:178], v[181:182], v[183:184]
	v_div_fmas_f64 v[177:178], v[177:178], v[179:180], v[181:182]
	v_div_fixup_f64 v[179:180], v[177:178], v[173:174], v[175:176]
	v_fma_f64 v[173:174], v[175:176], v[179:180], v[173:174]
	v_div_scale_f64 v[175:176], null, v[173:174], v[173:174], 1.0
	v_rcp_f64_e32 v[177:178], v[175:176]
	v_fma_f64 v[181:182], -v[175:176], v[177:178], 1.0
	v_fma_f64 v[177:178], v[177:178], v[181:182], v[177:178]
	v_fma_f64 v[181:182], -v[175:176], v[177:178], 1.0
	v_fma_f64 v[177:178], v[177:178], v[181:182], v[177:178]
	v_div_scale_f64 v[181:182], vcc_lo, 1.0, v[173:174], 1.0
	v_mul_f64 v[183:184], v[181:182], v[177:178]
	v_fma_f64 v[175:176], -v[175:176], v[183:184], v[181:182]
	v_div_fmas_f64 v[175:176], v[175:176], v[177:178], v[183:184]
	v_div_fixup_f64 v[177:178], v[175:176], v[173:174], 1.0
	v_mul_f64 v[179:180], v[179:180], -v[177:178]
.LBB85_187:
	s_or_b32 exec_lo, exec_lo, s1
	ds_write2_b64 v255, v[177:178], v[179:180] offset1:1
.LBB85_188:
	s_or_b32 exec_lo, exec_lo, s2
	s_waitcnt lgkmcnt(0)
	s_barrier
	buffer_gl0_inv
	ds_read2_b64 v[141:144], v255 offset1:1
	s_mov_b32 s1, exec_lo
	v_cmpx_lt_u32_e32 20, v0
	s_cbranch_execz .LBB85_190
; %bb.189:
	s_waitcnt lgkmcnt(0)
	v_mul_f64 v[173:174], v[143:144], v[91:92]
	v_mul_f64 v[91:92], v[141:142], v[91:92]
	ds_read2_b64 v[175:178], v253 offset0:42 offset1:43
	v_fma_f64 v[173:174], v[141:142], v[89:90], -v[173:174]
	v_fma_f64 v[91:92], v[143:144], v[89:90], v[91:92]
	s_waitcnt lgkmcnt(0)
	v_mul_f64 v[89:90], v[177:178], v[91:92]
	v_fma_f64 v[89:90], v[175:176], v[173:174], -v[89:90]
	v_mul_f64 v[175:176], v[175:176], v[91:92]
	v_add_f64 v[85:86], v[85:86], -v[89:90]
	v_fma_f64 v[175:176], v[177:178], v[173:174], v[175:176]
	v_add_f64 v[87:88], v[87:88], -v[175:176]
	ds_read2_b64 v[175:178], v253 offset0:44 offset1:45
	s_waitcnt lgkmcnt(0)
	v_mul_f64 v[89:90], v[177:178], v[91:92]
	v_fma_f64 v[89:90], v[175:176], v[173:174], -v[89:90]
	v_mul_f64 v[175:176], v[175:176], v[91:92]
	v_add_f64 v[81:82], v[81:82], -v[89:90]
	v_fma_f64 v[175:176], v[177:178], v[173:174], v[175:176]
	v_add_f64 v[83:84], v[83:84], -v[175:176]
	ds_read2_b64 v[175:178], v253 offset0:46 offset1:47
	;; [unrolled: 8-line block ×3, first 2 shown]
	s_clause 0x3
	buffer_load_dword v37, off, s[16:19], 0 offset:112
	buffer_load_dword v38, off, s[16:19], 0 offset:116
	buffer_load_dword v39, off, s[16:19], 0 offset:120
	buffer_load_dword v40, off, s[16:19], 0 offset:124
	s_waitcnt lgkmcnt(0)
	v_mul_f64 v[89:90], v[177:178], v[91:92]
	v_fma_f64 v[89:90], v[175:176], v[173:174], -v[89:90]
	v_mul_f64 v[175:176], v[175:176], v[91:92]
	v_fma_f64 v[175:176], v[177:178], v[173:174], v[175:176]
	s_waitcnt vmcnt(2)
	v_add_f64 v[37:38], v[37:38], -v[89:90]
	s_waitcnt vmcnt(0)
	v_add_f64 v[39:40], v[39:40], -v[175:176]
	buffer_store_dword v37, off, s[16:19], 0 offset:112 ; 4-byte Folded Spill
	buffer_store_dword v38, off, s[16:19], 0 offset:116 ; 4-byte Folded Spill
	buffer_store_dword v39, off, s[16:19], 0 offset:120 ; 4-byte Folded Spill
	buffer_store_dword v40, off, s[16:19], 0 offset:124 ; 4-byte Folded Spill
	ds_read2_b64 v[175:178], v253 offset0:50 offset1:51
	s_clause 0x3
	buffer_load_dword v37, off, s[16:19], 0 offset:96
	buffer_load_dword v38, off, s[16:19], 0 offset:100
	buffer_load_dword v39, off, s[16:19], 0 offset:104
	buffer_load_dword v40, off, s[16:19], 0 offset:108
	s_waitcnt lgkmcnt(0)
	v_mul_f64 v[89:90], v[177:178], v[91:92]
	v_fma_f64 v[89:90], v[175:176], v[173:174], -v[89:90]
	v_mul_f64 v[175:176], v[175:176], v[91:92]
	v_fma_f64 v[175:176], v[177:178], v[173:174], v[175:176]
	s_waitcnt vmcnt(2)
	v_add_f64 v[37:38], v[37:38], -v[89:90]
	s_waitcnt vmcnt(0)
	v_add_f64 v[39:40], v[39:40], -v[175:176]
	buffer_store_dword v37, off, s[16:19], 0 offset:96 ; 4-byte Folded Spill
	buffer_store_dword v38, off, s[16:19], 0 offset:100 ; 4-byte Folded Spill
	buffer_store_dword v39, off, s[16:19], 0 offset:104 ; 4-byte Folded Spill
	buffer_store_dword v40, off, s[16:19], 0 offset:108 ; 4-byte Folded Spill
	ds_read2_b64 v[175:178], v253 offset0:52 offset1:53
	;; [unrolled: 19-line block ×7, first 2 shown]
	s_clause 0x3
	buffer_load_dword v37, off, s[16:19], 0
	buffer_load_dword v38, off, s[16:19], 0 offset:4
	buffer_load_dword v39, off, s[16:19], 0 offset:8
	;; [unrolled: 1-line block ×3, first 2 shown]
	s_waitcnt lgkmcnt(0)
	v_mul_f64 v[89:90], v[177:178], v[91:92]
	v_fma_f64 v[89:90], v[175:176], v[173:174], -v[89:90]
	v_mul_f64 v[175:176], v[175:176], v[91:92]
	v_fma_f64 v[175:176], v[177:178], v[173:174], v[175:176]
	s_waitcnt vmcnt(2)
	v_add_f64 v[37:38], v[37:38], -v[89:90]
	s_waitcnt vmcnt(0)
	v_add_f64 v[39:40], v[39:40], -v[175:176]
	buffer_store_dword v37, off, s[16:19], 0 ; 4-byte Folded Spill
	buffer_store_dword v38, off, s[16:19], 0 offset:4 ; 4-byte Folded Spill
	buffer_store_dword v39, off, s[16:19], 0 offset:8 ; 4-byte Folded Spill
	;; [unrolled: 1-line block ×3, first 2 shown]
	ds_read2_b64 v[175:178], v253 offset0:64 offset1:65
	s_waitcnt lgkmcnt(0)
	v_mul_f64 v[89:90], v[177:178], v[91:92]
	v_fma_f64 v[89:90], v[175:176], v[173:174], -v[89:90]
	v_mul_f64 v[175:176], v[175:176], v[91:92]
	v_add_f64 v[233:234], v[233:234], -v[89:90]
	v_fma_f64 v[175:176], v[177:178], v[173:174], v[175:176]
	v_add_f64 v[235:236], v[235:236], -v[175:176]
	ds_read2_b64 v[175:178], v253 offset0:66 offset1:67
	s_waitcnt lgkmcnt(0)
	v_mul_f64 v[89:90], v[177:178], v[91:92]
	v_fma_f64 v[89:90], v[175:176], v[173:174], -v[89:90]
	v_mul_f64 v[175:176], v[175:176], v[91:92]
	v_add_f64 v[213:214], v[213:214], -v[89:90]
	v_fma_f64 v[175:176], v[177:178], v[173:174], v[175:176]
	v_add_f64 v[215:216], v[215:216], -v[175:176]
	;; [unrolled: 8-line block ×10, first 2 shown]
	ds_read2_b64 v[175:178], v253 offset0:84 offset1:85
	s_waitcnt lgkmcnt(0)
	v_mul_f64 v[89:90], v[177:178], v[91:92]
	v_fma_f64 v[89:90], v[175:176], v[173:174], -v[89:90]
	v_mul_f64 v[175:176], v[175:176], v[91:92]
	v_add_f64 v[1:2], v[1:2], -v[89:90]
	v_fma_f64 v[175:176], v[177:178], v[173:174], v[175:176]
	v_mov_b32_e32 v89, v173
	v_mov_b32_e32 v90, v174
	v_add_f64 v[3:4], v[3:4], -v[175:176]
.LBB85_190:
	s_or_b32 exec_lo, exec_lo, s1
	s_mov_b32 s2, exec_lo
	s_waitcnt lgkmcnt(0)
	s_waitcnt_vscnt null, 0x0
	s_barrier
	buffer_gl0_inv
	v_cmpx_eq_u32_e32 21, v0
	s_cbranch_execz .LBB85_197
; %bb.191:
	ds_write2_b64 v255, v[85:86], v[87:88] offset1:1
	ds_write2_b64 v253, v[81:82], v[83:84] offset0:44 offset1:45
	ds_write2_b64 v253, v[77:78], v[79:80] offset0:46 offset1:47
	s_clause 0x3
	buffer_load_dword v37, off, s[16:19], 0 offset:112
	buffer_load_dword v38, off, s[16:19], 0 offset:116
	buffer_load_dword v39, off, s[16:19], 0 offset:120
	buffer_load_dword v40, off, s[16:19], 0 offset:124
	s_waitcnt vmcnt(0)
	ds_write2_b64 v253, v[37:38], v[39:40] offset0:48 offset1:49
	s_clause 0x3
	buffer_load_dword v37, off, s[16:19], 0 offset:96
	buffer_load_dword v38, off, s[16:19], 0 offset:100
	buffer_load_dword v39, off, s[16:19], 0 offset:104
	buffer_load_dword v40, off, s[16:19], 0 offset:108
	s_waitcnt vmcnt(0)
	;; [unrolled: 7-line block ×7, first 2 shown]
	ds_write2_b64 v253, v[37:38], v[39:40] offset0:60 offset1:61
	s_clause 0x3
	buffer_load_dword v37, off, s[16:19], 0
	buffer_load_dword v38, off, s[16:19], 0 offset:4
	buffer_load_dword v39, off, s[16:19], 0 offset:8
	;; [unrolled: 1-line block ×3, first 2 shown]
	s_waitcnt vmcnt(0)
	ds_write2_b64 v253, v[37:38], v[39:40] offset0:62 offset1:63
	ds_write2_b64 v253, v[233:234], v[235:236] offset0:64 offset1:65
	;; [unrolled: 1-line block ×12, first 2 shown]
	ds_read2_b64 v[173:176], v255 offset1:1
	s_waitcnt lgkmcnt(0)
	v_cmp_neq_f64_e32 vcc_lo, 0, v[173:174]
	v_cmp_neq_f64_e64 s1, 0, v[175:176]
	s_or_b32 s1, vcc_lo, s1
	s_and_b32 exec_lo, exec_lo, s1
	s_cbranch_execz .LBB85_197
; %bb.192:
	v_cmp_ngt_f64_e64 s1, |v[173:174]|, |v[175:176]|
                                        ; implicit-def: $vgpr177_vgpr178
	s_and_saveexec_b32 s3, s1
	s_xor_b32 s1, exec_lo, s3
                                        ; implicit-def: $vgpr179_vgpr180
	s_cbranch_execz .LBB85_194
; %bb.193:
	v_div_scale_f64 v[177:178], null, v[175:176], v[175:176], v[173:174]
	v_div_scale_f64 v[183:184], vcc_lo, v[173:174], v[175:176], v[173:174]
	v_rcp_f64_e32 v[179:180], v[177:178]
	v_fma_f64 v[181:182], -v[177:178], v[179:180], 1.0
	v_fma_f64 v[179:180], v[179:180], v[181:182], v[179:180]
	v_fma_f64 v[181:182], -v[177:178], v[179:180], 1.0
	v_fma_f64 v[179:180], v[179:180], v[181:182], v[179:180]
	v_mul_f64 v[181:182], v[183:184], v[179:180]
	v_fma_f64 v[177:178], -v[177:178], v[181:182], v[183:184]
	v_div_fmas_f64 v[177:178], v[177:178], v[179:180], v[181:182]
	v_div_fixup_f64 v[177:178], v[177:178], v[175:176], v[173:174]
	v_fma_f64 v[173:174], v[173:174], v[177:178], v[175:176]
	v_div_scale_f64 v[175:176], null, v[173:174], v[173:174], 1.0
	v_rcp_f64_e32 v[179:180], v[175:176]
	v_fma_f64 v[181:182], -v[175:176], v[179:180], 1.0
	v_fma_f64 v[179:180], v[179:180], v[181:182], v[179:180]
	v_fma_f64 v[181:182], -v[175:176], v[179:180], 1.0
	v_fma_f64 v[179:180], v[179:180], v[181:182], v[179:180]
	v_div_scale_f64 v[181:182], vcc_lo, 1.0, v[173:174], 1.0
	v_mul_f64 v[183:184], v[181:182], v[179:180]
	v_fma_f64 v[175:176], -v[175:176], v[183:184], v[181:182]
	v_div_fmas_f64 v[175:176], v[175:176], v[179:180], v[183:184]
	v_div_fixup_f64 v[179:180], v[175:176], v[173:174], 1.0
                                        ; implicit-def: $vgpr173_vgpr174
	v_mul_f64 v[177:178], v[177:178], v[179:180]
	v_xor_b32_e32 v180, 0x80000000, v180
.LBB85_194:
	s_andn2_saveexec_b32 s1, s1
	s_cbranch_execz .LBB85_196
; %bb.195:
	v_div_scale_f64 v[177:178], null, v[173:174], v[173:174], v[175:176]
	v_div_scale_f64 v[183:184], vcc_lo, v[175:176], v[173:174], v[175:176]
	v_rcp_f64_e32 v[179:180], v[177:178]
	v_fma_f64 v[181:182], -v[177:178], v[179:180], 1.0
	v_fma_f64 v[179:180], v[179:180], v[181:182], v[179:180]
	v_fma_f64 v[181:182], -v[177:178], v[179:180], 1.0
	v_fma_f64 v[179:180], v[179:180], v[181:182], v[179:180]
	v_mul_f64 v[181:182], v[183:184], v[179:180]
	v_fma_f64 v[177:178], -v[177:178], v[181:182], v[183:184]
	v_div_fmas_f64 v[177:178], v[177:178], v[179:180], v[181:182]
	v_div_fixup_f64 v[179:180], v[177:178], v[173:174], v[175:176]
	v_fma_f64 v[173:174], v[175:176], v[179:180], v[173:174]
	v_div_scale_f64 v[175:176], null, v[173:174], v[173:174], 1.0
	v_rcp_f64_e32 v[177:178], v[175:176]
	v_fma_f64 v[181:182], -v[175:176], v[177:178], 1.0
	v_fma_f64 v[177:178], v[177:178], v[181:182], v[177:178]
	v_fma_f64 v[181:182], -v[175:176], v[177:178], 1.0
	v_fma_f64 v[177:178], v[177:178], v[181:182], v[177:178]
	v_div_scale_f64 v[181:182], vcc_lo, 1.0, v[173:174], 1.0
	v_mul_f64 v[183:184], v[181:182], v[177:178]
	v_fma_f64 v[175:176], -v[175:176], v[183:184], v[181:182]
	v_div_fmas_f64 v[175:176], v[175:176], v[177:178], v[183:184]
	v_div_fixup_f64 v[177:178], v[175:176], v[173:174], 1.0
	v_mul_f64 v[179:180], v[179:180], -v[177:178]
.LBB85_196:
	s_or_b32 exec_lo, exec_lo, s1
	ds_write2_b64 v255, v[177:178], v[179:180] offset1:1
.LBB85_197:
	s_or_b32 exec_lo, exec_lo, s2
	s_waitcnt lgkmcnt(0)
	s_barrier
	buffer_gl0_inv
	ds_read2_b64 v[245:248], v255 offset1:1
	s_mov_b32 s1, exec_lo
	v_cmpx_lt_u32_e32 21, v0
	s_cbranch_execz .LBB85_199
; %bb.198:
	s_waitcnt lgkmcnt(0)
	v_mul_f64 v[173:174], v[247:248], v[87:88]
	v_mul_f64 v[87:88], v[245:246], v[87:88]
	ds_read2_b64 v[175:178], v253 offset0:44 offset1:45
	v_fma_f64 v[173:174], v[245:246], v[85:86], -v[173:174]
	v_fma_f64 v[87:88], v[247:248], v[85:86], v[87:88]
	s_waitcnt lgkmcnt(0)
	v_mul_f64 v[85:86], v[177:178], v[87:88]
	v_fma_f64 v[85:86], v[175:176], v[173:174], -v[85:86]
	v_mul_f64 v[175:176], v[175:176], v[87:88]
	v_add_f64 v[81:82], v[81:82], -v[85:86]
	v_fma_f64 v[175:176], v[177:178], v[173:174], v[175:176]
	v_add_f64 v[83:84], v[83:84], -v[175:176]
	ds_read2_b64 v[175:178], v253 offset0:46 offset1:47
	s_waitcnt lgkmcnt(0)
	v_mul_f64 v[85:86], v[177:178], v[87:88]
	v_fma_f64 v[85:86], v[175:176], v[173:174], -v[85:86]
	v_mul_f64 v[175:176], v[175:176], v[87:88]
	v_add_f64 v[77:78], v[77:78], -v[85:86]
	v_fma_f64 v[175:176], v[177:178], v[173:174], v[175:176]
	v_add_f64 v[79:80], v[79:80], -v[175:176]
	ds_read2_b64 v[175:178], v253 offset0:48 offset1:49
	s_clause 0x3
	buffer_load_dword v37, off, s[16:19], 0 offset:112
	buffer_load_dword v38, off, s[16:19], 0 offset:116
	buffer_load_dword v39, off, s[16:19], 0 offset:120
	buffer_load_dword v40, off, s[16:19], 0 offset:124
	s_waitcnt lgkmcnt(0)
	v_mul_f64 v[85:86], v[177:178], v[87:88]
	v_fma_f64 v[85:86], v[175:176], v[173:174], -v[85:86]
	v_mul_f64 v[175:176], v[175:176], v[87:88]
	v_fma_f64 v[175:176], v[177:178], v[173:174], v[175:176]
	s_waitcnt vmcnt(2)
	v_add_f64 v[37:38], v[37:38], -v[85:86]
	s_waitcnt vmcnt(0)
	v_add_f64 v[39:40], v[39:40], -v[175:176]
	buffer_store_dword v37, off, s[16:19], 0 offset:112 ; 4-byte Folded Spill
	buffer_store_dword v38, off, s[16:19], 0 offset:116 ; 4-byte Folded Spill
	buffer_store_dword v39, off, s[16:19], 0 offset:120 ; 4-byte Folded Spill
	buffer_store_dword v40, off, s[16:19], 0 offset:124 ; 4-byte Folded Spill
	ds_read2_b64 v[175:178], v253 offset0:50 offset1:51
	s_clause 0x3
	buffer_load_dword v37, off, s[16:19], 0 offset:96
	buffer_load_dword v38, off, s[16:19], 0 offset:100
	buffer_load_dword v39, off, s[16:19], 0 offset:104
	buffer_load_dword v40, off, s[16:19], 0 offset:108
	s_waitcnt lgkmcnt(0)
	v_mul_f64 v[85:86], v[177:178], v[87:88]
	v_fma_f64 v[85:86], v[175:176], v[173:174], -v[85:86]
	v_mul_f64 v[175:176], v[175:176], v[87:88]
	v_fma_f64 v[175:176], v[177:178], v[173:174], v[175:176]
	s_waitcnt vmcnt(2)
	v_add_f64 v[37:38], v[37:38], -v[85:86]
	s_waitcnt vmcnt(0)
	v_add_f64 v[39:40], v[39:40], -v[175:176]
	buffer_store_dword v37, off, s[16:19], 0 offset:96 ; 4-byte Folded Spill
	buffer_store_dword v38, off, s[16:19], 0 offset:100 ; 4-byte Folded Spill
	buffer_store_dword v39, off, s[16:19], 0 offset:104 ; 4-byte Folded Spill
	buffer_store_dword v40, off, s[16:19], 0 offset:108 ; 4-byte Folded Spill
	;; [unrolled: 19-line block ×7, first 2 shown]
	ds_read2_b64 v[175:178], v253 offset0:62 offset1:63
	s_clause 0x3
	buffer_load_dword v37, off, s[16:19], 0
	buffer_load_dword v38, off, s[16:19], 0 offset:4
	buffer_load_dword v39, off, s[16:19], 0 offset:8
	;; [unrolled: 1-line block ×3, first 2 shown]
	s_waitcnt lgkmcnt(0)
	v_mul_f64 v[85:86], v[177:178], v[87:88]
	v_fma_f64 v[85:86], v[175:176], v[173:174], -v[85:86]
	v_mul_f64 v[175:176], v[175:176], v[87:88]
	v_fma_f64 v[175:176], v[177:178], v[173:174], v[175:176]
	s_waitcnt vmcnt(2)
	v_add_f64 v[37:38], v[37:38], -v[85:86]
	s_waitcnt vmcnt(0)
	v_add_f64 v[39:40], v[39:40], -v[175:176]
	buffer_store_dword v37, off, s[16:19], 0 ; 4-byte Folded Spill
	buffer_store_dword v38, off, s[16:19], 0 offset:4 ; 4-byte Folded Spill
	buffer_store_dword v39, off, s[16:19], 0 offset:8 ; 4-byte Folded Spill
	;; [unrolled: 1-line block ×3, first 2 shown]
	ds_read2_b64 v[175:178], v253 offset0:64 offset1:65
	s_waitcnt lgkmcnt(0)
	v_mul_f64 v[85:86], v[177:178], v[87:88]
	v_fma_f64 v[85:86], v[175:176], v[173:174], -v[85:86]
	v_mul_f64 v[175:176], v[175:176], v[87:88]
	v_add_f64 v[233:234], v[233:234], -v[85:86]
	v_fma_f64 v[175:176], v[177:178], v[173:174], v[175:176]
	v_add_f64 v[235:236], v[235:236], -v[175:176]
	ds_read2_b64 v[175:178], v253 offset0:66 offset1:67
	s_waitcnt lgkmcnt(0)
	v_mul_f64 v[85:86], v[177:178], v[87:88]
	v_fma_f64 v[85:86], v[175:176], v[173:174], -v[85:86]
	v_mul_f64 v[175:176], v[175:176], v[87:88]
	v_add_f64 v[213:214], v[213:214], -v[85:86]
	v_fma_f64 v[175:176], v[177:178], v[173:174], v[175:176]
	v_add_f64 v[215:216], v[215:216], -v[175:176]
	;; [unrolled: 8-line block ×10, first 2 shown]
	ds_read2_b64 v[175:178], v253 offset0:84 offset1:85
	s_waitcnt lgkmcnt(0)
	v_mul_f64 v[85:86], v[177:178], v[87:88]
	v_fma_f64 v[85:86], v[175:176], v[173:174], -v[85:86]
	v_mul_f64 v[175:176], v[175:176], v[87:88]
	v_add_f64 v[1:2], v[1:2], -v[85:86]
	v_fma_f64 v[175:176], v[177:178], v[173:174], v[175:176]
	v_mov_b32_e32 v85, v173
	v_mov_b32_e32 v86, v174
	v_add_f64 v[3:4], v[3:4], -v[175:176]
.LBB85_199:
	s_or_b32 exec_lo, exec_lo, s1
	s_mov_b32 s2, exec_lo
	s_waitcnt lgkmcnt(0)
	s_waitcnt_vscnt null, 0x0
	s_barrier
	buffer_gl0_inv
	v_cmpx_eq_u32_e32 22, v0
	s_cbranch_execz .LBB85_206
; %bb.200:
	ds_write2_b64 v255, v[81:82], v[83:84] offset1:1
	ds_write2_b64 v253, v[77:78], v[79:80] offset0:46 offset1:47
	s_clause 0x3
	buffer_load_dword v37, off, s[16:19], 0 offset:112
	buffer_load_dword v38, off, s[16:19], 0 offset:116
	buffer_load_dword v39, off, s[16:19], 0 offset:120
	buffer_load_dword v40, off, s[16:19], 0 offset:124
	s_waitcnt vmcnt(0)
	ds_write2_b64 v253, v[37:38], v[39:40] offset0:48 offset1:49
	s_clause 0x3
	buffer_load_dword v37, off, s[16:19], 0 offset:96
	buffer_load_dword v38, off, s[16:19], 0 offset:100
	buffer_load_dword v39, off, s[16:19], 0 offset:104
	buffer_load_dword v40, off, s[16:19], 0 offset:108
	s_waitcnt vmcnt(0)
	ds_write2_b64 v253, v[37:38], v[39:40] offset0:50 offset1:51
	s_clause 0x3
	buffer_load_dword v37, off, s[16:19], 0 offset:80
	buffer_load_dword v38, off, s[16:19], 0 offset:84
	buffer_load_dword v39, off, s[16:19], 0 offset:88
	buffer_load_dword v40, off, s[16:19], 0 offset:92
	s_waitcnt vmcnt(0)
	ds_write2_b64 v253, v[37:38], v[39:40] offset0:52 offset1:53
	s_clause 0x3
	buffer_load_dword v37, off, s[16:19], 0 offset:64
	buffer_load_dword v38, off, s[16:19], 0 offset:68
	buffer_load_dword v39, off, s[16:19], 0 offset:72
	buffer_load_dword v40, off, s[16:19], 0 offset:76
	s_waitcnt vmcnt(0)
	ds_write2_b64 v253, v[37:38], v[39:40] offset0:54 offset1:55
	s_clause 0x3
	buffer_load_dword v37, off, s[16:19], 0 offset:48
	buffer_load_dword v38, off, s[16:19], 0 offset:52
	buffer_load_dword v39, off, s[16:19], 0 offset:56
	buffer_load_dword v40, off, s[16:19], 0 offset:60
	s_waitcnt vmcnt(0)
	ds_write2_b64 v253, v[37:38], v[39:40] offset0:56 offset1:57
	s_clause 0x3
	buffer_load_dword v37, off, s[16:19], 0 offset:32
	buffer_load_dword v38, off, s[16:19], 0 offset:36
	buffer_load_dword v39, off, s[16:19], 0 offset:40
	buffer_load_dword v40, off, s[16:19], 0 offset:44
	s_waitcnt vmcnt(0)
	ds_write2_b64 v253, v[37:38], v[39:40] offset0:58 offset1:59
	s_clause 0x3
	buffer_load_dword v37, off, s[16:19], 0 offset:16
	buffer_load_dword v38, off, s[16:19], 0 offset:20
	buffer_load_dword v39, off, s[16:19], 0 offset:24
	buffer_load_dword v40, off, s[16:19], 0 offset:28
	s_waitcnt vmcnt(0)
	ds_write2_b64 v253, v[37:38], v[39:40] offset0:60 offset1:61
	s_clause 0x3
	buffer_load_dword v37, off, s[16:19], 0
	buffer_load_dword v38, off, s[16:19], 0 offset:4
	buffer_load_dword v39, off, s[16:19], 0 offset:8
	;; [unrolled: 1-line block ×3, first 2 shown]
	s_waitcnt vmcnt(0)
	ds_write2_b64 v253, v[37:38], v[39:40] offset0:62 offset1:63
	ds_write2_b64 v253, v[233:234], v[235:236] offset0:64 offset1:65
	;; [unrolled: 1-line block ×12, first 2 shown]
	ds_read2_b64 v[173:176], v255 offset1:1
	s_waitcnt lgkmcnt(0)
	v_cmp_neq_f64_e32 vcc_lo, 0, v[173:174]
	v_cmp_neq_f64_e64 s1, 0, v[175:176]
	s_or_b32 s1, vcc_lo, s1
	s_and_b32 exec_lo, exec_lo, s1
	s_cbranch_execz .LBB85_206
; %bb.201:
	v_cmp_ngt_f64_e64 s1, |v[173:174]|, |v[175:176]|
                                        ; implicit-def: $vgpr177_vgpr178
	s_and_saveexec_b32 s3, s1
	s_xor_b32 s1, exec_lo, s3
                                        ; implicit-def: $vgpr179_vgpr180
	s_cbranch_execz .LBB85_203
; %bb.202:
	v_div_scale_f64 v[177:178], null, v[175:176], v[175:176], v[173:174]
	v_div_scale_f64 v[183:184], vcc_lo, v[173:174], v[175:176], v[173:174]
	v_rcp_f64_e32 v[179:180], v[177:178]
	v_fma_f64 v[181:182], -v[177:178], v[179:180], 1.0
	v_fma_f64 v[179:180], v[179:180], v[181:182], v[179:180]
	v_fma_f64 v[181:182], -v[177:178], v[179:180], 1.0
	v_fma_f64 v[179:180], v[179:180], v[181:182], v[179:180]
	v_mul_f64 v[181:182], v[183:184], v[179:180]
	v_fma_f64 v[177:178], -v[177:178], v[181:182], v[183:184]
	v_div_fmas_f64 v[177:178], v[177:178], v[179:180], v[181:182]
	v_div_fixup_f64 v[177:178], v[177:178], v[175:176], v[173:174]
	v_fma_f64 v[173:174], v[173:174], v[177:178], v[175:176]
	v_div_scale_f64 v[175:176], null, v[173:174], v[173:174], 1.0
	v_rcp_f64_e32 v[179:180], v[175:176]
	v_fma_f64 v[181:182], -v[175:176], v[179:180], 1.0
	v_fma_f64 v[179:180], v[179:180], v[181:182], v[179:180]
	v_fma_f64 v[181:182], -v[175:176], v[179:180], 1.0
	v_fma_f64 v[179:180], v[179:180], v[181:182], v[179:180]
	v_div_scale_f64 v[181:182], vcc_lo, 1.0, v[173:174], 1.0
	v_mul_f64 v[183:184], v[181:182], v[179:180]
	v_fma_f64 v[175:176], -v[175:176], v[183:184], v[181:182]
	v_div_fmas_f64 v[175:176], v[175:176], v[179:180], v[183:184]
	v_div_fixup_f64 v[179:180], v[175:176], v[173:174], 1.0
                                        ; implicit-def: $vgpr173_vgpr174
	v_mul_f64 v[177:178], v[177:178], v[179:180]
	v_xor_b32_e32 v180, 0x80000000, v180
.LBB85_203:
	s_andn2_saveexec_b32 s1, s1
	s_cbranch_execz .LBB85_205
; %bb.204:
	v_div_scale_f64 v[177:178], null, v[173:174], v[173:174], v[175:176]
	v_div_scale_f64 v[183:184], vcc_lo, v[175:176], v[173:174], v[175:176]
	v_rcp_f64_e32 v[179:180], v[177:178]
	v_fma_f64 v[181:182], -v[177:178], v[179:180], 1.0
	v_fma_f64 v[179:180], v[179:180], v[181:182], v[179:180]
	v_fma_f64 v[181:182], -v[177:178], v[179:180], 1.0
	v_fma_f64 v[179:180], v[179:180], v[181:182], v[179:180]
	v_mul_f64 v[181:182], v[183:184], v[179:180]
	v_fma_f64 v[177:178], -v[177:178], v[181:182], v[183:184]
	v_div_fmas_f64 v[177:178], v[177:178], v[179:180], v[181:182]
	v_div_fixup_f64 v[179:180], v[177:178], v[173:174], v[175:176]
	v_fma_f64 v[173:174], v[175:176], v[179:180], v[173:174]
	v_div_scale_f64 v[175:176], null, v[173:174], v[173:174], 1.0
	v_rcp_f64_e32 v[177:178], v[175:176]
	v_fma_f64 v[181:182], -v[175:176], v[177:178], 1.0
	v_fma_f64 v[177:178], v[177:178], v[181:182], v[177:178]
	v_fma_f64 v[181:182], -v[175:176], v[177:178], 1.0
	v_fma_f64 v[177:178], v[177:178], v[181:182], v[177:178]
	v_div_scale_f64 v[181:182], vcc_lo, 1.0, v[173:174], 1.0
	v_mul_f64 v[183:184], v[181:182], v[177:178]
	v_fma_f64 v[175:176], -v[175:176], v[183:184], v[181:182]
	v_div_fmas_f64 v[175:176], v[175:176], v[177:178], v[183:184]
	v_div_fixup_f64 v[177:178], v[175:176], v[173:174], 1.0
	v_mul_f64 v[179:180], v[179:180], -v[177:178]
.LBB85_205:
	s_or_b32 exec_lo, exec_lo, s1
	ds_write2_b64 v255, v[177:178], v[179:180] offset1:1
.LBB85_206:
	s_or_b32 exec_lo, exec_lo, s2
	s_waitcnt lgkmcnt(0)
	s_barrier
	buffer_gl0_inv
	ds_read2_b64 v[169:172], v255 offset1:1
	s_mov_b32 s1, exec_lo
	v_cmpx_lt_u32_e32 22, v0
	s_cbranch_execz .LBB85_208
; %bb.207:
	s_waitcnt lgkmcnt(0)
	v_mul_f64 v[173:174], v[171:172], v[83:84]
	v_mul_f64 v[83:84], v[169:170], v[83:84]
	ds_read2_b64 v[175:178], v253 offset0:46 offset1:47
	v_fma_f64 v[173:174], v[169:170], v[81:82], -v[173:174]
	v_fma_f64 v[83:84], v[171:172], v[81:82], v[83:84]
	s_waitcnt lgkmcnt(0)
	v_mul_f64 v[81:82], v[177:178], v[83:84]
	v_fma_f64 v[81:82], v[175:176], v[173:174], -v[81:82]
	v_mul_f64 v[175:176], v[175:176], v[83:84]
	v_add_f64 v[77:78], v[77:78], -v[81:82]
	v_fma_f64 v[175:176], v[177:178], v[173:174], v[175:176]
	v_add_f64 v[79:80], v[79:80], -v[175:176]
	ds_read2_b64 v[175:178], v253 offset0:48 offset1:49
	s_clause 0x3
	buffer_load_dword v37, off, s[16:19], 0 offset:112
	buffer_load_dword v38, off, s[16:19], 0 offset:116
	buffer_load_dword v39, off, s[16:19], 0 offset:120
	buffer_load_dword v40, off, s[16:19], 0 offset:124
	s_waitcnt lgkmcnt(0)
	v_mul_f64 v[81:82], v[177:178], v[83:84]
	v_fma_f64 v[81:82], v[175:176], v[173:174], -v[81:82]
	v_mul_f64 v[175:176], v[175:176], v[83:84]
	v_fma_f64 v[175:176], v[177:178], v[173:174], v[175:176]
	s_waitcnt vmcnt(2)
	v_add_f64 v[37:38], v[37:38], -v[81:82]
	s_waitcnt vmcnt(0)
	v_add_f64 v[39:40], v[39:40], -v[175:176]
	buffer_store_dword v37, off, s[16:19], 0 offset:112 ; 4-byte Folded Spill
	buffer_store_dword v38, off, s[16:19], 0 offset:116 ; 4-byte Folded Spill
	buffer_store_dword v39, off, s[16:19], 0 offset:120 ; 4-byte Folded Spill
	buffer_store_dword v40, off, s[16:19], 0 offset:124 ; 4-byte Folded Spill
	ds_read2_b64 v[175:178], v253 offset0:50 offset1:51
	s_clause 0x3
	buffer_load_dword v37, off, s[16:19], 0 offset:96
	buffer_load_dword v38, off, s[16:19], 0 offset:100
	buffer_load_dword v39, off, s[16:19], 0 offset:104
	buffer_load_dword v40, off, s[16:19], 0 offset:108
	s_waitcnt lgkmcnt(0)
	v_mul_f64 v[81:82], v[177:178], v[83:84]
	v_fma_f64 v[81:82], v[175:176], v[173:174], -v[81:82]
	v_mul_f64 v[175:176], v[175:176], v[83:84]
	v_fma_f64 v[175:176], v[177:178], v[173:174], v[175:176]
	s_waitcnt vmcnt(2)
	v_add_f64 v[37:38], v[37:38], -v[81:82]
	s_waitcnt vmcnt(0)
	v_add_f64 v[39:40], v[39:40], -v[175:176]
	buffer_store_dword v37, off, s[16:19], 0 offset:96 ; 4-byte Folded Spill
	buffer_store_dword v38, off, s[16:19], 0 offset:100 ; 4-byte Folded Spill
	buffer_store_dword v39, off, s[16:19], 0 offset:104 ; 4-byte Folded Spill
	buffer_store_dword v40, off, s[16:19], 0 offset:108 ; 4-byte Folded Spill
	;; [unrolled: 19-line block ×7, first 2 shown]
	ds_read2_b64 v[175:178], v253 offset0:62 offset1:63
	s_clause 0x3
	buffer_load_dword v37, off, s[16:19], 0
	buffer_load_dword v38, off, s[16:19], 0 offset:4
	buffer_load_dword v39, off, s[16:19], 0 offset:8
	;; [unrolled: 1-line block ×3, first 2 shown]
	s_waitcnt lgkmcnt(0)
	v_mul_f64 v[81:82], v[177:178], v[83:84]
	v_fma_f64 v[81:82], v[175:176], v[173:174], -v[81:82]
	v_mul_f64 v[175:176], v[175:176], v[83:84]
	v_fma_f64 v[175:176], v[177:178], v[173:174], v[175:176]
	s_waitcnt vmcnt(2)
	v_add_f64 v[37:38], v[37:38], -v[81:82]
	s_waitcnt vmcnt(0)
	v_add_f64 v[39:40], v[39:40], -v[175:176]
	buffer_store_dword v37, off, s[16:19], 0 ; 4-byte Folded Spill
	buffer_store_dword v38, off, s[16:19], 0 offset:4 ; 4-byte Folded Spill
	buffer_store_dword v39, off, s[16:19], 0 offset:8 ; 4-byte Folded Spill
	;; [unrolled: 1-line block ×3, first 2 shown]
	ds_read2_b64 v[175:178], v253 offset0:64 offset1:65
	s_waitcnt lgkmcnt(0)
	v_mul_f64 v[81:82], v[177:178], v[83:84]
	v_fma_f64 v[81:82], v[175:176], v[173:174], -v[81:82]
	v_mul_f64 v[175:176], v[175:176], v[83:84]
	v_add_f64 v[233:234], v[233:234], -v[81:82]
	v_fma_f64 v[175:176], v[177:178], v[173:174], v[175:176]
	v_add_f64 v[235:236], v[235:236], -v[175:176]
	ds_read2_b64 v[175:178], v253 offset0:66 offset1:67
	s_waitcnt lgkmcnt(0)
	v_mul_f64 v[81:82], v[177:178], v[83:84]
	v_fma_f64 v[81:82], v[175:176], v[173:174], -v[81:82]
	v_mul_f64 v[175:176], v[175:176], v[83:84]
	v_add_f64 v[213:214], v[213:214], -v[81:82]
	v_fma_f64 v[175:176], v[177:178], v[173:174], v[175:176]
	v_add_f64 v[215:216], v[215:216], -v[175:176]
	;; [unrolled: 8-line block ×10, first 2 shown]
	ds_read2_b64 v[175:178], v253 offset0:84 offset1:85
	s_waitcnt lgkmcnt(0)
	v_mul_f64 v[81:82], v[177:178], v[83:84]
	v_fma_f64 v[81:82], v[175:176], v[173:174], -v[81:82]
	v_mul_f64 v[175:176], v[175:176], v[83:84]
	v_add_f64 v[1:2], v[1:2], -v[81:82]
	v_fma_f64 v[175:176], v[177:178], v[173:174], v[175:176]
	v_mov_b32_e32 v81, v173
	v_mov_b32_e32 v82, v174
	v_add_f64 v[3:4], v[3:4], -v[175:176]
.LBB85_208:
	s_or_b32 exec_lo, exec_lo, s1
	s_mov_b32 s2, exec_lo
	s_waitcnt lgkmcnt(0)
	s_waitcnt_vscnt null, 0x0
	s_barrier
	buffer_gl0_inv
	v_cmpx_eq_u32_e32 23, v0
	s_cbranch_execz .LBB85_215
; %bb.209:
	ds_write2_b64 v255, v[77:78], v[79:80] offset1:1
	s_clause 0x3
	buffer_load_dword v37, off, s[16:19], 0 offset:112
	buffer_load_dword v38, off, s[16:19], 0 offset:116
	buffer_load_dword v39, off, s[16:19], 0 offset:120
	buffer_load_dword v40, off, s[16:19], 0 offset:124
	s_waitcnt vmcnt(0)
	ds_write2_b64 v253, v[37:38], v[39:40] offset0:48 offset1:49
	s_clause 0x3
	buffer_load_dword v37, off, s[16:19], 0 offset:96
	buffer_load_dword v38, off, s[16:19], 0 offset:100
	buffer_load_dword v39, off, s[16:19], 0 offset:104
	buffer_load_dword v40, off, s[16:19], 0 offset:108
	s_waitcnt vmcnt(0)
	ds_write2_b64 v253, v[37:38], v[39:40] offset0:50 offset1:51
	s_clause 0x3
	buffer_load_dword v37, off, s[16:19], 0 offset:80
	buffer_load_dword v38, off, s[16:19], 0 offset:84
	buffer_load_dword v39, off, s[16:19], 0 offset:88
	buffer_load_dword v40, off, s[16:19], 0 offset:92
	s_waitcnt vmcnt(0)
	ds_write2_b64 v253, v[37:38], v[39:40] offset0:52 offset1:53
	s_clause 0x3
	buffer_load_dword v37, off, s[16:19], 0 offset:64
	buffer_load_dword v38, off, s[16:19], 0 offset:68
	buffer_load_dword v39, off, s[16:19], 0 offset:72
	buffer_load_dword v40, off, s[16:19], 0 offset:76
	s_waitcnt vmcnt(0)
	ds_write2_b64 v253, v[37:38], v[39:40] offset0:54 offset1:55
	s_clause 0x3
	buffer_load_dword v37, off, s[16:19], 0 offset:48
	buffer_load_dword v38, off, s[16:19], 0 offset:52
	buffer_load_dword v39, off, s[16:19], 0 offset:56
	buffer_load_dword v40, off, s[16:19], 0 offset:60
	s_waitcnt vmcnt(0)
	ds_write2_b64 v253, v[37:38], v[39:40] offset0:56 offset1:57
	s_clause 0x3
	buffer_load_dword v37, off, s[16:19], 0 offset:32
	buffer_load_dword v38, off, s[16:19], 0 offset:36
	buffer_load_dword v39, off, s[16:19], 0 offset:40
	buffer_load_dword v40, off, s[16:19], 0 offset:44
	s_waitcnt vmcnt(0)
	ds_write2_b64 v253, v[37:38], v[39:40] offset0:58 offset1:59
	s_clause 0x3
	buffer_load_dword v37, off, s[16:19], 0 offset:16
	buffer_load_dword v38, off, s[16:19], 0 offset:20
	buffer_load_dword v39, off, s[16:19], 0 offset:24
	buffer_load_dword v40, off, s[16:19], 0 offset:28
	s_waitcnt vmcnt(0)
	ds_write2_b64 v253, v[37:38], v[39:40] offset0:60 offset1:61
	s_clause 0x3
	buffer_load_dword v37, off, s[16:19], 0
	buffer_load_dword v38, off, s[16:19], 0 offset:4
	buffer_load_dword v39, off, s[16:19], 0 offset:8
	buffer_load_dword v40, off, s[16:19], 0 offset:12
	s_waitcnt vmcnt(0)
	ds_write2_b64 v253, v[37:38], v[39:40] offset0:62 offset1:63
	ds_write2_b64 v253, v[233:234], v[235:236] offset0:64 offset1:65
	ds_write2_b64 v253, v[213:214], v[215:216] offset0:66 offset1:67
	ds_write2_b64 v253, v[33:34], v[35:36] offset0:68 offset1:69
	ds_write2_b64 v253, v[29:30], v[31:32] offset0:70 offset1:71
	ds_write2_b64 v253, v[25:26], v[27:28] offset0:72 offset1:73
	ds_write2_b64 v253, v[21:22], v[23:24] offset0:74 offset1:75
	ds_write2_b64 v253, v[17:18], v[19:20] offset0:76 offset1:77
	ds_write2_b64 v253, v[13:14], v[15:16] offset0:78 offset1:79
	ds_write2_b64 v253, v[9:10], v[11:12] offset0:80 offset1:81
	ds_write2_b64 v253, v[5:6], v[7:8] offset0:82 offset1:83
	ds_write2_b64 v253, v[1:2], v[3:4] offset0:84 offset1:85
	ds_read2_b64 v[173:176], v255 offset1:1
	s_waitcnt lgkmcnt(0)
	v_cmp_neq_f64_e32 vcc_lo, 0, v[173:174]
	v_cmp_neq_f64_e64 s1, 0, v[175:176]
	s_or_b32 s1, vcc_lo, s1
	s_and_b32 exec_lo, exec_lo, s1
	s_cbranch_execz .LBB85_215
; %bb.210:
	v_cmp_ngt_f64_e64 s1, |v[173:174]|, |v[175:176]|
                                        ; implicit-def: $vgpr177_vgpr178
	s_and_saveexec_b32 s3, s1
	s_xor_b32 s1, exec_lo, s3
                                        ; implicit-def: $vgpr179_vgpr180
	s_cbranch_execz .LBB85_212
; %bb.211:
	v_div_scale_f64 v[177:178], null, v[175:176], v[175:176], v[173:174]
	v_div_scale_f64 v[183:184], vcc_lo, v[173:174], v[175:176], v[173:174]
	v_rcp_f64_e32 v[179:180], v[177:178]
	v_fma_f64 v[181:182], -v[177:178], v[179:180], 1.0
	v_fma_f64 v[179:180], v[179:180], v[181:182], v[179:180]
	v_fma_f64 v[181:182], -v[177:178], v[179:180], 1.0
	v_fma_f64 v[179:180], v[179:180], v[181:182], v[179:180]
	v_mul_f64 v[181:182], v[183:184], v[179:180]
	v_fma_f64 v[177:178], -v[177:178], v[181:182], v[183:184]
	v_div_fmas_f64 v[177:178], v[177:178], v[179:180], v[181:182]
	v_div_fixup_f64 v[177:178], v[177:178], v[175:176], v[173:174]
	v_fma_f64 v[173:174], v[173:174], v[177:178], v[175:176]
	v_div_scale_f64 v[175:176], null, v[173:174], v[173:174], 1.0
	v_rcp_f64_e32 v[179:180], v[175:176]
	v_fma_f64 v[181:182], -v[175:176], v[179:180], 1.0
	v_fma_f64 v[179:180], v[179:180], v[181:182], v[179:180]
	v_fma_f64 v[181:182], -v[175:176], v[179:180], 1.0
	v_fma_f64 v[179:180], v[179:180], v[181:182], v[179:180]
	v_div_scale_f64 v[181:182], vcc_lo, 1.0, v[173:174], 1.0
	v_mul_f64 v[183:184], v[181:182], v[179:180]
	v_fma_f64 v[175:176], -v[175:176], v[183:184], v[181:182]
	v_div_fmas_f64 v[175:176], v[175:176], v[179:180], v[183:184]
	v_div_fixup_f64 v[179:180], v[175:176], v[173:174], 1.0
                                        ; implicit-def: $vgpr173_vgpr174
	v_mul_f64 v[177:178], v[177:178], v[179:180]
	v_xor_b32_e32 v180, 0x80000000, v180
.LBB85_212:
	s_andn2_saveexec_b32 s1, s1
	s_cbranch_execz .LBB85_214
; %bb.213:
	v_div_scale_f64 v[177:178], null, v[173:174], v[173:174], v[175:176]
	v_div_scale_f64 v[183:184], vcc_lo, v[175:176], v[173:174], v[175:176]
	v_rcp_f64_e32 v[179:180], v[177:178]
	v_fma_f64 v[181:182], -v[177:178], v[179:180], 1.0
	v_fma_f64 v[179:180], v[179:180], v[181:182], v[179:180]
	v_fma_f64 v[181:182], -v[177:178], v[179:180], 1.0
	v_fma_f64 v[179:180], v[179:180], v[181:182], v[179:180]
	v_mul_f64 v[181:182], v[183:184], v[179:180]
	v_fma_f64 v[177:178], -v[177:178], v[181:182], v[183:184]
	v_div_fmas_f64 v[177:178], v[177:178], v[179:180], v[181:182]
	v_div_fixup_f64 v[179:180], v[177:178], v[173:174], v[175:176]
	v_fma_f64 v[173:174], v[175:176], v[179:180], v[173:174]
	v_div_scale_f64 v[175:176], null, v[173:174], v[173:174], 1.0
	v_rcp_f64_e32 v[177:178], v[175:176]
	v_fma_f64 v[181:182], -v[175:176], v[177:178], 1.0
	v_fma_f64 v[177:178], v[177:178], v[181:182], v[177:178]
	v_fma_f64 v[181:182], -v[175:176], v[177:178], 1.0
	v_fma_f64 v[177:178], v[177:178], v[181:182], v[177:178]
	v_div_scale_f64 v[181:182], vcc_lo, 1.0, v[173:174], 1.0
	v_mul_f64 v[183:184], v[181:182], v[177:178]
	v_fma_f64 v[175:176], -v[175:176], v[183:184], v[181:182]
	v_div_fmas_f64 v[175:176], v[175:176], v[177:178], v[183:184]
	v_div_fixup_f64 v[177:178], v[175:176], v[173:174], 1.0
	v_mul_f64 v[179:180], v[179:180], -v[177:178]
.LBB85_214:
	s_or_b32 exec_lo, exec_lo, s1
	ds_write2_b64 v255, v[177:178], v[179:180] offset1:1
.LBB85_215:
	s_or_b32 exec_lo, exec_lo, s2
	s_waitcnt lgkmcnt(0)
	s_barrier
	buffer_gl0_inv
	ds_read2_b64 v[37:40], v255 offset1:1
	s_mov_b32 s1, exec_lo
	s_waitcnt lgkmcnt(0)
	buffer_store_dword v37, off, s[16:19], 0 offset:632 ; 4-byte Folded Spill
	buffer_store_dword v38, off, s[16:19], 0 offset:636 ; 4-byte Folded Spill
	;; [unrolled: 1-line block ×4, first 2 shown]
	v_cmpx_lt_u32_e32 23, v0
	s_cbranch_execz .LBB85_217
; %bb.216:
	s_clause 0x3
	buffer_load_dword v37, off, s[16:19], 0 offset:632
	buffer_load_dword v38, off, s[16:19], 0 offset:636
	;; [unrolled: 1-line block ×4, first 2 shown]
	ds_read2_b64 v[175:178], v253 offset0:48 offset1:49
	s_waitcnt vmcnt(0)
	v_mul_f64 v[173:174], v[39:40], v[79:80]
	v_mul_f64 v[79:80], v[37:38], v[79:80]
	v_fma_f64 v[173:174], v[37:38], v[77:78], -v[173:174]
	v_fma_f64 v[79:80], v[39:40], v[77:78], v[79:80]
	s_clause 0x3
	buffer_load_dword v37, off, s[16:19], 0 offset:112
	buffer_load_dword v38, off, s[16:19], 0 offset:116
	buffer_load_dword v39, off, s[16:19], 0 offset:120
	buffer_load_dword v40, off, s[16:19], 0 offset:124
	s_waitcnt lgkmcnt(0)
	v_mul_f64 v[77:78], v[177:178], v[79:80]
	v_fma_f64 v[77:78], v[175:176], v[173:174], -v[77:78]
	v_mul_f64 v[175:176], v[175:176], v[79:80]
	v_fma_f64 v[175:176], v[177:178], v[173:174], v[175:176]
	s_waitcnt vmcnt(2)
	v_add_f64 v[37:38], v[37:38], -v[77:78]
	s_waitcnt vmcnt(0)
	v_add_f64 v[39:40], v[39:40], -v[175:176]
	buffer_store_dword v37, off, s[16:19], 0 offset:112 ; 4-byte Folded Spill
	buffer_store_dword v38, off, s[16:19], 0 offset:116 ; 4-byte Folded Spill
	buffer_store_dword v39, off, s[16:19], 0 offset:120 ; 4-byte Folded Spill
	buffer_store_dword v40, off, s[16:19], 0 offset:124 ; 4-byte Folded Spill
	ds_read2_b64 v[175:178], v253 offset0:50 offset1:51
	s_clause 0x3
	buffer_load_dword v37, off, s[16:19], 0 offset:96
	buffer_load_dword v38, off, s[16:19], 0 offset:100
	buffer_load_dword v39, off, s[16:19], 0 offset:104
	buffer_load_dword v40, off, s[16:19], 0 offset:108
	s_waitcnt lgkmcnt(0)
	v_mul_f64 v[77:78], v[177:178], v[79:80]
	v_fma_f64 v[77:78], v[175:176], v[173:174], -v[77:78]
	v_mul_f64 v[175:176], v[175:176], v[79:80]
	v_fma_f64 v[175:176], v[177:178], v[173:174], v[175:176]
	s_waitcnt vmcnt(2)
	v_add_f64 v[37:38], v[37:38], -v[77:78]
	s_waitcnt vmcnt(0)
	v_add_f64 v[39:40], v[39:40], -v[175:176]
	buffer_store_dword v37, off, s[16:19], 0 offset:96 ; 4-byte Folded Spill
	buffer_store_dword v38, off, s[16:19], 0 offset:100 ; 4-byte Folded Spill
	buffer_store_dword v39, off, s[16:19], 0 offset:104 ; 4-byte Folded Spill
	buffer_store_dword v40, off, s[16:19], 0 offset:108 ; 4-byte Folded Spill
	ds_read2_b64 v[175:178], v253 offset0:52 offset1:53
	;; [unrolled: 19-line block ×7, first 2 shown]
	s_clause 0x3
	buffer_load_dword v37, off, s[16:19], 0
	buffer_load_dword v38, off, s[16:19], 0 offset:4
	buffer_load_dword v39, off, s[16:19], 0 offset:8
	;; [unrolled: 1-line block ×3, first 2 shown]
	s_waitcnt lgkmcnt(0)
	v_mul_f64 v[77:78], v[177:178], v[79:80]
	v_fma_f64 v[77:78], v[175:176], v[173:174], -v[77:78]
	v_mul_f64 v[175:176], v[175:176], v[79:80]
	v_fma_f64 v[175:176], v[177:178], v[173:174], v[175:176]
	s_waitcnt vmcnt(2)
	v_add_f64 v[37:38], v[37:38], -v[77:78]
	s_waitcnt vmcnt(0)
	v_add_f64 v[39:40], v[39:40], -v[175:176]
	buffer_store_dword v37, off, s[16:19], 0 ; 4-byte Folded Spill
	buffer_store_dword v38, off, s[16:19], 0 offset:4 ; 4-byte Folded Spill
	buffer_store_dword v39, off, s[16:19], 0 offset:8 ; 4-byte Folded Spill
	;; [unrolled: 1-line block ×3, first 2 shown]
	ds_read2_b64 v[175:178], v253 offset0:64 offset1:65
	s_waitcnt lgkmcnt(0)
	v_mul_f64 v[77:78], v[177:178], v[79:80]
	v_fma_f64 v[77:78], v[175:176], v[173:174], -v[77:78]
	v_mul_f64 v[175:176], v[175:176], v[79:80]
	v_add_f64 v[233:234], v[233:234], -v[77:78]
	v_fma_f64 v[175:176], v[177:178], v[173:174], v[175:176]
	v_add_f64 v[235:236], v[235:236], -v[175:176]
	ds_read2_b64 v[175:178], v253 offset0:66 offset1:67
	s_waitcnt lgkmcnt(0)
	v_mul_f64 v[77:78], v[177:178], v[79:80]
	v_fma_f64 v[77:78], v[175:176], v[173:174], -v[77:78]
	v_mul_f64 v[175:176], v[175:176], v[79:80]
	v_add_f64 v[213:214], v[213:214], -v[77:78]
	v_fma_f64 v[175:176], v[177:178], v[173:174], v[175:176]
	v_add_f64 v[215:216], v[215:216], -v[175:176]
	;; [unrolled: 8-line block ×10, first 2 shown]
	ds_read2_b64 v[175:178], v253 offset0:84 offset1:85
	s_waitcnt lgkmcnt(0)
	v_mul_f64 v[77:78], v[177:178], v[79:80]
	v_fma_f64 v[77:78], v[175:176], v[173:174], -v[77:78]
	v_mul_f64 v[175:176], v[175:176], v[79:80]
	v_add_f64 v[1:2], v[1:2], -v[77:78]
	v_fma_f64 v[175:176], v[177:178], v[173:174], v[175:176]
	v_mov_b32_e32 v77, v173
	v_mov_b32_e32 v78, v174
	v_add_f64 v[3:4], v[3:4], -v[175:176]
.LBB85_217:
	s_or_b32 exec_lo, exec_lo, s1
	s_mov_b32 s2, exec_lo
	s_waitcnt_vscnt null, 0x0
	s_barrier
	buffer_gl0_inv
	v_cmpx_eq_u32_e32 24, v0
	s_cbranch_execz .LBB85_224
; %bb.218:
	s_clause 0x3
	buffer_load_dword v37, off, s[16:19], 0 offset:112
	buffer_load_dword v38, off, s[16:19], 0 offset:116
	;; [unrolled: 1-line block ×4, first 2 shown]
	s_waitcnt vmcnt(0)
	ds_write2_b64 v255, v[37:38], v[39:40] offset1:1
	s_clause 0x3
	buffer_load_dword v37, off, s[16:19], 0 offset:96
	buffer_load_dword v38, off, s[16:19], 0 offset:100
	buffer_load_dword v39, off, s[16:19], 0 offset:104
	buffer_load_dword v40, off, s[16:19], 0 offset:108
	s_waitcnt vmcnt(0)
	ds_write2_b64 v253, v[37:38], v[39:40] offset0:50 offset1:51
	s_clause 0x3
	buffer_load_dword v37, off, s[16:19], 0 offset:80
	buffer_load_dword v38, off, s[16:19], 0 offset:84
	buffer_load_dword v39, off, s[16:19], 0 offset:88
	buffer_load_dword v40, off, s[16:19], 0 offset:92
	s_waitcnt vmcnt(0)
	ds_write2_b64 v253, v[37:38], v[39:40] offset0:52 offset1:53
	;; [unrolled: 7-line block ×6, first 2 shown]
	s_clause 0x3
	buffer_load_dword v37, off, s[16:19], 0
	buffer_load_dword v38, off, s[16:19], 0 offset:4
	buffer_load_dword v39, off, s[16:19], 0 offset:8
	;; [unrolled: 1-line block ×3, first 2 shown]
	s_waitcnt vmcnt(0)
	ds_write2_b64 v253, v[37:38], v[39:40] offset0:62 offset1:63
	ds_write2_b64 v253, v[233:234], v[235:236] offset0:64 offset1:65
	;; [unrolled: 1-line block ×12, first 2 shown]
	ds_read2_b64 v[173:176], v255 offset1:1
	s_waitcnt lgkmcnt(0)
	v_cmp_neq_f64_e32 vcc_lo, 0, v[173:174]
	v_cmp_neq_f64_e64 s1, 0, v[175:176]
	s_or_b32 s1, vcc_lo, s1
	s_and_b32 exec_lo, exec_lo, s1
	s_cbranch_execz .LBB85_224
; %bb.219:
	v_cmp_ngt_f64_e64 s1, |v[173:174]|, |v[175:176]|
                                        ; implicit-def: $vgpr177_vgpr178
	s_and_saveexec_b32 s3, s1
	s_xor_b32 s1, exec_lo, s3
                                        ; implicit-def: $vgpr179_vgpr180
	s_cbranch_execz .LBB85_221
; %bb.220:
	v_div_scale_f64 v[177:178], null, v[175:176], v[175:176], v[173:174]
	v_div_scale_f64 v[183:184], vcc_lo, v[173:174], v[175:176], v[173:174]
	v_rcp_f64_e32 v[179:180], v[177:178]
	v_fma_f64 v[181:182], -v[177:178], v[179:180], 1.0
	v_fma_f64 v[179:180], v[179:180], v[181:182], v[179:180]
	v_fma_f64 v[181:182], -v[177:178], v[179:180], 1.0
	v_fma_f64 v[179:180], v[179:180], v[181:182], v[179:180]
	v_mul_f64 v[181:182], v[183:184], v[179:180]
	v_fma_f64 v[177:178], -v[177:178], v[181:182], v[183:184]
	v_div_fmas_f64 v[177:178], v[177:178], v[179:180], v[181:182]
	v_div_fixup_f64 v[177:178], v[177:178], v[175:176], v[173:174]
	v_fma_f64 v[173:174], v[173:174], v[177:178], v[175:176]
	v_div_scale_f64 v[175:176], null, v[173:174], v[173:174], 1.0
	v_rcp_f64_e32 v[179:180], v[175:176]
	v_fma_f64 v[181:182], -v[175:176], v[179:180], 1.0
	v_fma_f64 v[179:180], v[179:180], v[181:182], v[179:180]
	v_fma_f64 v[181:182], -v[175:176], v[179:180], 1.0
	v_fma_f64 v[179:180], v[179:180], v[181:182], v[179:180]
	v_div_scale_f64 v[181:182], vcc_lo, 1.0, v[173:174], 1.0
	v_mul_f64 v[183:184], v[181:182], v[179:180]
	v_fma_f64 v[175:176], -v[175:176], v[183:184], v[181:182]
	v_div_fmas_f64 v[175:176], v[175:176], v[179:180], v[183:184]
	v_div_fixup_f64 v[179:180], v[175:176], v[173:174], 1.0
                                        ; implicit-def: $vgpr173_vgpr174
	v_mul_f64 v[177:178], v[177:178], v[179:180]
	v_xor_b32_e32 v180, 0x80000000, v180
.LBB85_221:
	s_andn2_saveexec_b32 s1, s1
	s_cbranch_execz .LBB85_223
; %bb.222:
	v_div_scale_f64 v[177:178], null, v[173:174], v[173:174], v[175:176]
	v_div_scale_f64 v[183:184], vcc_lo, v[175:176], v[173:174], v[175:176]
	v_rcp_f64_e32 v[179:180], v[177:178]
	v_fma_f64 v[181:182], -v[177:178], v[179:180], 1.0
	v_fma_f64 v[179:180], v[179:180], v[181:182], v[179:180]
	v_fma_f64 v[181:182], -v[177:178], v[179:180], 1.0
	v_fma_f64 v[179:180], v[179:180], v[181:182], v[179:180]
	v_mul_f64 v[181:182], v[183:184], v[179:180]
	v_fma_f64 v[177:178], -v[177:178], v[181:182], v[183:184]
	v_div_fmas_f64 v[177:178], v[177:178], v[179:180], v[181:182]
	v_div_fixup_f64 v[179:180], v[177:178], v[173:174], v[175:176]
	v_fma_f64 v[173:174], v[175:176], v[179:180], v[173:174]
	v_div_scale_f64 v[175:176], null, v[173:174], v[173:174], 1.0
	v_rcp_f64_e32 v[177:178], v[175:176]
	v_fma_f64 v[181:182], -v[175:176], v[177:178], 1.0
	v_fma_f64 v[177:178], v[177:178], v[181:182], v[177:178]
	v_fma_f64 v[181:182], -v[175:176], v[177:178], 1.0
	v_fma_f64 v[177:178], v[177:178], v[181:182], v[177:178]
	v_div_scale_f64 v[181:182], vcc_lo, 1.0, v[173:174], 1.0
	v_mul_f64 v[183:184], v[181:182], v[177:178]
	v_fma_f64 v[175:176], -v[175:176], v[183:184], v[181:182]
	v_div_fmas_f64 v[175:176], v[175:176], v[177:178], v[183:184]
	v_div_fixup_f64 v[177:178], v[175:176], v[173:174], 1.0
	v_mul_f64 v[179:180], v[179:180], -v[177:178]
.LBB85_223:
	s_or_b32 exec_lo, exec_lo, s1
	ds_write2_b64 v255, v[177:178], v[179:180] offset1:1
.LBB85_224:
	s_or_b32 exec_lo, exec_lo, s2
	s_waitcnt lgkmcnt(0)
	s_barrier
	buffer_gl0_inv
	ds_read2_b64 v[37:40], v255 offset1:1
	s_mov_b32 s1, exec_lo
	s_waitcnt lgkmcnt(0)
	buffer_store_dword v37, off, s[16:19], 0 offset:648 ; 4-byte Folded Spill
	buffer_store_dword v38, off, s[16:19], 0 offset:652 ; 4-byte Folded Spill
	;; [unrolled: 1-line block ×4, first 2 shown]
	v_cmpx_lt_u32_e32 24, v0
	s_cbranch_execz .LBB85_226
; %bb.225:
	s_clause 0x7
	buffer_load_dword v37, off, s[16:19], 0 offset:648
	buffer_load_dword v38, off, s[16:19], 0 offset:652
	;; [unrolled: 1-line block ×8, first 2 shown]
	ds_read2_b64 v[175:178], v253 offset0:50 offset1:51
	s_waitcnt vmcnt(0)
	v_mul_f64 v[173:174], v[39:40], v[75:76]
	v_mul_f64 v[75:76], v[37:38], v[75:76]
	v_fma_f64 v[173:174], v[37:38], v[73:74], -v[173:174]
	v_fma_f64 v[75:76], v[39:40], v[73:74], v[75:76]
	s_clause 0x3
	buffer_load_dword v37, off, s[16:19], 0 offset:96
	buffer_load_dword v38, off, s[16:19], 0 offset:100
	buffer_load_dword v39, off, s[16:19], 0 offset:104
	buffer_load_dword v40, off, s[16:19], 0 offset:108
	s_waitcnt lgkmcnt(0)
	v_mul_f64 v[73:74], v[177:178], v[75:76]
	v_fma_f64 v[73:74], v[175:176], v[173:174], -v[73:74]
	v_mul_f64 v[175:176], v[175:176], v[75:76]
	v_fma_f64 v[175:176], v[177:178], v[173:174], v[175:176]
	s_waitcnt vmcnt(2)
	v_add_f64 v[37:38], v[37:38], -v[73:74]
	s_waitcnt vmcnt(0)
	v_add_f64 v[39:40], v[39:40], -v[175:176]
	buffer_store_dword v37, off, s[16:19], 0 offset:96 ; 4-byte Folded Spill
	buffer_store_dword v38, off, s[16:19], 0 offset:100 ; 4-byte Folded Spill
	buffer_store_dword v39, off, s[16:19], 0 offset:104 ; 4-byte Folded Spill
	buffer_store_dword v40, off, s[16:19], 0 offset:108 ; 4-byte Folded Spill
	ds_read2_b64 v[175:178], v253 offset0:52 offset1:53
	s_clause 0x3
	buffer_load_dword v37, off, s[16:19], 0 offset:80
	buffer_load_dword v38, off, s[16:19], 0 offset:84
	buffer_load_dword v39, off, s[16:19], 0 offset:88
	buffer_load_dword v40, off, s[16:19], 0 offset:92
	s_waitcnt lgkmcnt(0)
	v_mul_f64 v[73:74], v[177:178], v[75:76]
	v_fma_f64 v[73:74], v[175:176], v[173:174], -v[73:74]
	v_mul_f64 v[175:176], v[175:176], v[75:76]
	v_fma_f64 v[175:176], v[177:178], v[173:174], v[175:176]
	s_waitcnt vmcnt(2)
	v_add_f64 v[37:38], v[37:38], -v[73:74]
	s_waitcnt vmcnt(0)
	v_add_f64 v[39:40], v[39:40], -v[175:176]
	buffer_store_dword v37, off, s[16:19], 0 offset:80 ; 4-byte Folded Spill
	buffer_store_dword v38, off, s[16:19], 0 offset:84 ; 4-byte Folded Spill
	buffer_store_dword v39, off, s[16:19], 0 offset:88 ; 4-byte Folded Spill
	buffer_store_dword v40, off, s[16:19], 0 offset:92 ; 4-byte Folded Spill
	ds_read2_b64 v[175:178], v253 offset0:54 offset1:55
	;; [unrolled: 19-line block ×6, first 2 shown]
	s_clause 0x3
	buffer_load_dword v37, off, s[16:19], 0
	buffer_load_dword v38, off, s[16:19], 0 offset:4
	buffer_load_dword v39, off, s[16:19], 0 offset:8
	;; [unrolled: 1-line block ×3, first 2 shown]
	s_waitcnt lgkmcnt(0)
	v_mul_f64 v[73:74], v[177:178], v[75:76]
	v_fma_f64 v[73:74], v[175:176], v[173:174], -v[73:74]
	v_mul_f64 v[175:176], v[175:176], v[75:76]
	v_fma_f64 v[175:176], v[177:178], v[173:174], v[175:176]
	s_waitcnt vmcnt(2)
	v_add_f64 v[37:38], v[37:38], -v[73:74]
	s_waitcnt vmcnt(0)
	v_add_f64 v[39:40], v[39:40], -v[175:176]
	buffer_store_dword v37, off, s[16:19], 0 ; 4-byte Folded Spill
	buffer_store_dword v38, off, s[16:19], 0 offset:4 ; 4-byte Folded Spill
	buffer_store_dword v39, off, s[16:19], 0 offset:8 ; 4-byte Folded Spill
	buffer_store_dword v40, off, s[16:19], 0 offset:12 ; 4-byte Folded Spill
	ds_read2_b64 v[175:178], v253 offset0:64 offset1:65
	s_waitcnt lgkmcnt(0)
	v_mul_f64 v[73:74], v[177:178], v[75:76]
	v_fma_f64 v[73:74], v[175:176], v[173:174], -v[73:74]
	v_mul_f64 v[175:176], v[175:176], v[75:76]
	v_add_f64 v[233:234], v[233:234], -v[73:74]
	v_fma_f64 v[175:176], v[177:178], v[173:174], v[175:176]
	v_add_f64 v[235:236], v[235:236], -v[175:176]
	ds_read2_b64 v[175:178], v253 offset0:66 offset1:67
	s_waitcnt lgkmcnt(0)
	v_mul_f64 v[73:74], v[177:178], v[75:76]
	v_fma_f64 v[73:74], v[175:176], v[173:174], -v[73:74]
	v_mul_f64 v[175:176], v[175:176], v[75:76]
	v_add_f64 v[213:214], v[213:214], -v[73:74]
	v_fma_f64 v[175:176], v[177:178], v[173:174], v[175:176]
	v_add_f64 v[215:216], v[215:216], -v[175:176]
	;; [unrolled: 8-line block ×10, first 2 shown]
	ds_read2_b64 v[175:178], v253 offset0:84 offset1:85
	s_waitcnt lgkmcnt(0)
	v_mul_f64 v[73:74], v[177:178], v[75:76]
	v_fma_f64 v[73:74], v[175:176], v[173:174], -v[73:74]
	v_mul_f64 v[175:176], v[175:176], v[75:76]
	v_add_f64 v[1:2], v[1:2], -v[73:74]
	v_fma_f64 v[175:176], v[177:178], v[173:174], v[175:176]
	v_mov_b32_e32 v73, v173
	v_mov_b32_e32 v74, v174
	buffer_store_dword v73, off, s[16:19], 0 offset:112 ; 4-byte Folded Spill
	buffer_store_dword v74, off, s[16:19], 0 offset:116 ; 4-byte Folded Spill
	buffer_store_dword v75, off, s[16:19], 0 offset:120 ; 4-byte Folded Spill
	buffer_store_dword v76, off, s[16:19], 0 offset:124 ; 4-byte Folded Spill
	v_add_f64 v[3:4], v[3:4], -v[175:176]
.LBB85_226:
	s_or_b32 exec_lo, exec_lo, s1
	s_mov_b32 s2, exec_lo
	s_waitcnt_vscnt null, 0x0
	s_barrier
	buffer_gl0_inv
	v_cmpx_eq_u32_e32 25, v0
	s_cbranch_execz .LBB85_233
; %bb.227:
	s_clause 0x3
	buffer_load_dword v37, off, s[16:19], 0 offset:96
	buffer_load_dword v38, off, s[16:19], 0 offset:100
	;; [unrolled: 1-line block ×4, first 2 shown]
	s_waitcnt vmcnt(0)
	ds_write2_b64 v255, v[37:38], v[39:40] offset1:1
	s_clause 0x3
	buffer_load_dword v37, off, s[16:19], 0 offset:80
	buffer_load_dword v38, off, s[16:19], 0 offset:84
	buffer_load_dword v39, off, s[16:19], 0 offset:88
	buffer_load_dword v40, off, s[16:19], 0 offset:92
	s_waitcnt vmcnt(0)
	ds_write2_b64 v253, v[37:38], v[39:40] offset0:52 offset1:53
	s_clause 0x3
	buffer_load_dword v37, off, s[16:19], 0 offset:64
	buffer_load_dword v38, off, s[16:19], 0 offset:68
	buffer_load_dword v39, off, s[16:19], 0 offset:72
	buffer_load_dword v40, off, s[16:19], 0 offset:76
	s_waitcnt vmcnt(0)
	ds_write2_b64 v253, v[37:38], v[39:40] offset0:54 offset1:55
	;; [unrolled: 7-line block ×5, first 2 shown]
	s_clause 0x3
	buffer_load_dword v37, off, s[16:19], 0
	buffer_load_dword v38, off, s[16:19], 0 offset:4
	buffer_load_dword v39, off, s[16:19], 0 offset:8
	;; [unrolled: 1-line block ×3, first 2 shown]
	s_waitcnt vmcnt(0)
	ds_write2_b64 v253, v[37:38], v[39:40] offset0:62 offset1:63
	ds_write2_b64 v253, v[233:234], v[235:236] offset0:64 offset1:65
	;; [unrolled: 1-line block ×12, first 2 shown]
	ds_read2_b64 v[173:176], v255 offset1:1
	s_waitcnt lgkmcnt(0)
	v_cmp_neq_f64_e32 vcc_lo, 0, v[173:174]
	v_cmp_neq_f64_e64 s1, 0, v[175:176]
	s_or_b32 s1, vcc_lo, s1
	s_and_b32 exec_lo, exec_lo, s1
	s_cbranch_execz .LBB85_233
; %bb.228:
	v_cmp_ngt_f64_e64 s1, |v[173:174]|, |v[175:176]|
                                        ; implicit-def: $vgpr177_vgpr178
	s_and_saveexec_b32 s3, s1
	s_xor_b32 s1, exec_lo, s3
                                        ; implicit-def: $vgpr179_vgpr180
	s_cbranch_execz .LBB85_230
; %bb.229:
	v_div_scale_f64 v[177:178], null, v[175:176], v[175:176], v[173:174]
	v_div_scale_f64 v[183:184], vcc_lo, v[173:174], v[175:176], v[173:174]
	v_rcp_f64_e32 v[179:180], v[177:178]
	v_fma_f64 v[181:182], -v[177:178], v[179:180], 1.0
	v_fma_f64 v[179:180], v[179:180], v[181:182], v[179:180]
	v_fma_f64 v[181:182], -v[177:178], v[179:180], 1.0
	v_fma_f64 v[179:180], v[179:180], v[181:182], v[179:180]
	v_mul_f64 v[181:182], v[183:184], v[179:180]
	v_fma_f64 v[177:178], -v[177:178], v[181:182], v[183:184]
	v_div_fmas_f64 v[177:178], v[177:178], v[179:180], v[181:182]
	v_div_fixup_f64 v[177:178], v[177:178], v[175:176], v[173:174]
	v_fma_f64 v[173:174], v[173:174], v[177:178], v[175:176]
	v_div_scale_f64 v[175:176], null, v[173:174], v[173:174], 1.0
	v_rcp_f64_e32 v[179:180], v[175:176]
	v_fma_f64 v[181:182], -v[175:176], v[179:180], 1.0
	v_fma_f64 v[179:180], v[179:180], v[181:182], v[179:180]
	v_fma_f64 v[181:182], -v[175:176], v[179:180], 1.0
	v_fma_f64 v[179:180], v[179:180], v[181:182], v[179:180]
	v_div_scale_f64 v[181:182], vcc_lo, 1.0, v[173:174], 1.0
	v_mul_f64 v[183:184], v[181:182], v[179:180]
	v_fma_f64 v[175:176], -v[175:176], v[183:184], v[181:182]
	v_div_fmas_f64 v[175:176], v[175:176], v[179:180], v[183:184]
	v_div_fixup_f64 v[179:180], v[175:176], v[173:174], 1.0
                                        ; implicit-def: $vgpr173_vgpr174
	v_mul_f64 v[177:178], v[177:178], v[179:180]
	v_xor_b32_e32 v180, 0x80000000, v180
.LBB85_230:
	s_andn2_saveexec_b32 s1, s1
	s_cbranch_execz .LBB85_232
; %bb.231:
	v_div_scale_f64 v[177:178], null, v[173:174], v[173:174], v[175:176]
	v_div_scale_f64 v[183:184], vcc_lo, v[175:176], v[173:174], v[175:176]
	v_rcp_f64_e32 v[179:180], v[177:178]
	v_fma_f64 v[181:182], -v[177:178], v[179:180], 1.0
	v_fma_f64 v[179:180], v[179:180], v[181:182], v[179:180]
	v_fma_f64 v[181:182], -v[177:178], v[179:180], 1.0
	v_fma_f64 v[179:180], v[179:180], v[181:182], v[179:180]
	v_mul_f64 v[181:182], v[183:184], v[179:180]
	v_fma_f64 v[177:178], -v[177:178], v[181:182], v[183:184]
	v_div_fmas_f64 v[177:178], v[177:178], v[179:180], v[181:182]
	v_div_fixup_f64 v[179:180], v[177:178], v[173:174], v[175:176]
	v_fma_f64 v[173:174], v[175:176], v[179:180], v[173:174]
	v_div_scale_f64 v[175:176], null, v[173:174], v[173:174], 1.0
	v_rcp_f64_e32 v[177:178], v[175:176]
	v_fma_f64 v[181:182], -v[175:176], v[177:178], 1.0
	v_fma_f64 v[177:178], v[177:178], v[181:182], v[177:178]
	v_fma_f64 v[181:182], -v[175:176], v[177:178], 1.0
	v_fma_f64 v[177:178], v[177:178], v[181:182], v[177:178]
	v_div_scale_f64 v[181:182], vcc_lo, 1.0, v[173:174], 1.0
	v_mul_f64 v[183:184], v[181:182], v[177:178]
	v_fma_f64 v[175:176], -v[175:176], v[183:184], v[181:182]
	v_div_fmas_f64 v[175:176], v[175:176], v[177:178], v[183:184]
	v_div_fixup_f64 v[177:178], v[175:176], v[173:174], 1.0
	v_mul_f64 v[179:180], v[179:180], -v[177:178]
.LBB85_232:
	s_or_b32 exec_lo, exec_lo, s1
	ds_write2_b64 v255, v[177:178], v[179:180] offset1:1
.LBB85_233:
	s_or_b32 exec_lo, exec_lo, s2
	s_waitcnt lgkmcnt(0)
	s_barrier
	buffer_gl0_inv
	ds_read2_b64 v[37:40], v255 offset1:1
	s_mov_b32 s1, exec_lo
	s_waitcnt lgkmcnt(0)
	buffer_store_dword v37, off, s[16:19], 0 offset:664 ; 4-byte Folded Spill
	buffer_store_dword v38, off, s[16:19], 0 offset:668 ; 4-byte Folded Spill
	buffer_store_dword v39, off, s[16:19], 0 offset:672 ; 4-byte Folded Spill
	buffer_store_dword v40, off, s[16:19], 0 offset:676 ; 4-byte Folded Spill
	v_cmpx_lt_u32_e32 25, v0
	s_cbranch_execz .LBB85_235
; %bb.234:
	s_clause 0x7
	buffer_load_dword v37, off, s[16:19], 0 offset:664
	buffer_load_dword v38, off, s[16:19], 0 offset:668
	;; [unrolled: 1-line block ×8, first 2 shown]
	ds_read2_b64 v[175:178], v253 offset0:52 offset1:53
	s_waitcnt vmcnt(0)
	v_mul_f64 v[173:174], v[39:40], v[71:72]
	v_mul_f64 v[71:72], v[37:38], v[71:72]
	v_fma_f64 v[173:174], v[37:38], v[69:70], -v[173:174]
	v_fma_f64 v[71:72], v[39:40], v[69:70], v[71:72]
	s_clause 0x3
	buffer_load_dword v37, off, s[16:19], 0 offset:80
	buffer_load_dword v38, off, s[16:19], 0 offset:84
	buffer_load_dword v39, off, s[16:19], 0 offset:88
	buffer_load_dword v40, off, s[16:19], 0 offset:92
	s_waitcnt lgkmcnt(0)
	v_mul_f64 v[69:70], v[177:178], v[71:72]
	v_fma_f64 v[69:70], v[175:176], v[173:174], -v[69:70]
	v_mul_f64 v[175:176], v[175:176], v[71:72]
	v_fma_f64 v[175:176], v[177:178], v[173:174], v[175:176]
	s_waitcnt vmcnt(2)
	v_add_f64 v[37:38], v[37:38], -v[69:70]
	s_waitcnt vmcnt(0)
	v_add_f64 v[39:40], v[39:40], -v[175:176]
	buffer_store_dword v37, off, s[16:19], 0 offset:80 ; 4-byte Folded Spill
	buffer_store_dword v38, off, s[16:19], 0 offset:84 ; 4-byte Folded Spill
	buffer_store_dword v39, off, s[16:19], 0 offset:88 ; 4-byte Folded Spill
	buffer_store_dword v40, off, s[16:19], 0 offset:92 ; 4-byte Folded Spill
	ds_read2_b64 v[175:178], v253 offset0:54 offset1:55
	s_clause 0x3
	buffer_load_dword v37, off, s[16:19], 0 offset:64
	buffer_load_dword v38, off, s[16:19], 0 offset:68
	buffer_load_dword v39, off, s[16:19], 0 offset:72
	buffer_load_dword v40, off, s[16:19], 0 offset:76
	s_waitcnt lgkmcnt(0)
	v_mul_f64 v[69:70], v[177:178], v[71:72]
	v_fma_f64 v[69:70], v[175:176], v[173:174], -v[69:70]
	v_mul_f64 v[175:176], v[175:176], v[71:72]
	v_fma_f64 v[175:176], v[177:178], v[173:174], v[175:176]
	s_waitcnt vmcnt(2)
	v_add_f64 v[37:38], v[37:38], -v[69:70]
	s_waitcnt vmcnt(0)
	v_add_f64 v[39:40], v[39:40], -v[175:176]
	buffer_store_dword v37, off, s[16:19], 0 offset:64 ; 4-byte Folded Spill
	buffer_store_dword v38, off, s[16:19], 0 offset:68 ; 4-byte Folded Spill
	buffer_store_dword v39, off, s[16:19], 0 offset:72 ; 4-byte Folded Spill
	buffer_store_dword v40, off, s[16:19], 0 offset:76 ; 4-byte Folded Spill
	ds_read2_b64 v[175:178], v253 offset0:56 offset1:57
	;; [unrolled: 19-line block ×5, first 2 shown]
	s_clause 0x3
	buffer_load_dword v37, off, s[16:19], 0
	buffer_load_dword v38, off, s[16:19], 0 offset:4
	buffer_load_dword v39, off, s[16:19], 0 offset:8
	;; [unrolled: 1-line block ×3, first 2 shown]
	s_waitcnt lgkmcnt(0)
	v_mul_f64 v[69:70], v[177:178], v[71:72]
	v_fma_f64 v[69:70], v[175:176], v[173:174], -v[69:70]
	v_mul_f64 v[175:176], v[175:176], v[71:72]
	v_fma_f64 v[175:176], v[177:178], v[173:174], v[175:176]
	s_waitcnt vmcnt(2)
	v_add_f64 v[37:38], v[37:38], -v[69:70]
	s_waitcnt vmcnt(0)
	v_add_f64 v[39:40], v[39:40], -v[175:176]
	buffer_store_dword v37, off, s[16:19], 0 ; 4-byte Folded Spill
	buffer_store_dword v38, off, s[16:19], 0 offset:4 ; 4-byte Folded Spill
	buffer_store_dword v39, off, s[16:19], 0 offset:8 ; 4-byte Folded Spill
	;; [unrolled: 1-line block ×3, first 2 shown]
	ds_read2_b64 v[175:178], v253 offset0:64 offset1:65
	s_waitcnt lgkmcnt(0)
	v_mul_f64 v[69:70], v[177:178], v[71:72]
	v_fma_f64 v[69:70], v[175:176], v[173:174], -v[69:70]
	v_mul_f64 v[175:176], v[175:176], v[71:72]
	v_add_f64 v[233:234], v[233:234], -v[69:70]
	v_fma_f64 v[175:176], v[177:178], v[173:174], v[175:176]
	v_add_f64 v[235:236], v[235:236], -v[175:176]
	ds_read2_b64 v[175:178], v253 offset0:66 offset1:67
	s_waitcnt lgkmcnt(0)
	v_mul_f64 v[69:70], v[177:178], v[71:72]
	v_fma_f64 v[69:70], v[175:176], v[173:174], -v[69:70]
	v_mul_f64 v[175:176], v[175:176], v[71:72]
	v_add_f64 v[213:214], v[213:214], -v[69:70]
	v_fma_f64 v[175:176], v[177:178], v[173:174], v[175:176]
	v_add_f64 v[215:216], v[215:216], -v[175:176]
	ds_read2_b64 v[175:178], v253 offset0:68 offset1:69
	s_waitcnt lgkmcnt(0)
	v_mul_f64 v[69:70], v[177:178], v[71:72]
	v_fma_f64 v[69:70], v[175:176], v[173:174], -v[69:70]
	v_mul_f64 v[175:176], v[175:176], v[71:72]
	v_add_f64 v[33:34], v[33:34], -v[69:70]
	v_fma_f64 v[175:176], v[177:178], v[173:174], v[175:176]
	v_add_f64 v[35:36], v[35:36], -v[175:176]
	ds_read2_b64 v[175:178], v253 offset0:70 offset1:71
	s_waitcnt lgkmcnt(0)
	v_mul_f64 v[69:70], v[177:178], v[71:72]
	v_fma_f64 v[69:70], v[175:176], v[173:174], -v[69:70]
	v_mul_f64 v[175:176], v[175:176], v[71:72]
	v_add_f64 v[29:30], v[29:30], -v[69:70]
	v_fma_f64 v[175:176], v[177:178], v[173:174], v[175:176]
	v_add_f64 v[31:32], v[31:32], -v[175:176]
	ds_read2_b64 v[175:178], v253 offset0:72 offset1:73
	s_waitcnt lgkmcnt(0)
	v_mul_f64 v[69:70], v[177:178], v[71:72]
	v_fma_f64 v[69:70], v[175:176], v[173:174], -v[69:70]
	v_mul_f64 v[175:176], v[175:176], v[71:72]
	v_add_f64 v[25:26], v[25:26], -v[69:70]
	v_fma_f64 v[175:176], v[177:178], v[173:174], v[175:176]
	v_add_f64 v[27:28], v[27:28], -v[175:176]
	ds_read2_b64 v[175:178], v253 offset0:74 offset1:75
	s_waitcnt lgkmcnt(0)
	v_mul_f64 v[69:70], v[177:178], v[71:72]
	v_fma_f64 v[69:70], v[175:176], v[173:174], -v[69:70]
	v_mul_f64 v[175:176], v[175:176], v[71:72]
	v_add_f64 v[21:22], v[21:22], -v[69:70]
	v_fma_f64 v[175:176], v[177:178], v[173:174], v[175:176]
	v_add_f64 v[23:24], v[23:24], -v[175:176]
	ds_read2_b64 v[175:178], v253 offset0:76 offset1:77
	s_waitcnt lgkmcnt(0)
	v_mul_f64 v[69:70], v[177:178], v[71:72]
	v_fma_f64 v[69:70], v[175:176], v[173:174], -v[69:70]
	v_mul_f64 v[175:176], v[175:176], v[71:72]
	v_add_f64 v[17:18], v[17:18], -v[69:70]
	v_fma_f64 v[175:176], v[177:178], v[173:174], v[175:176]
	v_add_f64 v[19:20], v[19:20], -v[175:176]
	ds_read2_b64 v[175:178], v253 offset0:78 offset1:79
	s_waitcnt lgkmcnt(0)
	v_mul_f64 v[69:70], v[177:178], v[71:72]
	v_fma_f64 v[69:70], v[175:176], v[173:174], -v[69:70]
	v_mul_f64 v[175:176], v[175:176], v[71:72]
	v_add_f64 v[13:14], v[13:14], -v[69:70]
	v_fma_f64 v[175:176], v[177:178], v[173:174], v[175:176]
	v_add_f64 v[15:16], v[15:16], -v[175:176]
	ds_read2_b64 v[175:178], v253 offset0:80 offset1:81
	s_waitcnt lgkmcnt(0)
	v_mul_f64 v[69:70], v[177:178], v[71:72]
	v_fma_f64 v[69:70], v[175:176], v[173:174], -v[69:70]
	v_mul_f64 v[175:176], v[175:176], v[71:72]
	v_add_f64 v[9:10], v[9:10], -v[69:70]
	v_fma_f64 v[175:176], v[177:178], v[173:174], v[175:176]
	v_add_f64 v[11:12], v[11:12], -v[175:176]
	ds_read2_b64 v[175:178], v253 offset0:82 offset1:83
	s_waitcnt lgkmcnt(0)
	v_mul_f64 v[69:70], v[177:178], v[71:72]
	v_fma_f64 v[69:70], v[175:176], v[173:174], -v[69:70]
	v_mul_f64 v[175:176], v[175:176], v[71:72]
	v_add_f64 v[5:6], v[5:6], -v[69:70]
	v_fma_f64 v[175:176], v[177:178], v[173:174], v[175:176]
	v_add_f64 v[7:8], v[7:8], -v[175:176]
	ds_read2_b64 v[175:178], v253 offset0:84 offset1:85
	s_waitcnt lgkmcnt(0)
	v_mul_f64 v[69:70], v[177:178], v[71:72]
	v_fma_f64 v[69:70], v[175:176], v[173:174], -v[69:70]
	v_mul_f64 v[175:176], v[175:176], v[71:72]
	v_add_f64 v[1:2], v[1:2], -v[69:70]
	v_fma_f64 v[175:176], v[177:178], v[173:174], v[175:176]
	v_mov_b32_e32 v69, v173
	v_mov_b32_e32 v70, v174
	buffer_store_dword v69, off, s[16:19], 0 offset:96 ; 4-byte Folded Spill
	buffer_store_dword v70, off, s[16:19], 0 offset:100 ; 4-byte Folded Spill
	;; [unrolled: 1-line block ×4, first 2 shown]
	v_add_f64 v[3:4], v[3:4], -v[175:176]
.LBB85_235:
	s_or_b32 exec_lo, exec_lo, s1
	s_mov_b32 s2, exec_lo
	s_waitcnt_vscnt null, 0x0
	s_barrier
	buffer_gl0_inv
	v_cmpx_eq_u32_e32 26, v0
	s_cbranch_execz .LBB85_242
; %bb.236:
	s_clause 0x3
	buffer_load_dword v37, off, s[16:19], 0 offset:80
	buffer_load_dword v38, off, s[16:19], 0 offset:84
	;; [unrolled: 1-line block ×4, first 2 shown]
	s_waitcnt vmcnt(0)
	ds_write2_b64 v255, v[37:38], v[39:40] offset1:1
	s_clause 0x3
	buffer_load_dword v37, off, s[16:19], 0 offset:64
	buffer_load_dword v38, off, s[16:19], 0 offset:68
	buffer_load_dword v39, off, s[16:19], 0 offset:72
	buffer_load_dword v40, off, s[16:19], 0 offset:76
	s_waitcnt vmcnt(0)
	ds_write2_b64 v253, v[37:38], v[39:40] offset0:54 offset1:55
	s_clause 0x3
	buffer_load_dword v37, off, s[16:19], 0 offset:48
	buffer_load_dword v38, off, s[16:19], 0 offset:52
	buffer_load_dword v39, off, s[16:19], 0 offset:56
	buffer_load_dword v40, off, s[16:19], 0 offset:60
	s_waitcnt vmcnt(0)
	ds_write2_b64 v253, v[37:38], v[39:40] offset0:56 offset1:57
	;; [unrolled: 7-line block ×4, first 2 shown]
	s_clause 0x3
	buffer_load_dword v37, off, s[16:19], 0
	buffer_load_dword v38, off, s[16:19], 0 offset:4
	buffer_load_dword v39, off, s[16:19], 0 offset:8
	;; [unrolled: 1-line block ×3, first 2 shown]
	s_waitcnt vmcnt(0)
	ds_write2_b64 v253, v[37:38], v[39:40] offset0:62 offset1:63
	ds_write2_b64 v253, v[233:234], v[235:236] offset0:64 offset1:65
	;; [unrolled: 1-line block ×12, first 2 shown]
	ds_read2_b64 v[173:176], v255 offset1:1
	s_waitcnt lgkmcnt(0)
	v_cmp_neq_f64_e32 vcc_lo, 0, v[173:174]
	v_cmp_neq_f64_e64 s1, 0, v[175:176]
	s_or_b32 s1, vcc_lo, s1
	s_and_b32 exec_lo, exec_lo, s1
	s_cbranch_execz .LBB85_242
; %bb.237:
	v_cmp_ngt_f64_e64 s1, |v[173:174]|, |v[175:176]|
                                        ; implicit-def: $vgpr177_vgpr178
	s_and_saveexec_b32 s3, s1
	s_xor_b32 s1, exec_lo, s3
                                        ; implicit-def: $vgpr179_vgpr180
	s_cbranch_execz .LBB85_239
; %bb.238:
	v_div_scale_f64 v[177:178], null, v[175:176], v[175:176], v[173:174]
	v_div_scale_f64 v[183:184], vcc_lo, v[173:174], v[175:176], v[173:174]
	v_rcp_f64_e32 v[179:180], v[177:178]
	v_fma_f64 v[181:182], -v[177:178], v[179:180], 1.0
	v_fma_f64 v[179:180], v[179:180], v[181:182], v[179:180]
	v_fma_f64 v[181:182], -v[177:178], v[179:180], 1.0
	v_fma_f64 v[179:180], v[179:180], v[181:182], v[179:180]
	v_mul_f64 v[181:182], v[183:184], v[179:180]
	v_fma_f64 v[177:178], -v[177:178], v[181:182], v[183:184]
	v_div_fmas_f64 v[177:178], v[177:178], v[179:180], v[181:182]
	v_div_fixup_f64 v[177:178], v[177:178], v[175:176], v[173:174]
	v_fma_f64 v[173:174], v[173:174], v[177:178], v[175:176]
	v_div_scale_f64 v[175:176], null, v[173:174], v[173:174], 1.0
	v_rcp_f64_e32 v[179:180], v[175:176]
	v_fma_f64 v[181:182], -v[175:176], v[179:180], 1.0
	v_fma_f64 v[179:180], v[179:180], v[181:182], v[179:180]
	v_fma_f64 v[181:182], -v[175:176], v[179:180], 1.0
	v_fma_f64 v[179:180], v[179:180], v[181:182], v[179:180]
	v_div_scale_f64 v[181:182], vcc_lo, 1.0, v[173:174], 1.0
	v_mul_f64 v[183:184], v[181:182], v[179:180]
	v_fma_f64 v[175:176], -v[175:176], v[183:184], v[181:182]
	v_div_fmas_f64 v[175:176], v[175:176], v[179:180], v[183:184]
	v_div_fixup_f64 v[179:180], v[175:176], v[173:174], 1.0
                                        ; implicit-def: $vgpr173_vgpr174
	v_mul_f64 v[177:178], v[177:178], v[179:180]
	v_xor_b32_e32 v180, 0x80000000, v180
.LBB85_239:
	s_andn2_saveexec_b32 s1, s1
	s_cbranch_execz .LBB85_241
; %bb.240:
	v_div_scale_f64 v[177:178], null, v[173:174], v[173:174], v[175:176]
	v_div_scale_f64 v[183:184], vcc_lo, v[175:176], v[173:174], v[175:176]
	v_rcp_f64_e32 v[179:180], v[177:178]
	v_fma_f64 v[181:182], -v[177:178], v[179:180], 1.0
	v_fma_f64 v[179:180], v[179:180], v[181:182], v[179:180]
	v_fma_f64 v[181:182], -v[177:178], v[179:180], 1.0
	v_fma_f64 v[179:180], v[179:180], v[181:182], v[179:180]
	v_mul_f64 v[181:182], v[183:184], v[179:180]
	v_fma_f64 v[177:178], -v[177:178], v[181:182], v[183:184]
	v_div_fmas_f64 v[177:178], v[177:178], v[179:180], v[181:182]
	v_div_fixup_f64 v[179:180], v[177:178], v[173:174], v[175:176]
	v_fma_f64 v[173:174], v[175:176], v[179:180], v[173:174]
	v_div_scale_f64 v[175:176], null, v[173:174], v[173:174], 1.0
	v_rcp_f64_e32 v[177:178], v[175:176]
	v_fma_f64 v[181:182], -v[175:176], v[177:178], 1.0
	v_fma_f64 v[177:178], v[177:178], v[181:182], v[177:178]
	v_fma_f64 v[181:182], -v[175:176], v[177:178], 1.0
	v_fma_f64 v[177:178], v[177:178], v[181:182], v[177:178]
	v_div_scale_f64 v[181:182], vcc_lo, 1.0, v[173:174], 1.0
	v_mul_f64 v[183:184], v[181:182], v[177:178]
	v_fma_f64 v[175:176], -v[175:176], v[183:184], v[181:182]
	v_div_fmas_f64 v[175:176], v[175:176], v[177:178], v[183:184]
	v_div_fixup_f64 v[177:178], v[175:176], v[173:174], 1.0
	v_mul_f64 v[179:180], v[179:180], -v[177:178]
.LBB85_241:
	s_or_b32 exec_lo, exec_lo, s1
	ds_write2_b64 v255, v[177:178], v[179:180] offset1:1
.LBB85_242:
	s_or_b32 exec_lo, exec_lo, s2
	s_waitcnt lgkmcnt(0)
	s_barrier
	buffer_gl0_inv
	ds_read2_b64 v[37:40], v255 offset1:1
	s_mov_b32 s1, exec_lo
	s_waitcnt lgkmcnt(0)
	buffer_store_dword v37, off, s[16:19], 0 offset:680 ; 4-byte Folded Spill
	buffer_store_dword v38, off, s[16:19], 0 offset:684 ; 4-byte Folded Spill
	;; [unrolled: 1-line block ×4, first 2 shown]
	v_cmpx_lt_u32_e32 26, v0
	s_cbranch_execz .LBB85_244
; %bb.243:
	s_clause 0x7
	buffer_load_dword v37, off, s[16:19], 0 offset:680
	buffer_load_dword v38, off, s[16:19], 0 offset:684
	;; [unrolled: 1-line block ×8, first 2 shown]
	ds_read2_b64 v[175:178], v253 offset0:54 offset1:55
	s_waitcnt vmcnt(0)
	v_mul_f64 v[173:174], v[37:38], v[67:68]
	v_mul_f64 v[67:68], v[39:40], v[67:68]
	v_fma_f64 v[173:174], v[39:40], v[65:66], v[173:174]
	v_fma_f64 v[65:66], v[37:38], v[65:66], -v[67:68]
	s_clause 0x3
	buffer_load_dword v37, off, s[16:19], 0 offset:64
	buffer_load_dword v38, off, s[16:19], 0 offset:68
	buffer_load_dword v39, off, s[16:19], 0 offset:72
	buffer_load_dword v40, off, s[16:19], 0 offset:76
	s_waitcnt lgkmcnt(0)
	v_mul_f64 v[67:68], v[177:178], v[173:174]
	v_fma_f64 v[67:68], v[175:176], v[65:66], -v[67:68]
	v_mul_f64 v[175:176], v[175:176], v[173:174]
	v_fma_f64 v[175:176], v[177:178], v[65:66], v[175:176]
	s_waitcnt vmcnt(2)
	v_add_f64 v[37:38], v[37:38], -v[67:68]
	s_waitcnt vmcnt(0)
	v_add_f64 v[39:40], v[39:40], -v[175:176]
	buffer_store_dword v37, off, s[16:19], 0 offset:64 ; 4-byte Folded Spill
	buffer_store_dword v38, off, s[16:19], 0 offset:68 ; 4-byte Folded Spill
	buffer_store_dword v39, off, s[16:19], 0 offset:72 ; 4-byte Folded Spill
	buffer_store_dword v40, off, s[16:19], 0 offset:76 ; 4-byte Folded Spill
	ds_read2_b64 v[175:178], v253 offset0:56 offset1:57
	s_clause 0x3
	buffer_load_dword v37, off, s[16:19], 0 offset:48
	buffer_load_dword v38, off, s[16:19], 0 offset:52
	buffer_load_dword v39, off, s[16:19], 0 offset:56
	buffer_load_dword v40, off, s[16:19], 0 offset:60
	s_waitcnt lgkmcnt(0)
	v_mul_f64 v[67:68], v[177:178], v[173:174]
	v_fma_f64 v[67:68], v[175:176], v[65:66], -v[67:68]
	v_mul_f64 v[175:176], v[175:176], v[173:174]
	v_fma_f64 v[175:176], v[177:178], v[65:66], v[175:176]
	s_waitcnt vmcnt(2)
	v_add_f64 v[37:38], v[37:38], -v[67:68]
	s_waitcnt vmcnt(0)
	v_add_f64 v[39:40], v[39:40], -v[175:176]
	buffer_store_dword v37, off, s[16:19], 0 offset:48 ; 4-byte Folded Spill
	buffer_store_dword v38, off, s[16:19], 0 offset:52 ; 4-byte Folded Spill
	buffer_store_dword v39, off, s[16:19], 0 offset:56 ; 4-byte Folded Spill
	buffer_store_dword v40, off, s[16:19], 0 offset:60 ; 4-byte Folded Spill
	ds_read2_b64 v[175:178], v253 offset0:58 offset1:59
	;; [unrolled: 19-line block ×4, first 2 shown]
	s_clause 0x3
	buffer_load_dword v37, off, s[16:19], 0
	buffer_load_dword v38, off, s[16:19], 0 offset:4
	buffer_load_dword v39, off, s[16:19], 0 offset:8
	;; [unrolled: 1-line block ×3, first 2 shown]
	s_waitcnt lgkmcnt(0)
	v_mul_f64 v[67:68], v[177:178], v[173:174]
	v_fma_f64 v[67:68], v[175:176], v[65:66], -v[67:68]
	v_mul_f64 v[175:176], v[175:176], v[173:174]
	v_fma_f64 v[175:176], v[177:178], v[65:66], v[175:176]
	s_waitcnt vmcnt(2)
	v_add_f64 v[37:38], v[37:38], -v[67:68]
	s_waitcnt vmcnt(0)
	v_add_f64 v[39:40], v[39:40], -v[175:176]
	buffer_store_dword v37, off, s[16:19], 0 ; 4-byte Folded Spill
	buffer_store_dword v38, off, s[16:19], 0 offset:4 ; 4-byte Folded Spill
	buffer_store_dword v39, off, s[16:19], 0 offset:8 ; 4-byte Folded Spill
	;; [unrolled: 1-line block ×3, first 2 shown]
	ds_read2_b64 v[175:178], v253 offset0:64 offset1:65
	s_waitcnt lgkmcnt(0)
	v_mul_f64 v[67:68], v[177:178], v[173:174]
	v_fma_f64 v[67:68], v[175:176], v[65:66], -v[67:68]
	v_mul_f64 v[175:176], v[175:176], v[173:174]
	v_add_f64 v[233:234], v[233:234], -v[67:68]
	v_fma_f64 v[175:176], v[177:178], v[65:66], v[175:176]
	v_add_f64 v[235:236], v[235:236], -v[175:176]
	ds_read2_b64 v[175:178], v253 offset0:66 offset1:67
	s_waitcnt lgkmcnt(0)
	v_mul_f64 v[67:68], v[177:178], v[173:174]
	v_fma_f64 v[67:68], v[175:176], v[65:66], -v[67:68]
	v_mul_f64 v[175:176], v[175:176], v[173:174]
	v_add_f64 v[213:214], v[213:214], -v[67:68]
	v_fma_f64 v[175:176], v[177:178], v[65:66], v[175:176]
	v_add_f64 v[215:216], v[215:216], -v[175:176]
	;; [unrolled: 8-line block ×10, first 2 shown]
	ds_read2_b64 v[175:178], v253 offset0:84 offset1:85
	s_waitcnt lgkmcnt(0)
	v_mul_f64 v[67:68], v[177:178], v[173:174]
	v_fma_f64 v[67:68], v[175:176], v[65:66], -v[67:68]
	v_mul_f64 v[175:176], v[175:176], v[173:174]
	v_add_f64 v[1:2], v[1:2], -v[67:68]
	v_fma_f64 v[175:176], v[177:178], v[65:66], v[175:176]
	v_mov_b32_e32 v67, v173
	v_mov_b32_e32 v68, v174
	buffer_store_dword v65, off, s[16:19], 0 offset:80 ; 4-byte Folded Spill
	buffer_store_dword v66, off, s[16:19], 0 offset:84 ; 4-byte Folded Spill
	;; [unrolled: 1-line block ×4, first 2 shown]
	v_add_f64 v[3:4], v[3:4], -v[175:176]
.LBB85_244:
	s_or_b32 exec_lo, exec_lo, s1
	s_mov_b32 s2, exec_lo
	s_waitcnt_vscnt null, 0x0
	s_barrier
	buffer_gl0_inv
	v_cmpx_eq_u32_e32 27, v0
	s_cbranch_execz .LBB85_251
; %bb.245:
	s_clause 0x3
	buffer_load_dword v37, off, s[16:19], 0 offset:64
	buffer_load_dword v38, off, s[16:19], 0 offset:68
	;; [unrolled: 1-line block ×4, first 2 shown]
	s_waitcnt vmcnt(0)
	ds_write2_b64 v255, v[37:38], v[39:40] offset1:1
	s_clause 0x3
	buffer_load_dword v37, off, s[16:19], 0 offset:48
	buffer_load_dword v38, off, s[16:19], 0 offset:52
	buffer_load_dword v39, off, s[16:19], 0 offset:56
	buffer_load_dword v40, off, s[16:19], 0 offset:60
	s_waitcnt vmcnt(0)
	ds_write2_b64 v253, v[37:38], v[39:40] offset0:56 offset1:57
	s_clause 0x3
	buffer_load_dword v37, off, s[16:19], 0 offset:32
	buffer_load_dword v38, off, s[16:19], 0 offset:36
	buffer_load_dword v39, off, s[16:19], 0 offset:40
	buffer_load_dword v40, off, s[16:19], 0 offset:44
	s_waitcnt vmcnt(0)
	ds_write2_b64 v253, v[37:38], v[39:40] offset0:58 offset1:59
	;; [unrolled: 7-line block ×3, first 2 shown]
	s_clause 0x3
	buffer_load_dword v37, off, s[16:19], 0
	buffer_load_dword v38, off, s[16:19], 0 offset:4
	buffer_load_dword v39, off, s[16:19], 0 offset:8
	;; [unrolled: 1-line block ×3, first 2 shown]
	s_waitcnt vmcnt(0)
	ds_write2_b64 v253, v[37:38], v[39:40] offset0:62 offset1:63
	ds_write2_b64 v253, v[233:234], v[235:236] offset0:64 offset1:65
	ds_write2_b64 v253, v[213:214], v[215:216] offset0:66 offset1:67
	ds_write2_b64 v253, v[33:34], v[35:36] offset0:68 offset1:69
	ds_write2_b64 v253, v[29:30], v[31:32] offset0:70 offset1:71
	ds_write2_b64 v253, v[25:26], v[27:28] offset0:72 offset1:73
	ds_write2_b64 v253, v[21:22], v[23:24] offset0:74 offset1:75
	ds_write2_b64 v253, v[17:18], v[19:20] offset0:76 offset1:77
	ds_write2_b64 v253, v[13:14], v[15:16] offset0:78 offset1:79
	ds_write2_b64 v253, v[9:10], v[11:12] offset0:80 offset1:81
	ds_write2_b64 v253, v[5:6], v[7:8] offset0:82 offset1:83
	ds_write2_b64 v253, v[1:2], v[3:4] offset0:84 offset1:85
	ds_read2_b64 v[173:176], v255 offset1:1
	s_waitcnt lgkmcnt(0)
	v_cmp_neq_f64_e32 vcc_lo, 0, v[173:174]
	v_cmp_neq_f64_e64 s1, 0, v[175:176]
	s_or_b32 s1, vcc_lo, s1
	s_and_b32 exec_lo, exec_lo, s1
	s_cbranch_execz .LBB85_251
; %bb.246:
	v_cmp_ngt_f64_e64 s1, |v[173:174]|, |v[175:176]|
                                        ; implicit-def: $vgpr177_vgpr178
	s_and_saveexec_b32 s3, s1
	s_xor_b32 s1, exec_lo, s3
                                        ; implicit-def: $vgpr179_vgpr180
	s_cbranch_execz .LBB85_248
; %bb.247:
	v_div_scale_f64 v[177:178], null, v[175:176], v[175:176], v[173:174]
	v_div_scale_f64 v[183:184], vcc_lo, v[173:174], v[175:176], v[173:174]
	v_rcp_f64_e32 v[179:180], v[177:178]
	v_fma_f64 v[181:182], -v[177:178], v[179:180], 1.0
	v_fma_f64 v[179:180], v[179:180], v[181:182], v[179:180]
	v_fma_f64 v[181:182], -v[177:178], v[179:180], 1.0
	v_fma_f64 v[179:180], v[179:180], v[181:182], v[179:180]
	v_mul_f64 v[181:182], v[183:184], v[179:180]
	v_fma_f64 v[177:178], -v[177:178], v[181:182], v[183:184]
	v_div_fmas_f64 v[177:178], v[177:178], v[179:180], v[181:182]
	v_div_fixup_f64 v[177:178], v[177:178], v[175:176], v[173:174]
	v_fma_f64 v[173:174], v[173:174], v[177:178], v[175:176]
	v_div_scale_f64 v[175:176], null, v[173:174], v[173:174], 1.0
	v_rcp_f64_e32 v[179:180], v[175:176]
	v_fma_f64 v[181:182], -v[175:176], v[179:180], 1.0
	v_fma_f64 v[179:180], v[179:180], v[181:182], v[179:180]
	v_fma_f64 v[181:182], -v[175:176], v[179:180], 1.0
	v_fma_f64 v[179:180], v[179:180], v[181:182], v[179:180]
	v_div_scale_f64 v[181:182], vcc_lo, 1.0, v[173:174], 1.0
	v_mul_f64 v[183:184], v[181:182], v[179:180]
	v_fma_f64 v[175:176], -v[175:176], v[183:184], v[181:182]
	v_div_fmas_f64 v[175:176], v[175:176], v[179:180], v[183:184]
	v_div_fixup_f64 v[179:180], v[175:176], v[173:174], 1.0
                                        ; implicit-def: $vgpr173_vgpr174
	v_mul_f64 v[177:178], v[177:178], v[179:180]
	v_xor_b32_e32 v180, 0x80000000, v180
.LBB85_248:
	s_andn2_saveexec_b32 s1, s1
	s_cbranch_execz .LBB85_250
; %bb.249:
	v_div_scale_f64 v[177:178], null, v[173:174], v[173:174], v[175:176]
	v_div_scale_f64 v[183:184], vcc_lo, v[175:176], v[173:174], v[175:176]
	v_rcp_f64_e32 v[179:180], v[177:178]
	v_fma_f64 v[181:182], -v[177:178], v[179:180], 1.0
	v_fma_f64 v[179:180], v[179:180], v[181:182], v[179:180]
	v_fma_f64 v[181:182], -v[177:178], v[179:180], 1.0
	v_fma_f64 v[179:180], v[179:180], v[181:182], v[179:180]
	v_mul_f64 v[181:182], v[183:184], v[179:180]
	v_fma_f64 v[177:178], -v[177:178], v[181:182], v[183:184]
	v_div_fmas_f64 v[177:178], v[177:178], v[179:180], v[181:182]
	v_div_fixup_f64 v[179:180], v[177:178], v[173:174], v[175:176]
	v_fma_f64 v[173:174], v[175:176], v[179:180], v[173:174]
	v_div_scale_f64 v[175:176], null, v[173:174], v[173:174], 1.0
	v_rcp_f64_e32 v[177:178], v[175:176]
	v_fma_f64 v[181:182], -v[175:176], v[177:178], 1.0
	v_fma_f64 v[177:178], v[177:178], v[181:182], v[177:178]
	v_fma_f64 v[181:182], -v[175:176], v[177:178], 1.0
	v_fma_f64 v[177:178], v[177:178], v[181:182], v[177:178]
	v_div_scale_f64 v[181:182], vcc_lo, 1.0, v[173:174], 1.0
	v_mul_f64 v[183:184], v[181:182], v[177:178]
	v_fma_f64 v[175:176], -v[175:176], v[183:184], v[181:182]
	v_div_fmas_f64 v[175:176], v[175:176], v[177:178], v[183:184]
	v_div_fixup_f64 v[177:178], v[175:176], v[173:174], 1.0
	v_mul_f64 v[179:180], v[179:180], -v[177:178]
.LBB85_250:
	s_or_b32 exec_lo, exec_lo, s1
	ds_write2_b64 v255, v[177:178], v[179:180] offset1:1
.LBB85_251:
	s_or_b32 exec_lo, exec_lo, s2
	s_waitcnt lgkmcnt(0)
	s_barrier
	buffer_gl0_inv
	ds_read2_b64 v[37:40], v255 offset1:1
	s_mov_b32 s1, exec_lo
	s_waitcnt lgkmcnt(0)
	buffer_store_dword v37, off, s[16:19], 0 offset:696 ; 4-byte Folded Spill
	buffer_store_dword v38, off, s[16:19], 0 offset:700 ; 4-byte Folded Spill
	;; [unrolled: 1-line block ×4, first 2 shown]
	v_cmpx_lt_u32_e32 27, v0
	s_cbranch_execz .LBB85_253
; %bb.252:
	s_clause 0x7
	buffer_load_dword v37, off, s[16:19], 0 offset:696
	buffer_load_dword v38, off, s[16:19], 0 offset:700
	;; [unrolled: 1-line block ×8, first 2 shown]
	ds_read2_b64 v[175:178], v253 offset0:56 offset1:57
	s_waitcnt vmcnt(0)
	v_mul_f64 v[173:174], v[37:38], v[63:64]
	v_mul_f64 v[63:64], v[39:40], v[63:64]
	v_fma_f64 v[173:174], v[39:40], v[61:62], v[173:174]
	v_fma_f64 v[61:62], v[37:38], v[61:62], -v[63:64]
	s_clause 0x3
	buffer_load_dword v37, off, s[16:19], 0 offset:48
	buffer_load_dword v38, off, s[16:19], 0 offset:52
	buffer_load_dword v39, off, s[16:19], 0 offset:56
	buffer_load_dword v40, off, s[16:19], 0 offset:60
	s_waitcnt lgkmcnt(0)
	v_mul_f64 v[63:64], v[177:178], v[173:174]
	v_fma_f64 v[63:64], v[175:176], v[61:62], -v[63:64]
	v_mul_f64 v[175:176], v[175:176], v[173:174]
	v_fma_f64 v[175:176], v[177:178], v[61:62], v[175:176]
	s_waitcnt vmcnt(2)
	v_add_f64 v[37:38], v[37:38], -v[63:64]
	s_waitcnt vmcnt(0)
	v_add_f64 v[39:40], v[39:40], -v[175:176]
	buffer_store_dword v37, off, s[16:19], 0 offset:48 ; 4-byte Folded Spill
	buffer_store_dword v38, off, s[16:19], 0 offset:52 ; 4-byte Folded Spill
	buffer_store_dword v39, off, s[16:19], 0 offset:56 ; 4-byte Folded Spill
	buffer_store_dword v40, off, s[16:19], 0 offset:60 ; 4-byte Folded Spill
	ds_read2_b64 v[175:178], v253 offset0:58 offset1:59
	s_clause 0x3
	buffer_load_dword v37, off, s[16:19], 0 offset:32
	buffer_load_dword v38, off, s[16:19], 0 offset:36
	buffer_load_dword v39, off, s[16:19], 0 offset:40
	buffer_load_dword v40, off, s[16:19], 0 offset:44
	s_waitcnt lgkmcnt(0)
	v_mul_f64 v[63:64], v[177:178], v[173:174]
	v_fma_f64 v[63:64], v[175:176], v[61:62], -v[63:64]
	v_mul_f64 v[175:176], v[175:176], v[173:174]
	v_fma_f64 v[175:176], v[177:178], v[61:62], v[175:176]
	s_waitcnt vmcnt(2)
	v_add_f64 v[37:38], v[37:38], -v[63:64]
	s_waitcnt vmcnt(0)
	v_add_f64 v[39:40], v[39:40], -v[175:176]
	buffer_store_dword v37, off, s[16:19], 0 offset:32 ; 4-byte Folded Spill
	buffer_store_dword v38, off, s[16:19], 0 offset:36 ; 4-byte Folded Spill
	buffer_store_dword v39, off, s[16:19], 0 offset:40 ; 4-byte Folded Spill
	buffer_store_dword v40, off, s[16:19], 0 offset:44 ; 4-byte Folded Spill
	ds_read2_b64 v[175:178], v253 offset0:60 offset1:61
	;; [unrolled: 19-line block ×3, first 2 shown]
	s_clause 0x3
	buffer_load_dword v37, off, s[16:19], 0
	buffer_load_dword v38, off, s[16:19], 0 offset:4
	buffer_load_dword v39, off, s[16:19], 0 offset:8
	;; [unrolled: 1-line block ×3, first 2 shown]
	s_waitcnt lgkmcnt(0)
	v_mul_f64 v[63:64], v[177:178], v[173:174]
	v_fma_f64 v[63:64], v[175:176], v[61:62], -v[63:64]
	v_mul_f64 v[175:176], v[175:176], v[173:174]
	v_fma_f64 v[175:176], v[177:178], v[61:62], v[175:176]
	s_waitcnt vmcnt(2)
	v_add_f64 v[37:38], v[37:38], -v[63:64]
	s_waitcnt vmcnt(0)
	v_add_f64 v[39:40], v[39:40], -v[175:176]
	buffer_store_dword v37, off, s[16:19], 0 ; 4-byte Folded Spill
	buffer_store_dword v38, off, s[16:19], 0 offset:4 ; 4-byte Folded Spill
	buffer_store_dword v39, off, s[16:19], 0 offset:8 ; 4-byte Folded Spill
	;; [unrolled: 1-line block ×3, first 2 shown]
	ds_read2_b64 v[175:178], v253 offset0:64 offset1:65
	s_waitcnt lgkmcnt(0)
	v_mul_f64 v[63:64], v[177:178], v[173:174]
	v_fma_f64 v[63:64], v[175:176], v[61:62], -v[63:64]
	v_mul_f64 v[175:176], v[175:176], v[173:174]
	v_add_f64 v[233:234], v[233:234], -v[63:64]
	v_fma_f64 v[175:176], v[177:178], v[61:62], v[175:176]
	v_add_f64 v[235:236], v[235:236], -v[175:176]
	ds_read2_b64 v[175:178], v253 offset0:66 offset1:67
	s_waitcnt lgkmcnt(0)
	v_mul_f64 v[63:64], v[177:178], v[173:174]
	v_fma_f64 v[63:64], v[175:176], v[61:62], -v[63:64]
	v_mul_f64 v[175:176], v[175:176], v[173:174]
	v_add_f64 v[213:214], v[213:214], -v[63:64]
	v_fma_f64 v[175:176], v[177:178], v[61:62], v[175:176]
	v_add_f64 v[215:216], v[215:216], -v[175:176]
	;; [unrolled: 8-line block ×10, first 2 shown]
	ds_read2_b64 v[175:178], v253 offset0:84 offset1:85
	s_waitcnt lgkmcnt(0)
	v_mul_f64 v[63:64], v[177:178], v[173:174]
	v_fma_f64 v[63:64], v[175:176], v[61:62], -v[63:64]
	v_mul_f64 v[175:176], v[175:176], v[173:174]
	v_add_f64 v[1:2], v[1:2], -v[63:64]
	v_fma_f64 v[175:176], v[177:178], v[61:62], v[175:176]
	v_mov_b32_e32 v63, v173
	v_mov_b32_e32 v64, v174
	buffer_store_dword v61, off, s[16:19], 0 offset:64 ; 4-byte Folded Spill
	buffer_store_dword v62, off, s[16:19], 0 offset:68 ; 4-byte Folded Spill
	;; [unrolled: 1-line block ×4, first 2 shown]
	v_add_f64 v[3:4], v[3:4], -v[175:176]
.LBB85_253:
	s_or_b32 exec_lo, exec_lo, s1
	s_mov_b32 s2, exec_lo
	s_waitcnt_vscnt null, 0x0
	s_barrier
	buffer_gl0_inv
	v_cmpx_eq_u32_e32 28, v0
	s_cbranch_execz .LBB85_260
; %bb.254:
	s_clause 0x3
	buffer_load_dword v37, off, s[16:19], 0 offset:48
	buffer_load_dword v38, off, s[16:19], 0 offset:52
	;; [unrolled: 1-line block ×4, first 2 shown]
	s_waitcnt vmcnt(0)
	ds_write2_b64 v255, v[37:38], v[39:40] offset1:1
	s_clause 0x3
	buffer_load_dword v37, off, s[16:19], 0 offset:32
	buffer_load_dword v38, off, s[16:19], 0 offset:36
	;; [unrolled: 1-line block ×4, first 2 shown]
	s_waitcnt vmcnt(0)
	ds_write2_b64 v253, v[37:38], v[39:40] offset0:58 offset1:59
	s_clause 0x3
	buffer_load_dword v37, off, s[16:19], 0 offset:16
	buffer_load_dword v38, off, s[16:19], 0 offset:20
	;; [unrolled: 1-line block ×4, first 2 shown]
	s_waitcnt vmcnt(0)
	ds_write2_b64 v253, v[37:38], v[39:40] offset0:60 offset1:61
	s_clause 0x3
	buffer_load_dword v37, off, s[16:19], 0
	buffer_load_dword v38, off, s[16:19], 0 offset:4
	buffer_load_dword v39, off, s[16:19], 0 offset:8
	;; [unrolled: 1-line block ×3, first 2 shown]
	s_waitcnt vmcnt(0)
	ds_write2_b64 v253, v[37:38], v[39:40] offset0:62 offset1:63
	ds_write2_b64 v253, v[233:234], v[235:236] offset0:64 offset1:65
	;; [unrolled: 1-line block ×12, first 2 shown]
	ds_read2_b64 v[173:176], v255 offset1:1
	s_waitcnt lgkmcnt(0)
	v_cmp_neq_f64_e32 vcc_lo, 0, v[173:174]
	v_cmp_neq_f64_e64 s1, 0, v[175:176]
	s_or_b32 s1, vcc_lo, s1
	s_and_b32 exec_lo, exec_lo, s1
	s_cbranch_execz .LBB85_260
; %bb.255:
	v_cmp_ngt_f64_e64 s1, |v[173:174]|, |v[175:176]|
                                        ; implicit-def: $vgpr177_vgpr178
	s_and_saveexec_b32 s3, s1
	s_xor_b32 s1, exec_lo, s3
                                        ; implicit-def: $vgpr179_vgpr180
	s_cbranch_execz .LBB85_257
; %bb.256:
	v_div_scale_f64 v[177:178], null, v[175:176], v[175:176], v[173:174]
	v_div_scale_f64 v[183:184], vcc_lo, v[173:174], v[175:176], v[173:174]
	v_rcp_f64_e32 v[179:180], v[177:178]
	v_fma_f64 v[181:182], -v[177:178], v[179:180], 1.0
	v_fma_f64 v[179:180], v[179:180], v[181:182], v[179:180]
	v_fma_f64 v[181:182], -v[177:178], v[179:180], 1.0
	v_fma_f64 v[179:180], v[179:180], v[181:182], v[179:180]
	v_mul_f64 v[181:182], v[183:184], v[179:180]
	v_fma_f64 v[177:178], -v[177:178], v[181:182], v[183:184]
	v_div_fmas_f64 v[177:178], v[177:178], v[179:180], v[181:182]
	v_div_fixup_f64 v[177:178], v[177:178], v[175:176], v[173:174]
	v_fma_f64 v[173:174], v[173:174], v[177:178], v[175:176]
	v_div_scale_f64 v[175:176], null, v[173:174], v[173:174], 1.0
	v_rcp_f64_e32 v[179:180], v[175:176]
	v_fma_f64 v[181:182], -v[175:176], v[179:180], 1.0
	v_fma_f64 v[179:180], v[179:180], v[181:182], v[179:180]
	v_fma_f64 v[181:182], -v[175:176], v[179:180], 1.0
	v_fma_f64 v[179:180], v[179:180], v[181:182], v[179:180]
	v_div_scale_f64 v[181:182], vcc_lo, 1.0, v[173:174], 1.0
	v_mul_f64 v[183:184], v[181:182], v[179:180]
	v_fma_f64 v[175:176], -v[175:176], v[183:184], v[181:182]
	v_div_fmas_f64 v[175:176], v[175:176], v[179:180], v[183:184]
	v_div_fixup_f64 v[179:180], v[175:176], v[173:174], 1.0
                                        ; implicit-def: $vgpr173_vgpr174
	v_mul_f64 v[177:178], v[177:178], v[179:180]
	v_xor_b32_e32 v180, 0x80000000, v180
.LBB85_257:
	s_andn2_saveexec_b32 s1, s1
	s_cbranch_execz .LBB85_259
; %bb.258:
	v_div_scale_f64 v[177:178], null, v[173:174], v[173:174], v[175:176]
	v_div_scale_f64 v[183:184], vcc_lo, v[175:176], v[173:174], v[175:176]
	v_rcp_f64_e32 v[179:180], v[177:178]
	v_fma_f64 v[181:182], -v[177:178], v[179:180], 1.0
	v_fma_f64 v[179:180], v[179:180], v[181:182], v[179:180]
	v_fma_f64 v[181:182], -v[177:178], v[179:180], 1.0
	v_fma_f64 v[179:180], v[179:180], v[181:182], v[179:180]
	v_mul_f64 v[181:182], v[183:184], v[179:180]
	v_fma_f64 v[177:178], -v[177:178], v[181:182], v[183:184]
	v_div_fmas_f64 v[177:178], v[177:178], v[179:180], v[181:182]
	v_div_fixup_f64 v[179:180], v[177:178], v[173:174], v[175:176]
	v_fma_f64 v[173:174], v[175:176], v[179:180], v[173:174]
	v_div_scale_f64 v[175:176], null, v[173:174], v[173:174], 1.0
	v_rcp_f64_e32 v[177:178], v[175:176]
	v_fma_f64 v[181:182], -v[175:176], v[177:178], 1.0
	v_fma_f64 v[177:178], v[177:178], v[181:182], v[177:178]
	v_fma_f64 v[181:182], -v[175:176], v[177:178], 1.0
	v_fma_f64 v[177:178], v[177:178], v[181:182], v[177:178]
	v_div_scale_f64 v[181:182], vcc_lo, 1.0, v[173:174], 1.0
	v_mul_f64 v[183:184], v[181:182], v[177:178]
	v_fma_f64 v[175:176], -v[175:176], v[183:184], v[181:182]
	v_div_fmas_f64 v[175:176], v[175:176], v[177:178], v[183:184]
	v_div_fixup_f64 v[177:178], v[175:176], v[173:174], 1.0
	v_mul_f64 v[179:180], v[179:180], -v[177:178]
.LBB85_259:
	s_or_b32 exec_lo, exec_lo, s1
	ds_write2_b64 v255, v[177:178], v[179:180] offset1:1
.LBB85_260:
	s_or_b32 exec_lo, exec_lo, s2
	s_waitcnt lgkmcnt(0)
	s_barrier
	buffer_gl0_inv
	ds_read2_b64 v[37:40], v255 offset1:1
	s_mov_b32 s1, exec_lo
	s_waitcnt lgkmcnt(0)
	buffer_store_dword v37, off, s[16:19], 0 offset:712 ; 4-byte Folded Spill
	buffer_store_dword v38, off, s[16:19], 0 offset:716 ; 4-byte Folded Spill
	;; [unrolled: 1-line block ×4, first 2 shown]
	v_cmpx_lt_u32_e32 28, v0
	s_cbranch_execz .LBB85_262
; %bb.261:
	s_clause 0x7
	buffer_load_dword v37, off, s[16:19], 0 offset:712
	buffer_load_dword v38, off, s[16:19], 0 offset:716
	;; [unrolled: 1-line block ×8, first 2 shown]
	ds_read2_b64 v[175:178], v253 offset0:58 offset1:59
	s_waitcnt vmcnt(0)
	v_mul_f64 v[173:174], v[37:38], v[59:60]
	v_mul_f64 v[59:60], v[39:40], v[59:60]
	v_fma_f64 v[173:174], v[39:40], v[57:58], v[173:174]
	v_fma_f64 v[57:58], v[37:38], v[57:58], -v[59:60]
	s_clause 0x3
	buffer_load_dword v37, off, s[16:19], 0 offset:32
	buffer_load_dword v38, off, s[16:19], 0 offset:36
	buffer_load_dword v39, off, s[16:19], 0 offset:40
	buffer_load_dword v40, off, s[16:19], 0 offset:44
	s_waitcnt lgkmcnt(0)
	v_mul_f64 v[59:60], v[177:178], v[173:174]
	v_fma_f64 v[59:60], v[175:176], v[57:58], -v[59:60]
	v_mul_f64 v[175:176], v[175:176], v[173:174]
	v_fma_f64 v[175:176], v[177:178], v[57:58], v[175:176]
	s_waitcnt vmcnt(2)
	v_add_f64 v[37:38], v[37:38], -v[59:60]
	s_waitcnt vmcnt(0)
	v_add_f64 v[39:40], v[39:40], -v[175:176]
	buffer_store_dword v37, off, s[16:19], 0 offset:32 ; 4-byte Folded Spill
	buffer_store_dword v38, off, s[16:19], 0 offset:36 ; 4-byte Folded Spill
	buffer_store_dword v39, off, s[16:19], 0 offset:40 ; 4-byte Folded Spill
	buffer_store_dword v40, off, s[16:19], 0 offset:44 ; 4-byte Folded Spill
	ds_read2_b64 v[175:178], v253 offset0:60 offset1:61
	s_clause 0x3
	buffer_load_dword v37, off, s[16:19], 0 offset:16
	buffer_load_dword v38, off, s[16:19], 0 offset:20
	;; [unrolled: 1-line block ×4, first 2 shown]
	s_waitcnt lgkmcnt(0)
	v_mul_f64 v[59:60], v[177:178], v[173:174]
	v_fma_f64 v[59:60], v[175:176], v[57:58], -v[59:60]
	v_mul_f64 v[175:176], v[175:176], v[173:174]
	v_fma_f64 v[175:176], v[177:178], v[57:58], v[175:176]
	s_waitcnt vmcnt(2)
	v_add_f64 v[37:38], v[37:38], -v[59:60]
	s_waitcnt vmcnt(0)
	v_add_f64 v[39:40], v[39:40], -v[175:176]
	buffer_store_dword v37, off, s[16:19], 0 offset:16 ; 4-byte Folded Spill
	buffer_store_dword v38, off, s[16:19], 0 offset:20 ; 4-byte Folded Spill
	;; [unrolled: 1-line block ×4, first 2 shown]
	ds_read2_b64 v[175:178], v253 offset0:62 offset1:63
	s_clause 0x3
	buffer_load_dword v37, off, s[16:19], 0
	buffer_load_dword v38, off, s[16:19], 0 offset:4
	buffer_load_dword v39, off, s[16:19], 0 offset:8
	;; [unrolled: 1-line block ×3, first 2 shown]
	s_waitcnt lgkmcnt(0)
	v_mul_f64 v[59:60], v[177:178], v[173:174]
	v_fma_f64 v[59:60], v[175:176], v[57:58], -v[59:60]
	v_mul_f64 v[175:176], v[175:176], v[173:174]
	v_fma_f64 v[175:176], v[177:178], v[57:58], v[175:176]
	s_waitcnt vmcnt(2)
	v_add_f64 v[37:38], v[37:38], -v[59:60]
	s_waitcnt vmcnt(0)
	v_add_f64 v[39:40], v[39:40], -v[175:176]
	buffer_store_dword v37, off, s[16:19], 0 ; 4-byte Folded Spill
	buffer_store_dword v38, off, s[16:19], 0 offset:4 ; 4-byte Folded Spill
	buffer_store_dword v39, off, s[16:19], 0 offset:8 ; 4-byte Folded Spill
	buffer_store_dword v40, off, s[16:19], 0 offset:12 ; 4-byte Folded Spill
	ds_read2_b64 v[175:178], v253 offset0:64 offset1:65
	s_waitcnt lgkmcnt(0)
	v_mul_f64 v[59:60], v[177:178], v[173:174]
	v_fma_f64 v[59:60], v[175:176], v[57:58], -v[59:60]
	v_mul_f64 v[175:176], v[175:176], v[173:174]
	v_add_f64 v[233:234], v[233:234], -v[59:60]
	v_fma_f64 v[175:176], v[177:178], v[57:58], v[175:176]
	v_add_f64 v[235:236], v[235:236], -v[175:176]
	ds_read2_b64 v[175:178], v253 offset0:66 offset1:67
	s_waitcnt lgkmcnt(0)
	v_mul_f64 v[59:60], v[177:178], v[173:174]
	v_fma_f64 v[59:60], v[175:176], v[57:58], -v[59:60]
	v_mul_f64 v[175:176], v[175:176], v[173:174]
	v_add_f64 v[213:214], v[213:214], -v[59:60]
	v_fma_f64 v[175:176], v[177:178], v[57:58], v[175:176]
	v_add_f64 v[215:216], v[215:216], -v[175:176]
	ds_read2_b64 v[175:178], v253 offset0:68 offset1:69
	s_waitcnt lgkmcnt(0)
	v_mul_f64 v[59:60], v[177:178], v[173:174]
	v_fma_f64 v[59:60], v[175:176], v[57:58], -v[59:60]
	v_mul_f64 v[175:176], v[175:176], v[173:174]
	v_add_f64 v[33:34], v[33:34], -v[59:60]
	v_fma_f64 v[175:176], v[177:178], v[57:58], v[175:176]
	v_add_f64 v[35:36], v[35:36], -v[175:176]
	ds_read2_b64 v[175:178], v253 offset0:70 offset1:71
	s_waitcnt lgkmcnt(0)
	v_mul_f64 v[59:60], v[177:178], v[173:174]
	v_fma_f64 v[59:60], v[175:176], v[57:58], -v[59:60]
	v_mul_f64 v[175:176], v[175:176], v[173:174]
	v_add_f64 v[29:30], v[29:30], -v[59:60]
	v_fma_f64 v[175:176], v[177:178], v[57:58], v[175:176]
	v_add_f64 v[31:32], v[31:32], -v[175:176]
	ds_read2_b64 v[175:178], v253 offset0:72 offset1:73
	s_waitcnt lgkmcnt(0)
	v_mul_f64 v[59:60], v[177:178], v[173:174]
	v_fma_f64 v[59:60], v[175:176], v[57:58], -v[59:60]
	v_mul_f64 v[175:176], v[175:176], v[173:174]
	v_add_f64 v[25:26], v[25:26], -v[59:60]
	v_fma_f64 v[175:176], v[177:178], v[57:58], v[175:176]
	v_add_f64 v[27:28], v[27:28], -v[175:176]
	ds_read2_b64 v[175:178], v253 offset0:74 offset1:75
	s_waitcnt lgkmcnt(0)
	v_mul_f64 v[59:60], v[177:178], v[173:174]
	v_fma_f64 v[59:60], v[175:176], v[57:58], -v[59:60]
	v_mul_f64 v[175:176], v[175:176], v[173:174]
	v_add_f64 v[21:22], v[21:22], -v[59:60]
	v_fma_f64 v[175:176], v[177:178], v[57:58], v[175:176]
	v_add_f64 v[23:24], v[23:24], -v[175:176]
	ds_read2_b64 v[175:178], v253 offset0:76 offset1:77
	s_waitcnt lgkmcnt(0)
	v_mul_f64 v[59:60], v[177:178], v[173:174]
	v_fma_f64 v[59:60], v[175:176], v[57:58], -v[59:60]
	v_mul_f64 v[175:176], v[175:176], v[173:174]
	v_add_f64 v[17:18], v[17:18], -v[59:60]
	v_fma_f64 v[175:176], v[177:178], v[57:58], v[175:176]
	v_add_f64 v[19:20], v[19:20], -v[175:176]
	ds_read2_b64 v[175:178], v253 offset0:78 offset1:79
	s_waitcnt lgkmcnt(0)
	v_mul_f64 v[59:60], v[177:178], v[173:174]
	v_fma_f64 v[59:60], v[175:176], v[57:58], -v[59:60]
	v_mul_f64 v[175:176], v[175:176], v[173:174]
	v_add_f64 v[13:14], v[13:14], -v[59:60]
	v_fma_f64 v[175:176], v[177:178], v[57:58], v[175:176]
	v_add_f64 v[15:16], v[15:16], -v[175:176]
	ds_read2_b64 v[175:178], v253 offset0:80 offset1:81
	s_waitcnt lgkmcnt(0)
	v_mul_f64 v[59:60], v[177:178], v[173:174]
	v_fma_f64 v[59:60], v[175:176], v[57:58], -v[59:60]
	v_mul_f64 v[175:176], v[175:176], v[173:174]
	v_add_f64 v[9:10], v[9:10], -v[59:60]
	v_fma_f64 v[175:176], v[177:178], v[57:58], v[175:176]
	v_add_f64 v[11:12], v[11:12], -v[175:176]
	ds_read2_b64 v[175:178], v253 offset0:82 offset1:83
	s_waitcnt lgkmcnt(0)
	v_mul_f64 v[59:60], v[177:178], v[173:174]
	v_fma_f64 v[59:60], v[175:176], v[57:58], -v[59:60]
	v_mul_f64 v[175:176], v[175:176], v[173:174]
	v_add_f64 v[5:6], v[5:6], -v[59:60]
	v_fma_f64 v[175:176], v[177:178], v[57:58], v[175:176]
	v_add_f64 v[7:8], v[7:8], -v[175:176]
	ds_read2_b64 v[175:178], v253 offset0:84 offset1:85
	s_waitcnt lgkmcnt(0)
	v_mul_f64 v[59:60], v[177:178], v[173:174]
	v_fma_f64 v[59:60], v[175:176], v[57:58], -v[59:60]
	v_mul_f64 v[175:176], v[175:176], v[173:174]
	v_add_f64 v[1:2], v[1:2], -v[59:60]
	v_fma_f64 v[175:176], v[177:178], v[57:58], v[175:176]
	v_mov_b32_e32 v59, v173
	v_mov_b32_e32 v60, v174
	buffer_store_dword v57, off, s[16:19], 0 offset:48 ; 4-byte Folded Spill
	buffer_store_dword v58, off, s[16:19], 0 offset:52 ; 4-byte Folded Spill
	;; [unrolled: 1-line block ×4, first 2 shown]
	v_add_f64 v[3:4], v[3:4], -v[175:176]
.LBB85_262:
	s_or_b32 exec_lo, exec_lo, s1
	s_mov_b32 s2, exec_lo
	s_waitcnt_vscnt null, 0x0
	s_barrier
	buffer_gl0_inv
	v_cmpx_eq_u32_e32 29, v0
	s_cbranch_execz .LBB85_269
; %bb.263:
	s_clause 0x3
	buffer_load_dword v37, off, s[16:19], 0 offset:32
	buffer_load_dword v38, off, s[16:19], 0 offset:36
	;; [unrolled: 1-line block ×4, first 2 shown]
	s_waitcnt vmcnt(0)
	ds_write2_b64 v255, v[37:38], v[39:40] offset1:1
	s_clause 0x3
	buffer_load_dword v37, off, s[16:19], 0 offset:16
	buffer_load_dword v38, off, s[16:19], 0 offset:20
	buffer_load_dword v39, off, s[16:19], 0 offset:24
	buffer_load_dword v40, off, s[16:19], 0 offset:28
	s_waitcnt vmcnt(0)
	ds_write2_b64 v253, v[37:38], v[39:40] offset0:60 offset1:61
	s_clause 0x3
	buffer_load_dword v37, off, s[16:19], 0
	buffer_load_dword v38, off, s[16:19], 0 offset:4
	buffer_load_dword v39, off, s[16:19], 0 offset:8
	;; [unrolled: 1-line block ×3, first 2 shown]
	s_waitcnt vmcnt(0)
	ds_write2_b64 v253, v[37:38], v[39:40] offset0:62 offset1:63
	ds_write2_b64 v253, v[233:234], v[235:236] offset0:64 offset1:65
	;; [unrolled: 1-line block ×12, first 2 shown]
	ds_read2_b64 v[173:176], v255 offset1:1
	s_waitcnt lgkmcnt(0)
	v_cmp_neq_f64_e32 vcc_lo, 0, v[173:174]
	v_cmp_neq_f64_e64 s1, 0, v[175:176]
	s_or_b32 s1, vcc_lo, s1
	s_and_b32 exec_lo, exec_lo, s1
	s_cbranch_execz .LBB85_269
; %bb.264:
	v_cmp_ngt_f64_e64 s1, |v[173:174]|, |v[175:176]|
                                        ; implicit-def: $vgpr177_vgpr178
	s_and_saveexec_b32 s3, s1
	s_xor_b32 s1, exec_lo, s3
                                        ; implicit-def: $vgpr179_vgpr180
	s_cbranch_execz .LBB85_266
; %bb.265:
	v_div_scale_f64 v[177:178], null, v[175:176], v[175:176], v[173:174]
	v_div_scale_f64 v[183:184], vcc_lo, v[173:174], v[175:176], v[173:174]
	v_rcp_f64_e32 v[179:180], v[177:178]
	v_fma_f64 v[181:182], -v[177:178], v[179:180], 1.0
	v_fma_f64 v[179:180], v[179:180], v[181:182], v[179:180]
	v_fma_f64 v[181:182], -v[177:178], v[179:180], 1.0
	v_fma_f64 v[179:180], v[179:180], v[181:182], v[179:180]
	v_mul_f64 v[181:182], v[183:184], v[179:180]
	v_fma_f64 v[177:178], -v[177:178], v[181:182], v[183:184]
	v_div_fmas_f64 v[177:178], v[177:178], v[179:180], v[181:182]
	v_div_fixup_f64 v[177:178], v[177:178], v[175:176], v[173:174]
	v_fma_f64 v[173:174], v[173:174], v[177:178], v[175:176]
	v_div_scale_f64 v[175:176], null, v[173:174], v[173:174], 1.0
	v_rcp_f64_e32 v[179:180], v[175:176]
	v_fma_f64 v[181:182], -v[175:176], v[179:180], 1.0
	v_fma_f64 v[179:180], v[179:180], v[181:182], v[179:180]
	v_fma_f64 v[181:182], -v[175:176], v[179:180], 1.0
	v_fma_f64 v[179:180], v[179:180], v[181:182], v[179:180]
	v_div_scale_f64 v[181:182], vcc_lo, 1.0, v[173:174], 1.0
	v_mul_f64 v[183:184], v[181:182], v[179:180]
	v_fma_f64 v[175:176], -v[175:176], v[183:184], v[181:182]
	v_div_fmas_f64 v[175:176], v[175:176], v[179:180], v[183:184]
	v_div_fixup_f64 v[179:180], v[175:176], v[173:174], 1.0
                                        ; implicit-def: $vgpr173_vgpr174
	v_mul_f64 v[177:178], v[177:178], v[179:180]
	v_xor_b32_e32 v180, 0x80000000, v180
.LBB85_266:
	s_andn2_saveexec_b32 s1, s1
	s_cbranch_execz .LBB85_268
; %bb.267:
	v_div_scale_f64 v[177:178], null, v[173:174], v[173:174], v[175:176]
	v_div_scale_f64 v[183:184], vcc_lo, v[175:176], v[173:174], v[175:176]
	v_rcp_f64_e32 v[179:180], v[177:178]
	v_fma_f64 v[181:182], -v[177:178], v[179:180], 1.0
	v_fma_f64 v[179:180], v[179:180], v[181:182], v[179:180]
	v_fma_f64 v[181:182], -v[177:178], v[179:180], 1.0
	v_fma_f64 v[179:180], v[179:180], v[181:182], v[179:180]
	v_mul_f64 v[181:182], v[183:184], v[179:180]
	v_fma_f64 v[177:178], -v[177:178], v[181:182], v[183:184]
	v_div_fmas_f64 v[177:178], v[177:178], v[179:180], v[181:182]
	v_div_fixup_f64 v[179:180], v[177:178], v[173:174], v[175:176]
	v_fma_f64 v[173:174], v[175:176], v[179:180], v[173:174]
	v_div_scale_f64 v[175:176], null, v[173:174], v[173:174], 1.0
	v_rcp_f64_e32 v[177:178], v[175:176]
	v_fma_f64 v[181:182], -v[175:176], v[177:178], 1.0
	v_fma_f64 v[177:178], v[177:178], v[181:182], v[177:178]
	v_fma_f64 v[181:182], -v[175:176], v[177:178], 1.0
	v_fma_f64 v[177:178], v[177:178], v[181:182], v[177:178]
	v_div_scale_f64 v[181:182], vcc_lo, 1.0, v[173:174], 1.0
	v_mul_f64 v[183:184], v[181:182], v[177:178]
	v_fma_f64 v[175:176], -v[175:176], v[183:184], v[181:182]
	v_div_fmas_f64 v[175:176], v[175:176], v[177:178], v[183:184]
	v_div_fixup_f64 v[177:178], v[175:176], v[173:174], 1.0
	v_mul_f64 v[179:180], v[179:180], -v[177:178]
.LBB85_268:
	s_or_b32 exec_lo, exec_lo, s1
	ds_write2_b64 v255, v[177:178], v[179:180] offset1:1
.LBB85_269:
	s_or_b32 exec_lo, exec_lo, s2
	s_waitcnt lgkmcnt(0)
	s_barrier
	buffer_gl0_inv
	ds_read2_b64 v[37:40], v255 offset1:1
	s_mov_b32 s1, exec_lo
	s_waitcnt lgkmcnt(0)
	buffer_store_dword v37, off, s[16:19], 0 offset:728 ; 4-byte Folded Spill
	buffer_store_dword v38, off, s[16:19], 0 offset:732 ; 4-byte Folded Spill
	;; [unrolled: 1-line block ×4, first 2 shown]
	v_cmpx_lt_u32_e32 29, v0
	s_cbranch_execz .LBB85_271
; %bb.270:
	s_clause 0x7
	buffer_load_dword v37, off, s[16:19], 0 offset:728
	buffer_load_dword v38, off, s[16:19], 0 offset:732
	;; [unrolled: 1-line block ×8, first 2 shown]
	ds_read2_b64 v[175:178], v253 offset0:60 offset1:61
	s_waitcnt vmcnt(0)
	v_mul_f64 v[173:174], v[37:38], v[55:56]
	v_mul_f64 v[55:56], v[39:40], v[55:56]
	v_fma_f64 v[173:174], v[39:40], v[53:54], v[173:174]
	v_fma_f64 v[53:54], v[37:38], v[53:54], -v[55:56]
	s_clause 0x3
	buffer_load_dword v37, off, s[16:19], 0 offset:16
	buffer_load_dword v38, off, s[16:19], 0 offset:20
	;; [unrolled: 1-line block ×4, first 2 shown]
	s_waitcnt lgkmcnt(0)
	v_mul_f64 v[55:56], v[177:178], v[173:174]
	v_fma_f64 v[55:56], v[175:176], v[53:54], -v[55:56]
	v_mul_f64 v[175:176], v[175:176], v[173:174]
	v_fma_f64 v[175:176], v[177:178], v[53:54], v[175:176]
	s_waitcnt vmcnt(2)
	v_add_f64 v[37:38], v[37:38], -v[55:56]
	s_waitcnt vmcnt(0)
	v_add_f64 v[39:40], v[39:40], -v[175:176]
	buffer_store_dword v37, off, s[16:19], 0 offset:16 ; 4-byte Folded Spill
	buffer_store_dword v38, off, s[16:19], 0 offset:20 ; 4-byte Folded Spill
	;; [unrolled: 1-line block ×4, first 2 shown]
	ds_read2_b64 v[175:178], v253 offset0:62 offset1:63
	s_clause 0x3
	buffer_load_dword v37, off, s[16:19], 0
	buffer_load_dword v38, off, s[16:19], 0 offset:4
	buffer_load_dword v39, off, s[16:19], 0 offset:8
	;; [unrolled: 1-line block ×3, first 2 shown]
	s_waitcnt lgkmcnt(0)
	v_mul_f64 v[55:56], v[177:178], v[173:174]
	v_fma_f64 v[55:56], v[175:176], v[53:54], -v[55:56]
	v_mul_f64 v[175:176], v[175:176], v[173:174]
	v_fma_f64 v[175:176], v[177:178], v[53:54], v[175:176]
	s_waitcnt vmcnt(2)
	v_add_f64 v[37:38], v[37:38], -v[55:56]
	s_waitcnt vmcnt(0)
	v_add_f64 v[39:40], v[39:40], -v[175:176]
	buffer_store_dword v37, off, s[16:19], 0 ; 4-byte Folded Spill
	buffer_store_dword v38, off, s[16:19], 0 offset:4 ; 4-byte Folded Spill
	buffer_store_dword v39, off, s[16:19], 0 offset:8 ; 4-byte Folded Spill
	;; [unrolled: 1-line block ×3, first 2 shown]
	ds_read2_b64 v[175:178], v253 offset0:64 offset1:65
	s_waitcnt lgkmcnt(0)
	v_mul_f64 v[55:56], v[177:178], v[173:174]
	v_fma_f64 v[55:56], v[175:176], v[53:54], -v[55:56]
	v_mul_f64 v[175:176], v[175:176], v[173:174]
	v_add_f64 v[233:234], v[233:234], -v[55:56]
	v_fma_f64 v[175:176], v[177:178], v[53:54], v[175:176]
	v_add_f64 v[235:236], v[235:236], -v[175:176]
	ds_read2_b64 v[175:178], v253 offset0:66 offset1:67
	s_waitcnt lgkmcnt(0)
	v_mul_f64 v[55:56], v[177:178], v[173:174]
	v_fma_f64 v[55:56], v[175:176], v[53:54], -v[55:56]
	v_mul_f64 v[175:176], v[175:176], v[173:174]
	v_add_f64 v[213:214], v[213:214], -v[55:56]
	v_fma_f64 v[175:176], v[177:178], v[53:54], v[175:176]
	v_add_f64 v[215:216], v[215:216], -v[175:176]
	;; [unrolled: 8-line block ×10, first 2 shown]
	ds_read2_b64 v[175:178], v253 offset0:84 offset1:85
	s_waitcnt lgkmcnt(0)
	v_mul_f64 v[55:56], v[177:178], v[173:174]
	v_fma_f64 v[55:56], v[175:176], v[53:54], -v[55:56]
	v_mul_f64 v[175:176], v[175:176], v[173:174]
	v_add_f64 v[1:2], v[1:2], -v[55:56]
	v_fma_f64 v[175:176], v[177:178], v[53:54], v[175:176]
	v_mov_b32_e32 v55, v173
	v_mov_b32_e32 v56, v174
	buffer_store_dword v53, off, s[16:19], 0 offset:32 ; 4-byte Folded Spill
	buffer_store_dword v54, off, s[16:19], 0 offset:36 ; 4-byte Folded Spill
	;; [unrolled: 1-line block ×4, first 2 shown]
	v_add_f64 v[3:4], v[3:4], -v[175:176]
.LBB85_271:
	s_or_b32 exec_lo, exec_lo, s1
	s_mov_b32 s2, exec_lo
	s_waitcnt_vscnt null, 0x0
	s_barrier
	buffer_gl0_inv
	v_cmpx_eq_u32_e32 30, v0
	s_cbranch_execz .LBB85_278
; %bb.272:
	s_clause 0x3
	buffer_load_dword v37, off, s[16:19], 0 offset:16
	buffer_load_dword v38, off, s[16:19], 0 offset:20
	;; [unrolled: 1-line block ×4, first 2 shown]
	s_waitcnt vmcnt(0)
	ds_write2_b64 v255, v[37:38], v[39:40] offset1:1
	s_clause 0x3
	buffer_load_dword v37, off, s[16:19], 0
	buffer_load_dword v38, off, s[16:19], 0 offset:4
	buffer_load_dword v39, off, s[16:19], 0 offset:8
	;; [unrolled: 1-line block ×3, first 2 shown]
	s_waitcnt vmcnt(0)
	ds_write2_b64 v253, v[37:38], v[39:40] offset0:62 offset1:63
	ds_write2_b64 v253, v[233:234], v[235:236] offset0:64 offset1:65
	;; [unrolled: 1-line block ×12, first 2 shown]
	ds_read2_b64 v[173:176], v255 offset1:1
	s_waitcnt lgkmcnt(0)
	v_cmp_neq_f64_e32 vcc_lo, 0, v[173:174]
	v_cmp_neq_f64_e64 s1, 0, v[175:176]
	s_or_b32 s1, vcc_lo, s1
	s_and_b32 exec_lo, exec_lo, s1
	s_cbranch_execz .LBB85_278
; %bb.273:
	v_cmp_ngt_f64_e64 s1, |v[173:174]|, |v[175:176]|
                                        ; implicit-def: $vgpr177_vgpr178
	s_and_saveexec_b32 s3, s1
	s_xor_b32 s1, exec_lo, s3
                                        ; implicit-def: $vgpr179_vgpr180
	s_cbranch_execz .LBB85_275
; %bb.274:
	v_div_scale_f64 v[177:178], null, v[175:176], v[175:176], v[173:174]
	v_div_scale_f64 v[183:184], vcc_lo, v[173:174], v[175:176], v[173:174]
	v_rcp_f64_e32 v[179:180], v[177:178]
	v_fma_f64 v[181:182], -v[177:178], v[179:180], 1.0
	v_fma_f64 v[179:180], v[179:180], v[181:182], v[179:180]
	v_fma_f64 v[181:182], -v[177:178], v[179:180], 1.0
	v_fma_f64 v[179:180], v[179:180], v[181:182], v[179:180]
	v_mul_f64 v[181:182], v[183:184], v[179:180]
	v_fma_f64 v[177:178], -v[177:178], v[181:182], v[183:184]
	v_div_fmas_f64 v[177:178], v[177:178], v[179:180], v[181:182]
	v_div_fixup_f64 v[177:178], v[177:178], v[175:176], v[173:174]
	v_fma_f64 v[173:174], v[173:174], v[177:178], v[175:176]
	v_div_scale_f64 v[175:176], null, v[173:174], v[173:174], 1.0
	v_rcp_f64_e32 v[179:180], v[175:176]
	v_fma_f64 v[181:182], -v[175:176], v[179:180], 1.0
	v_fma_f64 v[179:180], v[179:180], v[181:182], v[179:180]
	v_fma_f64 v[181:182], -v[175:176], v[179:180], 1.0
	v_fma_f64 v[179:180], v[179:180], v[181:182], v[179:180]
	v_div_scale_f64 v[181:182], vcc_lo, 1.0, v[173:174], 1.0
	v_mul_f64 v[183:184], v[181:182], v[179:180]
	v_fma_f64 v[175:176], -v[175:176], v[183:184], v[181:182]
	v_div_fmas_f64 v[175:176], v[175:176], v[179:180], v[183:184]
	v_div_fixup_f64 v[179:180], v[175:176], v[173:174], 1.0
                                        ; implicit-def: $vgpr173_vgpr174
	v_mul_f64 v[177:178], v[177:178], v[179:180]
	v_xor_b32_e32 v180, 0x80000000, v180
.LBB85_275:
	s_andn2_saveexec_b32 s1, s1
	s_cbranch_execz .LBB85_277
; %bb.276:
	v_div_scale_f64 v[177:178], null, v[173:174], v[173:174], v[175:176]
	v_div_scale_f64 v[183:184], vcc_lo, v[175:176], v[173:174], v[175:176]
	v_rcp_f64_e32 v[179:180], v[177:178]
	v_fma_f64 v[181:182], -v[177:178], v[179:180], 1.0
	v_fma_f64 v[179:180], v[179:180], v[181:182], v[179:180]
	v_fma_f64 v[181:182], -v[177:178], v[179:180], 1.0
	v_fma_f64 v[179:180], v[179:180], v[181:182], v[179:180]
	v_mul_f64 v[181:182], v[183:184], v[179:180]
	v_fma_f64 v[177:178], -v[177:178], v[181:182], v[183:184]
	v_div_fmas_f64 v[177:178], v[177:178], v[179:180], v[181:182]
	v_div_fixup_f64 v[179:180], v[177:178], v[173:174], v[175:176]
	v_fma_f64 v[173:174], v[175:176], v[179:180], v[173:174]
	v_div_scale_f64 v[175:176], null, v[173:174], v[173:174], 1.0
	v_rcp_f64_e32 v[177:178], v[175:176]
	v_fma_f64 v[181:182], -v[175:176], v[177:178], 1.0
	v_fma_f64 v[177:178], v[177:178], v[181:182], v[177:178]
	v_fma_f64 v[181:182], -v[175:176], v[177:178], 1.0
	v_fma_f64 v[177:178], v[177:178], v[181:182], v[177:178]
	v_div_scale_f64 v[181:182], vcc_lo, 1.0, v[173:174], 1.0
	v_mul_f64 v[183:184], v[181:182], v[177:178]
	v_fma_f64 v[175:176], -v[175:176], v[183:184], v[181:182]
	v_div_fmas_f64 v[175:176], v[175:176], v[177:178], v[183:184]
	v_div_fixup_f64 v[177:178], v[175:176], v[173:174], 1.0
	v_mul_f64 v[179:180], v[179:180], -v[177:178]
.LBB85_277:
	s_or_b32 exec_lo, exec_lo, s1
	ds_write2_b64 v255, v[177:178], v[179:180] offset1:1
.LBB85_278:
	s_or_b32 exec_lo, exec_lo, s2
	s_waitcnt lgkmcnt(0)
	s_barrier
	buffer_gl0_inv
	ds_read2_b64 v[37:40], v255 offset1:1
	s_mov_b32 s1, exec_lo
	s_waitcnt lgkmcnt(0)
	buffer_store_dword v37, off, s[16:19], 0 offset:744 ; 4-byte Folded Spill
	buffer_store_dword v38, off, s[16:19], 0 offset:748 ; 4-byte Folded Spill
	;; [unrolled: 1-line block ×4, first 2 shown]
	v_cmpx_lt_u32_e32 30, v0
	s_cbranch_execz .LBB85_280
; %bb.279:
	s_clause 0x7
	buffer_load_dword v49, off, s[16:19], 0 offset:16
	buffer_load_dword v50, off, s[16:19], 0 offset:20
	;; [unrolled: 1-line block ×8, first 2 shown]
	ds_read2_b64 v[175:178], v253 offset0:62 offset1:63
	s_waitcnt vmcnt(2)
	v_mul_f64 v[173:174], v[37:38], v[51:52]
	s_waitcnt vmcnt(0)
	v_mul_f64 v[51:52], v[39:40], v[51:52]
	v_fma_f64 v[173:174], v[39:40], v[49:50], v[173:174]
	v_fma_f64 v[49:50], v[37:38], v[49:50], -v[51:52]
	s_clause 0x3
	buffer_load_dword v37, off, s[16:19], 0
	buffer_load_dword v38, off, s[16:19], 0 offset:4
	buffer_load_dword v39, off, s[16:19], 0 offset:8
	;; [unrolled: 1-line block ×3, first 2 shown]
	s_waitcnt lgkmcnt(0)
	v_mul_f64 v[51:52], v[177:178], v[173:174]
	v_fma_f64 v[51:52], v[175:176], v[49:50], -v[51:52]
	v_mul_f64 v[175:176], v[175:176], v[173:174]
	v_fma_f64 v[175:176], v[177:178], v[49:50], v[175:176]
	s_waitcnt vmcnt(2)
	v_add_f64 v[37:38], v[37:38], -v[51:52]
	s_waitcnt vmcnt(0)
	v_add_f64 v[39:40], v[39:40], -v[175:176]
	buffer_store_dword v37, off, s[16:19], 0 ; 4-byte Folded Spill
	buffer_store_dword v38, off, s[16:19], 0 offset:4 ; 4-byte Folded Spill
	buffer_store_dword v39, off, s[16:19], 0 offset:8 ; 4-byte Folded Spill
	;; [unrolled: 1-line block ×3, first 2 shown]
	ds_read2_b64 v[175:178], v253 offset0:64 offset1:65
	s_waitcnt lgkmcnt(0)
	v_mul_f64 v[51:52], v[177:178], v[173:174]
	v_fma_f64 v[51:52], v[175:176], v[49:50], -v[51:52]
	v_mul_f64 v[175:176], v[175:176], v[173:174]
	v_add_f64 v[233:234], v[233:234], -v[51:52]
	v_fma_f64 v[175:176], v[177:178], v[49:50], v[175:176]
	v_add_f64 v[235:236], v[235:236], -v[175:176]
	ds_read2_b64 v[175:178], v253 offset0:66 offset1:67
	s_waitcnt lgkmcnt(0)
	v_mul_f64 v[51:52], v[177:178], v[173:174]
	v_fma_f64 v[51:52], v[175:176], v[49:50], -v[51:52]
	v_mul_f64 v[175:176], v[175:176], v[173:174]
	v_add_f64 v[213:214], v[213:214], -v[51:52]
	v_fma_f64 v[175:176], v[177:178], v[49:50], v[175:176]
	v_add_f64 v[215:216], v[215:216], -v[175:176]
	;; [unrolled: 8-line block ×10, first 2 shown]
	ds_read2_b64 v[175:178], v253 offset0:84 offset1:85
	s_waitcnt lgkmcnt(0)
	v_mul_f64 v[51:52], v[177:178], v[173:174]
	v_fma_f64 v[51:52], v[175:176], v[49:50], -v[51:52]
	v_mul_f64 v[175:176], v[175:176], v[173:174]
	v_add_f64 v[1:2], v[1:2], -v[51:52]
	v_fma_f64 v[175:176], v[177:178], v[49:50], v[175:176]
	v_mov_b32_e32 v51, v173
	v_mov_b32_e32 v52, v174
	buffer_store_dword v49, off, s[16:19], 0 offset:16 ; 4-byte Folded Spill
	buffer_store_dword v50, off, s[16:19], 0 offset:20 ; 4-byte Folded Spill
	;; [unrolled: 1-line block ×4, first 2 shown]
	v_add_f64 v[3:4], v[3:4], -v[175:176]
.LBB85_280:
	s_or_b32 exec_lo, exec_lo, s1
	s_mov_b32 s2, exec_lo
	s_waitcnt_vscnt null, 0x0
	s_barrier
	buffer_gl0_inv
	v_cmpx_eq_u32_e32 31, v0
	s_cbranch_execz .LBB85_287
; %bb.281:
	s_clause 0x3
	buffer_load_dword v37, off, s[16:19], 0
	buffer_load_dword v38, off, s[16:19], 0 offset:4
	buffer_load_dword v39, off, s[16:19], 0 offset:8
	buffer_load_dword v40, off, s[16:19], 0 offset:12
	s_waitcnt vmcnt(0)
	ds_write2_b64 v255, v[37:38], v[39:40] offset1:1
	ds_write2_b64 v253, v[233:234], v[235:236] offset0:64 offset1:65
	ds_write2_b64 v253, v[213:214], v[215:216] offset0:66 offset1:67
	;; [unrolled: 1-line block ×11, first 2 shown]
	ds_read2_b64 v[173:176], v255 offset1:1
	s_waitcnt lgkmcnt(0)
	v_cmp_neq_f64_e32 vcc_lo, 0, v[173:174]
	v_cmp_neq_f64_e64 s1, 0, v[175:176]
	s_or_b32 s1, vcc_lo, s1
	s_and_b32 exec_lo, exec_lo, s1
	s_cbranch_execz .LBB85_287
; %bb.282:
	v_cmp_ngt_f64_e64 s1, |v[173:174]|, |v[175:176]|
                                        ; implicit-def: $vgpr177_vgpr178
	s_and_saveexec_b32 s3, s1
	s_xor_b32 s1, exec_lo, s3
                                        ; implicit-def: $vgpr179_vgpr180
	s_cbranch_execz .LBB85_284
; %bb.283:
	v_div_scale_f64 v[177:178], null, v[175:176], v[175:176], v[173:174]
	v_div_scale_f64 v[183:184], vcc_lo, v[173:174], v[175:176], v[173:174]
	v_rcp_f64_e32 v[179:180], v[177:178]
	v_fma_f64 v[181:182], -v[177:178], v[179:180], 1.0
	v_fma_f64 v[179:180], v[179:180], v[181:182], v[179:180]
	v_fma_f64 v[181:182], -v[177:178], v[179:180], 1.0
	v_fma_f64 v[179:180], v[179:180], v[181:182], v[179:180]
	v_mul_f64 v[181:182], v[183:184], v[179:180]
	v_fma_f64 v[177:178], -v[177:178], v[181:182], v[183:184]
	v_div_fmas_f64 v[177:178], v[177:178], v[179:180], v[181:182]
	v_div_fixup_f64 v[177:178], v[177:178], v[175:176], v[173:174]
	v_fma_f64 v[173:174], v[173:174], v[177:178], v[175:176]
	v_div_scale_f64 v[175:176], null, v[173:174], v[173:174], 1.0
	v_rcp_f64_e32 v[179:180], v[175:176]
	v_fma_f64 v[181:182], -v[175:176], v[179:180], 1.0
	v_fma_f64 v[179:180], v[179:180], v[181:182], v[179:180]
	v_fma_f64 v[181:182], -v[175:176], v[179:180], 1.0
	v_fma_f64 v[179:180], v[179:180], v[181:182], v[179:180]
	v_div_scale_f64 v[181:182], vcc_lo, 1.0, v[173:174], 1.0
	v_mul_f64 v[183:184], v[181:182], v[179:180]
	v_fma_f64 v[175:176], -v[175:176], v[183:184], v[181:182]
	v_div_fmas_f64 v[175:176], v[175:176], v[179:180], v[183:184]
	v_div_fixup_f64 v[179:180], v[175:176], v[173:174], 1.0
                                        ; implicit-def: $vgpr173_vgpr174
	v_mul_f64 v[177:178], v[177:178], v[179:180]
	v_xor_b32_e32 v180, 0x80000000, v180
.LBB85_284:
	s_andn2_saveexec_b32 s1, s1
	s_cbranch_execz .LBB85_286
; %bb.285:
	v_div_scale_f64 v[177:178], null, v[173:174], v[173:174], v[175:176]
	v_div_scale_f64 v[183:184], vcc_lo, v[175:176], v[173:174], v[175:176]
	v_rcp_f64_e32 v[179:180], v[177:178]
	v_fma_f64 v[181:182], -v[177:178], v[179:180], 1.0
	v_fma_f64 v[179:180], v[179:180], v[181:182], v[179:180]
	v_fma_f64 v[181:182], -v[177:178], v[179:180], 1.0
	v_fma_f64 v[179:180], v[179:180], v[181:182], v[179:180]
	v_mul_f64 v[181:182], v[183:184], v[179:180]
	v_fma_f64 v[177:178], -v[177:178], v[181:182], v[183:184]
	v_div_fmas_f64 v[177:178], v[177:178], v[179:180], v[181:182]
	v_div_fixup_f64 v[179:180], v[177:178], v[173:174], v[175:176]
	v_fma_f64 v[173:174], v[175:176], v[179:180], v[173:174]
	v_div_scale_f64 v[175:176], null, v[173:174], v[173:174], 1.0
	v_rcp_f64_e32 v[177:178], v[175:176]
	v_fma_f64 v[181:182], -v[175:176], v[177:178], 1.0
	v_fma_f64 v[177:178], v[177:178], v[181:182], v[177:178]
	v_fma_f64 v[181:182], -v[175:176], v[177:178], 1.0
	v_fma_f64 v[177:178], v[177:178], v[181:182], v[177:178]
	v_div_scale_f64 v[181:182], vcc_lo, 1.0, v[173:174], 1.0
	v_mul_f64 v[183:184], v[181:182], v[177:178]
	v_fma_f64 v[175:176], -v[175:176], v[183:184], v[181:182]
	v_div_fmas_f64 v[175:176], v[175:176], v[177:178], v[183:184]
	v_div_fixup_f64 v[177:178], v[175:176], v[173:174], 1.0
	v_mul_f64 v[179:180], v[179:180], -v[177:178]
.LBB85_286:
	s_or_b32 exec_lo, exec_lo, s1
	ds_write2_b64 v255, v[177:178], v[179:180] offset1:1
.LBB85_287:
	s_or_b32 exec_lo, exec_lo, s2
	s_waitcnt lgkmcnt(0)
	s_barrier
	buffer_gl0_inv
	ds_read2_b64 v[37:40], v255 offset1:1
	s_mov_b32 s1, exec_lo
	s_waitcnt lgkmcnt(0)
	buffer_store_dword v37, off, s[16:19], 0 offset:760 ; 4-byte Folded Spill
	buffer_store_dword v38, off, s[16:19], 0 offset:764 ; 4-byte Folded Spill
	;; [unrolled: 1-line block ×4, first 2 shown]
	v_cmpx_lt_u32_e32 31, v0
	s_cbranch_execz .LBB85_289
; %bb.288:
	s_clause 0x7
	buffer_load_dword v45, off, s[16:19], 0
	buffer_load_dword v46, off, s[16:19], 0 offset:4
	buffer_load_dword v47, off, s[16:19], 0 offset:8
	;; [unrolled: 1-line block ×7, first 2 shown]
	ds_read2_b64 v[175:178], v253 offset0:64 offset1:65
	s_waitcnt vmcnt(2)
	v_mul_f64 v[173:174], v[37:38], v[47:48]
	s_waitcnt vmcnt(0)
	v_mul_f64 v[47:48], v[39:40], v[47:48]
	v_fma_f64 v[173:174], v[39:40], v[45:46], v[173:174]
	v_fma_f64 v[45:46], v[37:38], v[45:46], -v[47:48]
	s_waitcnt lgkmcnt(0)
	v_mul_f64 v[47:48], v[177:178], v[173:174]
	v_fma_f64 v[47:48], v[175:176], v[45:46], -v[47:48]
	v_mul_f64 v[175:176], v[175:176], v[173:174]
	v_add_f64 v[233:234], v[233:234], -v[47:48]
	v_fma_f64 v[175:176], v[177:178], v[45:46], v[175:176]
	v_add_f64 v[235:236], v[235:236], -v[175:176]
	ds_read2_b64 v[175:178], v253 offset0:66 offset1:67
	s_waitcnt lgkmcnt(0)
	v_mul_f64 v[47:48], v[177:178], v[173:174]
	v_fma_f64 v[47:48], v[175:176], v[45:46], -v[47:48]
	v_mul_f64 v[175:176], v[175:176], v[173:174]
	v_add_f64 v[213:214], v[213:214], -v[47:48]
	v_fma_f64 v[175:176], v[177:178], v[45:46], v[175:176]
	v_add_f64 v[215:216], v[215:216], -v[175:176]
	ds_read2_b64 v[175:178], v253 offset0:68 offset1:69
	;; [unrolled: 8-line block ×10, first 2 shown]
	s_waitcnt lgkmcnt(0)
	v_mul_f64 v[47:48], v[177:178], v[173:174]
	v_fma_f64 v[47:48], v[175:176], v[45:46], -v[47:48]
	v_mul_f64 v[175:176], v[175:176], v[173:174]
	v_add_f64 v[1:2], v[1:2], -v[47:48]
	v_fma_f64 v[175:176], v[177:178], v[45:46], v[175:176]
	v_mov_b32_e32 v47, v173
	v_mov_b32_e32 v48, v174
	buffer_store_dword v45, off, s[16:19], 0 ; 4-byte Folded Spill
	buffer_store_dword v46, off, s[16:19], 0 offset:4 ; 4-byte Folded Spill
	buffer_store_dword v47, off, s[16:19], 0 offset:8 ; 4-byte Folded Spill
	;; [unrolled: 1-line block ×3, first 2 shown]
	v_add_f64 v[3:4], v[3:4], -v[175:176]
.LBB85_289:
	s_or_b32 exec_lo, exec_lo, s1
	s_mov_b32 s2, exec_lo
	s_waitcnt_vscnt null, 0x0
	s_barrier
	buffer_gl0_inv
	v_cmpx_eq_u32_e32 32, v0
	s_cbranch_execz .LBB85_296
; %bb.290:
	ds_write2_b64 v255, v[233:234], v[235:236] offset1:1
	ds_write2_b64 v253, v[213:214], v[215:216] offset0:66 offset1:67
	ds_write2_b64 v253, v[33:34], v[35:36] offset0:68 offset1:69
	;; [unrolled: 1-line block ×10, first 2 shown]
	ds_read2_b64 v[173:176], v255 offset1:1
	s_waitcnt lgkmcnt(0)
	v_cmp_neq_f64_e32 vcc_lo, 0, v[173:174]
	v_cmp_neq_f64_e64 s1, 0, v[175:176]
	s_or_b32 s1, vcc_lo, s1
	s_and_b32 exec_lo, exec_lo, s1
	s_cbranch_execz .LBB85_296
; %bb.291:
	v_cmp_ngt_f64_e64 s1, |v[173:174]|, |v[175:176]|
                                        ; implicit-def: $vgpr177_vgpr178
	s_and_saveexec_b32 s3, s1
	s_xor_b32 s1, exec_lo, s3
                                        ; implicit-def: $vgpr179_vgpr180
	s_cbranch_execz .LBB85_293
; %bb.292:
	v_div_scale_f64 v[177:178], null, v[175:176], v[175:176], v[173:174]
	v_div_scale_f64 v[183:184], vcc_lo, v[173:174], v[175:176], v[173:174]
	v_rcp_f64_e32 v[179:180], v[177:178]
	v_fma_f64 v[181:182], -v[177:178], v[179:180], 1.0
	v_fma_f64 v[179:180], v[179:180], v[181:182], v[179:180]
	v_fma_f64 v[181:182], -v[177:178], v[179:180], 1.0
	v_fma_f64 v[179:180], v[179:180], v[181:182], v[179:180]
	v_mul_f64 v[181:182], v[183:184], v[179:180]
	v_fma_f64 v[177:178], -v[177:178], v[181:182], v[183:184]
	v_div_fmas_f64 v[177:178], v[177:178], v[179:180], v[181:182]
	v_div_fixup_f64 v[177:178], v[177:178], v[175:176], v[173:174]
	v_fma_f64 v[173:174], v[173:174], v[177:178], v[175:176]
	v_div_scale_f64 v[175:176], null, v[173:174], v[173:174], 1.0
	v_rcp_f64_e32 v[179:180], v[175:176]
	v_fma_f64 v[181:182], -v[175:176], v[179:180], 1.0
	v_fma_f64 v[179:180], v[179:180], v[181:182], v[179:180]
	v_fma_f64 v[181:182], -v[175:176], v[179:180], 1.0
	v_fma_f64 v[179:180], v[179:180], v[181:182], v[179:180]
	v_div_scale_f64 v[181:182], vcc_lo, 1.0, v[173:174], 1.0
	v_mul_f64 v[183:184], v[181:182], v[179:180]
	v_fma_f64 v[175:176], -v[175:176], v[183:184], v[181:182]
	v_div_fmas_f64 v[175:176], v[175:176], v[179:180], v[183:184]
	v_div_fixup_f64 v[179:180], v[175:176], v[173:174], 1.0
                                        ; implicit-def: $vgpr173_vgpr174
	v_mul_f64 v[177:178], v[177:178], v[179:180]
	v_xor_b32_e32 v180, 0x80000000, v180
.LBB85_293:
	s_andn2_saveexec_b32 s1, s1
	s_cbranch_execz .LBB85_295
; %bb.294:
	v_div_scale_f64 v[177:178], null, v[173:174], v[173:174], v[175:176]
	v_div_scale_f64 v[183:184], vcc_lo, v[175:176], v[173:174], v[175:176]
	v_rcp_f64_e32 v[179:180], v[177:178]
	v_fma_f64 v[181:182], -v[177:178], v[179:180], 1.0
	v_fma_f64 v[179:180], v[179:180], v[181:182], v[179:180]
	v_fma_f64 v[181:182], -v[177:178], v[179:180], 1.0
	v_fma_f64 v[179:180], v[179:180], v[181:182], v[179:180]
	v_mul_f64 v[181:182], v[183:184], v[179:180]
	v_fma_f64 v[177:178], -v[177:178], v[181:182], v[183:184]
	v_div_fmas_f64 v[177:178], v[177:178], v[179:180], v[181:182]
	v_div_fixup_f64 v[179:180], v[177:178], v[173:174], v[175:176]
	v_fma_f64 v[173:174], v[175:176], v[179:180], v[173:174]
	v_div_scale_f64 v[175:176], null, v[173:174], v[173:174], 1.0
	v_rcp_f64_e32 v[177:178], v[175:176]
	v_fma_f64 v[181:182], -v[175:176], v[177:178], 1.0
	v_fma_f64 v[177:178], v[177:178], v[181:182], v[177:178]
	v_fma_f64 v[181:182], -v[175:176], v[177:178], 1.0
	v_fma_f64 v[177:178], v[177:178], v[181:182], v[177:178]
	v_div_scale_f64 v[181:182], vcc_lo, 1.0, v[173:174], 1.0
	v_mul_f64 v[183:184], v[181:182], v[177:178]
	v_fma_f64 v[175:176], -v[175:176], v[183:184], v[181:182]
	v_div_fmas_f64 v[175:176], v[175:176], v[177:178], v[183:184]
	v_div_fixup_f64 v[177:178], v[175:176], v[173:174], 1.0
	v_mul_f64 v[179:180], v[179:180], -v[177:178]
.LBB85_295:
	s_or_b32 exec_lo, exec_lo, s1
	ds_write2_b64 v255, v[177:178], v[179:180] offset1:1
.LBB85_296:
	s_or_b32 exec_lo, exec_lo, s2
	s_waitcnt lgkmcnt(0)
	s_barrier
	buffer_gl0_inv
	ds_read2_b64 v[45:48], v255 offset1:1
	s_mov_b32 s1, exec_lo
	v_cmpx_lt_u32_e32 32, v0
	s_cbranch_execz .LBB85_298
; %bb.297:
	s_waitcnt lgkmcnt(0)
	v_mul_f64 v[173:174], v[45:46], v[235:236]
	v_mul_f64 v[43:44], v[47:48], v[235:236]
	v_fma_f64 v[177:178], v[47:48], v[233:234], v[173:174]
	ds_read2_b64 v[173:176], v253 offset0:66 offset1:67
	v_fma_f64 v[233:234], v[45:46], v[233:234], -v[43:44]
	s_waitcnt lgkmcnt(0)
	v_mul_f64 v[43:44], v[175:176], v[177:178]
	v_mov_b32_e32 v236, v178
	v_mov_b32_e32 v235, v177
	v_fma_f64 v[43:44], v[173:174], v[233:234], -v[43:44]
	v_mul_f64 v[173:174], v[173:174], v[177:178]
	v_add_f64 v[213:214], v[213:214], -v[43:44]
	v_fma_f64 v[173:174], v[175:176], v[233:234], v[173:174]
	v_add_f64 v[215:216], v[215:216], -v[173:174]
	ds_read2_b64 v[173:176], v253 offset0:68 offset1:69
	s_waitcnt lgkmcnt(0)
	v_mul_f64 v[43:44], v[175:176], v[177:178]
	v_fma_f64 v[43:44], v[173:174], v[233:234], -v[43:44]
	v_mul_f64 v[173:174], v[173:174], v[177:178]
	v_add_f64 v[33:34], v[33:34], -v[43:44]
	v_fma_f64 v[173:174], v[175:176], v[233:234], v[173:174]
	v_add_f64 v[35:36], v[35:36], -v[173:174]
	ds_read2_b64 v[173:176], v253 offset0:70 offset1:71
	s_waitcnt lgkmcnt(0)
	v_mul_f64 v[43:44], v[175:176], v[177:178]
	;; [unrolled: 8-line block ×9, first 2 shown]
	v_fma_f64 v[43:44], v[173:174], v[233:234], -v[43:44]
	v_mul_f64 v[173:174], v[173:174], v[177:178]
	v_add_f64 v[1:2], v[1:2], -v[43:44]
	v_fma_f64 v[173:174], v[175:176], v[233:234], v[173:174]
	v_add_f64 v[3:4], v[3:4], -v[173:174]
.LBB85_298:
	s_or_b32 exec_lo, exec_lo, s1
	s_mov_b32 s2, exec_lo
	s_waitcnt lgkmcnt(0)
	s_barrier
	buffer_gl0_inv
	v_cmpx_eq_u32_e32 33, v0
	s_cbranch_execz .LBB85_305
; %bb.299:
	ds_write2_b64 v255, v[213:214], v[215:216] offset1:1
	ds_write2_b64 v253, v[33:34], v[35:36] offset0:68 offset1:69
	ds_write2_b64 v253, v[29:30], v[31:32] offset0:70 offset1:71
	;; [unrolled: 1-line block ×9, first 2 shown]
	ds_read2_b64 v[173:176], v255 offset1:1
	s_waitcnt lgkmcnt(0)
	v_cmp_neq_f64_e32 vcc_lo, 0, v[173:174]
	v_cmp_neq_f64_e64 s1, 0, v[175:176]
	s_or_b32 s1, vcc_lo, s1
	s_and_b32 exec_lo, exec_lo, s1
	s_cbranch_execz .LBB85_305
; %bb.300:
	v_cmp_ngt_f64_e64 s1, |v[173:174]|, |v[175:176]|
                                        ; implicit-def: $vgpr177_vgpr178
	s_and_saveexec_b32 s3, s1
	s_xor_b32 s1, exec_lo, s3
                                        ; implicit-def: $vgpr179_vgpr180
	s_cbranch_execz .LBB85_302
; %bb.301:
	v_div_scale_f64 v[177:178], null, v[175:176], v[175:176], v[173:174]
	v_div_scale_f64 v[183:184], vcc_lo, v[173:174], v[175:176], v[173:174]
	v_rcp_f64_e32 v[179:180], v[177:178]
	v_fma_f64 v[181:182], -v[177:178], v[179:180], 1.0
	v_fma_f64 v[179:180], v[179:180], v[181:182], v[179:180]
	v_fma_f64 v[181:182], -v[177:178], v[179:180], 1.0
	v_fma_f64 v[179:180], v[179:180], v[181:182], v[179:180]
	v_mul_f64 v[181:182], v[183:184], v[179:180]
	v_fma_f64 v[177:178], -v[177:178], v[181:182], v[183:184]
	v_div_fmas_f64 v[177:178], v[177:178], v[179:180], v[181:182]
	v_div_fixup_f64 v[177:178], v[177:178], v[175:176], v[173:174]
	v_fma_f64 v[173:174], v[173:174], v[177:178], v[175:176]
	v_div_scale_f64 v[175:176], null, v[173:174], v[173:174], 1.0
	v_rcp_f64_e32 v[179:180], v[175:176]
	v_fma_f64 v[181:182], -v[175:176], v[179:180], 1.0
	v_fma_f64 v[179:180], v[179:180], v[181:182], v[179:180]
	v_fma_f64 v[181:182], -v[175:176], v[179:180], 1.0
	v_fma_f64 v[179:180], v[179:180], v[181:182], v[179:180]
	v_div_scale_f64 v[181:182], vcc_lo, 1.0, v[173:174], 1.0
	v_mul_f64 v[183:184], v[181:182], v[179:180]
	v_fma_f64 v[175:176], -v[175:176], v[183:184], v[181:182]
	v_div_fmas_f64 v[175:176], v[175:176], v[179:180], v[183:184]
	v_div_fixup_f64 v[179:180], v[175:176], v[173:174], 1.0
                                        ; implicit-def: $vgpr173_vgpr174
	v_mul_f64 v[177:178], v[177:178], v[179:180]
	v_xor_b32_e32 v180, 0x80000000, v180
.LBB85_302:
	s_andn2_saveexec_b32 s1, s1
	s_cbranch_execz .LBB85_304
; %bb.303:
	v_div_scale_f64 v[177:178], null, v[173:174], v[173:174], v[175:176]
	v_div_scale_f64 v[183:184], vcc_lo, v[175:176], v[173:174], v[175:176]
	v_rcp_f64_e32 v[179:180], v[177:178]
	v_fma_f64 v[181:182], -v[177:178], v[179:180], 1.0
	v_fma_f64 v[179:180], v[179:180], v[181:182], v[179:180]
	v_fma_f64 v[181:182], -v[177:178], v[179:180], 1.0
	v_fma_f64 v[179:180], v[179:180], v[181:182], v[179:180]
	v_mul_f64 v[181:182], v[183:184], v[179:180]
	v_fma_f64 v[177:178], -v[177:178], v[181:182], v[183:184]
	v_div_fmas_f64 v[177:178], v[177:178], v[179:180], v[181:182]
	v_div_fixup_f64 v[179:180], v[177:178], v[173:174], v[175:176]
	v_fma_f64 v[173:174], v[175:176], v[179:180], v[173:174]
	v_div_scale_f64 v[175:176], null, v[173:174], v[173:174], 1.0
	v_rcp_f64_e32 v[177:178], v[175:176]
	v_fma_f64 v[181:182], -v[175:176], v[177:178], 1.0
	v_fma_f64 v[177:178], v[177:178], v[181:182], v[177:178]
	v_fma_f64 v[181:182], -v[175:176], v[177:178], 1.0
	v_fma_f64 v[177:178], v[177:178], v[181:182], v[177:178]
	v_div_scale_f64 v[181:182], vcc_lo, 1.0, v[173:174], 1.0
	v_mul_f64 v[183:184], v[181:182], v[177:178]
	v_fma_f64 v[175:176], -v[175:176], v[183:184], v[181:182]
	v_div_fmas_f64 v[175:176], v[175:176], v[177:178], v[183:184]
	v_div_fixup_f64 v[177:178], v[175:176], v[173:174], 1.0
	v_mul_f64 v[179:180], v[179:180], -v[177:178]
.LBB85_304:
	s_or_b32 exec_lo, exec_lo, s1
	ds_write2_b64 v255, v[177:178], v[179:180] offset1:1
.LBB85_305:
	s_or_b32 exec_lo, exec_lo, s2
	s_waitcnt lgkmcnt(0)
	s_barrier
	buffer_gl0_inv
	ds_read2_b64 v[49:52], v255 offset1:1
	s_mov_b32 s1, exec_lo
	v_cmpx_lt_u32_e32 33, v0
	s_cbranch_execz .LBB85_307
; %bb.306:
	s_waitcnt lgkmcnt(0)
	v_mul_f64 v[173:174], v[49:50], v[215:216]
	v_mul_f64 v[39:40], v[51:52], v[215:216]
	v_fma_f64 v[177:178], v[51:52], v[213:214], v[173:174]
	ds_read2_b64 v[173:176], v253 offset0:68 offset1:69
	v_fma_f64 v[213:214], v[49:50], v[213:214], -v[39:40]
	s_waitcnt lgkmcnt(0)
	v_mul_f64 v[39:40], v[175:176], v[177:178]
	v_mov_b32_e32 v216, v178
	v_mov_b32_e32 v215, v177
	v_fma_f64 v[39:40], v[173:174], v[213:214], -v[39:40]
	v_mul_f64 v[173:174], v[173:174], v[177:178]
	v_add_f64 v[33:34], v[33:34], -v[39:40]
	v_fma_f64 v[173:174], v[175:176], v[213:214], v[173:174]
	v_add_f64 v[35:36], v[35:36], -v[173:174]
	ds_read2_b64 v[173:176], v253 offset0:70 offset1:71
	s_waitcnt lgkmcnt(0)
	v_mul_f64 v[39:40], v[175:176], v[177:178]
	v_fma_f64 v[39:40], v[173:174], v[213:214], -v[39:40]
	v_mul_f64 v[173:174], v[173:174], v[177:178]
	v_add_f64 v[29:30], v[29:30], -v[39:40]
	v_fma_f64 v[173:174], v[175:176], v[213:214], v[173:174]
	v_add_f64 v[31:32], v[31:32], -v[173:174]
	ds_read2_b64 v[173:176], v253 offset0:72 offset1:73
	s_waitcnt lgkmcnt(0)
	v_mul_f64 v[39:40], v[175:176], v[177:178]
	;; [unrolled: 8-line block ×8, first 2 shown]
	v_fma_f64 v[39:40], v[173:174], v[213:214], -v[39:40]
	v_mul_f64 v[173:174], v[173:174], v[177:178]
	v_add_f64 v[1:2], v[1:2], -v[39:40]
	v_fma_f64 v[173:174], v[175:176], v[213:214], v[173:174]
	v_add_f64 v[3:4], v[3:4], -v[173:174]
.LBB85_307:
	s_or_b32 exec_lo, exec_lo, s1
	s_mov_b32 s2, exec_lo
	s_waitcnt lgkmcnt(0)
	s_barrier
	buffer_gl0_inv
	v_cmpx_eq_u32_e32 34, v0
	s_cbranch_execz .LBB85_314
; %bb.308:
	ds_write2_b64 v255, v[33:34], v[35:36] offset1:1
	ds_write2_b64 v253, v[29:30], v[31:32] offset0:70 offset1:71
	ds_write2_b64 v253, v[25:26], v[27:28] offset0:72 offset1:73
	;; [unrolled: 1-line block ×8, first 2 shown]
	ds_read2_b64 v[173:176], v255 offset1:1
	s_waitcnt lgkmcnt(0)
	v_cmp_neq_f64_e32 vcc_lo, 0, v[173:174]
	v_cmp_neq_f64_e64 s1, 0, v[175:176]
	s_or_b32 s1, vcc_lo, s1
	s_and_b32 exec_lo, exec_lo, s1
	s_cbranch_execz .LBB85_314
; %bb.309:
	v_cmp_ngt_f64_e64 s1, |v[173:174]|, |v[175:176]|
                                        ; implicit-def: $vgpr177_vgpr178
	s_and_saveexec_b32 s3, s1
	s_xor_b32 s1, exec_lo, s3
                                        ; implicit-def: $vgpr179_vgpr180
	s_cbranch_execz .LBB85_311
; %bb.310:
	v_div_scale_f64 v[177:178], null, v[175:176], v[175:176], v[173:174]
	v_div_scale_f64 v[183:184], vcc_lo, v[173:174], v[175:176], v[173:174]
	v_rcp_f64_e32 v[179:180], v[177:178]
	v_fma_f64 v[181:182], -v[177:178], v[179:180], 1.0
	v_fma_f64 v[179:180], v[179:180], v[181:182], v[179:180]
	v_fma_f64 v[181:182], -v[177:178], v[179:180], 1.0
	v_fma_f64 v[179:180], v[179:180], v[181:182], v[179:180]
	v_mul_f64 v[181:182], v[183:184], v[179:180]
	v_fma_f64 v[177:178], -v[177:178], v[181:182], v[183:184]
	v_div_fmas_f64 v[177:178], v[177:178], v[179:180], v[181:182]
	v_div_fixup_f64 v[177:178], v[177:178], v[175:176], v[173:174]
	v_fma_f64 v[173:174], v[173:174], v[177:178], v[175:176]
	v_div_scale_f64 v[175:176], null, v[173:174], v[173:174], 1.0
	v_rcp_f64_e32 v[179:180], v[175:176]
	v_fma_f64 v[181:182], -v[175:176], v[179:180], 1.0
	v_fma_f64 v[179:180], v[179:180], v[181:182], v[179:180]
	v_fma_f64 v[181:182], -v[175:176], v[179:180], 1.0
	v_fma_f64 v[179:180], v[179:180], v[181:182], v[179:180]
	v_div_scale_f64 v[181:182], vcc_lo, 1.0, v[173:174], 1.0
	v_mul_f64 v[183:184], v[181:182], v[179:180]
	v_fma_f64 v[175:176], -v[175:176], v[183:184], v[181:182]
	v_div_fmas_f64 v[175:176], v[175:176], v[179:180], v[183:184]
	v_div_fixup_f64 v[179:180], v[175:176], v[173:174], 1.0
                                        ; implicit-def: $vgpr173_vgpr174
	v_mul_f64 v[177:178], v[177:178], v[179:180]
	v_xor_b32_e32 v180, 0x80000000, v180
.LBB85_311:
	s_andn2_saveexec_b32 s1, s1
	s_cbranch_execz .LBB85_313
; %bb.312:
	v_div_scale_f64 v[177:178], null, v[173:174], v[173:174], v[175:176]
	v_div_scale_f64 v[183:184], vcc_lo, v[175:176], v[173:174], v[175:176]
	v_rcp_f64_e32 v[179:180], v[177:178]
	v_fma_f64 v[181:182], -v[177:178], v[179:180], 1.0
	v_fma_f64 v[179:180], v[179:180], v[181:182], v[179:180]
	v_fma_f64 v[181:182], -v[177:178], v[179:180], 1.0
	v_fma_f64 v[179:180], v[179:180], v[181:182], v[179:180]
	v_mul_f64 v[181:182], v[183:184], v[179:180]
	v_fma_f64 v[177:178], -v[177:178], v[181:182], v[183:184]
	v_div_fmas_f64 v[177:178], v[177:178], v[179:180], v[181:182]
	v_div_fixup_f64 v[179:180], v[177:178], v[173:174], v[175:176]
	v_fma_f64 v[173:174], v[175:176], v[179:180], v[173:174]
	v_div_scale_f64 v[175:176], null, v[173:174], v[173:174], 1.0
	v_rcp_f64_e32 v[177:178], v[175:176]
	v_fma_f64 v[181:182], -v[175:176], v[177:178], 1.0
	v_fma_f64 v[177:178], v[177:178], v[181:182], v[177:178]
	v_fma_f64 v[181:182], -v[175:176], v[177:178], 1.0
	v_fma_f64 v[177:178], v[177:178], v[181:182], v[177:178]
	v_div_scale_f64 v[181:182], vcc_lo, 1.0, v[173:174], 1.0
	v_mul_f64 v[183:184], v[181:182], v[177:178]
	v_fma_f64 v[175:176], -v[175:176], v[183:184], v[181:182]
	v_div_fmas_f64 v[175:176], v[175:176], v[177:178], v[183:184]
	v_div_fixup_f64 v[177:178], v[175:176], v[173:174], 1.0
	v_mul_f64 v[179:180], v[179:180], -v[177:178]
.LBB85_313:
	s_or_b32 exec_lo, exec_lo, s1
	ds_write2_b64 v255, v[177:178], v[179:180] offset1:1
.LBB85_314:
	s_or_b32 exec_lo, exec_lo, s2
	s_waitcnt lgkmcnt(0)
	s_barrier
	buffer_gl0_inv
	ds_read2_b64 v[53:56], v255 offset1:1
	s_mov_b32 s1, exec_lo
	v_cmpx_lt_u32_e32 34, v0
	s_cbranch_execz .LBB85_316
; %bb.315:
	s_waitcnt lgkmcnt(0)
	v_mul_f64 v[173:174], v[53:54], v[35:36]
	v_mul_f64 v[35:36], v[55:56], v[35:36]
	v_fma_f64 v[177:178], v[55:56], v[33:34], v[173:174]
	ds_read2_b64 v[173:176], v253 offset0:70 offset1:71
	v_fma_f64 v[33:34], v[53:54], v[33:34], -v[35:36]
	s_waitcnt lgkmcnt(0)
	v_mul_f64 v[35:36], v[175:176], v[177:178]
	v_fma_f64 v[35:36], v[173:174], v[33:34], -v[35:36]
	v_mul_f64 v[173:174], v[173:174], v[177:178]
	v_add_f64 v[29:30], v[29:30], -v[35:36]
	v_fma_f64 v[173:174], v[175:176], v[33:34], v[173:174]
	v_add_f64 v[31:32], v[31:32], -v[173:174]
	ds_read2_b64 v[173:176], v253 offset0:72 offset1:73
	s_waitcnt lgkmcnt(0)
	v_mul_f64 v[35:36], v[175:176], v[177:178]
	v_fma_f64 v[35:36], v[173:174], v[33:34], -v[35:36]
	v_mul_f64 v[173:174], v[173:174], v[177:178]
	v_add_f64 v[25:26], v[25:26], -v[35:36]
	v_fma_f64 v[173:174], v[175:176], v[33:34], v[173:174]
	v_add_f64 v[27:28], v[27:28], -v[173:174]
	ds_read2_b64 v[173:176], v253 offset0:74 offset1:75
	;; [unrolled: 8-line block ×7, first 2 shown]
	s_waitcnt lgkmcnt(0)
	v_mul_f64 v[35:36], v[175:176], v[177:178]
	v_fma_f64 v[35:36], v[173:174], v[33:34], -v[35:36]
	v_mul_f64 v[173:174], v[173:174], v[177:178]
	v_add_f64 v[1:2], v[1:2], -v[35:36]
	v_fma_f64 v[173:174], v[175:176], v[33:34], v[173:174]
	v_mov_b32_e32 v35, v177
	v_mov_b32_e32 v36, v178
	v_add_f64 v[3:4], v[3:4], -v[173:174]
.LBB85_316:
	s_or_b32 exec_lo, exec_lo, s1
	s_mov_b32 s2, exec_lo
	s_waitcnt lgkmcnt(0)
	s_barrier
	buffer_gl0_inv
	v_cmpx_eq_u32_e32 35, v0
	s_cbranch_execz .LBB85_323
; %bb.317:
	ds_write2_b64 v255, v[29:30], v[31:32] offset1:1
	ds_write2_b64 v253, v[25:26], v[27:28] offset0:72 offset1:73
	ds_write2_b64 v253, v[21:22], v[23:24] offset0:74 offset1:75
	;; [unrolled: 1-line block ×7, first 2 shown]
	ds_read2_b64 v[173:176], v255 offset1:1
	s_waitcnt lgkmcnt(0)
	v_cmp_neq_f64_e32 vcc_lo, 0, v[173:174]
	v_cmp_neq_f64_e64 s1, 0, v[175:176]
	s_or_b32 s1, vcc_lo, s1
	s_and_b32 exec_lo, exec_lo, s1
	s_cbranch_execz .LBB85_323
; %bb.318:
	v_cmp_ngt_f64_e64 s1, |v[173:174]|, |v[175:176]|
                                        ; implicit-def: $vgpr177_vgpr178
	s_and_saveexec_b32 s3, s1
	s_xor_b32 s1, exec_lo, s3
                                        ; implicit-def: $vgpr179_vgpr180
	s_cbranch_execz .LBB85_320
; %bb.319:
	v_div_scale_f64 v[177:178], null, v[175:176], v[175:176], v[173:174]
	v_div_scale_f64 v[183:184], vcc_lo, v[173:174], v[175:176], v[173:174]
	v_rcp_f64_e32 v[179:180], v[177:178]
	v_fma_f64 v[181:182], -v[177:178], v[179:180], 1.0
	v_fma_f64 v[179:180], v[179:180], v[181:182], v[179:180]
	v_fma_f64 v[181:182], -v[177:178], v[179:180], 1.0
	v_fma_f64 v[179:180], v[179:180], v[181:182], v[179:180]
	v_mul_f64 v[181:182], v[183:184], v[179:180]
	v_fma_f64 v[177:178], -v[177:178], v[181:182], v[183:184]
	v_div_fmas_f64 v[177:178], v[177:178], v[179:180], v[181:182]
	v_div_fixup_f64 v[177:178], v[177:178], v[175:176], v[173:174]
	v_fma_f64 v[173:174], v[173:174], v[177:178], v[175:176]
	v_div_scale_f64 v[175:176], null, v[173:174], v[173:174], 1.0
	v_rcp_f64_e32 v[179:180], v[175:176]
	v_fma_f64 v[181:182], -v[175:176], v[179:180], 1.0
	v_fma_f64 v[179:180], v[179:180], v[181:182], v[179:180]
	v_fma_f64 v[181:182], -v[175:176], v[179:180], 1.0
	v_fma_f64 v[179:180], v[179:180], v[181:182], v[179:180]
	v_div_scale_f64 v[181:182], vcc_lo, 1.0, v[173:174], 1.0
	v_mul_f64 v[183:184], v[181:182], v[179:180]
	v_fma_f64 v[175:176], -v[175:176], v[183:184], v[181:182]
	v_div_fmas_f64 v[175:176], v[175:176], v[179:180], v[183:184]
	v_div_fixup_f64 v[179:180], v[175:176], v[173:174], 1.0
                                        ; implicit-def: $vgpr173_vgpr174
	v_mul_f64 v[177:178], v[177:178], v[179:180]
	v_xor_b32_e32 v180, 0x80000000, v180
.LBB85_320:
	s_andn2_saveexec_b32 s1, s1
	s_cbranch_execz .LBB85_322
; %bb.321:
	v_div_scale_f64 v[177:178], null, v[173:174], v[173:174], v[175:176]
	v_div_scale_f64 v[183:184], vcc_lo, v[175:176], v[173:174], v[175:176]
	v_rcp_f64_e32 v[179:180], v[177:178]
	v_fma_f64 v[181:182], -v[177:178], v[179:180], 1.0
	v_fma_f64 v[179:180], v[179:180], v[181:182], v[179:180]
	v_fma_f64 v[181:182], -v[177:178], v[179:180], 1.0
	v_fma_f64 v[179:180], v[179:180], v[181:182], v[179:180]
	v_mul_f64 v[181:182], v[183:184], v[179:180]
	v_fma_f64 v[177:178], -v[177:178], v[181:182], v[183:184]
	v_div_fmas_f64 v[177:178], v[177:178], v[179:180], v[181:182]
	v_div_fixup_f64 v[179:180], v[177:178], v[173:174], v[175:176]
	v_fma_f64 v[173:174], v[175:176], v[179:180], v[173:174]
	v_div_scale_f64 v[175:176], null, v[173:174], v[173:174], 1.0
	v_rcp_f64_e32 v[177:178], v[175:176]
	v_fma_f64 v[181:182], -v[175:176], v[177:178], 1.0
	v_fma_f64 v[177:178], v[177:178], v[181:182], v[177:178]
	v_fma_f64 v[181:182], -v[175:176], v[177:178], 1.0
	v_fma_f64 v[177:178], v[177:178], v[181:182], v[177:178]
	v_div_scale_f64 v[181:182], vcc_lo, 1.0, v[173:174], 1.0
	v_mul_f64 v[183:184], v[181:182], v[177:178]
	v_fma_f64 v[175:176], -v[175:176], v[183:184], v[181:182]
	v_div_fmas_f64 v[175:176], v[175:176], v[177:178], v[183:184]
	v_div_fixup_f64 v[177:178], v[175:176], v[173:174], 1.0
	v_mul_f64 v[179:180], v[179:180], -v[177:178]
.LBB85_322:
	s_or_b32 exec_lo, exec_lo, s1
	ds_write2_b64 v255, v[177:178], v[179:180] offset1:1
.LBB85_323:
	s_or_b32 exec_lo, exec_lo, s2
	s_waitcnt lgkmcnt(0)
	s_barrier
	buffer_gl0_inv
	ds_read2_b64 v[57:60], v255 offset1:1
	s_mov_b32 s1, exec_lo
	v_cmpx_lt_u32_e32 35, v0
	s_cbranch_execz .LBB85_325
; %bb.324:
	s_waitcnt lgkmcnt(0)
	v_mul_f64 v[173:174], v[57:58], v[31:32]
	v_mul_f64 v[31:32], v[59:60], v[31:32]
	v_fma_f64 v[177:178], v[59:60], v[29:30], v[173:174]
	ds_read2_b64 v[173:176], v253 offset0:72 offset1:73
	v_fma_f64 v[29:30], v[57:58], v[29:30], -v[31:32]
	s_waitcnt lgkmcnt(0)
	v_mul_f64 v[31:32], v[175:176], v[177:178]
	v_fma_f64 v[31:32], v[173:174], v[29:30], -v[31:32]
	v_mul_f64 v[173:174], v[173:174], v[177:178]
	v_add_f64 v[25:26], v[25:26], -v[31:32]
	v_fma_f64 v[173:174], v[175:176], v[29:30], v[173:174]
	v_add_f64 v[27:28], v[27:28], -v[173:174]
	ds_read2_b64 v[173:176], v253 offset0:74 offset1:75
	s_waitcnt lgkmcnt(0)
	v_mul_f64 v[31:32], v[175:176], v[177:178]
	v_fma_f64 v[31:32], v[173:174], v[29:30], -v[31:32]
	v_mul_f64 v[173:174], v[173:174], v[177:178]
	v_add_f64 v[21:22], v[21:22], -v[31:32]
	v_fma_f64 v[173:174], v[175:176], v[29:30], v[173:174]
	v_add_f64 v[23:24], v[23:24], -v[173:174]
	ds_read2_b64 v[173:176], v253 offset0:76 offset1:77
	;; [unrolled: 8-line block ×6, first 2 shown]
	s_waitcnt lgkmcnt(0)
	v_mul_f64 v[31:32], v[175:176], v[177:178]
	v_fma_f64 v[31:32], v[173:174], v[29:30], -v[31:32]
	v_mul_f64 v[173:174], v[173:174], v[177:178]
	v_add_f64 v[1:2], v[1:2], -v[31:32]
	v_fma_f64 v[173:174], v[175:176], v[29:30], v[173:174]
	v_mov_b32_e32 v31, v177
	v_mov_b32_e32 v32, v178
	v_add_f64 v[3:4], v[3:4], -v[173:174]
.LBB85_325:
	s_or_b32 exec_lo, exec_lo, s1
	s_mov_b32 s2, exec_lo
	s_waitcnt lgkmcnt(0)
	s_barrier
	buffer_gl0_inv
	v_cmpx_eq_u32_e32 36, v0
	s_cbranch_execz .LBB85_332
; %bb.326:
	ds_write2_b64 v255, v[25:26], v[27:28] offset1:1
	ds_write2_b64 v253, v[21:22], v[23:24] offset0:74 offset1:75
	ds_write2_b64 v253, v[17:18], v[19:20] offset0:76 offset1:77
	ds_write2_b64 v253, v[13:14], v[15:16] offset0:78 offset1:79
	ds_write2_b64 v253, v[9:10], v[11:12] offset0:80 offset1:81
	ds_write2_b64 v253, v[5:6], v[7:8] offset0:82 offset1:83
	ds_write2_b64 v253, v[1:2], v[3:4] offset0:84 offset1:85
	ds_read2_b64 v[173:176], v255 offset1:1
	s_waitcnt lgkmcnt(0)
	v_cmp_neq_f64_e32 vcc_lo, 0, v[173:174]
	v_cmp_neq_f64_e64 s1, 0, v[175:176]
	s_or_b32 s1, vcc_lo, s1
	s_and_b32 exec_lo, exec_lo, s1
	s_cbranch_execz .LBB85_332
; %bb.327:
	v_cmp_ngt_f64_e64 s1, |v[173:174]|, |v[175:176]|
                                        ; implicit-def: $vgpr177_vgpr178
	s_and_saveexec_b32 s3, s1
	s_xor_b32 s1, exec_lo, s3
                                        ; implicit-def: $vgpr179_vgpr180
	s_cbranch_execz .LBB85_329
; %bb.328:
	v_div_scale_f64 v[177:178], null, v[175:176], v[175:176], v[173:174]
	v_div_scale_f64 v[183:184], vcc_lo, v[173:174], v[175:176], v[173:174]
	v_rcp_f64_e32 v[179:180], v[177:178]
	v_fma_f64 v[181:182], -v[177:178], v[179:180], 1.0
	v_fma_f64 v[179:180], v[179:180], v[181:182], v[179:180]
	v_fma_f64 v[181:182], -v[177:178], v[179:180], 1.0
	v_fma_f64 v[179:180], v[179:180], v[181:182], v[179:180]
	v_mul_f64 v[181:182], v[183:184], v[179:180]
	v_fma_f64 v[177:178], -v[177:178], v[181:182], v[183:184]
	v_div_fmas_f64 v[177:178], v[177:178], v[179:180], v[181:182]
	v_div_fixup_f64 v[177:178], v[177:178], v[175:176], v[173:174]
	v_fma_f64 v[173:174], v[173:174], v[177:178], v[175:176]
	v_div_scale_f64 v[175:176], null, v[173:174], v[173:174], 1.0
	v_rcp_f64_e32 v[179:180], v[175:176]
	v_fma_f64 v[181:182], -v[175:176], v[179:180], 1.0
	v_fma_f64 v[179:180], v[179:180], v[181:182], v[179:180]
	v_fma_f64 v[181:182], -v[175:176], v[179:180], 1.0
	v_fma_f64 v[179:180], v[179:180], v[181:182], v[179:180]
	v_div_scale_f64 v[181:182], vcc_lo, 1.0, v[173:174], 1.0
	v_mul_f64 v[183:184], v[181:182], v[179:180]
	v_fma_f64 v[175:176], -v[175:176], v[183:184], v[181:182]
	v_div_fmas_f64 v[175:176], v[175:176], v[179:180], v[183:184]
	v_div_fixup_f64 v[179:180], v[175:176], v[173:174], 1.0
                                        ; implicit-def: $vgpr173_vgpr174
	v_mul_f64 v[177:178], v[177:178], v[179:180]
	v_xor_b32_e32 v180, 0x80000000, v180
.LBB85_329:
	s_andn2_saveexec_b32 s1, s1
	s_cbranch_execz .LBB85_331
; %bb.330:
	v_div_scale_f64 v[177:178], null, v[173:174], v[173:174], v[175:176]
	v_div_scale_f64 v[183:184], vcc_lo, v[175:176], v[173:174], v[175:176]
	v_rcp_f64_e32 v[179:180], v[177:178]
	v_fma_f64 v[181:182], -v[177:178], v[179:180], 1.0
	v_fma_f64 v[179:180], v[179:180], v[181:182], v[179:180]
	v_fma_f64 v[181:182], -v[177:178], v[179:180], 1.0
	v_fma_f64 v[179:180], v[179:180], v[181:182], v[179:180]
	v_mul_f64 v[181:182], v[183:184], v[179:180]
	v_fma_f64 v[177:178], -v[177:178], v[181:182], v[183:184]
	v_div_fmas_f64 v[177:178], v[177:178], v[179:180], v[181:182]
	v_div_fixup_f64 v[179:180], v[177:178], v[173:174], v[175:176]
	v_fma_f64 v[173:174], v[175:176], v[179:180], v[173:174]
	v_div_scale_f64 v[175:176], null, v[173:174], v[173:174], 1.0
	v_rcp_f64_e32 v[177:178], v[175:176]
	v_fma_f64 v[181:182], -v[175:176], v[177:178], 1.0
	v_fma_f64 v[177:178], v[177:178], v[181:182], v[177:178]
	v_fma_f64 v[181:182], -v[175:176], v[177:178], 1.0
	v_fma_f64 v[177:178], v[177:178], v[181:182], v[177:178]
	v_div_scale_f64 v[181:182], vcc_lo, 1.0, v[173:174], 1.0
	v_mul_f64 v[183:184], v[181:182], v[177:178]
	v_fma_f64 v[175:176], -v[175:176], v[183:184], v[181:182]
	v_div_fmas_f64 v[175:176], v[175:176], v[177:178], v[183:184]
	v_div_fixup_f64 v[177:178], v[175:176], v[173:174], 1.0
	v_mul_f64 v[179:180], v[179:180], -v[177:178]
.LBB85_331:
	s_or_b32 exec_lo, exec_lo, s1
	ds_write2_b64 v255, v[177:178], v[179:180] offset1:1
.LBB85_332:
	s_or_b32 exec_lo, exec_lo, s2
	s_waitcnt lgkmcnt(0)
	s_barrier
	buffer_gl0_inv
	ds_read2_b64 v[61:64], v255 offset1:1
	s_mov_b32 s1, exec_lo
	v_cmpx_lt_u32_e32 36, v0
	s_cbranch_execz .LBB85_334
; %bb.333:
	s_waitcnt lgkmcnt(0)
	v_mul_f64 v[173:174], v[61:62], v[27:28]
	v_mul_f64 v[27:28], v[63:64], v[27:28]
	v_fma_f64 v[177:178], v[63:64], v[25:26], v[173:174]
	ds_read2_b64 v[173:176], v253 offset0:74 offset1:75
	v_fma_f64 v[25:26], v[61:62], v[25:26], -v[27:28]
	s_waitcnt lgkmcnt(0)
	v_mul_f64 v[27:28], v[175:176], v[177:178]
	v_fma_f64 v[27:28], v[173:174], v[25:26], -v[27:28]
	v_mul_f64 v[173:174], v[173:174], v[177:178]
	v_add_f64 v[21:22], v[21:22], -v[27:28]
	v_fma_f64 v[173:174], v[175:176], v[25:26], v[173:174]
	v_add_f64 v[23:24], v[23:24], -v[173:174]
	ds_read2_b64 v[173:176], v253 offset0:76 offset1:77
	s_waitcnt lgkmcnt(0)
	v_mul_f64 v[27:28], v[175:176], v[177:178]
	v_fma_f64 v[27:28], v[173:174], v[25:26], -v[27:28]
	v_mul_f64 v[173:174], v[173:174], v[177:178]
	v_add_f64 v[17:18], v[17:18], -v[27:28]
	v_fma_f64 v[173:174], v[175:176], v[25:26], v[173:174]
	v_add_f64 v[19:20], v[19:20], -v[173:174]
	ds_read2_b64 v[173:176], v253 offset0:78 offset1:79
	;; [unrolled: 8-line block ×5, first 2 shown]
	s_waitcnt lgkmcnt(0)
	v_mul_f64 v[27:28], v[175:176], v[177:178]
	v_fma_f64 v[27:28], v[173:174], v[25:26], -v[27:28]
	v_mul_f64 v[173:174], v[173:174], v[177:178]
	v_add_f64 v[1:2], v[1:2], -v[27:28]
	v_fma_f64 v[173:174], v[175:176], v[25:26], v[173:174]
	v_mov_b32_e32 v27, v177
	v_mov_b32_e32 v28, v178
	v_add_f64 v[3:4], v[3:4], -v[173:174]
.LBB85_334:
	s_or_b32 exec_lo, exec_lo, s1
	s_mov_b32 s2, exec_lo
	s_waitcnt lgkmcnt(0)
	s_barrier
	buffer_gl0_inv
	v_cmpx_eq_u32_e32 37, v0
	s_cbranch_execz .LBB85_341
; %bb.335:
	ds_write2_b64 v255, v[21:22], v[23:24] offset1:1
	ds_write2_b64 v253, v[17:18], v[19:20] offset0:76 offset1:77
	ds_write2_b64 v253, v[13:14], v[15:16] offset0:78 offset1:79
	;; [unrolled: 1-line block ×5, first 2 shown]
	ds_read2_b64 v[173:176], v255 offset1:1
	s_waitcnt lgkmcnt(0)
	v_cmp_neq_f64_e32 vcc_lo, 0, v[173:174]
	v_cmp_neq_f64_e64 s1, 0, v[175:176]
	s_or_b32 s1, vcc_lo, s1
	s_and_b32 exec_lo, exec_lo, s1
	s_cbranch_execz .LBB85_341
; %bb.336:
	v_cmp_ngt_f64_e64 s1, |v[173:174]|, |v[175:176]|
                                        ; implicit-def: $vgpr177_vgpr178
	s_and_saveexec_b32 s3, s1
	s_xor_b32 s1, exec_lo, s3
                                        ; implicit-def: $vgpr179_vgpr180
	s_cbranch_execz .LBB85_338
; %bb.337:
	v_div_scale_f64 v[177:178], null, v[175:176], v[175:176], v[173:174]
	v_div_scale_f64 v[183:184], vcc_lo, v[173:174], v[175:176], v[173:174]
	v_rcp_f64_e32 v[179:180], v[177:178]
	v_fma_f64 v[181:182], -v[177:178], v[179:180], 1.0
	v_fma_f64 v[179:180], v[179:180], v[181:182], v[179:180]
	v_fma_f64 v[181:182], -v[177:178], v[179:180], 1.0
	v_fma_f64 v[179:180], v[179:180], v[181:182], v[179:180]
	v_mul_f64 v[181:182], v[183:184], v[179:180]
	v_fma_f64 v[177:178], -v[177:178], v[181:182], v[183:184]
	v_div_fmas_f64 v[177:178], v[177:178], v[179:180], v[181:182]
	v_div_fixup_f64 v[177:178], v[177:178], v[175:176], v[173:174]
	v_fma_f64 v[173:174], v[173:174], v[177:178], v[175:176]
	v_div_scale_f64 v[175:176], null, v[173:174], v[173:174], 1.0
	v_rcp_f64_e32 v[179:180], v[175:176]
	v_fma_f64 v[181:182], -v[175:176], v[179:180], 1.0
	v_fma_f64 v[179:180], v[179:180], v[181:182], v[179:180]
	v_fma_f64 v[181:182], -v[175:176], v[179:180], 1.0
	v_fma_f64 v[179:180], v[179:180], v[181:182], v[179:180]
	v_div_scale_f64 v[181:182], vcc_lo, 1.0, v[173:174], 1.0
	v_mul_f64 v[183:184], v[181:182], v[179:180]
	v_fma_f64 v[175:176], -v[175:176], v[183:184], v[181:182]
	v_div_fmas_f64 v[175:176], v[175:176], v[179:180], v[183:184]
	v_div_fixup_f64 v[179:180], v[175:176], v[173:174], 1.0
                                        ; implicit-def: $vgpr173_vgpr174
	v_mul_f64 v[177:178], v[177:178], v[179:180]
	v_xor_b32_e32 v180, 0x80000000, v180
.LBB85_338:
	s_andn2_saveexec_b32 s1, s1
	s_cbranch_execz .LBB85_340
; %bb.339:
	v_div_scale_f64 v[177:178], null, v[173:174], v[173:174], v[175:176]
	v_div_scale_f64 v[183:184], vcc_lo, v[175:176], v[173:174], v[175:176]
	v_rcp_f64_e32 v[179:180], v[177:178]
	v_fma_f64 v[181:182], -v[177:178], v[179:180], 1.0
	v_fma_f64 v[179:180], v[179:180], v[181:182], v[179:180]
	v_fma_f64 v[181:182], -v[177:178], v[179:180], 1.0
	v_fma_f64 v[179:180], v[179:180], v[181:182], v[179:180]
	v_mul_f64 v[181:182], v[183:184], v[179:180]
	v_fma_f64 v[177:178], -v[177:178], v[181:182], v[183:184]
	v_div_fmas_f64 v[177:178], v[177:178], v[179:180], v[181:182]
	v_div_fixup_f64 v[179:180], v[177:178], v[173:174], v[175:176]
	v_fma_f64 v[173:174], v[175:176], v[179:180], v[173:174]
	v_div_scale_f64 v[175:176], null, v[173:174], v[173:174], 1.0
	v_rcp_f64_e32 v[177:178], v[175:176]
	v_fma_f64 v[181:182], -v[175:176], v[177:178], 1.0
	v_fma_f64 v[177:178], v[177:178], v[181:182], v[177:178]
	v_fma_f64 v[181:182], -v[175:176], v[177:178], 1.0
	v_fma_f64 v[177:178], v[177:178], v[181:182], v[177:178]
	v_div_scale_f64 v[181:182], vcc_lo, 1.0, v[173:174], 1.0
	v_mul_f64 v[183:184], v[181:182], v[177:178]
	v_fma_f64 v[175:176], -v[175:176], v[183:184], v[181:182]
	v_div_fmas_f64 v[175:176], v[175:176], v[177:178], v[183:184]
	v_div_fixup_f64 v[177:178], v[175:176], v[173:174], 1.0
	v_mul_f64 v[179:180], v[179:180], -v[177:178]
.LBB85_340:
	s_or_b32 exec_lo, exec_lo, s1
	ds_write2_b64 v255, v[177:178], v[179:180] offset1:1
.LBB85_341:
	s_or_b32 exec_lo, exec_lo, s2
	s_waitcnt lgkmcnt(0)
	s_barrier
	buffer_gl0_inv
	ds_read2_b64 v[69:72], v255 offset1:1
	s_mov_b32 s1, exec_lo
	v_cmpx_lt_u32_e32 37, v0
	s_cbranch_execz .LBB85_343
; %bb.342:
	s_waitcnt lgkmcnt(0)
	v_mul_f64 v[173:174], v[69:70], v[23:24]
	v_mul_f64 v[23:24], v[71:72], v[23:24]
	v_fma_f64 v[177:178], v[71:72], v[21:22], v[173:174]
	ds_read2_b64 v[173:176], v253 offset0:76 offset1:77
	v_fma_f64 v[21:22], v[69:70], v[21:22], -v[23:24]
	s_waitcnt lgkmcnt(0)
	v_mul_f64 v[23:24], v[175:176], v[177:178]
	v_fma_f64 v[23:24], v[173:174], v[21:22], -v[23:24]
	v_mul_f64 v[173:174], v[173:174], v[177:178]
	v_add_f64 v[17:18], v[17:18], -v[23:24]
	v_fma_f64 v[173:174], v[175:176], v[21:22], v[173:174]
	v_add_f64 v[19:20], v[19:20], -v[173:174]
	ds_read2_b64 v[173:176], v253 offset0:78 offset1:79
	s_waitcnt lgkmcnt(0)
	v_mul_f64 v[23:24], v[175:176], v[177:178]
	v_fma_f64 v[23:24], v[173:174], v[21:22], -v[23:24]
	v_mul_f64 v[173:174], v[173:174], v[177:178]
	v_add_f64 v[13:14], v[13:14], -v[23:24]
	v_fma_f64 v[173:174], v[175:176], v[21:22], v[173:174]
	v_add_f64 v[15:16], v[15:16], -v[173:174]
	ds_read2_b64 v[173:176], v253 offset0:80 offset1:81
	;; [unrolled: 8-line block ×4, first 2 shown]
	s_waitcnt lgkmcnt(0)
	v_mul_f64 v[23:24], v[175:176], v[177:178]
	v_fma_f64 v[23:24], v[173:174], v[21:22], -v[23:24]
	v_mul_f64 v[173:174], v[173:174], v[177:178]
	v_add_f64 v[1:2], v[1:2], -v[23:24]
	v_fma_f64 v[173:174], v[175:176], v[21:22], v[173:174]
	v_mov_b32_e32 v23, v177
	v_mov_b32_e32 v24, v178
	v_add_f64 v[3:4], v[3:4], -v[173:174]
.LBB85_343:
	s_or_b32 exec_lo, exec_lo, s1
	s_mov_b32 s2, exec_lo
	s_waitcnt lgkmcnt(0)
	s_barrier
	buffer_gl0_inv
	v_cmpx_eq_u32_e32 38, v0
	s_cbranch_execz .LBB85_350
; %bb.344:
	ds_write2_b64 v255, v[17:18], v[19:20] offset1:1
	ds_write2_b64 v253, v[13:14], v[15:16] offset0:78 offset1:79
	ds_write2_b64 v253, v[9:10], v[11:12] offset0:80 offset1:81
	;; [unrolled: 1-line block ×4, first 2 shown]
	ds_read2_b64 v[173:176], v255 offset1:1
	s_waitcnt lgkmcnt(0)
	v_cmp_neq_f64_e32 vcc_lo, 0, v[173:174]
	v_cmp_neq_f64_e64 s1, 0, v[175:176]
	s_or_b32 s1, vcc_lo, s1
	s_and_b32 exec_lo, exec_lo, s1
	s_cbranch_execz .LBB85_350
; %bb.345:
	v_cmp_ngt_f64_e64 s1, |v[173:174]|, |v[175:176]|
                                        ; implicit-def: $vgpr177_vgpr178
	s_and_saveexec_b32 s3, s1
	s_xor_b32 s1, exec_lo, s3
                                        ; implicit-def: $vgpr179_vgpr180
	s_cbranch_execz .LBB85_347
; %bb.346:
	v_div_scale_f64 v[177:178], null, v[175:176], v[175:176], v[173:174]
	v_div_scale_f64 v[183:184], vcc_lo, v[173:174], v[175:176], v[173:174]
	v_rcp_f64_e32 v[179:180], v[177:178]
	v_fma_f64 v[181:182], -v[177:178], v[179:180], 1.0
	v_fma_f64 v[179:180], v[179:180], v[181:182], v[179:180]
	v_fma_f64 v[181:182], -v[177:178], v[179:180], 1.0
	v_fma_f64 v[179:180], v[179:180], v[181:182], v[179:180]
	v_mul_f64 v[181:182], v[183:184], v[179:180]
	v_fma_f64 v[177:178], -v[177:178], v[181:182], v[183:184]
	v_div_fmas_f64 v[177:178], v[177:178], v[179:180], v[181:182]
	v_div_fixup_f64 v[177:178], v[177:178], v[175:176], v[173:174]
	v_fma_f64 v[173:174], v[173:174], v[177:178], v[175:176]
	v_div_scale_f64 v[175:176], null, v[173:174], v[173:174], 1.0
	v_rcp_f64_e32 v[179:180], v[175:176]
	v_fma_f64 v[181:182], -v[175:176], v[179:180], 1.0
	v_fma_f64 v[179:180], v[179:180], v[181:182], v[179:180]
	v_fma_f64 v[181:182], -v[175:176], v[179:180], 1.0
	v_fma_f64 v[179:180], v[179:180], v[181:182], v[179:180]
	v_div_scale_f64 v[181:182], vcc_lo, 1.0, v[173:174], 1.0
	v_mul_f64 v[183:184], v[181:182], v[179:180]
	v_fma_f64 v[175:176], -v[175:176], v[183:184], v[181:182]
	v_div_fmas_f64 v[175:176], v[175:176], v[179:180], v[183:184]
	v_div_fixup_f64 v[179:180], v[175:176], v[173:174], 1.0
                                        ; implicit-def: $vgpr173_vgpr174
	v_mul_f64 v[177:178], v[177:178], v[179:180]
	v_xor_b32_e32 v180, 0x80000000, v180
.LBB85_347:
	s_andn2_saveexec_b32 s1, s1
	s_cbranch_execz .LBB85_349
; %bb.348:
	v_div_scale_f64 v[177:178], null, v[173:174], v[173:174], v[175:176]
	v_div_scale_f64 v[183:184], vcc_lo, v[175:176], v[173:174], v[175:176]
	v_rcp_f64_e32 v[179:180], v[177:178]
	v_fma_f64 v[181:182], -v[177:178], v[179:180], 1.0
	v_fma_f64 v[179:180], v[179:180], v[181:182], v[179:180]
	v_fma_f64 v[181:182], -v[177:178], v[179:180], 1.0
	v_fma_f64 v[179:180], v[179:180], v[181:182], v[179:180]
	v_mul_f64 v[181:182], v[183:184], v[179:180]
	v_fma_f64 v[177:178], -v[177:178], v[181:182], v[183:184]
	v_div_fmas_f64 v[177:178], v[177:178], v[179:180], v[181:182]
	v_div_fixup_f64 v[179:180], v[177:178], v[173:174], v[175:176]
	v_fma_f64 v[173:174], v[175:176], v[179:180], v[173:174]
	v_div_scale_f64 v[175:176], null, v[173:174], v[173:174], 1.0
	v_rcp_f64_e32 v[177:178], v[175:176]
	v_fma_f64 v[181:182], -v[175:176], v[177:178], 1.0
	v_fma_f64 v[177:178], v[177:178], v[181:182], v[177:178]
	v_fma_f64 v[181:182], -v[175:176], v[177:178], 1.0
	v_fma_f64 v[177:178], v[177:178], v[181:182], v[177:178]
	v_div_scale_f64 v[181:182], vcc_lo, 1.0, v[173:174], 1.0
	v_mul_f64 v[183:184], v[181:182], v[177:178]
	v_fma_f64 v[175:176], -v[175:176], v[183:184], v[181:182]
	v_div_fmas_f64 v[175:176], v[175:176], v[177:178], v[183:184]
	v_div_fixup_f64 v[177:178], v[175:176], v[173:174], 1.0
	v_mul_f64 v[179:180], v[179:180], -v[177:178]
.LBB85_349:
	s_or_b32 exec_lo, exec_lo, s1
	ds_write2_b64 v255, v[177:178], v[179:180] offset1:1
.LBB85_350:
	s_or_b32 exec_lo, exec_lo, s2
	s_waitcnt lgkmcnt(0)
	s_barrier
	buffer_gl0_inv
	ds_read2_b64 v[73:76], v255 offset1:1
	s_mov_b32 s1, exec_lo
	v_cmpx_lt_u32_e32 38, v0
	s_cbranch_execz .LBB85_352
; %bb.351:
	s_waitcnt lgkmcnt(0)
	v_mul_f64 v[173:174], v[73:74], v[19:20]
	v_mul_f64 v[19:20], v[75:76], v[19:20]
	v_fma_f64 v[177:178], v[75:76], v[17:18], v[173:174]
	ds_read2_b64 v[173:176], v253 offset0:78 offset1:79
	v_fma_f64 v[17:18], v[73:74], v[17:18], -v[19:20]
	s_waitcnt lgkmcnt(0)
	v_mul_f64 v[19:20], v[175:176], v[177:178]
	v_fma_f64 v[19:20], v[173:174], v[17:18], -v[19:20]
	v_mul_f64 v[173:174], v[173:174], v[177:178]
	v_add_f64 v[13:14], v[13:14], -v[19:20]
	v_fma_f64 v[173:174], v[175:176], v[17:18], v[173:174]
	v_add_f64 v[15:16], v[15:16], -v[173:174]
	ds_read2_b64 v[173:176], v253 offset0:80 offset1:81
	s_waitcnt lgkmcnt(0)
	v_mul_f64 v[19:20], v[175:176], v[177:178]
	v_fma_f64 v[19:20], v[173:174], v[17:18], -v[19:20]
	v_mul_f64 v[173:174], v[173:174], v[177:178]
	v_add_f64 v[9:10], v[9:10], -v[19:20]
	v_fma_f64 v[173:174], v[175:176], v[17:18], v[173:174]
	v_add_f64 v[11:12], v[11:12], -v[173:174]
	ds_read2_b64 v[173:176], v253 offset0:82 offset1:83
	;; [unrolled: 8-line block ×3, first 2 shown]
	s_waitcnt lgkmcnt(0)
	v_mul_f64 v[19:20], v[175:176], v[177:178]
	v_fma_f64 v[19:20], v[173:174], v[17:18], -v[19:20]
	v_mul_f64 v[173:174], v[173:174], v[177:178]
	v_add_f64 v[1:2], v[1:2], -v[19:20]
	v_fma_f64 v[173:174], v[175:176], v[17:18], v[173:174]
	v_mov_b32_e32 v19, v177
	v_mov_b32_e32 v20, v178
	v_add_f64 v[3:4], v[3:4], -v[173:174]
.LBB85_352:
	s_or_b32 exec_lo, exec_lo, s1
	s_mov_b32 s2, exec_lo
	s_waitcnt lgkmcnt(0)
	s_barrier
	buffer_gl0_inv
	v_cmpx_eq_u32_e32 39, v0
	s_cbranch_execz .LBB85_359
; %bb.353:
	ds_write2_b64 v255, v[13:14], v[15:16] offset1:1
	ds_write2_b64 v253, v[9:10], v[11:12] offset0:80 offset1:81
	ds_write2_b64 v253, v[5:6], v[7:8] offset0:82 offset1:83
	;; [unrolled: 1-line block ×3, first 2 shown]
	ds_read2_b64 v[173:176], v255 offset1:1
	s_waitcnt lgkmcnt(0)
	v_cmp_neq_f64_e32 vcc_lo, 0, v[173:174]
	v_cmp_neq_f64_e64 s1, 0, v[175:176]
	s_or_b32 s1, vcc_lo, s1
	s_and_b32 exec_lo, exec_lo, s1
	s_cbranch_execz .LBB85_359
; %bb.354:
	v_cmp_ngt_f64_e64 s1, |v[173:174]|, |v[175:176]|
                                        ; implicit-def: $vgpr177_vgpr178
	s_and_saveexec_b32 s3, s1
	s_xor_b32 s1, exec_lo, s3
                                        ; implicit-def: $vgpr179_vgpr180
	s_cbranch_execz .LBB85_356
; %bb.355:
	v_div_scale_f64 v[177:178], null, v[175:176], v[175:176], v[173:174]
	v_div_scale_f64 v[183:184], vcc_lo, v[173:174], v[175:176], v[173:174]
	v_rcp_f64_e32 v[179:180], v[177:178]
	v_fma_f64 v[181:182], -v[177:178], v[179:180], 1.0
	v_fma_f64 v[179:180], v[179:180], v[181:182], v[179:180]
	v_fma_f64 v[181:182], -v[177:178], v[179:180], 1.0
	v_fma_f64 v[179:180], v[179:180], v[181:182], v[179:180]
	v_mul_f64 v[181:182], v[183:184], v[179:180]
	v_fma_f64 v[177:178], -v[177:178], v[181:182], v[183:184]
	v_div_fmas_f64 v[177:178], v[177:178], v[179:180], v[181:182]
	v_div_fixup_f64 v[177:178], v[177:178], v[175:176], v[173:174]
	v_fma_f64 v[173:174], v[173:174], v[177:178], v[175:176]
	v_div_scale_f64 v[175:176], null, v[173:174], v[173:174], 1.0
	v_rcp_f64_e32 v[179:180], v[175:176]
	v_fma_f64 v[181:182], -v[175:176], v[179:180], 1.0
	v_fma_f64 v[179:180], v[179:180], v[181:182], v[179:180]
	v_fma_f64 v[181:182], -v[175:176], v[179:180], 1.0
	v_fma_f64 v[179:180], v[179:180], v[181:182], v[179:180]
	v_div_scale_f64 v[181:182], vcc_lo, 1.0, v[173:174], 1.0
	v_mul_f64 v[183:184], v[181:182], v[179:180]
	v_fma_f64 v[175:176], -v[175:176], v[183:184], v[181:182]
	v_div_fmas_f64 v[175:176], v[175:176], v[179:180], v[183:184]
	v_div_fixup_f64 v[179:180], v[175:176], v[173:174], 1.0
                                        ; implicit-def: $vgpr173_vgpr174
	v_mul_f64 v[177:178], v[177:178], v[179:180]
	v_xor_b32_e32 v180, 0x80000000, v180
.LBB85_356:
	s_andn2_saveexec_b32 s1, s1
	s_cbranch_execz .LBB85_358
; %bb.357:
	v_div_scale_f64 v[177:178], null, v[173:174], v[173:174], v[175:176]
	v_div_scale_f64 v[183:184], vcc_lo, v[175:176], v[173:174], v[175:176]
	v_rcp_f64_e32 v[179:180], v[177:178]
	v_fma_f64 v[181:182], -v[177:178], v[179:180], 1.0
	v_fma_f64 v[179:180], v[179:180], v[181:182], v[179:180]
	v_fma_f64 v[181:182], -v[177:178], v[179:180], 1.0
	v_fma_f64 v[179:180], v[179:180], v[181:182], v[179:180]
	v_mul_f64 v[181:182], v[183:184], v[179:180]
	v_fma_f64 v[177:178], -v[177:178], v[181:182], v[183:184]
	v_div_fmas_f64 v[177:178], v[177:178], v[179:180], v[181:182]
	v_div_fixup_f64 v[179:180], v[177:178], v[173:174], v[175:176]
	v_fma_f64 v[173:174], v[175:176], v[179:180], v[173:174]
	v_div_scale_f64 v[175:176], null, v[173:174], v[173:174], 1.0
	v_rcp_f64_e32 v[177:178], v[175:176]
	v_fma_f64 v[181:182], -v[175:176], v[177:178], 1.0
	v_fma_f64 v[177:178], v[177:178], v[181:182], v[177:178]
	v_fma_f64 v[181:182], -v[175:176], v[177:178], 1.0
	v_fma_f64 v[177:178], v[177:178], v[181:182], v[177:178]
	v_div_scale_f64 v[181:182], vcc_lo, 1.0, v[173:174], 1.0
	v_mul_f64 v[183:184], v[181:182], v[177:178]
	v_fma_f64 v[175:176], -v[175:176], v[183:184], v[181:182]
	v_div_fmas_f64 v[175:176], v[175:176], v[177:178], v[183:184]
	v_div_fixup_f64 v[177:178], v[175:176], v[173:174], 1.0
	v_mul_f64 v[179:180], v[179:180], -v[177:178]
.LBB85_358:
	s_or_b32 exec_lo, exec_lo, s1
	ds_write2_b64 v255, v[177:178], v[179:180] offset1:1
.LBB85_359:
	s_or_b32 exec_lo, exec_lo, s2
	s_waitcnt lgkmcnt(0)
	s_barrier
	buffer_gl0_inv
	ds_read2_b64 v[249:252], v255 offset1:1
	s_mov_b32 s1, exec_lo
	v_cmpx_lt_u32_e32 39, v0
	s_cbranch_execz .LBB85_361
; %bb.360:
	s_waitcnt lgkmcnt(0)
	v_mul_f64 v[173:174], v[249:250], v[15:16]
	v_mul_f64 v[15:16], v[251:252], v[15:16]
	v_fma_f64 v[177:178], v[251:252], v[13:14], v[173:174]
	ds_read2_b64 v[173:176], v253 offset0:80 offset1:81
	v_fma_f64 v[13:14], v[249:250], v[13:14], -v[15:16]
	s_waitcnt lgkmcnt(0)
	v_mul_f64 v[15:16], v[175:176], v[177:178]
	v_fma_f64 v[15:16], v[173:174], v[13:14], -v[15:16]
	v_mul_f64 v[173:174], v[173:174], v[177:178]
	v_add_f64 v[9:10], v[9:10], -v[15:16]
	v_fma_f64 v[173:174], v[175:176], v[13:14], v[173:174]
	v_add_f64 v[11:12], v[11:12], -v[173:174]
	ds_read2_b64 v[173:176], v253 offset0:82 offset1:83
	s_waitcnt lgkmcnt(0)
	v_mul_f64 v[15:16], v[175:176], v[177:178]
	v_fma_f64 v[15:16], v[173:174], v[13:14], -v[15:16]
	v_mul_f64 v[173:174], v[173:174], v[177:178]
	v_add_f64 v[5:6], v[5:6], -v[15:16]
	v_fma_f64 v[173:174], v[175:176], v[13:14], v[173:174]
	v_add_f64 v[7:8], v[7:8], -v[173:174]
	ds_read2_b64 v[173:176], v253 offset0:84 offset1:85
	s_waitcnt lgkmcnt(0)
	v_mul_f64 v[15:16], v[175:176], v[177:178]
	v_fma_f64 v[15:16], v[173:174], v[13:14], -v[15:16]
	v_mul_f64 v[173:174], v[173:174], v[177:178]
	v_add_f64 v[1:2], v[1:2], -v[15:16]
	v_fma_f64 v[173:174], v[175:176], v[13:14], v[173:174]
	v_mov_b32_e32 v15, v177
	v_mov_b32_e32 v16, v178
	v_add_f64 v[3:4], v[3:4], -v[173:174]
.LBB85_361:
	s_or_b32 exec_lo, exec_lo, s1
	s_mov_b32 s2, exec_lo
	s_waitcnt lgkmcnt(0)
	s_barrier
	buffer_gl0_inv
	v_cmpx_eq_u32_e32 40, v0
	s_cbranch_execz .LBB85_368
; %bb.362:
	ds_write2_b64 v255, v[9:10], v[11:12] offset1:1
	ds_write2_b64 v253, v[5:6], v[7:8] offset0:82 offset1:83
	ds_write2_b64 v253, v[1:2], v[3:4] offset0:84 offset1:85
	ds_read2_b64 v[173:176], v255 offset1:1
	s_waitcnt lgkmcnt(0)
	v_cmp_neq_f64_e32 vcc_lo, 0, v[173:174]
	v_cmp_neq_f64_e64 s1, 0, v[175:176]
	s_or_b32 s1, vcc_lo, s1
	s_and_b32 exec_lo, exec_lo, s1
	s_cbranch_execz .LBB85_368
; %bb.363:
	v_cmp_ngt_f64_e64 s1, |v[173:174]|, |v[175:176]|
                                        ; implicit-def: $vgpr177_vgpr178
	s_and_saveexec_b32 s3, s1
	s_xor_b32 s1, exec_lo, s3
                                        ; implicit-def: $vgpr179_vgpr180
	s_cbranch_execz .LBB85_365
; %bb.364:
	v_div_scale_f64 v[177:178], null, v[175:176], v[175:176], v[173:174]
	v_div_scale_f64 v[183:184], vcc_lo, v[173:174], v[175:176], v[173:174]
	v_rcp_f64_e32 v[179:180], v[177:178]
	v_fma_f64 v[181:182], -v[177:178], v[179:180], 1.0
	v_fma_f64 v[179:180], v[179:180], v[181:182], v[179:180]
	v_fma_f64 v[181:182], -v[177:178], v[179:180], 1.0
	v_fma_f64 v[179:180], v[179:180], v[181:182], v[179:180]
	v_mul_f64 v[181:182], v[183:184], v[179:180]
	v_fma_f64 v[177:178], -v[177:178], v[181:182], v[183:184]
	v_div_fmas_f64 v[177:178], v[177:178], v[179:180], v[181:182]
	v_div_fixup_f64 v[177:178], v[177:178], v[175:176], v[173:174]
	v_fma_f64 v[173:174], v[173:174], v[177:178], v[175:176]
	v_div_scale_f64 v[175:176], null, v[173:174], v[173:174], 1.0
	v_rcp_f64_e32 v[179:180], v[175:176]
	v_fma_f64 v[181:182], -v[175:176], v[179:180], 1.0
	v_fma_f64 v[179:180], v[179:180], v[181:182], v[179:180]
	v_fma_f64 v[181:182], -v[175:176], v[179:180], 1.0
	v_fma_f64 v[179:180], v[179:180], v[181:182], v[179:180]
	v_div_scale_f64 v[181:182], vcc_lo, 1.0, v[173:174], 1.0
	v_mul_f64 v[183:184], v[181:182], v[179:180]
	v_fma_f64 v[175:176], -v[175:176], v[183:184], v[181:182]
	v_div_fmas_f64 v[175:176], v[175:176], v[179:180], v[183:184]
	v_div_fixup_f64 v[179:180], v[175:176], v[173:174], 1.0
                                        ; implicit-def: $vgpr173_vgpr174
	v_mul_f64 v[177:178], v[177:178], v[179:180]
	v_xor_b32_e32 v180, 0x80000000, v180
.LBB85_365:
	s_andn2_saveexec_b32 s1, s1
	s_cbranch_execz .LBB85_367
; %bb.366:
	v_div_scale_f64 v[177:178], null, v[173:174], v[173:174], v[175:176]
	v_div_scale_f64 v[183:184], vcc_lo, v[175:176], v[173:174], v[175:176]
	v_rcp_f64_e32 v[179:180], v[177:178]
	v_fma_f64 v[181:182], -v[177:178], v[179:180], 1.0
	v_fma_f64 v[179:180], v[179:180], v[181:182], v[179:180]
	v_fma_f64 v[181:182], -v[177:178], v[179:180], 1.0
	v_fma_f64 v[179:180], v[179:180], v[181:182], v[179:180]
	v_mul_f64 v[181:182], v[183:184], v[179:180]
	v_fma_f64 v[177:178], -v[177:178], v[181:182], v[183:184]
	v_div_fmas_f64 v[177:178], v[177:178], v[179:180], v[181:182]
	v_div_fixup_f64 v[179:180], v[177:178], v[173:174], v[175:176]
	v_fma_f64 v[173:174], v[175:176], v[179:180], v[173:174]
	v_div_scale_f64 v[175:176], null, v[173:174], v[173:174], 1.0
	v_rcp_f64_e32 v[177:178], v[175:176]
	v_fma_f64 v[181:182], -v[175:176], v[177:178], 1.0
	v_fma_f64 v[177:178], v[177:178], v[181:182], v[177:178]
	v_fma_f64 v[181:182], -v[175:176], v[177:178], 1.0
	v_fma_f64 v[177:178], v[177:178], v[181:182], v[177:178]
	v_div_scale_f64 v[181:182], vcc_lo, 1.0, v[173:174], 1.0
	v_mul_f64 v[183:184], v[181:182], v[177:178]
	v_fma_f64 v[175:176], -v[175:176], v[183:184], v[181:182]
	v_div_fmas_f64 v[175:176], v[175:176], v[177:178], v[183:184]
	v_div_fixup_f64 v[177:178], v[175:176], v[173:174], 1.0
	v_mul_f64 v[179:180], v[179:180], -v[177:178]
.LBB85_367:
	s_or_b32 exec_lo, exec_lo, s1
	ds_write2_b64 v255, v[177:178], v[179:180] offset1:1
.LBB85_368:
	s_or_b32 exec_lo, exec_lo, s2
	s_waitcnt lgkmcnt(0)
	s_barrier
	buffer_gl0_inv
	ds_read2_b64 v[173:176], v255 offset1:1
	s_mov_b32 s1, exec_lo
	v_cmpx_lt_u32_e32 40, v0
	s_cbranch_execz .LBB85_370
; %bb.369:
	s_waitcnt lgkmcnt(0)
	v_mul_f64 v[177:178], v[173:174], v[11:12]
	v_mul_f64 v[11:12], v[175:176], v[11:12]
	v_fma_f64 v[181:182], v[175:176], v[9:10], v[177:178]
	ds_read2_b64 v[177:180], v253 offset0:82 offset1:83
	v_fma_f64 v[9:10], v[173:174], v[9:10], -v[11:12]
	s_waitcnt lgkmcnt(0)
	v_mul_f64 v[11:12], v[179:180], v[181:182]
	v_fma_f64 v[11:12], v[177:178], v[9:10], -v[11:12]
	v_mul_f64 v[177:178], v[177:178], v[181:182]
	v_add_f64 v[5:6], v[5:6], -v[11:12]
	v_fma_f64 v[177:178], v[179:180], v[9:10], v[177:178]
	v_add_f64 v[7:8], v[7:8], -v[177:178]
	ds_read2_b64 v[177:180], v253 offset0:84 offset1:85
	s_waitcnt lgkmcnt(0)
	v_mul_f64 v[11:12], v[179:180], v[181:182]
	v_fma_f64 v[11:12], v[177:178], v[9:10], -v[11:12]
	v_mul_f64 v[177:178], v[177:178], v[181:182]
	v_add_f64 v[1:2], v[1:2], -v[11:12]
	v_fma_f64 v[177:178], v[179:180], v[9:10], v[177:178]
	v_mov_b32_e32 v11, v181
	v_mov_b32_e32 v12, v182
	v_add_f64 v[3:4], v[3:4], -v[177:178]
.LBB85_370:
	s_or_b32 exec_lo, exec_lo, s1
	s_mov_b32 s2, exec_lo
	s_waitcnt lgkmcnt(0)
	s_barrier
	buffer_gl0_inv
	v_cmpx_eq_u32_e32 41, v0
	s_cbranch_execz .LBB85_377
; %bb.371:
	ds_write2_b64 v255, v[5:6], v[7:8] offset1:1
	ds_write2_b64 v253, v[1:2], v[3:4] offset0:84 offset1:85
	ds_read2_b64 v[177:180], v255 offset1:1
	s_waitcnt lgkmcnt(0)
	v_cmp_neq_f64_e32 vcc_lo, 0, v[177:178]
	v_cmp_neq_f64_e64 s1, 0, v[179:180]
	s_or_b32 s1, vcc_lo, s1
	s_and_b32 exec_lo, exec_lo, s1
	s_cbranch_execz .LBB85_377
; %bb.372:
	v_cmp_ngt_f64_e64 s1, |v[177:178]|, |v[179:180]|
                                        ; implicit-def: $vgpr181_vgpr182
	s_and_saveexec_b32 s3, s1
	s_xor_b32 s1, exec_lo, s3
                                        ; implicit-def: $vgpr183_vgpr184
	s_cbranch_execz .LBB85_374
; %bb.373:
	v_div_scale_f64 v[181:182], null, v[179:180], v[179:180], v[177:178]
	v_div_scale_f64 v[187:188], vcc_lo, v[177:178], v[179:180], v[177:178]
	v_rcp_f64_e32 v[183:184], v[181:182]
	v_fma_f64 v[185:186], -v[181:182], v[183:184], 1.0
	v_fma_f64 v[183:184], v[183:184], v[185:186], v[183:184]
	v_fma_f64 v[185:186], -v[181:182], v[183:184], 1.0
	v_fma_f64 v[183:184], v[183:184], v[185:186], v[183:184]
	v_mul_f64 v[185:186], v[187:188], v[183:184]
	v_fma_f64 v[181:182], -v[181:182], v[185:186], v[187:188]
	v_div_fmas_f64 v[181:182], v[181:182], v[183:184], v[185:186]
	v_div_fixup_f64 v[181:182], v[181:182], v[179:180], v[177:178]
	v_fma_f64 v[177:178], v[177:178], v[181:182], v[179:180]
	v_div_scale_f64 v[179:180], null, v[177:178], v[177:178], 1.0
	v_rcp_f64_e32 v[183:184], v[179:180]
	v_fma_f64 v[185:186], -v[179:180], v[183:184], 1.0
	v_fma_f64 v[183:184], v[183:184], v[185:186], v[183:184]
	v_fma_f64 v[185:186], -v[179:180], v[183:184], 1.0
	v_fma_f64 v[183:184], v[183:184], v[185:186], v[183:184]
	v_div_scale_f64 v[185:186], vcc_lo, 1.0, v[177:178], 1.0
	v_mul_f64 v[187:188], v[185:186], v[183:184]
	v_fma_f64 v[179:180], -v[179:180], v[187:188], v[185:186]
	v_div_fmas_f64 v[179:180], v[179:180], v[183:184], v[187:188]
	v_div_fixup_f64 v[183:184], v[179:180], v[177:178], 1.0
                                        ; implicit-def: $vgpr177_vgpr178
	v_mul_f64 v[181:182], v[181:182], v[183:184]
	v_xor_b32_e32 v184, 0x80000000, v184
.LBB85_374:
	s_andn2_saveexec_b32 s1, s1
	s_cbranch_execz .LBB85_376
; %bb.375:
	v_div_scale_f64 v[181:182], null, v[177:178], v[177:178], v[179:180]
	v_div_scale_f64 v[187:188], vcc_lo, v[179:180], v[177:178], v[179:180]
	v_rcp_f64_e32 v[183:184], v[181:182]
	v_fma_f64 v[185:186], -v[181:182], v[183:184], 1.0
	v_fma_f64 v[183:184], v[183:184], v[185:186], v[183:184]
	v_fma_f64 v[185:186], -v[181:182], v[183:184], 1.0
	v_fma_f64 v[183:184], v[183:184], v[185:186], v[183:184]
	v_mul_f64 v[185:186], v[187:188], v[183:184]
	v_fma_f64 v[181:182], -v[181:182], v[185:186], v[187:188]
	v_div_fmas_f64 v[181:182], v[181:182], v[183:184], v[185:186]
	v_div_fixup_f64 v[183:184], v[181:182], v[177:178], v[179:180]
	v_fma_f64 v[177:178], v[179:180], v[183:184], v[177:178]
	v_div_scale_f64 v[179:180], null, v[177:178], v[177:178], 1.0
	v_rcp_f64_e32 v[181:182], v[179:180]
	v_fma_f64 v[185:186], -v[179:180], v[181:182], 1.0
	v_fma_f64 v[181:182], v[181:182], v[185:186], v[181:182]
	v_fma_f64 v[185:186], -v[179:180], v[181:182], 1.0
	v_fma_f64 v[181:182], v[181:182], v[185:186], v[181:182]
	v_div_scale_f64 v[185:186], vcc_lo, 1.0, v[177:178], 1.0
	v_mul_f64 v[187:188], v[185:186], v[181:182]
	v_fma_f64 v[179:180], -v[179:180], v[187:188], v[185:186]
	v_div_fmas_f64 v[179:180], v[179:180], v[181:182], v[187:188]
	v_div_fixup_f64 v[181:182], v[179:180], v[177:178], 1.0
	v_mul_f64 v[183:184], v[183:184], -v[181:182]
.LBB85_376:
	s_or_b32 exec_lo, exec_lo, s1
	ds_write2_b64 v255, v[181:182], v[183:184] offset1:1
.LBB85_377:
	s_or_b32 exec_lo, exec_lo, s2
	s_waitcnt lgkmcnt(0)
	s_barrier
	buffer_gl0_inv
	ds_read2_b64 v[177:180], v255 offset1:1
	s_mov_b32 s1, exec_lo
	v_cmpx_lt_u32_e32 41, v0
	s_cbranch_execz .LBB85_379
; %bb.378:
	s_waitcnt lgkmcnt(0)
	v_mul_f64 v[181:182], v[177:178], v[7:8]
	v_mul_f64 v[7:8], v[179:180], v[7:8]
	v_fma_f64 v[185:186], v[179:180], v[5:6], v[181:182]
	ds_read2_b64 v[181:184], v253 offset0:84 offset1:85
	v_fma_f64 v[5:6], v[177:178], v[5:6], -v[7:8]
	s_waitcnt lgkmcnt(0)
	v_mul_f64 v[7:8], v[183:184], v[185:186]
	v_fma_f64 v[7:8], v[181:182], v[5:6], -v[7:8]
	v_mul_f64 v[181:182], v[181:182], v[185:186]
	v_add_f64 v[1:2], v[1:2], -v[7:8]
	v_fma_f64 v[181:182], v[183:184], v[5:6], v[181:182]
	v_mov_b32_e32 v7, v185
	v_mov_b32_e32 v8, v186
	v_add_f64 v[3:4], v[3:4], -v[181:182]
.LBB85_379:
	s_or_b32 exec_lo, exec_lo, s1
	s_mov_b32 s2, exec_lo
	s_waitcnt lgkmcnt(0)
	s_barrier
	buffer_gl0_inv
	v_cmpx_eq_u32_e32 42, v0
	s_cbranch_execz .LBB85_386
; %bb.380:
	v_cmp_neq_f64_e32 vcc_lo, 0, v[1:2]
	v_cmp_neq_f64_e64 s1, 0, v[3:4]
	ds_write2_b64 v255, v[1:2], v[3:4] offset1:1
	s_or_b32 s1, vcc_lo, s1
	s_and_b32 exec_lo, exec_lo, s1
	s_cbranch_execz .LBB85_386
; %bb.381:
	v_cmp_ngt_f64_e64 s1, |v[1:2]|, |v[3:4]|
                                        ; implicit-def: $vgpr181_vgpr182
	s_and_saveexec_b32 s3, s1
	s_xor_b32 s1, exec_lo, s3
                                        ; implicit-def: $vgpr183_vgpr184
	s_cbranch_execz .LBB85_383
; %bb.382:
	v_div_scale_f64 v[181:182], null, v[3:4], v[3:4], v[1:2]
	v_div_scale_f64 v[187:188], vcc_lo, v[1:2], v[3:4], v[1:2]
	v_mov_b32_e32 v40, v12
	v_mov_b32_e32 v39, v11
	;; [unrolled: 1-line block ×18, first 2 shown]
	v_rcp_f64_e32 v[183:184], v[181:182]
	v_mov_b32_e32 v23, v27
	v_mov_b32_e32 v24, v28
	;; [unrolled: 1-line block ×23, first 2 shown]
	v_fma_f64 v[185:186], -v[181:182], v[183:184], 1.0
	v_mov_b32_e32 v138, v210
	v_mov_b32_e32 v139, v211
	;; [unrolled: 1-line block ×21, first 2 shown]
	v_fma_f64 v[183:184], v[183:184], v[185:186], v[183:184]
	v_mov_b32_e32 v151, v155
	v_mov_b32_e32 v152, v156
	;; [unrolled: 1-line block ×21, first 2 shown]
	v_fma_f64 v[185:186], -v[181:182], v[183:184], 1.0
	v_mov_b32_e32 v44, v172
	v_mov_b32_e32 v170, v168
	;; [unrolled: 1-line block ×13, first 2 shown]
	v_fma_f64 v[183:184], v[183:184], v[185:186], v[183:184]
	v_mul_f64 v[185:186], v[187:188], v[183:184]
	v_fma_f64 v[181:182], -v[181:182], v[185:186], v[187:188]
	v_div_fmas_f64 v[181:182], v[181:182], v[183:184], v[185:186]
	v_div_fixup_f64 v[181:182], v[181:182], v[3:4], v[1:2]
	v_fma_f64 v[183:184], v[1:2], v[181:182], v[3:4]
	v_div_scale_f64 v[185:186], null, v[183:184], v[183:184], 1.0
	v_rcp_f64_e32 v[187:188], v[185:186]
	v_fma_f64 v[253:254], -v[185:186], v[187:188], 1.0
	v_fma_f64 v[187:188], v[187:188], v[253:254], v[187:188]
	v_fma_f64 v[253:254], -v[185:186], v[187:188], 1.0
	v_fma_f64 v[187:188], v[187:188], v[253:254], v[187:188]
	v_div_scale_f64 v[253:254], vcc_lo, 1.0, v[183:184], 1.0
	v_mul_f64 v[189:190], v[253:254], v[187:188]
	v_fma_f64 v[185:186], -v[185:186], v[189:190], v[253:254]
	v_div_fmas_f64 v[185:186], v[185:186], v[187:188], v[189:190]
	v_mov_b32_e32 v192, v164
	v_mov_b32_e32 v191, v163
	;; [unrolled: 1-line block ×21, first 2 shown]
	v_div_fixup_f64 v[183:184], v[185:186], v[183:184], 1.0
	v_mov_b32_e32 v150, v194
	v_mov_b32_e32 v151, v195
	;; [unrolled: 1-line block ×21, first 2 shown]
	v_mul_f64 v[181:182], v[181:182], v[183:184]
	v_mov_b32_e32 v139, v143
	v_mov_b32_e32 v140, v144
	;; [unrolled: 1-line block ×38, first 2 shown]
	v_xor_b32_e32 v184, 0x80000000, v184
.LBB85_383:
	s_andn2_saveexec_b32 s1, s1
	s_cbranch_execz .LBB85_385
; %bb.384:
	v_div_scale_f64 v[181:182], null, v[1:2], v[1:2], v[3:4]
	v_div_scale_f64 v[187:188], vcc_lo, v[3:4], v[1:2], v[3:4]
	v_mov_b32_e32 v40, v12
	v_mov_b32_e32 v39, v11
	;; [unrolled: 1-line block ×18, first 2 shown]
	v_rcp_f64_e32 v[183:184], v[181:182]
	v_mov_b32_e32 v23, v27
	v_mov_b32_e32 v24, v28
	;; [unrolled: 1-line block ×23, first 2 shown]
	v_fma_f64 v[185:186], -v[181:182], v[183:184], 1.0
	v_mov_b32_e32 v138, v210
	v_mov_b32_e32 v139, v211
	;; [unrolled: 1-line block ×21, first 2 shown]
	v_fma_f64 v[183:184], v[183:184], v[185:186], v[183:184]
	v_mov_b32_e32 v151, v155
	v_mov_b32_e32 v152, v156
	;; [unrolled: 1-line block ×21, first 2 shown]
	v_fma_f64 v[185:186], -v[181:182], v[183:184], 1.0
	v_mov_b32_e32 v44, v172
	v_mov_b32_e32 v170, v168
	;; [unrolled: 1-line block ×13, first 2 shown]
	v_fma_f64 v[183:184], v[183:184], v[185:186], v[183:184]
	v_mul_f64 v[185:186], v[187:188], v[183:184]
	v_fma_f64 v[181:182], -v[181:182], v[185:186], v[187:188]
	v_div_fmas_f64 v[181:182], v[181:182], v[183:184], v[185:186]
	v_div_fixup_f64 v[183:184], v[181:182], v[1:2], v[3:4]
	v_fma_f64 v[181:182], v[3:4], v[183:184], v[1:2]
	v_div_scale_f64 v[185:186], null, v[181:182], v[181:182], 1.0
	v_rcp_f64_e32 v[187:188], v[185:186]
	v_fma_f64 v[189:190], -v[185:186], v[187:188], 1.0
	v_fma_f64 v[187:188], v[187:188], v[189:190], v[187:188]
	v_fma_f64 v[189:190], -v[185:186], v[187:188], 1.0
	v_fma_f64 v[187:188], v[187:188], v[189:190], v[187:188]
	v_div_scale_f64 v[189:190], vcc_lo, 1.0, v[181:182], 1.0
	v_mul_f64 v[191:192], v[189:190], v[187:188]
	v_fma_f64 v[185:186], -v[185:186], v[191:192], v[189:190]
	v_div_fmas_f64 v[185:186], v[185:186], v[187:188], v[191:192]
	v_mov_b32_e32 v192, v164
	v_mov_b32_e32 v191, v163
	;; [unrolled: 1-line block ×21, first 2 shown]
	v_div_fixup_f64 v[181:182], v[185:186], v[181:182], 1.0
	v_mov_b32_e32 v150, v194
	v_mov_b32_e32 v151, v195
	;; [unrolled: 1-line block ×21, first 2 shown]
	v_mul_f64 v[183:184], v[183:184], -v[181:182]
	v_mov_b32_e32 v139, v143
	v_mov_b32_e32 v140, v144
	;; [unrolled: 1-line block ×38, first 2 shown]
.LBB85_385:
	s_or_b32 exec_lo, exec_lo, s1
	ds_write2_b64 v255, v[181:182], v[183:184] offset1:1
.LBB85_386:
	s_or_b32 exec_lo, exec_lo, s2
	s_waitcnt lgkmcnt(0)
	s_barrier
	buffer_gl0_inv
	ds_read2_b64 v[181:184], v255 offset1:1
	s_mov_b32 s1, exec_lo
	v_cmpx_lt_u32_e32 42, v0
	s_cbranch_execz .LBB85_388
; %bb.387:
	s_waitcnt lgkmcnt(0)
	v_mul_f64 v[185:186], v[183:184], v[3:4]
	v_mul_f64 v[3:4], v[181:182], v[3:4]
	v_fma_f64 v[185:186], v[181:182], v[1:2], -v[185:186]
	v_fma_f64 v[3:4], v[183:184], v[1:2], v[3:4]
	v_mov_b32_e32 v1, v185
	v_mov_b32_e32 v2, v186
.LBB85_388:
	s_or_b32 exec_lo, exec_lo, s1
	s_waitcnt lgkmcnt(0)
	s_barrier
	buffer_gl0_inv
	s_and_saveexec_b32 s7, s0
	s_cbranch_execz .LBB85_391
; %bb.389:
	v_mov_b32_e32 v188, v168
	v_mov_b32_e32 v187, v167
	;; [unrolled: 1-line block ×21, first 2 shown]
	s_clause 0x3
	buffer_load_dword v217, off, s[16:19], 0 offset:600
	buffer_load_dword v218, off, s[16:19], 0 offset:604
	;; [unrolled: 1-line block ×4, first 2 shown]
	v_mov_b32_e32 v247, v215
	v_mov_b32_e32 v246, v214
	;; [unrolled: 1-line block ×3, first 2 shown]
	s_clause 0x3
	buffer_load_dword v213, off, s[16:19], 0 offset:584
	buffer_load_dword v214, off, s[16:19], 0 offset:588
	;; [unrolled: 1-line block ×4, first 2 shown]
	buffer_store_dword v233, off, s[16:19], 0 offset:784 ; 4-byte Folded Spill
	buffer_store_dword v234, off, s[16:19], 0 offset:788 ; 4-byte Folded Spill
	;; [unrolled: 1-line block ×8, first 2 shown]
	v_mov_b32_e32 v77, v81
	v_mov_b32_e32 v78, v82
	;; [unrolled: 1-line block ×86, first 2 shown]
	s_clause 0x3
	buffer_load_dword v133, off, s[16:19], 0 offset:616
	buffer_load_dword v134, off, s[16:19], 0 offset:620
	buffer_load_dword v135, off, s[16:19], 0 offset:624
	buffer_load_dword v136, off, s[16:19], 0 offset:628
	v_mov_b32_e32 v138, v210
	v_mov_b32_e32 v139, v211
	v_mov_b32_e32 v140, v212
	s_clause 0x3
	buffer_load_dword v209, off, s[16:19], 0 offset:560
	buffer_load_dword v210, off, s[16:19], 0 offset:564
	buffer_load_dword v211, off, s[16:19], 0 offset:568
	buffer_load_dword v212, off, s[16:19], 0 offset:572
	v_mov_b32_e32 v162, v190
	v_mov_b32_e32 v163, v191
	v_mov_b32_e32 v164, v192
	s_clause 0x3
	buffer_load_dword v189, off, s[16:19], 0 offset:336
	buffer_load_dword v190, off, s[16:19], 0 offset:340
	buffer_load_dword v191, off, s[16:19], 0 offset:344
	buffer_load_dword v192, off, s[16:19], 0 offset:348
	v_mov_b32_e32 v68, v64
	v_mov_b32_e32 v67, v63
	v_mov_b32_e32 v66, v62
	v_mov_b32_e32 v65, v61
	v_mov_b32_e32 v64, v60
	;; [unrolled: 1-line block ×29, first 2 shown]
	s_clause 0x3
	buffer_load_dword v153, off, s[16:19], 0 offset:384
	buffer_load_dword v154, off, s[16:19], 0 offset:388
	;; [unrolled: 1-line block ×4, first 2 shown]
	v_cmp_neq_f64_e64 s1, 0, v[161:162]
	v_cmp_neq_f64_e64 s2, 0, v[163:164]
	v_cmp_eq_f64_e64 s3, 0, v[157:158]
	v_cmp_eq_f64_e64 s4, 0, v[159:160]
	;; [unrolled: 1-line block ×3, first 2 shown]
	v_mov_b32_e32 v161, v229
	v_mov_b32_e32 v157, v193
	;; [unrolled: 1-line block ×8, first 2 shown]
	s_or_b32 s1, s1, s2
	s_and_b32 s3, s3, s4
	v_cmp_eq_f64_e64 s4, 0, v[151:152]
	s_waitcnt vmcnt(6)
	v_cmp_eq_f64_e32 vcc_lo, 0, v[189:190]
	s_waitcnt vmcnt(4)
	v_cmp_eq_f64_e64 s0, 0, v[191:192]
	s_and_b32 s0, vcc_lo, s0
	v_cndmask_b32_e64 v0, 0, 1, s0
	s_or_b32 s0, s1, s0
	v_cndmask_b32_e64 v0, 2, v0, s0
	s_waitcnt vmcnt(2)
	v_cmp_eq_f64_e64 s5, 0, v[153:154]
	s_waitcnt vmcnt(0)
	v_cmp_eq_f64_e32 vcc_lo, 0, v[155:156]
	s_clause 0x3
	buffer_load_dword v153, off, s[16:19], 0 offset:400
	buffer_load_dword v154, off, s[16:19], 0 offset:404
	;; [unrolled: 1-line block ×4, first 2 shown]
	v_cmp_eq_u32_e64 s0, 0, v0
	s_and_b32 s0, s3, s0
	v_cmp_eq_f64_e64 s3, 0, v[149:150]
	v_mov_b32_e32 v149, v169
	v_mov_b32_e32 v150, v170
	;; [unrolled: 1-line block ×4, first 2 shown]
	s_clause 0x1
	buffer_load_dword v169, off, s[16:19], 0 offset:776
	buffer_load_dword v170, off, s[16:19], 0 offset:780
	v_cndmask_b32_e64 v0, v0, 3, s0
	v_cmp_eq_u32_e64 s0, 0, v0
	s_and_b32 s5, s5, vcc_lo
	s_and_b32 s0, s5, s0
	v_cmp_eq_f64_e64 s5, 0, v[199:200]
	v_cndmask_b32_e64 v0, v0, 4, s0
	v_cmp_eq_f64_e64 s0, 0, v[197:198]
	s_and_b32 s3, s3, s4
	v_cmp_eq_u32_e32 vcc_lo, 0, v0
	v_cmp_eq_f64_e64 s4, 0, v[211:212]
	s_and_b32 s0, s0, s5
	v_cmp_eq_f64_e64 s5, 0, v[215:216]
	s_waitcnt vmcnt(4)
	v_cmp_eq_f64_e64 s1, 0, v[153:154]
	s_waitcnt vmcnt(2)
	v_cmp_eq_f64_e64 s2, 0, v[155:156]
	s_and_b32 s1, s1, s2
	v_cmp_eq_f64_e64 s2, 0, v[203:204]
	s_and_b32 s1, s1, vcc_lo
	v_cndmask_b32_e64 v0, v0, 5, s1
	v_cmp_eq_f64_e64 s1, 0, v[201:202]
	v_cmp_eq_u32_e32 vcc_lo, 0, v0
	s_and_b32 s3, s3, vcc_lo
	v_cndmask_b32_e64 v0, v0, 6, s3
	v_cmp_eq_f64_e64 s3, 0, v[209:210]
	v_mov_b32_e32 v212, v140
	v_mov_b32_e32 v211, v139
	;; [unrolled: 1-line block ×3, first 2 shown]
	v_cmp_eq_u32_e32 vcc_lo, 0, v0
	v_mov_b32_e32 v209, v137
	v_mov_b32_e32 v137, v233
	;; [unrolled: 1-line block ×4, first 2 shown]
	s_and_b32 s0, s0, vcc_lo
	s_and_b32 s1, s1, s2
	v_cndmask_b32_e64 v0, v0, 7, s0
	v_cmp_eq_f64_e64 s0, 0, v[213:214]
	v_cmp_eq_f64_e64 s2, 0, v[219:220]
	v_mov_b32_e32 v140, v236
	v_mov_b32_e32 v213, v245
	v_cmp_eq_u32_e32 vcc_lo, 0, v0
	v_mov_b32_e32 v214, v246
	v_mov_b32_e32 v215, v247
	;; [unrolled: 1-line block ×3, first 2 shown]
	s_and_b32 s1, s1, vcc_lo
	s_and_b32 s3, s3, s4
	v_cndmask_b32_e64 v0, v0, 8, s1
	v_cmp_eq_f64_e64 s1, 0, v[217:218]
	v_cmp_eq_f64_e64 s4, 0, v[223:224]
	v_cmp_eq_u32_e32 vcc_lo, 0, v0
	s_and_b32 s3, s3, vcc_lo
	s_and_b32 s0, s0, s5
	v_cndmask_b32_e64 v0, v0, 9, s3
	v_cmp_eq_f64_e64 s3, 0, v[221:222]
	v_cmp_eq_f64_e64 s5, 0, v[225:226]
	v_cmp_eq_u32_e32 vcc_lo, 0, v0
	s_and_b32 s0, s0, vcc_lo
	v_cndmask_b32_e64 v0, v0, 10, s0
	s_and_b32 s0, s1, s2
	v_cmp_eq_f64_e64 s1, 0, v[165:166]
	v_cmp_eq_f64_e64 s2, 0, v[167:168]
	v_cmp_eq_u32_e32 vcc_lo, 0, v0
	s_and_b32 s0, s0, vcc_lo
	v_cndmask_b32_e64 v0, v0, 11, s0
	s_and_b32 s0, s3, s4
	s_and_b32 s4, s5, s6
	v_cmp_eq_u32_e32 vcc_lo, 0, v0
	s_and_b32 s0, s0, vcc_lo
	v_cmp_eq_f64_e32 vcc_lo, 0, v[185:186]
	v_cndmask_b32_e64 v0, v0, 12, s0
	v_cmp_eq_f64_e64 s0, 0, v[187:188]
	s_and_b32 s5, s1, s2
	s_waitcnt vmcnt(0)
	v_lshlrev_b64 v[185:186], 2, v[169:170]
	v_cmp_eq_u32_e64 s3, 0, v0
	v_add_co_u32 v253, s2, s10, v185
	s_and_b32 s3, s4, s3
	v_cmp_eq_f64_e64 s4, 0, v[147:148]
	v_cndmask_b32_e64 v0, v0, 13, s3
	v_cmp_eq_f64_e64 s3, 0, v[145:146]
	v_add_co_ci_u32_e64 v254, null, s11, v186, s2
	v_cmp_eq_f64_e64 s2, 0, v[141:142]
	v_cmp_eq_u32_e64 s1, 0, v0
	global_load_dword v185, v[253:254], off
	s_and_b32 s1, s5, s1
	s_and_b32 s0, vcc_lo, s0
	v_cndmask_b32_e64 v0, v0, 14, s1
	v_cmp_eq_f64_e64 s5, 0, v[143:144]
	v_cmp_eq_u32_e64 s1, 0, v0
	s_and_b32 s0, s0, s1
	s_and_b32 s3, s3, s4
	v_cndmask_b32_e64 v0, v0, 15, s0
	v_cmp_eq_f64_e64 s0, 0, v[133:134]
	v_cmp_eq_f64_e64 s1, 0, v[135:136]
	v_mov_b32_e32 v136, v132
	v_mov_b32_e32 v135, v131
	v_cmp_eq_u32_e32 vcc_lo, 0, v0
	v_mov_b32_e32 v134, v130
	v_mov_b32_e32 v133, v129
	;; [unrolled: 1-line block ×4, first 2 shown]
	s_and_b32 s3, s3, vcc_lo
	s_and_b32 s2, s2, s5
	v_cndmask_b32_e64 v0, v0, 16, s3
	v_mov_b32_e32 v130, v126
	v_mov_b32_e32 v129, v125
	;; [unrolled: 1-line block ×4, first 2 shown]
	v_cmp_eq_u32_e32 vcc_lo, 0, v0
	v_mov_b32_e32 v126, v122
	v_mov_b32_e32 v125, v121
	;; [unrolled: 1-line block ×4, first 2 shown]
	s_and_b32 s2, s2, vcc_lo
	v_mov_b32_e32 v122, v118
	v_cndmask_b32_e64 v0, v0, 17, s2
	v_mov_b32_e32 v121, v117
	v_mov_b32_e32 v120, v116
	;; [unrolled: 1-line block ×14, first 2 shown]
	v_cmp_eq_u32_e32 vcc_lo, 0, v0
	v_mov_b32_e32 v107, v103
	v_mov_b32_e32 v106, v102
	;; [unrolled: 1-line block ×12, first 2 shown]
	s_and_b32 s0, s0, s1
	v_mov_b32_e32 v95, v91
	v_mov_b32_e32 v94, v90
	;; [unrolled: 1-line block ×8, first 2 shown]
	s_and_b32 s0, s0, vcc_lo
	v_mov_b32_e32 v87, v83
	v_mov_b32_e32 v86, v82
	;; [unrolled: 1-line block ×7, first 2 shown]
	s_clause 0x7
	buffer_load_dword v77, off, s[16:19], 0 offset:800
	buffer_load_dword v78, off, s[16:19], 0 offset:804
	;; [unrolled: 1-line block ×8, first 2 shown]
	v_cndmask_b32_e64 v0, v0, 18, s0
	v_cmp_eq_f64_e64 s0, 0, v[37:38]
	v_cmp_eq_f64_e64 s1, 0, v[39:40]
	s_clause 0x3
	buffer_load_dword v37, off, s[16:19], 0 offset:632
	buffer_load_dword v38, off, s[16:19], 0 offset:636
	;; [unrolled: 1-line block ×4, first 2 shown]
	v_cmp_eq_f64_e64 s3, 0, v[237:238]
	v_cmp_eq_f64_e64 s4, 0, v[239:240]
	;; [unrolled: 1-line block ×4, first 2 shown]
	v_cmp_eq_u32_e32 vcc_lo, 0, v0
	s_and_b32 s0, s0, s1
	s_and_b32 s3, s3, s4
	v_cmp_eq_f64_e64 s4, 0, v[43:44]
	s_and_b32 s3, s3, vcc_lo
	s_and_b32 s2, s2, s5
	v_cndmask_b32_e64 v0, v0, 19, s3
	v_cmp_eq_f64_e64 s3, 0, v[41:42]
	v_cmp_eq_f64_e64 s5, 0, v[47:48]
	v_cmp_eq_u32_e32 vcc_lo, 0, v0
	s_and_b32 s2, s2, vcc_lo
	v_cndmask_b32_e64 v0, v0, 20, s2
	v_cmp_eq_f64_e64 s2, 0, v[45:46]
	v_cmp_eq_u32_e32 vcc_lo, 0, v0
	s_and_b32 s0, s0, vcc_lo
	s_and_b32 s3, s3, s4
	v_cndmask_b32_e64 v0, v0, 21, s0
	v_cmp_eq_u32_e32 vcc_lo, 0, v0
	s_and_b32 s3, s3, vcc_lo
	s_and_b32 s2, s2, s5
	v_cndmask_b32_e64 v0, v0, 22, s3
	v_cmp_eq_u32_e32 vcc_lo, 0, v0
	s_and_b32 s2, s2, vcc_lo
	v_cndmask_b32_e64 v0, v0, 23, s2
	v_cmp_eq_u32_e32 vcc_lo, 0, v0
	s_waitcnt vmcnt(2)
	v_cmp_eq_f64_e64 s0, 0, v[37:38]
	s_waitcnt vmcnt(0)
	v_cmp_eq_f64_e64 s1, 0, v[39:40]
	s_clause 0x3
	buffer_load_dword v37, off, s[16:19], 0 offset:648
	buffer_load_dword v38, off, s[16:19], 0 offset:652
	buffer_load_dword v39, off, s[16:19], 0 offset:656
	buffer_load_dword v40, off, s[16:19], 0 offset:660
	s_and_b32 s0, s0, s1
	s_and_b32 s0, s0, vcc_lo
	v_cndmask_b32_e64 v0, v0, 24, s0
	v_cmp_eq_u32_e32 vcc_lo, 0, v0
	s_waitcnt vmcnt(2)
	v_cmp_eq_f64_e64 s3, 0, v[37:38]
	s_waitcnt vmcnt(0)
	v_cmp_eq_f64_e64 s4, 0, v[39:40]
	s_clause 0x3
	buffer_load_dword v37, off, s[16:19], 0 offset:664
	buffer_load_dword v38, off, s[16:19], 0 offset:668
	buffer_load_dword v39, off, s[16:19], 0 offset:672
	buffer_load_dword v40, off, s[16:19], 0 offset:676
	s_and_b32 s3, s3, s4
	;; [unrolled: 13-line block ×7, first 2 shown]
	v_cmp_eq_f64_e64 s1, 0, v[51:52]
	s_and_b32 s0, s0, vcc_lo
	v_cndmask_b32_e64 v0, v0, 30, s0
	v_cmp_eq_f64_e64 s0, 0, v[49:50]
	v_cmp_eq_u32_e32 vcc_lo, 0, v0
	s_and_b32 s0, s0, s1
	v_cmp_eq_f64_e64 s1, 0, v[63:64]
	s_waitcnt vmcnt(2)
	v_cmp_eq_f64_e64 s3, 0, v[37:38]
	s_waitcnt vmcnt(0)
	v_cmp_eq_f64_e64 s4, 0, v[39:40]
	s_clause 0x3
	buffer_load_dword v37, off, s[16:19], 0 offset:760
	buffer_load_dword v38, off, s[16:19], 0 offset:764
	;; [unrolled: 1-line block ×4, first 2 shown]
	s_and_b32 s3, s3, s4
	v_cmp_eq_f64_e64 s4, 0, v[55:56]
	s_and_b32 s3, s3, vcc_lo
	v_cndmask_b32_e64 v0, v0, 31, s3
	v_cmp_eq_f64_e64 s3, 0, v[53:54]
	v_cmp_eq_u32_e32 vcc_lo, 0, v0
	s_and_b32 s3, s3, s4
	v_cmp_eq_f64_e64 s4, 0, v[67:68]
	s_waitcnt vmcnt(2)
	v_cmp_eq_f64_e64 s2, 0, v[37:38]
	s_waitcnt vmcnt(0)
	v_cmp_eq_f64_e64 s5, 0, v[39:40]
	s_and_b32 s2, s2, s5
	v_cmp_eq_f64_e64 s5, 0, v[59:60]
	s_and_b32 s2, s2, vcc_lo
	v_cndmask_b32_e64 v0, v0, 32, s2
	v_cmp_eq_f64_e64 s2, 0, v[57:58]
	v_cmp_eq_u32_e32 vcc_lo, 0, v0
	s_and_b32 s0, s0, vcc_lo
	v_cndmask_b32_e64 v0, v0, 33, s0
	v_cmp_eq_f64_e64 s0, 0, v[61:62]
	v_cmp_eq_u32_e32 vcc_lo, 0, v0
	s_and_b32 s3, s3, vcc_lo
	s_and_b32 s2, s2, s5
	v_cndmask_b32_e64 v0, v0, 34, s3
	v_cmp_eq_f64_e64 s3, 0, v[65:66]
	v_cmp_eq_f64_e64 s5, 0, v[71:72]
	v_cmp_eq_u32_e32 vcc_lo, 0, v0
	s_and_b32 s2, s2, vcc_lo
	s_and_b32 s0, s0, s1
	v_cndmask_b32_e64 v0, v0, 35, s2
	v_cmp_eq_f64_e64 s2, 0, v[69:70]
	;; [unrolled: 6-line block ×7, first 2 shown]
	v_cmp_eq_u32_e32 vcc_lo, 0, v0
	s_and_b32 s2, s2, vcc_lo
	s_and_b32 s0, s0, s1
	v_cndmask_b32_e64 v0, v0, 41, s2
	v_cmp_eq_u32_e32 vcc_lo, 0, v0
	s_and_b32 s0, s0, vcc_lo
	v_cndmask_b32_e64 v0, v0, 42, s0
	s_and_b32 s0, s3, s4
	v_cmp_eq_u32_e32 vcc_lo, 0, v0
	s_and_b32 s0, s0, vcc_lo
	v_cmp_eq_u32_e32 vcc_lo, 0, v185
	v_cndmask_b32_e64 v0, v0, 43, s0
	v_cmp_ne_u32_e64 s0, 0, v0
	s_and_b32 s0, vcc_lo, s0
	s_and_b32 exec_lo, exec_lo, s0
	s_cbranch_execz .LBB85_391
; %bb.390:
	v_add_nc_u32_e32 v0, s13, v0
	global_store_dword v[253:254], v0, off
.LBB85_391:
	s_or_b32 exec_lo, exec_lo, s7
	s_clause 0x5
	buffer_load_dword v165, off, s[16:19], 0 offset:320
	buffer_load_dword v166, off, s[16:19], 0 offset:324
	;; [unrolled: 1-line block ×6, first 2 shown]
	s_waitcnt vmcnt(0)
	global_store_dwordx4 v[165:166], v[173:176], off
	s_clause 0x5
	buffer_load_dword v165, off, s[16:19], 0 offset:328
	buffer_load_dword v166, off, s[16:19], 0 offset:332
	;; [unrolled: 1-line block ×6, first 2 shown]
	s_waitcnt vmcnt(0)
	global_store_dwordx4 v[165:166], v[173:176], off
	s_clause 0x1
	buffer_load_dword v153, off, s[16:19], 0 offset:376
	buffer_load_dword v154, off, s[16:19], 0 offset:380
	s_waitcnt vmcnt(0)
	global_store_dwordx4 v[153:154], v[161:164], off
	s_clause 0x1
	buffer_load_dword v161, off, s[16:19], 0 offset:352
	buffer_load_dword v162, off, s[16:19], 0 offset:356
	;; [unrolled: 5-line block ×3, first 2 shown]
	buffer_load_dword v153, off, s[16:19], 0 offset:128
	buffer_load_dword v154, off, s[16:19], 0 offset:132
	;; [unrolled: 1-line block ×4, first 2 shown]
	s_waitcnt vmcnt(0)
	global_store_dwordx4 v[157:158], v[153:156], off
	s_clause 0x1
	buffer_load_dword v153, off, s[16:19], 0 offset:368
	buffer_load_dword v154, off, s[16:19], 0 offset:372
	s_waitcnt vmcnt(0)
	global_store_dwordx4 v[153:154], v[149:152], off
	s_clause 0x1
	buffer_load_dword v149, off, s[16:19], 0 offset:424
	buffer_load_dword v150, off, s[16:19], 0 offset:428
	;; [unrolled: 5-line block ×20, first 2 shown]
	buffer_load_dword v37, off, s[16:19], 0 offset:112
	buffer_load_dword v38, off, s[16:19], 0 offset:116
	buffer_load_dword v39, off, s[16:19], 0 offset:120
	buffer_load_dword v40, off, s[16:19], 0 offset:124
	s_waitcnt vmcnt(0)
	global_store_dwordx4 v[77:78], v[37:40], off
	s_clause 0x5
	buffer_load_dword v73, off, s[16:19], 0 offset:544
	buffer_load_dword v74, off, s[16:19], 0 offset:548
	buffer_load_dword v37, off, s[16:19], 0 offset:96
	buffer_load_dword v38, off, s[16:19], 0 offset:100
	buffer_load_dword v39, off, s[16:19], 0 offset:104
	buffer_load_dword v40, off, s[16:19], 0 offset:108
	s_waitcnt vmcnt(0)
	global_store_dwordx4 v[73:74], v[37:40], off
	s_clause 0x5
	buffer_load_dword v69, off, s[16:19], 0 offset:184
	buffer_load_dword v70, off, s[16:19], 0 offset:188
	;; [unrolled: 9-line block ×7, first 2 shown]
	buffer_load_dword v37, off, s[16:19], 0
	buffer_load_dword v38, off, s[16:19], 0 offset:4
	buffer_load_dword v39, off, s[16:19], 0 offset:8
	;; [unrolled: 1-line block ×3, first 2 shown]
	s_waitcnt vmcnt(0)
	global_store_dwordx4 v[49:50], v[37:40], off
	s_clause 0x1
	buffer_load_dword v45, off, s[16:19], 0 offset:232
	buffer_load_dword v46, off, s[16:19], 0 offset:236
	s_waitcnt vmcnt(0)
	global_store_dwordx4 v[45:46], v[233:236], off
	s_clause 0x1
	buffer_load_dword v41, off, s[16:19], 0 offset:240
	buffer_load_dword v42, off, s[16:19], 0 offset:244
	;; [unrolled: 5-line block ×11, first 2 shown]
	s_waitcnt vmcnt(0)
	global_store_dwordx4 v[5:6], v[1:4], off
.LBB85_392:
	s_endpgm
	.section	.rodata,"a",@progbits
	.p2align	6, 0x0
	.amdhsa_kernel _ZN9rocsolver6v33100L23getf2_npvt_small_kernelILi43E19rocblas_complex_numIdEiiPS3_EEvT1_T3_lS5_lPT2_S5_S5_
		.amdhsa_group_segment_fixed_size 0
		.amdhsa_private_segment_fixed_size 820
		.amdhsa_kernarg_size 312
		.amdhsa_user_sgpr_count 6
		.amdhsa_user_sgpr_private_segment_buffer 1
		.amdhsa_user_sgpr_dispatch_ptr 0
		.amdhsa_user_sgpr_queue_ptr 0
		.amdhsa_user_sgpr_kernarg_segment_ptr 1
		.amdhsa_user_sgpr_dispatch_id 0
		.amdhsa_user_sgpr_flat_scratch_init 0
		.amdhsa_user_sgpr_private_segment_size 0
		.amdhsa_wavefront_size32 1
		.amdhsa_uses_dynamic_stack 0
		.amdhsa_system_sgpr_private_segment_wavefront_offset 1
		.amdhsa_system_sgpr_workgroup_id_x 1
		.amdhsa_system_sgpr_workgroup_id_y 1
		.amdhsa_system_sgpr_workgroup_id_z 0
		.amdhsa_system_sgpr_workgroup_info 0
		.amdhsa_system_vgpr_workitem_id 1
		.amdhsa_next_free_vgpr 256
		.amdhsa_next_free_sgpr 20
		.amdhsa_reserve_vcc 1
		.amdhsa_reserve_flat_scratch 0
		.amdhsa_float_round_mode_32 0
		.amdhsa_float_round_mode_16_64 0
		.amdhsa_float_denorm_mode_32 3
		.amdhsa_float_denorm_mode_16_64 3
		.amdhsa_dx10_clamp 1
		.amdhsa_ieee_mode 1
		.amdhsa_fp16_overflow 0
		.amdhsa_workgroup_processor_mode 1
		.amdhsa_memory_ordered 1
		.amdhsa_forward_progress 1
		.amdhsa_shared_vgpr_count 0
		.amdhsa_exception_fp_ieee_invalid_op 0
		.amdhsa_exception_fp_denorm_src 0
		.amdhsa_exception_fp_ieee_div_zero 0
		.amdhsa_exception_fp_ieee_overflow 0
		.amdhsa_exception_fp_ieee_underflow 0
		.amdhsa_exception_fp_ieee_inexact 0
		.amdhsa_exception_int_div_zero 0
	.end_amdhsa_kernel
	.section	.text._ZN9rocsolver6v33100L23getf2_npvt_small_kernelILi43E19rocblas_complex_numIdEiiPS3_EEvT1_T3_lS5_lPT2_S5_S5_,"axG",@progbits,_ZN9rocsolver6v33100L23getf2_npvt_small_kernelILi43E19rocblas_complex_numIdEiiPS3_EEvT1_T3_lS5_lPT2_S5_S5_,comdat
.Lfunc_end85:
	.size	_ZN9rocsolver6v33100L23getf2_npvt_small_kernelILi43E19rocblas_complex_numIdEiiPS3_EEvT1_T3_lS5_lPT2_S5_S5_, .Lfunc_end85-_ZN9rocsolver6v33100L23getf2_npvt_small_kernelILi43E19rocblas_complex_numIdEiiPS3_EEvT1_T3_lS5_lPT2_S5_S5_
                                        ; -- End function
	.set _ZN9rocsolver6v33100L23getf2_npvt_small_kernelILi43E19rocblas_complex_numIdEiiPS3_EEvT1_T3_lS5_lPT2_S5_S5_.num_vgpr, 256
	.set _ZN9rocsolver6v33100L23getf2_npvt_small_kernelILi43E19rocblas_complex_numIdEiiPS3_EEvT1_T3_lS5_lPT2_S5_S5_.num_agpr, 0
	.set _ZN9rocsolver6v33100L23getf2_npvt_small_kernelILi43E19rocblas_complex_numIdEiiPS3_EEvT1_T3_lS5_lPT2_S5_S5_.numbered_sgpr, 20
	.set _ZN9rocsolver6v33100L23getf2_npvt_small_kernelILi43E19rocblas_complex_numIdEiiPS3_EEvT1_T3_lS5_lPT2_S5_S5_.num_named_barrier, 0
	.set _ZN9rocsolver6v33100L23getf2_npvt_small_kernelILi43E19rocblas_complex_numIdEiiPS3_EEvT1_T3_lS5_lPT2_S5_S5_.private_seg_size, 820
	.set _ZN9rocsolver6v33100L23getf2_npvt_small_kernelILi43E19rocblas_complex_numIdEiiPS3_EEvT1_T3_lS5_lPT2_S5_S5_.uses_vcc, 1
	.set _ZN9rocsolver6v33100L23getf2_npvt_small_kernelILi43E19rocblas_complex_numIdEiiPS3_EEvT1_T3_lS5_lPT2_S5_S5_.uses_flat_scratch, 0
	.set _ZN9rocsolver6v33100L23getf2_npvt_small_kernelILi43E19rocblas_complex_numIdEiiPS3_EEvT1_T3_lS5_lPT2_S5_S5_.has_dyn_sized_stack, 0
	.set _ZN9rocsolver6v33100L23getf2_npvt_small_kernelILi43E19rocblas_complex_numIdEiiPS3_EEvT1_T3_lS5_lPT2_S5_S5_.has_recursion, 0
	.set _ZN9rocsolver6v33100L23getf2_npvt_small_kernelILi43E19rocblas_complex_numIdEiiPS3_EEvT1_T3_lS5_lPT2_S5_S5_.has_indirect_call, 0
	.section	.AMDGPU.csdata,"",@progbits
; Kernel info:
; codeLenInByte = 124164
; TotalNumSgprs: 22
; NumVgprs: 256
; ScratchSize: 820
; MemoryBound: 1
; FloatMode: 240
; IeeeMode: 1
; LDSByteSize: 0 bytes/workgroup (compile time only)
; SGPRBlocks: 0
; VGPRBlocks: 31
; NumSGPRsForWavesPerEU: 22
; NumVGPRsForWavesPerEU: 256
; Occupancy: 4
; WaveLimiterHint : 0
; COMPUTE_PGM_RSRC2:SCRATCH_EN: 1
; COMPUTE_PGM_RSRC2:USER_SGPR: 6
; COMPUTE_PGM_RSRC2:TRAP_HANDLER: 0
; COMPUTE_PGM_RSRC2:TGID_X_EN: 1
; COMPUTE_PGM_RSRC2:TGID_Y_EN: 1
; COMPUTE_PGM_RSRC2:TGID_Z_EN: 0
; COMPUTE_PGM_RSRC2:TIDIG_COMP_CNT: 1
	.section	.text._ZN9rocsolver6v33100L18getf2_small_kernelILi44E19rocblas_complex_numIdEiiPS3_EEvT1_T3_lS5_lPS5_llPT2_S5_S5_S7_l,"axG",@progbits,_ZN9rocsolver6v33100L18getf2_small_kernelILi44E19rocblas_complex_numIdEiiPS3_EEvT1_T3_lS5_lPS5_llPT2_S5_S5_S7_l,comdat
	.globl	_ZN9rocsolver6v33100L18getf2_small_kernelILi44E19rocblas_complex_numIdEiiPS3_EEvT1_T3_lS5_lPS5_llPT2_S5_S5_S7_l ; -- Begin function _ZN9rocsolver6v33100L18getf2_small_kernelILi44E19rocblas_complex_numIdEiiPS3_EEvT1_T3_lS5_lPS5_llPT2_S5_S5_S7_l
	.p2align	8
	.type	_ZN9rocsolver6v33100L18getf2_small_kernelILi44E19rocblas_complex_numIdEiiPS3_EEvT1_T3_lS5_lPS5_llPT2_S5_S5_S7_l,@function
_ZN9rocsolver6v33100L18getf2_small_kernelILi44E19rocblas_complex_numIdEiiPS3_EEvT1_T3_lS5_lPS5_llPT2_S5_S5_S7_l: ; @_ZN9rocsolver6v33100L18getf2_small_kernelILi44E19rocblas_complex_numIdEiiPS3_EEvT1_T3_lS5_lPS5_llPT2_S5_S5_S7_l
; %bb.0:
	s_clause 0x1
	s_load_dword s0, s[4:5], 0x6c
	s_load_dwordx2 s[16:17], s[4:5], 0x48
	s_waitcnt lgkmcnt(0)
	s_lshr_b32 s0, s0, 16
	v_mad_u64_u32 v[182:183], null, s7, s0, v[1:2]
	s_mov_b32 s0, exec_lo
	v_cmpx_gt_i32_e64 s16, v182
	s_cbranch_execz .LBB86_927
; %bb.1:
	s_load_dwordx4 s[0:3], s[4:5], 0x50
	v_mov_b32_e32 v184, 0
	v_ashrrev_i32_e32 v183, 31, v182
	v_mov_b32_e32 v185, 0
	s_waitcnt lgkmcnt(0)
	s_cmp_eq_u64 s[0:1], 0
	s_cselect_b32 s16, -1, 0
	s_and_b32 vcc_lo, exec_lo, s16
	s_cbranch_vccnz .LBB86_3
; %bb.2:
	v_mul_lo_u32 v4, s3, v182
	v_mul_lo_u32 v5, s2, v183
	v_mad_u64_u32 v[2:3], null, s2, v182, 0
	v_add3_u32 v3, v3, v5, v4
	v_lshlrev_b64 v[2:3], 2, v[2:3]
	v_add_co_u32 v184, vcc_lo, s0, v2
	v_add_co_ci_u32_e64 v185, null, s1, v3, vcc_lo
.LBB86_3:
	s_clause 0x2
	s_load_dwordx8 s[8:15], s[4:5], 0x20
	s_load_dword s6, s[4:5], 0x18
	s_load_dwordx4 s[0:3], s[4:5], 0x8
	v_lshlrev_b32_e32 v188, 4, v0
	s_clause 0x1
	s_load_dword s18, s[4:5], 0x0
	s_load_dwordx2 s[4:5], s[4:5], 0x40
	s_waitcnt lgkmcnt(0)
	v_mul_lo_u32 v4, s9, v182
	v_mul_lo_u32 v5, s8, v183
	v_mad_u64_u32 v[2:3], null, s8, v182, 0
	v_add3_u32 v6, s6, s6, v0
	s_lshl_b64 s[2:3], s[2:3], 4
	s_ashr_i32 s7, s6, 31
	s_lshl_b64 s[8:9], s[6:7], 4
	v_add_nc_u32_e32 v8, s6, v6
	v_add3_u32 v3, v3, v5, v4
	v_ashrrev_i32_e32 v7, 31, v6
	v_add_nc_u32_e32 v4, s6, v8
	v_lshlrev_b64 v[2:3], 4, v[2:3]
	v_ashrrev_i32_e32 v9, 31, v8
	v_lshlrev_b64 v[6:7], 4, v[6:7]
	v_ashrrev_i32_e32 v5, 31, v4
	v_add_nc_u32_e32 v10, s6, v4
	v_add_co_u32 v12, vcc_lo, s0, v2
	v_add_co_ci_u32_e64 v13, null, s1, v3, vcc_lo
	v_lshlrev_b64 v[2:3], 4, v[4:5]
	v_add_nc_u32_e32 v4, s6, v10
	v_add_co_u32 v189, vcc_lo, v12, s2
	v_ashrrev_i32_e32 v11, 31, v10
	v_lshlrev_b64 v[8:9], 4, v[8:9]
	v_add_nc_u32_e32 v12, s6, v4
	v_add_co_ci_u32_e64 v190, null, s3, v13, vcc_lo
	v_ashrrev_i32_e32 v5, 31, v4
	v_lshlrev_b64 v[10:11], 4, v[10:11]
	v_add_nc_u32_e32 v14, s6, v12
	v_ashrrev_i32_e32 v13, 31, v12
	v_add_co_u32 v6, vcc_lo, v189, v6
	v_add_co_ci_u32_e64 v7, null, v190, v7, vcc_lo
	v_add_nc_u32_e32 v16, s6, v14
	v_ashrrev_i32_e32 v15, 31, v14
	v_add_co_u32 v8, vcc_lo, v189, v8
	v_lshlrev_b64 v[4:5], 4, v[4:5]
	v_add_nc_u32_e32 v18, s6, v16
	v_ashrrev_i32_e32 v17, 31, v16
	v_add_co_ci_u32_e64 v9, null, v190, v9, vcc_lo
	v_add_co_u32 v2, vcc_lo, v189, v2
	v_add_nc_u32_e32 v20, s6, v18
	v_lshlrev_b64 v[12:13], 4, v[12:13]
	v_ashrrev_i32_e32 v19, 31, v18
	v_add_co_ci_u32_e64 v3, null, v190, v3, vcc_lo
	v_add_nc_u32_e32 v22, s6, v20
	v_add_co_u32 v10, vcc_lo, v189, v10
	v_lshlrev_b64 v[14:15], 4, v[14:15]
	v_ashrrev_i32_e32 v21, 31, v20
	v_add_nc_u32_e32 v24, s6, v22
	v_add_co_ci_u32_e64 v11, null, v190, v11, vcc_lo
	v_add_co_u32 v4, vcc_lo, v189, v4
	v_add_nc_u32_e32 v26, s6, v24
	v_lshlrev_b64 v[16:17], 4, v[16:17]
	v_ashrrev_i32_e32 v23, 31, v22
	v_add_co_ci_u32_e64 v5, null, v190, v5, vcc_lo
	v_add_nc_u32_e32 v28, s6, v26
	v_add_co_u32 v12, vcc_lo, v189, v12
	v_lshlrev_b64 v[18:19], 4, v[18:19]
	v_ashrrev_i32_e32 v25, 31, v24
	v_add_nc_u32_e32 v30, s6, v28
	;; [unrolled: 11-line block ×5, first 2 shown]
	v_add_co_ci_u32_e64 v25, null, v190, v25, vcc_lo
	v_add_co_u32 v26, vcc_lo, v189, v26
	v_add_nc_u32_e32 v50, s6, v48
	v_lshlrev_b64 v[32:33], 4, v[32:33]
	v_ashrrev_i32_e32 v39, 31, v38
	v_add_co_ci_u32_e64 v27, null, v190, v27, vcc_lo
	v_add_nc_u32_e32 v52, s6, v50
	v_add_co_u32 v28, vcc_lo, v189, v28
	v_lshlrev_b64 v[34:35], 4, v[34:35]
	v_ashrrev_i32_e32 v41, 31, v40
	v_add_co_ci_u32_e64 v29, null, v190, v29, vcc_lo
	v_add_co_u32 v30, vcc_lo, v189, v30
	v_lshlrev_b64 v[36:37], 4, v[36:37]
	v_add_nc_u32_e32 v54, s6, v52
	v_ashrrev_i32_e32 v43, 31, v42
	v_add_co_ci_u32_e64 v31, null, v190, v31, vcc_lo
	v_add_co_u32 v32, vcc_lo, v189, v32
	v_lshlrev_b64 v[38:39], 4, v[38:39]
	v_ashrrev_i32_e32 v45, 31, v44
	v_add_co_ci_u32_e64 v33, null, v190, v33, vcc_lo
	v_add_co_u32 v34, vcc_lo, v189, v34
	v_lshlrev_b64 v[40:41], 4, v[40:41]
	v_ashrrev_i32_e32 v47, 31, v46
	v_add_nc_u32_e32 v56, s6, v54
	v_add_co_ci_u32_e64 v35, null, v190, v35, vcc_lo
	v_add_co_u32 v36, vcc_lo, v189, v36
	v_lshlrev_b64 v[42:43], 4, v[42:43]
	v_ashrrev_i32_e32 v49, 31, v48
	v_add_co_ci_u32_e64 v37, null, v190, v37, vcc_lo
	v_add_co_u32 v38, vcc_lo, v189, v38
	v_lshlrev_b64 v[44:45], 4, v[44:45]
	v_ashrrev_i32_e32 v51, 31, v50
	v_add_co_ci_u32_e64 v39, null, v190, v39, vcc_lo
	v_add_co_u32 v40, vcc_lo, v189, v40
	v_lshlrev_b64 v[46:47], 4, v[46:47]
	v_add_nc_u32_e32 v58, s6, v56
	v_ashrrev_i32_e32 v53, 31, v52
	v_add_co_ci_u32_e64 v41, null, v190, v41, vcc_lo
	v_add_co_u32 v42, vcc_lo, v189, v42
	v_lshlrev_b64 v[48:49], 4, v[48:49]
	v_ashrrev_i32_e32 v55, 31, v54
	v_add_co_ci_u32_e64 v43, null, v190, v43, vcc_lo
	v_add_co_u32 v44, vcc_lo, v189, v44
	v_lshlrev_b64 v[50:51], 4, v[50:51]
	v_ashrrev_i32_e32 v57, 31, v56
	v_add_nc_u32_e32 v60, s6, v58
	v_add_co_ci_u32_e64 v45, null, v190, v45, vcc_lo
	v_add_co_u32 v46, vcc_lo, v189, v46
	v_lshlrev_b64 v[52:53], 4, v[52:53]
	v_ashrrev_i32_e32 v59, 31, v58
	v_add_co_ci_u32_e64 v47, null, v190, v47, vcc_lo
	v_add_co_u32 v48, vcc_lo, v189, v48
	v_lshlrev_b64 v[54:55], 4, v[54:55]
	v_add_co_ci_u32_e64 v49, null, v190, v49, vcc_lo
	v_add_co_u32 v50, vcc_lo, v189, v50
	v_lshlrev_b64 v[56:57], 4, v[56:57]
	v_add_nc_u32_e32 v62, s6, v60
	v_add_co_ci_u32_e64 v51, null, v190, v51, vcc_lo
	v_add_co_u32 v52, vcc_lo, v189, v52
	v_lshlrev_b64 v[58:59], 4, v[58:59]
	v_ashrrev_i32_e32 v61, 31, v60
	v_add_co_ci_u32_e64 v53, null, v190, v53, vcc_lo
	v_add_co_u32 v54, vcc_lo, v189, v54
	v_ashrrev_i32_e32 v63, 31, v62
	v_add_nc_u32_e32 v64, s6, v62
	v_add_co_ci_u32_e64 v55, null, v190, v55, vcc_lo
	v_add_co_u32 v56, vcc_lo, v189, v56
	v_lshlrev_b64 v[60:61], 4, v[60:61]
	v_add_co_ci_u32_e64 v57, null, v190, v57, vcc_lo
	v_add_co_u32 v178, vcc_lo, v189, v58
	v_add_co_ci_u32_e64 v179, null, v190, v59, vcc_lo
	v_lshlrev_b64 v[58:59], 4, v[62:63]
	v_ashrrev_i32_e32 v65, 31, v64
	v_add_nc_u32_e32 v62, s6, v64
	v_add_co_u32 v180, vcc_lo, v189, v60
	v_add_co_ci_u32_e64 v181, null, v190, v61, vcc_lo
	v_lshlrev_b64 v[60:61], 4, v[64:65]
	v_ashrrev_i32_e32 v63, 31, v62
	v_add_nc_u32_e32 v64, s6, v62
	;; [unrolled: 5-line block ×8, first 2 shown]
	v_add_co_u32 v201, vcc_lo, v189, v58
	v_add_co_ci_u32_e64 v202, null, v190, v59, vcc_lo
	v_lshlrev_b64 v[58:59], 4, v[62:63]
	v_add_nc_u32_e32 v62, s6, v64
	v_ashrrev_i32_e32 v65, 31, v64
	v_add_co_u32 v203, vcc_lo, v189, v60
	v_add_co_ci_u32_e64 v204, null, v190, v61, vcc_lo
	v_ashrrev_i32_e32 v63, 31, v62
	v_lshlrev_b64 v[60:61], 4, v[64:65]
	v_add_co_u32 v205, vcc_lo, v189, v58
	v_add_co_ci_u32_e64 v206, null, v190, v59, vcc_lo
	v_lshlrev_b64 v[58:59], 4, v[62:63]
	v_add_nc_u32_e32 v62, s6, v62
	v_add_co_u32 v207, vcc_lo, v189, v60
	v_add_co_ci_u32_e64 v208, null, v190, v61, vcc_lo
	v_ashrrev_i32_e32 v63, 31, v62
	v_add_co_u32 v209, vcc_lo, v189, v58
	v_add_co_ci_u32_e64 v210, null, v190, v59, vcc_lo
	v_add_co_u32 v60, vcc_lo, v189, v188
	v_add_co_ci_u32_e64 v61, null, 0, v190, vcc_lo
	v_lshlrev_b64 v[58:59], 4, v[62:63]
	v_add_co_u32 v62, vcc_lo, v60, s8
	v_add_co_ci_u32_e64 v63, null, s9, v61, vcc_lo
	s_max_i32 s0, s18, 44
	v_add_co_u32 v211, vcc_lo, v189, v58
	v_add_co_ci_u32_e64 v212, null, v190, v59, vcc_lo
	s_clause 0x2b
	global_load_dwordx4 v[174:177], v[60:61], off
	global_load_dwordx4 v[170:173], v[62:63], off
	;; [unrolled: 1-line block ×44, first 2 shown]
	v_mul_lo_u32 v186, s0, v1
	s_cmp_lt_i32 s18, 2
	v_lshl_add_u32 v1, v186, 4, 0
	v_add_nc_u32_e32 v178, v1, v188
	v_lshlrev_b32_e32 v188, 4, v186
	v_mov_b32_e32 v186, 0
	s_waitcnt vmcnt(43)
	ds_write2_b64 v178, v[174:175], v[176:177] offset1:1
	s_waitcnt vmcnt(0) lgkmcnt(0)
	s_barrier
	buffer_gl0_inv
	ds_read2_b64 v[178:181], v1 offset1:1
	s_cbranch_scc1 .LBB86_6
; %bb.4:
	v_add3_u32 v187, v188, 0, 16
	v_mov_b32_e32 v186, 0
	s_mov_b32 s3, 1
	s_inst_prefetch 0x1
	.p2align	6
.LBB86_5:                               ; =>This Inner Loop Header: Depth=1
	ds_read2_b64 v[191:194], v187 offset1:1
	s_waitcnt lgkmcnt(1)
	v_cmp_gt_f64_e32 vcc_lo, 0, v[178:179]
	v_cmp_gt_f64_e64 s0, 0, v[180:181]
	v_xor_b32_e32 v196, 0x80000000, v179
	v_xor_b32_e32 v198, 0x80000000, v181
	v_mov_b32_e32 v195, v178
	v_mov_b32_e32 v197, v180
	v_add_nc_u32_e32 v187, 16, v187
	s_waitcnt lgkmcnt(0)
	v_cmp_gt_f64_e64 s1, 0, v[191:192]
	v_cmp_gt_f64_e64 s2, 0, v[193:194]
	v_xor_b32_e32 v200, 0x80000000, v192
	v_xor_b32_e32 v202, 0x80000000, v194
	v_mov_b32_e32 v199, v191
	v_mov_b32_e32 v201, v193
	v_cndmask_b32_e32 v196, v179, v196, vcc_lo
	v_cndmask_b32_e64 v198, v181, v198, s0
	v_add_f64 v[195:196], v[195:196], v[197:198]
	v_cndmask_b32_e64 v200, v192, v200, s1
	v_cndmask_b32_e64 v202, v194, v202, s2
	v_add_f64 v[197:198], v[199:200], v[201:202]
	v_cmp_lt_f64_e32 vcc_lo, v[195:196], v[197:198]
	v_cndmask_b32_e32 v179, v179, v192, vcc_lo
	v_cndmask_b32_e32 v178, v178, v191, vcc_lo
	;; [unrolled: 1-line block ×4, first 2 shown]
	v_cndmask_b32_e64 v186, v186, s3, vcc_lo
	s_add_i32 s3, s3, 1
	s_cmp_eq_u32 s18, s3
	s_cbranch_scc0 .LBB86_5
.LBB86_6:
	s_inst_prefetch 0x2
	s_waitcnt lgkmcnt(0)
	v_cmp_neq_f64_e32 vcc_lo, 0, v[178:179]
	v_cmp_neq_f64_e64 s0, 0, v[180:181]
	v_mov_b32_e32 v191, 1
	v_mov_b32_e32 v193, 1
	s_or_b32 s1, vcc_lo, s0
	s_and_saveexec_b32 s0, s1
	s_cbranch_execz .LBB86_12
; %bb.7:
	v_cmp_ngt_f64_e64 s1, |v[178:179]|, |v[180:181]|
	s_and_saveexec_b32 s2, s1
	s_xor_b32 s1, exec_lo, s2
	s_cbranch_execz .LBB86_9
; %bb.8:
	v_div_scale_f64 v[191:192], null, v[180:181], v[180:181], v[178:179]
	v_div_scale_f64 v[197:198], vcc_lo, v[178:179], v[180:181], v[178:179]
	v_rcp_f64_e32 v[193:194], v[191:192]
	v_fma_f64 v[195:196], -v[191:192], v[193:194], 1.0
	v_fma_f64 v[193:194], v[193:194], v[195:196], v[193:194]
	v_fma_f64 v[195:196], -v[191:192], v[193:194], 1.0
	v_fma_f64 v[193:194], v[193:194], v[195:196], v[193:194]
	v_mul_f64 v[195:196], v[197:198], v[193:194]
	v_fma_f64 v[191:192], -v[191:192], v[195:196], v[197:198]
	v_div_fmas_f64 v[191:192], v[191:192], v[193:194], v[195:196]
	v_div_fixup_f64 v[191:192], v[191:192], v[180:181], v[178:179]
	v_fma_f64 v[178:179], v[178:179], v[191:192], v[180:181]
	v_div_scale_f64 v[180:181], null, v[178:179], v[178:179], 1.0
	v_rcp_f64_e32 v[193:194], v[180:181]
	v_fma_f64 v[195:196], -v[180:181], v[193:194], 1.0
	v_fma_f64 v[193:194], v[193:194], v[195:196], v[193:194]
	v_fma_f64 v[195:196], -v[180:181], v[193:194], 1.0
	v_fma_f64 v[193:194], v[193:194], v[195:196], v[193:194]
	v_div_scale_f64 v[195:196], vcc_lo, 1.0, v[178:179], 1.0
	v_mul_f64 v[197:198], v[195:196], v[193:194]
	v_fma_f64 v[180:181], -v[180:181], v[197:198], v[195:196]
	v_div_fmas_f64 v[180:181], v[180:181], v[193:194], v[197:198]
	v_div_fixup_f64 v[180:181], v[180:181], v[178:179], 1.0
	v_mul_f64 v[178:179], v[191:192], v[180:181]
	v_xor_b32_e32 v181, 0x80000000, v181
.LBB86_9:
	s_andn2_saveexec_b32 s1, s1
	s_cbranch_execz .LBB86_11
; %bb.10:
	v_div_scale_f64 v[191:192], null, v[178:179], v[178:179], v[180:181]
	v_div_scale_f64 v[197:198], vcc_lo, v[180:181], v[178:179], v[180:181]
	v_rcp_f64_e32 v[193:194], v[191:192]
	v_fma_f64 v[195:196], -v[191:192], v[193:194], 1.0
	v_fma_f64 v[193:194], v[193:194], v[195:196], v[193:194]
	v_fma_f64 v[195:196], -v[191:192], v[193:194], 1.0
	v_fma_f64 v[193:194], v[193:194], v[195:196], v[193:194]
	v_mul_f64 v[195:196], v[197:198], v[193:194]
	v_fma_f64 v[191:192], -v[191:192], v[195:196], v[197:198]
	v_div_fmas_f64 v[191:192], v[191:192], v[193:194], v[195:196]
	v_div_fixup_f64 v[191:192], v[191:192], v[178:179], v[180:181]
	v_fma_f64 v[178:179], v[180:181], v[191:192], v[178:179]
	v_div_scale_f64 v[180:181], null, v[178:179], v[178:179], 1.0
	v_rcp_f64_e32 v[193:194], v[180:181]
	v_fma_f64 v[195:196], -v[180:181], v[193:194], 1.0
	v_fma_f64 v[193:194], v[193:194], v[195:196], v[193:194]
	v_fma_f64 v[195:196], -v[180:181], v[193:194], 1.0
	v_fma_f64 v[193:194], v[193:194], v[195:196], v[193:194]
	v_div_scale_f64 v[195:196], vcc_lo, 1.0, v[178:179], 1.0
	v_mul_f64 v[197:198], v[195:196], v[193:194]
	v_fma_f64 v[180:181], -v[180:181], v[197:198], v[195:196]
	v_div_fmas_f64 v[180:181], v[180:181], v[193:194], v[197:198]
	v_div_fixup_f64 v[178:179], v[180:181], v[178:179], 1.0
	v_mul_f64 v[180:181], v[191:192], -v[178:179]
.LBB86_11:
	s_or_b32 exec_lo, exec_lo, s1
	v_mov_b32_e32 v193, 0
	v_mov_b32_e32 v191, 2
.LBB86_12:
	s_or_b32 exec_lo, exec_lo, s0
	s_mov_b32 s0, exec_lo
	v_cmpx_ne_u32_e64 v0, v186
	s_xor_b32 s0, exec_lo, s0
	s_cbranch_execz .LBB86_18
; %bb.13:
	s_mov_b32 s1, exec_lo
	v_cmpx_eq_u32_e32 0, v0
	s_cbranch_execz .LBB86_17
; %bb.14:
	v_cmp_ne_u32_e32 vcc_lo, 0, v186
	s_xor_b32 s2, s16, -1
	s_and_b32 s3, s2, vcc_lo
	s_and_saveexec_b32 s2, s3
	s_cbranch_execz .LBB86_16
; %bb.15:
	v_ashrrev_i32_e32 v187, 31, v186
	v_lshlrev_b64 v[194:195], 2, v[186:187]
	v_add_co_u32 v194, vcc_lo, v184, v194
	v_add_co_ci_u32_e64 v195, null, v185, v195, vcc_lo
	s_clause 0x1
	global_load_dword v0, v[194:195], off
	global_load_dword v187, v[184:185], off
	s_waitcnt vmcnt(1)
	global_store_dword v[184:185], v0, off
	s_waitcnt vmcnt(0)
	global_store_dword v[194:195], v187, off
.LBB86_16:
	s_or_b32 exec_lo, exec_lo, s2
	v_mov_b32_e32 v0, v186
.LBB86_17:
	s_or_b32 exec_lo, exec_lo, s1
.LBB86_18:
	s_or_saveexec_b32 s0, s0
	v_mov_b32_e32 v192, v0
	s_xor_b32 exec_lo, exec_lo, s0
	s_cbranch_execz .LBB86_20
; %bb.19:
	v_mov_b32_e32 v192, 0
	ds_write2_b64 v1, v[170:171], v[172:173] offset0:2 offset1:3
	ds_write2_b64 v1, v[166:167], v[168:169] offset0:4 offset1:5
	;; [unrolled: 1-line block ×43, first 2 shown]
.LBB86_20:
	s_or_b32 exec_lo, exec_lo, s0
	s_mov_b32 s0, exec_lo
	s_waitcnt lgkmcnt(0)
	s_waitcnt_vscnt null, 0x0
	s_barrier
	buffer_gl0_inv
	v_cmpx_lt_i32_e32 0, v192
	s_cbranch_execz .LBB86_22
; %bb.21:
	v_mul_f64 v[186:187], v[180:181], v[176:177]
	v_mul_f64 v[176:177], v[178:179], v[176:177]
	v_fma_f64 v[186:187], v[178:179], v[174:175], -v[186:187]
	v_fma_f64 v[176:177], v[180:181], v[174:175], v[176:177]
	ds_read2_b64 v[178:181], v1 offset0:2 offset1:3
	s_waitcnt lgkmcnt(0)
	v_mul_f64 v[174:175], v[180:181], v[176:177]
	v_fma_f64 v[174:175], v[178:179], v[186:187], -v[174:175]
	v_mul_f64 v[178:179], v[178:179], v[176:177]
	v_add_f64 v[170:171], v[170:171], -v[174:175]
	v_fma_f64 v[178:179], v[180:181], v[186:187], v[178:179]
	v_add_f64 v[172:173], v[172:173], -v[178:179]
	ds_read2_b64 v[178:181], v1 offset0:4 offset1:5
	s_waitcnt lgkmcnt(0)
	v_mul_f64 v[174:175], v[180:181], v[176:177]
	v_fma_f64 v[174:175], v[178:179], v[186:187], -v[174:175]
	v_mul_f64 v[178:179], v[178:179], v[176:177]
	v_add_f64 v[166:167], v[166:167], -v[174:175]
	v_fma_f64 v[178:179], v[180:181], v[186:187], v[178:179]
	v_add_f64 v[168:169], v[168:169], -v[178:179]
	;; [unrolled: 8-line block ×42, first 2 shown]
	ds_read2_b64 v[178:181], v1 offset0:86 offset1:87
	s_waitcnt lgkmcnt(0)
	v_mul_f64 v[174:175], v[180:181], v[176:177]
	v_fma_f64 v[174:175], v[178:179], v[186:187], -v[174:175]
	v_mul_f64 v[178:179], v[178:179], v[176:177]
	v_add_f64 v[2:3], v[2:3], -v[174:175]
	v_fma_f64 v[178:179], v[180:181], v[186:187], v[178:179]
	v_mov_b32_e32 v174, v186
	v_mov_b32_e32 v175, v187
	v_add_f64 v[4:5], v[4:5], -v[178:179]
.LBB86_22:
	s_or_b32 exec_lo, exec_lo, s0
	v_lshl_add_u32 v178, v192, 4, v1
	s_barrier
	buffer_gl0_inv
	v_mov_b32_e32 v186, 1
	ds_write2_b64 v178, v[170:171], v[172:173] offset1:1
	s_waitcnt lgkmcnt(0)
	s_barrier
	buffer_gl0_inv
	ds_read2_b64 v[178:181], v1 offset0:2 offset1:3
	s_cmp_lt_i32 s18, 3
	s_cbranch_scc1 .LBB86_25
; %bb.23:
	v_add3_u32 v187, v188, 0, 32
	v_mov_b32_e32 v186, 1
	s_mov_b32 s1, 2
	s_inst_prefetch 0x1
	.p2align	6
.LBB86_24:                              ; =>This Inner Loop Header: Depth=1
	s_waitcnt lgkmcnt(0)
	v_cmp_gt_f64_e32 vcc_lo, 0, v[180:181]
	v_cmp_gt_f64_e64 s0, 0, v[178:179]
	ds_read2_b64 v[194:197], v187 offset1:1
	v_xor_b32_e32 v199, 0x80000000, v179
	v_xor_b32_e32 v201, 0x80000000, v181
	v_mov_b32_e32 v198, v178
	v_mov_b32_e32 v200, v180
	v_add_nc_u32_e32 v187, 16, v187
	s_waitcnt lgkmcnt(0)
	v_xor_b32_e32 v203, 0x80000000, v197
	v_cndmask_b32_e64 v199, v179, v199, s0
	v_cndmask_b32_e32 v201, v181, v201, vcc_lo
	v_cmp_gt_f64_e32 vcc_lo, 0, v[196:197]
	v_cmp_gt_f64_e64 s0, 0, v[194:195]
	v_mov_b32_e32 v202, v196
	v_add_f64 v[198:199], v[198:199], v[200:201]
	v_xor_b32_e32 v201, 0x80000000, v195
	v_mov_b32_e32 v200, v194
	v_cndmask_b32_e32 v203, v197, v203, vcc_lo
	v_cndmask_b32_e64 v201, v195, v201, s0
	v_add_f64 v[200:201], v[200:201], v[202:203]
	v_cmp_lt_f64_e32 vcc_lo, v[198:199], v[200:201]
	v_cndmask_b32_e32 v179, v179, v195, vcc_lo
	v_cndmask_b32_e32 v178, v178, v194, vcc_lo
	;; [unrolled: 1-line block ×4, first 2 shown]
	v_cndmask_b32_e64 v186, v186, s1, vcc_lo
	s_add_i32 s1, s1, 1
	s_cmp_lg_u32 s18, s1
	s_cbranch_scc1 .LBB86_24
.LBB86_25:
	s_inst_prefetch 0x2
	s_waitcnt lgkmcnt(0)
	v_cmp_neq_f64_e32 vcc_lo, 0, v[178:179]
	v_cmp_neq_f64_e64 s0, 0, v[180:181]
	s_or_b32 s1, vcc_lo, s0
	s_and_saveexec_b32 s0, s1
	s_cbranch_execz .LBB86_31
; %bb.26:
	v_cmp_ngt_f64_e64 s1, |v[178:179]|, |v[180:181]|
	s_and_saveexec_b32 s2, s1
	s_xor_b32 s1, exec_lo, s2
	s_cbranch_execz .LBB86_28
; %bb.27:
	v_div_scale_f64 v[194:195], null, v[180:181], v[180:181], v[178:179]
	v_div_scale_f64 v[200:201], vcc_lo, v[178:179], v[180:181], v[178:179]
	v_rcp_f64_e32 v[196:197], v[194:195]
	v_fma_f64 v[198:199], -v[194:195], v[196:197], 1.0
	v_fma_f64 v[196:197], v[196:197], v[198:199], v[196:197]
	v_fma_f64 v[198:199], -v[194:195], v[196:197], 1.0
	v_fma_f64 v[196:197], v[196:197], v[198:199], v[196:197]
	v_mul_f64 v[198:199], v[200:201], v[196:197]
	v_fma_f64 v[194:195], -v[194:195], v[198:199], v[200:201]
	v_div_fmas_f64 v[194:195], v[194:195], v[196:197], v[198:199]
	v_div_fixup_f64 v[194:195], v[194:195], v[180:181], v[178:179]
	v_fma_f64 v[178:179], v[178:179], v[194:195], v[180:181]
	v_div_scale_f64 v[180:181], null, v[178:179], v[178:179], 1.0
	v_rcp_f64_e32 v[196:197], v[180:181]
	v_fma_f64 v[198:199], -v[180:181], v[196:197], 1.0
	v_fma_f64 v[196:197], v[196:197], v[198:199], v[196:197]
	v_fma_f64 v[198:199], -v[180:181], v[196:197], 1.0
	v_fma_f64 v[196:197], v[196:197], v[198:199], v[196:197]
	v_div_scale_f64 v[198:199], vcc_lo, 1.0, v[178:179], 1.0
	v_mul_f64 v[200:201], v[198:199], v[196:197]
	v_fma_f64 v[180:181], -v[180:181], v[200:201], v[198:199]
	v_div_fmas_f64 v[180:181], v[180:181], v[196:197], v[200:201]
	v_div_fixup_f64 v[180:181], v[180:181], v[178:179], 1.0
	v_mul_f64 v[178:179], v[194:195], v[180:181]
	v_xor_b32_e32 v181, 0x80000000, v181
.LBB86_28:
	s_andn2_saveexec_b32 s1, s1
	s_cbranch_execz .LBB86_30
; %bb.29:
	v_div_scale_f64 v[194:195], null, v[178:179], v[178:179], v[180:181]
	v_div_scale_f64 v[200:201], vcc_lo, v[180:181], v[178:179], v[180:181]
	v_rcp_f64_e32 v[196:197], v[194:195]
	v_fma_f64 v[198:199], -v[194:195], v[196:197], 1.0
	v_fma_f64 v[196:197], v[196:197], v[198:199], v[196:197]
	v_fma_f64 v[198:199], -v[194:195], v[196:197], 1.0
	v_fma_f64 v[196:197], v[196:197], v[198:199], v[196:197]
	v_mul_f64 v[198:199], v[200:201], v[196:197]
	v_fma_f64 v[194:195], -v[194:195], v[198:199], v[200:201]
	v_div_fmas_f64 v[194:195], v[194:195], v[196:197], v[198:199]
	v_div_fixup_f64 v[194:195], v[194:195], v[178:179], v[180:181]
	v_fma_f64 v[178:179], v[180:181], v[194:195], v[178:179]
	v_div_scale_f64 v[180:181], null, v[178:179], v[178:179], 1.0
	v_rcp_f64_e32 v[196:197], v[180:181]
	v_fma_f64 v[198:199], -v[180:181], v[196:197], 1.0
	v_fma_f64 v[196:197], v[196:197], v[198:199], v[196:197]
	v_fma_f64 v[198:199], -v[180:181], v[196:197], 1.0
	v_fma_f64 v[196:197], v[196:197], v[198:199], v[196:197]
	v_div_scale_f64 v[198:199], vcc_lo, 1.0, v[178:179], 1.0
	v_mul_f64 v[200:201], v[198:199], v[196:197]
	v_fma_f64 v[180:181], -v[180:181], v[200:201], v[198:199]
	v_div_fmas_f64 v[180:181], v[180:181], v[196:197], v[200:201]
	v_div_fixup_f64 v[178:179], v[180:181], v[178:179], 1.0
	v_mul_f64 v[180:181], v[194:195], -v[178:179]
.LBB86_30:
	s_or_b32 exec_lo, exec_lo, s1
	v_mov_b32_e32 v191, v193
.LBB86_31:
	s_or_b32 exec_lo, exec_lo, s0
	s_mov_b32 s0, exec_lo
	v_cmpx_ne_u32_e64 v192, v186
	s_xor_b32 s0, exec_lo, s0
	s_cbranch_execz .LBB86_37
; %bb.32:
	s_mov_b32 s1, exec_lo
	v_cmpx_eq_u32_e32 1, v192
	s_cbranch_execz .LBB86_36
; %bb.33:
	v_cmp_ne_u32_e32 vcc_lo, 1, v186
	s_xor_b32 s2, s16, -1
	s_and_b32 s3, s2, vcc_lo
	s_and_saveexec_b32 s2, s3
	s_cbranch_execz .LBB86_35
; %bb.34:
	v_ashrrev_i32_e32 v187, 31, v186
	v_lshlrev_b64 v[192:193], 2, v[186:187]
	v_add_co_u32 v192, vcc_lo, v184, v192
	v_add_co_ci_u32_e64 v193, null, v185, v193, vcc_lo
	s_clause 0x1
	global_load_dword v0, v[192:193], off
	global_load_dword v187, v[184:185], off offset:4
	s_waitcnt vmcnt(1)
	global_store_dword v[184:185], v0, off offset:4
	s_waitcnt vmcnt(0)
	global_store_dword v[192:193], v187, off
.LBB86_35:
	s_or_b32 exec_lo, exec_lo, s2
	v_mov_b32_e32 v192, v186
	v_mov_b32_e32 v0, v186
.LBB86_36:
	s_or_b32 exec_lo, exec_lo, s1
.LBB86_37:
	s_andn2_saveexec_b32 s0, s0
	s_cbranch_execz .LBB86_39
; %bb.38:
	v_mov_b32_e32 v192, 1
	ds_write2_b64 v1, v[166:167], v[168:169] offset0:4 offset1:5
	ds_write2_b64 v1, v[162:163], v[164:165] offset0:6 offset1:7
	;; [unrolled: 1-line block ×42, first 2 shown]
.LBB86_39:
	s_or_b32 exec_lo, exec_lo, s0
	s_mov_b32 s0, exec_lo
	s_waitcnt lgkmcnt(0)
	s_waitcnt_vscnt null, 0x0
	s_barrier
	buffer_gl0_inv
	v_cmpx_lt_i32_e32 1, v192
	s_cbranch_execz .LBB86_41
; %bb.40:
	v_mul_f64 v[186:187], v[180:181], v[172:173]
	v_mul_f64 v[172:173], v[178:179], v[172:173]
	v_fma_f64 v[186:187], v[178:179], v[170:171], -v[186:187]
	v_fma_f64 v[172:173], v[180:181], v[170:171], v[172:173]
	ds_read2_b64 v[178:181], v1 offset0:4 offset1:5
	s_waitcnt lgkmcnt(0)
	v_mul_f64 v[170:171], v[180:181], v[172:173]
	v_fma_f64 v[170:171], v[178:179], v[186:187], -v[170:171]
	v_mul_f64 v[178:179], v[178:179], v[172:173]
	v_add_f64 v[166:167], v[166:167], -v[170:171]
	v_fma_f64 v[178:179], v[180:181], v[186:187], v[178:179]
	v_add_f64 v[168:169], v[168:169], -v[178:179]
	ds_read2_b64 v[178:181], v1 offset0:6 offset1:7
	s_waitcnt lgkmcnt(0)
	v_mul_f64 v[170:171], v[180:181], v[172:173]
	v_fma_f64 v[170:171], v[178:179], v[186:187], -v[170:171]
	v_mul_f64 v[178:179], v[178:179], v[172:173]
	v_add_f64 v[162:163], v[162:163], -v[170:171]
	v_fma_f64 v[178:179], v[180:181], v[186:187], v[178:179]
	v_add_f64 v[164:165], v[164:165], -v[178:179]
	ds_read2_b64 v[178:181], v1 offset0:8 offset1:9
	s_waitcnt lgkmcnt(0)
	v_mul_f64 v[170:171], v[180:181], v[172:173]
	v_fma_f64 v[170:171], v[178:179], v[186:187], -v[170:171]
	v_mul_f64 v[178:179], v[178:179], v[172:173]
	v_add_f64 v[158:159], v[158:159], -v[170:171]
	v_fma_f64 v[178:179], v[180:181], v[186:187], v[178:179]
	v_add_f64 v[160:161], v[160:161], -v[178:179]
	ds_read2_b64 v[178:181], v1 offset0:10 offset1:11
	s_waitcnt lgkmcnt(0)
	v_mul_f64 v[170:171], v[180:181], v[172:173]
	v_fma_f64 v[170:171], v[178:179], v[186:187], -v[170:171]
	v_mul_f64 v[178:179], v[178:179], v[172:173]
	v_add_f64 v[154:155], v[154:155], -v[170:171]
	v_fma_f64 v[178:179], v[180:181], v[186:187], v[178:179]
	v_add_f64 v[156:157], v[156:157], -v[178:179]
	ds_read2_b64 v[178:181], v1 offset0:12 offset1:13
	s_waitcnt lgkmcnt(0)
	v_mul_f64 v[170:171], v[180:181], v[172:173]
	v_fma_f64 v[170:171], v[178:179], v[186:187], -v[170:171]
	v_mul_f64 v[178:179], v[178:179], v[172:173]
	v_add_f64 v[150:151], v[150:151], -v[170:171]
	v_fma_f64 v[178:179], v[180:181], v[186:187], v[178:179]
	v_add_f64 v[152:153], v[152:153], -v[178:179]
	ds_read2_b64 v[178:181], v1 offset0:14 offset1:15
	s_waitcnt lgkmcnt(0)
	v_mul_f64 v[170:171], v[180:181], v[172:173]
	v_fma_f64 v[170:171], v[178:179], v[186:187], -v[170:171]
	v_mul_f64 v[178:179], v[178:179], v[172:173]
	v_add_f64 v[146:147], v[146:147], -v[170:171]
	v_fma_f64 v[178:179], v[180:181], v[186:187], v[178:179]
	v_add_f64 v[148:149], v[148:149], -v[178:179]
	ds_read2_b64 v[178:181], v1 offset0:16 offset1:17
	s_waitcnt lgkmcnt(0)
	v_mul_f64 v[170:171], v[180:181], v[172:173]
	v_fma_f64 v[170:171], v[178:179], v[186:187], -v[170:171]
	v_mul_f64 v[178:179], v[178:179], v[172:173]
	v_add_f64 v[142:143], v[142:143], -v[170:171]
	v_fma_f64 v[178:179], v[180:181], v[186:187], v[178:179]
	v_add_f64 v[144:145], v[144:145], -v[178:179]
	ds_read2_b64 v[178:181], v1 offset0:18 offset1:19
	s_waitcnt lgkmcnt(0)
	v_mul_f64 v[170:171], v[180:181], v[172:173]
	v_fma_f64 v[170:171], v[178:179], v[186:187], -v[170:171]
	v_mul_f64 v[178:179], v[178:179], v[172:173]
	v_add_f64 v[138:139], v[138:139], -v[170:171]
	v_fma_f64 v[178:179], v[180:181], v[186:187], v[178:179]
	v_add_f64 v[140:141], v[140:141], -v[178:179]
	ds_read2_b64 v[178:181], v1 offset0:20 offset1:21
	s_waitcnt lgkmcnt(0)
	v_mul_f64 v[170:171], v[180:181], v[172:173]
	v_fma_f64 v[170:171], v[178:179], v[186:187], -v[170:171]
	v_mul_f64 v[178:179], v[178:179], v[172:173]
	v_add_f64 v[134:135], v[134:135], -v[170:171]
	v_fma_f64 v[178:179], v[180:181], v[186:187], v[178:179]
	v_add_f64 v[136:137], v[136:137], -v[178:179]
	ds_read2_b64 v[178:181], v1 offset0:22 offset1:23
	s_waitcnt lgkmcnt(0)
	v_mul_f64 v[170:171], v[180:181], v[172:173]
	v_fma_f64 v[170:171], v[178:179], v[186:187], -v[170:171]
	v_mul_f64 v[178:179], v[178:179], v[172:173]
	v_add_f64 v[130:131], v[130:131], -v[170:171]
	v_fma_f64 v[178:179], v[180:181], v[186:187], v[178:179]
	v_add_f64 v[132:133], v[132:133], -v[178:179]
	ds_read2_b64 v[178:181], v1 offset0:24 offset1:25
	s_waitcnt lgkmcnt(0)
	v_mul_f64 v[170:171], v[180:181], v[172:173]
	v_fma_f64 v[170:171], v[178:179], v[186:187], -v[170:171]
	v_mul_f64 v[178:179], v[178:179], v[172:173]
	v_add_f64 v[126:127], v[126:127], -v[170:171]
	v_fma_f64 v[178:179], v[180:181], v[186:187], v[178:179]
	v_add_f64 v[128:129], v[128:129], -v[178:179]
	ds_read2_b64 v[178:181], v1 offset0:26 offset1:27
	s_waitcnt lgkmcnt(0)
	v_mul_f64 v[170:171], v[180:181], v[172:173]
	v_fma_f64 v[170:171], v[178:179], v[186:187], -v[170:171]
	v_mul_f64 v[178:179], v[178:179], v[172:173]
	v_add_f64 v[122:123], v[122:123], -v[170:171]
	v_fma_f64 v[178:179], v[180:181], v[186:187], v[178:179]
	v_add_f64 v[124:125], v[124:125], -v[178:179]
	ds_read2_b64 v[178:181], v1 offset0:28 offset1:29
	s_waitcnt lgkmcnt(0)
	v_mul_f64 v[170:171], v[180:181], v[172:173]
	v_fma_f64 v[170:171], v[178:179], v[186:187], -v[170:171]
	v_mul_f64 v[178:179], v[178:179], v[172:173]
	v_add_f64 v[118:119], v[118:119], -v[170:171]
	v_fma_f64 v[178:179], v[180:181], v[186:187], v[178:179]
	v_add_f64 v[120:121], v[120:121], -v[178:179]
	ds_read2_b64 v[178:181], v1 offset0:30 offset1:31
	s_waitcnt lgkmcnt(0)
	v_mul_f64 v[170:171], v[180:181], v[172:173]
	v_fma_f64 v[170:171], v[178:179], v[186:187], -v[170:171]
	v_mul_f64 v[178:179], v[178:179], v[172:173]
	v_add_f64 v[114:115], v[114:115], -v[170:171]
	v_fma_f64 v[178:179], v[180:181], v[186:187], v[178:179]
	v_add_f64 v[116:117], v[116:117], -v[178:179]
	ds_read2_b64 v[178:181], v1 offset0:32 offset1:33
	s_waitcnt lgkmcnt(0)
	v_mul_f64 v[170:171], v[180:181], v[172:173]
	v_fma_f64 v[170:171], v[178:179], v[186:187], -v[170:171]
	v_mul_f64 v[178:179], v[178:179], v[172:173]
	v_add_f64 v[110:111], v[110:111], -v[170:171]
	v_fma_f64 v[178:179], v[180:181], v[186:187], v[178:179]
	v_add_f64 v[112:113], v[112:113], -v[178:179]
	ds_read2_b64 v[178:181], v1 offset0:34 offset1:35
	s_waitcnt lgkmcnt(0)
	v_mul_f64 v[170:171], v[180:181], v[172:173]
	v_fma_f64 v[170:171], v[178:179], v[186:187], -v[170:171]
	v_mul_f64 v[178:179], v[178:179], v[172:173]
	v_add_f64 v[106:107], v[106:107], -v[170:171]
	v_fma_f64 v[178:179], v[180:181], v[186:187], v[178:179]
	v_add_f64 v[108:109], v[108:109], -v[178:179]
	ds_read2_b64 v[178:181], v1 offset0:36 offset1:37
	s_waitcnt lgkmcnt(0)
	v_mul_f64 v[170:171], v[180:181], v[172:173]
	v_fma_f64 v[170:171], v[178:179], v[186:187], -v[170:171]
	v_mul_f64 v[178:179], v[178:179], v[172:173]
	v_add_f64 v[102:103], v[102:103], -v[170:171]
	v_fma_f64 v[178:179], v[180:181], v[186:187], v[178:179]
	v_add_f64 v[104:105], v[104:105], -v[178:179]
	ds_read2_b64 v[178:181], v1 offset0:38 offset1:39
	s_waitcnt lgkmcnt(0)
	v_mul_f64 v[170:171], v[180:181], v[172:173]
	v_fma_f64 v[170:171], v[178:179], v[186:187], -v[170:171]
	v_mul_f64 v[178:179], v[178:179], v[172:173]
	v_add_f64 v[98:99], v[98:99], -v[170:171]
	v_fma_f64 v[178:179], v[180:181], v[186:187], v[178:179]
	v_add_f64 v[100:101], v[100:101], -v[178:179]
	ds_read2_b64 v[178:181], v1 offset0:40 offset1:41
	s_waitcnt lgkmcnt(0)
	v_mul_f64 v[170:171], v[180:181], v[172:173]
	v_fma_f64 v[170:171], v[178:179], v[186:187], -v[170:171]
	v_mul_f64 v[178:179], v[178:179], v[172:173]
	v_add_f64 v[94:95], v[94:95], -v[170:171]
	v_fma_f64 v[178:179], v[180:181], v[186:187], v[178:179]
	v_add_f64 v[96:97], v[96:97], -v[178:179]
	ds_read2_b64 v[178:181], v1 offset0:42 offset1:43
	s_waitcnt lgkmcnt(0)
	v_mul_f64 v[170:171], v[180:181], v[172:173]
	v_fma_f64 v[170:171], v[178:179], v[186:187], -v[170:171]
	v_mul_f64 v[178:179], v[178:179], v[172:173]
	v_add_f64 v[90:91], v[90:91], -v[170:171]
	v_fma_f64 v[178:179], v[180:181], v[186:187], v[178:179]
	v_add_f64 v[92:93], v[92:93], -v[178:179]
	ds_read2_b64 v[178:181], v1 offset0:44 offset1:45
	s_waitcnt lgkmcnt(0)
	v_mul_f64 v[170:171], v[180:181], v[172:173]
	v_fma_f64 v[170:171], v[178:179], v[186:187], -v[170:171]
	v_mul_f64 v[178:179], v[178:179], v[172:173]
	v_add_f64 v[86:87], v[86:87], -v[170:171]
	v_fma_f64 v[178:179], v[180:181], v[186:187], v[178:179]
	v_add_f64 v[88:89], v[88:89], -v[178:179]
	ds_read2_b64 v[178:181], v1 offset0:46 offset1:47
	s_waitcnt lgkmcnt(0)
	v_mul_f64 v[170:171], v[180:181], v[172:173]
	v_fma_f64 v[170:171], v[178:179], v[186:187], -v[170:171]
	v_mul_f64 v[178:179], v[178:179], v[172:173]
	v_add_f64 v[82:83], v[82:83], -v[170:171]
	v_fma_f64 v[178:179], v[180:181], v[186:187], v[178:179]
	v_add_f64 v[84:85], v[84:85], -v[178:179]
	ds_read2_b64 v[178:181], v1 offset0:48 offset1:49
	s_waitcnt lgkmcnt(0)
	v_mul_f64 v[170:171], v[180:181], v[172:173]
	v_fma_f64 v[170:171], v[178:179], v[186:187], -v[170:171]
	v_mul_f64 v[178:179], v[178:179], v[172:173]
	v_add_f64 v[78:79], v[78:79], -v[170:171]
	v_fma_f64 v[178:179], v[180:181], v[186:187], v[178:179]
	v_add_f64 v[80:81], v[80:81], -v[178:179]
	ds_read2_b64 v[178:181], v1 offset0:50 offset1:51
	s_waitcnt lgkmcnt(0)
	v_mul_f64 v[170:171], v[180:181], v[172:173]
	v_fma_f64 v[170:171], v[178:179], v[186:187], -v[170:171]
	v_mul_f64 v[178:179], v[178:179], v[172:173]
	v_add_f64 v[74:75], v[74:75], -v[170:171]
	v_fma_f64 v[178:179], v[180:181], v[186:187], v[178:179]
	v_add_f64 v[76:77], v[76:77], -v[178:179]
	ds_read2_b64 v[178:181], v1 offset0:52 offset1:53
	s_waitcnt lgkmcnt(0)
	v_mul_f64 v[170:171], v[180:181], v[172:173]
	v_fma_f64 v[170:171], v[178:179], v[186:187], -v[170:171]
	v_mul_f64 v[178:179], v[178:179], v[172:173]
	v_add_f64 v[70:71], v[70:71], -v[170:171]
	v_fma_f64 v[178:179], v[180:181], v[186:187], v[178:179]
	v_add_f64 v[72:73], v[72:73], -v[178:179]
	ds_read2_b64 v[178:181], v1 offset0:54 offset1:55
	s_waitcnt lgkmcnt(0)
	v_mul_f64 v[170:171], v[180:181], v[172:173]
	v_fma_f64 v[170:171], v[178:179], v[186:187], -v[170:171]
	v_mul_f64 v[178:179], v[178:179], v[172:173]
	v_add_f64 v[66:67], v[66:67], -v[170:171]
	v_fma_f64 v[178:179], v[180:181], v[186:187], v[178:179]
	v_add_f64 v[68:69], v[68:69], -v[178:179]
	ds_read2_b64 v[178:181], v1 offset0:56 offset1:57
	s_waitcnt lgkmcnt(0)
	v_mul_f64 v[170:171], v[180:181], v[172:173]
	v_fma_f64 v[170:171], v[178:179], v[186:187], -v[170:171]
	v_mul_f64 v[178:179], v[178:179], v[172:173]
	v_add_f64 v[62:63], v[62:63], -v[170:171]
	v_fma_f64 v[178:179], v[180:181], v[186:187], v[178:179]
	v_add_f64 v[64:65], v[64:65], -v[178:179]
	ds_read2_b64 v[178:181], v1 offset0:58 offset1:59
	s_waitcnt lgkmcnt(0)
	v_mul_f64 v[170:171], v[180:181], v[172:173]
	v_fma_f64 v[170:171], v[178:179], v[186:187], -v[170:171]
	v_mul_f64 v[178:179], v[178:179], v[172:173]
	v_add_f64 v[58:59], v[58:59], -v[170:171]
	v_fma_f64 v[178:179], v[180:181], v[186:187], v[178:179]
	v_add_f64 v[60:61], v[60:61], -v[178:179]
	ds_read2_b64 v[178:181], v1 offset0:60 offset1:61
	s_waitcnt lgkmcnt(0)
	v_mul_f64 v[170:171], v[180:181], v[172:173]
	v_fma_f64 v[170:171], v[178:179], v[186:187], -v[170:171]
	v_mul_f64 v[178:179], v[178:179], v[172:173]
	v_add_f64 v[54:55], v[54:55], -v[170:171]
	v_fma_f64 v[178:179], v[180:181], v[186:187], v[178:179]
	v_add_f64 v[56:57], v[56:57], -v[178:179]
	ds_read2_b64 v[178:181], v1 offset0:62 offset1:63
	s_waitcnt lgkmcnt(0)
	v_mul_f64 v[170:171], v[180:181], v[172:173]
	v_fma_f64 v[170:171], v[178:179], v[186:187], -v[170:171]
	v_mul_f64 v[178:179], v[178:179], v[172:173]
	v_add_f64 v[50:51], v[50:51], -v[170:171]
	v_fma_f64 v[178:179], v[180:181], v[186:187], v[178:179]
	v_add_f64 v[52:53], v[52:53], -v[178:179]
	ds_read2_b64 v[178:181], v1 offset0:64 offset1:65
	s_waitcnt lgkmcnt(0)
	v_mul_f64 v[170:171], v[180:181], v[172:173]
	v_fma_f64 v[170:171], v[178:179], v[186:187], -v[170:171]
	v_mul_f64 v[178:179], v[178:179], v[172:173]
	v_add_f64 v[46:47], v[46:47], -v[170:171]
	v_fma_f64 v[178:179], v[180:181], v[186:187], v[178:179]
	v_add_f64 v[48:49], v[48:49], -v[178:179]
	ds_read2_b64 v[178:181], v1 offset0:66 offset1:67
	s_waitcnt lgkmcnt(0)
	v_mul_f64 v[170:171], v[180:181], v[172:173]
	v_fma_f64 v[170:171], v[178:179], v[186:187], -v[170:171]
	v_mul_f64 v[178:179], v[178:179], v[172:173]
	v_add_f64 v[42:43], v[42:43], -v[170:171]
	v_fma_f64 v[178:179], v[180:181], v[186:187], v[178:179]
	v_add_f64 v[44:45], v[44:45], -v[178:179]
	ds_read2_b64 v[178:181], v1 offset0:68 offset1:69
	s_waitcnt lgkmcnt(0)
	v_mul_f64 v[170:171], v[180:181], v[172:173]
	v_fma_f64 v[170:171], v[178:179], v[186:187], -v[170:171]
	v_mul_f64 v[178:179], v[178:179], v[172:173]
	v_add_f64 v[38:39], v[38:39], -v[170:171]
	v_fma_f64 v[178:179], v[180:181], v[186:187], v[178:179]
	v_add_f64 v[40:41], v[40:41], -v[178:179]
	ds_read2_b64 v[178:181], v1 offset0:70 offset1:71
	s_waitcnt lgkmcnt(0)
	v_mul_f64 v[170:171], v[180:181], v[172:173]
	v_fma_f64 v[170:171], v[178:179], v[186:187], -v[170:171]
	v_mul_f64 v[178:179], v[178:179], v[172:173]
	v_add_f64 v[34:35], v[34:35], -v[170:171]
	v_fma_f64 v[178:179], v[180:181], v[186:187], v[178:179]
	v_add_f64 v[36:37], v[36:37], -v[178:179]
	ds_read2_b64 v[178:181], v1 offset0:72 offset1:73
	s_waitcnt lgkmcnt(0)
	v_mul_f64 v[170:171], v[180:181], v[172:173]
	v_fma_f64 v[170:171], v[178:179], v[186:187], -v[170:171]
	v_mul_f64 v[178:179], v[178:179], v[172:173]
	v_add_f64 v[30:31], v[30:31], -v[170:171]
	v_fma_f64 v[178:179], v[180:181], v[186:187], v[178:179]
	v_add_f64 v[32:33], v[32:33], -v[178:179]
	ds_read2_b64 v[178:181], v1 offset0:74 offset1:75
	s_waitcnt lgkmcnt(0)
	v_mul_f64 v[170:171], v[180:181], v[172:173]
	v_fma_f64 v[170:171], v[178:179], v[186:187], -v[170:171]
	v_mul_f64 v[178:179], v[178:179], v[172:173]
	v_add_f64 v[26:27], v[26:27], -v[170:171]
	v_fma_f64 v[178:179], v[180:181], v[186:187], v[178:179]
	v_add_f64 v[28:29], v[28:29], -v[178:179]
	ds_read2_b64 v[178:181], v1 offset0:76 offset1:77
	s_waitcnt lgkmcnt(0)
	v_mul_f64 v[170:171], v[180:181], v[172:173]
	v_fma_f64 v[170:171], v[178:179], v[186:187], -v[170:171]
	v_mul_f64 v[178:179], v[178:179], v[172:173]
	v_add_f64 v[22:23], v[22:23], -v[170:171]
	v_fma_f64 v[178:179], v[180:181], v[186:187], v[178:179]
	v_add_f64 v[24:25], v[24:25], -v[178:179]
	ds_read2_b64 v[178:181], v1 offset0:78 offset1:79
	s_waitcnt lgkmcnt(0)
	v_mul_f64 v[170:171], v[180:181], v[172:173]
	v_fma_f64 v[170:171], v[178:179], v[186:187], -v[170:171]
	v_mul_f64 v[178:179], v[178:179], v[172:173]
	v_add_f64 v[18:19], v[18:19], -v[170:171]
	v_fma_f64 v[178:179], v[180:181], v[186:187], v[178:179]
	v_add_f64 v[20:21], v[20:21], -v[178:179]
	ds_read2_b64 v[178:181], v1 offset0:80 offset1:81
	s_waitcnt lgkmcnt(0)
	v_mul_f64 v[170:171], v[180:181], v[172:173]
	v_fma_f64 v[170:171], v[178:179], v[186:187], -v[170:171]
	v_mul_f64 v[178:179], v[178:179], v[172:173]
	v_add_f64 v[14:15], v[14:15], -v[170:171]
	v_fma_f64 v[178:179], v[180:181], v[186:187], v[178:179]
	v_add_f64 v[16:17], v[16:17], -v[178:179]
	ds_read2_b64 v[178:181], v1 offset0:82 offset1:83
	s_waitcnt lgkmcnt(0)
	v_mul_f64 v[170:171], v[180:181], v[172:173]
	v_fma_f64 v[170:171], v[178:179], v[186:187], -v[170:171]
	v_mul_f64 v[178:179], v[178:179], v[172:173]
	v_add_f64 v[10:11], v[10:11], -v[170:171]
	v_fma_f64 v[178:179], v[180:181], v[186:187], v[178:179]
	v_add_f64 v[12:13], v[12:13], -v[178:179]
	ds_read2_b64 v[178:181], v1 offset0:84 offset1:85
	s_waitcnt lgkmcnt(0)
	v_mul_f64 v[170:171], v[180:181], v[172:173]
	v_fma_f64 v[170:171], v[178:179], v[186:187], -v[170:171]
	v_mul_f64 v[178:179], v[178:179], v[172:173]
	v_add_f64 v[6:7], v[6:7], -v[170:171]
	v_fma_f64 v[178:179], v[180:181], v[186:187], v[178:179]
	v_add_f64 v[8:9], v[8:9], -v[178:179]
	ds_read2_b64 v[178:181], v1 offset0:86 offset1:87
	s_waitcnt lgkmcnt(0)
	v_mul_f64 v[170:171], v[180:181], v[172:173]
	v_fma_f64 v[170:171], v[178:179], v[186:187], -v[170:171]
	v_mul_f64 v[178:179], v[178:179], v[172:173]
	v_add_f64 v[2:3], v[2:3], -v[170:171]
	v_fma_f64 v[178:179], v[180:181], v[186:187], v[178:179]
	v_mov_b32_e32 v170, v186
	v_mov_b32_e32 v171, v187
	v_add_f64 v[4:5], v[4:5], -v[178:179]
.LBB86_41:
	s_or_b32 exec_lo, exec_lo, s0
	v_lshl_add_u32 v178, v192, 4, v1
	s_barrier
	buffer_gl0_inv
	v_mov_b32_e32 v186, 2
	ds_write2_b64 v178, v[166:167], v[168:169] offset1:1
	s_waitcnt lgkmcnt(0)
	s_barrier
	buffer_gl0_inv
	ds_read2_b64 v[178:181], v1 offset0:4 offset1:5
	s_cmp_lt_i32 s18, 4
	s_cbranch_scc1 .LBB86_44
; %bb.42:
	v_add3_u32 v187, v188, 0, 48
	v_mov_b32_e32 v186, 2
	s_mov_b32 s1, 3
	s_inst_prefetch 0x1
	.p2align	6
.LBB86_43:                              ; =>This Inner Loop Header: Depth=1
	s_waitcnt lgkmcnt(0)
	v_cmp_gt_f64_e32 vcc_lo, 0, v[180:181]
	v_cmp_gt_f64_e64 s0, 0, v[178:179]
	ds_read2_b64 v[193:196], v187 offset1:1
	v_xor_b32_e32 v198, 0x80000000, v179
	v_xor_b32_e32 v200, 0x80000000, v181
	v_mov_b32_e32 v197, v178
	v_mov_b32_e32 v199, v180
	v_add_nc_u32_e32 v187, 16, v187
	s_waitcnt lgkmcnt(0)
	v_xor_b32_e32 v202, 0x80000000, v196
	v_cndmask_b32_e64 v198, v179, v198, s0
	v_cndmask_b32_e32 v200, v181, v200, vcc_lo
	v_cmp_gt_f64_e32 vcc_lo, 0, v[195:196]
	v_cmp_gt_f64_e64 s0, 0, v[193:194]
	v_mov_b32_e32 v201, v195
	v_add_f64 v[197:198], v[197:198], v[199:200]
	v_xor_b32_e32 v200, 0x80000000, v194
	v_mov_b32_e32 v199, v193
	v_cndmask_b32_e32 v202, v196, v202, vcc_lo
	v_cndmask_b32_e64 v200, v194, v200, s0
	v_add_f64 v[199:200], v[199:200], v[201:202]
	v_cmp_lt_f64_e32 vcc_lo, v[197:198], v[199:200]
	v_cndmask_b32_e32 v179, v179, v194, vcc_lo
	v_cndmask_b32_e32 v178, v178, v193, vcc_lo
	v_cndmask_b32_e32 v181, v181, v196, vcc_lo
	v_cndmask_b32_e32 v180, v180, v195, vcc_lo
	v_cndmask_b32_e64 v186, v186, s1, vcc_lo
	s_add_i32 s1, s1, 1
	s_cmp_lg_u32 s18, s1
	s_cbranch_scc1 .LBB86_43
.LBB86_44:
	s_inst_prefetch 0x2
	s_waitcnt lgkmcnt(0)
	v_cmp_eq_f64_e32 vcc_lo, 0, v[178:179]
	v_cmp_eq_f64_e64 s0, 0, v[180:181]
	s_and_b32 s0, vcc_lo, s0
	s_and_saveexec_b32 s1, s0
	s_xor_b32 s0, exec_lo, s1
; %bb.45:
	v_cmp_ne_u32_e32 vcc_lo, 0, v191
	v_cndmask_b32_e32 v191, 3, v191, vcc_lo
; %bb.46:
	s_andn2_saveexec_b32 s0, s0
	s_cbranch_execz .LBB86_52
; %bb.47:
	v_cmp_ngt_f64_e64 s1, |v[178:179]|, |v[180:181]|
	s_and_saveexec_b32 s2, s1
	s_xor_b32 s1, exec_lo, s2
	s_cbranch_execz .LBB86_49
; %bb.48:
	v_div_scale_f64 v[193:194], null, v[180:181], v[180:181], v[178:179]
	v_div_scale_f64 v[199:200], vcc_lo, v[178:179], v[180:181], v[178:179]
	v_rcp_f64_e32 v[195:196], v[193:194]
	v_fma_f64 v[197:198], -v[193:194], v[195:196], 1.0
	v_fma_f64 v[195:196], v[195:196], v[197:198], v[195:196]
	v_fma_f64 v[197:198], -v[193:194], v[195:196], 1.0
	v_fma_f64 v[195:196], v[195:196], v[197:198], v[195:196]
	v_mul_f64 v[197:198], v[199:200], v[195:196]
	v_fma_f64 v[193:194], -v[193:194], v[197:198], v[199:200]
	v_div_fmas_f64 v[193:194], v[193:194], v[195:196], v[197:198]
	v_div_fixup_f64 v[193:194], v[193:194], v[180:181], v[178:179]
	v_fma_f64 v[178:179], v[178:179], v[193:194], v[180:181]
	v_div_scale_f64 v[180:181], null, v[178:179], v[178:179], 1.0
	v_rcp_f64_e32 v[195:196], v[180:181]
	v_fma_f64 v[197:198], -v[180:181], v[195:196], 1.0
	v_fma_f64 v[195:196], v[195:196], v[197:198], v[195:196]
	v_fma_f64 v[197:198], -v[180:181], v[195:196], 1.0
	v_fma_f64 v[195:196], v[195:196], v[197:198], v[195:196]
	v_div_scale_f64 v[197:198], vcc_lo, 1.0, v[178:179], 1.0
	v_mul_f64 v[199:200], v[197:198], v[195:196]
	v_fma_f64 v[180:181], -v[180:181], v[199:200], v[197:198]
	v_div_fmas_f64 v[180:181], v[180:181], v[195:196], v[199:200]
	v_div_fixup_f64 v[180:181], v[180:181], v[178:179], 1.0
	v_mul_f64 v[178:179], v[193:194], v[180:181]
	v_xor_b32_e32 v181, 0x80000000, v181
.LBB86_49:
	s_andn2_saveexec_b32 s1, s1
	s_cbranch_execz .LBB86_51
; %bb.50:
	v_div_scale_f64 v[193:194], null, v[178:179], v[178:179], v[180:181]
	v_div_scale_f64 v[199:200], vcc_lo, v[180:181], v[178:179], v[180:181]
	v_rcp_f64_e32 v[195:196], v[193:194]
	v_fma_f64 v[197:198], -v[193:194], v[195:196], 1.0
	v_fma_f64 v[195:196], v[195:196], v[197:198], v[195:196]
	v_fma_f64 v[197:198], -v[193:194], v[195:196], 1.0
	v_fma_f64 v[195:196], v[195:196], v[197:198], v[195:196]
	v_mul_f64 v[197:198], v[199:200], v[195:196]
	v_fma_f64 v[193:194], -v[193:194], v[197:198], v[199:200]
	v_div_fmas_f64 v[193:194], v[193:194], v[195:196], v[197:198]
	v_div_fixup_f64 v[193:194], v[193:194], v[178:179], v[180:181]
	v_fma_f64 v[178:179], v[180:181], v[193:194], v[178:179]
	v_div_scale_f64 v[180:181], null, v[178:179], v[178:179], 1.0
	v_rcp_f64_e32 v[195:196], v[180:181]
	v_fma_f64 v[197:198], -v[180:181], v[195:196], 1.0
	v_fma_f64 v[195:196], v[195:196], v[197:198], v[195:196]
	v_fma_f64 v[197:198], -v[180:181], v[195:196], 1.0
	v_fma_f64 v[195:196], v[195:196], v[197:198], v[195:196]
	v_div_scale_f64 v[197:198], vcc_lo, 1.0, v[178:179], 1.0
	v_mul_f64 v[199:200], v[197:198], v[195:196]
	v_fma_f64 v[180:181], -v[180:181], v[199:200], v[197:198]
	v_div_fmas_f64 v[180:181], v[180:181], v[195:196], v[199:200]
	v_div_fixup_f64 v[178:179], v[180:181], v[178:179], 1.0
	v_mul_f64 v[180:181], v[193:194], -v[178:179]
.LBB86_51:
	s_or_b32 exec_lo, exec_lo, s1
.LBB86_52:
	s_or_b32 exec_lo, exec_lo, s0
	s_mov_b32 s0, exec_lo
	v_cmpx_ne_u32_e64 v192, v186
	s_xor_b32 s0, exec_lo, s0
	s_cbranch_execz .LBB86_58
; %bb.53:
	s_mov_b32 s1, exec_lo
	v_cmpx_eq_u32_e32 2, v192
	s_cbranch_execz .LBB86_57
; %bb.54:
	v_cmp_ne_u32_e32 vcc_lo, 2, v186
	s_xor_b32 s2, s16, -1
	s_and_b32 s3, s2, vcc_lo
	s_and_saveexec_b32 s2, s3
	s_cbranch_execz .LBB86_56
; %bb.55:
	v_ashrrev_i32_e32 v187, 31, v186
	v_lshlrev_b64 v[192:193], 2, v[186:187]
	v_add_co_u32 v192, vcc_lo, v184, v192
	v_add_co_ci_u32_e64 v193, null, v185, v193, vcc_lo
	s_clause 0x1
	global_load_dword v0, v[192:193], off
	global_load_dword v187, v[184:185], off offset:8
	s_waitcnt vmcnt(1)
	global_store_dword v[184:185], v0, off offset:8
	s_waitcnt vmcnt(0)
	global_store_dword v[192:193], v187, off
.LBB86_56:
	s_or_b32 exec_lo, exec_lo, s2
	v_mov_b32_e32 v192, v186
	v_mov_b32_e32 v0, v186
.LBB86_57:
	s_or_b32 exec_lo, exec_lo, s1
.LBB86_58:
	s_andn2_saveexec_b32 s0, s0
	s_cbranch_execz .LBB86_60
; %bb.59:
	v_mov_b32_e32 v192, 2
	ds_write2_b64 v1, v[162:163], v[164:165] offset0:6 offset1:7
	ds_write2_b64 v1, v[158:159], v[160:161] offset0:8 offset1:9
	ds_write2_b64 v1, v[154:155], v[156:157] offset0:10 offset1:11
	ds_write2_b64 v1, v[150:151], v[152:153] offset0:12 offset1:13
	ds_write2_b64 v1, v[146:147], v[148:149] offset0:14 offset1:15
	ds_write2_b64 v1, v[142:143], v[144:145] offset0:16 offset1:17
	ds_write2_b64 v1, v[138:139], v[140:141] offset0:18 offset1:19
	ds_write2_b64 v1, v[134:135], v[136:137] offset0:20 offset1:21
	ds_write2_b64 v1, v[130:131], v[132:133] offset0:22 offset1:23
	ds_write2_b64 v1, v[126:127], v[128:129] offset0:24 offset1:25
	ds_write2_b64 v1, v[122:123], v[124:125] offset0:26 offset1:27
	ds_write2_b64 v1, v[118:119], v[120:121] offset0:28 offset1:29
	ds_write2_b64 v1, v[114:115], v[116:117] offset0:30 offset1:31
	ds_write2_b64 v1, v[110:111], v[112:113] offset0:32 offset1:33
	ds_write2_b64 v1, v[106:107], v[108:109] offset0:34 offset1:35
	ds_write2_b64 v1, v[102:103], v[104:105] offset0:36 offset1:37
	ds_write2_b64 v1, v[98:99], v[100:101] offset0:38 offset1:39
	ds_write2_b64 v1, v[94:95], v[96:97] offset0:40 offset1:41
	ds_write2_b64 v1, v[90:91], v[92:93] offset0:42 offset1:43
	ds_write2_b64 v1, v[86:87], v[88:89] offset0:44 offset1:45
	ds_write2_b64 v1, v[82:83], v[84:85] offset0:46 offset1:47
	ds_write2_b64 v1, v[78:79], v[80:81] offset0:48 offset1:49
	ds_write2_b64 v1, v[74:75], v[76:77] offset0:50 offset1:51
	ds_write2_b64 v1, v[70:71], v[72:73] offset0:52 offset1:53
	ds_write2_b64 v1, v[66:67], v[68:69] offset0:54 offset1:55
	ds_write2_b64 v1, v[62:63], v[64:65] offset0:56 offset1:57
	ds_write2_b64 v1, v[58:59], v[60:61] offset0:58 offset1:59
	ds_write2_b64 v1, v[54:55], v[56:57] offset0:60 offset1:61
	ds_write2_b64 v1, v[50:51], v[52:53] offset0:62 offset1:63
	ds_write2_b64 v1, v[46:47], v[48:49] offset0:64 offset1:65
	ds_write2_b64 v1, v[42:43], v[44:45] offset0:66 offset1:67
	ds_write2_b64 v1, v[38:39], v[40:41] offset0:68 offset1:69
	ds_write2_b64 v1, v[34:35], v[36:37] offset0:70 offset1:71
	ds_write2_b64 v1, v[30:31], v[32:33] offset0:72 offset1:73
	ds_write2_b64 v1, v[26:27], v[28:29] offset0:74 offset1:75
	ds_write2_b64 v1, v[22:23], v[24:25] offset0:76 offset1:77
	ds_write2_b64 v1, v[18:19], v[20:21] offset0:78 offset1:79
	ds_write2_b64 v1, v[14:15], v[16:17] offset0:80 offset1:81
	ds_write2_b64 v1, v[10:11], v[12:13] offset0:82 offset1:83
	ds_write2_b64 v1, v[6:7], v[8:9] offset0:84 offset1:85
	ds_write2_b64 v1, v[2:3], v[4:5] offset0:86 offset1:87
.LBB86_60:
	s_or_b32 exec_lo, exec_lo, s0
	s_mov_b32 s0, exec_lo
	s_waitcnt lgkmcnt(0)
	s_waitcnt_vscnt null, 0x0
	s_barrier
	buffer_gl0_inv
	v_cmpx_lt_i32_e32 2, v192
	s_cbranch_execz .LBB86_62
; %bb.61:
	v_mul_f64 v[186:187], v[180:181], v[168:169]
	v_mul_f64 v[168:169], v[178:179], v[168:169]
	v_fma_f64 v[186:187], v[178:179], v[166:167], -v[186:187]
	v_fma_f64 v[168:169], v[180:181], v[166:167], v[168:169]
	ds_read2_b64 v[178:181], v1 offset0:6 offset1:7
	s_waitcnt lgkmcnt(0)
	v_mul_f64 v[166:167], v[180:181], v[168:169]
	v_fma_f64 v[166:167], v[178:179], v[186:187], -v[166:167]
	v_mul_f64 v[178:179], v[178:179], v[168:169]
	v_add_f64 v[162:163], v[162:163], -v[166:167]
	v_fma_f64 v[178:179], v[180:181], v[186:187], v[178:179]
	v_add_f64 v[164:165], v[164:165], -v[178:179]
	ds_read2_b64 v[178:181], v1 offset0:8 offset1:9
	s_waitcnt lgkmcnt(0)
	v_mul_f64 v[166:167], v[180:181], v[168:169]
	v_fma_f64 v[166:167], v[178:179], v[186:187], -v[166:167]
	v_mul_f64 v[178:179], v[178:179], v[168:169]
	v_add_f64 v[158:159], v[158:159], -v[166:167]
	v_fma_f64 v[178:179], v[180:181], v[186:187], v[178:179]
	v_add_f64 v[160:161], v[160:161], -v[178:179]
	ds_read2_b64 v[178:181], v1 offset0:10 offset1:11
	s_waitcnt lgkmcnt(0)
	v_mul_f64 v[166:167], v[180:181], v[168:169]
	v_fma_f64 v[166:167], v[178:179], v[186:187], -v[166:167]
	v_mul_f64 v[178:179], v[178:179], v[168:169]
	v_add_f64 v[154:155], v[154:155], -v[166:167]
	v_fma_f64 v[178:179], v[180:181], v[186:187], v[178:179]
	v_add_f64 v[156:157], v[156:157], -v[178:179]
	ds_read2_b64 v[178:181], v1 offset0:12 offset1:13
	s_waitcnt lgkmcnt(0)
	v_mul_f64 v[166:167], v[180:181], v[168:169]
	v_fma_f64 v[166:167], v[178:179], v[186:187], -v[166:167]
	v_mul_f64 v[178:179], v[178:179], v[168:169]
	v_add_f64 v[150:151], v[150:151], -v[166:167]
	v_fma_f64 v[178:179], v[180:181], v[186:187], v[178:179]
	v_add_f64 v[152:153], v[152:153], -v[178:179]
	ds_read2_b64 v[178:181], v1 offset0:14 offset1:15
	s_waitcnt lgkmcnt(0)
	v_mul_f64 v[166:167], v[180:181], v[168:169]
	v_fma_f64 v[166:167], v[178:179], v[186:187], -v[166:167]
	v_mul_f64 v[178:179], v[178:179], v[168:169]
	v_add_f64 v[146:147], v[146:147], -v[166:167]
	v_fma_f64 v[178:179], v[180:181], v[186:187], v[178:179]
	v_add_f64 v[148:149], v[148:149], -v[178:179]
	ds_read2_b64 v[178:181], v1 offset0:16 offset1:17
	s_waitcnt lgkmcnt(0)
	v_mul_f64 v[166:167], v[180:181], v[168:169]
	v_fma_f64 v[166:167], v[178:179], v[186:187], -v[166:167]
	v_mul_f64 v[178:179], v[178:179], v[168:169]
	v_add_f64 v[142:143], v[142:143], -v[166:167]
	v_fma_f64 v[178:179], v[180:181], v[186:187], v[178:179]
	v_add_f64 v[144:145], v[144:145], -v[178:179]
	ds_read2_b64 v[178:181], v1 offset0:18 offset1:19
	s_waitcnt lgkmcnt(0)
	v_mul_f64 v[166:167], v[180:181], v[168:169]
	v_fma_f64 v[166:167], v[178:179], v[186:187], -v[166:167]
	v_mul_f64 v[178:179], v[178:179], v[168:169]
	v_add_f64 v[138:139], v[138:139], -v[166:167]
	v_fma_f64 v[178:179], v[180:181], v[186:187], v[178:179]
	v_add_f64 v[140:141], v[140:141], -v[178:179]
	ds_read2_b64 v[178:181], v1 offset0:20 offset1:21
	s_waitcnt lgkmcnt(0)
	v_mul_f64 v[166:167], v[180:181], v[168:169]
	v_fma_f64 v[166:167], v[178:179], v[186:187], -v[166:167]
	v_mul_f64 v[178:179], v[178:179], v[168:169]
	v_add_f64 v[134:135], v[134:135], -v[166:167]
	v_fma_f64 v[178:179], v[180:181], v[186:187], v[178:179]
	v_add_f64 v[136:137], v[136:137], -v[178:179]
	ds_read2_b64 v[178:181], v1 offset0:22 offset1:23
	s_waitcnt lgkmcnt(0)
	v_mul_f64 v[166:167], v[180:181], v[168:169]
	v_fma_f64 v[166:167], v[178:179], v[186:187], -v[166:167]
	v_mul_f64 v[178:179], v[178:179], v[168:169]
	v_add_f64 v[130:131], v[130:131], -v[166:167]
	v_fma_f64 v[178:179], v[180:181], v[186:187], v[178:179]
	v_add_f64 v[132:133], v[132:133], -v[178:179]
	ds_read2_b64 v[178:181], v1 offset0:24 offset1:25
	s_waitcnt lgkmcnt(0)
	v_mul_f64 v[166:167], v[180:181], v[168:169]
	v_fma_f64 v[166:167], v[178:179], v[186:187], -v[166:167]
	v_mul_f64 v[178:179], v[178:179], v[168:169]
	v_add_f64 v[126:127], v[126:127], -v[166:167]
	v_fma_f64 v[178:179], v[180:181], v[186:187], v[178:179]
	v_add_f64 v[128:129], v[128:129], -v[178:179]
	ds_read2_b64 v[178:181], v1 offset0:26 offset1:27
	s_waitcnt lgkmcnt(0)
	v_mul_f64 v[166:167], v[180:181], v[168:169]
	v_fma_f64 v[166:167], v[178:179], v[186:187], -v[166:167]
	v_mul_f64 v[178:179], v[178:179], v[168:169]
	v_add_f64 v[122:123], v[122:123], -v[166:167]
	v_fma_f64 v[178:179], v[180:181], v[186:187], v[178:179]
	v_add_f64 v[124:125], v[124:125], -v[178:179]
	ds_read2_b64 v[178:181], v1 offset0:28 offset1:29
	s_waitcnt lgkmcnt(0)
	v_mul_f64 v[166:167], v[180:181], v[168:169]
	v_fma_f64 v[166:167], v[178:179], v[186:187], -v[166:167]
	v_mul_f64 v[178:179], v[178:179], v[168:169]
	v_add_f64 v[118:119], v[118:119], -v[166:167]
	v_fma_f64 v[178:179], v[180:181], v[186:187], v[178:179]
	v_add_f64 v[120:121], v[120:121], -v[178:179]
	ds_read2_b64 v[178:181], v1 offset0:30 offset1:31
	s_waitcnt lgkmcnt(0)
	v_mul_f64 v[166:167], v[180:181], v[168:169]
	v_fma_f64 v[166:167], v[178:179], v[186:187], -v[166:167]
	v_mul_f64 v[178:179], v[178:179], v[168:169]
	v_add_f64 v[114:115], v[114:115], -v[166:167]
	v_fma_f64 v[178:179], v[180:181], v[186:187], v[178:179]
	v_add_f64 v[116:117], v[116:117], -v[178:179]
	ds_read2_b64 v[178:181], v1 offset0:32 offset1:33
	s_waitcnt lgkmcnt(0)
	v_mul_f64 v[166:167], v[180:181], v[168:169]
	v_fma_f64 v[166:167], v[178:179], v[186:187], -v[166:167]
	v_mul_f64 v[178:179], v[178:179], v[168:169]
	v_add_f64 v[110:111], v[110:111], -v[166:167]
	v_fma_f64 v[178:179], v[180:181], v[186:187], v[178:179]
	v_add_f64 v[112:113], v[112:113], -v[178:179]
	ds_read2_b64 v[178:181], v1 offset0:34 offset1:35
	s_waitcnt lgkmcnt(0)
	v_mul_f64 v[166:167], v[180:181], v[168:169]
	v_fma_f64 v[166:167], v[178:179], v[186:187], -v[166:167]
	v_mul_f64 v[178:179], v[178:179], v[168:169]
	v_add_f64 v[106:107], v[106:107], -v[166:167]
	v_fma_f64 v[178:179], v[180:181], v[186:187], v[178:179]
	v_add_f64 v[108:109], v[108:109], -v[178:179]
	ds_read2_b64 v[178:181], v1 offset0:36 offset1:37
	s_waitcnt lgkmcnt(0)
	v_mul_f64 v[166:167], v[180:181], v[168:169]
	v_fma_f64 v[166:167], v[178:179], v[186:187], -v[166:167]
	v_mul_f64 v[178:179], v[178:179], v[168:169]
	v_add_f64 v[102:103], v[102:103], -v[166:167]
	v_fma_f64 v[178:179], v[180:181], v[186:187], v[178:179]
	v_add_f64 v[104:105], v[104:105], -v[178:179]
	ds_read2_b64 v[178:181], v1 offset0:38 offset1:39
	s_waitcnt lgkmcnt(0)
	v_mul_f64 v[166:167], v[180:181], v[168:169]
	v_fma_f64 v[166:167], v[178:179], v[186:187], -v[166:167]
	v_mul_f64 v[178:179], v[178:179], v[168:169]
	v_add_f64 v[98:99], v[98:99], -v[166:167]
	v_fma_f64 v[178:179], v[180:181], v[186:187], v[178:179]
	v_add_f64 v[100:101], v[100:101], -v[178:179]
	ds_read2_b64 v[178:181], v1 offset0:40 offset1:41
	s_waitcnt lgkmcnt(0)
	v_mul_f64 v[166:167], v[180:181], v[168:169]
	v_fma_f64 v[166:167], v[178:179], v[186:187], -v[166:167]
	v_mul_f64 v[178:179], v[178:179], v[168:169]
	v_add_f64 v[94:95], v[94:95], -v[166:167]
	v_fma_f64 v[178:179], v[180:181], v[186:187], v[178:179]
	v_add_f64 v[96:97], v[96:97], -v[178:179]
	ds_read2_b64 v[178:181], v1 offset0:42 offset1:43
	s_waitcnt lgkmcnt(0)
	v_mul_f64 v[166:167], v[180:181], v[168:169]
	v_fma_f64 v[166:167], v[178:179], v[186:187], -v[166:167]
	v_mul_f64 v[178:179], v[178:179], v[168:169]
	v_add_f64 v[90:91], v[90:91], -v[166:167]
	v_fma_f64 v[178:179], v[180:181], v[186:187], v[178:179]
	v_add_f64 v[92:93], v[92:93], -v[178:179]
	ds_read2_b64 v[178:181], v1 offset0:44 offset1:45
	s_waitcnt lgkmcnt(0)
	v_mul_f64 v[166:167], v[180:181], v[168:169]
	v_fma_f64 v[166:167], v[178:179], v[186:187], -v[166:167]
	v_mul_f64 v[178:179], v[178:179], v[168:169]
	v_add_f64 v[86:87], v[86:87], -v[166:167]
	v_fma_f64 v[178:179], v[180:181], v[186:187], v[178:179]
	v_add_f64 v[88:89], v[88:89], -v[178:179]
	ds_read2_b64 v[178:181], v1 offset0:46 offset1:47
	s_waitcnt lgkmcnt(0)
	v_mul_f64 v[166:167], v[180:181], v[168:169]
	v_fma_f64 v[166:167], v[178:179], v[186:187], -v[166:167]
	v_mul_f64 v[178:179], v[178:179], v[168:169]
	v_add_f64 v[82:83], v[82:83], -v[166:167]
	v_fma_f64 v[178:179], v[180:181], v[186:187], v[178:179]
	v_add_f64 v[84:85], v[84:85], -v[178:179]
	ds_read2_b64 v[178:181], v1 offset0:48 offset1:49
	s_waitcnt lgkmcnt(0)
	v_mul_f64 v[166:167], v[180:181], v[168:169]
	v_fma_f64 v[166:167], v[178:179], v[186:187], -v[166:167]
	v_mul_f64 v[178:179], v[178:179], v[168:169]
	v_add_f64 v[78:79], v[78:79], -v[166:167]
	v_fma_f64 v[178:179], v[180:181], v[186:187], v[178:179]
	v_add_f64 v[80:81], v[80:81], -v[178:179]
	ds_read2_b64 v[178:181], v1 offset0:50 offset1:51
	s_waitcnt lgkmcnt(0)
	v_mul_f64 v[166:167], v[180:181], v[168:169]
	v_fma_f64 v[166:167], v[178:179], v[186:187], -v[166:167]
	v_mul_f64 v[178:179], v[178:179], v[168:169]
	v_add_f64 v[74:75], v[74:75], -v[166:167]
	v_fma_f64 v[178:179], v[180:181], v[186:187], v[178:179]
	v_add_f64 v[76:77], v[76:77], -v[178:179]
	ds_read2_b64 v[178:181], v1 offset0:52 offset1:53
	s_waitcnt lgkmcnt(0)
	v_mul_f64 v[166:167], v[180:181], v[168:169]
	v_fma_f64 v[166:167], v[178:179], v[186:187], -v[166:167]
	v_mul_f64 v[178:179], v[178:179], v[168:169]
	v_add_f64 v[70:71], v[70:71], -v[166:167]
	v_fma_f64 v[178:179], v[180:181], v[186:187], v[178:179]
	v_add_f64 v[72:73], v[72:73], -v[178:179]
	ds_read2_b64 v[178:181], v1 offset0:54 offset1:55
	s_waitcnt lgkmcnt(0)
	v_mul_f64 v[166:167], v[180:181], v[168:169]
	v_fma_f64 v[166:167], v[178:179], v[186:187], -v[166:167]
	v_mul_f64 v[178:179], v[178:179], v[168:169]
	v_add_f64 v[66:67], v[66:67], -v[166:167]
	v_fma_f64 v[178:179], v[180:181], v[186:187], v[178:179]
	v_add_f64 v[68:69], v[68:69], -v[178:179]
	ds_read2_b64 v[178:181], v1 offset0:56 offset1:57
	s_waitcnt lgkmcnt(0)
	v_mul_f64 v[166:167], v[180:181], v[168:169]
	v_fma_f64 v[166:167], v[178:179], v[186:187], -v[166:167]
	v_mul_f64 v[178:179], v[178:179], v[168:169]
	v_add_f64 v[62:63], v[62:63], -v[166:167]
	v_fma_f64 v[178:179], v[180:181], v[186:187], v[178:179]
	v_add_f64 v[64:65], v[64:65], -v[178:179]
	ds_read2_b64 v[178:181], v1 offset0:58 offset1:59
	s_waitcnt lgkmcnt(0)
	v_mul_f64 v[166:167], v[180:181], v[168:169]
	v_fma_f64 v[166:167], v[178:179], v[186:187], -v[166:167]
	v_mul_f64 v[178:179], v[178:179], v[168:169]
	v_add_f64 v[58:59], v[58:59], -v[166:167]
	v_fma_f64 v[178:179], v[180:181], v[186:187], v[178:179]
	v_add_f64 v[60:61], v[60:61], -v[178:179]
	ds_read2_b64 v[178:181], v1 offset0:60 offset1:61
	s_waitcnt lgkmcnt(0)
	v_mul_f64 v[166:167], v[180:181], v[168:169]
	v_fma_f64 v[166:167], v[178:179], v[186:187], -v[166:167]
	v_mul_f64 v[178:179], v[178:179], v[168:169]
	v_add_f64 v[54:55], v[54:55], -v[166:167]
	v_fma_f64 v[178:179], v[180:181], v[186:187], v[178:179]
	v_add_f64 v[56:57], v[56:57], -v[178:179]
	ds_read2_b64 v[178:181], v1 offset0:62 offset1:63
	s_waitcnt lgkmcnt(0)
	v_mul_f64 v[166:167], v[180:181], v[168:169]
	v_fma_f64 v[166:167], v[178:179], v[186:187], -v[166:167]
	v_mul_f64 v[178:179], v[178:179], v[168:169]
	v_add_f64 v[50:51], v[50:51], -v[166:167]
	v_fma_f64 v[178:179], v[180:181], v[186:187], v[178:179]
	v_add_f64 v[52:53], v[52:53], -v[178:179]
	ds_read2_b64 v[178:181], v1 offset0:64 offset1:65
	s_waitcnt lgkmcnt(0)
	v_mul_f64 v[166:167], v[180:181], v[168:169]
	v_fma_f64 v[166:167], v[178:179], v[186:187], -v[166:167]
	v_mul_f64 v[178:179], v[178:179], v[168:169]
	v_add_f64 v[46:47], v[46:47], -v[166:167]
	v_fma_f64 v[178:179], v[180:181], v[186:187], v[178:179]
	v_add_f64 v[48:49], v[48:49], -v[178:179]
	ds_read2_b64 v[178:181], v1 offset0:66 offset1:67
	s_waitcnt lgkmcnt(0)
	v_mul_f64 v[166:167], v[180:181], v[168:169]
	v_fma_f64 v[166:167], v[178:179], v[186:187], -v[166:167]
	v_mul_f64 v[178:179], v[178:179], v[168:169]
	v_add_f64 v[42:43], v[42:43], -v[166:167]
	v_fma_f64 v[178:179], v[180:181], v[186:187], v[178:179]
	v_add_f64 v[44:45], v[44:45], -v[178:179]
	ds_read2_b64 v[178:181], v1 offset0:68 offset1:69
	s_waitcnt lgkmcnt(0)
	v_mul_f64 v[166:167], v[180:181], v[168:169]
	v_fma_f64 v[166:167], v[178:179], v[186:187], -v[166:167]
	v_mul_f64 v[178:179], v[178:179], v[168:169]
	v_add_f64 v[38:39], v[38:39], -v[166:167]
	v_fma_f64 v[178:179], v[180:181], v[186:187], v[178:179]
	v_add_f64 v[40:41], v[40:41], -v[178:179]
	ds_read2_b64 v[178:181], v1 offset0:70 offset1:71
	s_waitcnt lgkmcnt(0)
	v_mul_f64 v[166:167], v[180:181], v[168:169]
	v_fma_f64 v[166:167], v[178:179], v[186:187], -v[166:167]
	v_mul_f64 v[178:179], v[178:179], v[168:169]
	v_add_f64 v[34:35], v[34:35], -v[166:167]
	v_fma_f64 v[178:179], v[180:181], v[186:187], v[178:179]
	v_add_f64 v[36:37], v[36:37], -v[178:179]
	ds_read2_b64 v[178:181], v1 offset0:72 offset1:73
	s_waitcnt lgkmcnt(0)
	v_mul_f64 v[166:167], v[180:181], v[168:169]
	v_fma_f64 v[166:167], v[178:179], v[186:187], -v[166:167]
	v_mul_f64 v[178:179], v[178:179], v[168:169]
	v_add_f64 v[30:31], v[30:31], -v[166:167]
	v_fma_f64 v[178:179], v[180:181], v[186:187], v[178:179]
	v_add_f64 v[32:33], v[32:33], -v[178:179]
	ds_read2_b64 v[178:181], v1 offset0:74 offset1:75
	s_waitcnt lgkmcnt(0)
	v_mul_f64 v[166:167], v[180:181], v[168:169]
	v_fma_f64 v[166:167], v[178:179], v[186:187], -v[166:167]
	v_mul_f64 v[178:179], v[178:179], v[168:169]
	v_add_f64 v[26:27], v[26:27], -v[166:167]
	v_fma_f64 v[178:179], v[180:181], v[186:187], v[178:179]
	v_add_f64 v[28:29], v[28:29], -v[178:179]
	ds_read2_b64 v[178:181], v1 offset0:76 offset1:77
	s_waitcnt lgkmcnt(0)
	v_mul_f64 v[166:167], v[180:181], v[168:169]
	v_fma_f64 v[166:167], v[178:179], v[186:187], -v[166:167]
	v_mul_f64 v[178:179], v[178:179], v[168:169]
	v_add_f64 v[22:23], v[22:23], -v[166:167]
	v_fma_f64 v[178:179], v[180:181], v[186:187], v[178:179]
	v_add_f64 v[24:25], v[24:25], -v[178:179]
	ds_read2_b64 v[178:181], v1 offset0:78 offset1:79
	s_waitcnt lgkmcnt(0)
	v_mul_f64 v[166:167], v[180:181], v[168:169]
	v_fma_f64 v[166:167], v[178:179], v[186:187], -v[166:167]
	v_mul_f64 v[178:179], v[178:179], v[168:169]
	v_add_f64 v[18:19], v[18:19], -v[166:167]
	v_fma_f64 v[178:179], v[180:181], v[186:187], v[178:179]
	v_add_f64 v[20:21], v[20:21], -v[178:179]
	ds_read2_b64 v[178:181], v1 offset0:80 offset1:81
	s_waitcnt lgkmcnt(0)
	v_mul_f64 v[166:167], v[180:181], v[168:169]
	v_fma_f64 v[166:167], v[178:179], v[186:187], -v[166:167]
	v_mul_f64 v[178:179], v[178:179], v[168:169]
	v_add_f64 v[14:15], v[14:15], -v[166:167]
	v_fma_f64 v[178:179], v[180:181], v[186:187], v[178:179]
	v_add_f64 v[16:17], v[16:17], -v[178:179]
	ds_read2_b64 v[178:181], v1 offset0:82 offset1:83
	s_waitcnt lgkmcnt(0)
	v_mul_f64 v[166:167], v[180:181], v[168:169]
	v_fma_f64 v[166:167], v[178:179], v[186:187], -v[166:167]
	v_mul_f64 v[178:179], v[178:179], v[168:169]
	v_add_f64 v[10:11], v[10:11], -v[166:167]
	v_fma_f64 v[178:179], v[180:181], v[186:187], v[178:179]
	v_add_f64 v[12:13], v[12:13], -v[178:179]
	ds_read2_b64 v[178:181], v1 offset0:84 offset1:85
	s_waitcnt lgkmcnt(0)
	v_mul_f64 v[166:167], v[180:181], v[168:169]
	v_fma_f64 v[166:167], v[178:179], v[186:187], -v[166:167]
	v_mul_f64 v[178:179], v[178:179], v[168:169]
	v_add_f64 v[6:7], v[6:7], -v[166:167]
	v_fma_f64 v[178:179], v[180:181], v[186:187], v[178:179]
	v_add_f64 v[8:9], v[8:9], -v[178:179]
	ds_read2_b64 v[178:181], v1 offset0:86 offset1:87
	s_waitcnt lgkmcnt(0)
	v_mul_f64 v[166:167], v[180:181], v[168:169]
	v_fma_f64 v[166:167], v[178:179], v[186:187], -v[166:167]
	v_mul_f64 v[178:179], v[178:179], v[168:169]
	v_add_f64 v[2:3], v[2:3], -v[166:167]
	v_fma_f64 v[178:179], v[180:181], v[186:187], v[178:179]
	v_mov_b32_e32 v166, v186
	v_mov_b32_e32 v167, v187
	v_add_f64 v[4:5], v[4:5], -v[178:179]
.LBB86_62:
	s_or_b32 exec_lo, exec_lo, s0
	v_lshl_add_u32 v178, v192, 4, v1
	s_barrier
	buffer_gl0_inv
	v_mov_b32_e32 v186, 3
	ds_write2_b64 v178, v[162:163], v[164:165] offset1:1
	s_waitcnt lgkmcnt(0)
	s_barrier
	buffer_gl0_inv
	ds_read2_b64 v[178:181], v1 offset0:6 offset1:7
	s_cmp_lt_i32 s18, 5
	s_mov_b32 s1, 4
	s_cbranch_scc1 .LBB86_65
; %bb.63:
	v_add3_u32 v187, v188, 0, 64
	v_mov_b32_e32 v186, 3
	s_inst_prefetch 0x1
	.p2align	6
.LBB86_64:                              ; =>This Inner Loop Header: Depth=1
	s_waitcnt lgkmcnt(0)
	v_cmp_gt_f64_e32 vcc_lo, 0, v[180:181]
	v_cmp_gt_f64_e64 s0, 0, v[178:179]
	ds_read2_b64 v[193:196], v187 offset1:1
	v_xor_b32_e32 v198, 0x80000000, v179
	v_xor_b32_e32 v200, 0x80000000, v181
	v_mov_b32_e32 v197, v178
	v_mov_b32_e32 v199, v180
	v_add_nc_u32_e32 v187, 16, v187
	s_waitcnt lgkmcnt(0)
	v_xor_b32_e32 v202, 0x80000000, v196
	v_cndmask_b32_e64 v198, v179, v198, s0
	v_cndmask_b32_e32 v200, v181, v200, vcc_lo
	v_cmp_gt_f64_e32 vcc_lo, 0, v[195:196]
	v_cmp_gt_f64_e64 s0, 0, v[193:194]
	v_mov_b32_e32 v201, v195
	v_add_f64 v[197:198], v[197:198], v[199:200]
	v_xor_b32_e32 v200, 0x80000000, v194
	v_mov_b32_e32 v199, v193
	v_cndmask_b32_e32 v202, v196, v202, vcc_lo
	v_cndmask_b32_e64 v200, v194, v200, s0
	v_add_f64 v[199:200], v[199:200], v[201:202]
	v_cmp_lt_f64_e32 vcc_lo, v[197:198], v[199:200]
	v_cndmask_b32_e32 v179, v179, v194, vcc_lo
	v_cndmask_b32_e32 v178, v178, v193, vcc_lo
	;; [unrolled: 1-line block ×4, first 2 shown]
	v_cndmask_b32_e64 v186, v186, s1, vcc_lo
	s_add_i32 s1, s1, 1
	s_cmp_lg_u32 s18, s1
	s_cbranch_scc1 .LBB86_64
.LBB86_65:
	s_inst_prefetch 0x2
	s_waitcnt lgkmcnt(0)
	v_cmp_eq_f64_e32 vcc_lo, 0, v[178:179]
	v_cmp_eq_f64_e64 s0, 0, v[180:181]
	s_and_b32 s0, vcc_lo, s0
	s_and_saveexec_b32 s1, s0
	s_xor_b32 s0, exec_lo, s1
; %bb.66:
	v_cmp_ne_u32_e32 vcc_lo, 0, v191
	v_cndmask_b32_e32 v191, 4, v191, vcc_lo
; %bb.67:
	s_andn2_saveexec_b32 s0, s0
	s_cbranch_execz .LBB86_73
; %bb.68:
	v_cmp_ngt_f64_e64 s1, |v[178:179]|, |v[180:181]|
	s_and_saveexec_b32 s2, s1
	s_xor_b32 s1, exec_lo, s2
	s_cbranch_execz .LBB86_70
; %bb.69:
	v_div_scale_f64 v[193:194], null, v[180:181], v[180:181], v[178:179]
	v_div_scale_f64 v[199:200], vcc_lo, v[178:179], v[180:181], v[178:179]
	v_rcp_f64_e32 v[195:196], v[193:194]
	v_fma_f64 v[197:198], -v[193:194], v[195:196], 1.0
	v_fma_f64 v[195:196], v[195:196], v[197:198], v[195:196]
	v_fma_f64 v[197:198], -v[193:194], v[195:196], 1.0
	v_fma_f64 v[195:196], v[195:196], v[197:198], v[195:196]
	v_mul_f64 v[197:198], v[199:200], v[195:196]
	v_fma_f64 v[193:194], -v[193:194], v[197:198], v[199:200]
	v_div_fmas_f64 v[193:194], v[193:194], v[195:196], v[197:198]
	v_div_fixup_f64 v[193:194], v[193:194], v[180:181], v[178:179]
	v_fma_f64 v[178:179], v[178:179], v[193:194], v[180:181]
	v_div_scale_f64 v[180:181], null, v[178:179], v[178:179], 1.0
	v_rcp_f64_e32 v[195:196], v[180:181]
	v_fma_f64 v[197:198], -v[180:181], v[195:196], 1.0
	v_fma_f64 v[195:196], v[195:196], v[197:198], v[195:196]
	v_fma_f64 v[197:198], -v[180:181], v[195:196], 1.0
	v_fma_f64 v[195:196], v[195:196], v[197:198], v[195:196]
	v_div_scale_f64 v[197:198], vcc_lo, 1.0, v[178:179], 1.0
	v_mul_f64 v[199:200], v[197:198], v[195:196]
	v_fma_f64 v[180:181], -v[180:181], v[199:200], v[197:198]
	v_div_fmas_f64 v[180:181], v[180:181], v[195:196], v[199:200]
	v_div_fixup_f64 v[180:181], v[180:181], v[178:179], 1.0
	v_mul_f64 v[178:179], v[193:194], v[180:181]
	v_xor_b32_e32 v181, 0x80000000, v181
.LBB86_70:
	s_andn2_saveexec_b32 s1, s1
	s_cbranch_execz .LBB86_72
; %bb.71:
	v_div_scale_f64 v[193:194], null, v[178:179], v[178:179], v[180:181]
	v_div_scale_f64 v[199:200], vcc_lo, v[180:181], v[178:179], v[180:181]
	v_rcp_f64_e32 v[195:196], v[193:194]
	v_fma_f64 v[197:198], -v[193:194], v[195:196], 1.0
	v_fma_f64 v[195:196], v[195:196], v[197:198], v[195:196]
	v_fma_f64 v[197:198], -v[193:194], v[195:196], 1.0
	v_fma_f64 v[195:196], v[195:196], v[197:198], v[195:196]
	v_mul_f64 v[197:198], v[199:200], v[195:196]
	v_fma_f64 v[193:194], -v[193:194], v[197:198], v[199:200]
	v_div_fmas_f64 v[193:194], v[193:194], v[195:196], v[197:198]
	v_div_fixup_f64 v[193:194], v[193:194], v[178:179], v[180:181]
	v_fma_f64 v[178:179], v[180:181], v[193:194], v[178:179]
	v_div_scale_f64 v[180:181], null, v[178:179], v[178:179], 1.0
	v_rcp_f64_e32 v[195:196], v[180:181]
	v_fma_f64 v[197:198], -v[180:181], v[195:196], 1.0
	v_fma_f64 v[195:196], v[195:196], v[197:198], v[195:196]
	v_fma_f64 v[197:198], -v[180:181], v[195:196], 1.0
	v_fma_f64 v[195:196], v[195:196], v[197:198], v[195:196]
	v_div_scale_f64 v[197:198], vcc_lo, 1.0, v[178:179], 1.0
	v_mul_f64 v[199:200], v[197:198], v[195:196]
	v_fma_f64 v[180:181], -v[180:181], v[199:200], v[197:198]
	v_div_fmas_f64 v[180:181], v[180:181], v[195:196], v[199:200]
	v_div_fixup_f64 v[178:179], v[180:181], v[178:179], 1.0
	v_mul_f64 v[180:181], v[193:194], -v[178:179]
.LBB86_72:
	s_or_b32 exec_lo, exec_lo, s1
.LBB86_73:
	s_or_b32 exec_lo, exec_lo, s0
	s_mov_b32 s0, exec_lo
	v_cmpx_ne_u32_e64 v192, v186
	s_xor_b32 s0, exec_lo, s0
	s_cbranch_execz .LBB86_79
; %bb.74:
	s_mov_b32 s1, exec_lo
	v_cmpx_eq_u32_e32 3, v192
	s_cbranch_execz .LBB86_78
; %bb.75:
	v_cmp_ne_u32_e32 vcc_lo, 3, v186
	s_xor_b32 s2, s16, -1
	s_and_b32 s3, s2, vcc_lo
	s_and_saveexec_b32 s2, s3
	s_cbranch_execz .LBB86_77
; %bb.76:
	v_ashrrev_i32_e32 v187, 31, v186
	v_lshlrev_b64 v[192:193], 2, v[186:187]
	v_add_co_u32 v192, vcc_lo, v184, v192
	v_add_co_ci_u32_e64 v193, null, v185, v193, vcc_lo
	s_clause 0x1
	global_load_dword v0, v[192:193], off
	global_load_dword v187, v[184:185], off offset:12
	s_waitcnt vmcnt(1)
	global_store_dword v[184:185], v0, off offset:12
	s_waitcnt vmcnt(0)
	global_store_dword v[192:193], v187, off
.LBB86_77:
	s_or_b32 exec_lo, exec_lo, s2
	v_mov_b32_e32 v192, v186
	v_mov_b32_e32 v0, v186
.LBB86_78:
	s_or_b32 exec_lo, exec_lo, s1
.LBB86_79:
	s_andn2_saveexec_b32 s0, s0
	s_cbranch_execz .LBB86_81
; %bb.80:
	v_mov_b32_e32 v192, 3
	ds_write2_b64 v1, v[158:159], v[160:161] offset0:8 offset1:9
	ds_write2_b64 v1, v[154:155], v[156:157] offset0:10 offset1:11
	;; [unrolled: 1-line block ×40, first 2 shown]
.LBB86_81:
	s_or_b32 exec_lo, exec_lo, s0
	s_mov_b32 s0, exec_lo
	s_waitcnt lgkmcnt(0)
	s_waitcnt_vscnt null, 0x0
	s_barrier
	buffer_gl0_inv
	v_cmpx_lt_i32_e32 3, v192
	s_cbranch_execz .LBB86_83
; %bb.82:
	v_mul_f64 v[186:187], v[180:181], v[164:165]
	v_mul_f64 v[164:165], v[178:179], v[164:165]
	v_fma_f64 v[186:187], v[178:179], v[162:163], -v[186:187]
	v_fma_f64 v[164:165], v[180:181], v[162:163], v[164:165]
	ds_read2_b64 v[178:181], v1 offset0:8 offset1:9
	s_waitcnt lgkmcnt(0)
	v_mul_f64 v[162:163], v[180:181], v[164:165]
	v_fma_f64 v[162:163], v[178:179], v[186:187], -v[162:163]
	v_mul_f64 v[178:179], v[178:179], v[164:165]
	v_add_f64 v[158:159], v[158:159], -v[162:163]
	v_fma_f64 v[178:179], v[180:181], v[186:187], v[178:179]
	v_add_f64 v[160:161], v[160:161], -v[178:179]
	ds_read2_b64 v[178:181], v1 offset0:10 offset1:11
	s_waitcnt lgkmcnt(0)
	v_mul_f64 v[162:163], v[180:181], v[164:165]
	v_fma_f64 v[162:163], v[178:179], v[186:187], -v[162:163]
	v_mul_f64 v[178:179], v[178:179], v[164:165]
	v_add_f64 v[154:155], v[154:155], -v[162:163]
	v_fma_f64 v[178:179], v[180:181], v[186:187], v[178:179]
	v_add_f64 v[156:157], v[156:157], -v[178:179]
	;; [unrolled: 8-line block ×39, first 2 shown]
	ds_read2_b64 v[178:181], v1 offset0:86 offset1:87
	s_waitcnt lgkmcnt(0)
	v_mul_f64 v[162:163], v[180:181], v[164:165]
	v_fma_f64 v[162:163], v[178:179], v[186:187], -v[162:163]
	v_mul_f64 v[178:179], v[178:179], v[164:165]
	v_add_f64 v[2:3], v[2:3], -v[162:163]
	v_fma_f64 v[178:179], v[180:181], v[186:187], v[178:179]
	v_mov_b32_e32 v162, v186
	v_mov_b32_e32 v163, v187
	v_add_f64 v[4:5], v[4:5], -v[178:179]
.LBB86_83:
	s_or_b32 exec_lo, exec_lo, s0
	v_lshl_add_u32 v178, v192, 4, v1
	s_barrier
	buffer_gl0_inv
	v_mov_b32_e32 v186, 4
	ds_write2_b64 v178, v[158:159], v[160:161] offset1:1
	s_waitcnt lgkmcnt(0)
	s_barrier
	buffer_gl0_inv
	ds_read2_b64 v[178:181], v1 offset0:8 offset1:9
	s_cmp_lt_i32 s18, 6
	s_cbranch_scc1 .LBB86_86
; %bb.84:
	v_mov_b32_e32 v186, 4
	v_add3_u32 v187, v188, 0, 0x50
	s_mov_b32 s1, 5
	s_inst_prefetch 0x1
	.p2align	6
.LBB86_85:                              ; =>This Inner Loop Header: Depth=1
	s_waitcnt lgkmcnt(0)
	v_cmp_gt_f64_e32 vcc_lo, 0, v[180:181]
	v_cmp_gt_f64_e64 s0, 0, v[178:179]
	ds_read2_b64 v[193:196], v187 offset1:1
	v_xor_b32_e32 v198, 0x80000000, v179
	v_xor_b32_e32 v200, 0x80000000, v181
	v_mov_b32_e32 v197, v178
	v_mov_b32_e32 v199, v180
	v_add_nc_u32_e32 v187, 16, v187
	s_waitcnt lgkmcnt(0)
	v_xor_b32_e32 v202, 0x80000000, v196
	v_cndmask_b32_e64 v198, v179, v198, s0
	v_cndmask_b32_e32 v200, v181, v200, vcc_lo
	v_cmp_gt_f64_e32 vcc_lo, 0, v[195:196]
	v_cmp_gt_f64_e64 s0, 0, v[193:194]
	v_mov_b32_e32 v201, v195
	v_add_f64 v[197:198], v[197:198], v[199:200]
	v_xor_b32_e32 v200, 0x80000000, v194
	v_mov_b32_e32 v199, v193
	v_cndmask_b32_e32 v202, v196, v202, vcc_lo
	v_cndmask_b32_e64 v200, v194, v200, s0
	v_add_f64 v[199:200], v[199:200], v[201:202]
	v_cmp_lt_f64_e32 vcc_lo, v[197:198], v[199:200]
	v_cndmask_b32_e32 v179, v179, v194, vcc_lo
	v_cndmask_b32_e32 v178, v178, v193, vcc_lo
	;; [unrolled: 1-line block ×4, first 2 shown]
	v_cndmask_b32_e64 v186, v186, s1, vcc_lo
	s_add_i32 s1, s1, 1
	s_cmp_lg_u32 s18, s1
	s_cbranch_scc1 .LBB86_85
.LBB86_86:
	s_inst_prefetch 0x2
	s_waitcnt lgkmcnt(0)
	v_cmp_eq_f64_e32 vcc_lo, 0, v[178:179]
	v_cmp_eq_f64_e64 s0, 0, v[180:181]
	s_and_b32 s0, vcc_lo, s0
	s_and_saveexec_b32 s1, s0
	s_xor_b32 s0, exec_lo, s1
; %bb.87:
	v_cmp_ne_u32_e32 vcc_lo, 0, v191
	v_cndmask_b32_e32 v191, 5, v191, vcc_lo
; %bb.88:
	s_andn2_saveexec_b32 s0, s0
	s_cbranch_execz .LBB86_94
; %bb.89:
	v_cmp_ngt_f64_e64 s1, |v[178:179]|, |v[180:181]|
	s_and_saveexec_b32 s2, s1
	s_xor_b32 s1, exec_lo, s2
	s_cbranch_execz .LBB86_91
; %bb.90:
	v_div_scale_f64 v[193:194], null, v[180:181], v[180:181], v[178:179]
	v_div_scale_f64 v[199:200], vcc_lo, v[178:179], v[180:181], v[178:179]
	v_rcp_f64_e32 v[195:196], v[193:194]
	v_fma_f64 v[197:198], -v[193:194], v[195:196], 1.0
	v_fma_f64 v[195:196], v[195:196], v[197:198], v[195:196]
	v_fma_f64 v[197:198], -v[193:194], v[195:196], 1.0
	v_fma_f64 v[195:196], v[195:196], v[197:198], v[195:196]
	v_mul_f64 v[197:198], v[199:200], v[195:196]
	v_fma_f64 v[193:194], -v[193:194], v[197:198], v[199:200]
	v_div_fmas_f64 v[193:194], v[193:194], v[195:196], v[197:198]
	v_div_fixup_f64 v[193:194], v[193:194], v[180:181], v[178:179]
	v_fma_f64 v[178:179], v[178:179], v[193:194], v[180:181]
	v_div_scale_f64 v[180:181], null, v[178:179], v[178:179], 1.0
	v_rcp_f64_e32 v[195:196], v[180:181]
	v_fma_f64 v[197:198], -v[180:181], v[195:196], 1.0
	v_fma_f64 v[195:196], v[195:196], v[197:198], v[195:196]
	v_fma_f64 v[197:198], -v[180:181], v[195:196], 1.0
	v_fma_f64 v[195:196], v[195:196], v[197:198], v[195:196]
	v_div_scale_f64 v[197:198], vcc_lo, 1.0, v[178:179], 1.0
	v_mul_f64 v[199:200], v[197:198], v[195:196]
	v_fma_f64 v[180:181], -v[180:181], v[199:200], v[197:198]
	v_div_fmas_f64 v[180:181], v[180:181], v[195:196], v[199:200]
	v_div_fixup_f64 v[180:181], v[180:181], v[178:179], 1.0
	v_mul_f64 v[178:179], v[193:194], v[180:181]
	v_xor_b32_e32 v181, 0x80000000, v181
.LBB86_91:
	s_andn2_saveexec_b32 s1, s1
	s_cbranch_execz .LBB86_93
; %bb.92:
	v_div_scale_f64 v[193:194], null, v[178:179], v[178:179], v[180:181]
	v_div_scale_f64 v[199:200], vcc_lo, v[180:181], v[178:179], v[180:181]
	v_rcp_f64_e32 v[195:196], v[193:194]
	v_fma_f64 v[197:198], -v[193:194], v[195:196], 1.0
	v_fma_f64 v[195:196], v[195:196], v[197:198], v[195:196]
	v_fma_f64 v[197:198], -v[193:194], v[195:196], 1.0
	v_fma_f64 v[195:196], v[195:196], v[197:198], v[195:196]
	v_mul_f64 v[197:198], v[199:200], v[195:196]
	v_fma_f64 v[193:194], -v[193:194], v[197:198], v[199:200]
	v_div_fmas_f64 v[193:194], v[193:194], v[195:196], v[197:198]
	v_div_fixup_f64 v[193:194], v[193:194], v[178:179], v[180:181]
	v_fma_f64 v[178:179], v[180:181], v[193:194], v[178:179]
	v_div_scale_f64 v[180:181], null, v[178:179], v[178:179], 1.0
	v_rcp_f64_e32 v[195:196], v[180:181]
	v_fma_f64 v[197:198], -v[180:181], v[195:196], 1.0
	v_fma_f64 v[195:196], v[195:196], v[197:198], v[195:196]
	v_fma_f64 v[197:198], -v[180:181], v[195:196], 1.0
	v_fma_f64 v[195:196], v[195:196], v[197:198], v[195:196]
	v_div_scale_f64 v[197:198], vcc_lo, 1.0, v[178:179], 1.0
	v_mul_f64 v[199:200], v[197:198], v[195:196]
	v_fma_f64 v[180:181], -v[180:181], v[199:200], v[197:198]
	v_div_fmas_f64 v[180:181], v[180:181], v[195:196], v[199:200]
	v_div_fixup_f64 v[178:179], v[180:181], v[178:179], 1.0
	v_mul_f64 v[180:181], v[193:194], -v[178:179]
.LBB86_93:
	s_or_b32 exec_lo, exec_lo, s1
.LBB86_94:
	s_or_b32 exec_lo, exec_lo, s0
	s_mov_b32 s0, exec_lo
	v_cmpx_ne_u32_e64 v192, v186
	s_xor_b32 s0, exec_lo, s0
	s_cbranch_execz .LBB86_100
; %bb.95:
	s_mov_b32 s1, exec_lo
	v_cmpx_eq_u32_e32 4, v192
	s_cbranch_execz .LBB86_99
; %bb.96:
	v_cmp_ne_u32_e32 vcc_lo, 4, v186
	s_xor_b32 s2, s16, -1
	s_and_b32 s3, s2, vcc_lo
	s_and_saveexec_b32 s2, s3
	s_cbranch_execz .LBB86_98
; %bb.97:
	v_ashrrev_i32_e32 v187, 31, v186
	v_lshlrev_b64 v[192:193], 2, v[186:187]
	v_add_co_u32 v192, vcc_lo, v184, v192
	v_add_co_ci_u32_e64 v193, null, v185, v193, vcc_lo
	s_clause 0x1
	global_load_dword v0, v[192:193], off
	global_load_dword v187, v[184:185], off offset:16
	s_waitcnt vmcnt(1)
	global_store_dword v[184:185], v0, off offset:16
	s_waitcnt vmcnt(0)
	global_store_dword v[192:193], v187, off
.LBB86_98:
	s_or_b32 exec_lo, exec_lo, s2
	v_mov_b32_e32 v192, v186
	v_mov_b32_e32 v0, v186
.LBB86_99:
	s_or_b32 exec_lo, exec_lo, s1
.LBB86_100:
	s_andn2_saveexec_b32 s0, s0
	s_cbranch_execz .LBB86_102
; %bb.101:
	v_mov_b32_e32 v192, 4
	ds_write2_b64 v1, v[154:155], v[156:157] offset0:10 offset1:11
	ds_write2_b64 v1, v[150:151], v[152:153] offset0:12 offset1:13
	;; [unrolled: 1-line block ×39, first 2 shown]
.LBB86_102:
	s_or_b32 exec_lo, exec_lo, s0
	s_mov_b32 s0, exec_lo
	s_waitcnt lgkmcnt(0)
	s_waitcnt_vscnt null, 0x0
	s_barrier
	buffer_gl0_inv
	v_cmpx_lt_i32_e32 4, v192
	s_cbranch_execz .LBB86_104
; %bb.103:
	v_mul_f64 v[186:187], v[180:181], v[160:161]
	v_mul_f64 v[160:161], v[178:179], v[160:161]
	v_fma_f64 v[186:187], v[178:179], v[158:159], -v[186:187]
	v_fma_f64 v[160:161], v[180:181], v[158:159], v[160:161]
	ds_read2_b64 v[178:181], v1 offset0:10 offset1:11
	s_waitcnt lgkmcnt(0)
	v_mul_f64 v[158:159], v[180:181], v[160:161]
	v_fma_f64 v[158:159], v[178:179], v[186:187], -v[158:159]
	v_mul_f64 v[178:179], v[178:179], v[160:161]
	v_add_f64 v[154:155], v[154:155], -v[158:159]
	v_fma_f64 v[178:179], v[180:181], v[186:187], v[178:179]
	v_add_f64 v[156:157], v[156:157], -v[178:179]
	ds_read2_b64 v[178:181], v1 offset0:12 offset1:13
	s_waitcnt lgkmcnt(0)
	v_mul_f64 v[158:159], v[180:181], v[160:161]
	v_fma_f64 v[158:159], v[178:179], v[186:187], -v[158:159]
	v_mul_f64 v[178:179], v[178:179], v[160:161]
	v_add_f64 v[150:151], v[150:151], -v[158:159]
	v_fma_f64 v[178:179], v[180:181], v[186:187], v[178:179]
	v_add_f64 v[152:153], v[152:153], -v[178:179]
	;; [unrolled: 8-line block ×38, first 2 shown]
	ds_read2_b64 v[178:181], v1 offset0:86 offset1:87
	s_waitcnt lgkmcnt(0)
	v_mul_f64 v[158:159], v[180:181], v[160:161]
	v_fma_f64 v[158:159], v[178:179], v[186:187], -v[158:159]
	v_mul_f64 v[178:179], v[178:179], v[160:161]
	v_add_f64 v[2:3], v[2:3], -v[158:159]
	v_fma_f64 v[178:179], v[180:181], v[186:187], v[178:179]
	v_mov_b32_e32 v158, v186
	v_mov_b32_e32 v159, v187
	v_add_f64 v[4:5], v[4:5], -v[178:179]
.LBB86_104:
	s_or_b32 exec_lo, exec_lo, s0
	v_lshl_add_u32 v178, v192, 4, v1
	s_barrier
	buffer_gl0_inv
	v_mov_b32_e32 v186, 5
	ds_write2_b64 v178, v[154:155], v[156:157] offset1:1
	s_waitcnt lgkmcnt(0)
	s_barrier
	buffer_gl0_inv
	ds_read2_b64 v[178:181], v1 offset0:10 offset1:11
	s_cmp_lt_i32 s18, 7
	s_cbranch_scc1 .LBB86_107
; %bb.105:
	v_add3_u32 v187, v188, 0, 0x60
	v_mov_b32_e32 v186, 5
	s_mov_b32 s1, 6
	s_inst_prefetch 0x1
	.p2align	6
.LBB86_106:                             ; =>This Inner Loop Header: Depth=1
	s_waitcnt lgkmcnt(0)
	v_cmp_gt_f64_e32 vcc_lo, 0, v[180:181]
	v_cmp_gt_f64_e64 s0, 0, v[178:179]
	ds_read2_b64 v[193:196], v187 offset1:1
	v_xor_b32_e32 v198, 0x80000000, v179
	v_xor_b32_e32 v200, 0x80000000, v181
	v_mov_b32_e32 v197, v178
	v_mov_b32_e32 v199, v180
	v_add_nc_u32_e32 v187, 16, v187
	s_waitcnt lgkmcnt(0)
	v_xor_b32_e32 v202, 0x80000000, v196
	v_cndmask_b32_e64 v198, v179, v198, s0
	v_cndmask_b32_e32 v200, v181, v200, vcc_lo
	v_cmp_gt_f64_e32 vcc_lo, 0, v[195:196]
	v_cmp_gt_f64_e64 s0, 0, v[193:194]
	v_mov_b32_e32 v201, v195
	v_add_f64 v[197:198], v[197:198], v[199:200]
	v_xor_b32_e32 v200, 0x80000000, v194
	v_mov_b32_e32 v199, v193
	v_cndmask_b32_e32 v202, v196, v202, vcc_lo
	v_cndmask_b32_e64 v200, v194, v200, s0
	v_add_f64 v[199:200], v[199:200], v[201:202]
	v_cmp_lt_f64_e32 vcc_lo, v[197:198], v[199:200]
	v_cndmask_b32_e32 v179, v179, v194, vcc_lo
	v_cndmask_b32_e32 v178, v178, v193, vcc_lo
	;; [unrolled: 1-line block ×4, first 2 shown]
	v_cndmask_b32_e64 v186, v186, s1, vcc_lo
	s_add_i32 s1, s1, 1
	s_cmp_lg_u32 s18, s1
	s_cbranch_scc1 .LBB86_106
.LBB86_107:
	s_inst_prefetch 0x2
	s_waitcnt lgkmcnt(0)
	v_cmp_eq_f64_e32 vcc_lo, 0, v[178:179]
	v_cmp_eq_f64_e64 s0, 0, v[180:181]
	s_and_b32 s0, vcc_lo, s0
	s_and_saveexec_b32 s1, s0
	s_xor_b32 s0, exec_lo, s1
; %bb.108:
	v_cmp_ne_u32_e32 vcc_lo, 0, v191
	v_cndmask_b32_e32 v191, 6, v191, vcc_lo
; %bb.109:
	s_andn2_saveexec_b32 s0, s0
	s_cbranch_execz .LBB86_115
; %bb.110:
	v_cmp_ngt_f64_e64 s1, |v[178:179]|, |v[180:181]|
	s_and_saveexec_b32 s2, s1
	s_xor_b32 s1, exec_lo, s2
	s_cbranch_execz .LBB86_112
; %bb.111:
	v_div_scale_f64 v[193:194], null, v[180:181], v[180:181], v[178:179]
	v_div_scale_f64 v[199:200], vcc_lo, v[178:179], v[180:181], v[178:179]
	v_rcp_f64_e32 v[195:196], v[193:194]
	v_fma_f64 v[197:198], -v[193:194], v[195:196], 1.0
	v_fma_f64 v[195:196], v[195:196], v[197:198], v[195:196]
	v_fma_f64 v[197:198], -v[193:194], v[195:196], 1.0
	v_fma_f64 v[195:196], v[195:196], v[197:198], v[195:196]
	v_mul_f64 v[197:198], v[199:200], v[195:196]
	v_fma_f64 v[193:194], -v[193:194], v[197:198], v[199:200]
	v_div_fmas_f64 v[193:194], v[193:194], v[195:196], v[197:198]
	v_div_fixup_f64 v[193:194], v[193:194], v[180:181], v[178:179]
	v_fma_f64 v[178:179], v[178:179], v[193:194], v[180:181]
	v_div_scale_f64 v[180:181], null, v[178:179], v[178:179], 1.0
	v_rcp_f64_e32 v[195:196], v[180:181]
	v_fma_f64 v[197:198], -v[180:181], v[195:196], 1.0
	v_fma_f64 v[195:196], v[195:196], v[197:198], v[195:196]
	v_fma_f64 v[197:198], -v[180:181], v[195:196], 1.0
	v_fma_f64 v[195:196], v[195:196], v[197:198], v[195:196]
	v_div_scale_f64 v[197:198], vcc_lo, 1.0, v[178:179], 1.0
	v_mul_f64 v[199:200], v[197:198], v[195:196]
	v_fma_f64 v[180:181], -v[180:181], v[199:200], v[197:198]
	v_div_fmas_f64 v[180:181], v[180:181], v[195:196], v[199:200]
	v_div_fixup_f64 v[180:181], v[180:181], v[178:179], 1.0
	v_mul_f64 v[178:179], v[193:194], v[180:181]
	v_xor_b32_e32 v181, 0x80000000, v181
.LBB86_112:
	s_andn2_saveexec_b32 s1, s1
	s_cbranch_execz .LBB86_114
; %bb.113:
	v_div_scale_f64 v[193:194], null, v[178:179], v[178:179], v[180:181]
	v_div_scale_f64 v[199:200], vcc_lo, v[180:181], v[178:179], v[180:181]
	v_rcp_f64_e32 v[195:196], v[193:194]
	v_fma_f64 v[197:198], -v[193:194], v[195:196], 1.0
	v_fma_f64 v[195:196], v[195:196], v[197:198], v[195:196]
	v_fma_f64 v[197:198], -v[193:194], v[195:196], 1.0
	v_fma_f64 v[195:196], v[195:196], v[197:198], v[195:196]
	v_mul_f64 v[197:198], v[199:200], v[195:196]
	v_fma_f64 v[193:194], -v[193:194], v[197:198], v[199:200]
	v_div_fmas_f64 v[193:194], v[193:194], v[195:196], v[197:198]
	v_div_fixup_f64 v[193:194], v[193:194], v[178:179], v[180:181]
	v_fma_f64 v[178:179], v[180:181], v[193:194], v[178:179]
	v_div_scale_f64 v[180:181], null, v[178:179], v[178:179], 1.0
	v_rcp_f64_e32 v[195:196], v[180:181]
	v_fma_f64 v[197:198], -v[180:181], v[195:196], 1.0
	v_fma_f64 v[195:196], v[195:196], v[197:198], v[195:196]
	v_fma_f64 v[197:198], -v[180:181], v[195:196], 1.0
	v_fma_f64 v[195:196], v[195:196], v[197:198], v[195:196]
	v_div_scale_f64 v[197:198], vcc_lo, 1.0, v[178:179], 1.0
	v_mul_f64 v[199:200], v[197:198], v[195:196]
	v_fma_f64 v[180:181], -v[180:181], v[199:200], v[197:198]
	v_div_fmas_f64 v[180:181], v[180:181], v[195:196], v[199:200]
	v_div_fixup_f64 v[178:179], v[180:181], v[178:179], 1.0
	v_mul_f64 v[180:181], v[193:194], -v[178:179]
.LBB86_114:
	s_or_b32 exec_lo, exec_lo, s1
.LBB86_115:
	s_or_b32 exec_lo, exec_lo, s0
	s_mov_b32 s0, exec_lo
	v_cmpx_ne_u32_e64 v192, v186
	s_xor_b32 s0, exec_lo, s0
	s_cbranch_execz .LBB86_121
; %bb.116:
	s_mov_b32 s1, exec_lo
	v_cmpx_eq_u32_e32 5, v192
	s_cbranch_execz .LBB86_120
; %bb.117:
	v_cmp_ne_u32_e32 vcc_lo, 5, v186
	s_xor_b32 s2, s16, -1
	s_and_b32 s3, s2, vcc_lo
	s_and_saveexec_b32 s2, s3
	s_cbranch_execz .LBB86_119
; %bb.118:
	v_ashrrev_i32_e32 v187, 31, v186
	v_lshlrev_b64 v[192:193], 2, v[186:187]
	v_add_co_u32 v192, vcc_lo, v184, v192
	v_add_co_ci_u32_e64 v193, null, v185, v193, vcc_lo
	s_clause 0x1
	global_load_dword v0, v[192:193], off
	global_load_dword v187, v[184:185], off offset:20
	s_waitcnt vmcnt(1)
	global_store_dword v[184:185], v0, off offset:20
	s_waitcnt vmcnt(0)
	global_store_dword v[192:193], v187, off
.LBB86_119:
	s_or_b32 exec_lo, exec_lo, s2
	v_mov_b32_e32 v192, v186
	v_mov_b32_e32 v0, v186
.LBB86_120:
	s_or_b32 exec_lo, exec_lo, s1
.LBB86_121:
	s_andn2_saveexec_b32 s0, s0
	s_cbranch_execz .LBB86_123
; %bb.122:
	v_mov_b32_e32 v192, 5
	ds_write2_b64 v1, v[150:151], v[152:153] offset0:12 offset1:13
	ds_write2_b64 v1, v[146:147], v[148:149] offset0:14 offset1:15
	;; [unrolled: 1-line block ×38, first 2 shown]
.LBB86_123:
	s_or_b32 exec_lo, exec_lo, s0
	s_mov_b32 s0, exec_lo
	s_waitcnt lgkmcnt(0)
	s_waitcnt_vscnt null, 0x0
	s_barrier
	buffer_gl0_inv
	v_cmpx_lt_i32_e32 5, v192
	s_cbranch_execz .LBB86_125
; %bb.124:
	v_mul_f64 v[186:187], v[180:181], v[156:157]
	v_mul_f64 v[156:157], v[178:179], v[156:157]
	v_fma_f64 v[186:187], v[178:179], v[154:155], -v[186:187]
	v_fma_f64 v[156:157], v[180:181], v[154:155], v[156:157]
	ds_read2_b64 v[178:181], v1 offset0:12 offset1:13
	s_waitcnt lgkmcnt(0)
	v_mul_f64 v[154:155], v[180:181], v[156:157]
	v_fma_f64 v[154:155], v[178:179], v[186:187], -v[154:155]
	v_mul_f64 v[178:179], v[178:179], v[156:157]
	v_add_f64 v[150:151], v[150:151], -v[154:155]
	v_fma_f64 v[178:179], v[180:181], v[186:187], v[178:179]
	v_add_f64 v[152:153], v[152:153], -v[178:179]
	ds_read2_b64 v[178:181], v1 offset0:14 offset1:15
	s_waitcnt lgkmcnt(0)
	v_mul_f64 v[154:155], v[180:181], v[156:157]
	v_fma_f64 v[154:155], v[178:179], v[186:187], -v[154:155]
	v_mul_f64 v[178:179], v[178:179], v[156:157]
	v_add_f64 v[146:147], v[146:147], -v[154:155]
	v_fma_f64 v[178:179], v[180:181], v[186:187], v[178:179]
	v_add_f64 v[148:149], v[148:149], -v[178:179]
	;; [unrolled: 8-line block ×37, first 2 shown]
	ds_read2_b64 v[178:181], v1 offset0:86 offset1:87
	s_waitcnt lgkmcnt(0)
	v_mul_f64 v[154:155], v[180:181], v[156:157]
	v_fma_f64 v[154:155], v[178:179], v[186:187], -v[154:155]
	v_mul_f64 v[178:179], v[178:179], v[156:157]
	v_add_f64 v[2:3], v[2:3], -v[154:155]
	v_fma_f64 v[178:179], v[180:181], v[186:187], v[178:179]
	v_mov_b32_e32 v154, v186
	v_mov_b32_e32 v155, v187
	v_add_f64 v[4:5], v[4:5], -v[178:179]
.LBB86_125:
	s_or_b32 exec_lo, exec_lo, s0
	v_lshl_add_u32 v178, v192, 4, v1
	s_barrier
	buffer_gl0_inv
	v_mov_b32_e32 v186, 6
	ds_write2_b64 v178, v[150:151], v[152:153] offset1:1
	s_waitcnt lgkmcnt(0)
	s_barrier
	buffer_gl0_inv
	ds_read2_b64 v[178:181], v1 offset0:12 offset1:13
	s_cmp_lt_i32 s18, 8
	s_cbranch_scc1 .LBB86_128
; %bb.126:
	v_add3_u32 v187, v188, 0, 0x70
	v_mov_b32_e32 v186, 6
	s_mov_b32 s1, 7
	s_inst_prefetch 0x1
	.p2align	6
.LBB86_127:                             ; =>This Inner Loop Header: Depth=1
	s_waitcnt lgkmcnt(0)
	v_cmp_gt_f64_e32 vcc_lo, 0, v[180:181]
	v_cmp_gt_f64_e64 s0, 0, v[178:179]
	ds_read2_b64 v[193:196], v187 offset1:1
	v_xor_b32_e32 v198, 0x80000000, v179
	v_xor_b32_e32 v200, 0x80000000, v181
	v_mov_b32_e32 v197, v178
	v_mov_b32_e32 v199, v180
	v_add_nc_u32_e32 v187, 16, v187
	s_waitcnt lgkmcnt(0)
	v_xor_b32_e32 v202, 0x80000000, v196
	v_cndmask_b32_e64 v198, v179, v198, s0
	v_cndmask_b32_e32 v200, v181, v200, vcc_lo
	v_cmp_gt_f64_e32 vcc_lo, 0, v[195:196]
	v_cmp_gt_f64_e64 s0, 0, v[193:194]
	v_mov_b32_e32 v201, v195
	v_add_f64 v[197:198], v[197:198], v[199:200]
	v_xor_b32_e32 v200, 0x80000000, v194
	v_mov_b32_e32 v199, v193
	v_cndmask_b32_e32 v202, v196, v202, vcc_lo
	v_cndmask_b32_e64 v200, v194, v200, s0
	v_add_f64 v[199:200], v[199:200], v[201:202]
	v_cmp_lt_f64_e32 vcc_lo, v[197:198], v[199:200]
	v_cndmask_b32_e32 v179, v179, v194, vcc_lo
	v_cndmask_b32_e32 v178, v178, v193, vcc_lo
	;; [unrolled: 1-line block ×4, first 2 shown]
	v_cndmask_b32_e64 v186, v186, s1, vcc_lo
	s_add_i32 s1, s1, 1
	s_cmp_lg_u32 s18, s1
	s_cbranch_scc1 .LBB86_127
.LBB86_128:
	s_inst_prefetch 0x2
	s_waitcnt lgkmcnt(0)
	v_cmp_eq_f64_e32 vcc_lo, 0, v[178:179]
	v_cmp_eq_f64_e64 s0, 0, v[180:181]
	s_and_b32 s0, vcc_lo, s0
	s_and_saveexec_b32 s1, s0
	s_xor_b32 s0, exec_lo, s1
; %bb.129:
	v_cmp_ne_u32_e32 vcc_lo, 0, v191
	v_cndmask_b32_e32 v191, 7, v191, vcc_lo
; %bb.130:
	s_andn2_saveexec_b32 s0, s0
	s_cbranch_execz .LBB86_136
; %bb.131:
	v_cmp_ngt_f64_e64 s1, |v[178:179]|, |v[180:181]|
	s_and_saveexec_b32 s2, s1
	s_xor_b32 s1, exec_lo, s2
	s_cbranch_execz .LBB86_133
; %bb.132:
	v_div_scale_f64 v[193:194], null, v[180:181], v[180:181], v[178:179]
	v_div_scale_f64 v[199:200], vcc_lo, v[178:179], v[180:181], v[178:179]
	v_rcp_f64_e32 v[195:196], v[193:194]
	v_fma_f64 v[197:198], -v[193:194], v[195:196], 1.0
	v_fma_f64 v[195:196], v[195:196], v[197:198], v[195:196]
	v_fma_f64 v[197:198], -v[193:194], v[195:196], 1.0
	v_fma_f64 v[195:196], v[195:196], v[197:198], v[195:196]
	v_mul_f64 v[197:198], v[199:200], v[195:196]
	v_fma_f64 v[193:194], -v[193:194], v[197:198], v[199:200]
	v_div_fmas_f64 v[193:194], v[193:194], v[195:196], v[197:198]
	v_div_fixup_f64 v[193:194], v[193:194], v[180:181], v[178:179]
	v_fma_f64 v[178:179], v[178:179], v[193:194], v[180:181]
	v_div_scale_f64 v[180:181], null, v[178:179], v[178:179], 1.0
	v_rcp_f64_e32 v[195:196], v[180:181]
	v_fma_f64 v[197:198], -v[180:181], v[195:196], 1.0
	v_fma_f64 v[195:196], v[195:196], v[197:198], v[195:196]
	v_fma_f64 v[197:198], -v[180:181], v[195:196], 1.0
	v_fma_f64 v[195:196], v[195:196], v[197:198], v[195:196]
	v_div_scale_f64 v[197:198], vcc_lo, 1.0, v[178:179], 1.0
	v_mul_f64 v[199:200], v[197:198], v[195:196]
	v_fma_f64 v[180:181], -v[180:181], v[199:200], v[197:198]
	v_div_fmas_f64 v[180:181], v[180:181], v[195:196], v[199:200]
	v_div_fixup_f64 v[180:181], v[180:181], v[178:179], 1.0
	v_mul_f64 v[178:179], v[193:194], v[180:181]
	v_xor_b32_e32 v181, 0x80000000, v181
.LBB86_133:
	s_andn2_saveexec_b32 s1, s1
	s_cbranch_execz .LBB86_135
; %bb.134:
	v_div_scale_f64 v[193:194], null, v[178:179], v[178:179], v[180:181]
	v_div_scale_f64 v[199:200], vcc_lo, v[180:181], v[178:179], v[180:181]
	v_rcp_f64_e32 v[195:196], v[193:194]
	v_fma_f64 v[197:198], -v[193:194], v[195:196], 1.0
	v_fma_f64 v[195:196], v[195:196], v[197:198], v[195:196]
	v_fma_f64 v[197:198], -v[193:194], v[195:196], 1.0
	v_fma_f64 v[195:196], v[195:196], v[197:198], v[195:196]
	v_mul_f64 v[197:198], v[199:200], v[195:196]
	v_fma_f64 v[193:194], -v[193:194], v[197:198], v[199:200]
	v_div_fmas_f64 v[193:194], v[193:194], v[195:196], v[197:198]
	v_div_fixup_f64 v[193:194], v[193:194], v[178:179], v[180:181]
	v_fma_f64 v[178:179], v[180:181], v[193:194], v[178:179]
	v_div_scale_f64 v[180:181], null, v[178:179], v[178:179], 1.0
	v_rcp_f64_e32 v[195:196], v[180:181]
	v_fma_f64 v[197:198], -v[180:181], v[195:196], 1.0
	v_fma_f64 v[195:196], v[195:196], v[197:198], v[195:196]
	v_fma_f64 v[197:198], -v[180:181], v[195:196], 1.0
	v_fma_f64 v[195:196], v[195:196], v[197:198], v[195:196]
	v_div_scale_f64 v[197:198], vcc_lo, 1.0, v[178:179], 1.0
	v_mul_f64 v[199:200], v[197:198], v[195:196]
	v_fma_f64 v[180:181], -v[180:181], v[199:200], v[197:198]
	v_div_fmas_f64 v[180:181], v[180:181], v[195:196], v[199:200]
	v_div_fixup_f64 v[178:179], v[180:181], v[178:179], 1.0
	v_mul_f64 v[180:181], v[193:194], -v[178:179]
.LBB86_135:
	s_or_b32 exec_lo, exec_lo, s1
.LBB86_136:
	s_or_b32 exec_lo, exec_lo, s0
	s_mov_b32 s0, exec_lo
	v_cmpx_ne_u32_e64 v192, v186
	s_xor_b32 s0, exec_lo, s0
	s_cbranch_execz .LBB86_142
; %bb.137:
	s_mov_b32 s1, exec_lo
	v_cmpx_eq_u32_e32 6, v192
	s_cbranch_execz .LBB86_141
; %bb.138:
	v_cmp_ne_u32_e32 vcc_lo, 6, v186
	s_xor_b32 s2, s16, -1
	s_and_b32 s3, s2, vcc_lo
	s_and_saveexec_b32 s2, s3
	s_cbranch_execz .LBB86_140
; %bb.139:
	v_ashrrev_i32_e32 v187, 31, v186
	v_lshlrev_b64 v[192:193], 2, v[186:187]
	v_add_co_u32 v192, vcc_lo, v184, v192
	v_add_co_ci_u32_e64 v193, null, v185, v193, vcc_lo
	s_clause 0x1
	global_load_dword v0, v[192:193], off
	global_load_dword v187, v[184:185], off offset:24
	s_waitcnt vmcnt(1)
	global_store_dword v[184:185], v0, off offset:24
	s_waitcnt vmcnt(0)
	global_store_dword v[192:193], v187, off
.LBB86_140:
	s_or_b32 exec_lo, exec_lo, s2
	v_mov_b32_e32 v192, v186
	v_mov_b32_e32 v0, v186
.LBB86_141:
	s_or_b32 exec_lo, exec_lo, s1
.LBB86_142:
	s_andn2_saveexec_b32 s0, s0
	s_cbranch_execz .LBB86_144
; %bb.143:
	v_mov_b32_e32 v192, 6
	ds_write2_b64 v1, v[146:147], v[148:149] offset0:14 offset1:15
	ds_write2_b64 v1, v[142:143], v[144:145] offset0:16 offset1:17
	;; [unrolled: 1-line block ×37, first 2 shown]
.LBB86_144:
	s_or_b32 exec_lo, exec_lo, s0
	s_mov_b32 s0, exec_lo
	s_waitcnt lgkmcnt(0)
	s_waitcnt_vscnt null, 0x0
	s_barrier
	buffer_gl0_inv
	v_cmpx_lt_i32_e32 6, v192
	s_cbranch_execz .LBB86_146
; %bb.145:
	v_mul_f64 v[186:187], v[180:181], v[152:153]
	v_mul_f64 v[152:153], v[178:179], v[152:153]
	v_fma_f64 v[186:187], v[178:179], v[150:151], -v[186:187]
	v_fma_f64 v[152:153], v[180:181], v[150:151], v[152:153]
	ds_read2_b64 v[178:181], v1 offset0:14 offset1:15
	s_waitcnt lgkmcnt(0)
	v_mul_f64 v[150:151], v[180:181], v[152:153]
	v_fma_f64 v[150:151], v[178:179], v[186:187], -v[150:151]
	v_mul_f64 v[178:179], v[178:179], v[152:153]
	v_add_f64 v[146:147], v[146:147], -v[150:151]
	v_fma_f64 v[178:179], v[180:181], v[186:187], v[178:179]
	v_add_f64 v[148:149], v[148:149], -v[178:179]
	ds_read2_b64 v[178:181], v1 offset0:16 offset1:17
	s_waitcnt lgkmcnt(0)
	v_mul_f64 v[150:151], v[180:181], v[152:153]
	v_fma_f64 v[150:151], v[178:179], v[186:187], -v[150:151]
	v_mul_f64 v[178:179], v[178:179], v[152:153]
	v_add_f64 v[142:143], v[142:143], -v[150:151]
	v_fma_f64 v[178:179], v[180:181], v[186:187], v[178:179]
	v_add_f64 v[144:145], v[144:145], -v[178:179]
	;; [unrolled: 8-line block ×36, first 2 shown]
	ds_read2_b64 v[178:181], v1 offset0:86 offset1:87
	s_waitcnt lgkmcnt(0)
	v_mul_f64 v[150:151], v[180:181], v[152:153]
	v_fma_f64 v[150:151], v[178:179], v[186:187], -v[150:151]
	v_mul_f64 v[178:179], v[178:179], v[152:153]
	v_add_f64 v[2:3], v[2:3], -v[150:151]
	v_fma_f64 v[178:179], v[180:181], v[186:187], v[178:179]
	v_mov_b32_e32 v150, v186
	v_mov_b32_e32 v151, v187
	v_add_f64 v[4:5], v[4:5], -v[178:179]
.LBB86_146:
	s_or_b32 exec_lo, exec_lo, s0
	v_lshl_add_u32 v178, v192, 4, v1
	s_barrier
	buffer_gl0_inv
	v_mov_b32_e32 v186, 7
	ds_write2_b64 v178, v[146:147], v[148:149] offset1:1
	s_waitcnt lgkmcnt(0)
	s_barrier
	buffer_gl0_inv
	ds_read2_b64 v[178:181], v1 offset0:14 offset1:15
	s_cmp_lt_i32 s18, 9
	s_cbranch_scc1 .LBB86_149
; %bb.147:
	v_add3_u32 v187, v188, 0, 0x80
	v_mov_b32_e32 v186, 7
	s_mov_b32 s1, 8
	s_inst_prefetch 0x1
	.p2align	6
.LBB86_148:                             ; =>This Inner Loop Header: Depth=1
	s_waitcnt lgkmcnt(0)
	v_cmp_gt_f64_e32 vcc_lo, 0, v[180:181]
	v_cmp_gt_f64_e64 s0, 0, v[178:179]
	ds_read2_b64 v[193:196], v187 offset1:1
	v_xor_b32_e32 v198, 0x80000000, v179
	v_xor_b32_e32 v200, 0x80000000, v181
	v_mov_b32_e32 v197, v178
	v_mov_b32_e32 v199, v180
	v_add_nc_u32_e32 v187, 16, v187
	s_waitcnt lgkmcnt(0)
	v_xor_b32_e32 v202, 0x80000000, v196
	v_cndmask_b32_e64 v198, v179, v198, s0
	v_cndmask_b32_e32 v200, v181, v200, vcc_lo
	v_cmp_gt_f64_e32 vcc_lo, 0, v[195:196]
	v_cmp_gt_f64_e64 s0, 0, v[193:194]
	v_mov_b32_e32 v201, v195
	v_add_f64 v[197:198], v[197:198], v[199:200]
	v_xor_b32_e32 v200, 0x80000000, v194
	v_mov_b32_e32 v199, v193
	v_cndmask_b32_e32 v202, v196, v202, vcc_lo
	v_cndmask_b32_e64 v200, v194, v200, s0
	v_add_f64 v[199:200], v[199:200], v[201:202]
	v_cmp_lt_f64_e32 vcc_lo, v[197:198], v[199:200]
	v_cndmask_b32_e32 v179, v179, v194, vcc_lo
	v_cndmask_b32_e32 v178, v178, v193, vcc_lo
	v_cndmask_b32_e32 v181, v181, v196, vcc_lo
	v_cndmask_b32_e32 v180, v180, v195, vcc_lo
	v_cndmask_b32_e64 v186, v186, s1, vcc_lo
	s_add_i32 s1, s1, 1
	s_cmp_lg_u32 s18, s1
	s_cbranch_scc1 .LBB86_148
.LBB86_149:
	s_inst_prefetch 0x2
	s_waitcnt lgkmcnt(0)
	v_cmp_eq_f64_e32 vcc_lo, 0, v[178:179]
	v_cmp_eq_f64_e64 s0, 0, v[180:181]
	s_and_b32 s0, vcc_lo, s0
	s_and_saveexec_b32 s1, s0
	s_xor_b32 s0, exec_lo, s1
; %bb.150:
	v_cmp_ne_u32_e32 vcc_lo, 0, v191
	v_cndmask_b32_e32 v191, 8, v191, vcc_lo
; %bb.151:
	s_andn2_saveexec_b32 s0, s0
	s_cbranch_execz .LBB86_157
; %bb.152:
	v_cmp_ngt_f64_e64 s1, |v[178:179]|, |v[180:181]|
	s_and_saveexec_b32 s2, s1
	s_xor_b32 s1, exec_lo, s2
	s_cbranch_execz .LBB86_154
; %bb.153:
	v_div_scale_f64 v[193:194], null, v[180:181], v[180:181], v[178:179]
	v_div_scale_f64 v[199:200], vcc_lo, v[178:179], v[180:181], v[178:179]
	v_rcp_f64_e32 v[195:196], v[193:194]
	v_fma_f64 v[197:198], -v[193:194], v[195:196], 1.0
	v_fma_f64 v[195:196], v[195:196], v[197:198], v[195:196]
	v_fma_f64 v[197:198], -v[193:194], v[195:196], 1.0
	v_fma_f64 v[195:196], v[195:196], v[197:198], v[195:196]
	v_mul_f64 v[197:198], v[199:200], v[195:196]
	v_fma_f64 v[193:194], -v[193:194], v[197:198], v[199:200]
	v_div_fmas_f64 v[193:194], v[193:194], v[195:196], v[197:198]
	v_div_fixup_f64 v[193:194], v[193:194], v[180:181], v[178:179]
	v_fma_f64 v[178:179], v[178:179], v[193:194], v[180:181]
	v_div_scale_f64 v[180:181], null, v[178:179], v[178:179], 1.0
	v_rcp_f64_e32 v[195:196], v[180:181]
	v_fma_f64 v[197:198], -v[180:181], v[195:196], 1.0
	v_fma_f64 v[195:196], v[195:196], v[197:198], v[195:196]
	v_fma_f64 v[197:198], -v[180:181], v[195:196], 1.0
	v_fma_f64 v[195:196], v[195:196], v[197:198], v[195:196]
	v_div_scale_f64 v[197:198], vcc_lo, 1.0, v[178:179], 1.0
	v_mul_f64 v[199:200], v[197:198], v[195:196]
	v_fma_f64 v[180:181], -v[180:181], v[199:200], v[197:198]
	v_div_fmas_f64 v[180:181], v[180:181], v[195:196], v[199:200]
	v_div_fixup_f64 v[180:181], v[180:181], v[178:179], 1.0
	v_mul_f64 v[178:179], v[193:194], v[180:181]
	v_xor_b32_e32 v181, 0x80000000, v181
.LBB86_154:
	s_andn2_saveexec_b32 s1, s1
	s_cbranch_execz .LBB86_156
; %bb.155:
	v_div_scale_f64 v[193:194], null, v[178:179], v[178:179], v[180:181]
	v_div_scale_f64 v[199:200], vcc_lo, v[180:181], v[178:179], v[180:181]
	v_rcp_f64_e32 v[195:196], v[193:194]
	v_fma_f64 v[197:198], -v[193:194], v[195:196], 1.0
	v_fma_f64 v[195:196], v[195:196], v[197:198], v[195:196]
	v_fma_f64 v[197:198], -v[193:194], v[195:196], 1.0
	v_fma_f64 v[195:196], v[195:196], v[197:198], v[195:196]
	v_mul_f64 v[197:198], v[199:200], v[195:196]
	v_fma_f64 v[193:194], -v[193:194], v[197:198], v[199:200]
	v_div_fmas_f64 v[193:194], v[193:194], v[195:196], v[197:198]
	v_div_fixup_f64 v[193:194], v[193:194], v[178:179], v[180:181]
	v_fma_f64 v[178:179], v[180:181], v[193:194], v[178:179]
	v_div_scale_f64 v[180:181], null, v[178:179], v[178:179], 1.0
	v_rcp_f64_e32 v[195:196], v[180:181]
	v_fma_f64 v[197:198], -v[180:181], v[195:196], 1.0
	v_fma_f64 v[195:196], v[195:196], v[197:198], v[195:196]
	v_fma_f64 v[197:198], -v[180:181], v[195:196], 1.0
	v_fma_f64 v[195:196], v[195:196], v[197:198], v[195:196]
	v_div_scale_f64 v[197:198], vcc_lo, 1.0, v[178:179], 1.0
	v_mul_f64 v[199:200], v[197:198], v[195:196]
	v_fma_f64 v[180:181], -v[180:181], v[199:200], v[197:198]
	v_div_fmas_f64 v[180:181], v[180:181], v[195:196], v[199:200]
	v_div_fixup_f64 v[178:179], v[180:181], v[178:179], 1.0
	v_mul_f64 v[180:181], v[193:194], -v[178:179]
.LBB86_156:
	s_or_b32 exec_lo, exec_lo, s1
.LBB86_157:
	s_or_b32 exec_lo, exec_lo, s0
	s_mov_b32 s0, exec_lo
	v_cmpx_ne_u32_e64 v192, v186
	s_xor_b32 s0, exec_lo, s0
	s_cbranch_execz .LBB86_163
; %bb.158:
	s_mov_b32 s1, exec_lo
	v_cmpx_eq_u32_e32 7, v192
	s_cbranch_execz .LBB86_162
; %bb.159:
	v_cmp_ne_u32_e32 vcc_lo, 7, v186
	s_xor_b32 s2, s16, -1
	s_and_b32 s3, s2, vcc_lo
	s_and_saveexec_b32 s2, s3
	s_cbranch_execz .LBB86_161
; %bb.160:
	v_ashrrev_i32_e32 v187, 31, v186
	v_lshlrev_b64 v[192:193], 2, v[186:187]
	v_add_co_u32 v192, vcc_lo, v184, v192
	v_add_co_ci_u32_e64 v193, null, v185, v193, vcc_lo
	s_clause 0x1
	global_load_dword v0, v[192:193], off
	global_load_dword v187, v[184:185], off offset:28
	s_waitcnt vmcnt(1)
	global_store_dword v[184:185], v0, off offset:28
	s_waitcnt vmcnt(0)
	global_store_dword v[192:193], v187, off
.LBB86_161:
	s_or_b32 exec_lo, exec_lo, s2
	v_mov_b32_e32 v192, v186
	v_mov_b32_e32 v0, v186
.LBB86_162:
	s_or_b32 exec_lo, exec_lo, s1
.LBB86_163:
	s_andn2_saveexec_b32 s0, s0
	s_cbranch_execz .LBB86_165
; %bb.164:
	v_mov_b32_e32 v192, 7
	ds_write2_b64 v1, v[142:143], v[144:145] offset0:16 offset1:17
	ds_write2_b64 v1, v[138:139], v[140:141] offset0:18 offset1:19
	;; [unrolled: 1-line block ×36, first 2 shown]
.LBB86_165:
	s_or_b32 exec_lo, exec_lo, s0
	s_mov_b32 s0, exec_lo
	s_waitcnt lgkmcnt(0)
	s_waitcnt_vscnt null, 0x0
	s_barrier
	buffer_gl0_inv
	v_cmpx_lt_i32_e32 7, v192
	s_cbranch_execz .LBB86_167
; %bb.166:
	v_mul_f64 v[186:187], v[180:181], v[148:149]
	v_mul_f64 v[148:149], v[178:179], v[148:149]
	v_fma_f64 v[186:187], v[178:179], v[146:147], -v[186:187]
	v_fma_f64 v[148:149], v[180:181], v[146:147], v[148:149]
	ds_read2_b64 v[178:181], v1 offset0:16 offset1:17
	s_waitcnt lgkmcnt(0)
	v_mul_f64 v[146:147], v[180:181], v[148:149]
	v_fma_f64 v[146:147], v[178:179], v[186:187], -v[146:147]
	v_mul_f64 v[178:179], v[178:179], v[148:149]
	v_add_f64 v[142:143], v[142:143], -v[146:147]
	v_fma_f64 v[178:179], v[180:181], v[186:187], v[178:179]
	v_add_f64 v[144:145], v[144:145], -v[178:179]
	ds_read2_b64 v[178:181], v1 offset0:18 offset1:19
	s_waitcnt lgkmcnt(0)
	v_mul_f64 v[146:147], v[180:181], v[148:149]
	v_fma_f64 v[146:147], v[178:179], v[186:187], -v[146:147]
	v_mul_f64 v[178:179], v[178:179], v[148:149]
	v_add_f64 v[138:139], v[138:139], -v[146:147]
	v_fma_f64 v[178:179], v[180:181], v[186:187], v[178:179]
	v_add_f64 v[140:141], v[140:141], -v[178:179]
	ds_read2_b64 v[178:181], v1 offset0:20 offset1:21
	s_waitcnt lgkmcnt(0)
	v_mul_f64 v[146:147], v[180:181], v[148:149]
	v_fma_f64 v[146:147], v[178:179], v[186:187], -v[146:147]
	v_mul_f64 v[178:179], v[178:179], v[148:149]
	v_add_f64 v[134:135], v[134:135], -v[146:147]
	v_fma_f64 v[178:179], v[180:181], v[186:187], v[178:179]
	v_add_f64 v[136:137], v[136:137], -v[178:179]
	ds_read2_b64 v[178:181], v1 offset0:22 offset1:23
	s_waitcnt lgkmcnt(0)
	v_mul_f64 v[146:147], v[180:181], v[148:149]
	v_fma_f64 v[146:147], v[178:179], v[186:187], -v[146:147]
	v_mul_f64 v[178:179], v[178:179], v[148:149]
	v_add_f64 v[130:131], v[130:131], -v[146:147]
	v_fma_f64 v[178:179], v[180:181], v[186:187], v[178:179]
	v_add_f64 v[132:133], v[132:133], -v[178:179]
	ds_read2_b64 v[178:181], v1 offset0:24 offset1:25
	s_waitcnt lgkmcnt(0)
	v_mul_f64 v[146:147], v[180:181], v[148:149]
	v_fma_f64 v[146:147], v[178:179], v[186:187], -v[146:147]
	v_mul_f64 v[178:179], v[178:179], v[148:149]
	v_add_f64 v[126:127], v[126:127], -v[146:147]
	v_fma_f64 v[178:179], v[180:181], v[186:187], v[178:179]
	v_add_f64 v[128:129], v[128:129], -v[178:179]
	ds_read2_b64 v[178:181], v1 offset0:26 offset1:27
	s_waitcnt lgkmcnt(0)
	v_mul_f64 v[146:147], v[180:181], v[148:149]
	v_fma_f64 v[146:147], v[178:179], v[186:187], -v[146:147]
	v_mul_f64 v[178:179], v[178:179], v[148:149]
	v_add_f64 v[122:123], v[122:123], -v[146:147]
	v_fma_f64 v[178:179], v[180:181], v[186:187], v[178:179]
	v_add_f64 v[124:125], v[124:125], -v[178:179]
	ds_read2_b64 v[178:181], v1 offset0:28 offset1:29
	s_waitcnt lgkmcnt(0)
	v_mul_f64 v[146:147], v[180:181], v[148:149]
	v_fma_f64 v[146:147], v[178:179], v[186:187], -v[146:147]
	v_mul_f64 v[178:179], v[178:179], v[148:149]
	v_add_f64 v[118:119], v[118:119], -v[146:147]
	v_fma_f64 v[178:179], v[180:181], v[186:187], v[178:179]
	v_add_f64 v[120:121], v[120:121], -v[178:179]
	ds_read2_b64 v[178:181], v1 offset0:30 offset1:31
	s_waitcnt lgkmcnt(0)
	v_mul_f64 v[146:147], v[180:181], v[148:149]
	v_fma_f64 v[146:147], v[178:179], v[186:187], -v[146:147]
	v_mul_f64 v[178:179], v[178:179], v[148:149]
	v_add_f64 v[114:115], v[114:115], -v[146:147]
	v_fma_f64 v[178:179], v[180:181], v[186:187], v[178:179]
	v_add_f64 v[116:117], v[116:117], -v[178:179]
	ds_read2_b64 v[178:181], v1 offset0:32 offset1:33
	s_waitcnt lgkmcnt(0)
	v_mul_f64 v[146:147], v[180:181], v[148:149]
	v_fma_f64 v[146:147], v[178:179], v[186:187], -v[146:147]
	v_mul_f64 v[178:179], v[178:179], v[148:149]
	v_add_f64 v[110:111], v[110:111], -v[146:147]
	v_fma_f64 v[178:179], v[180:181], v[186:187], v[178:179]
	v_add_f64 v[112:113], v[112:113], -v[178:179]
	ds_read2_b64 v[178:181], v1 offset0:34 offset1:35
	s_waitcnt lgkmcnt(0)
	v_mul_f64 v[146:147], v[180:181], v[148:149]
	v_fma_f64 v[146:147], v[178:179], v[186:187], -v[146:147]
	v_mul_f64 v[178:179], v[178:179], v[148:149]
	v_add_f64 v[106:107], v[106:107], -v[146:147]
	v_fma_f64 v[178:179], v[180:181], v[186:187], v[178:179]
	v_add_f64 v[108:109], v[108:109], -v[178:179]
	ds_read2_b64 v[178:181], v1 offset0:36 offset1:37
	s_waitcnt lgkmcnt(0)
	v_mul_f64 v[146:147], v[180:181], v[148:149]
	v_fma_f64 v[146:147], v[178:179], v[186:187], -v[146:147]
	v_mul_f64 v[178:179], v[178:179], v[148:149]
	v_add_f64 v[102:103], v[102:103], -v[146:147]
	v_fma_f64 v[178:179], v[180:181], v[186:187], v[178:179]
	v_add_f64 v[104:105], v[104:105], -v[178:179]
	ds_read2_b64 v[178:181], v1 offset0:38 offset1:39
	s_waitcnt lgkmcnt(0)
	v_mul_f64 v[146:147], v[180:181], v[148:149]
	v_fma_f64 v[146:147], v[178:179], v[186:187], -v[146:147]
	v_mul_f64 v[178:179], v[178:179], v[148:149]
	v_add_f64 v[98:99], v[98:99], -v[146:147]
	v_fma_f64 v[178:179], v[180:181], v[186:187], v[178:179]
	v_add_f64 v[100:101], v[100:101], -v[178:179]
	ds_read2_b64 v[178:181], v1 offset0:40 offset1:41
	s_waitcnt lgkmcnt(0)
	v_mul_f64 v[146:147], v[180:181], v[148:149]
	v_fma_f64 v[146:147], v[178:179], v[186:187], -v[146:147]
	v_mul_f64 v[178:179], v[178:179], v[148:149]
	v_add_f64 v[94:95], v[94:95], -v[146:147]
	v_fma_f64 v[178:179], v[180:181], v[186:187], v[178:179]
	v_add_f64 v[96:97], v[96:97], -v[178:179]
	ds_read2_b64 v[178:181], v1 offset0:42 offset1:43
	s_waitcnt lgkmcnt(0)
	v_mul_f64 v[146:147], v[180:181], v[148:149]
	v_fma_f64 v[146:147], v[178:179], v[186:187], -v[146:147]
	v_mul_f64 v[178:179], v[178:179], v[148:149]
	v_add_f64 v[90:91], v[90:91], -v[146:147]
	v_fma_f64 v[178:179], v[180:181], v[186:187], v[178:179]
	v_add_f64 v[92:93], v[92:93], -v[178:179]
	ds_read2_b64 v[178:181], v1 offset0:44 offset1:45
	s_waitcnt lgkmcnt(0)
	v_mul_f64 v[146:147], v[180:181], v[148:149]
	v_fma_f64 v[146:147], v[178:179], v[186:187], -v[146:147]
	v_mul_f64 v[178:179], v[178:179], v[148:149]
	v_add_f64 v[86:87], v[86:87], -v[146:147]
	v_fma_f64 v[178:179], v[180:181], v[186:187], v[178:179]
	v_add_f64 v[88:89], v[88:89], -v[178:179]
	ds_read2_b64 v[178:181], v1 offset0:46 offset1:47
	s_waitcnt lgkmcnt(0)
	v_mul_f64 v[146:147], v[180:181], v[148:149]
	v_fma_f64 v[146:147], v[178:179], v[186:187], -v[146:147]
	v_mul_f64 v[178:179], v[178:179], v[148:149]
	v_add_f64 v[82:83], v[82:83], -v[146:147]
	v_fma_f64 v[178:179], v[180:181], v[186:187], v[178:179]
	v_add_f64 v[84:85], v[84:85], -v[178:179]
	ds_read2_b64 v[178:181], v1 offset0:48 offset1:49
	s_waitcnt lgkmcnt(0)
	v_mul_f64 v[146:147], v[180:181], v[148:149]
	v_fma_f64 v[146:147], v[178:179], v[186:187], -v[146:147]
	v_mul_f64 v[178:179], v[178:179], v[148:149]
	v_add_f64 v[78:79], v[78:79], -v[146:147]
	v_fma_f64 v[178:179], v[180:181], v[186:187], v[178:179]
	v_add_f64 v[80:81], v[80:81], -v[178:179]
	ds_read2_b64 v[178:181], v1 offset0:50 offset1:51
	s_waitcnt lgkmcnt(0)
	v_mul_f64 v[146:147], v[180:181], v[148:149]
	v_fma_f64 v[146:147], v[178:179], v[186:187], -v[146:147]
	v_mul_f64 v[178:179], v[178:179], v[148:149]
	v_add_f64 v[74:75], v[74:75], -v[146:147]
	v_fma_f64 v[178:179], v[180:181], v[186:187], v[178:179]
	v_add_f64 v[76:77], v[76:77], -v[178:179]
	ds_read2_b64 v[178:181], v1 offset0:52 offset1:53
	s_waitcnt lgkmcnt(0)
	v_mul_f64 v[146:147], v[180:181], v[148:149]
	v_fma_f64 v[146:147], v[178:179], v[186:187], -v[146:147]
	v_mul_f64 v[178:179], v[178:179], v[148:149]
	v_add_f64 v[70:71], v[70:71], -v[146:147]
	v_fma_f64 v[178:179], v[180:181], v[186:187], v[178:179]
	v_add_f64 v[72:73], v[72:73], -v[178:179]
	ds_read2_b64 v[178:181], v1 offset0:54 offset1:55
	s_waitcnt lgkmcnt(0)
	v_mul_f64 v[146:147], v[180:181], v[148:149]
	v_fma_f64 v[146:147], v[178:179], v[186:187], -v[146:147]
	v_mul_f64 v[178:179], v[178:179], v[148:149]
	v_add_f64 v[66:67], v[66:67], -v[146:147]
	v_fma_f64 v[178:179], v[180:181], v[186:187], v[178:179]
	v_add_f64 v[68:69], v[68:69], -v[178:179]
	ds_read2_b64 v[178:181], v1 offset0:56 offset1:57
	s_waitcnt lgkmcnt(0)
	v_mul_f64 v[146:147], v[180:181], v[148:149]
	v_fma_f64 v[146:147], v[178:179], v[186:187], -v[146:147]
	v_mul_f64 v[178:179], v[178:179], v[148:149]
	v_add_f64 v[62:63], v[62:63], -v[146:147]
	v_fma_f64 v[178:179], v[180:181], v[186:187], v[178:179]
	v_add_f64 v[64:65], v[64:65], -v[178:179]
	ds_read2_b64 v[178:181], v1 offset0:58 offset1:59
	s_waitcnt lgkmcnt(0)
	v_mul_f64 v[146:147], v[180:181], v[148:149]
	v_fma_f64 v[146:147], v[178:179], v[186:187], -v[146:147]
	v_mul_f64 v[178:179], v[178:179], v[148:149]
	v_add_f64 v[58:59], v[58:59], -v[146:147]
	v_fma_f64 v[178:179], v[180:181], v[186:187], v[178:179]
	v_add_f64 v[60:61], v[60:61], -v[178:179]
	ds_read2_b64 v[178:181], v1 offset0:60 offset1:61
	s_waitcnt lgkmcnt(0)
	v_mul_f64 v[146:147], v[180:181], v[148:149]
	v_fma_f64 v[146:147], v[178:179], v[186:187], -v[146:147]
	v_mul_f64 v[178:179], v[178:179], v[148:149]
	v_add_f64 v[54:55], v[54:55], -v[146:147]
	v_fma_f64 v[178:179], v[180:181], v[186:187], v[178:179]
	v_add_f64 v[56:57], v[56:57], -v[178:179]
	ds_read2_b64 v[178:181], v1 offset0:62 offset1:63
	s_waitcnt lgkmcnt(0)
	v_mul_f64 v[146:147], v[180:181], v[148:149]
	v_fma_f64 v[146:147], v[178:179], v[186:187], -v[146:147]
	v_mul_f64 v[178:179], v[178:179], v[148:149]
	v_add_f64 v[50:51], v[50:51], -v[146:147]
	v_fma_f64 v[178:179], v[180:181], v[186:187], v[178:179]
	v_add_f64 v[52:53], v[52:53], -v[178:179]
	ds_read2_b64 v[178:181], v1 offset0:64 offset1:65
	s_waitcnt lgkmcnt(0)
	v_mul_f64 v[146:147], v[180:181], v[148:149]
	v_fma_f64 v[146:147], v[178:179], v[186:187], -v[146:147]
	v_mul_f64 v[178:179], v[178:179], v[148:149]
	v_add_f64 v[46:47], v[46:47], -v[146:147]
	v_fma_f64 v[178:179], v[180:181], v[186:187], v[178:179]
	v_add_f64 v[48:49], v[48:49], -v[178:179]
	ds_read2_b64 v[178:181], v1 offset0:66 offset1:67
	s_waitcnt lgkmcnt(0)
	v_mul_f64 v[146:147], v[180:181], v[148:149]
	v_fma_f64 v[146:147], v[178:179], v[186:187], -v[146:147]
	v_mul_f64 v[178:179], v[178:179], v[148:149]
	v_add_f64 v[42:43], v[42:43], -v[146:147]
	v_fma_f64 v[178:179], v[180:181], v[186:187], v[178:179]
	v_add_f64 v[44:45], v[44:45], -v[178:179]
	ds_read2_b64 v[178:181], v1 offset0:68 offset1:69
	s_waitcnt lgkmcnt(0)
	v_mul_f64 v[146:147], v[180:181], v[148:149]
	v_fma_f64 v[146:147], v[178:179], v[186:187], -v[146:147]
	v_mul_f64 v[178:179], v[178:179], v[148:149]
	v_add_f64 v[38:39], v[38:39], -v[146:147]
	v_fma_f64 v[178:179], v[180:181], v[186:187], v[178:179]
	v_add_f64 v[40:41], v[40:41], -v[178:179]
	ds_read2_b64 v[178:181], v1 offset0:70 offset1:71
	s_waitcnt lgkmcnt(0)
	v_mul_f64 v[146:147], v[180:181], v[148:149]
	v_fma_f64 v[146:147], v[178:179], v[186:187], -v[146:147]
	v_mul_f64 v[178:179], v[178:179], v[148:149]
	v_add_f64 v[34:35], v[34:35], -v[146:147]
	v_fma_f64 v[178:179], v[180:181], v[186:187], v[178:179]
	v_add_f64 v[36:37], v[36:37], -v[178:179]
	ds_read2_b64 v[178:181], v1 offset0:72 offset1:73
	s_waitcnt lgkmcnt(0)
	v_mul_f64 v[146:147], v[180:181], v[148:149]
	v_fma_f64 v[146:147], v[178:179], v[186:187], -v[146:147]
	v_mul_f64 v[178:179], v[178:179], v[148:149]
	v_add_f64 v[30:31], v[30:31], -v[146:147]
	v_fma_f64 v[178:179], v[180:181], v[186:187], v[178:179]
	v_add_f64 v[32:33], v[32:33], -v[178:179]
	ds_read2_b64 v[178:181], v1 offset0:74 offset1:75
	s_waitcnt lgkmcnt(0)
	v_mul_f64 v[146:147], v[180:181], v[148:149]
	v_fma_f64 v[146:147], v[178:179], v[186:187], -v[146:147]
	v_mul_f64 v[178:179], v[178:179], v[148:149]
	v_add_f64 v[26:27], v[26:27], -v[146:147]
	v_fma_f64 v[178:179], v[180:181], v[186:187], v[178:179]
	v_add_f64 v[28:29], v[28:29], -v[178:179]
	ds_read2_b64 v[178:181], v1 offset0:76 offset1:77
	s_waitcnt lgkmcnt(0)
	v_mul_f64 v[146:147], v[180:181], v[148:149]
	v_fma_f64 v[146:147], v[178:179], v[186:187], -v[146:147]
	v_mul_f64 v[178:179], v[178:179], v[148:149]
	v_add_f64 v[22:23], v[22:23], -v[146:147]
	v_fma_f64 v[178:179], v[180:181], v[186:187], v[178:179]
	v_add_f64 v[24:25], v[24:25], -v[178:179]
	ds_read2_b64 v[178:181], v1 offset0:78 offset1:79
	s_waitcnt lgkmcnt(0)
	v_mul_f64 v[146:147], v[180:181], v[148:149]
	v_fma_f64 v[146:147], v[178:179], v[186:187], -v[146:147]
	v_mul_f64 v[178:179], v[178:179], v[148:149]
	v_add_f64 v[18:19], v[18:19], -v[146:147]
	v_fma_f64 v[178:179], v[180:181], v[186:187], v[178:179]
	v_add_f64 v[20:21], v[20:21], -v[178:179]
	ds_read2_b64 v[178:181], v1 offset0:80 offset1:81
	s_waitcnt lgkmcnt(0)
	v_mul_f64 v[146:147], v[180:181], v[148:149]
	v_fma_f64 v[146:147], v[178:179], v[186:187], -v[146:147]
	v_mul_f64 v[178:179], v[178:179], v[148:149]
	v_add_f64 v[14:15], v[14:15], -v[146:147]
	v_fma_f64 v[178:179], v[180:181], v[186:187], v[178:179]
	v_add_f64 v[16:17], v[16:17], -v[178:179]
	ds_read2_b64 v[178:181], v1 offset0:82 offset1:83
	s_waitcnt lgkmcnt(0)
	v_mul_f64 v[146:147], v[180:181], v[148:149]
	v_fma_f64 v[146:147], v[178:179], v[186:187], -v[146:147]
	v_mul_f64 v[178:179], v[178:179], v[148:149]
	v_add_f64 v[10:11], v[10:11], -v[146:147]
	v_fma_f64 v[178:179], v[180:181], v[186:187], v[178:179]
	v_add_f64 v[12:13], v[12:13], -v[178:179]
	ds_read2_b64 v[178:181], v1 offset0:84 offset1:85
	s_waitcnt lgkmcnt(0)
	v_mul_f64 v[146:147], v[180:181], v[148:149]
	v_fma_f64 v[146:147], v[178:179], v[186:187], -v[146:147]
	v_mul_f64 v[178:179], v[178:179], v[148:149]
	v_add_f64 v[6:7], v[6:7], -v[146:147]
	v_fma_f64 v[178:179], v[180:181], v[186:187], v[178:179]
	v_add_f64 v[8:9], v[8:9], -v[178:179]
	ds_read2_b64 v[178:181], v1 offset0:86 offset1:87
	s_waitcnt lgkmcnt(0)
	v_mul_f64 v[146:147], v[180:181], v[148:149]
	v_fma_f64 v[146:147], v[178:179], v[186:187], -v[146:147]
	v_mul_f64 v[178:179], v[178:179], v[148:149]
	v_add_f64 v[2:3], v[2:3], -v[146:147]
	v_fma_f64 v[178:179], v[180:181], v[186:187], v[178:179]
	v_mov_b32_e32 v146, v186
	v_mov_b32_e32 v147, v187
	v_add_f64 v[4:5], v[4:5], -v[178:179]
.LBB86_167:
	s_or_b32 exec_lo, exec_lo, s0
	v_lshl_add_u32 v178, v192, 4, v1
	s_barrier
	buffer_gl0_inv
	v_mov_b32_e32 v186, 8
	ds_write2_b64 v178, v[142:143], v[144:145] offset1:1
	s_waitcnt lgkmcnt(0)
	s_barrier
	buffer_gl0_inv
	ds_read2_b64 v[178:181], v1 offset0:16 offset1:17
	s_cmp_lt_i32 s18, 10
	s_cbranch_scc1 .LBB86_170
; %bb.168:
	v_add3_u32 v187, v188, 0, 0x90
	v_mov_b32_e32 v186, 8
	s_mov_b32 s1, 9
	s_inst_prefetch 0x1
	.p2align	6
.LBB86_169:                             ; =>This Inner Loop Header: Depth=1
	s_waitcnt lgkmcnt(0)
	v_cmp_gt_f64_e32 vcc_lo, 0, v[180:181]
	v_cmp_gt_f64_e64 s0, 0, v[178:179]
	ds_read2_b64 v[193:196], v187 offset1:1
	v_xor_b32_e32 v198, 0x80000000, v179
	v_xor_b32_e32 v200, 0x80000000, v181
	v_mov_b32_e32 v197, v178
	v_mov_b32_e32 v199, v180
	v_add_nc_u32_e32 v187, 16, v187
	s_waitcnt lgkmcnt(0)
	v_xor_b32_e32 v202, 0x80000000, v196
	v_cndmask_b32_e64 v198, v179, v198, s0
	v_cndmask_b32_e32 v200, v181, v200, vcc_lo
	v_cmp_gt_f64_e32 vcc_lo, 0, v[195:196]
	v_cmp_gt_f64_e64 s0, 0, v[193:194]
	v_mov_b32_e32 v201, v195
	v_add_f64 v[197:198], v[197:198], v[199:200]
	v_xor_b32_e32 v200, 0x80000000, v194
	v_mov_b32_e32 v199, v193
	v_cndmask_b32_e32 v202, v196, v202, vcc_lo
	v_cndmask_b32_e64 v200, v194, v200, s0
	v_add_f64 v[199:200], v[199:200], v[201:202]
	v_cmp_lt_f64_e32 vcc_lo, v[197:198], v[199:200]
	v_cndmask_b32_e32 v179, v179, v194, vcc_lo
	v_cndmask_b32_e32 v178, v178, v193, vcc_lo
	;; [unrolled: 1-line block ×4, first 2 shown]
	v_cndmask_b32_e64 v186, v186, s1, vcc_lo
	s_add_i32 s1, s1, 1
	s_cmp_lg_u32 s18, s1
	s_cbranch_scc1 .LBB86_169
.LBB86_170:
	s_inst_prefetch 0x2
	s_waitcnt lgkmcnt(0)
	v_cmp_eq_f64_e32 vcc_lo, 0, v[178:179]
	v_cmp_eq_f64_e64 s0, 0, v[180:181]
	s_and_b32 s0, vcc_lo, s0
	s_and_saveexec_b32 s1, s0
	s_xor_b32 s0, exec_lo, s1
; %bb.171:
	v_cmp_ne_u32_e32 vcc_lo, 0, v191
	v_cndmask_b32_e32 v191, 9, v191, vcc_lo
; %bb.172:
	s_andn2_saveexec_b32 s0, s0
	s_cbranch_execz .LBB86_178
; %bb.173:
	v_cmp_ngt_f64_e64 s1, |v[178:179]|, |v[180:181]|
	s_and_saveexec_b32 s2, s1
	s_xor_b32 s1, exec_lo, s2
	s_cbranch_execz .LBB86_175
; %bb.174:
	v_div_scale_f64 v[193:194], null, v[180:181], v[180:181], v[178:179]
	v_div_scale_f64 v[199:200], vcc_lo, v[178:179], v[180:181], v[178:179]
	v_rcp_f64_e32 v[195:196], v[193:194]
	v_fma_f64 v[197:198], -v[193:194], v[195:196], 1.0
	v_fma_f64 v[195:196], v[195:196], v[197:198], v[195:196]
	v_fma_f64 v[197:198], -v[193:194], v[195:196], 1.0
	v_fma_f64 v[195:196], v[195:196], v[197:198], v[195:196]
	v_mul_f64 v[197:198], v[199:200], v[195:196]
	v_fma_f64 v[193:194], -v[193:194], v[197:198], v[199:200]
	v_div_fmas_f64 v[193:194], v[193:194], v[195:196], v[197:198]
	v_div_fixup_f64 v[193:194], v[193:194], v[180:181], v[178:179]
	v_fma_f64 v[178:179], v[178:179], v[193:194], v[180:181]
	v_div_scale_f64 v[180:181], null, v[178:179], v[178:179], 1.0
	v_rcp_f64_e32 v[195:196], v[180:181]
	v_fma_f64 v[197:198], -v[180:181], v[195:196], 1.0
	v_fma_f64 v[195:196], v[195:196], v[197:198], v[195:196]
	v_fma_f64 v[197:198], -v[180:181], v[195:196], 1.0
	v_fma_f64 v[195:196], v[195:196], v[197:198], v[195:196]
	v_div_scale_f64 v[197:198], vcc_lo, 1.0, v[178:179], 1.0
	v_mul_f64 v[199:200], v[197:198], v[195:196]
	v_fma_f64 v[180:181], -v[180:181], v[199:200], v[197:198]
	v_div_fmas_f64 v[180:181], v[180:181], v[195:196], v[199:200]
	v_div_fixup_f64 v[180:181], v[180:181], v[178:179], 1.0
	v_mul_f64 v[178:179], v[193:194], v[180:181]
	v_xor_b32_e32 v181, 0x80000000, v181
.LBB86_175:
	s_andn2_saveexec_b32 s1, s1
	s_cbranch_execz .LBB86_177
; %bb.176:
	v_div_scale_f64 v[193:194], null, v[178:179], v[178:179], v[180:181]
	v_div_scale_f64 v[199:200], vcc_lo, v[180:181], v[178:179], v[180:181]
	v_rcp_f64_e32 v[195:196], v[193:194]
	v_fma_f64 v[197:198], -v[193:194], v[195:196], 1.0
	v_fma_f64 v[195:196], v[195:196], v[197:198], v[195:196]
	v_fma_f64 v[197:198], -v[193:194], v[195:196], 1.0
	v_fma_f64 v[195:196], v[195:196], v[197:198], v[195:196]
	v_mul_f64 v[197:198], v[199:200], v[195:196]
	v_fma_f64 v[193:194], -v[193:194], v[197:198], v[199:200]
	v_div_fmas_f64 v[193:194], v[193:194], v[195:196], v[197:198]
	v_div_fixup_f64 v[193:194], v[193:194], v[178:179], v[180:181]
	v_fma_f64 v[178:179], v[180:181], v[193:194], v[178:179]
	v_div_scale_f64 v[180:181], null, v[178:179], v[178:179], 1.0
	v_rcp_f64_e32 v[195:196], v[180:181]
	v_fma_f64 v[197:198], -v[180:181], v[195:196], 1.0
	v_fma_f64 v[195:196], v[195:196], v[197:198], v[195:196]
	v_fma_f64 v[197:198], -v[180:181], v[195:196], 1.0
	v_fma_f64 v[195:196], v[195:196], v[197:198], v[195:196]
	v_div_scale_f64 v[197:198], vcc_lo, 1.0, v[178:179], 1.0
	v_mul_f64 v[199:200], v[197:198], v[195:196]
	v_fma_f64 v[180:181], -v[180:181], v[199:200], v[197:198]
	v_div_fmas_f64 v[180:181], v[180:181], v[195:196], v[199:200]
	v_div_fixup_f64 v[178:179], v[180:181], v[178:179], 1.0
	v_mul_f64 v[180:181], v[193:194], -v[178:179]
.LBB86_177:
	s_or_b32 exec_lo, exec_lo, s1
.LBB86_178:
	s_or_b32 exec_lo, exec_lo, s0
	s_mov_b32 s0, exec_lo
	v_cmpx_ne_u32_e64 v192, v186
	s_xor_b32 s0, exec_lo, s0
	s_cbranch_execz .LBB86_184
; %bb.179:
	s_mov_b32 s1, exec_lo
	v_cmpx_eq_u32_e32 8, v192
	s_cbranch_execz .LBB86_183
; %bb.180:
	v_cmp_ne_u32_e32 vcc_lo, 8, v186
	s_xor_b32 s2, s16, -1
	s_and_b32 s3, s2, vcc_lo
	s_and_saveexec_b32 s2, s3
	s_cbranch_execz .LBB86_182
; %bb.181:
	v_ashrrev_i32_e32 v187, 31, v186
	v_lshlrev_b64 v[192:193], 2, v[186:187]
	v_add_co_u32 v192, vcc_lo, v184, v192
	v_add_co_ci_u32_e64 v193, null, v185, v193, vcc_lo
	s_clause 0x1
	global_load_dword v0, v[192:193], off
	global_load_dword v187, v[184:185], off offset:32
	s_waitcnt vmcnt(1)
	global_store_dword v[184:185], v0, off offset:32
	s_waitcnt vmcnt(0)
	global_store_dword v[192:193], v187, off
.LBB86_182:
	s_or_b32 exec_lo, exec_lo, s2
	v_mov_b32_e32 v192, v186
	v_mov_b32_e32 v0, v186
.LBB86_183:
	s_or_b32 exec_lo, exec_lo, s1
.LBB86_184:
	s_andn2_saveexec_b32 s0, s0
	s_cbranch_execz .LBB86_186
; %bb.185:
	v_mov_b32_e32 v192, 8
	ds_write2_b64 v1, v[138:139], v[140:141] offset0:18 offset1:19
	ds_write2_b64 v1, v[134:135], v[136:137] offset0:20 offset1:21
	;; [unrolled: 1-line block ×35, first 2 shown]
.LBB86_186:
	s_or_b32 exec_lo, exec_lo, s0
	s_mov_b32 s0, exec_lo
	s_waitcnt lgkmcnt(0)
	s_waitcnt_vscnt null, 0x0
	s_barrier
	buffer_gl0_inv
	v_cmpx_lt_i32_e32 8, v192
	s_cbranch_execz .LBB86_188
; %bb.187:
	v_mul_f64 v[186:187], v[180:181], v[144:145]
	v_mul_f64 v[144:145], v[178:179], v[144:145]
	v_fma_f64 v[186:187], v[178:179], v[142:143], -v[186:187]
	v_fma_f64 v[144:145], v[180:181], v[142:143], v[144:145]
	ds_read2_b64 v[178:181], v1 offset0:18 offset1:19
	s_waitcnt lgkmcnt(0)
	v_mul_f64 v[142:143], v[180:181], v[144:145]
	v_fma_f64 v[142:143], v[178:179], v[186:187], -v[142:143]
	v_mul_f64 v[178:179], v[178:179], v[144:145]
	v_add_f64 v[138:139], v[138:139], -v[142:143]
	v_fma_f64 v[178:179], v[180:181], v[186:187], v[178:179]
	v_add_f64 v[140:141], v[140:141], -v[178:179]
	ds_read2_b64 v[178:181], v1 offset0:20 offset1:21
	s_waitcnt lgkmcnt(0)
	v_mul_f64 v[142:143], v[180:181], v[144:145]
	v_fma_f64 v[142:143], v[178:179], v[186:187], -v[142:143]
	v_mul_f64 v[178:179], v[178:179], v[144:145]
	v_add_f64 v[134:135], v[134:135], -v[142:143]
	v_fma_f64 v[178:179], v[180:181], v[186:187], v[178:179]
	v_add_f64 v[136:137], v[136:137], -v[178:179]
	;; [unrolled: 8-line block ×34, first 2 shown]
	ds_read2_b64 v[178:181], v1 offset0:86 offset1:87
	s_waitcnt lgkmcnt(0)
	v_mul_f64 v[142:143], v[180:181], v[144:145]
	v_fma_f64 v[142:143], v[178:179], v[186:187], -v[142:143]
	v_mul_f64 v[178:179], v[178:179], v[144:145]
	v_add_f64 v[2:3], v[2:3], -v[142:143]
	v_fma_f64 v[178:179], v[180:181], v[186:187], v[178:179]
	v_mov_b32_e32 v142, v186
	v_mov_b32_e32 v143, v187
	v_add_f64 v[4:5], v[4:5], -v[178:179]
.LBB86_188:
	s_or_b32 exec_lo, exec_lo, s0
	v_lshl_add_u32 v178, v192, 4, v1
	s_barrier
	buffer_gl0_inv
	v_mov_b32_e32 v186, 9
	ds_write2_b64 v178, v[138:139], v[140:141] offset1:1
	s_waitcnt lgkmcnt(0)
	s_barrier
	buffer_gl0_inv
	ds_read2_b64 v[178:181], v1 offset0:18 offset1:19
	s_cmp_lt_i32 s18, 11
	s_cbranch_scc1 .LBB86_191
; %bb.189:
	v_add3_u32 v187, v188, 0, 0xa0
	v_mov_b32_e32 v186, 9
	s_mov_b32 s1, 10
	s_inst_prefetch 0x1
	.p2align	6
.LBB86_190:                             ; =>This Inner Loop Header: Depth=1
	s_waitcnt lgkmcnt(0)
	v_cmp_gt_f64_e32 vcc_lo, 0, v[180:181]
	v_cmp_gt_f64_e64 s0, 0, v[178:179]
	ds_read2_b64 v[193:196], v187 offset1:1
	v_xor_b32_e32 v198, 0x80000000, v179
	v_xor_b32_e32 v200, 0x80000000, v181
	v_mov_b32_e32 v197, v178
	v_mov_b32_e32 v199, v180
	v_add_nc_u32_e32 v187, 16, v187
	s_waitcnt lgkmcnt(0)
	v_xor_b32_e32 v202, 0x80000000, v196
	v_cndmask_b32_e64 v198, v179, v198, s0
	v_cndmask_b32_e32 v200, v181, v200, vcc_lo
	v_cmp_gt_f64_e32 vcc_lo, 0, v[195:196]
	v_cmp_gt_f64_e64 s0, 0, v[193:194]
	v_mov_b32_e32 v201, v195
	v_add_f64 v[197:198], v[197:198], v[199:200]
	v_xor_b32_e32 v200, 0x80000000, v194
	v_mov_b32_e32 v199, v193
	v_cndmask_b32_e32 v202, v196, v202, vcc_lo
	v_cndmask_b32_e64 v200, v194, v200, s0
	v_add_f64 v[199:200], v[199:200], v[201:202]
	v_cmp_lt_f64_e32 vcc_lo, v[197:198], v[199:200]
	v_cndmask_b32_e32 v179, v179, v194, vcc_lo
	v_cndmask_b32_e32 v178, v178, v193, vcc_lo
	;; [unrolled: 1-line block ×4, first 2 shown]
	v_cndmask_b32_e64 v186, v186, s1, vcc_lo
	s_add_i32 s1, s1, 1
	s_cmp_lg_u32 s18, s1
	s_cbranch_scc1 .LBB86_190
.LBB86_191:
	s_inst_prefetch 0x2
	s_waitcnt lgkmcnt(0)
	v_cmp_eq_f64_e32 vcc_lo, 0, v[178:179]
	v_cmp_eq_f64_e64 s0, 0, v[180:181]
	s_and_b32 s0, vcc_lo, s0
	s_and_saveexec_b32 s1, s0
	s_xor_b32 s0, exec_lo, s1
; %bb.192:
	v_cmp_ne_u32_e32 vcc_lo, 0, v191
	v_cndmask_b32_e32 v191, 10, v191, vcc_lo
; %bb.193:
	s_andn2_saveexec_b32 s0, s0
	s_cbranch_execz .LBB86_199
; %bb.194:
	v_cmp_ngt_f64_e64 s1, |v[178:179]|, |v[180:181]|
	s_and_saveexec_b32 s2, s1
	s_xor_b32 s1, exec_lo, s2
	s_cbranch_execz .LBB86_196
; %bb.195:
	v_div_scale_f64 v[193:194], null, v[180:181], v[180:181], v[178:179]
	v_div_scale_f64 v[199:200], vcc_lo, v[178:179], v[180:181], v[178:179]
	v_rcp_f64_e32 v[195:196], v[193:194]
	v_fma_f64 v[197:198], -v[193:194], v[195:196], 1.0
	v_fma_f64 v[195:196], v[195:196], v[197:198], v[195:196]
	v_fma_f64 v[197:198], -v[193:194], v[195:196], 1.0
	v_fma_f64 v[195:196], v[195:196], v[197:198], v[195:196]
	v_mul_f64 v[197:198], v[199:200], v[195:196]
	v_fma_f64 v[193:194], -v[193:194], v[197:198], v[199:200]
	v_div_fmas_f64 v[193:194], v[193:194], v[195:196], v[197:198]
	v_div_fixup_f64 v[193:194], v[193:194], v[180:181], v[178:179]
	v_fma_f64 v[178:179], v[178:179], v[193:194], v[180:181]
	v_div_scale_f64 v[180:181], null, v[178:179], v[178:179], 1.0
	v_rcp_f64_e32 v[195:196], v[180:181]
	v_fma_f64 v[197:198], -v[180:181], v[195:196], 1.0
	v_fma_f64 v[195:196], v[195:196], v[197:198], v[195:196]
	v_fma_f64 v[197:198], -v[180:181], v[195:196], 1.0
	v_fma_f64 v[195:196], v[195:196], v[197:198], v[195:196]
	v_div_scale_f64 v[197:198], vcc_lo, 1.0, v[178:179], 1.0
	v_mul_f64 v[199:200], v[197:198], v[195:196]
	v_fma_f64 v[180:181], -v[180:181], v[199:200], v[197:198]
	v_div_fmas_f64 v[180:181], v[180:181], v[195:196], v[199:200]
	v_div_fixup_f64 v[180:181], v[180:181], v[178:179], 1.0
	v_mul_f64 v[178:179], v[193:194], v[180:181]
	v_xor_b32_e32 v181, 0x80000000, v181
.LBB86_196:
	s_andn2_saveexec_b32 s1, s1
	s_cbranch_execz .LBB86_198
; %bb.197:
	v_div_scale_f64 v[193:194], null, v[178:179], v[178:179], v[180:181]
	v_div_scale_f64 v[199:200], vcc_lo, v[180:181], v[178:179], v[180:181]
	v_rcp_f64_e32 v[195:196], v[193:194]
	v_fma_f64 v[197:198], -v[193:194], v[195:196], 1.0
	v_fma_f64 v[195:196], v[195:196], v[197:198], v[195:196]
	v_fma_f64 v[197:198], -v[193:194], v[195:196], 1.0
	v_fma_f64 v[195:196], v[195:196], v[197:198], v[195:196]
	v_mul_f64 v[197:198], v[199:200], v[195:196]
	v_fma_f64 v[193:194], -v[193:194], v[197:198], v[199:200]
	v_div_fmas_f64 v[193:194], v[193:194], v[195:196], v[197:198]
	v_div_fixup_f64 v[193:194], v[193:194], v[178:179], v[180:181]
	v_fma_f64 v[178:179], v[180:181], v[193:194], v[178:179]
	v_div_scale_f64 v[180:181], null, v[178:179], v[178:179], 1.0
	v_rcp_f64_e32 v[195:196], v[180:181]
	v_fma_f64 v[197:198], -v[180:181], v[195:196], 1.0
	v_fma_f64 v[195:196], v[195:196], v[197:198], v[195:196]
	v_fma_f64 v[197:198], -v[180:181], v[195:196], 1.0
	v_fma_f64 v[195:196], v[195:196], v[197:198], v[195:196]
	v_div_scale_f64 v[197:198], vcc_lo, 1.0, v[178:179], 1.0
	v_mul_f64 v[199:200], v[197:198], v[195:196]
	v_fma_f64 v[180:181], -v[180:181], v[199:200], v[197:198]
	v_div_fmas_f64 v[180:181], v[180:181], v[195:196], v[199:200]
	v_div_fixup_f64 v[178:179], v[180:181], v[178:179], 1.0
	v_mul_f64 v[180:181], v[193:194], -v[178:179]
.LBB86_198:
	s_or_b32 exec_lo, exec_lo, s1
.LBB86_199:
	s_or_b32 exec_lo, exec_lo, s0
	s_mov_b32 s0, exec_lo
	v_cmpx_ne_u32_e64 v192, v186
	s_xor_b32 s0, exec_lo, s0
	s_cbranch_execz .LBB86_205
; %bb.200:
	s_mov_b32 s1, exec_lo
	v_cmpx_eq_u32_e32 9, v192
	s_cbranch_execz .LBB86_204
; %bb.201:
	v_cmp_ne_u32_e32 vcc_lo, 9, v186
	s_xor_b32 s2, s16, -1
	s_and_b32 s3, s2, vcc_lo
	s_and_saveexec_b32 s2, s3
	s_cbranch_execz .LBB86_203
; %bb.202:
	v_ashrrev_i32_e32 v187, 31, v186
	v_lshlrev_b64 v[192:193], 2, v[186:187]
	v_add_co_u32 v192, vcc_lo, v184, v192
	v_add_co_ci_u32_e64 v193, null, v185, v193, vcc_lo
	s_clause 0x1
	global_load_dword v0, v[192:193], off
	global_load_dword v187, v[184:185], off offset:36
	s_waitcnt vmcnt(1)
	global_store_dword v[184:185], v0, off offset:36
	s_waitcnt vmcnt(0)
	global_store_dword v[192:193], v187, off
.LBB86_203:
	s_or_b32 exec_lo, exec_lo, s2
	v_mov_b32_e32 v192, v186
	v_mov_b32_e32 v0, v186
.LBB86_204:
	s_or_b32 exec_lo, exec_lo, s1
.LBB86_205:
	s_andn2_saveexec_b32 s0, s0
	s_cbranch_execz .LBB86_207
; %bb.206:
	v_mov_b32_e32 v192, 9
	ds_write2_b64 v1, v[134:135], v[136:137] offset0:20 offset1:21
	ds_write2_b64 v1, v[130:131], v[132:133] offset0:22 offset1:23
	ds_write2_b64 v1, v[126:127], v[128:129] offset0:24 offset1:25
	ds_write2_b64 v1, v[122:123], v[124:125] offset0:26 offset1:27
	ds_write2_b64 v1, v[118:119], v[120:121] offset0:28 offset1:29
	ds_write2_b64 v1, v[114:115], v[116:117] offset0:30 offset1:31
	ds_write2_b64 v1, v[110:111], v[112:113] offset0:32 offset1:33
	ds_write2_b64 v1, v[106:107], v[108:109] offset0:34 offset1:35
	ds_write2_b64 v1, v[102:103], v[104:105] offset0:36 offset1:37
	ds_write2_b64 v1, v[98:99], v[100:101] offset0:38 offset1:39
	ds_write2_b64 v1, v[94:95], v[96:97] offset0:40 offset1:41
	ds_write2_b64 v1, v[90:91], v[92:93] offset0:42 offset1:43
	ds_write2_b64 v1, v[86:87], v[88:89] offset0:44 offset1:45
	ds_write2_b64 v1, v[82:83], v[84:85] offset0:46 offset1:47
	ds_write2_b64 v1, v[78:79], v[80:81] offset0:48 offset1:49
	ds_write2_b64 v1, v[74:75], v[76:77] offset0:50 offset1:51
	ds_write2_b64 v1, v[70:71], v[72:73] offset0:52 offset1:53
	ds_write2_b64 v1, v[66:67], v[68:69] offset0:54 offset1:55
	ds_write2_b64 v1, v[62:63], v[64:65] offset0:56 offset1:57
	ds_write2_b64 v1, v[58:59], v[60:61] offset0:58 offset1:59
	ds_write2_b64 v1, v[54:55], v[56:57] offset0:60 offset1:61
	ds_write2_b64 v1, v[50:51], v[52:53] offset0:62 offset1:63
	ds_write2_b64 v1, v[46:47], v[48:49] offset0:64 offset1:65
	ds_write2_b64 v1, v[42:43], v[44:45] offset0:66 offset1:67
	ds_write2_b64 v1, v[38:39], v[40:41] offset0:68 offset1:69
	ds_write2_b64 v1, v[34:35], v[36:37] offset0:70 offset1:71
	ds_write2_b64 v1, v[30:31], v[32:33] offset0:72 offset1:73
	ds_write2_b64 v1, v[26:27], v[28:29] offset0:74 offset1:75
	ds_write2_b64 v1, v[22:23], v[24:25] offset0:76 offset1:77
	ds_write2_b64 v1, v[18:19], v[20:21] offset0:78 offset1:79
	ds_write2_b64 v1, v[14:15], v[16:17] offset0:80 offset1:81
	ds_write2_b64 v1, v[10:11], v[12:13] offset0:82 offset1:83
	ds_write2_b64 v1, v[6:7], v[8:9] offset0:84 offset1:85
	ds_write2_b64 v1, v[2:3], v[4:5] offset0:86 offset1:87
.LBB86_207:
	s_or_b32 exec_lo, exec_lo, s0
	s_mov_b32 s0, exec_lo
	s_waitcnt lgkmcnt(0)
	s_waitcnt_vscnt null, 0x0
	s_barrier
	buffer_gl0_inv
	v_cmpx_lt_i32_e32 9, v192
	s_cbranch_execz .LBB86_209
; %bb.208:
	v_mul_f64 v[186:187], v[180:181], v[140:141]
	v_mul_f64 v[140:141], v[178:179], v[140:141]
	v_fma_f64 v[186:187], v[178:179], v[138:139], -v[186:187]
	v_fma_f64 v[140:141], v[180:181], v[138:139], v[140:141]
	ds_read2_b64 v[178:181], v1 offset0:20 offset1:21
	s_waitcnt lgkmcnt(0)
	v_mul_f64 v[138:139], v[180:181], v[140:141]
	v_fma_f64 v[138:139], v[178:179], v[186:187], -v[138:139]
	v_mul_f64 v[178:179], v[178:179], v[140:141]
	v_add_f64 v[134:135], v[134:135], -v[138:139]
	v_fma_f64 v[178:179], v[180:181], v[186:187], v[178:179]
	v_add_f64 v[136:137], v[136:137], -v[178:179]
	ds_read2_b64 v[178:181], v1 offset0:22 offset1:23
	s_waitcnt lgkmcnt(0)
	v_mul_f64 v[138:139], v[180:181], v[140:141]
	v_fma_f64 v[138:139], v[178:179], v[186:187], -v[138:139]
	v_mul_f64 v[178:179], v[178:179], v[140:141]
	v_add_f64 v[130:131], v[130:131], -v[138:139]
	v_fma_f64 v[178:179], v[180:181], v[186:187], v[178:179]
	v_add_f64 v[132:133], v[132:133], -v[178:179]
	;; [unrolled: 8-line block ×33, first 2 shown]
	ds_read2_b64 v[178:181], v1 offset0:86 offset1:87
	s_waitcnt lgkmcnt(0)
	v_mul_f64 v[138:139], v[180:181], v[140:141]
	v_fma_f64 v[138:139], v[178:179], v[186:187], -v[138:139]
	v_mul_f64 v[178:179], v[178:179], v[140:141]
	v_add_f64 v[2:3], v[2:3], -v[138:139]
	v_fma_f64 v[178:179], v[180:181], v[186:187], v[178:179]
	v_mov_b32_e32 v138, v186
	v_mov_b32_e32 v139, v187
	v_add_f64 v[4:5], v[4:5], -v[178:179]
.LBB86_209:
	s_or_b32 exec_lo, exec_lo, s0
	v_lshl_add_u32 v178, v192, 4, v1
	s_barrier
	buffer_gl0_inv
	v_mov_b32_e32 v186, 10
	ds_write2_b64 v178, v[134:135], v[136:137] offset1:1
	s_waitcnt lgkmcnt(0)
	s_barrier
	buffer_gl0_inv
	ds_read2_b64 v[178:181], v1 offset0:20 offset1:21
	s_cmp_lt_i32 s18, 12
	s_cbranch_scc1 .LBB86_212
; %bb.210:
	v_add3_u32 v187, v188, 0, 0xb0
	v_mov_b32_e32 v186, 10
	s_mov_b32 s1, 11
	s_inst_prefetch 0x1
	.p2align	6
.LBB86_211:                             ; =>This Inner Loop Header: Depth=1
	s_waitcnt lgkmcnt(0)
	v_cmp_gt_f64_e32 vcc_lo, 0, v[180:181]
	v_cmp_gt_f64_e64 s0, 0, v[178:179]
	ds_read2_b64 v[193:196], v187 offset1:1
	v_xor_b32_e32 v198, 0x80000000, v179
	v_xor_b32_e32 v200, 0x80000000, v181
	v_mov_b32_e32 v197, v178
	v_mov_b32_e32 v199, v180
	v_add_nc_u32_e32 v187, 16, v187
	s_waitcnt lgkmcnt(0)
	v_xor_b32_e32 v202, 0x80000000, v196
	v_cndmask_b32_e64 v198, v179, v198, s0
	v_cndmask_b32_e32 v200, v181, v200, vcc_lo
	v_cmp_gt_f64_e32 vcc_lo, 0, v[195:196]
	v_cmp_gt_f64_e64 s0, 0, v[193:194]
	v_mov_b32_e32 v201, v195
	v_add_f64 v[197:198], v[197:198], v[199:200]
	v_xor_b32_e32 v200, 0x80000000, v194
	v_mov_b32_e32 v199, v193
	v_cndmask_b32_e32 v202, v196, v202, vcc_lo
	v_cndmask_b32_e64 v200, v194, v200, s0
	v_add_f64 v[199:200], v[199:200], v[201:202]
	v_cmp_lt_f64_e32 vcc_lo, v[197:198], v[199:200]
	v_cndmask_b32_e32 v179, v179, v194, vcc_lo
	v_cndmask_b32_e32 v178, v178, v193, vcc_lo
	;; [unrolled: 1-line block ×4, first 2 shown]
	v_cndmask_b32_e64 v186, v186, s1, vcc_lo
	s_add_i32 s1, s1, 1
	s_cmp_lg_u32 s18, s1
	s_cbranch_scc1 .LBB86_211
.LBB86_212:
	s_inst_prefetch 0x2
	s_waitcnt lgkmcnt(0)
	v_cmp_eq_f64_e32 vcc_lo, 0, v[178:179]
	v_cmp_eq_f64_e64 s0, 0, v[180:181]
	s_and_b32 s0, vcc_lo, s0
	s_and_saveexec_b32 s1, s0
	s_xor_b32 s0, exec_lo, s1
; %bb.213:
	v_cmp_ne_u32_e32 vcc_lo, 0, v191
	v_cndmask_b32_e32 v191, 11, v191, vcc_lo
; %bb.214:
	s_andn2_saveexec_b32 s0, s0
	s_cbranch_execz .LBB86_220
; %bb.215:
	v_cmp_ngt_f64_e64 s1, |v[178:179]|, |v[180:181]|
	s_and_saveexec_b32 s2, s1
	s_xor_b32 s1, exec_lo, s2
	s_cbranch_execz .LBB86_217
; %bb.216:
	v_div_scale_f64 v[193:194], null, v[180:181], v[180:181], v[178:179]
	v_div_scale_f64 v[199:200], vcc_lo, v[178:179], v[180:181], v[178:179]
	v_rcp_f64_e32 v[195:196], v[193:194]
	v_fma_f64 v[197:198], -v[193:194], v[195:196], 1.0
	v_fma_f64 v[195:196], v[195:196], v[197:198], v[195:196]
	v_fma_f64 v[197:198], -v[193:194], v[195:196], 1.0
	v_fma_f64 v[195:196], v[195:196], v[197:198], v[195:196]
	v_mul_f64 v[197:198], v[199:200], v[195:196]
	v_fma_f64 v[193:194], -v[193:194], v[197:198], v[199:200]
	v_div_fmas_f64 v[193:194], v[193:194], v[195:196], v[197:198]
	v_div_fixup_f64 v[193:194], v[193:194], v[180:181], v[178:179]
	v_fma_f64 v[178:179], v[178:179], v[193:194], v[180:181]
	v_div_scale_f64 v[180:181], null, v[178:179], v[178:179], 1.0
	v_rcp_f64_e32 v[195:196], v[180:181]
	v_fma_f64 v[197:198], -v[180:181], v[195:196], 1.0
	v_fma_f64 v[195:196], v[195:196], v[197:198], v[195:196]
	v_fma_f64 v[197:198], -v[180:181], v[195:196], 1.0
	v_fma_f64 v[195:196], v[195:196], v[197:198], v[195:196]
	v_div_scale_f64 v[197:198], vcc_lo, 1.0, v[178:179], 1.0
	v_mul_f64 v[199:200], v[197:198], v[195:196]
	v_fma_f64 v[180:181], -v[180:181], v[199:200], v[197:198]
	v_div_fmas_f64 v[180:181], v[180:181], v[195:196], v[199:200]
	v_div_fixup_f64 v[180:181], v[180:181], v[178:179], 1.0
	v_mul_f64 v[178:179], v[193:194], v[180:181]
	v_xor_b32_e32 v181, 0x80000000, v181
.LBB86_217:
	s_andn2_saveexec_b32 s1, s1
	s_cbranch_execz .LBB86_219
; %bb.218:
	v_div_scale_f64 v[193:194], null, v[178:179], v[178:179], v[180:181]
	v_div_scale_f64 v[199:200], vcc_lo, v[180:181], v[178:179], v[180:181]
	v_rcp_f64_e32 v[195:196], v[193:194]
	v_fma_f64 v[197:198], -v[193:194], v[195:196], 1.0
	v_fma_f64 v[195:196], v[195:196], v[197:198], v[195:196]
	v_fma_f64 v[197:198], -v[193:194], v[195:196], 1.0
	v_fma_f64 v[195:196], v[195:196], v[197:198], v[195:196]
	v_mul_f64 v[197:198], v[199:200], v[195:196]
	v_fma_f64 v[193:194], -v[193:194], v[197:198], v[199:200]
	v_div_fmas_f64 v[193:194], v[193:194], v[195:196], v[197:198]
	v_div_fixup_f64 v[193:194], v[193:194], v[178:179], v[180:181]
	v_fma_f64 v[178:179], v[180:181], v[193:194], v[178:179]
	v_div_scale_f64 v[180:181], null, v[178:179], v[178:179], 1.0
	v_rcp_f64_e32 v[195:196], v[180:181]
	v_fma_f64 v[197:198], -v[180:181], v[195:196], 1.0
	v_fma_f64 v[195:196], v[195:196], v[197:198], v[195:196]
	v_fma_f64 v[197:198], -v[180:181], v[195:196], 1.0
	v_fma_f64 v[195:196], v[195:196], v[197:198], v[195:196]
	v_div_scale_f64 v[197:198], vcc_lo, 1.0, v[178:179], 1.0
	v_mul_f64 v[199:200], v[197:198], v[195:196]
	v_fma_f64 v[180:181], -v[180:181], v[199:200], v[197:198]
	v_div_fmas_f64 v[180:181], v[180:181], v[195:196], v[199:200]
	v_div_fixup_f64 v[178:179], v[180:181], v[178:179], 1.0
	v_mul_f64 v[180:181], v[193:194], -v[178:179]
.LBB86_219:
	s_or_b32 exec_lo, exec_lo, s1
.LBB86_220:
	s_or_b32 exec_lo, exec_lo, s0
	s_mov_b32 s0, exec_lo
	v_cmpx_ne_u32_e64 v192, v186
	s_xor_b32 s0, exec_lo, s0
	s_cbranch_execz .LBB86_226
; %bb.221:
	s_mov_b32 s1, exec_lo
	v_cmpx_eq_u32_e32 10, v192
	s_cbranch_execz .LBB86_225
; %bb.222:
	v_cmp_ne_u32_e32 vcc_lo, 10, v186
	s_xor_b32 s2, s16, -1
	s_and_b32 s3, s2, vcc_lo
	s_and_saveexec_b32 s2, s3
	s_cbranch_execz .LBB86_224
; %bb.223:
	v_ashrrev_i32_e32 v187, 31, v186
	v_lshlrev_b64 v[192:193], 2, v[186:187]
	v_add_co_u32 v192, vcc_lo, v184, v192
	v_add_co_ci_u32_e64 v193, null, v185, v193, vcc_lo
	s_clause 0x1
	global_load_dword v0, v[192:193], off
	global_load_dword v187, v[184:185], off offset:40
	s_waitcnt vmcnt(1)
	global_store_dword v[184:185], v0, off offset:40
	s_waitcnt vmcnt(0)
	global_store_dword v[192:193], v187, off
.LBB86_224:
	s_or_b32 exec_lo, exec_lo, s2
	v_mov_b32_e32 v192, v186
	v_mov_b32_e32 v0, v186
.LBB86_225:
	s_or_b32 exec_lo, exec_lo, s1
.LBB86_226:
	s_andn2_saveexec_b32 s0, s0
	s_cbranch_execz .LBB86_228
; %bb.227:
	v_mov_b32_e32 v192, 10
	ds_write2_b64 v1, v[130:131], v[132:133] offset0:22 offset1:23
	ds_write2_b64 v1, v[126:127], v[128:129] offset0:24 offset1:25
	;; [unrolled: 1-line block ×33, first 2 shown]
.LBB86_228:
	s_or_b32 exec_lo, exec_lo, s0
	s_mov_b32 s0, exec_lo
	s_waitcnt lgkmcnt(0)
	s_waitcnt_vscnt null, 0x0
	s_barrier
	buffer_gl0_inv
	v_cmpx_lt_i32_e32 10, v192
	s_cbranch_execz .LBB86_230
; %bb.229:
	v_mul_f64 v[186:187], v[180:181], v[136:137]
	v_mul_f64 v[136:137], v[178:179], v[136:137]
	v_fma_f64 v[186:187], v[178:179], v[134:135], -v[186:187]
	v_fma_f64 v[136:137], v[180:181], v[134:135], v[136:137]
	ds_read2_b64 v[178:181], v1 offset0:22 offset1:23
	s_waitcnt lgkmcnt(0)
	v_mul_f64 v[134:135], v[180:181], v[136:137]
	v_fma_f64 v[134:135], v[178:179], v[186:187], -v[134:135]
	v_mul_f64 v[178:179], v[178:179], v[136:137]
	v_add_f64 v[130:131], v[130:131], -v[134:135]
	v_fma_f64 v[178:179], v[180:181], v[186:187], v[178:179]
	v_add_f64 v[132:133], v[132:133], -v[178:179]
	ds_read2_b64 v[178:181], v1 offset0:24 offset1:25
	s_waitcnt lgkmcnt(0)
	v_mul_f64 v[134:135], v[180:181], v[136:137]
	v_fma_f64 v[134:135], v[178:179], v[186:187], -v[134:135]
	v_mul_f64 v[178:179], v[178:179], v[136:137]
	v_add_f64 v[126:127], v[126:127], -v[134:135]
	v_fma_f64 v[178:179], v[180:181], v[186:187], v[178:179]
	v_add_f64 v[128:129], v[128:129], -v[178:179]
	;; [unrolled: 8-line block ×32, first 2 shown]
	ds_read2_b64 v[178:181], v1 offset0:86 offset1:87
	s_waitcnt lgkmcnt(0)
	v_mul_f64 v[134:135], v[180:181], v[136:137]
	v_fma_f64 v[134:135], v[178:179], v[186:187], -v[134:135]
	v_mul_f64 v[178:179], v[178:179], v[136:137]
	v_add_f64 v[2:3], v[2:3], -v[134:135]
	v_fma_f64 v[178:179], v[180:181], v[186:187], v[178:179]
	v_mov_b32_e32 v134, v186
	v_mov_b32_e32 v135, v187
	v_add_f64 v[4:5], v[4:5], -v[178:179]
.LBB86_230:
	s_or_b32 exec_lo, exec_lo, s0
	v_lshl_add_u32 v178, v192, 4, v1
	s_barrier
	buffer_gl0_inv
	v_mov_b32_e32 v186, 11
	ds_write2_b64 v178, v[130:131], v[132:133] offset1:1
	s_waitcnt lgkmcnt(0)
	s_barrier
	buffer_gl0_inv
	ds_read2_b64 v[178:181], v1 offset0:22 offset1:23
	s_cmp_lt_i32 s18, 13
	s_cbranch_scc1 .LBB86_233
; %bb.231:
	v_add3_u32 v187, v188, 0, 0xc0
	v_mov_b32_e32 v186, 11
	s_mov_b32 s1, 12
	s_inst_prefetch 0x1
	.p2align	6
.LBB86_232:                             ; =>This Inner Loop Header: Depth=1
	s_waitcnt lgkmcnt(0)
	v_cmp_gt_f64_e32 vcc_lo, 0, v[180:181]
	v_cmp_gt_f64_e64 s0, 0, v[178:179]
	ds_read2_b64 v[193:196], v187 offset1:1
	v_xor_b32_e32 v198, 0x80000000, v179
	v_xor_b32_e32 v200, 0x80000000, v181
	v_mov_b32_e32 v197, v178
	v_mov_b32_e32 v199, v180
	v_add_nc_u32_e32 v187, 16, v187
	s_waitcnt lgkmcnt(0)
	v_xor_b32_e32 v202, 0x80000000, v196
	v_cndmask_b32_e64 v198, v179, v198, s0
	v_cndmask_b32_e32 v200, v181, v200, vcc_lo
	v_cmp_gt_f64_e32 vcc_lo, 0, v[195:196]
	v_cmp_gt_f64_e64 s0, 0, v[193:194]
	v_mov_b32_e32 v201, v195
	v_add_f64 v[197:198], v[197:198], v[199:200]
	v_xor_b32_e32 v200, 0x80000000, v194
	v_mov_b32_e32 v199, v193
	v_cndmask_b32_e32 v202, v196, v202, vcc_lo
	v_cndmask_b32_e64 v200, v194, v200, s0
	v_add_f64 v[199:200], v[199:200], v[201:202]
	v_cmp_lt_f64_e32 vcc_lo, v[197:198], v[199:200]
	v_cndmask_b32_e32 v179, v179, v194, vcc_lo
	v_cndmask_b32_e32 v178, v178, v193, vcc_lo
	;; [unrolled: 1-line block ×4, first 2 shown]
	v_cndmask_b32_e64 v186, v186, s1, vcc_lo
	s_add_i32 s1, s1, 1
	s_cmp_lg_u32 s18, s1
	s_cbranch_scc1 .LBB86_232
.LBB86_233:
	s_inst_prefetch 0x2
	s_waitcnt lgkmcnt(0)
	v_cmp_eq_f64_e32 vcc_lo, 0, v[178:179]
	v_cmp_eq_f64_e64 s0, 0, v[180:181]
	s_and_b32 s0, vcc_lo, s0
	s_and_saveexec_b32 s1, s0
	s_xor_b32 s0, exec_lo, s1
; %bb.234:
	v_cmp_ne_u32_e32 vcc_lo, 0, v191
	v_cndmask_b32_e32 v191, 12, v191, vcc_lo
; %bb.235:
	s_andn2_saveexec_b32 s0, s0
	s_cbranch_execz .LBB86_241
; %bb.236:
	v_cmp_ngt_f64_e64 s1, |v[178:179]|, |v[180:181]|
	s_and_saveexec_b32 s2, s1
	s_xor_b32 s1, exec_lo, s2
	s_cbranch_execz .LBB86_238
; %bb.237:
	v_div_scale_f64 v[193:194], null, v[180:181], v[180:181], v[178:179]
	v_div_scale_f64 v[199:200], vcc_lo, v[178:179], v[180:181], v[178:179]
	v_rcp_f64_e32 v[195:196], v[193:194]
	v_fma_f64 v[197:198], -v[193:194], v[195:196], 1.0
	v_fma_f64 v[195:196], v[195:196], v[197:198], v[195:196]
	v_fma_f64 v[197:198], -v[193:194], v[195:196], 1.0
	v_fma_f64 v[195:196], v[195:196], v[197:198], v[195:196]
	v_mul_f64 v[197:198], v[199:200], v[195:196]
	v_fma_f64 v[193:194], -v[193:194], v[197:198], v[199:200]
	v_div_fmas_f64 v[193:194], v[193:194], v[195:196], v[197:198]
	v_div_fixup_f64 v[193:194], v[193:194], v[180:181], v[178:179]
	v_fma_f64 v[178:179], v[178:179], v[193:194], v[180:181]
	v_div_scale_f64 v[180:181], null, v[178:179], v[178:179], 1.0
	v_rcp_f64_e32 v[195:196], v[180:181]
	v_fma_f64 v[197:198], -v[180:181], v[195:196], 1.0
	v_fma_f64 v[195:196], v[195:196], v[197:198], v[195:196]
	v_fma_f64 v[197:198], -v[180:181], v[195:196], 1.0
	v_fma_f64 v[195:196], v[195:196], v[197:198], v[195:196]
	v_div_scale_f64 v[197:198], vcc_lo, 1.0, v[178:179], 1.0
	v_mul_f64 v[199:200], v[197:198], v[195:196]
	v_fma_f64 v[180:181], -v[180:181], v[199:200], v[197:198]
	v_div_fmas_f64 v[180:181], v[180:181], v[195:196], v[199:200]
	v_div_fixup_f64 v[180:181], v[180:181], v[178:179], 1.0
	v_mul_f64 v[178:179], v[193:194], v[180:181]
	v_xor_b32_e32 v181, 0x80000000, v181
.LBB86_238:
	s_andn2_saveexec_b32 s1, s1
	s_cbranch_execz .LBB86_240
; %bb.239:
	v_div_scale_f64 v[193:194], null, v[178:179], v[178:179], v[180:181]
	v_div_scale_f64 v[199:200], vcc_lo, v[180:181], v[178:179], v[180:181]
	v_rcp_f64_e32 v[195:196], v[193:194]
	v_fma_f64 v[197:198], -v[193:194], v[195:196], 1.0
	v_fma_f64 v[195:196], v[195:196], v[197:198], v[195:196]
	v_fma_f64 v[197:198], -v[193:194], v[195:196], 1.0
	v_fma_f64 v[195:196], v[195:196], v[197:198], v[195:196]
	v_mul_f64 v[197:198], v[199:200], v[195:196]
	v_fma_f64 v[193:194], -v[193:194], v[197:198], v[199:200]
	v_div_fmas_f64 v[193:194], v[193:194], v[195:196], v[197:198]
	v_div_fixup_f64 v[193:194], v[193:194], v[178:179], v[180:181]
	v_fma_f64 v[178:179], v[180:181], v[193:194], v[178:179]
	v_div_scale_f64 v[180:181], null, v[178:179], v[178:179], 1.0
	v_rcp_f64_e32 v[195:196], v[180:181]
	v_fma_f64 v[197:198], -v[180:181], v[195:196], 1.0
	v_fma_f64 v[195:196], v[195:196], v[197:198], v[195:196]
	v_fma_f64 v[197:198], -v[180:181], v[195:196], 1.0
	v_fma_f64 v[195:196], v[195:196], v[197:198], v[195:196]
	v_div_scale_f64 v[197:198], vcc_lo, 1.0, v[178:179], 1.0
	v_mul_f64 v[199:200], v[197:198], v[195:196]
	v_fma_f64 v[180:181], -v[180:181], v[199:200], v[197:198]
	v_div_fmas_f64 v[180:181], v[180:181], v[195:196], v[199:200]
	v_div_fixup_f64 v[178:179], v[180:181], v[178:179], 1.0
	v_mul_f64 v[180:181], v[193:194], -v[178:179]
.LBB86_240:
	s_or_b32 exec_lo, exec_lo, s1
.LBB86_241:
	s_or_b32 exec_lo, exec_lo, s0
	s_mov_b32 s0, exec_lo
	v_cmpx_ne_u32_e64 v192, v186
	s_xor_b32 s0, exec_lo, s0
	s_cbranch_execz .LBB86_247
; %bb.242:
	s_mov_b32 s1, exec_lo
	v_cmpx_eq_u32_e32 11, v192
	s_cbranch_execz .LBB86_246
; %bb.243:
	v_cmp_ne_u32_e32 vcc_lo, 11, v186
	s_xor_b32 s2, s16, -1
	s_and_b32 s3, s2, vcc_lo
	s_and_saveexec_b32 s2, s3
	s_cbranch_execz .LBB86_245
; %bb.244:
	v_ashrrev_i32_e32 v187, 31, v186
	v_lshlrev_b64 v[192:193], 2, v[186:187]
	v_add_co_u32 v192, vcc_lo, v184, v192
	v_add_co_ci_u32_e64 v193, null, v185, v193, vcc_lo
	s_clause 0x1
	global_load_dword v0, v[192:193], off
	global_load_dword v187, v[184:185], off offset:44
	s_waitcnt vmcnt(1)
	global_store_dword v[184:185], v0, off offset:44
	s_waitcnt vmcnt(0)
	global_store_dword v[192:193], v187, off
.LBB86_245:
	s_or_b32 exec_lo, exec_lo, s2
	v_mov_b32_e32 v192, v186
	v_mov_b32_e32 v0, v186
.LBB86_246:
	s_or_b32 exec_lo, exec_lo, s1
.LBB86_247:
	s_andn2_saveexec_b32 s0, s0
	s_cbranch_execz .LBB86_249
; %bb.248:
	v_mov_b32_e32 v192, 11
	ds_write2_b64 v1, v[126:127], v[128:129] offset0:24 offset1:25
	ds_write2_b64 v1, v[122:123], v[124:125] offset0:26 offset1:27
	;; [unrolled: 1-line block ×32, first 2 shown]
.LBB86_249:
	s_or_b32 exec_lo, exec_lo, s0
	s_mov_b32 s0, exec_lo
	s_waitcnt lgkmcnt(0)
	s_waitcnt_vscnt null, 0x0
	s_barrier
	buffer_gl0_inv
	v_cmpx_lt_i32_e32 11, v192
	s_cbranch_execz .LBB86_251
; %bb.250:
	v_mul_f64 v[186:187], v[180:181], v[132:133]
	v_mul_f64 v[132:133], v[178:179], v[132:133]
	v_fma_f64 v[186:187], v[178:179], v[130:131], -v[186:187]
	v_fma_f64 v[132:133], v[180:181], v[130:131], v[132:133]
	ds_read2_b64 v[178:181], v1 offset0:24 offset1:25
	s_waitcnt lgkmcnt(0)
	v_mul_f64 v[130:131], v[180:181], v[132:133]
	v_fma_f64 v[130:131], v[178:179], v[186:187], -v[130:131]
	v_mul_f64 v[178:179], v[178:179], v[132:133]
	v_add_f64 v[126:127], v[126:127], -v[130:131]
	v_fma_f64 v[178:179], v[180:181], v[186:187], v[178:179]
	v_add_f64 v[128:129], v[128:129], -v[178:179]
	ds_read2_b64 v[178:181], v1 offset0:26 offset1:27
	s_waitcnt lgkmcnt(0)
	v_mul_f64 v[130:131], v[180:181], v[132:133]
	v_fma_f64 v[130:131], v[178:179], v[186:187], -v[130:131]
	v_mul_f64 v[178:179], v[178:179], v[132:133]
	v_add_f64 v[122:123], v[122:123], -v[130:131]
	v_fma_f64 v[178:179], v[180:181], v[186:187], v[178:179]
	v_add_f64 v[124:125], v[124:125], -v[178:179]
	ds_read2_b64 v[178:181], v1 offset0:28 offset1:29
	s_waitcnt lgkmcnt(0)
	v_mul_f64 v[130:131], v[180:181], v[132:133]
	v_fma_f64 v[130:131], v[178:179], v[186:187], -v[130:131]
	v_mul_f64 v[178:179], v[178:179], v[132:133]
	v_add_f64 v[118:119], v[118:119], -v[130:131]
	v_fma_f64 v[178:179], v[180:181], v[186:187], v[178:179]
	v_add_f64 v[120:121], v[120:121], -v[178:179]
	ds_read2_b64 v[178:181], v1 offset0:30 offset1:31
	s_waitcnt lgkmcnt(0)
	v_mul_f64 v[130:131], v[180:181], v[132:133]
	v_fma_f64 v[130:131], v[178:179], v[186:187], -v[130:131]
	v_mul_f64 v[178:179], v[178:179], v[132:133]
	v_add_f64 v[114:115], v[114:115], -v[130:131]
	v_fma_f64 v[178:179], v[180:181], v[186:187], v[178:179]
	v_add_f64 v[116:117], v[116:117], -v[178:179]
	ds_read2_b64 v[178:181], v1 offset0:32 offset1:33
	s_waitcnt lgkmcnt(0)
	v_mul_f64 v[130:131], v[180:181], v[132:133]
	v_fma_f64 v[130:131], v[178:179], v[186:187], -v[130:131]
	v_mul_f64 v[178:179], v[178:179], v[132:133]
	v_add_f64 v[110:111], v[110:111], -v[130:131]
	v_fma_f64 v[178:179], v[180:181], v[186:187], v[178:179]
	v_add_f64 v[112:113], v[112:113], -v[178:179]
	ds_read2_b64 v[178:181], v1 offset0:34 offset1:35
	s_waitcnt lgkmcnt(0)
	v_mul_f64 v[130:131], v[180:181], v[132:133]
	v_fma_f64 v[130:131], v[178:179], v[186:187], -v[130:131]
	v_mul_f64 v[178:179], v[178:179], v[132:133]
	v_add_f64 v[106:107], v[106:107], -v[130:131]
	v_fma_f64 v[178:179], v[180:181], v[186:187], v[178:179]
	v_add_f64 v[108:109], v[108:109], -v[178:179]
	ds_read2_b64 v[178:181], v1 offset0:36 offset1:37
	s_waitcnt lgkmcnt(0)
	v_mul_f64 v[130:131], v[180:181], v[132:133]
	v_fma_f64 v[130:131], v[178:179], v[186:187], -v[130:131]
	v_mul_f64 v[178:179], v[178:179], v[132:133]
	v_add_f64 v[102:103], v[102:103], -v[130:131]
	v_fma_f64 v[178:179], v[180:181], v[186:187], v[178:179]
	v_add_f64 v[104:105], v[104:105], -v[178:179]
	ds_read2_b64 v[178:181], v1 offset0:38 offset1:39
	s_waitcnt lgkmcnt(0)
	v_mul_f64 v[130:131], v[180:181], v[132:133]
	v_fma_f64 v[130:131], v[178:179], v[186:187], -v[130:131]
	v_mul_f64 v[178:179], v[178:179], v[132:133]
	v_add_f64 v[98:99], v[98:99], -v[130:131]
	v_fma_f64 v[178:179], v[180:181], v[186:187], v[178:179]
	v_add_f64 v[100:101], v[100:101], -v[178:179]
	ds_read2_b64 v[178:181], v1 offset0:40 offset1:41
	s_waitcnt lgkmcnt(0)
	v_mul_f64 v[130:131], v[180:181], v[132:133]
	v_fma_f64 v[130:131], v[178:179], v[186:187], -v[130:131]
	v_mul_f64 v[178:179], v[178:179], v[132:133]
	v_add_f64 v[94:95], v[94:95], -v[130:131]
	v_fma_f64 v[178:179], v[180:181], v[186:187], v[178:179]
	v_add_f64 v[96:97], v[96:97], -v[178:179]
	ds_read2_b64 v[178:181], v1 offset0:42 offset1:43
	s_waitcnt lgkmcnt(0)
	v_mul_f64 v[130:131], v[180:181], v[132:133]
	v_fma_f64 v[130:131], v[178:179], v[186:187], -v[130:131]
	v_mul_f64 v[178:179], v[178:179], v[132:133]
	v_add_f64 v[90:91], v[90:91], -v[130:131]
	v_fma_f64 v[178:179], v[180:181], v[186:187], v[178:179]
	v_add_f64 v[92:93], v[92:93], -v[178:179]
	ds_read2_b64 v[178:181], v1 offset0:44 offset1:45
	s_waitcnt lgkmcnt(0)
	v_mul_f64 v[130:131], v[180:181], v[132:133]
	v_fma_f64 v[130:131], v[178:179], v[186:187], -v[130:131]
	v_mul_f64 v[178:179], v[178:179], v[132:133]
	v_add_f64 v[86:87], v[86:87], -v[130:131]
	v_fma_f64 v[178:179], v[180:181], v[186:187], v[178:179]
	v_add_f64 v[88:89], v[88:89], -v[178:179]
	ds_read2_b64 v[178:181], v1 offset0:46 offset1:47
	s_waitcnt lgkmcnt(0)
	v_mul_f64 v[130:131], v[180:181], v[132:133]
	v_fma_f64 v[130:131], v[178:179], v[186:187], -v[130:131]
	v_mul_f64 v[178:179], v[178:179], v[132:133]
	v_add_f64 v[82:83], v[82:83], -v[130:131]
	v_fma_f64 v[178:179], v[180:181], v[186:187], v[178:179]
	v_add_f64 v[84:85], v[84:85], -v[178:179]
	ds_read2_b64 v[178:181], v1 offset0:48 offset1:49
	s_waitcnt lgkmcnt(0)
	v_mul_f64 v[130:131], v[180:181], v[132:133]
	v_fma_f64 v[130:131], v[178:179], v[186:187], -v[130:131]
	v_mul_f64 v[178:179], v[178:179], v[132:133]
	v_add_f64 v[78:79], v[78:79], -v[130:131]
	v_fma_f64 v[178:179], v[180:181], v[186:187], v[178:179]
	v_add_f64 v[80:81], v[80:81], -v[178:179]
	ds_read2_b64 v[178:181], v1 offset0:50 offset1:51
	s_waitcnt lgkmcnt(0)
	v_mul_f64 v[130:131], v[180:181], v[132:133]
	v_fma_f64 v[130:131], v[178:179], v[186:187], -v[130:131]
	v_mul_f64 v[178:179], v[178:179], v[132:133]
	v_add_f64 v[74:75], v[74:75], -v[130:131]
	v_fma_f64 v[178:179], v[180:181], v[186:187], v[178:179]
	v_add_f64 v[76:77], v[76:77], -v[178:179]
	ds_read2_b64 v[178:181], v1 offset0:52 offset1:53
	s_waitcnt lgkmcnt(0)
	v_mul_f64 v[130:131], v[180:181], v[132:133]
	v_fma_f64 v[130:131], v[178:179], v[186:187], -v[130:131]
	v_mul_f64 v[178:179], v[178:179], v[132:133]
	v_add_f64 v[70:71], v[70:71], -v[130:131]
	v_fma_f64 v[178:179], v[180:181], v[186:187], v[178:179]
	v_add_f64 v[72:73], v[72:73], -v[178:179]
	ds_read2_b64 v[178:181], v1 offset0:54 offset1:55
	s_waitcnt lgkmcnt(0)
	v_mul_f64 v[130:131], v[180:181], v[132:133]
	v_fma_f64 v[130:131], v[178:179], v[186:187], -v[130:131]
	v_mul_f64 v[178:179], v[178:179], v[132:133]
	v_add_f64 v[66:67], v[66:67], -v[130:131]
	v_fma_f64 v[178:179], v[180:181], v[186:187], v[178:179]
	v_add_f64 v[68:69], v[68:69], -v[178:179]
	ds_read2_b64 v[178:181], v1 offset0:56 offset1:57
	s_waitcnt lgkmcnt(0)
	v_mul_f64 v[130:131], v[180:181], v[132:133]
	v_fma_f64 v[130:131], v[178:179], v[186:187], -v[130:131]
	v_mul_f64 v[178:179], v[178:179], v[132:133]
	v_add_f64 v[62:63], v[62:63], -v[130:131]
	v_fma_f64 v[178:179], v[180:181], v[186:187], v[178:179]
	v_add_f64 v[64:65], v[64:65], -v[178:179]
	ds_read2_b64 v[178:181], v1 offset0:58 offset1:59
	s_waitcnt lgkmcnt(0)
	v_mul_f64 v[130:131], v[180:181], v[132:133]
	v_fma_f64 v[130:131], v[178:179], v[186:187], -v[130:131]
	v_mul_f64 v[178:179], v[178:179], v[132:133]
	v_add_f64 v[58:59], v[58:59], -v[130:131]
	v_fma_f64 v[178:179], v[180:181], v[186:187], v[178:179]
	v_add_f64 v[60:61], v[60:61], -v[178:179]
	ds_read2_b64 v[178:181], v1 offset0:60 offset1:61
	s_waitcnt lgkmcnt(0)
	v_mul_f64 v[130:131], v[180:181], v[132:133]
	v_fma_f64 v[130:131], v[178:179], v[186:187], -v[130:131]
	v_mul_f64 v[178:179], v[178:179], v[132:133]
	v_add_f64 v[54:55], v[54:55], -v[130:131]
	v_fma_f64 v[178:179], v[180:181], v[186:187], v[178:179]
	v_add_f64 v[56:57], v[56:57], -v[178:179]
	ds_read2_b64 v[178:181], v1 offset0:62 offset1:63
	s_waitcnt lgkmcnt(0)
	v_mul_f64 v[130:131], v[180:181], v[132:133]
	v_fma_f64 v[130:131], v[178:179], v[186:187], -v[130:131]
	v_mul_f64 v[178:179], v[178:179], v[132:133]
	v_add_f64 v[50:51], v[50:51], -v[130:131]
	v_fma_f64 v[178:179], v[180:181], v[186:187], v[178:179]
	v_add_f64 v[52:53], v[52:53], -v[178:179]
	ds_read2_b64 v[178:181], v1 offset0:64 offset1:65
	s_waitcnt lgkmcnt(0)
	v_mul_f64 v[130:131], v[180:181], v[132:133]
	v_fma_f64 v[130:131], v[178:179], v[186:187], -v[130:131]
	v_mul_f64 v[178:179], v[178:179], v[132:133]
	v_add_f64 v[46:47], v[46:47], -v[130:131]
	v_fma_f64 v[178:179], v[180:181], v[186:187], v[178:179]
	v_add_f64 v[48:49], v[48:49], -v[178:179]
	ds_read2_b64 v[178:181], v1 offset0:66 offset1:67
	s_waitcnt lgkmcnt(0)
	v_mul_f64 v[130:131], v[180:181], v[132:133]
	v_fma_f64 v[130:131], v[178:179], v[186:187], -v[130:131]
	v_mul_f64 v[178:179], v[178:179], v[132:133]
	v_add_f64 v[42:43], v[42:43], -v[130:131]
	v_fma_f64 v[178:179], v[180:181], v[186:187], v[178:179]
	v_add_f64 v[44:45], v[44:45], -v[178:179]
	ds_read2_b64 v[178:181], v1 offset0:68 offset1:69
	s_waitcnt lgkmcnt(0)
	v_mul_f64 v[130:131], v[180:181], v[132:133]
	v_fma_f64 v[130:131], v[178:179], v[186:187], -v[130:131]
	v_mul_f64 v[178:179], v[178:179], v[132:133]
	v_add_f64 v[38:39], v[38:39], -v[130:131]
	v_fma_f64 v[178:179], v[180:181], v[186:187], v[178:179]
	v_add_f64 v[40:41], v[40:41], -v[178:179]
	ds_read2_b64 v[178:181], v1 offset0:70 offset1:71
	s_waitcnt lgkmcnt(0)
	v_mul_f64 v[130:131], v[180:181], v[132:133]
	v_fma_f64 v[130:131], v[178:179], v[186:187], -v[130:131]
	v_mul_f64 v[178:179], v[178:179], v[132:133]
	v_add_f64 v[34:35], v[34:35], -v[130:131]
	v_fma_f64 v[178:179], v[180:181], v[186:187], v[178:179]
	v_add_f64 v[36:37], v[36:37], -v[178:179]
	ds_read2_b64 v[178:181], v1 offset0:72 offset1:73
	s_waitcnt lgkmcnt(0)
	v_mul_f64 v[130:131], v[180:181], v[132:133]
	v_fma_f64 v[130:131], v[178:179], v[186:187], -v[130:131]
	v_mul_f64 v[178:179], v[178:179], v[132:133]
	v_add_f64 v[30:31], v[30:31], -v[130:131]
	v_fma_f64 v[178:179], v[180:181], v[186:187], v[178:179]
	v_add_f64 v[32:33], v[32:33], -v[178:179]
	ds_read2_b64 v[178:181], v1 offset0:74 offset1:75
	s_waitcnt lgkmcnt(0)
	v_mul_f64 v[130:131], v[180:181], v[132:133]
	v_fma_f64 v[130:131], v[178:179], v[186:187], -v[130:131]
	v_mul_f64 v[178:179], v[178:179], v[132:133]
	v_add_f64 v[26:27], v[26:27], -v[130:131]
	v_fma_f64 v[178:179], v[180:181], v[186:187], v[178:179]
	v_add_f64 v[28:29], v[28:29], -v[178:179]
	ds_read2_b64 v[178:181], v1 offset0:76 offset1:77
	s_waitcnt lgkmcnt(0)
	v_mul_f64 v[130:131], v[180:181], v[132:133]
	v_fma_f64 v[130:131], v[178:179], v[186:187], -v[130:131]
	v_mul_f64 v[178:179], v[178:179], v[132:133]
	v_add_f64 v[22:23], v[22:23], -v[130:131]
	v_fma_f64 v[178:179], v[180:181], v[186:187], v[178:179]
	v_add_f64 v[24:25], v[24:25], -v[178:179]
	ds_read2_b64 v[178:181], v1 offset0:78 offset1:79
	s_waitcnt lgkmcnt(0)
	v_mul_f64 v[130:131], v[180:181], v[132:133]
	v_fma_f64 v[130:131], v[178:179], v[186:187], -v[130:131]
	v_mul_f64 v[178:179], v[178:179], v[132:133]
	v_add_f64 v[18:19], v[18:19], -v[130:131]
	v_fma_f64 v[178:179], v[180:181], v[186:187], v[178:179]
	v_add_f64 v[20:21], v[20:21], -v[178:179]
	ds_read2_b64 v[178:181], v1 offset0:80 offset1:81
	s_waitcnt lgkmcnt(0)
	v_mul_f64 v[130:131], v[180:181], v[132:133]
	v_fma_f64 v[130:131], v[178:179], v[186:187], -v[130:131]
	v_mul_f64 v[178:179], v[178:179], v[132:133]
	v_add_f64 v[14:15], v[14:15], -v[130:131]
	v_fma_f64 v[178:179], v[180:181], v[186:187], v[178:179]
	v_add_f64 v[16:17], v[16:17], -v[178:179]
	ds_read2_b64 v[178:181], v1 offset0:82 offset1:83
	s_waitcnt lgkmcnt(0)
	v_mul_f64 v[130:131], v[180:181], v[132:133]
	v_fma_f64 v[130:131], v[178:179], v[186:187], -v[130:131]
	v_mul_f64 v[178:179], v[178:179], v[132:133]
	v_add_f64 v[10:11], v[10:11], -v[130:131]
	v_fma_f64 v[178:179], v[180:181], v[186:187], v[178:179]
	v_add_f64 v[12:13], v[12:13], -v[178:179]
	ds_read2_b64 v[178:181], v1 offset0:84 offset1:85
	s_waitcnt lgkmcnt(0)
	v_mul_f64 v[130:131], v[180:181], v[132:133]
	v_fma_f64 v[130:131], v[178:179], v[186:187], -v[130:131]
	v_mul_f64 v[178:179], v[178:179], v[132:133]
	v_add_f64 v[6:7], v[6:7], -v[130:131]
	v_fma_f64 v[178:179], v[180:181], v[186:187], v[178:179]
	v_add_f64 v[8:9], v[8:9], -v[178:179]
	ds_read2_b64 v[178:181], v1 offset0:86 offset1:87
	s_waitcnt lgkmcnt(0)
	v_mul_f64 v[130:131], v[180:181], v[132:133]
	v_fma_f64 v[130:131], v[178:179], v[186:187], -v[130:131]
	v_mul_f64 v[178:179], v[178:179], v[132:133]
	v_add_f64 v[2:3], v[2:3], -v[130:131]
	v_fma_f64 v[178:179], v[180:181], v[186:187], v[178:179]
	v_mov_b32_e32 v130, v186
	v_mov_b32_e32 v131, v187
	v_add_f64 v[4:5], v[4:5], -v[178:179]
.LBB86_251:
	s_or_b32 exec_lo, exec_lo, s0
	v_lshl_add_u32 v178, v192, 4, v1
	s_barrier
	buffer_gl0_inv
	v_mov_b32_e32 v186, 12
	ds_write2_b64 v178, v[126:127], v[128:129] offset1:1
	s_waitcnt lgkmcnt(0)
	s_barrier
	buffer_gl0_inv
	ds_read2_b64 v[178:181], v1 offset0:24 offset1:25
	s_cmp_lt_i32 s18, 14
	s_cbranch_scc1 .LBB86_254
; %bb.252:
	v_add3_u32 v187, v188, 0, 0xd0
	v_mov_b32_e32 v186, 12
	s_mov_b32 s1, 13
	s_inst_prefetch 0x1
	.p2align	6
.LBB86_253:                             ; =>This Inner Loop Header: Depth=1
	s_waitcnt lgkmcnt(0)
	v_cmp_gt_f64_e32 vcc_lo, 0, v[180:181]
	v_cmp_gt_f64_e64 s0, 0, v[178:179]
	ds_read2_b64 v[193:196], v187 offset1:1
	v_xor_b32_e32 v198, 0x80000000, v179
	v_xor_b32_e32 v200, 0x80000000, v181
	v_mov_b32_e32 v197, v178
	v_mov_b32_e32 v199, v180
	v_add_nc_u32_e32 v187, 16, v187
	s_waitcnt lgkmcnt(0)
	v_xor_b32_e32 v202, 0x80000000, v196
	v_cndmask_b32_e64 v198, v179, v198, s0
	v_cndmask_b32_e32 v200, v181, v200, vcc_lo
	v_cmp_gt_f64_e32 vcc_lo, 0, v[195:196]
	v_cmp_gt_f64_e64 s0, 0, v[193:194]
	v_mov_b32_e32 v201, v195
	v_add_f64 v[197:198], v[197:198], v[199:200]
	v_xor_b32_e32 v200, 0x80000000, v194
	v_mov_b32_e32 v199, v193
	v_cndmask_b32_e32 v202, v196, v202, vcc_lo
	v_cndmask_b32_e64 v200, v194, v200, s0
	v_add_f64 v[199:200], v[199:200], v[201:202]
	v_cmp_lt_f64_e32 vcc_lo, v[197:198], v[199:200]
	v_cndmask_b32_e32 v179, v179, v194, vcc_lo
	v_cndmask_b32_e32 v178, v178, v193, vcc_lo
	;; [unrolled: 1-line block ×4, first 2 shown]
	v_cndmask_b32_e64 v186, v186, s1, vcc_lo
	s_add_i32 s1, s1, 1
	s_cmp_lg_u32 s18, s1
	s_cbranch_scc1 .LBB86_253
.LBB86_254:
	s_inst_prefetch 0x2
	s_waitcnt lgkmcnt(0)
	v_cmp_eq_f64_e32 vcc_lo, 0, v[178:179]
	v_cmp_eq_f64_e64 s0, 0, v[180:181]
	s_and_b32 s0, vcc_lo, s0
	s_and_saveexec_b32 s1, s0
	s_xor_b32 s0, exec_lo, s1
; %bb.255:
	v_cmp_ne_u32_e32 vcc_lo, 0, v191
	v_cndmask_b32_e32 v191, 13, v191, vcc_lo
; %bb.256:
	s_andn2_saveexec_b32 s0, s0
	s_cbranch_execz .LBB86_262
; %bb.257:
	v_cmp_ngt_f64_e64 s1, |v[178:179]|, |v[180:181]|
	s_and_saveexec_b32 s2, s1
	s_xor_b32 s1, exec_lo, s2
	s_cbranch_execz .LBB86_259
; %bb.258:
	v_div_scale_f64 v[193:194], null, v[180:181], v[180:181], v[178:179]
	v_div_scale_f64 v[199:200], vcc_lo, v[178:179], v[180:181], v[178:179]
	v_rcp_f64_e32 v[195:196], v[193:194]
	v_fma_f64 v[197:198], -v[193:194], v[195:196], 1.0
	v_fma_f64 v[195:196], v[195:196], v[197:198], v[195:196]
	v_fma_f64 v[197:198], -v[193:194], v[195:196], 1.0
	v_fma_f64 v[195:196], v[195:196], v[197:198], v[195:196]
	v_mul_f64 v[197:198], v[199:200], v[195:196]
	v_fma_f64 v[193:194], -v[193:194], v[197:198], v[199:200]
	v_div_fmas_f64 v[193:194], v[193:194], v[195:196], v[197:198]
	v_div_fixup_f64 v[193:194], v[193:194], v[180:181], v[178:179]
	v_fma_f64 v[178:179], v[178:179], v[193:194], v[180:181]
	v_div_scale_f64 v[180:181], null, v[178:179], v[178:179], 1.0
	v_rcp_f64_e32 v[195:196], v[180:181]
	v_fma_f64 v[197:198], -v[180:181], v[195:196], 1.0
	v_fma_f64 v[195:196], v[195:196], v[197:198], v[195:196]
	v_fma_f64 v[197:198], -v[180:181], v[195:196], 1.0
	v_fma_f64 v[195:196], v[195:196], v[197:198], v[195:196]
	v_div_scale_f64 v[197:198], vcc_lo, 1.0, v[178:179], 1.0
	v_mul_f64 v[199:200], v[197:198], v[195:196]
	v_fma_f64 v[180:181], -v[180:181], v[199:200], v[197:198]
	v_div_fmas_f64 v[180:181], v[180:181], v[195:196], v[199:200]
	v_div_fixup_f64 v[180:181], v[180:181], v[178:179], 1.0
	v_mul_f64 v[178:179], v[193:194], v[180:181]
	v_xor_b32_e32 v181, 0x80000000, v181
.LBB86_259:
	s_andn2_saveexec_b32 s1, s1
	s_cbranch_execz .LBB86_261
; %bb.260:
	v_div_scale_f64 v[193:194], null, v[178:179], v[178:179], v[180:181]
	v_div_scale_f64 v[199:200], vcc_lo, v[180:181], v[178:179], v[180:181]
	v_rcp_f64_e32 v[195:196], v[193:194]
	v_fma_f64 v[197:198], -v[193:194], v[195:196], 1.0
	v_fma_f64 v[195:196], v[195:196], v[197:198], v[195:196]
	v_fma_f64 v[197:198], -v[193:194], v[195:196], 1.0
	v_fma_f64 v[195:196], v[195:196], v[197:198], v[195:196]
	v_mul_f64 v[197:198], v[199:200], v[195:196]
	v_fma_f64 v[193:194], -v[193:194], v[197:198], v[199:200]
	v_div_fmas_f64 v[193:194], v[193:194], v[195:196], v[197:198]
	v_div_fixup_f64 v[193:194], v[193:194], v[178:179], v[180:181]
	v_fma_f64 v[178:179], v[180:181], v[193:194], v[178:179]
	v_div_scale_f64 v[180:181], null, v[178:179], v[178:179], 1.0
	v_rcp_f64_e32 v[195:196], v[180:181]
	v_fma_f64 v[197:198], -v[180:181], v[195:196], 1.0
	v_fma_f64 v[195:196], v[195:196], v[197:198], v[195:196]
	v_fma_f64 v[197:198], -v[180:181], v[195:196], 1.0
	v_fma_f64 v[195:196], v[195:196], v[197:198], v[195:196]
	v_div_scale_f64 v[197:198], vcc_lo, 1.0, v[178:179], 1.0
	v_mul_f64 v[199:200], v[197:198], v[195:196]
	v_fma_f64 v[180:181], -v[180:181], v[199:200], v[197:198]
	v_div_fmas_f64 v[180:181], v[180:181], v[195:196], v[199:200]
	v_div_fixup_f64 v[178:179], v[180:181], v[178:179], 1.0
	v_mul_f64 v[180:181], v[193:194], -v[178:179]
.LBB86_261:
	s_or_b32 exec_lo, exec_lo, s1
.LBB86_262:
	s_or_b32 exec_lo, exec_lo, s0
	s_mov_b32 s0, exec_lo
	v_cmpx_ne_u32_e64 v192, v186
	s_xor_b32 s0, exec_lo, s0
	s_cbranch_execz .LBB86_268
; %bb.263:
	s_mov_b32 s1, exec_lo
	v_cmpx_eq_u32_e32 12, v192
	s_cbranch_execz .LBB86_267
; %bb.264:
	v_cmp_ne_u32_e32 vcc_lo, 12, v186
	s_xor_b32 s2, s16, -1
	s_and_b32 s3, s2, vcc_lo
	s_and_saveexec_b32 s2, s3
	s_cbranch_execz .LBB86_266
; %bb.265:
	v_ashrrev_i32_e32 v187, 31, v186
	v_lshlrev_b64 v[192:193], 2, v[186:187]
	v_add_co_u32 v192, vcc_lo, v184, v192
	v_add_co_ci_u32_e64 v193, null, v185, v193, vcc_lo
	s_clause 0x1
	global_load_dword v0, v[192:193], off
	global_load_dword v187, v[184:185], off offset:48
	s_waitcnt vmcnt(1)
	global_store_dword v[184:185], v0, off offset:48
	s_waitcnt vmcnt(0)
	global_store_dword v[192:193], v187, off
.LBB86_266:
	s_or_b32 exec_lo, exec_lo, s2
	v_mov_b32_e32 v192, v186
	v_mov_b32_e32 v0, v186
.LBB86_267:
	s_or_b32 exec_lo, exec_lo, s1
.LBB86_268:
	s_andn2_saveexec_b32 s0, s0
	s_cbranch_execz .LBB86_270
; %bb.269:
	v_mov_b32_e32 v192, 12
	ds_write2_b64 v1, v[122:123], v[124:125] offset0:26 offset1:27
	ds_write2_b64 v1, v[118:119], v[120:121] offset0:28 offset1:29
	;; [unrolled: 1-line block ×31, first 2 shown]
.LBB86_270:
	s_or_b32 exec_lo, exec_lo, s0
	s_mov_b32 s0, exec_lo
	s_waitcnt lgkmcnt(0)
	s_waitcnt_vscnt null, 0x0
	s_barrier
	buffer_gl0_inv
	v_cmpx_lt_i32_e32 12, v192
	s_cbranch_execz .LBB86_272
; %bb.271:
	v_mul_f64 v[186:187], v[180:181], v[128:129]
	v_mul_f64 v[128:129], v[178:179], v[128:129]
	v_fma_f64 v[186:187], v[178:179], v[126:127], -v[186:187]
	v_fma_f64 v[128:129], v[180:181], v[126:127], v[128:129]
	ds_read2_b64 v[178:181], v1 offset0:26 offset1:27
	s_waitcnt lgkmcnt(0)
	v_mul_f64 v[126:127], v[180:181], v[128:129]
	v_fma_f64 v[126:127], v[178:179], v[186:187], -v[126:127]
	v_mul_f64 v[178:179], v[178:179], v[128:129]
	v_add_f64 v[122:123], v[122:123], -v[126:127]
	v_fma_f64 v[178:179], v[180:181], v[186:187], v[178:179]
	v_add_f64 v[124:125], v[124:125], -v[178:179]
	ds_read2_b64 v[178:181], v1 offset0:28 offset1:29
	s_waitcnt lgkmcnt(0)
	v_mul_f64 v[126:127], v[180:181], v[128:129]
	v_fma_f64 v[126:127], v[178:179], v[186:187], -v[126:127]
	v_mul_f64 v[178:179], v[178:179], v[128:129]
	v_add_f64 v[118:119], v[118:119], -v[126:127]
	v_fma_f64 v[178:179], v[180:181], v[186:187], v[178:179]
	v_add_f64 v[120:121], v[120:121], -v[178:179]
	;; [unrolled: 8-line block ×30, first 2 shown]
	ds_read2_b64 v[178:181], v1 offset0:86 offset1:87
	s_waitcnt lgkmcnt(0)
	v_mul_f64 v[126:127], v[180:181], v[128:129]
	v_fma_f64 v[126:127], v[178:179], v[186:187], -v[126:127]
	v_mul_f64 v[178:179], v[178:179], v[128:129]
	v_add_f64 v[2:3], v[2:3], -v[126:127]
	v_fma_f64 v[178:179], v[180:181], v[186:187], v[178:179]
	v_mov_b32_e32 v126, v186
	v_mov_b32_e32 v127, v187
	v_add_f64 v[4:5], v[4:5], -v[178:179]
.LBB86_272:
	s_or_b32 exec_lo, exec_lo, s0
	v_lshl_add_u32 v178, v192, 4, v1
	s_barrier
	buffer_gl0_inv
	v_mov_b32_e32 v186, 13
	ds_write2_b64 v178, v[122:123], v[124:125] offset1:1
	s_waitcnt lgkmcnt(0)
	s_barrier
	buffer_gl0_inv
	ds_read2_b64 v[178:181], v1 offset0:26 offset1:27
	s_cmp_lt_i32 s18, 15
	s_cbranch_scc1 .LBB86_275
; %bb.273:
	v_add3_u32 v187, v188, 0, 0xe0
	v_mov_b32_e32 v186, 13
	s_mov_b32 s1, 14
	s_inst_prefetch 0x1
	.p2align	6
.LBB86_274:                             ; =>This Inner Loop Header: Depth=1
	s_waitcnt lgkmcnt(0)
	v_cmp_gt_f64_e32 vcc_lo, 0, v[180:181]
	v_cmp_gt_f64_e64 s0, 0, v[178:179]
	ds_read2_b64 v[193:196], v187 offset1:1
	v_xor_b32_e32 v198, 0x80000000, v179
	v_xor_b32_e32 v200, 0x80000000, v181
	v_mov_b32_e32 v197, v178
	v_mov_b32_e32 v199, v180
	v_add_nc_u32_e32 v187, 16, v187
	s_waitcnt lgkmcnt(0)
	v_xor_b32_e32 v202, 0x80000000, v196
	v_cndmask_b32_e64 v198, v179, v198, s0
	v_cndmask_b32_e32 v200, v181, v200, vcc_lo
	v_cmp_gt_f64_e32 vcc_lo, 0, v[195:196]
	v_cmp_gt_f64_e64 s0, 0, v[193:194]
	v_mov_b32_e32 v201, v195
	v_add_f64 v[197:198], v[197:198], v[199:200]
	v_xor_b32_e32 v200, 0x80000000, v194
	v_mov_b32_e32 v199, v193
	v_cndmask_b32_e32 v202, v196, v202, vcc_lo
	v_cndmask_b32_e64 v200, v194, v200, s0
	v_add_f64 v[199:200], v[199:200], v[201:202]
	v_cmp_lt_f64_e32 vcc_lo, v[197:198], v[199:200]
	v_cndmask_b32_e32 v179, v179, v194, vcc_lo
	v_cndmask_b32_e32 v178, v178, v193, vcc_lo
	;; [unrolled: 1-line block ×4, first 2 shown]
	v_cndmask_b32_e64 v186, v186, s1, vcc_lo
	s_add_i32 s1, s1, 1
	s_cmp_lg_u32 s18, s1
	s_cbranch_scc1 .LBB86_274
.LBB86_275:
	s_inst_prefetch 0x2
	s_waitcnt lgkmcnt(0)
	v_cmp_eq_f64_e32 vcc_lo, 0, v[178:179]
	v_cmp_eq_f64_e64 s0, 0, v[180:181]
	s_and_b32 s0, vcc_lo, s0
	s_and_saveexec_b32 s1, s0
	s_xor_b32 s0, exec_lo, s1
; %bb.276:
	v_cmp_ne_u32_e32 vcc_lo, 0, v191
	v_cndmask_b32_e32 v191, 14, v191, vcc_lo
; %bb.277:
	s_andn2_saveexec_b32 s0, s0
	s_cbranch_execz .LBB86_283
; %bb.278:
	v_cmp_ngt_f64_e64 s1, |v[178:179]|, |v[180:181]|
	s_and_saveexec_b32 s2, s1
	s_xor_b32 s1, exec_lo, s2
	s_cbranch_execz .LBB86_280
; %bb.279:
	v_div_scale_f64 v[193:194], null, v[180:181], v[180:181], v[178:179]
	v_div_scale_f64 v[199:200], vcc_lo, v[178:179], v[180:181], v[178:179]
	v_rcp_f64_e32 v[195:196], v[193:194]
	v_fma_f64 v[197:198], -v[193:194], v[195:196], 1.0
	v_fma_f64 v[195:196], v[195:196], v[197:198], v[195:196]
	v_fma_f64 v[197:198], -v[193:194], v[195:196], 1.0
	v_fma_f64 v[195:196], v[195:196], v[197:198], v[195:196]
	v_mul_f64 v[197:198], v[199:200], v[195:196]
	v_fma_f64 v[193:194], -v[193:194], v[197:198], v[199:200]
	v_div_fmas_f64 v[193:194], v[193:194], v[195:196], v[197:198]
	v_div_fixup_f64 v[193:194], v[193:194], v[180:181], v[178:179]
	v_fma_f64 v[178:179], v[178:179], v[193:194], v[180:181]
	v_div_scale_f64 v[180:181], null, v[178:179], v[178:179], 1.0
	v_rcp_f64_e32 v[195:196], v[180:181]
	v_fma_f64 v[197:198], -v[180:181], v[195:196], 1.0
	v_fma_f64 v[195:196], v[195:196], v[197:198], v[195:196]
	v_fma_f64 v[197:198], -v[180:181], v[195:196], 1.0
	v_fma_f64 v[195:196], v[195:196], v[197:198], v[195:196]
	v_div_scale_f64 v[197:198], vcc_lo, 1.0, v[178:179], 1.0
	v_mul_f64 v[199:200], v[197:198], v[195:196]
	v_fma_f64 v[180:181], -v[180:181], v[199:200], v[197:198]
	v_div_fmas_f64 v[180:181], v[180:181], v[195:196], v[199:200]
	v_div_fixup_f64 v[180:181], v[180:181], v[178:179], 1.0
	v_mul_f64 v[178:179], v[193:194], v[180:181]
	v_xor_b32_e32 v181, 0x80000000, v181
.LBB86_280:
	s_andn2_saveexec_b32 s1, s1
	s_cbranch_execz .LBB86_282
; %bb.281:
	v_div_scale_f64 v[193:194], null, v[178:179], v[178:179], v[180:181]
	v_div_scale_f64 v[199:200], vcc_lo, v[180:181], v[178:179], v[180:181]
	v_rcp_f64_e32 v[195:196], v[193:194]
	v_fma_f64 v[197:198], -v[193:194], v[195:196], 1.0
	v_fma_f64 v[195:196], v[195:196], v[197:198], v[195:196]
	v_fma_f64 v[197:198], -v[193:194], v[195:196], 1.0
	v_fma_f64 v[195:196], v[195:196], v[197:198], v[195:196]
	v_mul_f64 v[197:198], v[199:200], v[195:196]
	v_fma_f64 v[193:194], -v[193:194], v[197:198], v[199:200]
	v_div_fmas_f64 v[193:194], v[193:194], v[195:196], v[197:198]
	v_div_fixup_f64 v[193:194], v[193:194], v[178:179], v[180:181]
	v_fma_f64 v[178:179], v[180:181], v[193:194], v[178:179]
	v_div_scale_f64 v[180:181], null, v[178:179], v[178:179], 1.0
	v_rcp_f64_e32 v[195:196], v[180:181]
	v_fma_f64 v[197:198], -v[180:181], v[195:196], 1.0
	v_fma_f64 v[195:196], v[195:196], v[197:198], v[195:196]
	v_fma_f64 v[197:198], -v[180:181], v[195:196], 1.0
	v_fma_f64 v[195:196], v[195:196], v[197:198], v[195:196]
	v_div_scale_f64 v[197:198], vcc_lo, 1.0, v[178:179], 1.0
	v_mul_f64 v[199:200], v[197:198], v[195:196]
	v_fma_f64 v[180:181], -v[180:181], v[199:200], v[197:198]
	v_div_fmas_f64 v[180:181], v[180:181], v[195:196], v[199:200]
	v_div_fixup_f64 v[178:179], v[180:181], v[178:179], 1.0
	v_mul_f64 v[180:181], v[193:194], -v[178:179]
.LBB86_282:
	s_or_b32 exec_lo, exec_lo, s1
.LBB86_283:
	s_or_b32 exec_lo, exec_lo, s0
	s_mov_b32 s0, exec_lo
	v_cmpx_ne_u32_e64 v192, v186
	s_xor_b32 s0, exec_lo, s0
	s_cbranch_execz .LBB86_289
; %bb.284:
	s_mov_b32 s1, exec_lo
	v_cmpx_eq_u32_e32 13, v192
	s_cbranch_execz .LBB86_288
; %bb.285:
	v_cmp_ne_u32_e32 vcc_lo, 13, v186
	s_xor_b32 s2, s16, -1
	s_and_b32 s3, s2, vcc_lo
	s_and_saveexec_b32 s2, s3
	s_cbranch_execz .LBB86_287
; %bb.286:
	v_ashrrev_i32_e32 v187, 31, v186
	v_lshlrev_b64 v[192:193], 2, v[186:187]
	v_add_co_u32 v192, vcc_lo, v184, v192
	v_add_co_ci_u32_e64 v193, null, v185, v193, vcc_lo
	s_clause 0x1
	global_load_dword v0, v[192:193], off
	global_load_dword v187, v[184:185], off offset:52
	s_waitcnt vmcnt(1)
	global_store_dword v[184:185], v0, off offset:52
	s_waitcnt vmcnt(0)
	global_store_dword v[192:193], v187, off
.LBB86_287:
	s_or_b32 exec_lo, exec_lo, s2
	v_mov_b32_e32 v192, v186
	v_mov_b32_e32 v0, v186
.LBB86_288:
	s_or_b32 exec_lo, exec_lo, s1
.LBB86_289:
	s_andn2_saveexec_b32 s0, s0
	s_cbranch_execz .LBB86_291
; %bb.290:
	v_mov_b32_e32 v192, 13
	ds_write2_b64 v1, v[118:119], v[120:121] offset0:28 offset1:29
	ds_write2_b64 v1, v[114:115], v[116:117] offset0:30 offset1:31
	;; [unrolled: 1-line block ×30, first 2 shown]
.LBB86_291:
	s_or_b32 exec_lo, exec_lo, s0
	s_mov_b32 s0, exec_lo
	s_waitcnt lgkmcnt(0)
	s_waitcnt_vscnt null, 0x0
	s_barrier
	buffer_gl0_inv
	v_cmpx_lt_i32_e32 13, v192
	s_cbranch_execz .LBB86_293
; %bb.292:
	v_mul_f64 v[186:187], v[180:181], v[124:125]
	v_mul_f64 v[124:125], v[178:179], v[124:125]
	v_fma_f64 v[186:187], v[178:179], v[122:123], -v[186:187]
	v_fma_f64 v[124:125], v[180:181], v[122:123], v[124:125]
	ds_read2_b64 v[178:181], v1 offset0:28 offset1:29
	s_waitcnt lgkmcnt(0)
	v_mul_f64 v[122:123], v[180:181], v[124:125]
	v_fma_f64 v[122:123], v[178:179], v[186:187], -v[122:123]
	v_mul_f64 v[178:179], v[178:179], v[124:125]
	v_add_f64 v[118:119], v[118:119], -v[122:123]
	v_fma_f64 v[178:179], v[180:181], v[186:187], v[178:179]
	v_add_f64 v[120:121], v[120:121], -v[178:179]
	ds_read2_b64 v[178:181], v1 offset0:30 offset1:31
	s_waitcnt lgkmcnt(0)
	v_mul_f64 v[122:123], v[180:181], v[124:125]
	v_fma_f64 v[122:123], v[178:179], v[186:187], -v[122:123]
	v_mul_f64 v[178:179], v[178:179], v[124:125]
	v_add_f64 v[114:115], v[114:115], -v[122:123]
	v_fma_f64 v[178:179], v[180:181], v[186:187], v[178:179]
	v_add_f64 v[116:117], v[116:117], -v[178:179]
	;; [unrolled: 8-line block ×29, first 2 shown]
	ds_read2_b64 v[178:181], v1 offset0:86 offset1:87
	s_waitcnt lgkmcnt(0)
	v_mul_f64 v[122:123], v[180:181], v[124:125]
	v_fma_f64 v[122:123], v[178:179], v[186:187], -v[122:123]
	v_mul_f64 v[178:179], v[178:179], v[124:125]
	v_add_f64 v[2:3], v[2:3], -v[122:123]
	v_fma_f64 v[178:179], v[180:181], v[186:187], v[178:179]
	v_mov_b32_e32 v122, v186
	v_mov_b32_e32 v123, v187
	v_add_f64 v[4:5], v[4:5], -v[178:179]
.LBB86_293:
	s_or_b32 exec_lo, exec_lo, s0
	v_lshl_add_u32 v178, v192, 4, v1
	s_barrier
	buffer_gl0_inv
	v_mov_b32_e32 v186, 14
	ds_write2_b64 v178, v[118:119], v[120:121] offset1:1
	s_waitcnt lgkmcnt(0)
	s_barrier
	buffer_gl0_inv
	ds_read2_b64 v[178:181], v1 offset0:28 offset1:29
	s_cmp_lt_i32 s18, 16
	s_cbranch_scc1 .LBB86_296
; %bb.294:
	v_add3_u32 v187, v188, 0, 0xf0
	v_mov_b32_e32 v186, 14
	s_mov_b32 s1, 15
	s_inst_prefetch 0x1
	.p2align	6
.LBB86_295:                             ; =>This Inner Loop Header: Depth=1
	s_waitcnt lgkmcnt(0)
	v_cmp_gt_f64_e32 vcc_lo, 0, v[180:181]
	v_cmp_gt_f64_e64 s0, 0, v[178:179]
	ds_read2_b64 v[193:196], v187 offset1:1
	v_xor_b32_e32 v198, 0x80000000, v179
	v_xor_b32_e32 v200, 0x80000000, v181
	v_mov_b32_e32 v197, v178
	v_mov_b32_e32 v199, v180
	v_add_nc_u32_e32 v187, 16, v187
	s_waitcnt lgkmcnt(0)
	v_xor_b32_e32 v202, 0x80000000, v196
	v_cndmask_b32_e64 v198, v179, v198, s0
	v_cndmask_b32_e32 v200, v181, v200, vcc_lo
	v_cmp_gt_f64_e32 vcc_lo, 0, v[195:196]
	v_cmp_gt_f64_e64 s0, 0, v[193:194]
	v_mov_b32_e32 v201, v195
	v_add_f64 v[197:198], v[197:198], v[199:200]
	v_xor_b32_e32 v200, 0x80000000, v194
	v_mov_b32_e32 v199, v193
	v_cndmask_b32_e32 v202, v196, v202, vcc_lo
	v_cndmask_b32_e64 v200, v194, v200, s0
	v_add_f64 v[199:200], v[199:200], v[201:202]
	v_cmp_lt_f64_e32 vcc_lo, v[197:198], v[199:200]
	v_cndmask_b32_e32 v179, v179, v194, vcc_lo
	v_cndmask_b32_e32 v178, v178, v193, vcc_lo
	;; [unrolled: 1-line block ×4, first 2 shown]
	v_cndmask_b32_e64 v186, v186, s1, vcc_lo
	s_add_i32 s1, s1, 1
	s_cmp_lg_u32 s18, s1
	s_cbranch_scc1 .LBB86_295
.LBB86_296:
	s_inst_prefetch 0x2
	s_waitcnt lgkmcnt(0)
	v_cmp_eq_f64_e32 vcc_lo, 0, v[178:179]
	v_cmp_eq_f64_e64 s0, 0, v[180:181]
	s_and_b32 s0, vcc_lo, s0
	s_and_saveexec_b32 s1, s0
	s_xor_b32 s0, exec_lo, s1
; %bb.297:
	v_cmp_ne_u32_e32 vcc_lo, 0, v191
	v_cndmask_b32_e32 v191, 15, v191, vcc_lo
; %bb.298:
	s_andn2_saveexec_b32 s0, s0
	s_cbranch_execz .LBB86_304
; %bb.299:
	v_cmp_ngt_f64_e64 s1, |v[178:179]|, |v[180:181]|
	s_and_saveexec_b32 s2, s1
	s_xor_b32 s1, exec_lo, s2
	s_cbranch_execz .LBB86_301
; %bb.300:
	v_div_scale_f64 v[193:194], null, v[180:181], v[180:181], v[178:179]
	v_div_scale_f64 v[199:200], vcc_lo, v[178:179], v[180:181], v[178:179]
	v_rcp_f64_e32 v[195:196], v[193:194]
	v_fma_f64 v[197:198], -v[193:194], v[195:196], 1.0
	v_fma_f64 v[195:196], v[195:196], v[197:198], v[195:196]
	v_fma_f64 v[197:198], -v[193:194], v[195:196], 1.0
	v_fma_f64 v[195:196], v[195:196], v[197:198], v[195:196]
	v_mul_f64 v[197:198], v[199:200], v[195:196]
	v_fma_f64 v[193:194], -v[193:194], v[197:198], v[199:200]
	v_div_fmas_f64 v[193:194], v[193:194], v[195:196], v[197:198]
	v_div_fixup_f64 v[193:194], v[193:194], v[180:181], v[178:179]
	v_fma_f64 v[178:179], v[178:179], v[193:194], v[180:181]
	v_div_scale_f64 v[180:181], null, v[178:179], v[178:179], 1.0
	v_rcp_f64_e32 v[195:196], v[180:181]
	v_fma_f64 v[197:198], -v[180:181], v[195:196], 1.0
	v_fma_f64 v[195:196], v[195:196], v[197:198], v[195:196]
	v_fma_f64 v[197:198], -v[180:181], v[195:196], 1.0
	v_fma_f64 v[195:196], v[195:196], v[197:198], v[195:196]
	v_div_scale_f64 v[197:198], vcc_lo, 1.0, v[178:179], 1.0
	v_mul_f64 v[199:200], v[197:198], v[195:196]
	v_fma_f64 v[180:181], -v[180:181], v[199:200], v[197:198]
	v_div_fmas_f64 v[180:181], v[180:181], v[195:196], v[199:200]
	v_div_fixup_f64 v[180:181], v[180:181], v[178:179], 1.0
	v_mul_f64 v[178:179], v[193:194], v[180:181]
	v_xor_b32_e32 v181, 0x80000000, v181
.LBB86_301:
	s_andn2_saveexec_b32 s1, s1
	s_cbranch_execz .LBB86_303
; %bb.302:
	v_div_scale_f64 v[193:194], null, v[178:179], v[178:179], v[180:181]
	v_div_scale_f64 v[199:200], vcc_lo, v[180:181], v[178:179], v[180:181]
	v_rcp_f64_e32 v[195:196], v[193:194]
	v_fma_f64 v[197:198], -v[193:194], v[195:196], 1.0
	v_fma_f64 v[195:196], v[195:196], v[197:198], v[195:196]
	v_fma_f64 v[197:198], -v[193:194], v[195:196], 1.0
	v_fma_f64 v[195:196], v[195:196], v[197:198], v[195:196]
	v_mul_f64 v[197:198], v[199:200], v[195:196]
	v_fma_f64 v[193:194], -v[193:194], v[197:198], v[199:200]
	v_div_fmas_f64 v[193:194], v[193:194], v[195:196], v[197:198]
	v_div_fixup_f64 v[193:194], v[193:194], v[178:179], v[180:181]
	v_fma_f64 v[178:179], v[180:181], v[193:194], v[178:179]
	v_div_scale_f64 v[180:181], null, v[178:179], v[178:179], 1.0
	v_rcp_f64_e32 v[195:196], v[180:181]
	v_fma_f64 v[197:198], -v[180:181], v[195:196], 1.0
	v_fma_f64 v[195:196], v[195:196], v[197:198], v[195:196]
	v_fma_f64 v[197:198], -v[180:181], v[195:196], 1.0
	v_fma_f64 v[195:196], v[195:196], v[197:198], v[195:196]
	v_div_scale_f64 v[197:198], vcc_lo, 1.0, v[178:179], 1.0
	v_mul_f64 v[199:200], v[197:198], v[195:196]
	v_fma_f64 v[180:181], -v[180:181], v[199:200], v[197:198]
	v_div_fmas_f64 v[180:181], v[180:181], v[195:196], v[199:200]
	v_div_fixup_f64 v[178:179], v[180:181], v[178:179], 1.0
	v_mul_f64 v[180:181], v[193:194], -v[178:179]
.LBB86_303:
	s_or_b32 exec_lo, exec_lo, s1
.LBB86_304:
	s_or_b32 exec_lo, exec_lo, s0
	s_mov_b32 s0, exec_lo
	v_cmpx_ne_u32_e64 v192, v186
	s_xor_b32 s0, exec_lo, s0
	s_cbranch_execz .LBB86_310
; %bb.305:
	s_mov_b32 s1, exec_lo
	v_cmpx_eq_u32_e32 14, v192
	s_cbranch_execz .LBB86_309
; %bb.306:
	v_cmp_ne_u32_e32 vcc_lo, 14, v186
	s_xor_b32 s2, s16, -1
	s_and_b32 s3, s2, vcc_lo
	s_and_saveexec_b32 s2, s3
	s_cbranch_execz .LBB86_308
; %bb.307:
	v_ashrrev_i32_e32 v187, 31, v186
	v_lshlrev_b64 v[192:193], 2, v[186:187]
	v_add_co_u32 v192, vcc_lo, v184, v192
	v_add_co_ci_u32_e64 v193, null, v185, v193, vcc_lo
	s_clause 0x1
	global_load_dword v0, v[192:193], off
	global_load_dword v187, v[184:185], off offset:56
	s_waitcnt vmcnt(1)
	global_store_dword v[184:185], v0, off offset:56
	s_waitcnt vmcnt(0)
	global_store_dword v[192:193], v187, off
.LBB86_308:
	s_or_b32 exec_lo, exec_lo, s2
	v_mov_b32_e32 v192, v186
	v_mov_b32_e32 v0, v186
.LBB86_309:
	s_or_b32 exec_lo, exec_lo, s1
.LBB86_310:
	s_andn2_saveexec_b32 s0, s0
	s_cbranch_execz .LBB86_312
; %bb.311:
	v_mov_b32_e32 v192, 14
	ds_write2_b64 v1, v[114:115], v[116:117] offset0:30 offset1:31
	ds_write2_b64 v1, v[110:111], v[112:113] offset0:32 offset1:33
	;; [unrolled: 1-line block ×29, first 2 shown]
.LBB86_312:
	s_or_b32 exec_lo, exec_lo, s0
	s_mov_b32 s0, exec_lo
	s_waitcnt lgkmcnt(0)
	s_waitcnt_vscnt null, 0x0
	s_barrier
	buffer_gl0_inv
	v_cmpx_lt_i32_e32 14, v192
	s_cbranch_execz .LBB86_314
; %bb.313:
	v_mul_f64 v[186:187], v[180:181], v[120:121]
	v_mul_f64 v[120:121], v[178:179], v[120:121]
	v_fma_f64 v[186:187], v[178:179], v[118:119], -v[186:187]
	v_fma_f64 v[120:121], v[180:181], v[118:119], v[120:121]
	ds_read2_b64 v[178:181], v1 offset0:30 offset1:31
	s_waitcnt lgkmcnt(0)
	v_mul_f64 v[118:119], v[180:181], v[120:121]
	v_fma_f64 v[118:119], v[178:179], v[186:187], -v[118:119]
	v_mul_f64 v[178:179], v[178:179], v[120:121]
	v_add_f64 v[114:115], v[114:115], -v[118:119]
	v_fma_f64 v[178:179], v[180:181], v[186:187], v[178:179]
	v_add_f64 v[116:117], v[116:117], -v[178:179]
	ds_read2_b64 v[178:181], v1 offset0:32 offset1:33
	s_waitcnt lgkmcnt(0)
	v_mul_f64 v[118:119], v[180:181], v[120:121]
	v_fma_f64 v[118:119], v[178:179], v[186:187], -v[118:119]
	v_mul_f64 v[178:179], v[178:179], v[120:121]
	v_add_f64 v[110:111], v[110:111], -v[118:119]
	v_fma_f64 v[178:179], v[180:181], v[186:187], v[178:179]
	v_add_f64 v[112:113], v[112:113], -v[178:179]
	;; [unrolled: 8-line block ×28, first 2 shown]
	ds_read2_b64 v[178:181], v1 offset0:86 offset1:87
	s_waitcnt lgkmcnt(0)
	v_mul_f64 v[118:119], v[180:181], v[120:121]
	v_fma_f64 v[118:119], v[178:179], v[186:187], -v[118:119]
	v_mul_f64 v[178:179], v[178:179], v[120:121]
	v_add_f64 v[2:3], v[2:3], -v[118:119]
	v_fma_f64 v[178:179], v[180:181], v[186:187], v[178:179]
	v_mov_b32_e32 v118, v186
	v_mov_b32_e32 v119, v187
	v_add_f64 v[4:5], v[4:5], -v[178:179]
.LBB86_314:
	s_or_b32 exec_lo, exec_lo, s0
	v_lshl_add_u32 v178, v192, 4, v1
	s_barrier
	buffer_gl0_inv
	v_mov_b32_e32 v186, 15
	ds_write2_b64 v178, v[114:115], v[116:117] offset1:1
	s_waitcnt lgkmcnt(0)
	s_barrier
	buffer_gl0_inv
	ds_read2_b64 v[178:181], v1 offset0:30 offset1:31
	s_cmp_lt_i32 s18, 17
	s_cbranch_scc1 .LBB86_317
; %bb.315:
	v_add3_u32 v187, v188, 0, 0x100
	v_mov_b32_e32 v186, 15
	s_mov_b32 s1, 16
	s_inst_prefetch 0x1
	.p2align	6
.LBB86_316:                             ; =>This Inner Loop Header: Depth=1
	s_waitcnt lgkmcnt(0)
	v_cmp_gt_f64_e32 vcc_lo, 0, v[180:181]
	v_cmp_gt_f64_e64 s0, 0, v[178:179]
	ds_read2_b64 v[193:196], v187 offset1:1
	v_xor_b32_e32 v198, 0x80000000, v179
	v_xor_b32_e32 v200, 0x80000000, v181
	v_mov_b32_e32 v197, v178
	v_mov_b32_e32 v199, v180
	v_add_nc_u32_e32 v187, 16, v187
	s_waitcnt lgkmcnt(0)
	v_xor_b32_e32 v202, 0x80000000, v196
	v_cndmask_b32_e64 v198, v179, v198, s0
	v_cndmask_b32_e32 v200, v181, v200, vcc_lo
	v_cmp_gt_f64_e32 vcc_lo, 0, v[195:196]
	v_cmp_gt_f64_e64 s0, 0, v[193:194]
	v_mov_b32_e32 v201, v195
	v_add_f64 v[197:198], v[197:198], v[199:200]
	v_xor_b32_e32 v200, 0x80000000, v194
	v_mov_b32_e32 v199, v193
	v_cndmask_b32_e32 v202, v196, v202, vcc_lo
	v_cndmask_b32_e64 v200, v194, v200, s0
	v_add_f64 v[199:200], v[199:200], v[201:202]
	v_cmp_lt_f64_e32 vcc_lo, v[197:198], v[199:200]
	v_cndmask_b32_e32 v179, v179, v194, vcc_lo
	v_cndmask_b32_e32 v178, v178, v193, vcc_lo
	;; [unrolled: 1-line block ×4, first 2 shown]
	v_cndmask_b32_e64 v186, v186, s1, vcc_lo
	s_add_i32 s1, s1, 1
	s_cmp_lg_u32 s18, s1
	s_cbranch_scc1 .LBB86_316
.LBB86_317:
	s_inst_prefetch 0x2
	s_waitcnt lgkmcnt(0)
	v_cmp_eq_f64_e32 vcc_lo, 0, v[178:179]
	v_cmp_eq_f64_e64 s0, 0, v[180:181]
	s_and_b32 s0, vcc_lo, s0
	s_and_saveexec_b32 s1, s0
	s_xor_b32 s0, exec_lo, s1
; %bb.318:
	v_cmp_ne_u32_e32 vcc_lo, 0, v191
	v_cndmask_b32_e32 v191, 16, v191, vcc_lo
; %bb.319:
	s_andn2_saveexec_b32 s0, s0
	s_cbranch_execz .LBB86_325
; %bb.320:
	v_cmp_ngt_f64_e64 s1, |v[178:179]|, |v[180:181]|
	s_and_saveexec_b32 s2, s1
	s_xor_b32 s1, exec_lo, s2
	s_cbranch_execz .LBB86_322
; %bb.321:
	v_div_scale_f64 v[193:194], null, v[180:181], v[180:181], v[178:179]
	v_div_scale_f64 v[199:200], vcc_lo, v[178:179], v[180:181], v[178:179]
	v_rcp_f64_e32 v[195:196], v[193:194]
	v_fma_f64 v[197:198], -v[193:194], v[195:196], 1.0
	v_fma_f64 v[195:196], v[195:196], v[197:198], v[195:196]
	v_fma_f64 v[197:198], -v[193:194], v[195:196], 1.0
	v_fma_f64 v[195:196], v[195:196], v[197:198], v[195:196]
	v_mul_f64 v[197:198], v[199:200], v[195:196]
	v_fma_f64 v[193:194], -v[193:194], v[197:198], v[199:200]
	v_div_fmas_f64 v[193:194], v[193:194], v[195:196], v[197:198]
	v_div_fixup_f64 v[193:194], v[193:194], v[180:181], v[178:179]
	v_fma_f64 v[178:179], v[178:179], v[193:194], v[180:181]
	v_div_scale_f64 v[180:181], null, v[178:179], v[178:179], 1.0
	v_rcp_f64_e32 v[195:196], v[180:181]
	v_fma_f64 v[197:198], -v[180:181], v[195:196], 1.0
	v_fma_f64 v[195:196], v[195:196], v[197:198], v[195:196]
	v_fma_f64 v[197:198], -v[180:181], v[195:196], 1.0
	v_fma_f64 v[195:196], v[195:196], v[197:198], v[195:196]
	v_div_scale_f64 v[197:198], vcc_lo, 1.0, v[178:179], 1.0
	v_mul_f64 v[199:200], v[197:198], v[195:196]
	v_fma_f64 v[180:181], -v[180:181], v[199:200], v[197:198]
	v_div_fmas_f64 v[180:181], v[180:181], v[195:196], v[199:200]
	v_div_fixup_f64 v[180:181], v[180:181], v[178:179], 1.0
	v_mul_f64 v[178:179], v[193:194], v[180:181]
	v_xor_b32_e32 v181, 0x80000000, v181
.LBB86_322:
	s_andn2_saveexec_b32 s1, s1
	s_cbranch_execz .LBB86_324
; %bb.323:
	v_div_scale_f64 v[193:194], null, v[178:179], v[178:179], v[180:181]
	v_div_scale_f64 v[199:200], vcc_lo, v[180:181], v[178:179], v[180:181]
	v_rcp_f64_e32 v[195:196], v[193:194]
	v_fma_f64 v[197:198], -v[193:194], v[195:196], 1.0
	v_fma_f64 v[195:196], v[195:196], v[197:198], v[195:196]
	v_fma_f64 v[197:198], -v[193:194], v[195:196], 1.0
	v_fma_f64 v[195:196], v[195:196], v[197:198], v[195:196]
	v_mul_f64 v[197:198], v[199:200], v[195:196]
	v_fma_f64 v[193:194], -v[193:194], v[197:198], v[199:200]
	v_div_fmas_f64 v[193:194], v[193:194], v[195:196], v[197:198]
	v_div_fixup_f64 v[193:194], v[193:194], v[178:179], v[180:181]
	v_fma_f64 v[178:179], v[180:181], v[193:194], v[178:179]
	v_div_scale_f64 v[180:181], null, v[178:179], v[178:179], 1.0
	v_rcp_f64_e32 v[195:196], v[180:181]
	v_fma_f64 v[197:198], -v[180:181], v[195:196], 1.0
	v_fma_f64 v[195:196], v[195:196], v[197:198], v[195:196]
	v_fma_f64 v[197:198], -v[180:181], v[195:196], 1.0
	v_fma_f64 v[195:196], v[195:196], v[197:198], v[195:196]
	v_div_scale_f64 v[197:198], vcc_lo, 1.0, v[178:179], 1.0
	v_mul_f64 v[199:200], v[197:198], v[195:196]
	v_fma_f64 v[180:181], -v[180:181], v[199:200], v[197:198]
	v_div_fmas_f64 v[180:181], v[180:181], v[195:196], v[199:200]
	v_div_fixup_f64 v[178:179], v[180:181], v[178:179], 1.0
	v_mul_f64 v[180:181], v[193:194], -v[178:179]
.LBB86_324:
	s_or_b32 exec_lo, exec_lo, s1
.LBB86_325:
	s_or_b32 exec_lo, exec_lo, s0
	s_mov_b32 s0, exec_lo
	v_cmpx_ne_u32_e64 v192, v186
	s_xor_b32 s0, exec_lo, s0
	s_cbranch_execz .LBB86_331
; %bb.326:
	s_mov_b32 s1, exec_lo
	v_cmpx_eq_u32_e32 15, v192
	s_cbranch_execz .LBB86_330
; %bb.327:
	v_cmp_ne_u32_e32 vcc_lo, 15, v186
	s_xor_b32 s2, s16, -1
	s_and_b32 s3, s2, vcc_lo
	s_and_saveexec_b32 s2, s3
	s_cbranch_execz .LBB86_329
; %bb.328:
	v_ashrrev_i32_e32 v187, 31, v186
	v_lshlrev_b64 v[192:193], 2, v[186:187]
	v_add_co_u32 v192, vcc_lo, v184, v192
	v_add_co_ci_u32_e64 v193, null, v185, v193, vcc_lo
	s_clause 0x1
	global_load_dword v0, v[192:193], off
	global_load_dword v187, v[184:185], off offset:60
	s_waitcnt vmcnt(1)
	global_store_dword v[184:185], v0, off offset:60
	s_waitcnt vmcnt(0)
	global_store_dword v[192:193], v187, off
.LBB86_329:
	s_or_b32 exec_lo, exec_lo, s2
	v_mov_b32_e32 v192, v186
	v_mov_b32_e32 v0, v186
.LBB86_330:
	s_or_b32 exec_lo, exec_lo, s1
.LBB86_331:
	s_andn2_saveexec_b32 s0, s0
	s_cbranch_execz .LBB86_333
; %bb.332:
	v_mov_b32_e32 v192, 15
	ds_write2_b64 v1, v[110:111], v[112:113] offset0:32 offset1:33
	ds_write2_b64 v1, v[106:107], v[108:109] offset0:34 offset1:35
	;; [unrolled: 1-line block ×28, first 2 shown]
.LBB86_333:
	s_or_b32 exec_lo, exec_lo, s0
	s_mov_b32 s0, exec_lo
	s_waitcnt lgkmcnt(0)
	s_waitcnt_vscnt null, 0x0
	s_barrier
	buffer_gl0_inv
	v_cmpx_lt_i32_e32 15, v192
	s_cbranch_execz .LBB86_335
; %bb.334:
	v_mul_f64 v[186:187], v[180:181], v[116:117]
	v_mul_f64 v[116:117], v[178:179], v[116:117]
	v_fma_f64 v[186:187], v[178:179], v[114:115], -v[186:187]
	v_fma_f64 v[116:117], v[180:181], v[114:115], v[116:117]
	ds_read2_b64 v[178:181], v1 offset0:32 offset1:33
	s_waitcnt lgkmcnt(0)
	v_mul_f64 v[114:115], v[180:181], v[116:117]
	v_fma_f64 v[114:115], v[178:179], v[186:187], -v[114:115]
	v_mul_f64 v[178:179], v[178:179], v[116:117]
	v_add_f64 v[110:111], v[110:111], -v[114:115]
	v_fma_f64 v[178:179], v[180:181], v[186:187], v[178:179]
	v_add_f64 v[112:113], v[112:113], -v[178:179]
	ds_read2_b64 v[178:181], v1 offset0:34 offset1:35
	s_waitcnt lgkmcnt(0)
	v_mul_f64 v[114:115], v[180:181], v[116:117]
	v_fma_f64 v[114:115], v[178:179], v[186:187], -v[114:115]
	v_mul_f64 v[178:179], v[178:179], v[116:117]
	v_add_f64 v[106:107], v[106:107], -v[114:115]
	v_fma_f64 v[178:179], v[180:181], v[186:187], v[178:179]
	v_add_f64 v[108:109], v[108:109], -v[178:179]
	;; [unrolled: 8-line block ×27, first 2 shown]
	ds_read2_b64 v[178:181], v1 offset0:86 offset1:87
	s_waitcnt lgkmcnt(0)
	v_mul_f64 v[114:115], v[180:181], v[116:117]
	v_fma_f64 v[114:115], v[178:179], v[186:187], -v[114:115]
	v_mul_f64 v[178:179], v[178:179], v[116:117]
	v_add_f64 v[2:3], v[2:3], -v[114:115]
	v_fma_f64 v[178:179], v[180:181], v[186:187], v[178:179]
	v_mov_b32_e32 v114, v186
	v_mov_b32_e32 v115, v187
	v_add_f64 v[4:5], v[4:5], -v[178:179]
.LBB86_335:
	s_or_b32 exec_lo, exec_lo, s0
	v_lshl_add_u32 v178, v192, 4, v1
	s_barrier
	buffer_gl0_inv
	v_mov_b32_e32 v186, 16
	ds_write2_b64 v178, v[110:111], v[112:113] offset1:1
	s_waitcnt lgkmcnt(0)
	s_barrier
	buffer_gl0_inv
	ds_read2_b64 v[178:181], v1 offset0:32 offset1:33
	s_cmp_lt_i32 s18, 18
	s_cbranch_scc1 .LBB86_338
; %bb.336:
	v_add3_u32 v187, v188, 0, 0x110
	v_mov_b32_e32 v186, 16
	s_mov_b32 s1, 17
	s_inst_prefetch 0x1
	.p2align	6
.LBB86_337:                             ; =>This Inner Loop Header: Depth=1
	s_waitcnt lgkmcnt(0)
	v_cmp_gt_f64_e32 vcc_lo, 0, v[180:181]
	v_cmp_gt_f64_e64 s0, 0, v[178:179]
	ds_read2_b64 v[193:196], v187 offset1:1
	v_xor_b32_e32 v198, 0x80000000, v179
	v_xor_b32_e32 v200, 0x80000000, v181
	v_mov_b32_e32 v197, v178
	v_mov_b32_e32 v199, v180
	v_add_nc_u32_e32 v187, 16, v187
	s_waitcnt lgkmcnt(0)
	v_xor_b32_e32 v202, 0x80000000, v196
	v_cndmask_b32_e64 v198, v179, v198, s0
	v_cndmask_b32_e32 v200, v181, v200, vcc_lo
	v_cmp_gt_f64_e32 vcc_lo, 0, v[195:196]
	v_cmp_gt_f64_e64 s0, 0, v[193:194]
	v_mov_b32_e32 v201, v195
	v_add_f64 v[197:198], v[197:198], v[199:200]
	v_xor_b32_e32 v200, 0x80000000, v194
	v_mov_b32_e32 v199, v193
	v_cndmask_b32_e32 v202, v196, v202, vcc_lo
	v_cndmask_b32_e64 v200, v194, v200, s0
	v_add_f64 v[199:200], v[199:200], v[201:202]
	v_cmp_lt_f64_e32 vcc_lo, v[197:198], v[199:200]
	v_cndmask_b32_e32 v179, v179, v194, vcc_lo
	v_cndmask_b32_e32 v178, v178, v193, vcc_lo
	v_cndmask_b32_e32 v181, v181, v196, vcc_lo
	v_cndmask_b32_e32 v180, v180, v195, vcc_lo
	v_cndmask_b32_e64 v186, v186, s1, vcc_lo
	s_add_i32 s1, s1, 1
	s_cmp_lg_u32 s18, s1
	s_cbranch_scc1 .LBB86_337
.LBB86_338:
	s_inst_prefetch 0x2
	s_waitcnt lgkmcnt(0)
	v_cmp_eq_f64_e32 vcc_lo, 0, v[178:179]
	v_cmp_eq_f64_e64 s0, 0, v[180:181]
	s_and_b32 s0, vcc_lo, s0
	s_and_saveexec_b32 s1, s0
	s_xor_b32 s0, exec_lo, s1
; %bb.339:
	v_cmp_ne_u32_e32 vcc_lo, 0, v191
	v_cndmask_b32_e32 v191, 17, v191, vcc_lo
; %bb.340:
	s_andn2_saveexec_b32 s0, s0
	s_cbranch_execz .LBB86_346
; %bb.341:
	v_cmp_ngt_f64_e64 s1, |v[178:179]|, |v[180:181]|
	s_and_saveexec_b32 s2, s1
	s_xor_b32 s1, exec_lo, s2
	s_cbranch_execz .LBB86_343
; %bb.342:
	v_div_scale_f64 v[193:194], null, v[180:181], v[180:181], v[178:179]
	v_div_scale_f64 v[199:200], vcc_lo, v[178:179], v[180:181], v[178:179]
	v_rcp_f64_e32 v[195:196], v[193:194]
	v_fma_f64 v[197:198], -v[193:194], v[195:196], 1.0
	v_fma_f64 v[195:196], v[195:196], v[197:198], v[195:196]
	v_fma_f64 v[197:198], -v[193:194], v[195:196], 1.0
	v_fma_f64 v[195:196], v[195:196], v[197:198], v[195:196]
	v_mul_f64 v[197:198], v[199:200], v[195:196]
	v_fma_f64 v[193:194], -v[193:194], v[197:198], v[199:200]
	v_div_fmas_f64 v[193:194], v[193:194], v[195:196], v[197:198]
	v_div_fixup_f64 v[193:194], v[193:194], v[180:181], v[178:179]
	v_fma_f64 v[178:179], v[178:179], v[193:194], v[180:181]
	v_div_scale_f64 v[180:181], null, v[178:179], v[178:179], 1.0
	v_rcp_f64_e32 v[195:196], v[180:181]
	v_fma_f64 v[197:198], -v[180:181], v[195:196], 1.0
	v_fma_f64 v[195:196], v[195:196], v[197:198], v[195:196]
	v_fma_f64 v[197:198], -v[180:181], v[195:196], 1.0
	v_fma_f64 v[195:196], v[195:196], v[197:198], v[195:196]
	v_div_scale_f64 v[197:198], vcc_lo, 1.0, v[178:179], 1.0
	v_mul_f64 v[199:200], v[197:198], v[195:196]
	v_fma_f64 v[180:181], -v[180:181], v[199:200], v[197:198]
	v_div_fmas_f64 v[180:181], v[180:181], v[195:196], v[199:200]
	v_div_fixup_f64 v[180:181], v[180:181], v[178:179], 1.0
	v_mul_f64 v[178:179], v[193:194], v[180:181]
	v_xor_b32_e32 v181, 0x80000000, v181
.LBB86_343:
	s_andn2_saveexec_b32 s1, s1
	s_cbranch_execz .LBB86_345
; %bb.344:
	v_div_scale_f64 v[193:194], null, v[178:179], v[178:179], v[180:181]
	v_div_scale_f64 v[199:200], vcc_lo, v[180:181], v[178:179], v[180:181]
	v_rcp_f64_e32 v[195:196], v[193:194]
	v_fma_f64 v[197:198], -v[193:194], v[195:196], 1.0
	v_fma_f64 v[195:196], v[195:196], v[197:198], v[195:196]
	v_fma_f64 v[197:198], -v[193:194], v[195:196], 1.0
	v_fma_f64 v[195:196], v[195:196], v[197:198], v[195:196]
	v_mul_f64 v[197:198], v[199:200], v[195:196]
	v_fma_f64 v[193:194], -v[193:194], v[197:198], v[199:200]
	v_div_fmas_f64 v[193:194], v[193:194], v[195:196], v[197:198]
	v_div_fixup_f64 v[193:194], v[193:194], v[178:179], v[180:181]
	v_fma_f64 v[178:179], v[180:181], v[193:194], v[178:179]
	v_div_scale_f64 v[180:181], null, v[178:179], v[178:179], 1.0
	v_rcp_f64_e32 v[195:196], v[180:181]
	v_fma_f64 v[197:198], -v[180:181], v[195:196], 1.0
	v_fma_f64 v[195:196], v[195:196], v[197:198], v[195:196]
	v_fma_f64 v[197:198], -v[180:181], v[195:196], 1.0
	v_fma_f64 v[195:196], v[195:196], v[197:198], v[195:196]
	v_div_scale_f64 v[197:198], vcc_lo, 1.0, v[178:179], 1.0
	v_mul_f64 v[199:200], v[197:198], v[195:196]
	v_fma_f64 v[180:181], -v[180:181], v[199:200], v[197:198]
	v_div_fmas_f64 v[180:181], v[180:181], v[195:196], v[199:200]
	v_div_fixup_f64 v[178:179], v[180:181], v[178:179], 1.0
	v_mul_f64 v[180:181], v[193:194], -v[178:179]
.LBB86_345:
	s_or_b32 exec_lo, exec_lo, s1
.LBB86_346:
	s_or_b32 exec_lo, exec_lo, s0
	s_mov_b32 s0, exec_lo
	v_cmpx_ne_u32_e64 v192, v186
	s_xor_b32 s0, exec_lo, s0
	s_cbranch_execz .LBB86_352
; %bb.347:
	s_mov_b32 s1, exec_lo
	v_cmpx_eq_u32_e32 16, v192
	s_cbranch_execz .LBB86_351
; %bb.348:
	v_cmp_ne_u32_e32 vcc_lo, 16, v186
	s_xor_b32 s2, s16, -1
	s_and_b32 s3, s2, vcc_lo
	s_and_saveexec_b32 s2, s3
	s_cbranch_execz .LBB86_350
; %bb.349:
	v_ashrrev_i32_e32 v187, 31, v186
	v_lshlrev_b64 v[192:193], 2, v[186:187]
	v_add_co_u32 v192, vcc_lo, v184, v192
	v_add_co_ci_u32_e64 v193, null, v185, v193, vcc_lo
	s_clause 0x1
	global_load_dword v0, v[192:193], off
	global_load_dword v187, v[184:185], off offset:64
	s_waitcnt vmcnt(1)
	global_store_dword v[184:185], v0, off offset:64
	s_waitcnt vmcnt(0)
	global_store_dword v[192:193], v187, off
.LBB86_350:
	s_or_b32 exec_lo, exec_lo, s2
	v_mov_b32_e32 v192, v186
	v_mov_b32_e32 v0, v186
.LBB86_351:
	s_or_b32 exec_lo, exec_lo, s1
.LBB86_352:
	s_andn2_saveexec_b32 s0, s0
	s_cbranch_execz .LBB86_354
; %bb.353:
	v_mov_b32_e32 v192, 16
	ds_write2_b64 v1, v[106:107], v[108:109] offset0:34 offset1:35
	ds_write2_b64 v1, v[102:103], v[104:105] offset0:36 offset1:37
	;; [unrolled: 1-line block ×27, first 2 shown]
.LBB86_354:
	s_or_b32 exec_lo, exec_lo, s0
	s_mov_b32 s0, exec_lo
	s_waitcnt lgkmcnt(0)
	s_waitcnt_vscnt null, 0x0
	s_barrier
	buffer_gl0_inv
	v_cmpx_lt_i32_e32 16, v192
	s_cbranch_execz .LBB86_356
; %bb.355:
	v_mul_f64 v[186:187], v[180:181], v[112:113]
	v_mul_f64 v[112:113], v[178:179], v[112:113]
	v_fma_f64 v[186:187], v[178:179], v[110:111], -v[186:187]
	v_fma_f64 v[112:113], v[180:181], v[110:111], v[112:113]
	ds_read2_b64 v[178:181], v1 offset0:34 offset1:35
	s_waitcnt lgkmcnt(0)
	v_mul_f64 v[110:111], v[180:181], v[112:113]
	v_fma_f64 v[110:111], v[178:179], v[186:187], -v[110:111]
	v_mul_f64 v[178:179], v[178:179], v[112:113]
	v_add_f64 v[106:107], v[106:107], -v[110:111]
	v_fma_f64 v[178:179], v[180:181], v[186:187], v[178:179]
	v_add_f64 v[108:109], v[108:109], -v[178:179]
	ds_read2_b64 v[178:181], v1 offset0:36 offset1:37
	s_waitcnt lgkmcnt(0)
	v_mul_f64 v[110:111], v[180:181], v[112:113]
	v_fma_f64 v[110:111], v[178:179], v[186:187], -v[110:111]
	v_mul_f64 v[178:179], v[178:179], v[112:113]
	v_add_f64 v[102:103], v[102:103], -v[110:111]
	v_fma_f64 v[178:179], v[180:181], v[186:187], v[178:179]
	v_add_f64 v[104:105], v[104:105], -v[178:179]
	ds_read2_b64 v[178:181], v1 offset0:38 offset1:39
	s_waitcnt lgkmcnt(0)
	v_mul_f64 v[110:111], v[180:181], v[112:113]
	v_fma_f64 v[110:111], v[178:179], v[186:187], -v[110:111]
	v_mul_f64 v[178:179], v[178:179], v[112:113]
	v_add_f64 v[98:99], v[98:99], -v[110:111]
	v_fma_f64 v[178:179], v[180:181], v[186:187], v[178:179]
	v_add_f64 v[100:101], v[100:101], -v[178:179]
	ds_read2_b64 v[178:181], v1 offset0:40 offset1:41
	s_waitcnt lgkmcnt(0)
	v_mul_f64 v[110:111], v[180:181], v[112:113]
	v_fma_f64 v[110:111], v[178:179], v[186:187], -v[110:111]
	v_mul_f64 v[178:179], v[178:179], v[112:113]
	v_add_f64 v[94:95], v[94:95], -v[110:111]
	v_fma_f64 v[178:179], v[180:181], v[186:187], v[178:179]
	v_add_f64 v[96:97], v[96:97], -v[178:179]
	ds_read2_b64 v[178:181], v1 offset0:42 offset1:43
	s_waitcnt lgkmcnt(0)
	v_mul_f64 v[110:111], v[180:181], v[112:113]
	v_fma_f64 v[110:111], v[178:179], v[186:187], -v[110:111]
	v_mul_f64 v[178:179], v[178:179], v[112:113]
	v_add_f64 v[90:91], v[90:91], -v[110:111]
	v_fma_f64 v[178:179], v[180:181], v[186:187], v[178:179]
	v_add_f64 v[92:93], v[92:93], -v[178:179]
	ds_read2_b64 v[178:181], v1 offset0:44 offset1:45
	s_waitcnt lgkmcnt(0)
	v_mul_f64 v[110:111], v[180:181], v[112:113]
	v_fma_f64 v[110:111], v[178:179], v[186:187], -v[110:111]
	v_mul_f64 v[178:179], v[178:179], v[112:113]
	v_add_f64 v[86:87], v[86:87], -v[110:111]
	v_fma_f64 v[178:179], v[180:181], v[186:187], v[178:179]
	v_add_f64 v[88:89], v[88:89], -v[178:179]
	ds_read2_b64 v[178:181], v1 offset0:46 offset1:47
	s_waitcnt lgkmcnt(0)
	v_mul_f64 v[110:111], v[180:181], v[112:113]
	v_fma_f64 v[110:111], v[178:179], v[186:187], -v[110:111]
	v_mul_f64 v[178:179], v[178:179], v[112:113]
	v_add_f64 v[82:83], v[82:83], -v[110:111]
	v_fma_f64 v[178:179], v[180:181], v[186:187], v[178:179]
	v_add_f64 v[84:85], v[84:85], -v[178:179]
	ds_read2_b64 v[178:181], v1 offset0:48 offset1:49
	s_waitcnt lgkmcnt(0)
	v_mul_f64 v[110:111], v[180:181], v[112:113]
	v_fma_f64 v[110:111], v[178:179], v[186:187], -v[110:111]
	v_mul_f64 v[178:179], v[178:179], v[112:113]
	v_add_f64 v[78:79], v[78:79], -v[110:111]
	v_fma_f64 v[178:179], v[180:181], v[186:187], v[178:179]
	v_add_f64 v[80:81], v[80:81], -v[178:179]
	ds_read2_b64 v[178:181], v1 offset0:50 offset1:51
	s_waitcnt lgkmcnt(0)
	v_mul_f64 v[110:111], v[180:181], v[112:113]
	v_fma_f64 v[110:111], v[178:179], v[186:187], -v[110:111]
	v_mul_f64 v[178:179], v[178:179], v[112:113]
	v_add_f64 v[74:75], v[74:75], -v[110:111]
	v_fma_f64 v[178:179], v[180:181], v[186:187], v[178:179]
	v_add_f64 v[76:77], v[76:77], -v[178:179]
	ds_read2_b64 v[178:181], v1 offset0:52 offset1:53
	s_waitcnt lgkmcnt(0)
	v_mul_f64 v[110:111], v[180:181], v[112:113]
	v_fma_f64 v[110:111], v[178:179], v[186:187], -v[110:111]
	v_mul_f64 v[178:179], v[178:179], v[112:113]
	v_add_f64 v[70:71], v[70:71], -v[110:111]
	v_fma_f64 v[178:179], v[180:181], v[186:187], v[178:179]
	v_add_f64 v[72:73], v[72:73], -v[178:179]
	ds_read2_b64 v[178:181], v1 offset0:54 offset1:55
	s_waitcnt lgkmcnt(0)
	v_mul_f64 v[110:111], v[180:181], v[112:113]
	v_fma_f64 v[110:111], v[178:179], v[186:187], -v[110:111]
	v_mul_f64 v[178:179], v[178:179], v[112:113]
	v_add_f64 v[66:67], v[66:67], -v[110:111]
	v_fma_f64 v[178:179], v[180:181], v[186:187], v[178:179]
	v_add_f64 v[68:69], v[68:69], -v[178:179]
	ds_read2_b64 v[178:181], v1 offset0:56 offset1:57
	s_waitcnt lgkmcnt(0)
	v_mul_f64 v[110:111], v[180:181], v[112:113]
	v_fma_f64 v[110:111], v[178:179], v[186:187], -v[110:111]
	v_mul_f64 v[178:179], v[178:179], v[112:113]
	v_add_f64 v[62:63], v[62:63], -v[110:111]
	v_fma_f64 v[178:179], v[180:181], v[186:187], v[178:179]
	v_add_f64 v[64:65], v[64:65], -v[178:179]
	ds_read2_b64 v[178:181], v1 offset0:58 offset1:59
	s_waitcnt lgkmcnt(0)
	v_mul_f64 v[110:111], v[180:181], v[112:113]
	v_fma_f64 v[110:111], v[178:179], v[186:187], -v[110:111]
	v_mul_f64 v[178:179], v[178:179], v[112:113]
	v_add_f64 v[58:59], v[58:59], -v[110:111]
	v_fma_f64 v[178:179], v[180:181], v[186:187], v[178:179]
	v_add_f64 v[60:61], v[60:61], -v[178:179]
	ds_read2_b64 v[178:181], v1 offset0:60 offset1:61
	s_waitcnt lgkmcnt(0)
	v_mul_f64 v[110:111], v[180:181], v[112:113]
	v_fma_f64 v[110:111], v[178:179], v[186:187], -v[110:111]
	v_mul_f64 v[178:179], v[178:179], v[112:113]
	v_add_f64 v[54:55], v[54:55], -v[110:111]
	v_fma_f64 v[178:179], v[180:181], v[186:187], v[178:179]
	v_add_f64 v[56:57], v[56:57], -v[178:179]
	ds_read2_b64 v[178:181], v1 offset0:62 offset1:63
	s_waitcnt lgkmcnt(0)
	v_mul_f64 v[110:111], v[180:181], v[112:113]
	v_fma_f64 v[110:111], v[178:179], v[186:187], -v[110:111]
	v_mul_f64 v[178:179], v[178:179], v[112:113]
	v_add_f64 v[50:51], v[50:51], -v[110:111]
	v_fma_f64 v[178:179], v[180:181], v[186:187], v[178:179]
	v_add_f64 v[52:53], v[52:53], -v[178:179]
	ds_read2_b64 v[178:181], v1 offset0:64 offset1:65
	s_waitcnt lgkmcnt(0)
	v_mul_f64 v[110:111], v[180:181], v[112:113]
	v_fma_f64 v[110:111], v[178:179], v[186:187], -v[110:111]
	v_mul_f64 v[178:179], v[178:179], v[112:113]
	v_add_f64 v[46:47], v[46:47], -v[110:111]
	v_fma_f64 v[178:179], v[180:181], v[186:187], v[178:179]
	v_add_f64 v[48:49], v[48:49], -v[178:179]
	ds_read2_b64 v[178:181], v1 offset0:66 offset1:67
	s_waitcnt lgkmcnt(0)
	v_mul_f64 v[110:111], v[180:181], v[112:113]
	v_fma_f64 v[110:111], v[178:179], v[186:187], -v[110:111]
	v_mul_f64 v[178:179], v[178:179], v[112:113]
	v_add_f64 v[42:43], v[42:43], -v[110:111]
	v_fma_f64 v[178:179], v[180:181], v[186:187], v[178:179]
	v_add_f64 v[44:45], v[44:45], -v[178:179]
	ds_read2_b64 v[178:181], v1 offset0:68 offset1:69
	s_waitcnt lgkmcnt(0)
	v_mul_f64 v[110:111], v[180:181], v[112:113]
	v_fma_f64 v[110:111], v[178:179], v[186:187], -v[110:111]
	v_mul_f64 v[178:179], v[178:179], v[112:113]
	v_add_f64 v[38:39], v[38:39], -v[110:111]
	v_fma_f64 v[178:179], v[180:181], v[186:187], v[178:179]
	v_add_f64 v[40:41], v[40:41], -v[178:179]
	ds_read2_b64 v[178:181], v1 offset0:70 offset1:71
	s_waitcnt lgkmcnt(0)
	v_mul_f64 v[110:111], v[180:181], v[112:113]
	v_fma_f64 v[110:111], v[178:179], v[186:187], -v[110:111]
	v_mul_f64 v[178:179], v[178:179], v[112:113]
	v_add_f64 v[34:35], v[34:35], -v[110:111]
	v_fma_f64 v[178:179], v[180:181], v[186:187], v[178:179]
	v_add_f64 v[36:37], v[36:37], -v[178:179]
	ds_read2_b64 v[178:181], v1 offset0:72 offset1:73
	s_waitcnt lgkmcnt(0)
	v_mul_f64 v[110:111], v[180:181], v[112:113]
	v_fma_f64 v[110:111], v[178:179], v[186:187], -v[110:111]
	v_mul_f64 v[178:179], v[178:179], v[112:113]
	v_add_f64 v[30:31], v[30:31], -v[110:111]
	v_fma_f64 v[178:179], v[180:181], v[186:187], v[178:179]
	v_add_f64 v[32:33], v[32:33], -v[178:179]
	ds_read2_b64 v[178:181], v1 offset0:74 offset1:75
	s_waitcnt lgkmcnt(0)
	v_mul_f64 v[110:111], v[180:181], v[112:113]
	v_fma_f64 v[110:111], v[178:179], v[186:187], -v[110:111]
	v_mul_f64 v[178:179], v[178:179], v[112:113]
	v_add_f64 v[26:27], v[26:27], -v[110:111]
	v_fma_f64 v[178:179], v[180:181], v[186:187], v[178:179]
	v_add_f64 v[28:29], v[28:29], -v[178:179]
	ds_read2_b64 v[178:181], v1 offset0:76 offset1:77
	s_waitcnt lgkmcnt(0)
	v_mul_f64 v[110:111], v[180:181], v[112:113]
	v_fma_f64 v[110:111], v[178:179], v[186:187], -v[110:111]
	v_mul_f64 v[178:179], v[178:179], v[112:113]
	v_add_f64 v[22:23], v[22:23], -v[110:111]
	v_fma_f64 v[178:179], v[180:181], v[186:187], v[178:179]
	v_add_f64 v[24:25], v[24:25], -v[178:179]
	ds_read2_b64 v[178:181], v1 offset0:78 offset1:79
	s_waitcnt lgkmcnt(0)
	v_mul_f64 v[110:111], v[180:181], v[112:113]
	v_fma_f64 v[110:111], v[178:179], v[186:187], -v[110:111]
	v_mul_f64 v[178:179], v[178:179], v[112:113]
	v_add_f64 v[18:19], v[18:19], -v[110:111]
	v_fma_f64 v[178:179], v[180:181], v[186:187], v[178:179]
	v_add_f64 v[20:21], v[20:21], -v[178:179]
	ds_read2_b64 v[178:181], v1 offset0:80 offset1:81
	s_waitcnt lgkmcnt(0)
	v_mul_f64 v[110:111], v[180:181], v[112:113]
	v_fma_f64 v[110:111], v[178:179], v[186:187], -v[110:111]
	v_mul_f64 v[178:179], v[178:179], v[112:113]
	v_add_f64 v[14:15], v[14:15], -v[110:111]
	v_fma_f64 v[178:179], v[180:181], v[186:187], v[178:179]
	v_add_f64 v[16:17], v[16:17], -v[178:179]
	ds_read2_b64 v[178:181], v1 offset0:82 offset1:83
	s_waitcnt lgkmcnt(0)
	v_mul_f64 v[110:111], v[180:181], v[112:113]
	v_fma_f64 v[110:111], v[178:179], v[186:187], -v[110:111]
	v_mul_f64 v[178:179], v[178:179], v[112:113]
	v_add_f64 v[10:11], v[10:11], -v[110:111]
	v_fma_f64 v[178:179], v[180:181], v[186:187], v[178:179]
	v_add_f64 v[12:13], v[12:13], -v[178:179]
	ds_read2_b64 v[178:181], v1 offset0:84 offset1:85
	s_waitcnt lgkmcnt(0)
	v_mul_f64 v[110:111], v[180:181], v[112:113]
	v_fma_f64 v[110:111], v[178:179], v[186:187], -v[110:111]
	v_mul_f64 v[178:179], v[178:179], v[112:113]
	v_add_f64 v[6:7], v[6:7], -v[110:111]
	v_fma_f64 v[178:179], v[180:181], v[186:187], v[178:179]
	v_add_f64 v[8:9], v[8:9], -v[178:179]
	ds_read2_b64 v[178:181], v1 offset0:86 offset1:87
	s_waitcnt lgkmcnt(0)
	v_mul_f64 v[110:111], v[180:181], v[112:113]
	v_fma_f64 v[110:111], v[178:179], v[186:187], -v[110:111]
	v_mul_f64 v[178:179], v[178:179], v[112:113]
	v_add_f64 v[2:3], v[2:3], -v[110:111]
	v_fma_f64 v[178:179], v[180:181], v[186:187], v[178:179]
	v_mov_b32_e32 v110, v186
	v_mov_b32_e32 v111, v187
	v_add_f64 v[4:5], v[4:5], -v[178:179]
.LBB86_356:
	s_or_b32 exec_lo, exec_lo, s0
	v_lshl_add_u32 v178, v192, 4, v1
	s_barrier
	buffer_gl0_inv
	v_mov_b32_e32 v186, 17
	ds_write2_b64 v178, v[106:107], v[108:109] offset1:1
	s_waitcnt lgkmcnt(0)
	s_barrier
	buffer_gl0_inv
	ds_read2_b64 v[178:181], v1 offset0:34 offset1:35
	s_cmp_lt_i32 s18, 19
	s_cbranch_scc1 .LBB86_359
; %bb.357:
	v_add3_u32 v187, v188, 0, 0x120
	v_mov_b32_e32 v186, 17
	s_mov_b32 s1, 18
	s_inst_prefetch 0x1
	.p2align	6
.LBB86_358:                             ; =>This Inner Loop Header: Depth=1
	s_waitcnt lgkmcnt(0)
	v_cmp_gt_f64_e32 vcc_lo, 0, v[180:181]
	v_cmp_gt_f64_e64 s0, 0, v[178:179]
	ds_read2_b64 v[193:196], v187 offset1:1
	v_xor_b32_e32 v198, 0x80000000, v179
	v_xor_b32_e32 v200, 0x80000000, v181
	v_mov_b32_e32 v197, v178
	v_mov_b32_e32 v199, v180
	v_add_nc_u32_e32 v187, 16, v187
	s_waitcnt lgkmcnt(0)
	v_xor_b32_e32 v202, 0x80000000, v196
	v_cndmask_b32_e64 v198, v179, v198, s0
	v_cndmask_b32_e32 v200, v181, v200, vcc_lo
	v_cmp_gt_f64_e32 vcc_lo, 0, v[195:196]
	v_cmp_gt_f64_e64 s0, 0, v[193:194]
	v_mov_b32_e32 v201, v195
	v_add_f64 v[197:198], v[197:198], v[199:200]
	v_xor_b32_e32 v200, 0x80000000, v194
	v_mov_b32_e32 v199, v193
	v_cndmask_b32_e32 v202, v196, v202, vcc_lo
	v_cndmask_b32_e64 v200, v194, v200, s0
	v_add_f64 v[199:200], v[199:200], v[201:202]
	v_cmp_lt_f64_e32 vcc_lo, v[197:198], v[199:200]
	v_cndmask_b32_e32 v179, v179, v194, vcc_lo
	v_cndmask_b32_e32 v178, v178, v193, vcc_lo
	;; [unrolled: 1-line block ×4, first 2 shown]
	v_cndmask_b32_e64 v186, v186, s1, vcc_lo
	s_add_i32 s1, s1, 1
	s_cmp_lg_u32 s18, s1
	s_cbranch_scc1 .LBB86_358
.LBB86_359:
	s_inst_prefetch 0x2
	s_waitcnt lgkmcnt(0)
	v_cmp_eq_f64_e32 vcc_lo, 0, v[178:179]
	v_cmp_eq_f64_e64 s0, 0, v[180:181]
	s_and_b32 s0, vcc_lo, s0
	s_and_saveexec_b32 s1, s0
	s_xor_b32 s0, exec_lo, s1
; %bb.360:
	v_cmp_ne_u32_e32 vcc_lo, 0, v191
	v_cndmask_b32_e32 v191, 18, v191, vcc_lo
; %bb.361:
	s_andn2_saveexec_b32 s0, s0
	s_cbranch_execz .LBB86_367
; %bb.362:
	v_cmp_ngt_f64_e64 s1, |v[178:179]|, |v[180:181]|
	s_and_saveexec_b32 s2, s1
	s_xor_b32 s1, exec_lo, s2
	s_cbranch_execz .LBB86_364
; %bb.363:
	v_div_scale_f64 v[193:194], null, v[180:181], v[180:181], v[178:179]
	v_div_scale_f64 v[199:200], vcc_lo, v[178:179], v[180:181], v[178:179]
	v_rcp_f64_e32 v[195:196], v[193:194]
	v_fma_f64 v[197:198], -v[193:194], v[195:196], 1.0
	v_fma_f64 v[195:196], v[195:196], v[197:198], v[195:196]
	v_fma_f64 v[197:198], -v[193:194], v[195:196], 1.0
	v_fma_f64 v[195:196], v[195:196], v[197:198], v[195:196]
	v_mul_f64 v[197:198], v[199:200], v[195:196]
	v_fma_f64 v[193:194], -v[193:194], v[197:198], v[199:200]
	v_div_fmas_f64 v[193:194], v[193:194], v[195:196], v[197:198]
	v_div_fixup_f64 v[193:194], v[193:194], v[180:181], v[178:179]
	v_fma_f64 v[178:179], v[178:179], v[193:194], v[180:181]
	v_div_scale_f64 v[180:181], null, v[178:179], v[178:179], 1.0
	v_rcp_f64_e32 v[195:196], v[180:181]
	v_fma_f64 v[197:198], -v[180:181], v[195:196], 1.0
	v_fma_f64 v[195:196], v[195:196], v[197:198], v[195:196]
	v_fma_f64 v[197:198], -v[180:181], v[195:196], 1.0
	v_fma_f64 v[195:196], v[195:196], v[197:198], v[195:196]
	v_div_scale_f64 v[197:198], vcc_lo, 1.0, v[178:179], 1.0
	v_mul_f64 v[199:200], v[197:198], v[195:196]
	v_fma_f64 v[180:181], -v[180:181], v[199:200], v[197:198]
	v_div_fmas_f64 v[180:181], v[180:181], v[195:196], v[199:200]
	v_div_fixup_f64 v[180:181], v[180:181], v[178:179], 1.0
	v_mul_f64 v[178:179], v[193:194], v[180:181]
	v_xor_b32_e32 v181, 0x80000000, v181
.LBB86_364:
	s_andn2_saveexec_b32 s1, s1
	s_cbranch_execz .LBB86_366
; %bb.365:
	v_div_scale_f64 v[193:194], null, v[178:179], v[178:179], v[180:181]
	v_div_scale_f64 v[199:200], vcc_lo, v[180:181], v[178:179], v[180:181]
	v_rcp_f64_e32 v[195:196], v[193:194]
	v_fma_f64 v[197:198], -v[193:194], v[195:196], 1.0
	v_fma_f64 v[195:196], v[195:196], v[197:198], v[195:196]
	v_fma_f64 v[197:198], -v[193:194], v[195:196], 1.0
	v_fma_f64 v[195:196], v[195:196], v[197:198], v[195:196]
	v_mul_f64 v[197:198], v[199:200], v[195:196]
	v_fma_f64 v[193:194], -v[193:194], v[197:198], v[199:200]
	v_div_fmas_f64 v[193:194], v[193:194], v[195:196], v[197:198]
	v_div_fixup_f64 v[193:194], v[193:194], v[178:179], v[180:181]
	v_fma_f64 v[178:179], v[180:181], v[193:194], v[178:179]
	v_div_scale_f64 v[180:181], null, v[178:179], v[178:179], 1.0
	v_rcp_f64_e32 v[195:196], v[180:181]
	v_fma_f64 v[197:198], -v[180:181], v[195:196], 1.0
	v_fma_f64 v[195:196], v[195:196], v[197:198], v[195:196]
	v_fma_f64 v[197:198], -v[180:181], v[195:196], 1.0
	v_fma_f64 v[195:196], v[195:196], v[197:198], v[195:196]
	v_div_scale_f64 v[197:198], vcc_lo, 1.0, v[178:179], 1.0
	v_mul_f64 v[199:200], v[197:198], v[195:196]
	v_fma_f64 v[180:181], -v[180:181], v[199:200], v[197:198]
	v_div_fmas_f64 v[180:181], v[180:181], v[195:196], v[199:200]
	v_div_fixup_f64 v[178:179], v[180:181], v[178:179], 1.0
	v_mul_f64 v[180:181], v[193:194], -v[178:179]
.LBB86_366:
	s_or_b32 exec_lo, exec_lo, s1
.LBB86_367:
	s_or_b32 exec_lo, exec_lo, s0
	s_mov_b32 s0, exec_lo
	v_cmpx_ne_u32_e64 v192, v186
	s_xor_b32 s0, exec_lo, s0
	s_cbranch_execz .LBB86_373
; %bb.368:
	s_mov_b32 s1, exec_lo
	v_cmpx_eq_u32_e32 17, v192
	s_cbranch_execz .LBB86_372
; %bb.369:
	v_cmp_ne_u32_e32 vcc_lo, 17, v186
	s_xor_b32 s2, s16, -1
	s_and_b32 s3, s2, vcc_lo
	s_and_saveexec_b32 s2, s3
	s_cbranch_execz .LBB86_371
; %bb.370:
	v_ashrrev_i32_e32 v187, 31, v186
	v_lshlrev_b64 v[192:193], 2, v[186:187]
	v_add_co_u32 v192, vcc_lo, v184, v192
	v_add_co_ci_u32_e64 v193, null, v185, v193, vcc_lo
	s_clause 0x1
	global_load_dword v0, v[192:193], off
	global_load_dword v187, v[184:185], off offset:68
	s_waitcnt vmcnt(1)
	global_store_dword v[184:185], v0, off offset:68
	s_waitcnt vmcnt(0)
	global_store_dword v[192:193], v187, off
.LBB86_371:
	s_or_b32 exec_lo, exec_lo, s2
	v_mov_b32_e32 v192, v186
	v_mov_b32_e32 v0, v186
.LBB86_372:
	s_or_b32 exec_lo, exec_lo, s1
.LBB86_373:
	s_andn2_saveexec_b32 s0, s0
	s_cbranch_execz .LBB86_375
; %bb.374:
	v_mov_b32_e32 v192, 17
	ds_write2_b64 v1, v[102:103], v[104:105] offset0:36 offset1:37
	ds_write2_b64 v1, v[98:99], v[100:101] offset0:38 offset1:39
	;; [unrolled: 1-line block ×26, first 2 shown]
.LBB86_375:
	s_or_b32 exec_lo, exec_lo, s0
	s_mov_b32 s0, exec_lo
	s_waitcnt lgkmcnt(0)
	s_waitcnt_vscnt null, 0x0
	s_barrier
	buffer_gl0_inv
	v_cmpx_lt_i32_e32 17, v192
	s_cbranch_execz .LBB86_377
; %bb.376:
	v_mul_f64 v[186:187], v[180:181], v[108:109]
	v_mul_f64 v[108:109], v[178:179], v[108:109]
	v_fma_f64 v[186:187], v[178:179], v[106:107], -v[186:187]
	v_fma_f64 v[108:109], v[180:181], v[106:107], v[108:109]
	ds_read2_b64 v[178:181], v1 offset0:36 offset1:37
	s_waitcnt lgkmcnt(0)
	v_mul_f64 v[106:107], v[180:181], v[108:109]
	v_fma_f64 v[106:107], v[178:179], v[186:187], -v[106:107]
	v_mul_f64 v[178:179], v[178:179], v[108:109]
	v_add_f64 v[102:103], v[102:103], -v[106:107]
	v_fma_f64 v[178:179], v[180:181], v[186:187], v[178:179]
	v_add_f64 v[104:105], v[104:105], -v[178:179]
	ds_read2_b64 v[178:181], v1 offset0:38 offset1:39
	s_waitcnt lgkmcnt(0)
	v_mul_f64 v[106:107], v[180:181], v[108:109]
	v_fma_f64 v[106:107], v[178:179], v[186:187], -v[106:107]
	v_mul_f64 v[178:179], v[178:179], v[108:109]
	v_add_f64 v[98:99], v[98:99], -v[106:107]
	v_fma_f64 v[178:179], v[180:181], v[186:187], v[178:179]
	v_add_f64 v[100:101], v[100:101], -v[178:179]
	;; [unrolled: 8-line block ×25, first 2 shown]
	ds_read2_b64 v[178:181], v1 offset0:86 offset1:87
	s_waitcnt lgkmcnt(0)
	v_mul_f64 v[106:107], v[180:181], v[108:109]
	v_fma_f64 v[106:107], v[178:179], v[186:187], -v[106:107]
	v_mul_f64 v[178:179], v[178:179], v[108:109]
	v_add_f64 v[2:3], v[2:3], -v[106:107]
	v_fma_f64 v[178:179], v[180:181], v[186:187], v[178:179]
	v_mov_b32_e32 v106, v186
	v_mov_b32_e32 v107, v187
	v_add_f64 v[4:5], v[4:5], -v[178:179]
.LBB86_377:
	s_or_b32 exec_lo, exec_lo, s0
	v_lshl_add_u32 v178, v192, 4, v1
	s_barrier
	buffer_gl0_inv
	v_mov_b32_e32 v186, 18
	ds_write2_b64 v178, v[102:103], v[104:105] offset1:1
	s_waitcnt lgkmcnt(0)
	s_barrier
	buffer_gl0_inv
	ds_read2_b64 v[178:181], v1 offset0:36 offset1:37
	s_cmp_lt_i32 s18, 20
	s_cbranch_scc1 .LBB86_380
; %bb.378:
	v_add3_u32 v187, v188, 0, 0x130
	v_mov_b32_e32 v186, 18
	s_mov_b32 s1, 19
	s_inst_prefetch 0x1
	.p2align	6
.LBB86_379:                             ; =>This Inner Loop Header: Depth=1
	s_waitcnt lgkmcnt(0)
	v_cmp_gt_f64_e32 vcc_lo, 0, v[180:181]
	v_cmp_gt_f64_e64 s0, 0, v[178:179]
	ds_read2_b64 v[193:196], v187 offset1:1
	v_xor_b32_e32 v198, 0x80000000, v179
	v_xor_b32_e32 v200, 0x80000000, v181
	v_mov_b32_e32 v197, v178
	v_mov_b32_e32 v199, v180
	v_add_nc_u32_e32 v187, 16, v187
	s_waitcnt lgkmcnt(0)
	v_xor_b32_e32 v202, 0x80000000, v196
	v_cndmask_b32_e64 v198, v179, v198, s0
	v_cndmask_b32_e32 v200, v181, v200, vcc_lo
	v_cmp_gt_f64_e32 vcc_lo, 0, v[195:196]
	v_cmp_gt_f64_e64 s0, 0, v[193:194]
	v_mov_b32_e32 v201, v195
	v_add_f64 v[197:198], v[197:198], v[199:200]
	v_xor_b32_e32 v200, 0x80000000, v194
	v_mov_b32_e32 v199, v193
	v_cndmask_b32_e32 v202, v196, v202, vcc_lo
	v_cndmask_b32_e64 v200, v194, v200, s0
	v_add_f64 v[199:200], v[199:200], v[201:202]
	v_cmp_lt_f64_e32 vcc_lo, v[197:198], v[199:200]
	v_cndmask_b32_e32 v179, v179, v194, vcc_lo
	v_cndmask_b32_e32 v178, v178, v193, vcc_lo
	;; [unrolled: 1-line block ×4, first 2 shown]
	v_cndmask_b32_e64 v186, v186, s1, vcc_lo
	s_add_i32 s1, s1, 1
	s_cmp_lg_u32 s18, s1
	s_cbranch_scc1 .LBB86_379
.LBB86_380:
	s_inst_prefetch 0x2
	s_waitcnt lgkmcnt(0)
	v_cmp_eq_f64_e32 vcc_lo, 0, v[178:179]
	v_cmp_eq_f64_e64 s0, 0, v[180:181]
	s_and_b32 s0, vcc_lo, s0
	s_and_saveexec_b32 s1, s0
	s_xor_b32 s0, exec_lo, s1
; %bb.381:
	v_cmp_ne_u32_e32 vcc_lo, 0, v191
	v_cndmask_b32_e32 v191, 19, v191, vcc_lo
; %bb.382:
	s_andn2_saveexec_b32 s0, s0
	s_cbranch_execz .LBB86_388
; %bb.383:
	v_cmp_ngt_f64_e64 s1, |v[178:179]|, |v[180:181]|
	s_and_saveexec_b32 s2, s1
	s_xor_b32 s1, exec_lo, s2
	s_cbranch_execz .LBB86_385
; %bb.384:
	v_div_scale_f64 v[193:194], null, v[180:181], v[180:181], v[178:179]
	v_div_scale_f64 v[199:200], vcc_lo, v[178:179], v[180:181], v[178:179]
	v_rcp_f64_e32 v[195:196], v[193:194]
	v_fma_f64 v[197:198], -v[193:194], v[195:196], 1.0
	v_fma_f64 v[195:196], v[195:196], v[197:198], v[195:196]
	v_fma_f64 v[197:198], -v[193:194], v[195:196], 1.0
	v_fma_f64 v[195:196], v[195:196], v[197:198], v[195:196]
	v_mul_f64 v[197:198], v[199:200], v[195:196]
	v_fma_f64 v[193:194], -v[193:194], v[197:198], v[199:200]
	v_div_fmas_f64 v[193:194], v[193:194], v[195:196], v[197:198]
	v_div_fixup_f64 v[193:194], v[193:194], v[180:181], v[178:179]
	v_fma_f64 v[178:179], v[178:179], v[193:194], v[180:181]
	v_div_scale_f64 v[180:181], null, v[178:179], v[178:179], 1.0
	v_rcp_f64_e32 v[195:196], v[180:181]
	v_fma_f64 v[197:198], -v[180:181], v[195:196], 1.0
	v_fma_f64 v[195:196], v[195:196], v[197:198], v[195:196]
	v_fma_f64 v[197:198], -v[180:181], v[195:196], 1.0
	v_fma_f64 v[195:196], v[195:196], v[197:198], v[195:196]
	v_div_scale_f64 v[197:198], vcc_lo, 1.0, v[178:179], 1.0
	v_mul_f64 v[199:200], v[197:198], v[195:196]
	v_fma_f64 v[180:181], -v[180:181], v[199:200], v[197:198]
	v_div_fmas_f64 v[180:181], v[180:181], v[195:196], v[199:200]
	v_div_fixup_f64 v[180:181], v[180:181], v[178:179], 1.0
	v_mul_f64 v[178:179], v[193:194], v[180:181]
	v_xor_b32_e32 v181, 0x80000000, v181
.LBB86_385:
	s_andn2_saveexec_b32 s1, s1
	s_cbranch_execz .LBB86_387
; %bb.386:
	v_div_scale_f64 v[193:194], null, v[178:179], v[178:179], v[180:181]
	v_div_scale_f64 v[199:200], vcc_lo, v[180:181], v[178:179], v[180:181]
	v_rcp_f64_e32 v[195:196], v[193:194]
	v_fma_f64 v[197:198], -v[193:194], v[195:196], 1.0
	v_fma_f64 v[195:196], v[195:196], v[197:198], v[195:196]
	v_fma_f64 v[197:198], -v[193:194], v[195:196], 1.0
	v_fma_f64 v[195:196], v[195:196], v[197:198], v[195:196]
	v_mul_f64 v[197:198], v[199:200], v[195:196]
	v_fma_f64 v[193:194], -v[193:194], v[197:198], v[199:200]
	v_div_fmas_f64 v[193:194], v[193:194], v[195:196], v[197:198]
	v_div_fixup_f64 v[193:194], v[193:194], v[178:179], v[180:181]
	v_fma_f64 v[178:179], v[180:181], v[193:194], v[178:179]
	v_div_scale_f64 v[180:181], null, v[178:179], v[178:179], 1.0
	v_rcp_f64_e32 v[195:196], v[180:181]
	v_fma_f64 v[197:198], -v[180:181], v[195:196], 1.0
	v_fma_f64 v[195:196], v[195:196], v[197:198], v[195:196]
	v_fma_f64 v[197:198], -v[180:181], v[195:196], 1.0
	v_fma_f64 v[195:196], v[195:196], v[197:198], v[195:196]
	v_div_scale_f64 v[197:198], vcc_lo, 1.0, v[178:179], 1.0
	v_mul_f64 v[199:200], v[197:198], v[195:196]
	v_fma_f64 v[180:181], -v[180:181], v[199:200], v[197:198]
	v_div_fmas_f64 v[180:181], v[180:181], v[195:196], v[199:200]
	v_div_fixup_f64 v[178:179], v[180:181], v[178:179], 1.0
	v_mul_f64 v[180:181], v[193:194], -v[178:179]
.LBB86_387:
	s_or_b32 exec_lo, exec_lo, s1
.LBB86_388:
	s_or_b32 exec_lo, exec_lo, s0
	s_mov_b32 s0, exec_lo
	v_cmpx_ne_u32_e64 v192, v186
	s_xor_b32 s0, exec_lo, s0
	s_cbranch_execz .LBB86_394
; %bb.389:
	s_mov_b32 s1, exec_lo
	v_cmpx_eq_u32_e32 18, v192
	s_cbranch_execz .LBB86_393
; %bb.390:
	v_cmp_ne_u32_e32 vcc_lo, 18, v186
	s_xor_b32 s2, s16, -1
	s_and_b32 s3, s2, vcc_lo
	s_and_saveexec_b32 s2, s3
	s_cbranch_execz .LBB86_392
; %bb.391:
	v_ashrrev_i32_e32 v187, 31, v186
	v_lshlrev_b64 v[192:193], 2, v[186:187]
	v_add_co_u32 v192, vcc_lo, v184, v192
	v_add_co_ci_u32_e64 v193, null, v185, v193, vcc_lo
	s_clause 0x1
	global_load_dword v0, v[192:193], off
	global_load_dword v187, v[184:185], off offset:72
	s_waitcnt vmcnt(1)
	global_store_dword v[184:185], v0, off offset:72
	s_waitcnt vmcnt(0)
	global_store_dword v[192:193], v187, off
.LBB86_392:
	s_or_b32 exec_lo, exec_lo, s2
	v_mov_b32_e32 v192, v186
	v_mov_b32_e32 v0, v186
.LBB86_393:
	s_or_b32 exec_lo, exec_lo, s1
.LBB86_394:
	s_andn2_saveexec_b32 s0, s0
	s_cbranch_execz .LBB86_396
; %bb.395:
	v_mov_b32_e32 v192, 18
	ds_write2_b64 v1, v[98:99], v[100:101] offset0:38 offset1:39
	ds_write2_b64 v1, v[94:95], v[96:97] offset0:40 offset1:41
	;; [unrolled: 1-line block ×25, first 2 shown]
.LBB86_396:
	s_or_b32 exec_lo, exec_lo, s0
	s_mov_b32 s0, exec_lo
	s_waitcnt lgkmcnt(0)
	s_waitcnt_vscnt null, 0x0
	s_barrier
	buffer_gl0_inv
	v_cmpx_lt_i32_e32 18, v192
	s_cbranch_execz .LBB86_398
; %bb.397:
	v_mul_f64 v[186:187], v[180:181], v[104:105]
	v_mul_f64 v[104:105], v[178:179], v[104:105]
	v_fma_f64 v[186:187], v[178:179], v[102:103], -v[186:187]
	v_fma_f64 v[104:105], v[180:181], v[102:103], v[104:105]
	ds_read2_b64 v[178:181], v1 offset0:38 offset1:39
	s_waitcnt lgkmcnt(0)
	v_mul_f64 v[102:103], v[180:181], v[104:105]
	v_fma_f64 v[102:103], v[178:179], v[186:187], -v[102:103]
	v_mul_f64 v[178:179], v[178:179], v[104:105]
	v_add_f64 v[98:99], v[98:99], -v[102:103]
	v_fma_f64 v[178:179], v[180:181], v[186:187], v[178:179]
	v_add_f64 v[100:101], v[100:101], -v[178:179]
	ds_read2_b64 v[178:181], v1 offset0:40 offset1:41
	s_waitcnt lgkmcnt(0)
	v_mul_f64 v[102:103], v[180:181], v[104:105]
	v_fma_f64 v[102:103], v[178:179], v[186:187], -v[102:103]
	v_mul_f64 v[178:179], v[178:179], v[104:105]
	v_add_f64 v[94:95], v[94:95], -v[102:103]
	v_fma_f64 v[178:179], v[180:181], v[186:187], v[178:179]
	v_add_f64 v[96:97], v[96:97], -v[178:179]
	ds_read2_b64 v[178:181], v1 offset0:42 offset1:43
	s_waitcnt lgkmcnt(0)
	v_mul_f64 v[102:103], v[180:181], v[104:105]
	v_fma_f64 v[102:103], v[178:179], v[186:187], -v[102:103]
	v_mul_f64 v[178:179], v[178:179], v[104:105]
	v_add_f64 v[90:91], v[90:91], -v[102:103]
	v_fma_f64 v[178:179], v[180:181], v[186:187], v[178:179]
	v_add_f64 v[92:93], v[92:93], -v[178:179]
	ds_read2_b64 v[178:181], v1 offset0:44 offset1:45
	s_waitcnt lgkmcnt(0)
	v_mul_f64 v[102:103], v[180:181], v[104:105]
	v_fma_f64 v[102:103], v[178:179], v[186:187], -v[102:103]
	v_mul_f64 v[178:179], v[178:179], v[104:105]
	v_add_f64 v[86:87], v[86:87], -v[102:103]
	v_fma_f64 v[178:179], v[180:181], v[186:187], v[178:179]
	v_add_f64 v[88:89], v[88:89], -v[178:179]
	ds_read2_b64 v[178:181], v1 offset0:46 offset1:47
	s_waitcnt lgkmcnt(0)
	v_mul_f64 v[102:103], v[180:181], v[104:105]
	v_fma_f64 v[102:103], v[178:179], v[186:187], -v[102:103]
	v_mul_f64 v[178:179], v[178:179], v[104:105]
	v_add_f64 v[82:83], v[82:83], -v[102:103]
	v_fma_f64 v[178:179], v[180:181], v[186:187], v[178:179]
	v_add_f64 v[84:85], v[84:85], -v[178:179]
	ds_read2_b64 v[178:181], v1 offset0:48 offset1:49
	s_waitcnt lgkmcnt(0)
	v_mul_f64 v[102:103], v[180:181], v[104:105]
	v_fma_f64 v[102:103], v[178:179], v[186:187], -v[102:103]
	v_mul_f64 v[178:179], v[178:179], v[104:105]
	v_add_f64 v[78:79], v[78:79], -v[102:103]
	v_fma_f64 v[178:179], v[180:181], v[186:187], v[178:179]
	v_add_f64 v[80:81], v[80:81], -v[178:179]
	ds_read2_b64 v[178:181], v1 offset0:50 offset1:51
	s_waitcnt lgkmcnt(0)
	v_mul_f64 v[102:103], v[180:181], v[104:105]
	v_fma_f64 v[102:103], v[178:179], v[186:187], -v[102:103]
	v_mul_f64 v[178:179], v[178:179], v[104:105]
	v_add_f64 v[74:75], v[74:75], -v[102:103]
	v_fma_f64 v[178:179], v[180:181], v[186:187], v[178:179]
	v_add_f64 v[76:77], v[76:77], -v[178:179]
	ds_read2_b64 v[178:181], v1 offset0:52 offset1:53
	s_waitcnt lgkmcnt(0)
	v_mul_f64 v[102:103], v[180:181], v[104:105]
	v_fma_f64 v[102:103], v[178:179], v[186:187], -v[102:103]
	v_mul_f64 v[178:179], v[178:179], v[104:105]
	v_add_f64 v[70:71], v[70:71], -v[102:103]
	v_fma_f64 v[178:179], v[180:181], v[186:187], v[178:179]
	v_add_f64 v[72:73], v[72:73], -v[178:179]
	ds_read2_b64 v[178:181], v1 offset0:54 offset1:55
	s_waitcnt lgkmcnt(0)
	v_mul_f64 v[102:103], v[180:181], v[104:105]
	v_fma_f64 v[102:103], v[178:179], v[186:187], -v[102:103]
	v_mul_f64 v[178:179], v[178:179], v[104:105]
	v_add_f64 v[66:67], v[66:67], -v[102:103]
	v_fma_f64 v[178:179], v[180:181], v[186:187], v[178:179]
	v_add_f64 v[68:69], v[68:69], -v[178:179]
	ds_read2_b64 v[178:181], v1 offset0:56 offset1:57
	s_waitcnt lgkmcnt(0)
	v_mul_f64 v[102:103], v[180:181], v[104:105]
	v_fma_f64 v[102:103], v[178:179], v[186:187], -v[102:103]
	v_mul_f64 v[178:179], v[178:179], v[104:105]
	v_add_f64 v[62:63], v[62:63], -v[102:103]
	v_fma_f64 v[178:179], v[180:181], v[186:187], v[178:179]
	v_add_f64 v[64:65], v[64:65], -v[178:179]
	ds_read2_b64 v[178:181], v1 offset0:58 offset1:59
	s_waitcnt lgkmcnt(0)
	v_mul_f64 v[102:103], v[180:181], v[104:105]
	v_fma_f64 v[102:103], v[178:179], v[186:187], -v[102:103]
	v_mul_f64 v[178:179], v[178:179], v[104:105]
	v_add_f64 v[58:59], v[58:59], -v[102:103]
	v_fma_f64 v[178:179], v[180:181], v[186:187], v[178:179]
	v_add_f64 v[60:61], v[60:61], -v[178:179]
	ds_read2_b64 v[178:181], v1 offset0:60 offset1:61
	s_waitcnt lgkmcnt(0)
	v_mul_f64 v[102:103], v[180:181], v[104:105]
	v_fma_f64 v[102:103], v[178:179], v[186:187], -v[102:103]
	v_mul_f64 v[178:179], v[178:179], v[104:105]
	v_add_f64 v[54:55], v[54:55], -v[102:103]
	v_fma_f64 v[178:179], v[180:181], v[186:187], v[178:179]
	v_add_f64 v[56:57], v[56:57], -v[178:179]
	ds_read2_b64 v[178:181], v1 offset0:62 offset1:63
	s_waitcnt lgkmcnt(0)
	v_mul_f64 v[102:103], v[180:181], v[104:105]
	v_fma_f64 v[102:103], v[178:179], v[186:187], -v[102:103]
	v_mul_f64 v[178:179], v[178:179], v[104:105]
	v_add_f64 v[50:51], v[50:51], -v[102:103]
	v_fma_f64 v[178:179], v[180:181], v[186:187], v[178:179]
	v_add_f64 v[52:53], v[52:53], -v[178:179]
	ds_read2_b64 v[178:181], v1 offset0:64 offset1:65
	s_waitcnt lgkmcnt(0)
	v_mul_f64 v[102:103], v[180:181], v[104:105]
	v_fma_f64 v[102:103], v[178:179], v[186:187], -v[102:103]
	v_mul_f64 v[178:179], v[178:179], v[104:105]
	v_add_f64 v[46:47], v[46:47], -v[102:103]
	v_fma_f64 v[178:179], v[180:181], v[186:187], v[178:179]
	v_add_f64 v[48:49], v[48:49], -v[178:179]
	ds_read2_b64 v[178:181], v1 offset0:66 offset1:67
	s_waitcnt lgkmcnt(0)
	v_mul_f64 v[102:103], v[180:181], v[104:105]
	v_fma_f64 v[102:103], v[178:179], v[186:187], -v[102:103]
	v_mul_f64 v[178:179], v[178:179], v[104:105]
	v_add_f64 v[42:43], v[42:43], -v[102:103]
	v_fma_f64 v[178:179], v[180:181], v[186:187], v[178:179]
	v_add_f64 v[44:45], v[44:45], -v[178:179]
	ds_read2_b64 v[178:181], v1 offset0:68 offset1:69
	s_waitcnt lgkmcnt(0)
	v_mul_f64 v[102:103], v[180:181], v[104:105]
	v_fma_f64 v[102:103], v[178:179], v[186:187], -v[102:103]
	v_mul_f64 v[178:179], v[178:179], v[104:105]
	v_add_f64 v[38:39], v[38:39], -v[102:103]
	v_fma_f64 v[178:179], v[180:181], v[186:187], v[178:179]
	v_add_f64 v[40:41], v[40:41], -v[178:179]
	ds_read2_b64 v[178:181], v1 offset0:70 offset1:71
	s_waitcnt lgkmcnt(0)
	v_mul_f64 v[102:103], v[180:181], v[104:105]
	v_fma_f64 v[102:103], v[178:179], v[186:187], -v[102:103]
	v_mul_f64 v[178:179], v[178:179], v[104:105]
	v_add_f64 v[34:35], v[34:35], -v[102:103]
	v_fma_f64 v[178:179], v[180:181], v[186:187], v[178:179]
	v_add_f64 v[36:37], v[36:37], -v[178:179]
	ds_read2_b64 v[178:181], v1 offset0:72 offset1:73
	s_waitcnt lgkmcnt(0)
	v_mul_f64 v[102:103], v[180:181], v[104:105]
	v_fma_f64 v[102:103], v[178:179], v[186:187], -v[102:103]
	v_mul_f64 v[178:179], v[178:179], v[104:105]
	v_add_f64 v[30:31], v[30:31], -v[102:103]
	v_fma_f64 v[178:179], v[180:181], v[186:187], v[178:179]
	v_add_f64 v[32:33], v[32:33], -v[178:179]
	ds_read2_b64 v[178:181], v1 offset0:74 offset1:75
	s_waitcnt lgkmcnt(0)
	v_mul_f64 v[102:103], v[180:181], v[104:105]
	v_fma_f64 v[102:103], v[178:179], v[186:187], -v[102:103]
	v_mul_f64 v[178:179], v[178:179], v[104:105]
	v_add_f64 v[26:27], v[26:27], -v[102:103]
	v_fma_f64 v[178:179], v[180:181], v[186:187], v[178:179]
	v_add_f64 v[28:29], v[28:29], -v[178:179]
	ds_read2_b64 v[178:181], v1 offset0:76 offset1:77
	s_waitcnt lgkmcnt(0)
	v_mul_f64 v[102:103], v[180:181], v[104:105]
	v_fma_f64 v[102:103], v[178:179], v[186:187], -v[102:103]
	v_mul_f64 v[178:179], v[178:179], v[104:105]
	v_add_f64 v[22:23], v[22:23], -v[102:103]
	v_fma_f64 v[178:179], v[180:181], v[186:187], v[178:179]
	v_add_f64 v[24:25], v[24:25], -v[178:179]
	ds_read2_b64 v[178:181], v1 offset0:78 offset1:79
	s_waitcnt lgkmcnt(0)
	v_mul_f64 v[102:103], v[180:181], v[104:105]
	v_fma_f64 v[102:103], v[178:179], v[186:187], -v[102:103]
	v_mul_f64 v[178:179], v[178:179], v[104:105]
	v_add_f64 v[18:19], v[18:19], -v[102:103]
	v_fma_f64 v[178:179], v[180:181], v[186:187], v[178:179]
	v_add_f64 v[20:21], v[20:21], -v[178:179]
	ds_read2_b64 v[178:181], v1 offset0:80 offset1:81
	s_waitcnt lgkmcnt(0)
	v_mul_f64 v[102:103], v[180:181], v[104:105]
	v_fma_f64 v[102:103], v[178:179], v[186:187], -v[102:103]
	v_mul_f64 v[178:179], v[178:179], v[104:105]
	v_add_f64 v[14:15], v[14:15], -v[102:103]
	v_fma_f64 v[178:179], v[180:181], v[186:187], v[178:179]
	v_add_f64 v[16:17], v[16:17], -v[178:179]
	ds_read2_b64 v[178:181], v1 offset0:82 offset1:83
	s_waitcnt lgkmcnt(0)
	v_mul_f64 v[102:103], v[180:181], v[104:105]
	v_fma_f64 v[102:103], v[178:179], v[186:187], -v[102:103]
	v_mul_f64 v[178:179], v[178:179], v[104:105]
	v_add_f64 v[10:11], v[10:11], -v[102:103]
	v_fma_f64 v[178:179], v[180:181], v[186:187], v[178:179]
	v_add_f64 v[12:13], v[12:13], -v[178:179]
	ds_read2_b64 v[178:181], v1 offset0:84 offset1:85
	s_waitcnt lgkmcnt(0)
	v_mul_f64 v[102:103], v[180:181], v[104:105]
	v_fma_f64 v[102:103], v[178:179], v[186:187], -v[102:103]
	v_mul_f64 v[178:179], v[178:179], v[104:105]
	v_add_f64 v[6:7], v[6:7], -v[102:103]
	v_fma_f64 v[178:179], v[180:181], v[186:187], v[178:179]
	v_add_f64 v[8:9], v[8:9], -v[178:179]
	ds_read2_b64 v[178:181], v1 offset0:86 offset1:87
	s_waitcnt lgkmcnt(0)
	v_mul_f64 v[102:103], v[180:181], v[104:105]
	v_fma_f64 v[102:103], v[178:179], v[186:187], -v[102:103]
	v_mul_f64 v[178:179], v[178:179], v[104:105]
	v_add_f64 v[2:3], v[2:3], -v[102:103]
	v_fma_f64 v[178:179], v[180:181], v[186:187], v[178:179]
	v_mov_b32_e32 v102, v186
	v_mov_b32_e32 v103, v187
	v_add_f64 v[4:5], v[4:5], -v[178:179]
.LBB86_398:
	s_or_b32 exec_lo, exec_lo, s0
	v_lshl_add_u32 v178, v192, 4, v1
	s_barrier
	buffer_gl0_inv
	v_mov_b32_e32 v186, 19
	ds_write2_b64 v178, v[98:99], v[100:101] offset1:1
	s_waitcnt lgkmcnt(0)
	s_barrier
	buffer_gl0_inv
	ds_read2_b64 v[178:181], v1 offset0:38 offset1:39
	s_cmp_lt_i32 s18, 21
	s_cbranch_scc1 .LBB86_401
; %bb.399:
	v_add3_u32 v187, v188, 0, 0x140
	v_mov_b32_e32 v186, 19
	s_mov_b32 s1, 20
	s_inst_prefetch 0x1
	.p2align	6
.LBB86_400:                             ; =>This Inner Loop Header: Depth=1
	s_waitcnt lgkmcnt(0)
	v_cmp_gt_f64_e32 vcc_lo, 0, v[180:181]
	v_cmp_gt_f64_e64 s0, 0, v[178:179]
	ds_read2_b64 v[193:196], v187 offset1:1
	v_xor_b32_e32 v198, 0x80000000, v179
	v_xor_b32_e32 v200, 0x80000000, v181
	v_mov_b32_e32 v197, v178
	v_mov_b32_e32 v199, v180
	v_add_nc_u32_e32 v187, 16, v187
	s_waitcnt lgkmcnt(0)
	v_xor_b32_e32 v202, 0x80000000, v196
	v_cndmask_b32_e64 v198, v179, v198, s0
	v_cndmask_b32_e32 v200, v181, v200, vcc_lo
	v_cmp_gt_f64_e32 vcc_lo, 0, v[195:196]
	v_cmp_gt_f64_e64 s0, 0, v[193:194]
	v_mov_b32_e32 v201, v195
	v_add_f64 v[197:198], v[197:198], v[199:200]
	v_xor_b32_e32 v200, 0x80000000, v194
	v_mov_b32_e32 v199, v193
	v_cndmask_b32_e32 v202, v196, v202, vcc_lo
	v_cndmask_b32_e64 v200, v194, v200, s0
	v_add_f64 v[199:200], v[199:200], v[201:202]
	v_cmp_lt_f64_e32 vcc_lo, v[197:198], v[199:200]
	v_cndmask_b32_e32 v179, v179, v194, vcc_lo
	v_cndmask_b32_e32 v178, v178, v193, vcc_lo
	;; [unrolled: 1-line block ×4, first 2 shown]
	v_cndmask_b32_e64 v186, v186, s1, vcc_lo
	s_add_i32 s1, s1, 1
	s_cmp_lg_u32 s18, s1
	s_cbranch_scc1 .LBB86_400
.LBB86_401:
	s_inst_prefetch 0x2
	s_waitcnt lgkmcnt(0)
	v_cmp_eq_f64_e32 vcc_lo, 0, v[178:179]
	v_cmp_eq_f64_e64 s0, 0, v[180:181]
	s_and_b32 s0, vcc_lo, s0
	s_and_saveexec_b32 s1, s0
	s_xor_b32 s0, exec_lo, s1
; %bb.402:
	v_cmp_ne_u32_e32 vcc_lo, 0, v191
	v_cndmask_b32_e32 v191, 20, v191, vcc_lo
; %bb.403:
	s_andn2_saveexec_b32 s0, s0
	s_cbranch_execz .LBB86_409
; %bb.404:
	v_cmp_ngt_f64_e64 s1, |v[178:179]|, |v[180:181]|
	s_and_saveexec_b32 s2, s1
	s_xor_b32 s1, exec_lo, s2
	s_cbranch_execz .LBB86_406
; %bb.405:
	v_div_scale_f64 v[193:194], null, v[180:181], v[180:181], v[178:179]
	v_div_scale_f64 v[199:200], vcc_lo, v[178:179], v[180:181], v[178:179]
	v_rcp_f64_e32 v[195:196], v[193:194]
	v_fma_f64 v[197:198], -v[193:194], v[195:196], 1.0
	v_fma_f64 v[195:196], v[195:196], v[197:198], v[195:196]
	v_fma_f64 v[197:198], -v[193:194], v[195:196], 1.0
	v_fma_f64 v[195:196], v[195:196], v[197:198], v[195:196]
	v_mul_f64 v[197:198], v[199:200], v[195:196]
	v_fma_f64 v[193:194], -v[193:194], v[197:198], v[199:200]
	v_div_fmas_f64 v[193:194], v[193:194], v[195:196], v[197:198]
	v_div_fixup_f64 v[193:194], v[193:194], v[180:181], v[178:179]
	v_fma_f64 v[178:179], v[178:179], v[193:194], v[180:181]
	v_div_scale_f64 v[180:181], null, v[178:179], v[178:179], 1.0
	v_rcp_f64_e32 v[195:196], v[180:181]
	v_fma_f64 v[197:198], -v[180:181], v[195:196], 1.0
	v_fma_f64 v[195:196], v[195:196], v[197:198], v[195:196]
	v_fma_f64 v[197:198], -v[180:181], v[195:196], 1.0
	v_fma_f64 v[195:196], v[195:196], v[197:198], v[195:196]
	v_div_scale_f64 v[197:198], vcc_lo, 1.0, v[178:179], 1.0
	v_mul_f64 v[199:200], v[197:198], v[195:196]
	v_fma_f64 v[180:181], -v[180:181], v[199:200], v[197:198]
	v_div_fmas_f64 v[180:181], v[180:181], v[195:196], v[199:200]
	v_div_fixup_f64 v[180:181], v[180:181], v[178:179], 1.0
	v_mul_f64 v[178:179], v[193:194], v[180:181]
	v_xor_b32_e32 v181, 0x80000000, v181
.LBB86_406:
	s_andn2_saveexec_b32 s1, s1
	s_cbranch_execz .LBB86_408
; %bb.407:
	v_div_scale_f64 v[193:194], null, v[178:179], v[178:179], v[180:181]
	v_div_scale_f64 v[199:200], vcc_lo, v[180:181], v[178:179], v[180:181]
	v_rcp_f64_e32 v[195:196], v[193:194]
	v_fma_f64 v[197:198], -v[193:194], v[195:196], 1.0
	v_fma_f64 v[195:196], v[195:196], v[197:198], v[195:196]
	v_fma_f64 v[197:198], -v[193:194], v[195:196], 1.0
	v_fma_f64 v[195:196], v[195:196], v[197:198], v[195:196]
	v_mul_f64 v[197:198], v[199:200], v[195:196]
	v_fma_f64 v[193:194], -v[193:194], v[197:198], v[199:200]
	v_div_fmas_f64 v[193:194], v[193:194], v[195:196], v[197:198]
	v_div_fixup_f64 v[193:194], v[193:194], v[178:179], v[180:181]
	v_fma_f64 v[178:179], v[180:181], v[193:194], v[178:179]
	v_div_scale_f64 v[180:181], null, v[178:179], v[178:179], 1.0
	v_rcp_f64_e32 v[195:196], v[180:181]
	v_fma_f64 v[197:198], -v[180:181], v[195:196], 1.0
	v_fma_f64 v[195:196], v[195:196], v[197:198], v[195:196]
	v_fma_f64 v[197:198], -v[180:181], v[195:196], 1.0
	v_fma_f64 v[195:196], v[195:196], v[197:198], v[195:196]
	v_div_scale_f64 v[197:198], vcc_lo, 1.0, v[178:179], 1.0
	v_mul_f64 v[199:200], v[197:198], v[195:196]
	v_fma_f64 v[180:181], -v[180:181], v[199:200], v[197:198]
	v_div_fmas_f64 v[180:181], v[180:181], v[195:196], v[199:200]
	v_div_fixup_f64 v[178:179], v[180:181], v[178:179], 1.0
	v_mul_f64 v[180:181], v[193:194], -v[178:179]
.LBB86_408:
	s_or_b32 exec_lo, exec_lo, s1
.LBB86_409:
	s_or_b32 exec_lo, exec_lo, s0
	s_mov_b32 s0, exec_lo
	v_cmpx_ne_u32_e64 v192, v186
	s_xor_b32 s0, exec_lo, s0
	s_cbranch_execz .LBB86_415
; %bb.410:
	s_mov_b32 s1, exec_lo
	v_cmpx_eq_u32_e32 19, v192
	s_cbranch_execz .LBB86_414
; %bb.411:
	v_cmp_ne_u32_e32 vcc_lo, 19, v186
	s_xor_b32 s2, s16, -1
	s_and_b32 s3, s2, vcc_lo
	s_and_saveexec_b32 s2, s3
	s_cbranch_execz .LBB86_413
; %bb.412:
	v_ashrrev_i32_e32 v187, 31, v186
	v_lshlrev_b64 v[192:193], 2, v[186:187]
	v_add_co_u32 v192, vcc_lo, v184, v192
	v_add_co_ci_u32_e64 v193, null, v185, v193, vcc_lo
	s_clause 0x1
	global_load_dword v0, v[192:193], off
	global_load_dword v187, v[184:185], off offset:76
	s_waitcnt vmcnt(1)
	global_store_dword v[184:185], v0, off offset:76
	s_waitcnt vmcnt(0)
	global_store_dword v[192:193], v187, off
.LBB86_413:
	s_or_b32 exec_lo, exec_lo, s2
	v_mov_b32_e32 v192, v186
	v_mov_b32_e32 v0, v186
.LBB86_414:
	s_or_b32 exec_lo, exec_lo, s1
.LBB86_415:
	s_andn2_saveexec_b32 s0, s0
	s_cbranch_execz .LBB86_417
; %bb.416:
	v_mov_b32_e32 v192, 19
	ds_write2_b64 v1, v[94:95], v[96:97] offset0:40 offset1:41
	ds_write2_b64 v1, v[90:91], v[92:93] offset0:42 offset1:43
	;; [unrolled: 1-line block ×24, first 2 shown]
.LBB86_417:
	s_or_b32 exec_lo, exec_lo, s0
	s_mov_b32 s0, exec_lo
	s_waitcnt lgkmcnt(0)
	s_waitcnt_vscnt null, 0x0
	s_barrier
	buffer_gl0_inv
	v_cmpx_lt_i32_e32 19, v192
	s_cbranch_execz .LBB86_419
; %bb.418:
	v_mul_f64 v[186:187], v[180:181], v[100:101]
	v_mul_f64 v[100:101], v[178:179], v[100:101]
	v_fma_f64 v[186:187], v[178:179], v[98:99], -v[186:187]
	v_fma_f64 v[100:101], v[180:181], v[98:99], v[100:101]
	ds_read2_b64 v[178:181], v1 offset0:40 offset1:41
	s_waitcnt lgkmcnt(0)
	v_mul_f64 v[98:99], v[180:181], v[100:101]
	v_fma_f64 v[98:99], v[178:179], v[186:187], -v[98:99]
	v_mul_f64 v[178:179], v[178:179], v[100:101]
	v_add_f64 v[94:95], v[94:95], -v[98:99]
	v_fma_f64 v[178:179], v[180:181], v[186:187], v[178:179]
	v_add_f64 v[96:97], v[96:97], -v[178:179]
	ds_read2_b64 v[178:181], v1 offset0:42 offset1:43
	s_waitcnt lgkmcnt(0)
	v_mul_f64 v[98:99], v[180:181], v[100:101]
	v_fma_f64 v[98:99], v[178:179], v[186:187], -v[98:99]
	v_mul_f64 v[178:179], v[178:179], v[100:101]
	v_add_f64 v[90:91], v[90:91], -v[98:99]
	v_fma_f64 v[178:179], v[180:181], v[186:187], v[178:179]
	v_add_f64 v[92:93], v[92:93], -v[178:179]
	;; [unrolled: 8-line block ×23, first 2 shown]
	ds_read2_b64 v[178:181], v1 offset0:86 offset1:87
	s_waitcnt lgkmcnt(0)
	v_mul_f64 v[98:99], v[180:181], v[100:101]
	v_fma_f64 v[98:99], v[178:179], v[186:187], -v[98:99]
	v_mul_f64 v[178:179], v[178:179], v[100:101]
	v_add_f64 v[2:3], v[2:3], -v[98:99]
	v_fma_f64 v[178:179], v[180:181], v[186:187], v[178:179]
	v_mov_b32_e32 v98, v186
	v_mov_b32_e32 v99, v187
	v_add_f64 v[4:5], v[4:5], -v[178:179]
.LBB86_419:
	s_or_b32 exec_lo, exec_lo, s0
	v_lshl_add_u32 v178, v192, 4, v1
	s_barrier
	buffer_gl0_inv
	v_mov_b32_e32 v186, 20
	ds_write2_b64 v178, v[94:95], v[96:97] offset1:1
	s_waitcnt lgkmcnt(0)
	s_barrier
	buffer_gl0_inv
	ds_read2_b64 v[178:181], v1 offset0:40 offset1:41
	s_cmp_lt_i32 s18, 22
	s_cbranch_scc1 .LBB86_422
; %bb.420:
	v_add3_u32 v187, v188, 0, 0x150
	v_mov_b32_e32 v186, 20
	s_mov_b32 s1, 21
	s_inst_prefetch 0x1
	.p2align	6
.LBB86_421:                             ; =>This Inner Loop Header: Depth=1
	s_waitcnt lgkmcnt(0)
	v_cmp_gt_f64_e32 vcc_lo, 0, v[180:181]
	v_cmp_gt_f64_e64 s0, 0, v[178:179]
	ds_read2_b64 v[193:196], v187 offset1:1
	v_xor_b32_e32 v198, 0x80000000, v179
	v_xor_b32_e32 v200, 0x80000000, v181
	v_mov_b32_e32 v197, v178
	v_mov_b32_e32 v199, v180
	v_add_nc_u32_e32 v187, 16, v187
	s_waitcnt lgkmcnt(0)
	v_xor_b32_e32 v202, 0x80000000, v196
	v_cndmask_b32_e64 v198, v179, v198, s0
	v_cndmask_b32_e32 v200, v181, v200, vcc_lo
	v_cmp_gt_f64_e32 vcc_lo, 0, v[195:196]
	v_cmp_gt_f64_e64 s0, 0, v[193:194]
	v_mov_b32_e32 v201, v195
	v_add_f64 v[197:198], v[197:198], v[199:200]
	v_xor_b32_e32 v200, 0x80000000, v194
	v_mov_b32_e32 v199, v193
	v_cndmask_b32_e32 v202, v196, v202, vcc_lo
	v_cndmask_b32_e64 v200, v194, v200, s0
	v_add_f64 v[199:200], v[199:200], v[201:202]
	v_cmp_lt_f64_e32 vcc_lo, v[197:198], v[199:200]
	v_cndmask_b32_e32 v179, v179, v194, vcc_lo
	v_cndmask_b32_e32 v178, v178, v193, vcc_lo
	;; [unrolled: 1-line block ×4, first 2 shown]
	v_cndmask_b32_e64 v186, v186, s1, vcc_lo
	s_add_i32 s1, s1, 1
	s_cmp_lg_u32 s18, s1
	s_cbranch_scc1 .LBB86_421
.LBB86_422:
	s_inst_prefetch 0x2
	s_waitcnt lgkmcnt(0)
	v_cmp_eq_f64_e32 vcc_lo, 0, v[178:179]
	v_cmp_eq_f64_e64 s0, 0, v[180:181]
	s_and_b32 s0, vcc_lo, s0
	s_and_saveexec_b32 s1, s0
	s_xor_b32 s0, exec_lo, s1
; %bb.423:
	v_cmp_ne_u32_e32 vcc_lo, 0, v191
	v_cndmask_b32_e32 v191, 21, v191, vcc_lo
; %bb.424:
	s_andn2_saveexec_b32 s0, s0
	s_cbranch_execz .LBB86_430
; %bb.425:
	v_cmp_ngt_f64_e64 s1, |v[178:179]|, |v[180:181]|
	s_and_saveexec_b32 s2, s1
	s_xor_b32 s1, exec_lo, s2
	s_cbranch_execz .LBB86_427
; %bb.426:
	v_div_scale_f64 v[193:194], null, v[180:181], v[180:181], v[178:179]
	v_div_scale_f64 v[199:200], vcc_lo, v[178:179], v[180:181], v[178:179]
	v_rcp_f64_e32 v[195:196], v[193:194]
	v_fma_f64 v[197:198], -v[193:194], v[195:196], 1.0
	v_fma_f64 v[195:196], v[195:196], v[197:198], v[195:196]
	v_fma_f64 v[197:198], -v[193:194], v[195:196], 1.0
	v_fma_f64 v[195:196], v[195:196], v[197:198], v[195:196]
	v_mul_f64 v[197:198], v[199:200], v[195:196]
	v_fma_f64 v[193:194], -v[193:194], v[197:198], v[199:200]
	v_div_fmas_f64 v[193:194], v[193:194], v[195:196], v[197:198]
	v_div_fixup_f64 v[193:194], v[193:194], v[180:181], v[178:179]
	v_fma_f64 v[178:179], v[178:179], v[193:194], v[180:181]
	v_div_scale_f64 v[180:181], null, v[178:179], v[178:179], 1.0
	v_rcp_f64_e32 v[195:196], v[180:181]
	v_fma_f64 v[197:198], -v[180:181], v[195:196], 1.0
	v_fma_f64 v[195:196], v[195:196], v[197:198], v[195:196]
	v_fma_f64 v[197:198], -v[180:181], v[195:196], 1.0
	v_fma_f64 v[195:196], v[195:196], v[197:198], v[195:196]
	v_div_scale_f64 v[197:198], vcc_lo, 1.0, v[178:179], 1.0
	v_mul_f64 v[199:200], v[197:198], v[195:196]
	v_fma_f64 v[180:181], -v[180:181], v[199:200], v[197:198]
	v_div_fmas_f64 v[180:181], v[180:181], v[195:196], v[199:200]
	v_div_fixup_f64 v[180:181], v[180:181], v[178:179], 1.0
	v_mul_f64 v[178:179], v[193:194], v[180:181]
	v_xor_b32_e32 v181, 0x80000000, v181
.LBB86_427:
	s_andn2_saveexec_b32 s1, s1
	s_cbranch_execz .LBB86_429
; %bb.428:
	v_div_scale_f64 v[193:194], null, v[178:179], v[178:179], v[180:181]
	v_div_scale_f64 v[199:200], vcc_lo, v[180:181], v[178:179], v[180:181]
	v_rcp_f64_e32 v[195:196], v[193:194]
	v_fma_f64 v[197:198], -v[193:194], v[195:196], 1.0
	v_fma_f64 v[195:196], v[195:196], v[197:198], v[195:196]
	v_fma_f64 v[197:198], -v[193:194], v[195:196], 1.0
	v_fma_f64 v[195:196], v[195:196], v[197:198], v[195:196]
	v_mul_f64 v[197:198], v[199:200], v[195:196]
	v_fma_f64 v[193:194], -v[193:194], v[197:198], v[199:200]
	v_div_fmas_f64 v[193:194], v[193:194], v[195:196], v[197:198]
	v_div_fixup_f64 v[193:194], v[193:194], v[178:179], v[180:181]
	v_fma_f64 v[178:179], v[180:181], v[193:194], v[178:179]
	v_div_scale_f64 v[180:181], null, v[178:179], v[178:179], 1.0
	v_rcp_f64_e32 v[195:196], v[180:181]
	v_fma_f64 v[197:198], -v[180:181], v[195:196], 1.0
	v_fma_f64 v[195:196], v[195:196], v[197:198], v[195:196]
	v_fma_f64 v[197:198], -v[180:181], v[195:196], 1.0
	v_fma_f64 v[195:196], v[195:196], v[197:198], v[195:196]
	v_div_scale_f64 v[197:198], vcc_lo, 1.0, v[178:179], 1.0
	v_mul_f64 v[199:200], v[197:198], v[195:196]
	v_fma_f64 v[180:181], -v[180:181], v[199:200], v[197:198]
	v_div_fmas_f64 v[180:181], v[180:181], v[195:196], v[199:200]
	v_div_fixup_f64 v[178:179], v[180:181], v[178:179], 1.0
	v_mul_f64 v[180:181], v[193:194], -v[178:179]
.LBB86_429:
	s_or_b32 exec_lo, exec_lo, s1
.LBB86_430:
	s_or_b32 exec_lo, exec_lo, s0
	s_mov_b32 s0, exec_lo
	v_cmpx_ne_u32_e64 v192, v186
	s_xor_b32 s0, exec_lo, s0
	s_cbranch_execz .LBB86_436
; %bb.431:
	s_mov_b32 s1, exec_lo
	v_cmpx_eq_u32_e32 20, v192
	s_cbranch_execz .LBB86_435
; %bb.432:
	v_cmp_ne_u32_e32 vcc_lo, 20, v186
	s_xor_b32 s2, s16, -1
	s_and_b32 s3, s2, vcc_lo
	s_and_saveexec_b32 s2, s3
	s_cbranch_execz .LBB86_434
; %bb.433:
	v_ashrrev_i32_e32 v187, 31, v186
	v_lshlrev_b64 v[192:193], 2, v[186:187]
	v_add_co_u32 v192, vcc_lo, v184, v192
	v_add_co_ci_u32_e64 v193, null, v185, v193, vcc_lo
	s_clause 0x1
	global_load_dword v0, v[192:193], off
	global_load_dword v187, v[184:185], off offset:80
	s_waitcnt vmcnt(1)
	global_store_dword v[184:185], v0, off offset:80
	s_waitcnt vmcnt(0)
	global_store_dword v[192:193], v187, off
.LBB86_434:
	s_or_b32 exec_lo, exec_lo, s2
	v_mov_b32_e32 v192, v186
	v_mov_b32_e32 v0, v186
.LBB86_435:
	s_or_b32 exec_lo, exec_lo, s1
.LBB86_436:
	s_andn2_saveexec_b32 s0, s0
	s_cbranch_execz .LBB86_438
; %bb.437:
	v_mov_b32_e32 v192, 20
	ds_write2_b64 v1, v[90:91], v[92:93] offset0:42 offset1:43
	ds_write2_b64 v1, v[86:87], v[88:89] offset0:44 offset1:45
	;; [unrolled: 1-line block ×23, first 2 shown]
.LBB86_438:
	s_or_b32 exec_lo, exec_lo, s0
	s_mov_b32 s0, exec_lo
	s_waitcnt lgkmcnt(0)
	s_waitcnt_vscnt null, 0x0
	s_barrier
	buffer_gl0_inv
	v_cmpx_lt_i32_e32 20, v192
	s_cbranch_execz .LBB86_440
; %bb.439:
	v_mul_f64 v[186:187], v[180:181], v[96:97]
	v_mul_f64 v[96:97], v[178:179], v[96:97]
	v_fma_f64 v[186:187], v[178:179], v[94:95], -v[186:187]
	v_fma_f64 v[96:97], v[180:181], v[94:95], v[96:97]
	ds_read2_b64 v[178:181], v1 offset0:42 offset1:43
	s_waitcnt lgkmcnt(0)
	v_mul_f64 v[94:95], v[180:181], v[96:97]
	v_fma_f64 v[94:95], v[178:179], v[186:187], -v[94:95]
	v_mul_f64 v[178:179], v[178:179], v[96:97]
	v_add_f64 v[90:91], v[90:91], -v[94:95]
	v_fma_f64 v[178:179], v[180:181], v[186:187], v[178:179]
	v_add_f64 v[92:93], v[92:93], -v[178:179]
	ds_read2_b64 v[178:181], v1 offset0:44 offset1:45
	s_waitcnt lgkmcnt(0)
	v_mul_f64 v[94:95], v[180:181], v[96:97]
	v_fma_f64 v[94:95], v[178:179], v[186:187], -v[94:95]
	v_mul_f64 v[178:179], v[178:179], v[96:97]
	v_add_f64 v[86:87], v[86:87], -v[94:95]
	v_fma_f64 v[178:179], v[180:181], v[186:187], v[178:179]
	v_add_f64 v[88:89], v[88:89], -v[178:179]
	;; [unrolled: 8-line block ×22, first 2 shown]
	ds_read2_b64 v[178:181], v1 offset0:86 offset1:87
	s_waitcnt lgkmcnt(0)
	v_mul_f64 v[94:95], v[180:181], v[96:97]
	v_fma_f64 v[94:95], v[178:179], v[186:187], -v[94:95]
	v_mul_f64 v[178:179], v[178:179], v[96:97]
	v_add_f64 v[2:3], v[2:3], -v[94:95]
	v_fma_f64 v[178:179], v[180:181], v[186:187], v[178:179]
	v_mov_b32_e32 v94, v186
	v_mov_b32_e32 v95, v187
	v_add_f64 v[4:5], v[4:5], -v[178:179]
.LBB86_440:
	s_or_b32 exec_lo, exec_lo, s0
	v_lshl_add_u32 v178, v192, 4, v1
	s_barrier
	buffer_gl0_inv
	v_mov_b32_e32 v186, 21
	ds_write2_b64 v178, v[90:91], v[92:93] offset1:1
	s_waitcnt lgkmcnt(0)
	s_barrier
	buffer_gl0_inv
	ds_read2_b64 v[178:181], v1 offset0:42 offset1:43
	s_cmp_lt_i32 s18, 23
	s_cbranch_scc1 .LBB86_443
; %bb.441:
	v_add3_u32 v187, v188, 0, 0x160
	v_mov_b32_e32 v186, 21
	s_mov_b32 s1, 22
	s_inst_prefetch 0x1
	.p2align	6
.LBB86_442:                             ; =>This Inner Loop Header: Depth=1
	s_waitcnt lgkmcnt(0)
	v_cmp_gt_f64_e32 vcc_lo, 0, v[180:181]
	v_cmp_gt_f64_e64 s0, 0, v[178:179]
	ds_read2_b64 v[193:196], v187 offset1:1
	v_xor_b32_e32 v198, 0x80000000, v179
	v_xor_b32_e32 v200, 0x80000000, v181
	v_mov_b32_e32 v197, v178
	v_mov_b32_e32 v199, v180
	v_add_nc_u32_e32 v187, 16, v187
	s_waitcnt lgkmcnt(0)
	v_xor_b32_e32 v202, 0x80000000, v196
	v_cndmask_b32_e64 v198, v179, v198, s0
	v_cndmask_b32_e32 v200, v181, v200, vcc_lo
	v_cmp_gt_f64_e32 vcc_lo, 0, v[195:196]
	v_cmp_gt_f64_e64 s0, 0, v[193:194]
	v_mov_b32_e32 v201, v195
	v_add_f64 v[197:198], v[197:198], v[199:200]
	v_xor_b32_e32 v200, 0x80000000, v194
	v_mov_b32_e32 v199, v193
	v_cndmask_b32_e32 v202, v196, v202, vcc_lo
	v_cndmask_b32_e64 v200, v194, v200, s0
	v_add_f64 v[199:200], v[199:200], v[201:202]
	v_cmp_lt_f64_e32 vcc_lo, v[197:198], v[199:200]
	v_cndmask_b32_e32 v179, v179, v194, vcc_lo
	v_cndmask_b32_e32 v178, v178, v193, vcc_lo
	;; [unrolled: 1-line block ×4, first 2 shown]
	v_cndmask_b32_e64 v186, v186, s1, vcc_lo
	s_add_i32 s1, s1, 1
	s_cmp_lg_u32 s18, s1
	s_cbranch_scc1 .LBB86_442
.LBB86_443:
	s_inst_prefetch 0x2
	s_waitcnt lgkmcnt(0)
	v_cmp_eq_f64_e32 vcc_lo, 0, v[178:179]
	v_cmp_eq_f64_e64 s0, 0, v[180:181]
	s_and_b32 s0, vcc_lo, s0
	s_and_saveexec_b32 s1, s0
	s_xor_b32 s0, exec_lo, s1
; %bb.444:
	v_cmp_ne_u32_e32 vcc_lo, 0, v191
	v_cndmask_b32_e32 v191, 22, v191, vcc_lo
; %bb.445:
	s_andn2_saveexec_b32 s0, s0
	s_cbranch_execz .LBB86_451
; %bb.446:
	v_cmp_ngt_f64_e64 s1, |v[178:179]|, |v[180:181]|
	s_and_saveexec_b32 s2, s1
	s_xor_b32 s1, exec_lo, s2
	s_cbranch_execz .LBB86_448
; %bb.447:
	v_div_scale_f64 v[193:194], null, v[180:181], v[180:181], v[178:179]
	v_div_scale_f64 v[199:200], vcc_lo, v[178:179], v[180:181], v[178:179]
	v_rcp_f64_e32 v[195:196], v[193:194]
	v_fma_f64 v[197:198], -v[193:194], v[195:196], 1.0
	v_fma_f64 v[195:196], v[195:196], v[197:198], v[195:196]
	v_fma_f64 v[197:198], -v[193:194], v[195:196], 1.0
	v_fma_f64 v[195:196], v[195:196], v[197:198], v[195:196]
	v_mul_f64 v[197:198], v[199:200], v[195:196]
	v_fma_f64 v[193:194], -v[193:194], v[197:198], v[199:200]
	v_div_fmas_f64 v[193:194], v[193:194], v[195:196], v[197:198]
	v_div_fixup_f64 v[193:194], v[193:194], v[180:181], v[178:179]
	v_fma_f64 v[178:179], v[178:179], v[193:194], v[180:181]
	v_div_scale_f64 v[180:181], null, v[178:179], v[178:179], 1.0
	v_rcp_f64_e32 v[195:196], v[180:181]
	v_fma_f64 v[197:198], -v[180:181], v[195:196], 1.0
	v_fma_f64 v[195:196], v[195:196], v[197:198], v[195:196]
	v_fma_f64 v[197:198], -v[180:181], v[195:196], 1.0
	v_fma_f64 v[195:196], v[195:196], v[197:198], v[195:196]
	v_div_scale_f64 v[197:198], vcc_lo, 1.0, v[178:179], 1.0
	v_mul_f64 v[199:200], v[197:198], v[195:196]
	v_fma_f64 v[180:181], -v[180:181], v[199:200], v[197:198]
	v_div_fmas_f64 v[180:181], v[180:181], v[195:196], v[199:200]
	v_div_fixup_f64 v[180:181], v[180:181], v[178:179], 1.0
	v_mul_f64 v[178:179], v[193:194], v[180:181]
	v_xor_b32_e32 v181, 0x80000000, v181
.LBB86_448:
	s_andn2_saveexec_b32 s1, s1
	s_cbranch_execz .LBB86_450
; %bb.449:
	v_div_scale_f64 v[193:194], null, v[178:179], v[178:179], v[180:181]
	v_div_scale_f64 v[199:200], vcc_lo, v[180:181], v[178:179], v[180:181]
	v_rcp_f64_e32 v[195:196], v[193:194]
	v_fma_f64 v[197:198], -v[193:194], v[195:196], 1.0
	v_fma_f64 v[195:196], v[195:196], v[197:198], v[195:196]
	v_fma_f64 v[197:198], -v[193:194], v[195:196], 1.0
	v_fma_f64 v[195:196], v[195:196], v[197:198], v[195:196]
	v_mul_f64 v[197:198], v[199:200], v[195:196]
	v_fma_f64 v[193:194], -v[193:194], v[197:198], v[199:200]
	v_div_fmas_f64 v[193:194], v[193:194], v[195:196], v[197:198]
	v_div_fixup_f64 v[193:194], v[193:194], v[178:179], v[180:181]
	v_fma_f64 v[178:179], v[180:181], v[193:194], v[178:179]
	v_div_scale_f64 v[180:181], null, v[178:179], v[178:179], 1.0
	v_rcp_f64_e32 v[195:196], v[180:181]
	v_fma_f64 v[197:198], -v[180:181], v[195:196], 1.0
	v_fma_f64 v[195:196], v[195:196], v[197:198], v[195:196]
	v_fma_f64 v[197:198], -v[180:181], v[195:196], 1.0
	v_fma_f64 v[195:196], v[195:196], v[197:198], v[195:196]
	v_div_scale_f64 v[197:198], vcc_lo, 1.0, v[178:179], 1.0
	v_mul_f64 v[199:200], v[197:198], v[195:196]
	v_fma_f64 v[180:181], -v[180:181], v[199:200], v[197:198]
	v_div_fmas_f64 v[180:181], v[180:181], v[195:196], v[199:200]
	v_div_fixup_f64 v[178:179], v[180:181], v[178:179], 1.0
	v_mul_f64 v[180:181], v[193:194], -v[178:179]
.LBB86_450:
	s_or_b32 exec_lo, exec_lo, s1
.LBB86_451:
	s_or_b32 exec_lo, exec_lo, s0
	s_mov_b32 s0, exec_lo
	v_cmpx_ne_u32_e64 v192, v186
	s_xor_b32 s0, exec_lo, s0
	s_cbranch_execz .LBB86_457
; %bb.452:
	s_mov_b32 s1, exec_lo
	v_cmpx_eq_u32_e32 21, v192
	s_cbranch_execz .LBB86_456
; %bb.453:
	v_cmp_ne_u32_e32 vcc_lo, 21, v186
	s_xor_b32 s2, s16, -1
	s_and_b32 s3, s2, vcc_lo
	s_and_saveexec_b32 s2, s3
	s_cbranch_execz .LBB86_455
; %bb.454:
	v_ashrrev_i32_e32 v187, 31, v186
	v_lshlrev_b64 v[192:193], 2, v[186:187]
	v_add_co_u32 v192, vcc_lo, v184, v192
	v_add_co_ci_u32_e64 v193, null, v185, v193, vcc_lo
	s_clause 0x1
	global_load_dword v0, v[192:193], off
	global_load_dword v187, v[184:185], off offset:84
	s_waitcnt vmcnt(1)
	global_store_dword v[184:185], v0, off offset:84
	s_waitcnt vmcnt(0)
	global_store_dword v[192:193], v187, off
.LBB86_455:
	s_or_b32 exec_lo, exec_lo, s2
	v_mov_b32_e32 v192, v186
	v_mov_b32_e32 v0, v186
.LBB86_456:
	s_or_b32 exec_lo, exec_lo, s1
.LBB86_457:
	s_andn2_saveexec_b32 s0, s0
	s_cbranch_execz .LBB86_459
; %bb.458:
	v_mov_b32_e32 v192, 21
	ds_write2_b64 v1, v[86:87], v[88:89] offset0:44 offset1:45
	ds_write2_b64 v1, v[82:83], v[84:85] offset0:46 offset1:47
	;; [unrolled: 1-line block ×22, first 2 shown]
.LBB86_459:
	s_or_b32 exec_lo, exec_lo, s0
	s_mov_b32 s0, exec_lo
	s_waitcnt lgkmcnt(0)
	s_waitcnt_vscnt null, 0x0
	s_barrier
	buffer_gl0_inv
	v_cmpx_lt_i32_e32 21, v192
	s_cbranch_execz .LBB86_461
; %bb.460:
	v_mul_f64 v[186:187], v[180:181], v[92:93]
	v_mul_f64 v[92:93], v[178:179], v[92:93]
	v_fma_f64 v[186:187], v[178:179], v[90:91], -v[186:187]
	v_fma_f64 v[92:93], v[180:181], v[90:91], v[92:93]
	ds_read2_b64 v[178:181], v1 offset0:44 offset1:45
	s_waitcnt lgkmcnt(0)
	v_mul_f64 v[90:91], v[180:181], v[92:93]
	v_fma_f64 v[90:91], v[178:179], v[186:187], -v[90:91]
	v_mul_f64 v[178:179], v[178:179], v[92:93]
	v_add_f64 v[86:87], v[86:87], -v[90:91]
	v_fma_f64 v[178:179], v[180:181], v[186:187], v[178:179]
	v_add_f64 v[88:89], v[88:89], -v[178:179]
	ds_read2_b64 v[178:181], v1 offset0:46 offset1:47
	s_waitcnt lgkmcnt(0)
	v_mul_f64 v[90:91], v[180:181], v[92:93]
	v_fma_f64 v[90:91], v[178:179], v[186:187], -v[90:91]
	v_mul_f64 v[178:179], v[178:179], v[92:93]
	v_add_f64 v[82:83], v[82:83], -v[90:91]
	v_fma_f64 v[178:179], v[180:181], v[186:187], v[178:179]
	v_add_f64 v[84:85], v[84:85], -v[178:179]
	;; [unrolled: 8-line block ×21, first 2 shown]
	ds_read2_b64 v[178:181], v1 offset0:86 offset1:87
	s_waitcnt lgkmcnt(0)
	v_mul_f64 v[90:91], v[180:181], v[92:93]
	v_fma_f64 v[90:91], v[178:179], v[186:187], -v[90:91]
	v_mul_f64 v[178:179], v[178:179], v[92:93]
	v_add_f64 v[2:3], v[2:3], -v[90:91]
	v_fma_f64 v[178:179], v[180:181], v[186:187], v[178:179]
	v_mov_b32_e32 v90, v186
	v_mov_b32_e32 v91, v187
	v_add_f64 v[4:5], v[4:5], -v[178:179]
.LBB86_461:
	s_or_b32 exec_lo, exec_lo, s0
	v_lshl_add_u32 v178, v192, 4, v1
	s_barrier
	buffer_gl0_inv
	v_mov_b32_e32 v186, 22
	ds_write2_b64 v178, v[86:87], v[88:89] offset1:1
	s_waitcnt lgkmcnt(0)
	s_barrier
	buffer_gl0_inv
	ds_read2_b64 v[178:181], v1 offset0:44 offset1:45
	s_cmp_lt_i32 s18, 24
	s_cbranch_scc1 .LBB86_464
; %bb.462:
	v_add3_u32 v187, v188, 0, 0x170
	v_mov_b32_e32 v186, 22
	s_mov_b32 s1, 23
	s_inst_prefetch 0x1
	.p2align	6
.LBB86_463:                             ; =>This Inner Loop Header: Depth=1
	s_waitcnt lgkmcnt(0)
	v_cmp_gt_f64_e32 vcc_lo, 0, v[180:181]
	v_cmp_gt_f64_e64 s0, 0, v[178:179]
	ds_read2_b64 v[193:196], v187 offset1:1
	v_xor_b32_e32 v198, 0x80000000, v179
	v_xor_b32_e32 v200, 0x80000000, v181
	v_mov_b32_e32 v197, v178
	v_mov_b32_e32 v199, v180
	v_add_nc_u32_e32 v187, 16, v187
	s_waitcnt lgkmcnt(0)
	v_xor_b32_e32 v202, 0x80000000, v196
	v_cndmask_b32_e64 v198, v179, v198, s0
	v_cndmask_b32_e32 v200, v181, v200, vcc_lo
	v_cmp_gt_f64_e32 vcc_lo, 0, v[195:196]
	v_cmp_gt_f64_e64 s0, 0, v[193:194]
	v_mov_b32_e32 v201, v195
	v_add_f64 v[197:198], v[197:198], v[199:200]
	v_xor_b32_e32 v200, 0x80000000, v194
	v_mov_b32_e32 v199, v193
	v_cndmask_b32_e32 v202, v196, v202, vcc_lo
	v_cndmask_b32_e64 v200, v194, v200, s0
	v_add_f64 v[199:200], v[199:200], v[201:202]
	v_cmp_lt_f64_e32 vcc_lo, v[197:198], v[199:200]
	v_cndmask_b32_e32 v179, v179, v194, vcc_lo
	v_cndmask_b32_e32 v178, v178, v193, vcc_lo
	;; [unrolled: 1-line block ×4, first 2 shown]
	v_cndmask_b32_e64 v186, v186, s1, vcc_lo
	s_add_i32 s1, s1, 1
	s_cmp_lg_u32 s18, s1
	s_cbranch_scc1 .LBB86_463
.LBB86_464:
	s_inst_prefetch 0x2
	s_waitcnt lgkmcnt(0)
	v_cmp_eq_f64_e32 vcc_lo, 0, v[178:179]
	v_cmp_eq_f64_e64 s0, 0, v[180:181]
	s_and_b32 s0, vcc_lo, s0
	s_and_saveexec_b32 s1, s0
	s_xor_b32 s0, exec_lo, s1
; %bb.465:
	v_cmp_ne_u32_e32 vcc_lo, 0, v191
	v_cndmask_b32_e32 v191, 23, v191, vcc_lo
; %bb.466:
	s_andn2_saveexec_b32 s0, s0
	s_cbranch_execz .LBB86_472
; %bb.467:
	v_cmp_ngt_f64_e64 s1, |v[178:179]|, |v[180:181]|
	s_and_saveexec_b32 s2, s1
	s_xor_b32 s1, exec_lo, s2
	s_cbranch_execz .LBB86_469
; %bb.468:
	v_div_scale_f64 v[193:194], null, v[180:181], v[180:181], v[178:179]
	v_div_scale_f64 v[199:200], vcc_lo, v[178:179], v[180:181], v[178:179]
	v_rcp_f64_e32 v[195:196], v[193:194]
	v_fma_f64 v[197:198], -v[193:194], v[195:196], 1.0
	v_fma_f64 v[195:196], v[195:196], v[197:198], v[195:196]
	v_fma_f64 v[197:198], -v[193:194], v[195:196], 1.0
	v_fma_f64 v[195:196], v[195:196], v[197:198], v[195:196]
	v_mul_f64 v[197:198], v[199:200], v[195:196]
	v_fma_f64 v[193:194], -v[193:194], v[197:198], v[199:200]
	v_div_fmas_f64 v[193:194], v[193:194], v[195:196], v[197:198]
	v_div_fixup_f64 v[193:194], v[193:194], v[180:181], v[178:179]
	v_fma_f64 v[178:179], v[178:179], v[193:194], v[180:181]
	v_div_scale_f64 v[180:181], null, v[178:179], v[178:179], 1.0
	v_rcp_f64_e32 v[195:196], v[180:181]
	v_fma_f64 v[197:198], -v[180:181], v[195:196], 1.0
	v_fma_f64 v[195:196], v[195:196], v[197:198], v[195:196]
	v_fma_f64 v[197:198], -v[180:181], v[195:196], 1.0
	v_fma_f64 v[195:196], v[195:196], v[197:198], v[195:196]
	v_div_scale_f64 v[197:198], vcc_lo, 1.0, v[178:179], 1.0
	v_mul_f64 v[199:200], v[197:198], v[195:196]
	v_fma_f64 v[180:181], -v[180:181], v[199:200], v[197:198]
	v_div_fmas_f64 v[180:181], v[180:181], v[195:196], v[199:200]
	v_div_fixup_f64 v[180:181], v[180:181], v[178:179], 1.0
	v_mul_f64 v[178:179], v[193:194], v[180:181]
	v_xor_b32_e32 v181, 0x80000000, v181
.LBB86_469:
	s_andn2_saveexec_b32 s1, s1
	s_cbranch_execz .LBB86_471
; %bb.470:
	v_div_scale_f64 v[193:194], null, v[178:179], v[178:179], v[180:181]
	v_div_scale_f64 v[199:200], vcc_lo, v[180:181], v[178:179], v[180:181]
	v_rcp_f64_e32 v[195:196], v[193:194]
	v_fma_f64 v[197:198], -v[193:194], v[195:196], 1.0
	v_fma_f64 v[195:196], v[195:196], v[197:198], v[195:196]
	v_fma_f64 v[197:198], -v[193:194], v[195:196], 1.0
	v_fma_f64 v[195:196], v[195:196], v[197:198], v[195:196]
	v_mul_f64 v[197:198], v[199:200], v[195:196]
	v_fma_f64 v[193:194], -v[193:194], v[197:198], v[199:200]
	v_div_fmas_f64 v[193:194], v[193:194], v[195:196], v[197:198]
	v_div_fixup_f64 v[193:194], v[193:194], v[178:179], v[180:181]
	v_fma_f64 v[178:179], v[180:181], v[193:194], v[178:179]
	v_div_scale_f64 v[180:181], null, v[178:179], v[178:179], 1.0
	v_rcp_f64_e32 v[195:196], v[180:181]
	v_fma_f64 v[197:198], -v[180:181], v[195:196], 1.0
	v_fma_f64 v[195:196], v[195:196], v[197:198], v[195:196]
	v_fma_f64 v[197:198], -v[180:181], v[195:196], 1.0
	v_fma_f64 v[195:196], v[195:196], v[197:198], v[195:196]
	v_div_scale_f64 v[197:198], vcc_lo, 1.0, v[178:179], 1.0
	v_mul_f64 v[199:200], v[197:198], v[195:196]
	v_fma_f64 v[180:181], -v[180:181], v[199:200], v[197:198]
	v_div_fmas_f64 v[180:181], v[180:181], v[195:196], v[199:200]
	v_div_fixup_f64 v[178:179], v[180:181], v[178:179], 1.0
	v_mul_f64 v[180:181], v[193:194], -v[178:179]
.LBB86_471:
	s_or_b32 exec_lo, exec_lo, s1
.LBB86_472:
	s_or_b32 exec_lo, exec_lo, s0
	s_mov_b32 s0, exec_lo
	v_cmpx_ne_u32_e64 v192, v186
	s_xor_b32 s0, exec_lo, s0
	s_cbranch_execz .LBB86_478
; %bb.473:
	s_mov_b32 s1, exec_lo
	v_cmpx_eq_u32_e32 22, v192
	s_cbranch_execz .LBB86_477
; %bb.474:
	v_cmp_ne_u32_e32 vcc_lo, 22, v186
	s_xor_b32 s2, s16, -1
	s_and_b32 s3, s2, vcc_lo
	s_and_saveexec_b32 s2, s3
	s_cbranch_execz .LBB86_476
; %bb.475:
	v_ashrrev_i32_e32 v187, 31, v186
	v_lshlrev_b64 v[192:193], 2, v[186:187]
	v_add_co_u32 v192, vcc_lo, v184, v192
	v_add_co_ci_u32_e64 v193, null, v185, v193, vcc_lo
	s_clause 0x1
	global_load_dword v0, v[192:193], off
	global_load_dword v187, v[184:185], off offset:88
	s_waitcnt vmcnt(1)
	global_store_dword v[184:185], v0, off offset:88
	s_waitcnt vmcnt(0)
	global_store_dword v[192:193], v187, off
.LBB86_476:
	s_or_b32 exec_lo, exec_lo, s2
	v_mov_b32_e32 v192, v186
	v_mov_b32_e32 v0, v186
.LBB86_477:
	s_or_b32 exec_lo, exec_lo, s1
.LBB86_478:
	s_andn2_saveexec_b32 s0, s0
	s_cbranch_execz .LBB86_480
; %bb.479:
	v_mov_b32_e32 v192, 22
	ds_write2_b64 v1, v[82:83], v[84:85] offset0:46 offset1:47
	ds_write2_b64 v1, v[78:79], v[80:81] offset0:48 offset1:49
	;; [unrolled: 1-line block ×21, first 2 shown]
.LBB86_480:
	s_or_b32 exec_lo, exec_lo, s0
	s_mov_b32 s0, exec_lo
	s_waitcnt lgkmcnt(0)
	s_waitcnt_vscnt null, 0x0
	s_barrier
	buffer_gl0_inv
	v_cmpx_lt_i32_e32 22, v192
	s_cbranch_execz .LBB86_482
; %bb.481:
	v_mul_f64 v[186:187], v[180:181], v[88:89]
	v_mul_f64 v[88:89], v[178:179], v[88:89]
	v_fma_f64 v[186:187], v[178:179], v[86:87], -v[186:187]
	v_fma_f64 v[88:89], v[180:181], v[86:87], v[88:89]
	ds_read2_b64 v[178:181], v1 offset0:46 offset1:47
	s_waitcnt lgkmcnt(0)
	v_mul_f64 v[86:87], v[180:181], v[88:89]
	v_fma_f64 v[86:87], v[178:179], v[186:187], -v[86:87]
	v_mul_f64 v[178:179], v[178:179], v[88:89]
	v_add_f64 v[82:83], v[82:83], -v[86:87]
	v_fma_f64 v[178:179], v[180:181], v[186:187], v[178:179]
	v_add_f64 v[84:85], v[84:85], -v[178:179]
	ds_read2_b64 v[178:181], v1 offset0:48 offset1:49
	s_waitcnt lgkmcnt(0)
	v_mul_f64 v[86:87], v[180:181], v[88:89]
	v_fma_f64 v[86:87], v[178:179], v[186:187], -v[86:87]
	v_mul_f64 v[178:179], v[178:179], v[88:89]
	v_add_f64 v[78:79], v[78:79], -v[86:87]
	v_fma_f64 v[178:179], v[180:181], v[186:187], v[178:179]
	v_add_f64 v[80:81], v[80:81], -v[178:179]
	;; [unrolled: 8-line block ×20, first 2 shown]
	ds_read2_b64 v[178:181], v1 offset0:86 offset1:87
	s_waitcnt lgkmcnt(0)
	v_mul_f64 v[86:87], v[180:181], v[88:89]
	v_fma_f64 v[86:87], v[178:179], v[186:187], -v[86:87]
	v_mul_f64 v[178:179], v[178:179], v[88:89]
	v_add_f64 v[2:3], v[2:3], -v[86:87]
	v_fma_f64 v[178:179], v[180:181], v[186:187], v[178:179]
	v_mov_b32_e32 v86, v186
	v_mov_b32_e32 v87, v187
	v_add_f64 v[4:5], v[4:5], -v[178:179]
.LBB86_482:
	s_or_b32 exec_lo, exec_lo, s0
	v_lshl_add_u32 v178, v192, 4, v1
	s_barrier
	buffer_gl0_inv
	v_mov_b32_e32 v186, 23
	ds_write2_b64 v178, v[82:83], v[84:85] offset1:1
	s_waitcnt lgkmcnt(0)
	s_barrier
	buffer_gl0_inv
	ds_read2_b64 v[178:181], v1 offset0:46 offset1:47
	s_cmp_lt_i32 s18, 25
	s_cbranch_scc1 .LBB86_485
; %bb.483:
	v_add3_u32 v187, v188, 0, 0x180
	v_mov_b32_e32 v186, 23
	s_mov_b32 s1, 24
	s_inst_prefetch 0x1
	.p2align	6
.LBB86_484:                             ; =>This Inner Loop Header: Depth=1
	s_waitcnt lgkmcnt(0)
	v_cmp_gt_f64_e32 vcc_lo, 0, v[180:181]
	v_cmp_gt_f64_e64 s0, 0, v[178:179]
	ds_read2_b64 v[193:196], v187 offset1:1
	v_xor_b32_e32 v198, 0x80000000, v179
	v_xor_b32_e32 v200, 0x80000000, v181
	v_mov_b32_e32 v197, v178
	v_mov_b32_e32 v199, v180
	v_add_nc_u32_e32 v187, 16, v187
	s_waitcnt lgkmcnt(0)
	v_xor_b32_e32 v202, 0x80000000, v196
	v_cndmask_b32_e64 v198, v179, v198, s0
	v_cndmask_b32_e32 v200, v181, v200, vcc_lo
	v_cmp_gt_f64_e32 vcc_lo, 0, v[195:196]
	v_cmp_gt_f64_e64 s0, 0, v[193:194]
	v_mov_b32_e32 v201, v195
	v_add_f64 v[197:198], v[197:198], v[199:200]
	v_xor_b32_e32 v200, 0x80000000, v194
	v_mov_b32_e32 v199, v193
	v_cndmask_b32_e32 v202, v196, v202, vcc_lo
	v_cndmask_b32_e64 v200, v194, v200, s0
	v_add_f64 v[199:200], v[199:200], v[201:202]
	v_cmp_lt_f64_e32 vcc_lo, v[197:198], v[199:200]
	v_cndmask_b32_e32 v179, v179, v194, vcc_lo
	v_cndmask_b32_e32 v178, v178, v193, vcc_lo
	;; [unrolled: 1-line block ×4, first 2 shown]
	v_cndmask_b32_e64 v186, v186, s1, vcc_lo
	s_add_i32 s1, s1, 1
	s_cmp_lg_u32 s18, s1
	s_cbranch_scc1 .LBB86_484
.LBB86_485:
	s_inst_prefetch 0x2
	s_waitcnt lgkmcnt(0)
	v_cmp_eq_f64_e32 vcc_lo, 0, v[178:179]
	v_cmp_eq_f64_e64 s0, 0, v[180:181]
	s_and_b32 s0, vcc_lo, s0
	s_and_saveexec_b32 s1, s0
	s_xor_b32 s0, exec_lo, s1
; %bb.486:
	v_cmp_ne_u32_e32 vcc_lo, 0, v191
	v_cndmask_b32_e32 v191, 24, v191, vcc_lo
; %bb.487:
	s_andn2_saveexec_b32 s0, s0
	s_cbranch_execz .LBB86_493
; %bb.488:
	v_cmp_ngt_f64_e64 s1, |v[178:179]|, |v[180:181]|
	s_and_saveexec_b32 s2, s1
	s_xor_b32 s1, exec_lo, s2
	s_cbranch_execz .LBB86_490
; %bb.489:
	v_div_scale_f64 v[193:194], null, v[180:181], v[180:181], v[178:179]
	v_div_scale_f64 v[199:200], vcc_lo, v[178:179], v[180:181], v[178:179]
	v_rcp_f64_e32 v[195:196], v[193:194]
	v_fma_f64 v[197:198], -v[193:194], v[195:196], 1.0
	v_fma_f64 v[195:196], v[195:196], v[197:198], v[195:196]
	v_fma_f64 v[197:198], -v[193:194], v[195:196], 1.0
	v_fma_f64 v[195:196], v[195:196], v[197:198], v[195:196]
	v_mul_f64 v[197:198], v[199:200], v[195:196]
	v_fma_f64 v[193:194], -v[193:194], v[197:198], v[199:200]
	v_div_fmas_f64 v[193:194], v[193:194], v[195:196], v[197:198]
	v_div_fixup_f64 v[193:194], v[193:194], v[180:181], v[178:179]
	v_fma_f64 v[178:179], v[178:179], v[193:194], v[180:181]
	v_div_scale_f64 v[180:181], null, v[178:179], v[178:179], 1.0
	v_rcp_f64_e32 v[195:196], v[180:181]
	v_fma_f64 v[197:198], -v[180:181], v[195:196], 1.0
	v_fma_f64 v[195:196], v[195:196], v[197:198], v[195:196]
	v_fma_f64 v[197:198], -v[180:181], v[195:196], 1.0
	v_fma_f64 v[195:196], v[195:196], v[197:198], v[195:196]
	v_div_scale_f64 v[197:198], vcc_lo, 1.0, v[178:179], 1.0
	v_mul_f64 v[199:200], v[197:198], v[195:196]
	v_fma_f64 v[180:181], -v[180:181], v[199:200], v[197:198]
	v_div_fmas_f64 v[180:181], v[180:181], v[195:196], v[199:200]
	v_div_fixup_f64 v[180:181], v[180:181], v[178:179], 1.0
	v_mul_f64 v[178:179], v[193:194], v[180:181]
	v_xor_b32_e32 v181, 0x80000000, v181
.LBB86_490:
	s_andn2_saveexec_b32 s1, s1
	s_cbranch_execz .LBB86_492
; %bb.491:
	v_div_scale_f64 v[193:194], null, v[178:179], v[178:179], v[180:181]
	v_div_scale_f64 v[199:200], vcc_lo, v[180:181], v[178:179], v[180:181]
	v_rcp_f64_e32 v[195:196], v[193:194]
	v_fma_f64 v[197:198], -v[193:194], v[195:196], 1.0
	v_fma_f64 v[195:196], v[195:196], v[197:198], v[195:196]
	v_fma_f64 v[197:198], -v[193:194], v[195:196], 1.0
	v_fma_f64 v[195:196], v[195:196], v[197:198], v[195:196]
	v_mul_f64 v[197:198], v[199:200], v[195:196]
	v_fma_f64 v[193:194], -v[193:194], v[197:198], v[199:200]
	v_div_fmas_f64 v[193:194], v[193:194], v[195:196], v[197:198]
	v_div_fixup_f64 v[193:194], v[193:194], v[178:179], v[180:181]
	v_fma_f64 v[178:179], v[180:181], v[193:194], v[178:179]
	v_div_scale_f64 v[180:181], null, v[178:179], v[178:179], 1.0
	v_rcp_f64_e32 v[195:196], v[180:181]
	v_fma_f64 v[197:198], -v[180:181], v[195:196], 1.0
	v_fma_f64 v[195:196], v[195:196], v[197:198], v[195:196]
	v_fma_f64 v[197:198], -v[180:181], v[195:196], 1.0
	v_fma_f64 v[195:196], v[195:196], v[197:198], v[195:196]
	v_div_scale_f64 v[197:198], vcc_lo, 1.0, v[178:179], 1.0
	v_mul_f64 v[199:200], v[197:198], v[195:196]
	v_fma_f64 v[180:181], -v[180:181], v[199:200], v[197:198]
	v_div_fmas_f64 v[180:181], v[180:181], v[195:196], v[199:200]
	v_div_fixup_f64 v[178:179], v[180:181], v[178:179], 1.0
	v_mul_f64 v[180:181], v[193:194], -v[178:179]
.LBB86_492:
	s_or_b32 exec_lo, exec_lo, s1
.LBB86_493:
	s_or_b32 exec_lo, exec_lo, s0
	s_mov_b32 s0, exec_lo
	v_cmpx_ne_u32_e64 v192, v186
	s_xor_b32 s0, exec_lo, s0
	s_cbranch_execz .LBB86_499
; %bb.494:
	s_mov_b32 s1, exec_lo
	v_cmpx_eq_u32_e32 23, v192
	s_cbranch_execz .LBB86_498
; %bb.495:
	v_cmp_ne_u32_e32 vcc_lo, 23, v186
	s_xor_b32 s2, s16, -1
	s_and_b32 s3, s2, vcc_lo
	s_and_saveexec_b32 s2, s3
	s_cbranch_execz .LBB86_497
; %bb.496:
	v_ashrrev_i32_e32 v187, 31, v186
	v_lshlrev_b64 v[192:193], 2, v[186:187]
	v_add_co_u32 v192, vcc_lo, v184, v192
	v_add_co_ci_u32_e64 v193, null, v185, v193, vcc_lo
	s_clause 0x1
	global_load_dword v0, v[192:193], off
	global_load_dword v187, v[184:185], off offset:92
	s_waitcnt vmcnt(1)
	global_store_dword v[184:185], v0, off offset:92
	s_waitcnt vmcnt(0)
	global_store_dword v[192:193], v187, off
.LBB86_497:
	s_or_b32 exec_lo, exec_lo, s2
	v_mov_b32_e32 v192, v186
	v_mov_b32_e32 v0, v186
.LBB86_498:
	s_or_b32 exec_lo, exec_lo, s1
.LBB86_499:
	s_andn2_saveexec_b32 s0, s0
	s_cbranch_execz .LBB86_501
; %bb.500:
	v_mov_b32_e32 v192, 23
	ds_write2_b64 v1, v[78:79], v[80:81] offset0:48 offset1:49
	ds_write2_b64 v1, v[74:75], v[76:77] offset0:50 offset1:51
	;; [unrolled: 1-line block ×20, first 2 shown]
.LBB86_501:
	s_or_b32 exec_lo, exec_lo, s0
	s_mov_b32 s0, exec_lo
	s_waitcnt lgkmcnt(0)
	s_waitcnt_vscnt null, 0x0
	s_barrier
	buffer_gl0_inv
	v_cmpx_lt_i32_e32 23, v192
	s_cbranch_execz .LBB86_503
; %bb.502:
	v_mul_f64 v[186:187], v[180:181], v[84:85]
	v_mul_f64 v[84:85], v[178:179], v[84:85]
	v_fma_f64 v[186:187], v[178:179], v[82:83], -v[186:187]
	v_fma_f64 v[84:85], v[180:181], v[82:83], v[84:85]
	ds_read2_b64 v[178:181], v1 offset0:48 offset1:49
	s_waitcnt lgkmcnt(0)
	v_mul_f64 v[82:83], v[180:181], v[84:85]
	v_fma_f64 v[82:83], v[178:179], v[186:187], -v[82:83]
	v_mul_f64 v[178:179], v[178:179], v[84:85]
	v_add_f64 v[78:79], v[78:79], -v[82:83]
	v_fma_f64 v[178:179], v[180:181], v[186:187], v[178:179]
	v_add_f64 v[80:81], v[80:81], -v[178:179]
	ds_read2_b64 v[178:181], v1 offset0:50 offset1:51
	s_waitcnt lgkmcnt(0)
	v_mul_f64 v[82:83], v[180:181], v[84:85]
	v_fma_f64 v[82:83], v[178:179], v[186:187], -v[82:83]
	v_mul_f64 v[178:179], v[178:179], v[84:85]
	v_add_f64 v[74:75], v[74:75], -v[82:83]
	v_fma_f64 v[178:179], v[180:181], v[186:187], v[178:179]
	v_add_f64 v[76:77], v[76:77], -v[178:179]
	;; [unrolled: 8-line block ×19, first 2 shown]
	ds_read2_b64 v[178:181], v1 offset0:86 offset1:87
	s_waitcnt lgkmcnt(0)
	v_mul_f64 v[82:83], v[180:181], v[84:85]
	v_fma_f64 v[82:83], v[178:179], v[186:187], -v[82:83]
	v_mul_f64 v[178:179], v[178:179], v[84:85]
	v_add_f64 v[2:3], v[2:3], -v[82:83]
	v_fma_f64 v[178:179], v[180:181], v[186:187], v[178:179]
	v_mov_b32_e32 v82, v186
	v_mov_b32_e32 v83, v187
	v_add_f64 v[4:5], v[4:5], -v[178:179]
.LBB86_503:
	s_or_b32 exec_lo, exec_lo, s0
	v_lshl_add_u32 v178, v192, 4, v1
	s_barrier
	buffer_gl0_inv
	v_mov_b32_e32 v186, 24
	ds_write2_b64 v178, v[78:79], v[80:81] offset1:1
	s_waitcnt lgkmcnt(0)
	s_barrier
	buffer_gl0_inv
	ds_read2_b64 v[178:181], v1 offset0:48 offset1:49
	s_cmp_lt_i32 s18, 26
	s_cbranch_scc1 .LBB86_506
; %bb.504:
	v_add3_u32 v187, v188, 0, 0x190
	v_mov_b32_e32 v186, 24
	s_mov_b32 s1, 25
	s_inst_prefetch 0x1
	.p2align	6
.LBB86_505:                             ; =>This Inner Loop Header: Depth=1
	s_waitcnt lgkmcnt(0)
	v_cmp_gt_f64_e32 vcc_lo, 0, v[180:181]
	v_cmp_gt_f64_e64 s0, 0, v[178:179]
	ds_read2_b64 v[193:196], v187 offset1:1
	v_xor_b32_e32 v198, 0x80000000, v179
	v_xor_b32_e32 v200, 0x80000000, v181
	v_mov_b32_e32 v197, v178
	v_mov_b32_e32 v199, v180
	v_add_nc_u32_e32 v187, 16, v187
	s_waitcnt lgkmcnt(0)
	v_xor_b32_e32 v202, 0x80000000, v196
	v_cndmask_b32_e64 v198, v179, v198, s0
	v_cndmask_b32_e32 v200, v181, v200, vcc_lo
	v_cmp_gt_f64_e32 vcc_lo, 0, v[195:196]
	v_cmp_gt_f64_e64 s0, 0, v[193:194]
	v_mov_b32_e32 v201, v195
	v_add_f64 v[197:198], v[197:198], v[199:200]
	v_xor_b32_e32 v200, 0x80000000, v194
	v_mov_b32_e32 v199, v193
	v_cndmask_b32_e32 v202, v196, v202, vcc_lo
	v_cndmask_b32_e64 v200, v194, v200, s0
	v_add_f64 v[199:200], v[199:200], v[201:202]
	v_cmp_lt_f64_e32 vcc_lo, v[197:198], v[199:200]
	v_cndmask_b32_e32 v179, v179, v194, vcc_lo
	v_cndmask_b32_e32 v178, v178, v193, vcc_lo
	;; [unrolled: 1-line block ×4, first 2 shown]
	v_cndmask_b32_e64 v186, v186, s1, vcc_lo
	s_add_i32 s1, s1, 1
	s_cmp_lg_u32 s18, s1
	s_cbranch_scc1 .LBB86_505
.LBB86_506:
	s_inst_prefetch 0x2
	s_waitcnt lgkmcnt(0)
	v_cmp_eq_f64_e32 vcc_lo, 0, v[178:179]
	v_cmp_eq_f64_e64 s0, 0, v[180:181]
	s_and_b32 s0, vcc_lo, s0
	s_and_saveexec_b32 s1, s0
	s_xor_b32 s0, exec_lo, s1
; %bb.507:
	v_cmp_ne_u32_e32 vcc_lo, 0, v191
	v_cndmask_b32_e32 v191, 25, v191, vcc_lo
; %bb.508:
	s_andn2_saveexec_b32 s0, s0
	s_cbranch_execz .LBB86_514
; %bb.509:
	v_cmp_ngt_f64_e64 s1, |v[178:179]|, |v[180:181]|
	s_and_saveexec_b32 s2, s1
	s_xor_b32 s1, exec_lo, s2
	s_cbranch_execz .LBB86_511
; %bb.510:
	v_div_scale_f64 v[193:194], null, v[180:181], v[180:181], v[178:179]
	v_div_scale_f64 v[199:200], vcc_lo, v[178:179], v[180:181], v[178:179]
	v_rcp_f64_e32 v[195:196], v[193:194]
	v_fma_f64 v[197:198], -v[193:194], v[195:196], 1.0
	v_fma_f64 v[195:196], v[195:196], v[197:198], v[195:196]
	v_fma_f64 v[197:198], -v[193:194], v[195:196], 1.0
	v_fma_f64 v[195:196], v[195:196], v[197:198], v[195:196]
	v_mul_f64 v[197:198], v[199:200], v[195:196]
	v_fma_f64 v[193:194], -v[193:194], v[197:198], v[199:200]
	v_div_fmas_f64 v[193:194], v[193:194], v[195:196], v[197:198]
	v_div_fixup_f64 v[193:194], v[193:194], v[180:181], v[178:179]
	v_fma_f64 v[178:179], v[178:179], v[193:194], v[180:181]
	v_div_scale_f64 v[180:181], null, v[178:179], v[178:179], 1.0
	v_rcp_f64_e32 v[195:196], v[180:181]
	v_fma_f64 v[197:198], -v[180:181], v[195:196], 1.0
	v_fma_f64 v[195:196], v[195:196], v[197:198], v[195:196]
	v_fma_f64 v[197:198], -v[180:181], v[195:196], 1.0
	v_fma_f64 v[195:196], v[195:196], v[197:198], v[195:196]
	v_div_scale_f64 v[197:198], vcc_lo, 1.0, v[178:179], 1.0
	v_mul_f64 v[199:200], v[197:198], v[195:196]
	v_fma_f64 v[180:181], -v[180:181], v[199:200], v[197:198]
	v_div_fmas_f64 v[180:181], v[180:181], v[195:196], v[199:200]
	v_div_fixup_f64 v[180:181], v[180:181], v[178:179], 1.0
	v_mul_f64 v[178:179], v[193:194], v[180:181]
	v_xor_b32_e32 v181, 0x80000000, v181
.LBB86_511:
	s_andn2_saveexec_b32 s1, s1
	s_cbranch_execz .LBB86_513
; %bb.512:
	v_div_scale_f64 v[193:194], null, v[178:179], v[178:179], v[180:181]
	v_div_scale_f64 v[199:200], vcc_lo, v[180:181], v[178:179], v[180:181]
	v_rcp_f64_e32 v[195:196], v[193:194]
	v_fma_f64 v[197:198], -v[193:194], v[195:196], 1.0
	v_fma_f64 v[195:196], v[195:196], v[197:198], v[195:196]
	v_fma_f64 v[197:198], -v[193:194], v[195:196], 1.0
	v_fma_f64 v[195:196], v[195:196], v[197:198], v[195:196]
	v_mul_f64 v[197:198], v[199:200], v[195:196]
	v_fma_f64 v[193:194], -v[193:194], v[197:198], v[199:200]
	v_div_fmas_f64 v[193:194], v[193:194], v[195:196], v[197:198]
	v_div_fixup_f64 v[193:194], v[193:194], v[178:179], v[180:181]
	v_fma_f64 v[178:179], v[180:181], v[193:194], v[178:179]
	v_div_scale_f64 v[180:181], null, v[178:179], v[178:179], 1.0
	v_rcp_f64_e32 v[195:196], v[180:181]
	v_fma_f64 v[197:198], -v[180:181], v[195:196], 1.0
	v_fma_f64 v[195:196], v[195:196], v[197:198], v[195:196]
	v_fma_f64 v[197:198], -v[180:181], v[195:196], 1.0
	v_fma_f64 v[195:196], v[195:196], v[197:198], v[195:196]
	v_div_scale_f64 v[197:198], vcc_lo, 1.0, v[178:179], 1.0
	v_mul_f64 v[199:200], v[197:198], v[195:196]
	v_fma_f64 v[180:181], -v[180:181], v[199:200], v[197:198]
	v_div_fmas_f64 v[180:181], v[180:181], v[195:196], v[199:200]
	v_div_fixup_f64 v[178:179], v[180:181], v[178:179], 1.0
	v_mul_f64 v[180:181], v[193:194], -v[178:179]
.LBB86_513:
	s_or_b32 exec_lo, exec_lo, s1
.LBB86_514:
	s_or_b32 exec_lo, exec_lo, s0
	s_mov_b32 s0, exec_lo
	v_cmpx_ne_u32_e64 v192, v186
	s_xor_b32 s0, exec_lo, s0
	s_cbranch_execz .LBB86_520
; %bb.515:
	s_mov_b32 s1, exec_lo
	v_cmpx_eq_u32_e32 24, v192
	s_cbranch_execz .LBB86_519
; %bb.516:
	v_cmp_ne_u32_e32 vcc_lo, 24, v186
	s_xor_b32 s2, s16, -1
	s_and_b32 s3, s2, vcc_lo
	s_and_saveexec_b32 s2, s3
	s_cbranch_execz .LBB86_518
; %bb.517:
	v_ashrrev_i32_e32 v187, 31, v186
	v_lshlrev_b64 v[192:193], 2, v[186:187]
	v_add_co_u32 v192, vcc_lo, v184, v192
	v_add_co_ci_u32_e64 v193, null, v185, v193, vcc_lo
	s_clause 0x1
	global_load_dword v0, v[192:193], off
	global_load_dword v187, v[184:185], off offset:96
	s_waitcnt vmcnt(1)
	global_store_dword v[184:185], v0, off offset:96
	s_waitcnt vmcnt(0)
	global_store_dword v[192:193], v187, off
.LBB86_518:
	s_or_b32 exec_lo, exec_lo, s2
	v_mov_b32_e32 v192, v186
	v_mov_b32_e32 v0, v186
.LBB86_519:
	s_or_b32 exec_lo, exec_lo, s1
.LBB86_520:
	s_andn2_saveexec_b32 s0, s0
	s_cbranch_execz .LBB86_522
; %bb.521:
	v_mov_b32_e32 v192, 24
	ds_write2_b64 v1, v[74:75], v[76:77] offset0:50 offset1:51
	ds_write2_b64 v1, v[70:71], v[72:73] offset0:52 offset1:53
	ds_write2_b64 v1, v[66:67], v[68:69] offset0:54 offset1:55
	ds_write2_b64 v1, v[62:63], v[64:65] offset0:56 offset1:57
	ds_write2_b64 v1, v[58:59], v[60:61] offset0:58 offset1:59
	ds_write2_b64 v1, v[54:55], v[56:57] offset0:60 offset1:61
	ds_write2_b64 v1, v[50:51], v[52:53] offset0:62 offset1:63
	ds_write2_b64 v1, v[46:47], v[48:49] offset0:64 offset1:65
	ds_write2_b64 v1, v[42:43], v[44:45] offset0:66 offset1:67
	ds_write2_b64 v1, v[38:39], v[40:41] offset0:68 offset1:69
	ds_write2_b64 v1, v[34:35], v[36:37] offset0:70 offset1:71
	ds_write2_b64 v1, v[30:31], v[32:33] offset0:72 offset1:73
	ds_write2_b64 v1, v[26:27], v[28:29] offset0:74 offset1:75
	ds_write2_b64 v1, v[22:23], v[24:25] offset0:76 offset1:77
	ds_write2_b64 v1, v[18:19], v[20:21] offset0:78 offset1:79
	ds_write2_b64 v1, v[14:15], v[16:17] offset0:80 offset1:81
	ds_write2_b64 v1, v[10:11], v[12:13] offset0:82 offset1:83
	ds_write2_b64 v1, v[6:7], v[8:9] offset0:84 offset1:85
	ds_write2_b64 v1, v[2:3], v[4:5] offset0:86 offset1:87
.LBB86_522:
	s_or_b32 exec_lo, exec_lo, s0
	s_mov_b32 s0, exec_lo
	s_waitcnt lgkmcnt(0)
	s_waitcnt_vscnt null, 0x0
	s_barrier
	buffer_gl0_inv
	v_cmpx_lt_i32_e32 24, v192
	s_cbranch_execz .LBB86_524
; %bb.523:
	v_mul_f64 v[186:187], v[180:181], v[80:81]
	v_mul_f64 v[80:81], v[178:179], v[80:81]
	v_fma_f64 v[186:187], v[178:179], v[78:79], -v[186:187]
	v_fma_f64 v[80:81], v[180:181], v[78:79], v[80:81]
	ds_read2_b64 v[178:181], v1 offset0:50 offset1:51
	s_waitcnt lgkmcnt(0)
	v_mul_f64 v[78:79], v[180:181], v[80:81]
	v_fma_f64 v[78:79], v[178:179], v[186:187], -v[78:79]
	v_mul_f64 v[178:179], v[178:179], v[80:81]
	v_add_f64 v[74:75], v[74:75], -v[78:79]
	v_fma_f64 v[178:179], v[180:181], v[186:187], v[178:179]
	v_add_f64 v[76:77], v[76:77], -v[178:179]
	ds_read2_b64 v[178:181], v1 offset0:52 offset1:53
	s_waitcnt lgkmcnt(0)
	v_mul_f64 v[78:79], v[180:181], v[80:81]
	v_fma_f64 v[78:79], v[178:179], v[186:187], -v[78:79]
	v_mul_f64 v[178:179], v[178:179], v[80:81]
	v_add_f64 v[70:71], v[70:71], -v[78:79]
	v_fma_f64 v[178:179], v[180:181], v[186:187], v[178:179]
	v_add_f64 v[72:73], v[72:73], -v[178:179]
	;; [unrolled: 8-line block ×18, first 2 shown]
	ds_read2_b64 v[178:181], v1 offset0:86 offset1:87
	s_waitcnt lgkmcnt(0)
	v_mul_f64 v[78:79], v[180:181], v[80:81]
	v_fma_f64 v[78:79], v[178:179], v[186:187], -v[78:79]
	v_mul_f64 v[178:179], v[178:179], v[80:81]
	v_add_f64 v[2:3], v[2:3], -v[78:79]
	v_fma_f64 v[178:179], v[180:181], v[186:187], v[178:179]
	v_mov_b32_e32 v78, v186
	v_mov_b32_e32 v79, v187
	v_add_f64 v[4:5], v[4:5], -v[178:179]
.LBB86_524:
	s_or_b32 exec_lo, exec_lo, s0
	v_lshl_add_u32 v178, v192, 4, v1
	s_barrier
	buffer_gl0_inv
	v_mov_b32_e32 v186, 25
	ds_write2_b64 v178, v[74:75], v[76:77] offset1:1
	s_waitcnt lgkmcnt(0)
	s_barrier
	buffer_gl0_inv
	ds_read2_b64 v[178:181], v1 offset0:50 offset1:51
	s_cmp_lt_i32 s18, 27
	s_cbranch_scc1 .LBB86_527
; %bb.525:
	v_add3_u32 v187, v188, 0, 0x1a0
	v_mov_b32_e32 v186, 25
	s_mov_b32 s1, 26
	s_inst_prefetch 0x1
	.p2align	6
.LBB86_526:                             ; =>This Inner Loop Header: Depth=1
	s_waitcnt lgkmcnt(0)
	v_cmp_gt_f64_e32 vcc_lo, 0, v[180:181]
	v_cmp_gt_f64_e64 s0, 0, v[178:179]
	ds_read2_b64 v[193:196], v187 offset1:1
	v_xor_b32_e32 v198, 0x80000000, v179
	v_xor_b32_e32 v200, 0x80000000, v181
	v_mov_b32_e32 v197, v178
	v_mov_b32_e32 v199, v180
	v_add_nc_u32_e32 v187, 16, v187
	s_waitcnt lgkmcnt(0)
	v_xor_b32_e32 v202, 0x80000000, v196
	v_cndmask_b32_e64 v198, v179, v198, s0
	v_cndmask_b32_e32 v200, v181, v200, vcc_lo
	v_cmp_gt_f64_e32 vcc_lo, 0, v[195:196]
	v_cmp_gt_f64_e64 s0, 0, v[193:194]
	v_mov_b32_e32 v201, v195
	v_add_f64 v[197:198], v[197:198], v[199:200]
	v_xor_b32_e32 v200, 0x80000000, v194
	v_mov_b32_e32 v199, v193
	v_cndmask_b32_e32 v202, v196, v202, vcc_lo
	v_cndmask_b32_e64 v200, v194, v200, s0
	v_add_f64 v[199:200], v[199:200], v[201:202]
	v_cmp_lt_f64_e32 vcc_lo, v[197:198], v[199:200]
	v_cndmask_b32_e32 v179, v179, v194, vcc_lo
	v_cndmask_b32_e32 v178, v178, v193, vcc_lo
	;; [unrolled: 1-line block ×4, first 2 shown]
	v_cndmask_b32_e64 v186, v186, s1, vcc_lo
	s_add_i32 s1, s1, 1
	s_cmp_lg_u32 s18, s1
	s_cbranch_scc1 .LBB86_526
.LBB86_527:
	s_inst_prefetch 0x2
	s_waitcnt lgkmcnt(0)
	v_cmp_eq_f64_e32 vcc_lo, 0, v[178:179]
	v_cmp_eq_f64_e64 s0, 0, v[180:181]
	s_and_b32 s0, vcc_lo, s0
	s_and_saveexec_b32 s1, s0
	s_xor_b32 s0, exec_lo, s1
; %bb.528:
	v_cmp_ne_u32_e32 vcc_lo, 0, v191
	v_cndmask_b32_e32 v191, 26, v191, vcc_lo
; %bb.529:
	s_andn2_saveexec_b32 s0, s0
	s_cbranch_execz .LBB86_535
; %bb.530:
	v_cmp_ngt_f64_e64 s1, |v[178:179]|, |v[180:181]|
	s_and_saveexec_b32 s2, s1
	s_xor_b32 s1, exec_lo, s2
	s_cbranch_execz .LBB86_532
; %bb.531:
	v_div_scale_f64 v[193:194], null, v[180:181], v[180:181], v[178:179]
	v_div_scale_f64 v[199:200], vcc_lo, v[178:179], v[180:181], v[178:179]
	v_rcp_f64_e32 v[195:196], v[193:194]
	v_fma_f64 v[197:198], -v[193:194], v[195:196], 1.0
	v_fma_f64 v[195:196], v[195:196], v[197:198], v[195:196]
	v_fma_f64 v[197:198], -v[193:194], v[195:196], 1.0
	v_fma_f64 v[195:196], v[195:196], v[197:198], v[195:196]
	v_mul_f64 v[197:198], v[199:200], v[195:196]
	v_fma_f64 v[193:194], -v[193:194], v[197:198], v[199:200]
	v_div_fmas_f64 v[193:194], v[193:194], v[195:196], v[197:198]
	v_div_fixup_f64 v[193:194], v[193:194], v[180:181], v[178:179]
	v_fma_f64 v[178:179], v[178:179], v[193:194], v[180:181]
	v_div_scale_f64 v[180:181], null, v[178:179], v[178:179], 1.0
	v_rcp_f64_e32 v[195:196], v[180:181]
	v_fma_f64 v[197:198], -v[180:181], v[195:196], 1.0
	v_fma_f64 v[195:196], v[195:196], v[197:198], v[195:196]
	v_fma_f64 v[197:198], -v[180:181], v[195:196], 1.0
	v_fma_f64 v[195:196], v[195:196], v[197:198], v[195:196]
	v_div_scale_f64 v[197:198], vcc_lo, 1.0, v[178:179], 1.0
	v_mul_f64 v[199:200], v[197:198], v[195:196]
	v_fma_f64 v[180:181], -v[180:181], v[199:200], v[197:198]
	v_div_fmas_f64 v[180:181], v[180:181], v[195:196], v[199:200]
	v_div_fixup_f64 v[180:181], v[180:181], v[178:179], 1.0
	v_mul_f64 v[178:179], v[193:194], v[180:181]
	v_xor_b32_e32 v181, 0x80000000, v181
.LBB86_532:
	s_andn2_saveexec_b32 s1, s1
	s_cbranch_execz .LBB86_534
; %bb.533:
	v_div_scale_f64 v[193:194], null, v[178:179], v[178:179], v[180:181]
	v_div_scale_f64 v[199:200], vcc_lo, v[180:181], v[178:179], v[180:181]
	v_rcp_f64_e32 v[195:196], v[193:194]
	v_fma_f64 v[197:198], -v[193:194], v[195:196], 1.0
	v_fma_f64 v[195:196], v[195:196], v[197:198], v[195:196]
	v_fma_f64 v[197:198], -v[193:194], v[195:196], 1.0
	v_fma_f64 v[195:196], v[195:196], v[197:198], v[195:196]
	v_mul_f64 v[197:198], v[199:200], v[195:196]
	v_fma_f64 v[193:194], -v[193:194], v[197:198], v[199:200]
	v_div_fmas_f64 v[193:194], v[193:194], v[195:196], v[197:198]
	v_div_fixup_f64 v[193:194], v[193:194], v[178:179], v[180:181]
	v_fma_f64 v[178:179], v[180:181], v[193:194], v[178:179]
	v_div_scale_f64 v[180:181], null, v[178:179], v[178:179], 1.0
	v_rcp_f64_e32 v[195:196], v[180:181]
	v_fma_f64 v[197:198], -v[180:181], v[195:196], 1.0
	v_fma_f64 v[195:196], v[195:196], v[197:198], v[195:196]
	v_fma_f64 v[197:198], -v[180:181], v[195:196], 1.0
	v_fma_f64 v[195:196], v[195:196], v[197:198], v[195:196]
	v_div_scale_f64 v[197:198], vcc_lo, 1.0, v[178:179], 1.0
	v_mul_f64 v[199:200], v[197:198], v[195:196]
	v_fma_f64 v[180:181], -v[180:181], v[199:200], v[197:198]
	v_div_fmas_f64 v[180:181], v[180:181], v[195:196], v[199:200]
	v_div_fixup_f64 v[178:179], v[180:181], v[178:179], 1.0
	v_mul_f64 v[180:181], v[193:194], -v[178:179]
.LBB86_534:
	s_or_b32 exec_lo, exec_lo, s1
.LBB86_535:
	s_or_b32 exec_lo, exec_lo, s0
	s_mov_b32 s0, exec_lo
	v_cmpx_ne_u32_e64 v192, v186
	s_xor_b32 s0, exec_lo, s0
	s_cbranch_execz .LBB86_541
; %bb.536:
	s_mov_b32 s1, exec_lo
	v_cmpx_eq_u32_e32 25, v192
	s_cbranch_execz .LBB86_540
; %bb.537:
	v_cmp_ne_u32_e32 vcc_lo, 25, v186
	s_xor_b32 s2, s16, -1
	s_and_b32 s3, s2, vcc_lo
	s_and_saveexec_b32 s2, s3
	s_cbranch_execz .LBB86_539
; %bb.538:
	v_ashrrev_i32_e32 v187, 31, v186
	v_lshlrev_b64 v[192:193], 2, v[186:187]
	v_add_co_u32 v192, vcc_lo, v184, v192
	v_add_co_ci_u32_e64 v193, null, v185, v193, vcc_lo
	s_clause 0x1
	global_load_dword v0, v[192:193], off
	global_load_dword v187, v[184:185], off offset:100
	s_waitcnt vmcnt(1)
	global_store_dword v[184:185], v0, off offset:100
	s_waitcnt vmcnt(0)
	global_store_dword v[192:193], v187, off
.LBB86_539:
	s_or_b32 exec_lo, exec_lo, s2
	v_mov_b32_e32 v192, v186
	v_mov_b32_e32 v0, v186
.LBB86_540:
	s_or_b32 exec_lo, exec_lo, s1
.LBB86_541:
	s_andn2_saveexec_b32 s0, s0
	s_cbranch_execz .LBB86_543
; %bb.542:
	v_mov_b32_e32 v192, 25
	ds_write2_b64 v1, v[70:71], v[72:73] offset0:52 offset1:53
	ds_write2_b64 v1, v[66:67], v[68:69] offset0:54 offset1:55
	;; [unrolled: 1-line block ×18, first 2 shown]
.LBB86_543:
	s_or_b32 exec_lo, exec_lo, s0
	s_mov_b32 s0, exec_lo
	s_waitcnt lgkmcnt(0)
	s_waitcnt_vscnt null, 0x0
	s_barrier
	buffer_gl0_inv
	v_cmpx_lt_i32_e32 25, v192
	s_cbranch_execz .LBB86_545
; %bb.544:
	v_mul_f64 v[186:187], v[180:181], v[76:77]
	v_mul_f64 v[76:77], v[178:179], v[76:77]
	v_fma_f64 v[186:187], v[178:179], v[74:75], -v[186:187]
	v_fma_f64 v[76:77], v[180:181], v[74:75], v[76:77]
	ds_read2_b64 v[178:181], v1 offset0:52 offset1:53
	s_waitcnt lgkmcnt(0)
	v_mul_f64 v[74:75], v[180:181], v[76:77]
	v_fma_f64 v[74:75], v[178:179], v[186:187], -v[74:75]
	v_mul_f64 v[178:179], v[178:179], v[76:77]
	v_add_f64 v[70:71], v[70:71], -v[74:75]
	v_fma_f64 v[178:179], v[180:181], v[186:187], v[178:179]
	v_add_f64 v[72:73], v[72:73], -v[178:179]
	ds_read2_b64 v[178:181], v1 offset0:54 offset1:55
	s_waitcnt lgkmcnt(0)
	v_mul_f64 v[74:75], v[180:181], v[76:77]
	v_fma_f64 v[74:75], v[178:179], v[186:187], -v[74:75]
	v_mul_f64 v[178:179], v[178:179], v[76:77]
	v_add_f64 v[66:67], v[66:67], -v[74:75]
	v_fma_f64 v[178:179], v[180:181], v[186:187], v[178:179]
	v_add_f64 v[68:69], v[68:69], -v[178:179]
	;; [unrolled: 8-line block ×17, first 2 shown]
	ds_read2_b64 v[178:181], v1 offset0:86 offset1:87
	s_waitcnt lgkmcnt(0)
	v_mul_f64 v[74:75], v[180:181], v[76:77]
	v_fma_f64 v[74:75], v[178:179], v[186:187], -v[74:75]
	v_mul_f64 v[178:179], v[178:179], v[76:77]
	v_add_f64 v[2:3], v[2:3], -v[74:75]
	v_fma_f64 v[178:179], v[180:181], v[186:187], v[178:179]
	v_mov_b32_e32 v74, v186
	v_mov_b32_e32 v75, v187
	v_add_f64 v[4:5], v[4:5], -v[178:179]
.LBB86_545:
	s_or_b32 exec_lo, exec_lo, s0
	v_lshl_add_u32 v178, v192, 4, v1
	s_barrier
	buffer_gl0_inv
	v_mov_b32_e32 v186, 26
	ds_write2_b64 v178, v[70:71], v[72:73] offset1:1
	s_waitcnt lgkmcnt(0)
	s_barrier
	buffer_gl0_inv
	ds_read2_b64 v[178:181], v1 offset0:52 offset1:53
	s_cmp_lt_i32 s18, 28
	s_cbranch_scc1 .LBB86_548
; %bb.546:
	v_add3_u32 v187, v188, 0, 0x1b0
	v_mov_b32_e32 v186, 26
	s_mov_b32 s1, 27
	s_inst_prefetch 0x1
	.p2align	6
.LBB86_547:                             ; =>This Inner Loop Header: Depth=1
	s_waitcnt lgkmcnt(0)
	v_cmp_gt_f64_e32 vcc_lo, 0, v[180:181]
	v_cmp_gt_f64_e64 s0, 0, v[178:179]
	ds_read2_b64 v[193:196], v187 offset1:1
	v_xor_b32_e32 v198, 0x80000000, v179
	v_xor_b32_e32 v200, 0x80000000, v181
	v_mov_b32_e32 v197, v178
	v_mov_b32_e32 v199, v180
	v_add_nc_u32_e32 v187, 16, v187
	s_waitcnt lgkmcnt(0)
	v_xor_b32_e32 v202, 0x80000000, v196
	v_cndmask_b32_e64 v198, v179, v198, s0
	v_cndmask_b32_e32 v200, v181, v200, vcc_lo
	v_cmp_gt_f64_e32 vcc_lo, 0, v[195:196]
	v_cmp_gt_f64_e64 s0, 0, v[193:194]
	v_mov_b32_e32 v201, v195
	v_add_f64 v[197:198], v[197:198], v[199:200]
	v_xor_b32_e32 v200, 0x80000000, v194
	v_mov_b32_e32 v199, v193
	v_cndmask_b32_e32 v202, v196, v202, vcc_lo
	v_cndmask_b32_e64 v200, v194, v200, s0
	v_add_f64 v[199:200], v[199:200], v[201:202]
	v_cmp_lt_f64_e32 vcc_lo, v[197:198], v[199:200]
	v_cndmask_b32_e32 v179, v179, v194, vcc_lo
	v_cndmask_b32_e32 v178, v178, v193, vcc_lo
	v_cndmask_b32_e32 v181, v181, v196, vcc_lo
	v_cndmask_b32_e32 v180, v180, v195, vcc_lo
	v_cndmask_b32_e64 v186, v186, s1, vcc_lo
	s_add_i32 s1, s1, 1
	s_cmp_lg_u32 s18, s1
	s_cbranch_scc1 .LBB86_547
.LBB86_548:
	s_inst_prefetch 0x2
	s_waitcnt lgkmcnt(0)
	v_cmp_eq_f64_e32 vcc_lo, 0, v[178:179]
	v_cmp_eq_f64_e64 s0, 0, v[180:181]
	s_and_b32 s0, vcc_lo, s0
	s_and_saveexec_b32 s1, s0
	s_xor_b32 s0, exec_lo, s1
; %bb.549:
	v_cmp_ne_u32_e32 vcc_lo, 0, v191
	v_cndmask_b32_e32 v191, 27, v191, vcc_lo
; %bb.550:
	s_andn2_saveexec_b32 s0, s0
	s_cbranch_execz .LBB86_556
; %bb.551:
	v_cmp_ngt_f64_e64 s1, |v[178:179]|, |v[180:181]|
	s_and_saveexec_b32 s2, s1
	s_xor_b32 s1, exec_lo, s2
	s_cbranch_execz .LBB86_553
; %bb.552:
	v_div_scale_f64 v[193:194], null, v[180:181], v[180:181], v[178:179]
	v_div_scale_f64 v[199:200], vcc_lo, v[178:179], v[180:181], v[178:179]
	v_rcp_f64_e32 v[195:196], v[193:194]
	v_fma_f64 v[197:198], -v[193:194], v[195:196], 1.0
	v_fma_f64 v[195:196], v[195:196], v[197:198], v[195:196]
	v_fma_f64 v[197:198], -v[193:194], v[195:196], 1.0
	v_fma_f64 v[195:196], v[195:196], v[197:198], v[195:196]
	v_mul_f64 v[197:198], v[199:200], v[195:196]
	v_fma_f64 v[193:194], -v[193:194], v[197:198], v[199:200]
	v_div_fmas_f64 v[193:194], v[193:194], v[195:196], v[197:198]
	v_div_fixup_f64 v[193:194], v[193:194], v[180:181], v[178:179]
	v_fma_f64 v[178:179], v[178:179], v[193:194], v[180:181]
	v_div_scale_f64 v[180:181], null, v[178:179], v[178:179], 1.0
	v_rcp_f64_e32 v[195:196], v[180:181]
	v_fma_f64 v[197:198], -v[180:181], v[195:196], 1.0
	v_fma_f64 v[195:196], v[195:196], v[197:198], v[195:196]
	v_fma_f64 v[197:198], -v[180:181], v[195:196], 1.0
	v_fma_f64 v[195:196], v[195:196], v[197:198], v[195:196]
	v_div_scale_f64 v[197:198], vcc_lo, 1.0, v[178:179], 1.0
	v_mul_f64 v[199:200], v[197:198], v[195:196]
	v_fma_f64 v[180:181], -v[180:181], v[199:200], v[197:198]
	v_div_fmas_f64 v[180:181], v[180:181], v[195:196], v[199:200]
	v_div_fixup_f64 v[180:181], v[180:181], v[178:179], 1.0
	v_mul_f64 v[178:179], v[193:194], v[180:181]
	v_xor_b32_e32 v181, 0x80000000, v181
.LBB86_553:
	s_andn2_saveexec_b32 s1, s1
	s_cbranch_execz .LBB86_555
; %bb.554:
	v_div_scale_f64 v[193:194], null, v[178:179], v[178:179], v[180:181]
	v_div_scale_f64 v[199:200], vcc_lo, v[180:181], v[178:179], v[180:181]
	v_rcp_f64_e32 v[195:196], v[193:194]
	v_fma_f64 v[197:198], -v[193:194], v[195:196], 1.0
	v_fma_f64 v[195:196], v[195:196], v[197:198], v[195:196]
	v_fma_f64 v[197:198], -v[193:194], v[195:196], 1.0
	v_fma_f64 v[195:196], v[195:196], v[197:198], v[195:196]
	v_mul_f64 v[197:198], v[199:200], v[195:196]
	v_fma_f64 v[193:194], -v[193:194], v[197:198], v[199:200]
	v_div_fmas_f64 v[193:194], v[193:194], v[195:196], v[197:198]
	v_div_fixup_f64 v[193:194], v[193:194], v[178:179], v[180:181]
	v_fma_f64 v[178:179], v[180:181], v[193:194], v[178:179]
	v_div_scale_f64 v[180:181], null, v[178:179], v[178:179], 1.0
	v_rcp_f64_e32 v[195:196], v[180:181]
	v_fma_f64 v[197:198], -v[180:181], v[195:196], 1.0
	v_fma_f64 v[195:196], v[195:196], v[197:198], v[195:196]
	v_fma_f64 v[197:198], -v[180:181], v[195:196], 1.0
	v_fma_f64 v[195:196], v[195:196], v[197:198], v[195:196]
	v_div_scale_f64 v[197:198], vcc_lo, 1.0, v[178:179], 1.0
	v_mul_f64 v[199:200], v[197:198], v[195:196]
	v_fma_f64 v[180:181], -v[180:181], v[199:200], v[197:198]
	v_div_fmas_f64 v[180:181], v[180:181], v[195:196], v[199:200]
	v_div_fixup_f64 v[178:179], v[180:181], v[178:179], 1.0
	v_mul_f64 v[180:181], v[193:194], -v[178:179]
.LBB86_555:
	s_or_b32 exec_lo, exec_lo, s1
.LBB86_556:
	s_or_b32 exec_lo, exec_lo, s0
	s_mov_b32 s0, exec_lo
	v_cmpx_ne_u32_e64 v192, v186
	s_xor_b32 s0, exec_lo, s0
	s_cbranch_execz .LBB86_562
; %bb.557:
	s_mov_b32 s1, exec_lo
	v_cmpx_eq_u32_e32 26, v192
	s_cbranch_execz .LBB86_561
; %bb.558:
	v_cmp_ne_u32_e32 vcc_lo, 26, v186
	s_xor_b32 s2, s16, -1
	s_and_b32 s3, s2, vcc_lo
	s_and_saveexec_b32 s2, s3
	s_cbranch_execz .LBB86_560
; %bb.559:
	v_ashrrev_i32_e32 v187, 31, v186
	v_lshlrev_b64 v[192:193], 2, v[186:187]
	v_add_co_u32 v192, vcc_lo, v184, v192
	v_add_co_ci_u32_e64 v193, null, v185, v193, vcc_lo
	s_clause 0x1
	global_load_dword v0, v[192:193], off
	global_load_dword v187, v[184:185], off offset:104
	s_waitcnt vmcnt(1)
	global_store_dword v[184:185], v0, off offset:104
	s_waitcnt vmcnt(0)
	global_store_dword v[192:193], v187, off
.LBB86_560:
	s_or_b32 exec_lo, exec_lo, s2
	v_mov_b32_e32 v192, v186
	v_mov_b32_e32 v0, v186
.LBB86_561:
	s_or_b32 exec_lo, exec_lo, s1
.LBB86_562:
	s_andn2_saveexec_b32 s0, s0
	s_cbranch_execz .LBB86_564
; %bb.563:
	v_mov_b32_e32 v192, 26
	ds_write2_b64 v1, v[66:67], v[68:69] offset0:54 offset1:55
	ds_write2_b64 v1, v[62:63], v[64:65] offset0:56 offset1:57
	;; [unrolled: 1-line block ×17, first 2 shown]
.LBB86_564:
	s_or_b32 exec_lo, exec_lo, s0
	s_mov_b32 s0, exec_lo
	s_waitcnt lgkmcnt(0)
	s_waitcnt_vscnt null, 0x0
	s_barrier
	buffer_gl0_inv
	v_cmpx_lt_i32_e32 26, v192
	s_cbranch_execz .LBB86_566
; %bb.565:
	v_mul_f64 v[186:187], v[180:181], v[72:73]
	v_mul_f64 v[72:73], v[178:179], v[72:73]
	v_fma_f64 v[186:187], v[178:179], v[70:71], -v[186:187]
	v_fma_f64 v[72:73], v[180:181], v[70:71], v[72:73]
	ds_read2_b64 v[178:181], v1 offset0:54 offset1:55
	s_waitcnt lgkmcnt(0)
	v_mul_f64 v[70:71], v[180:181], v[72:73]
	v_fma_f64 v[70:71], v[178:179], v[186:187], -v[70:71]
	v_mul_f64 v[178:179], v[178:179], v[72:73]
	v_add_f64 v[66:67], v[66:67], -v[70:71]
	v_fma_f64 v[178:179], v[180:181], v[186:187], v[178:179]
	v_add_f64 v[68:69], v[68:69], -v[178:179]
	ds_read2_b64 v[178:181], v1 offset0:56 offset1:57
	s_waitcnt lgkmcnt(0)
	v_mul_f64 v[70:71], v[180:181], v[72:73]
	v_fma_f64 v[70:71], v[178:179], v[186:187], -v[70:71]
	v_mul_f64 v[178:179], v[178:179], v[72:73]
	v_add_f64 v[62:63], v[62:63], -v[70:71]
	v_fma_f64 v[178:179], v[180:181], v[186:187], v[178:179]
	v_add_f64 v[64:65], v[64:65], -v[178:179]
	;; [unrolled: 8-line block ×16, first 2 shown]
	ds_read2_b64 v[178:181], v1 offset0:86 offset1:87
	s_waitcnt lgkmcnt(0)
	v_mul_f64 v[70:71], v[180:181], v[72:73]
	v_fma_f64 v[70:71], v[178:179], v[186:187], -v[70:71]
	v_mul_f64 v[178:179], v[178:179], v[72:73]
	v_add_f64 v[2:3], v[2:3], -v[70:71]
	v_fma_f64 v[178:179], v[180:181], v[186:187], v[178:179]
	v_mov_b32_e32 v70, v186
	v_mov_b32_e32 v71, v187
	v_add_f64 v[4:5], v[4:5], -v[178:179]
.LBB86_566:
	s_or_b32 exec_lo, exec_lo, s0
	v_lshl_add_u32 v178, v192, 4, v1
	s_barrier
	buffer_gl0_inv
	v_mov_b32_e32 v186, 27
	ds_write2_b64 v178, v[66:67], v[68:69] offset1:1
	s_waitcnt lgkmcnt(0)
	s_barrier
	buffer_gl0_inv
	ds_read2_b64 v[178:181], v1 offset0:54 offset1:55
	s_cmp_lt_i32 s18, 29
	s_cbranch_scc1 .LBB86_569
; %bb.567:
	v_add3_u32 v187, v188, 0, 0x1c0
	v_mov_b32_e32 v186, 27
	s_mov_b32 s1, 28
	s_inst_prefetch 0x1
	.p2align	6
.LBB86_568:                             ; =>This Inner Loop Header: Depth=1
	s_waitcnt lgkmcnt(0)
	v_cmp_gt_f64_e32 vcc_lo, 0, v[180:181]
	v_cmp_gt_f64_e64 s0, 0, v[178:179]
	ds_read2_b64 v[193:196], v187 offset1:1
	v_xor_b32_e32 v198, 0x80000000, v179
	v_xor_b32_e32 v200, 0x80000000, v181
	v_mov_b32_e32 v197, v178
	v_mov_b32_e32 v199, v180
	v_add_nc_u32_e32 v187, 16, v187
	s_waitcnt lgkmcnt(0)
	v_xor_b32_e32 v202, 0x80000000, v196
	v_cndmask_b32_e64 v198, v179, v198, s0
	v_cndmask_b32_e32 v200, v181, v200, vcc_lo
	v_cmp_gt_f64_e32 vcc_lo, 0, v[195:196]
	v_cmp_gt_f64_e64 s0, 0, v[193:194]
	v_mov_b32_e32 v201, v195
	v_add_f64 v[197:198], v[197:198], v[199:200]
	v_xor_b32_e32 v200, 0x80000000, v194
	v_mov_b32_e32 v199, v193
	v_cndmask_b32_e32 v202, v196, v202, vcc_lo
	v_cndmask_b32_e64 v200, v194, v200, s0
	v_add_f64 v[199:200], v[199:200], v[201:202]
	v_cmp_lt_f64_e32 vcc_lo, v[197:198], v[199:200]
	v_cndmask_b32_e32 v179, v179, v194, vcc_lo
	v_cndmask_b32_e32 v178, v178, v193, vcc_lo
	;; [unrolled: 1-line block ×4, first 2 shown]
	v_cndmask_b32_e64 v186, v186, s1, vcc_lo
	s_add_i32 s1, s1, 1
	s_cmp_lg_u32 s18, s1
	s_cbranch_scc1 .LBB86_568
.LBB86_569:
	s_inst_prefetch 0x2
	s_waitcnt lgkmcnt(0)
	v_cmp_eq_f64_e32 vcc_lo, 0, v[178:179]
	v_cmp_eq_f64_e64 s0, 0, v[180:181]
	s_and_b32 s0, vcc_lo, s0
	s_and_saveexec_b32 s1, s0
	s_xor_b32 s0, exec_lo, s1
; %bb.570:
	v_cmp_ne_u32_e32 vcc_lo, 0, v191
	v_cndmask_b32_e32 v191, 28, v191, vcc_lo
; %bb.571:
	s_andn2_saveexec_b32 s0, s0
	s_cbranch_execz .LBB86_577
; %bb.572:
	v_cmp_ngt_f64_e64 s1, |v[178:179]|, |v[180:181]|
	s_and_saveexec_b32 s2, s1
	s_xor_b32 s1, exec_lo, s2
	s_cbranch_execz .LBB86_574
; %bb.573:
	v_div_scale_f64 v[193:194], null, v[180:181], v[180:181], v[178:179]
	v_div_scale_f64 v[199:200], vcc_lo, v[178:179], v[180:181], v[178:179]
	v_rcp_f64_e32 v[195:196], v[193:194]
	v_fma_f64 v[197:198], -v[193:194], v[195:196], 1.0
	v_fma_f64 v[195:196], v[195:196], v[197:198], v[195:196]
	v_fma_f64 v[197:198], -v[193:194], v[195:196], 1.0
	v_fma_f64 v[195:196], v[195:196], v[197:198], v[195:196]
	v_mul_f64 v[197:198], v[199:200], v[195:196]
	v_fma_f64 v[193:194], -v[193:194], v[197:198], v[199:200]
	v_div_fmas_f64 v[193:194], v[193:194], v[195:196], v[197:198]
	v_div_fixup_f64 v[193:194], v[193:194], v[180:181], v[178:179]
	v_fma_f64 v[178:179], v[178:179], v[193:194], v[180:181]
	v_div_scale_f64 v[180:181], null, v[178:179], v[178:179], 1.0
	v_rcp_f64_e32 v[195:196], v[180:181]
	v_fma_f64 v[197:198], -v[180:181], v[195:196], 1.0
	v_fma_f64 v[195:196], v[195:196], v[197:198], v[195:196]
	v_fma_f64 v[197:198], -v[180:181], v[195:196], 1.0
	v_fma_f64 v[195:196], v[195:196], v[197:198], v[195:196]
	v_div_scale_f64 v[197:198], vcc_lo, 1.0, v[178:179], 1.0
	v_mul_f64 v[199:200], v[197:198], v[195:196]
	v_fma_f64 v[180:181], -v[180:181], v[199:200], v[197:198]
	v_div_fmas_f64 v[180:181], v[180:181], v[195:196], v[199:200]
	v_div_fixup_f64 v[180:181], v[180:181], v[178:179], 1.0
	v_mul_f64 v[178:179], v[193:194], v[180:181]
	v_xor_b32_e32 v181, 0x80000000, v181
.LBB86_574:
	s_andn2_saveexec_b32 s1, s1
	s_cbranch_execz .LBB86_576
; %bb.575:
	v_div_scale_f64 v[193:194], null, v[178:179], v[178:179], v[180:181]
	v_div_scale_f64 v[199:200], vcc_lo, v[180:181], v[178:179], v[180:181]
	v_rcp_f64_e32 v[195:196], v[193:194]
	v_fma_f64 v[197:198], -v[193:194], v[195:196], 1.0
	v_fma_f64 v[195:196], v[195:196], v[197:198], v[195:196]
	v_fma_f64 v[197:198], -v[193:194], v[195:196], 1.0
	v_fma_f64 v[195:196], v[195:196], v[197:198], v[195:196]
	v_mul_f64 v[197:198], v[199:200], v[195:196]
	v_fma_f64 v[193:194], -v[193:194], v[197:198], v[199:200]
	v_div_fmas_f64 v[193:194], v[193:194], v[195:196], v[197:198]
	v_div_fixup_f64 v[193:194], v[193:194], v[178:179], v[180:181]
	v_fma_f64 v[178:179], v[180:181], v[193:194], v[178:179]
	v_div_scale_f64 v[180:181], null, v[178:179], v[178:179], 1.0
	v_rcp_f64_e32 v[195:196], v[180:181]
	v_fma_f64 v[197:198], -v[180:181], v[195:196], 1.0
	v_fma_f64 v[195:196], v[195:196], v[197:198], v[195:196]
	v_fma_f64 v[197:198], -v[180:181], v[195:196], 1.0
	v_fma_f64 v[195:196], v[195:196], v[197:198], v[195:196]
	v_div_scale_f64 v[197:198], vcc_lo, 1.0, v[178:179], 1.0
	v_mul_f64 v[199:200], v[197:198], v[195:196]
	v_fma_f64 v[180:181], -v[180:181], v[199:200], v[197:198]
	v_div_fmas_f64 v[180:181], v[180:181], v[195:196], v[199:200]
	v_div_fixup_f64 v[178:179], v[180:181], v[178:179], 1.0
	v_mul_f64 v[180:181], v[193:194], -v[178:179]
.LBB86_576:
	s_or_b32 exec_lo, exec_lo, s1
.LBB86_577:
	s_or_b32 exec_lo, exec_lo, s0
	s_mov_b32 s0, exec_lo
	v_cmpx_ne_u32_e64 v192, v186
	s_xor_b32 s0, exec_lo, s0
	s_cbranch_execz .LBB86_583
; %bb.578:
	s_mov_b32 s1, exec_lo
	v_cmpx_eq_u32_e32 27, v192
	s_cbranch_execz .LBB86_582
; %bb.579:
	v_cmp_ne_u32_e32 vcc_lo, 27, v186
	s_xor_b32 s2, s16, -1
	s_and_b32 s3, s2, vcc_lo
	s_and_saveexec_b32 s2, s3
	s_cbranch_execz .LBB86_581
; %bb.580:
	v_ashrrev_i32_e32 v187, 31, v186
	v_lshlrev_b64 v[192:193], 2, v[186:187]
	v_add_co_u32 v192, vcc_lo, v184, v192
	v_add_co_ci_u32_e64 v193, null, v185, v193, vcc_lo
	s_clause 0x1
	global_load_dword v0, v[192:193], off
	global_load_dword v187, v[184:185], off offset:108
	s_waitcnt vmcnt(1)
	global_store_dword v[184:185], v0, off offset:108
	s_waitcnt vmcnt(0)
	global_store_dword v[192:193], v187, off
.LBB86_581:
	s_or_b32 exec_lo, exec_lo, s2
	v_mov_b32_e32 v192, v186
	v_mov_b32_e32 v0, v186
.LBB86_582:
	s_or_b32 exec_lo, exec_lo, s1
.LBB86_583:
	s_andn2_saveexec_b32 s0, s0
	s_cbranch_execz .LBB86_585
; %bb.584:
	v_mov_b32_e32 v192, 27
	ds_write2_b64 v1, v[62:63], v[64:65] offset0:56 offset1:57
	ds_write2_b64 v1, v[58:59], v[60:61] offset0:58 offset1:59
	;; [unrolled: 1-line block ×16, first 2 shown]
.LBB86_585:
	s_or_b32 exec_lo, exec_lo, s0
	s_mov_b32 s0, exec_lo
	s_waitcnt lgkmcnt(0)
	s_waitcnt_vscnt null, 0x0
	s_barrier
	buffer_gl0_inv
	v_cmpx_lt_i32_e32 27, v192
	s_cbranch_execz .LBB86_587
; %bb.586:
	v_mul_f64 v[186:187], v[178:179], v[68:69]
	v_mul_f64 v[68:69], v[180:181], v[68:69]
	v_fma_f64 v[186:187], v[180:181], v[66:67], v[186:187]
	v_fma_f64 v[66:67], v[178:179], v[66:67], -v[68:69]
	ds_read2_b64 v[178:181], v1 offset0:56 offset1:57
	s_waitcnt lgkmcnt(0)
	v_mul_f64 v[68:69], v[180:181], v[186:187]
	v_fma_f64 v[68:69], v[178:179], v[66:67], -v[68:69]
	v_mul_f64 v[178:179], v[178:179], v[186:187]
	v_add_f64 v[62:63], v[62:63], -v[68:69]
	v_fma_f64 v[178:179], v[180:181], v[66:67], v[178:179]
	v_add_f64 v[64:65], v[64:65], -v[178:179]
	ds_read2_b64 v[178:181], v1 offset0:58 offset1:59
	s_waitcnt lgkmcnt(0)
	v_mul_f64 v[68:69], v[180:181], v[186:187]
	v_fma_f64 v[68:69], v[178:179], v[66:67], -v[68:69]
	v_mul_f64 v[178:179], v[178:179], v[186:187]
	v_add_f64 v[58:59], v[58:59], -v[68:69]
	v_fma_f64 v[178:179], v[180:181], v[66:67], v[178:179]
	v_add_f64 v[60:61], v[60:61], -v[178:179]
	;; [unrolled: 8-line block ×15, first 2 shown]
	ds_read2_b64 v[178:181], v1 offset0:86 offset1:87
	s_waitcnt lgkmcnt(0)
	v_mul_f64 v[68:69], v[180:181], v[186:187]
	v_fma_f64 v[68:69], v[178:179], v[66:67], -v[68:69]
	v_mul_f64 v[178:179], v[178:179], v[186:187]
	v_add_f64 v[2:3], v[2:3], -v[68:69]
	v_fma_f64 v[178:179], v[180:181], v[66:67], v[178:179]
	v_mov_b32_e32 v68, v186
	v_mov_b32_e32 v69, v187
	v_add_f64 v[4:5], v[4:5], -v[178:179]
.LBB86_587:
	s_or_b32 exec_lo, exec_lo, s0
	v_lshl_add_u32 v178, v192, 4, v1
	s_barrier
	buffer_gl0_inv
	v_mov_b32_e32 v186, 28
	ds_write2_b64 v178, v[62:63], v[64:65] offset1:1
	s_waitcnt lgkmcnt(0)
	s_barrier
	buffer_gl0_inv
	ds_read2_b64 v[178:181], v1 offset0:56 offset1:57
	s_cmp_lt_i32 s18, 30
	s_cbranch_scc1 .LBB86_590
; %bb.588:
	v_add3_u32 v187, v188, 0, 0x1d0
	v_mov_b32_e32 v186, 28
	s_mov_b32 s1, 29
	s_inst_prefetch 0x1
	.p2align	6
.LBB86_589:                             ; =>This Inner Loop Header: Depth=1
	s_waitcnt lgkmcnt(0)
	v_cmp_gt_f64_e32 vcc_lo, 0, v[180:181]
	v_cmp_gt_f64_e64 s0, 0, v[178:179]
	ds_read2_b64 v[193:196], v187 offset1:1
	v_xor_b32_e32 v198, 0x80000000, v179
	v_xor_b32_e32 v200, 0x80000000, v181
	v_mov_b32_e32 v197, v178
	v_mov_b32_e32 v199, v180
	v_add_nc_u32_e32 v187, 16, v187
	s_waitcnt lgkmcnt(0)
	v_xor_b32_e32 v202, 0x80000000, v196
	v_cndmask_b32_e64 v198, v179, v198, s0
	v_cndmask_b32_e32 v200, v181, v200, vcc_lo
	v_cmp_gt_f64_e32 vcc_lo, 0, v[195:196]
	v_cmp_gt_f64_e64 s0, 0, v[193:194]
	v_mov_b32_e32 v201, v195
	v_add_f64 v[197:198], v[197:198], v[199:200]
	v_xor_b32_e32 v200, 0x80000000, v194
	v_mov_b32_e32 v199, v193
	v_cndmask_b32_e32 v202, v196, v202, vcc_lo
	v_cndmask_b32_e64 v200, v194, v200, s0
	v_add_f64 v[199:200], v[199:200], v[201:202]
	v_cmp_lt_f64_e32 vcc_lo, v[197:198], v[199:200]
	v_cndmask_b32_e32 v179, v179, v194, vcc_lo
	v_cndmask_b32_e32 v178, v178, v193, vcc_lo
	;; [unrolled: 1-line block ×4, first 2 shown]
	v_cndmask_b32_e64 v186, v186, s1, vcc_lo
	s_add_i32 s1, s1, 1
	s_cmp_lg_u32 s18, s1
	s_cbranch_scc1 .LBB86_589
.LBB86_590:
	s_inst_prefetch 0x2
	s_waitcnt lgkmcnt(0)
	v_cmp_eq_f64_e32 vcc_lo, 0, v[178:179]
	v_cmp_eq_f64_e64 s0, 0, v[180:181]
	s_and_b32 s0, vcc_lo, s0
	s_and_saveexec_b32 s1, s0
	s_xor_b32 s0, exec_lo, s1
; %bb.591:
	v_cmp_ne_u32_e32 vcc_lo, 0, v191
	v_cndmask_b32_e32 v191, 29, v191, vcc_lo
; %bb.592:
	s_andn2_saveexec_b32 s0, s0
	s_cbranch_execz .LBB86_598
; %bb.593:
	v_cmp_ngt_f64_e64 s1, |v[178:179]|, |v[180:181]|
	s_and_saveexec_b32 s2, s1
	s_xor_b32 s1, exec_lo, s2
	s_cbranch_execz .LBB86_595
; %bb.594:
	v_div_scale_f64 v[193:194], null, v[180:181], v[180:181], v[178:179]
	v_div_scale_f64 v[199:200], vcc_lo, v[178:179], v[180:181], v[178:179]
	v_rcp_f64_e32 v[195:196], v[193:194]
	v_fma_f64 v[197:198], -v[193:194], v[195:196], 1.0
	v_fma_f64 v[195:196], v[195:196], v[197:198], v[195:196]
	v_fma_f64 v[197:198], -v[193:194], v[195:196], 1.0
	v_fma_f64 v[195:196], v[195:196], v[197:198], v[195:196]
	v_mul_f64 v[197:198], v[199:200], v[195:196]
	v_fma_f64 v[193:194], -v[193:194], v[197:198], v[199:200]
	v_div_fmas_f64 v[193:194], v[193:194], v[195:196], v[197:198]
	v_div_fixup_f64 v[193:194], v[193:194], v[180:181], v[178:179]
	v_fma_f64 v[178:179], v[178:179], v[193:194], v[180:181]
	v_div_scale_f64 v[180:181], null, v[178:179], v[178:179], 1.0
	v_rcp_f64_e32 v[195:196], v[180:181]
	v_fma_f64 v[197:198], -v[180:181], v[195:196], 1.0
	v_fma_f64 v[195:196], v[195:196], v[197:198], v[195:196]
	v_fma_f64 v[197:198], -v[180:181], v[195:196], 1.0
	v_fma_f64 v[195:196], v[195:196], v[197:198], v[195:196]
	v_div_scale_f64 v[197:198], vcc_lo, 1.0, v[178:179], 1.0
	v_mul_f64 v[199:200], v[197:198], v[195:196]
	v_fma_f64 v[180:181], -v[180:181], v[199:200], v[197:198]
	v_div_fmas_f64 v[180:181], v[180:181], v[195:196], v[199:200]
	v_div_fixup_f64 v[180:181], v[180:181], v[178:179], 1.0
	v_mul_f64 v[178:179], v[193:194], v[180:181]
	v_xor_b32_e32 v181, 0x80000000, v181
.LBB86_595:
	s_andn2_saveexec_b32 s1, s1
	s_cbranch_execz .LBB86_597
; %bb.596:
	v_div_scale_f64 v[193:194], null, v[178:179], v[178:179], v[180:181]
	v_div_scale_f64 v[199:200], vcc_lo, v[180:181], v[178:179], v[180:181]
	v_rcp_f64_e32 v[195:196], v[193:194]
	v_fma_f64 v[197:198], -v[193:194], v[195:196], 1.0
	v_fma_f64 v[195:196], v[195:196], v[197:198], v[195:196]
	v_fma_f64 v[197:198], -v[193:194], v[195:196], 1.0
	v_fma_f64 v[195:196], v[195:196], v[197:198], v[195:196]
	v_mul_f64 v[197:198], v[199:200], v[195:196]
	v_fma_f64 v[193:194], -v[193:194], v[197:198], v[199:200]
	v_div_fmas_f64 v[193:194], v[193:194], v[195:196], v[197:198]
	v_div_fixup_f64 v[193:194], v[193:194], v[178:179], v[180:181]
	v_fma_f64 v[178:179], v[180:181], v[193:194], v[178:179]
	v_div_scale_f64 v[180:181], null, v[178:179], v[178:179], 1.0
	v_rcp_f64_e32 v[195:196], v[180:181]
	v_fma_f64 v[197:198], -v[180:181], v[195:196], 1.0
	v_fma_f64 v[195:196], v[195:196], v[197:198], v[195:196]
	v_fma_f64 v[197:198], -v[180:181], v[195:196], 1.0
	v_fma_f64 v[195:196], v[195:196], v[197:198], v[195:196]
	v_div_scale_f64 v[197:198], vcc_lo, 1.0, v[178:179], 1.0
	v_mul_f64 v[199:200], v[197:198], v[195:196]
	v_fma_f64 v[180:181], -v[180:181], v[199:200], v[197:198]
	v_div_fmas_f64 v[180:181], v[180:181], v[195:196], v[199:200]
	v_div_fixup_f64 v[178:179], v[180:181], v[178:179], 1.0
	v_mul_f64 v[180:181], v[193:194], -v[178:179]
.LBB86_597:
	s_or_b32 exec_lo, exec_lo, s1
.LBB86_598:
	s_or_b32 exec_lo, exec_lo, s0
	s_mov_b32 s0, exec_lo
	v_cmpx_ne_u32_e64 v192, v186
	s_xor_b32 s0, exec_lo, s0
	s_cbranch_execz .LBB86_604
; %bb.599:
	s_mov_b32 s1, exec_lo
	v_cmpx_eq_u32_e32 28, v192
	s_cbranch_execz .LBB86_603
; %bb.600:
	v_cmp_ne_u32_e32 vcc_lo, 28, v186
	s_xor_b32 s2, s16, -1
	s_and_b32 s3, s2, vcc_lo
	s_and_saveexec_b32 s2, s3
	s_cbranch_execz .LBB86_602
; %bb.601:
	v_ashrrev_i32_e32 v187, 31, v186
	v_lshlrev_b64 v[192:193], 2, v[186:187]
	v_add_co_u32 v192, vcc_lo, v184, v192
	v_add_co_ci_u32_e64 v193, null, v185, v193, vcc_lo
	s_clause 0x1
	global_load_dword v0, v[192:193], off
	global_load_dword v187, v[184:185], off offset:112
	s_waitcnt vmcnt(1)
	global_store_dword v[184:185], v0, off offset:112
	s_waitcnt vmcnt(0)
	global_store_dword v[192:193], v187, off
.LBB86_602:
	s_or_b32 exec_lo, exec_lo, s2
	v_mov_b32_e32 v192, v186
	v_mov_b32_e32 v0, v186
.LBB86_603:
	s_or_b32 exec_lo, exec_lo, s1
.LBB86_604:
	s_andn2_saveexec_b32 s0, s0
	s_cbranch_execz .LBB86_606
; %bb.605:
	v_mov_b32_e32 v192, 28
	ds_write2_b64 v1, v[58:59], v[60:61] offset0:58 offset1:59
	ds_write2_b64 v1, v[54:55], v[56:57] offset0:60 offset1:61
	;; [unrolled: 1-line block ×15, first 2 shown]
.LBB86_606:
	s_or_b32 exec_lo, exec_lo, s0
	s_mov_b32 s0, exec_lo
	s_waitcnt lgkmcnt(0)
	s_waitcnt_vscnt null, 0x0
	s_barrier
	buffer_gl0_inv
	v_cmpx_lt_i32_e32 28, v192
	s_cbranch_execz .LBB86_608
; %bb.607:
	v_mul_f64 v[186:187], v[178:179], v[64:65]
	v_mul_f64 v[64:65], v[180:181], v[64:65]
	v_fma_f64 v[186:187], v[180:181], v[62:63], v[186:187]
	v_fma_f64 v[62:63], v[178:179], v[62:63], -v[64:65]
	ds_read2_b64 v[178:181], v1 offset0:58 offset1:59
	s_waitcnt lgkmcnt(0)
	v_mul_f64 v[64:65], v[180:181], v[186:187]
	v_fma_f64 v[64:65], v[178:179], v[62:63], -v[64:65]
	v_mul_f64 v[178:179], v[178:179], v[186:187]
	v_add_f64 v[58:59], v[58:59], -v[64:65]
	v_fma_f64 v[178:179], v[180:181], v[62:63], v[178:179]
	v_add_f64 v[60:61], v[60:61], -v[178:179]
	ds_read2_b64 v[178:181], v1 offset0:60 offset1:61
	s_waitcnt lgkmcnt(0)
	v_mul_f64 v[64:65], v[180:181], v[186:187]
	v_fma_f64 v[64:65], v[178:179], v[62:63], -v[64:65]
	v_mul_f64 v[178:179], v[178:179], v[186:187]
	v_add_f64 v[54:55], v[54:55], -v[64:65]
	v_fma_f64 v[178:179], v[180:181], v[62:63], v[178:179]
	v_add_f64 v[56:57], v[56:57], -v[178:179]
	;; [unrolled: 8-line block ×14, first 2 shown]
	ds_read2_b64 v[178:181], v1 offset0:86 offset1:87
	s_waitcnt lgkmcnt(0)
	v_mul_f64 v[64:65], v[180:181], v[186:187]
	v_fma_f64 v[64:65], v[178:179], v[62:63], -v[64:65]
	v_mul_f64 v[178:179], v[178:179], v[186:187]
	v_add_f64 v[2:3], v[2:3], -v[64:65]
	v_fma_f64 v[178:179], v[180:181], v[62:63], v[178:179]
	v_mov_b32_e32 v64, v186
	v_mov_b32_e32 v65, v187
	v_add_f64 v[4:5], v[4:5], -v[178:179]
.LBB86_608:
	s_or_b32 exec_lo, exec_lo, s0
	v_lshl_add_u32 v178, v192, 4, v1
	s_barrier
	buffer_gl0_inv
	v_mov_b32_e32 v186, 29
	ds_write2_b64 v178, v[58:59], v[60:61] offset1:1
	s_waitcnt lgkmcnt(0)
	s_barrier
	buffer_gl0_inv
	ds_read2_b64 v[178:181], v1 offset0:58 offset1:59
	s_cmp_lt_i32 s18, 31
	s_cbranch_scc1 .LBB86_611
; %bb.609:
	v_add3_u32 v187, v188, 0, 0x1e0
	v_mov_b32_e32 v186, 29
	s_mov_b32 s1, 30
	s_inst_prefetch 0x1
	.p2align	6
.LBB86_610:                             ; =>This Inner Loop Header: Depth=1
	s_waitcnt lgkmcnt(0)
	v_cmp_gt_f64_e32 vcc_lo, 0, v[180:181]
	v_cmp_gt_f64_e64 s0, 0, v[178:179]
	ds_read2_b64 v[193:196], v187 offset1:1
	v_xor_b32_e32 v198, 0x80000000, v179
	v_xor_b32_e32 v200, 0x80000000, v181
	v_mov_b32_e32 v197, v178
	v_mov_b32_e32 v199, v180
	v_add_nc_u32_e32 v187, 16, v187
	s_waitcnt lgkmcnt(0)
	v_xor_b32_e32 v202, 0x80000000, v196
	v_cndmask_b32_e64 v198, v179, v198, s0
	v_cndmask_b32_e32 v200, v181, v200, vcc_lo
	v_cmp_gt_f64_e32 vcc_lo, 0, v[195:196]
	v_cmp_gt_f64_e64 s0, 0, v[193:194]
	v_mov_b32_e32 v201, v195
	v_add_f64 v[197:198], v[197:198], v[199:200]
	v_xor_b32_e32 v200, 0x80000000, v194
	v_mov_b32_e32 v199, v193
	v_cndmask_b32_e32 v202, v196, v202, vcc_lo
	v_cndmask_b32_e64 v200, v194, v200, s0
	v_add_f64 v[199:200], v[199:200], v[201:202]
	v_cmp_lt_f64_e32 vcc_lo, v[197:198], v[199:200]
	v_cndmask_b32_e32 v179, v179, v194, vcc_lo
	v_cndmask_b32_e32 v178, v178, v193, vcc_lo
	;; [unrolled: 1-line block ×4, first 2 shown]
	v_cndmask_b32_e64 v186, v186, s1, vcc_lo
	s_add_i32 s1, s1, 1
	s_cmp_lg_u32 s18, s1
	s_cbranch_scc1 .LBB86_610
.LBB86_611:
	s_inst_prefetch 0x2
	s_waitcnt lgkmcnt(0)
	v_cmp_eq_f64_e32 vcc_lo, 0, v[178:179]
	v_cmp_eq_f64_e64 s0, 0, v[180:181]
	s_and_b32 s0, vcc_lo, s0
	s_and_saveexec_b32 s1, s0
	s_xor_b32 s0, exec_lo, s1
; %bb.612:
	v_cmp_ne_u32_e32 vcc_lo, 0, v191
	v_cndmask_b32_e32 v191, 30, v191, vcc_lo
; %bb.613:
	s_andn2_saveexec_b32 s0, s0
	s_cbranch_execz .LBB86_619
; %bb.614:
	v_cmp_ngt_f64_e64 s1, |v[178:179]|, |v[180:181]|
	s_and_saveexec_b32 s2, s1
	s_xor_b32 s1, exec_lo, s2
	s_cbranch_execz .LBB86_616
; %bb.615:
	v_div_scale_f64 v[193:194], null, v[180:181], v[180:181], v[178:179]
	v_div_scale_f64 v[199:200], vcc_lo, v[178:179], v[180:181], v[178:179]
	v_rcp_f64_e32 v[195:196], v[193:194]
	v_fma_f64 v[197:198], -v[193:194], v[195:196], 1.0
	v_fma_f64 v[195:196], v[195:196], v[197:198], v[195:196]
	v_fma_f64 v[197:198], -v[193:194], v[195:196], 1.0
	v_fma_f64 v[195:196], v[195:196], v[197:198], v[195:196]
	v_mul_f64 v[197:198], v[199:200], v[195:196]
	v_fma_f64 v[193:194], -v[193:194], v[197:198], v[199:200]
	v_div_fmas_f64 v[193:194], v[193:194], v[195:196], v[197:198]
	v_div_fixup_f64 v[193:194], v[193:194], v[180:181], v[178:179]
	v_fma_f64 v[178:179], v[178:179], v[193:194], v[180:181]
	v_div_scale_f64 v[180:181], null, v[178:179], v[178:179], 1.0
	v_rcp_f64_e32 v[195:196], v[180:181]
	v_fma_f64 v[197:198], -v[180:181], v[195:196], 1.0
	v_fma_f64 v[195:196], v[195:196], v[197:198], v[195:196]
	v_fma_f64 v[197:198], -v[180:181], v[195:196], 1.0
	v_fma_f64 v[195:196], v[195:196], v[197:198], v[195:196]
	v_div_scale_f64 v[197:198], vcc_lo, 1.0, v[178:179], 1.0
	v_mul_f64 v[199:200], v[197:198], v[195:196]
	v_fma_f64 v[180:181], -v[180:181], v[199:200], v[197:198]
	v_div_fmas_f64 v[180:181], v[180:181], v[195:196], v[199:200]
	v_div_fixup_f64 v[180:181], v[180:181], v[178:179], 1.0
	v_mul_f64 v[178:179], v[193:194], v[180:181]
	v_xor_b32_e32 v181, 0x80000000, v181
.LBB86_616:
	s_andn2_saveexec_b32 s1, s1
	s_cbranch_execz .LBB86_618
; %bb.617:
	v_div_scale_f64 v[193:194], null, v[178:179], v[178:179], v[180:181]
	v_div_scale_f64 v[199:200], vcc_lo, v[180:181], v[178:179], v[180:181]
	v_rcp_f64_e32 v[195:196], v[193:194]
	v_fma_f64 v[197:198], -v[193:194], v[195:196], 1.0
	v_fma_f64 v[195:196], v[195:196], v[197:198], v[195:196]
	v_fma_f64 v[197:198], -v[193:194], v[195:196], 1.0
	v_fma_f64 v[195:196], v[195:196], v[197:198], v[195:196]
	v_mul_f64 v[197:198], v[199:200], v[195:196]
	v_fma_f64 v[193:194], -v[193:194], v[197:198], v[199:200]
	v_div_fmas_f64 v[193:194], v[193:194], v[195:196], v[197:198]
	v_div_fixup_f64 v[193:194], v[193:194], v[178:179], v[180:181]
	v_fma_f64 v[178:179], v[180:181], v[193:194], v[178:179]
	v_div_scale_f64 v[180:181], null, v[178:179], v[178:179], 1.0
	v_rcp_f64_e32 v[195:196], v[180:181]
	v_fma_f64 v[197:198], -v[180:181], v[195:196], 1.0
	v_fma_f64 v[195:196], v[195:196], v[197:198], v[195:196]
	v_fma_f64 v[197:198], -v[180:181], v[195:196], 1.0
	v_fma_f64 v[195:196], v[195:196], v[197:198], v[195:196]
	v_div_scale_f64 v[197:198], vcc_lo, 1.0, v[178:179], 1.0
	v_mul_f64 v[199:200], v[197:198], v[195:196]
	v_fma_f64 v[180:181], -v[180:181], v[199:200], v[197:198]
	v_div_fmas_f64 v[180:181], v[180:181], v[195:196], v[199:200]
	v_div_fixup_f64 v[178:179], v[180:181], v[178:179], 1.0
	v_mul_f64 v[180:181], v[193:194], -v[178:179]
.LBB86_618:
	s_or_b32 exec_lo, exec_lo, s1
.LBB86_619:
	s_or_b32 exec_lo, exec_lo, s0
	s_mov_b32 s0, exec_lo
	v_cmpx_ne_u32_e64 v192, v186
	s_xor_b32 s0, exec_lo, s0
	s_cbranch_execz .LBB86_625
; %bb.620:
	s_mov_b32 s1, exec_lo
	v_cmpx_eq_u32_e32 29, v192
	s_cbranch_execz .LBB86_624
; %bb.621:
	v_cmp_ne_u32_e32 vcc_lo, 29, v186
	s_xor_b32 s2, s16, -1
	s_and_b32 s3, s2, vcc_lo
	s_and_saveexec_b32 s2, s3
	s_cbranch_execz .LBB86_623
; %bb.622:
	v_ashrrev_i32_e32 v187, 31, v186
	v_lshlrev_b64 v[192:193], 2, v[186:187]
	v_add_co_u32 v192, vcc_lo, v184, v192
	v_add_co_ci_u32_e64 v193, null, v185, v193, vcc_lo
	s_clause 0x1
	global_load_dword v0, v[192:193], off
	global_load_dword v187, v[184:185], off offset:116
	s_waitcnt vmcnt(1)
	global_store_dword v[184:185], v0, off offset:116
	s_waitcnt vmcnt(0)
	global_store_dword v[192:193], v187, off
.LBB86_623:
	s_or_b32 exec_lo, exec_lo, s2
	v_mov_b32_e32 v192, v186
	v_mov_b32_e32 v0, v186
.LBB86_624:
	s_or_b32 exec_lo, exec_lo, s1
.LBB86_625:
	s_andn2_saveexec_b32 s0, s0
	s_cbranch_execz .LBB86_627
; %bb.626:
	v_mov_b32_e32 v192, 29
	ds_write2_b64 v1, v[54:55], v[56:57] offset0:60 offset1:61
	ds_write2_b64 v1, v[50:51], v[52:53] offset0:62 offset1:63
	;; [unrolled: 1-line block ×14, first 2 shown]
.LBB86_627:
	s_or_b32 exec_lo, exec_lo, s0
	s_mov_b32 s0, exec_lo
	s_waitcnt lgkmcnt(0)
	s_waitcnt_vscnt null, 0x0
	s_barrier
	buffer_gl0_inv
	v_cmpx_lt_i32_e32 29, v192
	s_cbranch_execz .LBB86_629
; %bb.628:
	v_mul_f64 v[186:187], v[178:179], v[60:61]
	v_mul_f64 v[60:61], v[180:181], v[60:61]
	v_fma_f64 v[186:187], v[180:181], v[58:59], v[186:187]
	v_fma_f64 v[58:59], v[178:179], v[58:59], -v[60:61]
	ds_read2_b64 v[178:181], v1 offset0:60 offset1:61
	s_waitcnt lgkmcnt(0)
	v_mul_f64 v[60:61], v[180:181], v[186:187]
	v_fma_f64 v[60:61], v[178:179], v[58:59], -v[60:61]
	v_mul_f64 v[178:179], v[178:179], v[186:187]
	v_add_f64 v[54:55], v[54:55], -v[60:61]
	v_fma_f64 v[178:179], v[180:181], v[58:59], v[178:179]
	v_add_f64 v[56:57], v[56:57], -v[178:179]
	ds_read2_b64 v[178:181], v1 offset0:62 offset1:63
	s_waitcnt lgkmcnt(0)
	v_mul_f64 v[60:61], v[180:181], v[186:187]
	v_fma_f64 v[60:61], v[178:179], v[58:59], -v[60:61]
	v_mul_f64 v[178:179], v[178:179], v[186:187]
	v_add_f64 v[50:51], v[50:51], -v[60:61]
	v_fma_f64 v[178:179], v[180:181], v[58:59], v[178:179]
	v_add_f64 v[52:53], v[52:53], -v[178:179]
	;; [unrolled: 8-line block ×13, first 2 shown]
	ds_read2_b64 v[178:181], v1 offset0:86 offset1:87
	s_waitcnt lgkmcnt(0)
	v_mul_f64 v[60:61], v[180:181], v[186:187]
	v_fma_f64 v[60:61], v[178:179], v[58:59], -v[60:61]
	v_mul_f64 v[178:179], v[178:179], v[186:187]
	v_add_f64 v[2:3], v[2:3], -v[60:61]
	v_fma_f64 v[178:179], v[180:181], v[58:59], v[178:179]
	v_mov_b32_e32 v60, v186
	v_mov_b32_e32 v61, v187
	v_add_f64 v[4:5], v[4:5], -v[178:179]
.LBB86_629:
	s_or_b32 exec_lo, exec_lo, s0
	v_lshl_add_u32 v178, v192, 4, v1
	s_barrier
	buffer_gl0_inv
	v_mov_b32_e32 v186, 30
	ds_write2_b64 v178, v[54:55], v[56:57] offset1:1
	s_waitcnt lgkmcnt(0)
	s_barrier
	buffer_gl0_inv
	ds_read2_b64 v[178:181], v1 offset0:60 offset1:61
	s_cmp_lt_i32 s18, 32
	s_cbranch_scc1 .LBB86_632
; %bb.630:
	v_add3_u32 v187, v188, 0, 0x1f0
	v_mov_b32_e32 v186, 30
	s_mov_b32 s1, 31
	s_inst_prefetch 0x1
	.p2align	6
.LBB86_631:                             ; =>This Inner Loop Header: Depth=1
	s_waitcnt lgkmcnt(0)
	v_cmp_gt_f64_e32 vcc_lo, 0, v[180:181]
	v_cmp_gt_f64_e64 s0, 0, v[178:179]
	ds_read2_b64 v[193:196], v187 offset1:1
	v_xor_b32_e32 v198, 0x80000000, v179
	v_xor_b32_e32 v200, 0x80000000, v181
	v_mov_b32_e32 v197, v178
	v_mov_b32_e32 v199, v180
	v_add_nc_u32_e32 v187, 16, v187
	s_waitcnt lgkmcnt(0)
	v_xor_b32_e32 v202, 0x80000000, v196
	v_cndmask_b32_e64 v198, v179, v198, s0
	v_cndmask_b32_e32 v200, v181, v200, vcc_lo
	v_cmp_gt_f64_e32 vcc_lo, 0, v[195:196]
	v_cmp_gt_f64_e64 s0, 0, v[193:194]
	v_mov_b32_e32 v201, v195
	v_add_f64 v[197:198], v[197:198], v[199:200]
	v_xor_b32_e32 v200, 0x80000000, v194
	v_mov_b32_e32 v199, v193
	v_cndmask_b32_e32 v202, v196, v202, vcc_lo
	v_cndmask_b32_e64 v200, v194, v200, s0
	v_add_f64 v[199:200], v[199:200], v[201:202]
	v_cmp_lt_f64_e32 vcc_lo, v[197:198], v[199:200]
	v_cndmask_b32_e32 v179, v179, v194, vcc_lo
	v_cndmask_b32_e32 v178, v178, v193, vcc_lo
	;; [unrolled: 1-line block ×4, first 2 shown]
	v_cndmask_b32_e64 v186, v186, s1, vcc_lo
	s_add_i32 s1, s1, 1
	s_cmp_lg_u32 s18, s1
	s_cbranch_scc1 .LBB86_631
.LBB86_632:
	s_inst_prefetch 0x2
	s_waitcnt lgkmcnt(0)
	v_cmp_eq_f64_e32 vcc_lo, 0, v[178:179]
	v_cmp_eq_f64_e64 s0, 0, v[180:181]
	s_and_b32 s0, vcc_lo, s0
	s_and_saveexec_b32 s1, s0
	s_xor_b32 s0, exec_lo, s1
; %bb.633:
	v_cmp_ne_u32_e32 vcc_lo, 0, v191
	v_cndmask_b32_e32 v191, 31, v191, vcc_lo
; %bb.634:
	s_andn2_saveexec_b32 s0, s0
	s_cbranch_execz .LBB86_640
; %bb.635:
	v_cmp_ngt_f64_e64 s1, |v[178:179]|, |v[180:181]|
	s_and_saveexec_b32 s2, s1
	s_xor_b32 s1, exec_lo, s2
	s_cbranch_execz .LBB86_637
; %bb.636:
	v_div_scale_f64 v[193:194], null, v[180:181], v[180:181], v[178:179]
	v_div_scale_f64 v[199:200], vcc_lo, v[178:179], v[180:181], v[178:179]
	v_rcp_f64_e32 v[195:196], v[193:194]
	v_fma_f64 v[197:198], -v[193:194], v[195:196], 1.0
	v_fma_f64 v[195:196], v[195:196], v[197:198], v[195:196]
	v_fma_f64 v[197:198], -v[193:194], v[195:196], 1.0
	v_fma_f64 v[195:196], v[195:196], v[197:198], v[195:196]
	v_mul_f64 v[197:198], v[199:200], v[195:196]
	v_fma_f64 v[193:194], -v[193:194], v[197:198], v[199:200]
	v_div_fmas_f64 v[193:194], v[193:194], v[195:196], v[197:198]
	v_div_fixup_f64 v[193:194], v[193:194], v[180:181], v[178:179]
	v_fma_f64 v[178:179], v[178:179], v[193:194], v[180:181]
	v_div_scale_f64 v[180:181], null, v[178:179], v[178:179], 1.0
	v_rcp_f64_e32 v[195:196], v[180:181]
	v_fma_f64 v[197:198], -v[180:181], v[195:196], 1.0
	v_fma_f64 v[195:196], v[195:196], v[197:198], v[195:196]
	v_fma_f64 v[197:198], -v[180:181], v[195:196], 1.0
	v_fma_f64 v[195:196], v[195:196], v[197:198], v[195:196]
	v_div_scale_f64 v[197:198], vcc_lo, 1.0, v[178:179], 1.0
	v_mul_f64 v[199:200], v[197:198], v[195:196]
	v_fma_f64 v[180:181], -v[180:181], v[199:200], v[197:198]
	v_div_fmas_f64 v[180:181], v[180:181], v[195:196], v[199:200]
	v_div_fixup_f64 v[180:181], v[180:181], v[178:179], 1.0
	v_mul_f64 v[178:179], v[193:194], v[180:181]
	v_xor_b32_e32 v181, 0x80000000, v181
.LBB86_637:
	s_andn2_saveexec_b32 s1, s1
	s_cbranch_execz .LBB86_639
; %bb.638:
	v_div_scale_f64 v[193:194], null, v[178:179], v[178:179], v[180:181]
	v_div_scale_f64 v[199:200], vcc_lo, v[180:181], v[178:179], v[180:181]
	v_rcp_f64_e32 v[195:196], v[193:194]
	v_fma_f64 v[197:198], -v[193:194], v[195:196], 1.0
	v_fma_f64 v[195:196], v[195:196], v[197:198], v[195:196]
	v_fma_f64 v[197:198], -v[193:194], v[195:196], 1.0
	v_fma_f64 v[195:196], v[195:196], v[197:198], v[195:196]
	v_mul_f64 v[197:198], v[199:200], v[195:196]
	v_fma_f64 v[193:194], -v[193:194], v[197:198], v[199:200]
	v_div_fmas_f64 v[193:194], v[193:194], v[195:196], v[197:198]
	v_div_fixup_f64 v[193:194], v[193:194], v[178:179], v[180:181]
	v_fma_f64 v[178:179], v[180:181], v[193:194], v[178:179]
	v_div_scale_f64 v[180:181], null, v[178:179], v[178:179], 1.0
	v_rcp_f64_e32 v[195:196], v[180:181]
	v_fma_f64 v[197:198], -v[180:181], v[195:196], 1.0
	v_fma_f64 v[195:196], v[195:196], v[197:198], v[195:196]
	v_fma_f64 v[197:198], -v[180:181], v[195:196], 1.0
	v_fma_f64 v[195:196], v[195:196], v[197:198], v[195:196]
	v_div_scale_f64 v[197:198], vcc_lo, 1.0, v[178:179], 1.0
	v_mul_f64 v[199:200], v[197:198], v[195:196]
	v_fma_f64 v[180:181], -v[180:181], v[199:200], v[197:198]
	v_div_fmas_f64 v[180:181], v[180:181], v[195:196], v[199:200]
	v_div_fixup_f64 v[178:179], v[180:181], v[178:179], 1.0
	v_mul_f64 v[180:181], v[193:194], -v[178:179]
.LBB86_639:
	s_or_b32 exec_lo, exec_lo, s1
.LBB86_640:
	s_or_b32 exec_lo, exec_lo, s0
	s_mov_b32 s0, exec_lo
	v_cmpx_ne_u32_e64 v192, v186
	s_xor_b32 s0, exec_lo, s0
	s_cbranch_execz .LBB86_646
; %bb.641:
	s_mov_b32 s1, exec_lo
	v_cmpx_eq_u32_e32 30, v192
	s_cbranch_execz .LBB86_645
; %bb.642:
	v_cmp_ne_u32_e32 vcc_lo, 30, v186
	s_xor_b32 s2, s16, -1
	s_and_b32 s3, s2, vcc_lo
	s_and_saveexec_b32 s2, s3
	s_cbranch_execz .LBB86_644
; %bb.643:
	v_ashrrev_i32_e32 v187, 31, v186
	v_lshlrev_b64 v[192:193], 2, v[186:187]
	v_add_co_u32 v192, vcc_lo, v184, v192
	v_add_co_ci_u32_e64 v193, null, v185, v193, vcc_lo
	s_clause 0x1
	global_load_dword v0, v[192:193], off
	global_load_dword v187, v[184:185], off offset:120
	s_waitcnt vmcnt(1)
	global_store_dword v[184:185], v0, off offset:120
	s_waitcnt vmcnt(0)
	global_store_dword v[192:193], v187, off
.LBB86_644:
	s_or_b32 exec_lo, exec_lo, s2
	v_mov_b32_e32 v192, v186
	v_mov_b32_e32 v0, v186
.LBB86_645:
	s_or_b32 exec_lo, exec_lo, s1
.LBB86_646:
	s_andn2_saveexec_b32 s0, s0
	s_cbranch_execz .LBB86_648
; %bb.647:
	v_mov_b32_e32 v192, 30
	ds_write2_b64 v1, v[50:51], v[52:53] offset0:62 offset1:63
	ds_write2_b64 v1, v[46:47], v[48:49] offset0:64 offset1:65
	;; [unrolled: 1-line block ×13, first 2 shown]
.LBB86_648:
	s_or_b32 exec_lo, exec_lo, s0
	s_mov_b32 s0, exec_lo
	s_waitcnt lgkmcnt(0)
	s_waitcnt_vscnt null, 0x0
	s_barrier
	buffer_gl0_inv
	v_cmpx_lt_i32_e32 30, v192
	s_cbranch_execz .LBB86_650
; %bb.649:
	v_mul_f64 v[186:187], v[178:179], v[56:57]
	v_mul_f64 v[56:57], v[180:181], v[56:57]
	v_fma_f64 v[186:187], v[180:181], v[54:55], v[186:187]
	v_fma_f64 v[54:55], v[178:179], v[54:55], -v[56:57]
	ds_read2_b64 v[178:181], v1 offset0:62 offset1:63
	s_waitcnt lgkmcnt(0)
	v_mul_f64 v[56:57], v[180:181], v[186:187]
	v_fma_f64 v[56:57], v[178:179], v[54:55], -v[56:57]
	v_mul_f64 v[178:179], v[178:179], v[186:187]
	v_add_f64 v[50:51], v[50:51], -v[56:57]
	v_fma_f64 v[178:179], v[180:181], v[54:55], v[178:179]
	v_add_f64 v[52:53], v[52:53], -v[178:179]
	ds_read2_b64 v[178:181], v1 offset0:64 offset1:65
	s_waitcnt lgkmcnt(0)
	v_mul_f64 v[56:57], v[180:181], v[186:187]
	v_fma_f64 v[56:57], v[178:179], v[54:55], -v[56:57]
	v_mul_f64 v[178:179], v[178:179], v[186:187]
	v_add_f64 v[46:47], v[46:47], -v[56:57]
	v_fma_f64 v[178:179], v[180:181], v[54:55], v[178:179]
	v_add_f64 v[48:49], v[48:49], -v[178:179]
	;; [unrolled: 8-line block ×12, first 2 shown]
	ds_read2_b64 v[178:181], v1 offset0:86 offset1:87
	s_waitcnt lgkmcnt(0)
	v_mul_f64 v[56:57], v[180:181], v[186:187]
	v_fma_f64 v[56:57], v[178:179], v[54:55], -v[56:57]
	v_mul_f64 v[178:179], v[178:179], v[186:187]
	v_add_f64 v[2:3], v[2:3], -v[56:57]
	v_fma_f64 v[178:179], v[180:181], v[54:55], v[178:179]
	v_mov_b32_e32 v56, v186
	v_mov_b32_e32 v57, v187
	v_add_f64 v[4:5], v[4:5], -v[178:179]
.LBB86_650:
	s_or_b32 exec_lo, exec_lo, s0
	v_lshl_add_u32 v178, v192, 4, v1
	s_barrier
	buffer_gl0_inv
	v_mov_b32_e32 v186, 31
	ds_write2_b64 v178, v[50:51], v[52:53] offset1:1
	s_waitcnt lgkmcnt(0)
	s_barrier
	buffer_gl0_inv
	ds_read2_b64 v[178:181], v1 offset0:62 offset1:63
	s_cmp_lt_i32 s18, 33
	s_cbranch_scc1 .LBB86_653
; %bb.651:
	v_add3_u32 v187, v188, 0, 0x200
	v_mov_b32_e32 v186, 31
	s_mov_b32 s1, 32
	s_inst_prefetch 0x1
	.p2align	6
.LBB86_652:                             ; =>This Inner Loop Header: Depth=1
	s_waitcnt lgkmcnt(0)
	v_cmp_gt_f64_e32 vcc_lo, 0, v[180:181]
	v_cmp_gt_f64_e64 s0, 0, v[178:179]
	ds_read2_b64 v[193:196], v187 offset1:1
	v_xor_b32_e32 v198, 0x80000000, v179
	v_xor_b32_e32 v200, 0x80000000, v181
	v_mov_b32_e32 v197, v178
	v_mov_b32_e32 v199, v180
	v_add_nc_u32_e32 v187, 16, v187
	s_waitcnt lgkmcnt(0)
	v_xor_b32_e32 v202, 0x80000000, v196
	v_cndmask_b32_e64 v198, v179, v198, s0
	v_cndmask_b32_e32 v200, v181, v200, vcc_lo
	v_cmp_gt_f64_e32 vcc_lo, 0, v[195:196]
	v_cmp_gt_f64_e64 s0, 0, v[193:194]
	v_mov_b32_e32 v201, v195
	v_add_f64 v[197:198], v[197:198], v[199:200]
	v_xor_b32_e32 v200, 0x80000000, v194
	v_mov_b32_e32 v199, v193
	v_cndmask_b32_e32 v202, v196, v202, vcc_lo
	v_cndmask_b32_e64 v200, v194, v200, s0
	v_add_f64 v[199:200], v[199:200], v[201:202]
	v_cmp_lt_f64_e32 vcc_lo, v[197:198], v[199:200]
	v_cndmask_b32_e32 v179, v179, v194, vcc_lo
	v_cndmask_b32_e32 v178, v178, v193, vcc_lo
	v_cndmask_b32_e32 v181, v181, v196, vcc_lo
	v_cndmask_b32_e32 v180, v180, v195, vcc_lo
	v_cndmask_b32_e64 v186, v186, s1, vcc_lo
	s_add_i32 s1, s1, 1
	s_cmp_lg_u32 s18, s1
	s_cbranch_scc1 .LBB86_652
.LBB86_653:
	s_inst_prefetch 0x2
	s_waitcnt lgkmcnt(0)
	v_cmp_eq_f64_e32 vcc_lo, 0, v[178:179]
	v_cmp_eq_f64_e64 s0, 0, v[180:181]
	s_and_b32 s0, vcc_lo, s0
	s_and_saveexec_b32 s1, s0
	s_xor_b32 s0, exec_lo, s1
; %bb.654:
	v_cmp_ne_u32_e32 vcc_lo, 0, v191
	v_cndmask_b32_e32 v191, 32, v191, vcc_lo
; %bb.655:
	s_andn2_saveexec_b32 s0, s0
	s_cbranch_execz .LBB86_661
; %bb.656:
	v_cmp_ngt_f64_e64 s1, |v[178:179]|, |v[180:181]|
	s_and_saveexec_b32 s2, s1
	s_xor_b32 s1, exec_lo, s2
	s_cbranch_execz .LBB86_658
; %bb.657:
	v_div_scale_f64 v[193:194], null, v[180:181], v[180:181], v[178:179]
	v_div_scale_f64 v[199:200], vcc_lo, v[178:179], v[180:181], v[178:179]
	v_rcp_f64_e32 v[195:196], v[193:194]
	v_fma_f64 v[197:198], -v[193:194], v[195:196], 1.0
	v_fma_f64 v[195:196], v[195:196], v[197:198], v[195:196]
	v_fma_f64 v[197:198], -v[193:194], v[195:196], 1.0
	v_fma_f64 v[195:196], v[195:196], v[197:198], v[195:196]
	v_mul_f64 v[197:198], v[199:200], v[195:196]
	v_fma_f64 v[193:194], -v[193:194], v[197:198], v[199:200]
	v_div_fmas_f64 v[193:194], v[193:194], v[195:196], v[197:198]
	v_div_fixup_f64 v[193:194], v[193:194], v[180:181], v[178:179]
	v_fma_f64 v[178:179], v[178:179], v[193:194], v[180:181]
	v_div_scale_f64 v[180:181], null, v[178:179], v[178:179], 1.0
	v_rcp_f64_e32 v[195:196], v[180:181]
	v_fma_f64 v[197:198], -v[180:181], v[195:196], 1.0
	v_fma_f64 v[195:196], v[195:196], v[197:198], v[195:196]
	v_fma_f64 v[197:198], -v[180:181], v[195:196], 1.0
	v_fma_f64 v[195:196], v[195:196], v[197:198], v[195:196]
	v_div_scale_f64 v[197:198], vcc_lo, 1.0, v[178:179], 1.0
	v_mul_f64 v[199:200], v[197:198], v[195:196]
	v_fma_f64 v[180:181], -v[180:181], v[199:200], v[197:198]
	v_div_fmas_f64 v[180:181], v[180:181], v[195:196], v[199:200]
	v_div_fixup_f64 v[180:181], v[180:181], v[178:179], 1.0
	v_mul_f64 v[178:179], v[193:194], v[180:181]
	v_xor_b32_e32 v181, 0x80000000, v181
.LBB86_658:
	s_andn2_saveexec_b32 s1, s1
	s_cbranch_execz .LBB86_660
; %bb.659:
	v_div_scale_f64 v[193:194], null, v[178:179], v[178:179], v[180:181]
	v_div_scale_f64 v[199:200], vcc_lo, v[180:181], v[178:179], v[180:181]
	v_rcp_f64_e32 v[195:196], v[193:194]
	v_fma_f64 v[197:198], -v[193:194], v[195:196], 1.0
	v_fma_f64 v[195:196], v[195:196], v[197:198], v[195:196]
	v_fma_f64 v[197:198], -v[193:194], v[195:196], 1.0
	v_fma_f64 v[195:196], v[195:196], v[197:198], v[195:196]
	v_mul_f64 v[197:198], v[199:200], v[195:196]
	v_fma_f64 v[193:194], -v[193:194], v[197:198], v[199:200]
	v_div_fmas_f64 v[193:194], v[193:194], v[195:196], v[197:198]
	v_div_fixup_f64 v[193:194], v[193:194], v[178:179], v[180:181]
	v_fma_f64 v[178:179], v[180:181], v[193:194], v[178:179]
	v_div_scale_f64 v[180:181], null, v[178:179], v[178:179], 1.0
	v_rcp_f64_e32 v[195:196], v[180:181]
	v_fma_f64 v[197:198], -v[180:181], v[195:196], 1.0
	v_fma_f64 v[195:196], v[195:196], v[197:198], v[195:196]
	v_fma_f64 v[197:198], -v[180:181], v[195:196], 1.0
	v_fma_f64 v[195:196], v[195:196], v[197:198], v[195:196]
	v_div_scale_f64 v[197:198], vcc_lo, 1.0, v[178:179], 1.0
	v_mul_f64 v[199:200], v[197:198], v[195:196]
	v_fma_f64 v[180:181], -v[180:181], v[199:200], v[197:198]
	v_div_fmas_f64 v[180:181], v[180:181], v[195:196], v[199:200]
	v_div_fixup_f64 v[178:179], v[180:181], v[178:179], 1.0
	v_mul_f64 v[180:181], v[193:194], -v[178:179]
.LBB86_660:
	s_or_b32 exec_lo, exec_lo, s1
.LBB86_661:
	s_or_b32 exec_lo, exec_lo, s0
	s_mov_b32 s0, exec_lo
	v_cmpx_ne_u32_e64 v192, v186
	s_xor_b32 s0, exec_lo, s0
	s_cbranch_execz .LBB86_667
; %bb.662:
	s_mov_b32 s1, exec_lo
	v_cmpx_eq_u32_e32 31, v192
	s_cbranch_execz .LBB86_666
; %bb.663:
	v_cmp_ne_u32_e32 vcc_lo, 31, v186
	s_xor_b32 s2, s16, -1
	s_and_b32 s3, s2, vcc_lo
	s_and_saveexec_b32 s2, s3
	s_cbranch_execz .LBB86_665
; %bb.664:
	v_ashrrev_i32_e32 v187, 31, v186
	v_lshlrev_b64 v[192:193], 2, v[186:187]
	v_add_co_u32 v192, vcc_lo, v184, v192
	v_add_co_ci_u32_e64 v193, null, v185, v193, vcc_lo
	s_clause 0x1
	global_load_dword v0, v[192:193], off
	global_load_dword v187, v[184:185], off offset:124
	s_waitcnt vmcnt(1)
	global_store_dword v[184:185], v0, off offset:124
	s_waitcnt vmcnt(0)
	global_store_dword v[192:193], v187, off
.LBB86_665:
	s_or_b32 exec_lo, exec_lo, s2
	v_mov_b32_e32 v192, v186
	v_mov_b32_e32 v0, v186
.LBB86_666:
	s_or_b32 exec_lo, exec_lo, s1
.LBB86_667:
	s_andn2_saveexec_b32 s0, s0
	s_cbranch_execz .LBB86_669
; %bb.668:
	v_mov_b32_e32 v192, 31
	ds_write2_b64 v1, v[46:47], v[48:49] offset0:64 offset1:65
	ds_write2_b64 v1, v[42:43], v[44:45] offset0:66 offset1:67
	;; [unrolled: 1-line block ×12, first 2 shown]
.LBB86_669:
	s_or_b32 exec_lo, exec_lo, s0
	s_mov_b32 s0, exec_lo
	s_waitcnt lgkmcnt(0)
	s_waitcnt_vscnt null, 0x0
	s_barrier
	buffer_gl0_inv
	v_cmpx_lt_i32_e32 31, v192
	s_cbranch_execz .LBB86_671
; %bb.670:
	v_mul_f64 v[186:187], v[178:179], v[52:53]
	v_mul_f64 v[52:53], v[180:181], v[52:53]
	v_fma_f64 v[186:187], v[180:181], v[50:51], v[186:187]
	v_fma_f64 v[50:51], v[178:179], v[50:51], -v[52:53]
	ds_read2_b64 v[178:181], v1 offset0:64 offset1:65
	s_waitcnt lgkmcnt(0)
	v_mul_f64 v[52:53], v[180:181], v[186:187]
	v_fma_f64 v[52:53], v[178:179], v[50:51], -v[52:53]
	v_mul_f64 v[178:179], v[178:179], v[186:187]
	v_add_f64 v[46:47], v[46:47], -v[52:53]
	v_fma_f64 v[178:179], v[180:181], v[50:51], v[178:179]
	v_add_f64 v[48:49], v[48:49], -v[178:179]
	ds_read2_b64 v[178:181], v1 offset0:66 offset1:67
	s_waitcnt lgkmcnt(0)
	v_mul_f64 v[52:53], v[180:181], v[186:187]
	v_fma_f64 v[52:53], v[178:179], v[50:51], -v[52:53]
	v_mul_f64 v[178:179], v[178:179], v[186:187]
	v_add_f64 v[42:43], v[42:43], -v[52:53]
	v_fma_f64 v[178:179], v[180:181], v[50:51], v[178:179]
	v_add_f64 v[44:45], v[44:45], -v[178:179]
	;; [unrolled: 8-line block ×11, first 2 shown]
	ds_read2_b64 v[178:181], v1 offset0:86 offset1:87
	s_waitcnt lgkmcnt(0)
	v_mul_f64 v[52:53], v[180:181], v[186:187]
	v_fma_f64 v[52:53], v[178:179], v[50:51], -v[52:53]
	v_mul_f64 v[178:179], v[178:179], v[186:187]
	v_add_f64 v[2:3], v[2:3], -v[52:53]
	v_fma_f64 v[178:179], v[180:181], v[50:51], v[178:179]
	v_mov_b32_e32 v52, v186
	v_mov_b32_e32 v53, v187
	v_add_f64 v[4:5], v[4:5], -v[178:179]
.LBB86_671:
	s_or_b32 exec_lo, exec_lo, s0
	v_lshl_add_u32 v178, v192, 4, v1
	s_barrier
	buffer_gl0_inv
	v_mov_b32_e32 v186, 32
	ds_write2_b64 v178, v[46:47], v[48:49] offset1:1
	s_waitcnt lgkmcnt(0)
	s_barrier
	buffer_gl0_inv
	ds_read2_b64 v[178:181], v1 offset0:64 offset1:65
	s_cmp_lt_i32 s18, 34
	s_cbranch_scc1 .LBB86_674
; %bb.672:
	v_add3_u32 v187, v188, 0, 0x210
	v_mov_b32_e32 v186, 32
	s_mov_b32 s1, 33
	s_inst_prefetch 0x1
	.p2align	6
.LBB86_673:                             ; =>This Inner Loop Header: Depth=1
	s_waitcnt lgkmcnt(0)
	v_cmp_gt_f64_e32 vcc_lo, 0, v[180:181]
	v_cmp_gt_f64_e64 s0, 0, v[178:179]
	ds_read2_b64 v[193:196], v187 offset1:1
	v_xor_b32_e32 v198, 0x80000000, v179
	v_xor_b32_e32 v200, 0x80000000, v181
	v_mov_b32_e32 v197, v178
	v_mov_b32_e32 v199, v180
	v_add_nc_u32_e32 v187, 16, v187
	s_waitcnt lgkmcnt(0)
	v_xor_b32_e32 v202, 0x80000000, v196
	v_cndmask_b32_e64 v198, v179, v198, s0
	v_cndmask_b32_e32 v200, v181, v200, vcc_lo
	v_cmp_gt_f64_e32 vcc_lo, 0, v[195:196]
	v_cmp_gt_f64_e64 s0, 0, v[193:194]
	v_mov_b32_e32 v201, v195
	v_add_f64 v[197:198], v[197:198], v[199:200]
	v_xor_b32_e32 v200, 0x80000000, v194
	v_mov_b32_e32 v199, v193
	v_cndmask_b32_e32 v202, v196, v202, vcc_lo
	v_cndmask_b32_e64 v200, v194, v200, s0
	v_add_f64 v[199:200], v[199:200], v[201:202]
	v_cmp_lt_f64_e32 vcc_lo, v[197:198], v[199:200]
	v_cndmask_b32_e32 v179, v179, v194, vcc_lo
	v_cndmask_b32_e32 v178, v178, v193, vcc_lo
	;; [unrolled: 1-line block ×4, first 2 shown]
	v_cndmask_b32_e64 v186, v186, s1, vcc_lo
	s_add_i32 s1, s1, 1
	s_cmp_lg_u32 s18, s1
	s_cbranch_scc1 .LBB86_673
.LBB86_674:
	s_inst_prefetch 0x2
	s_waitcnt lgkmcnt(0)
	v_cmp_eq_f64_e32 vcc_lo, 0, v[178:179]
	v_cmp_eq_f64_e64 s0, 0, v[180:181]
	s_and_b32 s0, vcc_lo, s0
	s_and_saveexec_b32 s1, s0
	s_xor_b32 s0, exec_lo, s1
; %bb.675:
	v_cmp_ne_u32_e32 vcc_lo, 0, v191
	v_cndmask_b32_e32 v191, 33, v191, vcc_lo
; %bb.676:
	s_andn2_saveexec_b32 s0, s0
	s_cbranch_execz .LBB86_682
; %bb.677:
	v_cmp_ngt_f64_e64 s1, |v[178:179]|, |v[180:181]|
	s_and_saveexec_b32 s2, s1
	s_xor_b32 s1, exec_lo, s2
	s_cbranch_execz .LBB86_679
; %bb.678:
	v_div_scale_f64 v[193:194], null, v[180:181], v[180:181], v[178:179]
	v_div_scale_f64 v[199:200], vcc_lo, v[178:179], v[180:181], v[178:179]
	v_rcp_f64_e32 v[195:196], v[193:194]
	v_fma_f64 v[197:198], -v[193:194], v[195:196], 1.0
	v_fma_f64 v[195:196], v[195:196], v[197:198], v[195:196]
	v_fma_f64 v[197:198], -v[193:194], v[195:196], 1.0
	v_fma_f64 v[195:196], v[195:196], v[197:198], v[195:196]
	v_mul_f64 v[197:198], v[199:200], v[195:196]
	v_fma_f64 v[193:194], -v[193:194], v[197:198], v[199:200]
	v_div_fmas_f64 v[193:194], v[193:194], v[195:196], v[197:198]
	v_div_fixup_f64 v[193:194], v[193:194], v[180:181], v[178:179]
	v_fma_f64 v[178:179], v[178:179], v[193:194], v[180:181]
	v_div_scale_f64 v[180:181], null, v[178:179], v[178:179], 1.0
	v_rcp_f64_e32 v[195:196], v[180:181]
	v_fma_f64 v[197:198], -v[180:181], v[195:196], 1.0
	v_fma_f64 v[195:196], v[195:196], v[197:198], v[195:196]
	v_fma_f64 v[197:198], -v[180:181], v[195:196], 1.0
	v_fma_f64 v[195:196], v[195:196], v[197:198], v[195:196]
	v_div_scale_f64 v[197:198], vcc_lo, 1.0, v[178:179], 1.0
	v_mul_f64 v[199:200], v[197:198], v[195:196]
	v_fma_f64 v[180:181], -v[180:181], v[199:200], v[197:198]
	v_div_fmas_f64 v[180:181], v[180:181], v[195:196], v[199:200]
	v_div_fixup_f64 v[180:181], v[180:181], v[178:179], 1.0
	v_mul_f64 v[178:179], v[193:194], v[180:181]
	v_xor_b32_e32 v181, 0x80000000, v181
.LBB86_679:
	s_andn2_saveexec_b32 s1, s1
	s_cbranch_execz .LBB86_681
; %bb.680:
	v_div_scale_f64 v[193:194], null, v[178:179], v[178:179], v[180:181]
	v_div_scale_f64 v[199:200], vcc_lo, v[180:181], v[178:179], v[180:181]
	v_rcp_f64_e32 v[195:196], v[193:194]
	v_fma_f64 v[197:198], -v[193:194], v[195:196], 1.0
	v_fma_f64 v[195:196], v[195:196], v[197:198], v[195:196]
	v_fma_f64 v[197:198], -v[193:194], v[195:196], 1.0
	v_fma_f64 v[195:196], v[195:196], v[197:198], v[195:196]
	v_mul_f64 v[197:198], v[199:200], v[195:196]
	v_fma_f64 v[193:194], -v[193:194], v[197:198], v[199:200]
	v_div_fmas_f64 v[193:194], v[193:194], v[195:196], v[197:198]
	v_div_fixup_f64 v[193:194], v[193:194], v[178:179], v[180:181]
	v_fma_f64 v[178:179], v[180:181], v[193:194], v[178:179]
	v_div_scale_f64 v[180:181], null, v[178:179], v[178:179], 1.0
	v_rcp_f64_e32 v[195:196], v[180:181]
	v_fma_f64 v[197:198], -v[180:181], v[195:196], 1.0
	v_fma_f64 v[195:196], v[195:196], v[197:198], v[195:196]
	v_fma_f64 v[197:198], -v[180:181], v[195:196], 1.0
	v_fma_f64 v[195:196], v[195:196], v[197:198], v[195:196]
	v_div_scale_f64 v[197:198], vcc_lo, 1.0, v[178:179], 1.0
	v_mul_f64 v[199:200], v[197:198], v[195:196]
	v_fma_f64 v[180:181], -v[180:181], v[199:200], v[197:198]
	v_div_fmas_f64 v[180:181], v[180:181], v[195:196], v[199:200]
	v_div_fixup_f64 v[178:179], v[180:181], v[178:179], 1.0
	v_mul_f64 v[180:181], v[193:194], -v[178:179]
.LBB86_681:
	s_or_b32 exec_lo, exec_lo, s1
.LBB86_682:
	s_or_b32 exec_lo, exec_lo, s0
	s_mov_b32 s0, exec_lo
	v_cmpx_ne_u32_e64 v192, v186
	s_xor_b32 s0, exec_lo, s0
	s_cbranch_execz .LBB86_688
; %bb.683:
	s_mov_b32 s1, exec_lo
	v_cmpx_eq_u32_e32 32, v192
	s_cbranch_execz .LBB86_687
; %bb.684:
	v_cmp_ne_u32_e32 vcc_lo, 32, v186
	s_xor_b32 s2, s16, -1
	s_and_b32 s3, s2, vcc_lo
	s_and_saveexec_b32 s2, s3
	s_cbranch_execz .LBB86_686
; %bb.685:
	v_ashrrev_i32_e32 v187, 31, v186
	v_lshlrev_b64 v[192:193], 2, v[186:187]
	v_add_co_u32 v192, vcc_lo, v184, v192
	v_add_co_ci_u32_e64 v193, null, v185, v193, vcc_lo
	s_clause 0x1
	global_load_dword v0, v[192:193], off
	global_load_dword v187, v[184:185], off offset:128
	s_waitcnt vmcnt(1)
	global_store_dword v[184:185], v0, off offset:128
	s_waitcnt vmcnt(0)
	global_store_dword v[192:193], v187, off
.LBB86_686:
	s_or_b32 exec_lo, exec_lo, s2
	v_mov_b32_e32 v192, v186
	v_mov_b32_e32 v0, v186
.LBB86_687:
	s_or_b32 exec_lo, exec_lo, s1
.LBB86_688:
	s_andn2_saveexec_b32 s0, s0
	s_cbranch_execz .LBB86_690
; %bb.689:
	v_mov_b32_e32 v192, 32
	ds_write2_b64 v1, v[42:43], v[44:45] offset0:66 offset1:67
	ds_write2_b64 v1, v[38:39], v[40:41] offset0:68 offset1:69
	ds_write2_b64 v1, v[34:35], v[36:37] offset0:70 offset1:71
	ds_write2_b64 v1, v[30:31], v[32:33] offset0:72 offset1:73
	ds_write2_b64 v1, v[26:27], v[28:29] offset0:74 offset1:75
	ds_write2_b64 v1, v[22:23], v[24:25] offset0:76 offset1:77
	ds_write2_b64 v1, v[18:19], v[20:21] offset0:78 offset1:79
	ds_write2_b64 v1, v[14:15], v[16:17] offset0:80 offset1:81
	ds_write2_b64 v1, v[10:11], v[12:13] offset0:82 offset1:83
	ds_write2_b64 v1, v[6:7], v[8:9] offset0:84 offset1:85
	ds_write2_b64 v1, v[2:3], v[4:5] offset0:86 offset1:87
.LBB86_690:
	s_or_b32 exec_lo, exec_lo, s0
	s_mov_b32 s0, exec_lo
	s_waitcnt lgkmcnt(0)
	s_waitcnt_vscnt null, 0x0
	s_barrier
	buffer_gl0_inv
	v_cmpx_lt_i32_e32 32, v192
	s_cbranch_execz .LBB86_692
; %bb.691:
	v_mul_f64 v[186:187], v[178:179], v[48:49]
	v_mul_f64 v[48:49], v[180:181], v[48:49]
	v_fma_f64 v[186:187], v[180:181], v[46:47], v[186:187]
	v_fma_f64 v[46:47], v[178:179], v[46:47], -v[48:49]
	ds_read2_b64 v[178:181], v1 offset0:66 offset1:67
	s_waitcnt lgkmcnt(0)
	v_mul_f64 v[48:49], v[180:181], v[186:187]
	v_fma_f64 v[48:49], v[178:179], v[46:47], -v[48:49]
	v_mul_f64 v[178:179], v[178:179], v[186:187]
	v_add_f64 v[42:43], v[42:43], -v[48:49]
	v_fma_f64 v[178:179], v[180:181], v[46:47], v[178:179]
	v_add_f64 v[44:45], v[44:45], -v[178:179]
	ds_read2_b64 v[178:181], v1 offset0:68 offset1:69
	s_waitcnt lgkmcnt(0)
	v_mul_f64 v[48:49], v[180:181], v[186:187]
	v_fma_f64 v[48:49], v[178:179], v[46:47], -v[48:49]
	v_mul_f64 v[178:179], v[178:179], v[186:187]
	v_add_f64 v[38:39], v[38:39], -v[48:49]
	v_fma_f64 v[178:179], v[180:181], v[46:47], v[178:179]
	v_add_f64 v[40:41], v[40:41], -v[178:179]
	ds_read2_b64 v[178:181], v1 offset0:70 offset1:71
	s_waitcnt lgkmcnt(0)
	v_mul_f64 v[48:49], v[180:181], v[186:187]
	v_fma_f64 v[48:49], v[178:179], v[46:47], -v[48:49]
	v_mul_f64 v[178:179], v[178:179], v[186:187]
	v_add_f64 v[34:35], v[34:35], -v[48:49]
	v_fma_f64 v[178:179], v[180:181], v[46:47], v[178:179]
	v_add_f64 v[36:37], v[36:37], -v[178:179]
	ds_read2_b64 v[178:181], v1 offset0:72 offset1:73
	s_waitcnt lgkmcnt(0)
	v_mul_f64 v[48:49], v[180:181], v[186:187]
	v_fma_f64 v[48:49], v[178:179], v[46:47], -v[48:49]
	v_mul_f64 v[178:179], v[178:179], v[186:187]
	v_add_f64 v[30:31], v[30:31], -v[48:49]
	v_fma_f64 v[178:179], v[180:181], v[46:47], v[178:179]
	v_add_f64 v[32:33], v[32:33], -v[178:179]
	ds_read2_b64 v[178:181], v1 offset0:74 offset1:75
	s_waitcnt lgkmcnt(0)
	v_mul_f64 v[48:49], v[180:181], v[186:187]
	v_fma_f64 v[48:49], v[178:179], v[46:47], -v[48:49]
	v_mul_f64 v[178:179], v[178:179], v[186:187]
	v_add_f64 v[26:27], v[26:27], -v[48:49]
	v_fma_f64 v[178:179], v[180:181], v[46:47], v[178:179]
	v_add_f64 v[28:29], v[28:29], -v[178:179]
	ds_read2_b64 v[178:181], v1 offset0:76 offset1:77
	s_waitcnt lgkmcnt(0)
	v_mul_f64 v[48:49], v[180:181], v[186:187]
	v_fma_f64 v[48:49], v[178:179], v[46:47], -v[48:49]
	v_mul_f64 v[178:179], v[178:179], v[186:187]
	v_add_f64 v[22:23], v[22:23], -v[48:49]
	v_fma_f64 v[178:179], v[180:181], v[46:47], v[178:179]
	v_add_f64 v[24:25], v[24:25], -v[178:179]
	ds_read2_b64 v[178:181], v1 offset0:78 offset1:79
	s_waitcnt lgkmcnt(0)
	v_mul_f64 v[48:49], v[180:181], v[186:187]
	v_fma_f64 v[48:49], v[178:179], v[46:47], -v[48:49]
	v_mul_f64 v[178:179], v[178:179], v[186:187]
	v_add_f64 v[18:19], v[18:19], -v[48:49]
	v_fma_f64 v[178:179], v[180:181], v[46:47], v[178:179]
	v_add_f64 v[20:21], v[20:21], -v[178:179]
	ds_read2_b64 v[178:181], v1 offset0:80 offset1:81
	s_waitcnt lgkmcnt(0)
	v_mul_f64 v[48:49], v[180:181], v[186:187]
	v_fma_f64 v[48:49], v[178:179], v[46:47], -v[48:49]
	v_mul_f64 v[178:179], v[178:179], v[186:187]
	v_add_f64 v[14:15], v[14:15], -v[48:49]
	v_fma_f64 v[178:179], v[180:181], v[46:47], v[178:179]
	v_add_f64 v[16:17], v[16:17], -v[178:179]
	ds_read2_b64 v[178:181], v1 offset0:82 offset1:83
	s_waitcnt lgkmcnt(0)
	v_mul_f64 v[48:49], v[180:181], v[186:187]
	v_fma_f64 v[48:49], v[178:179], v[46:47], -v[48:49]
	v_mul_f64 v[178:179], v[178:179], v[186:187]
	v_add_f64 v[10:11], v[10:11], -v[48:49]
	v_fma_f64 v[178:179], v[180:181], v[46:47], v[178:179]
	v_add_f64 v[12:13], v[12:13], -v[178:179]
	ds_read2_b64 v[178:181], v1 offset0:84 offset1:85
	s_waitcnt lgkmcnt(0)
	v_mul_f64 v[48:49], v[180:181], v[186:187]
	v_fma_f64 v[48:49], v[178:179], v[46:47], -v[48:49]
	v_mul_f64 v[178:179], v[178:179], v[186:187]
	v_add_f64 v[6:7], v[6:7], -v[48:49]
	v_fma_f64 v[178:179], v[180:181], v[46:47], v[178:179]
	v_add_f64 v[8:9], v[8:9], -v[178:179]
	ds_read2_b64 v[178:181], v1 offset0:86 offset1:87
	s_waitcnt lgkmcnt(0)
	v_mul_f64 v[48:49], v[180:181], v[186:187]
	v_fma_f64 v[48:49], v[178:179], v[46:47], -v[48:49]
	v_mul_f64 v[178:179], v[178:179], v[186:187]
	v_add_f64 v[2:3], v[2:3], -v[48:49]
	v_fma_f64 v[178:179], v[180:181], v[46:47], v[178:179]
	v_mov_b32_e32 v48, v186
	v_mov_b32_e32 v49, v187
	v_add_f64 v[4:5], v[4:5], -v[178:179]
.LBB86_692:
	s_or_b32 exec_lo, exec_lo, s0
	v_lshl_add_u32 v178, v192, 4, v1
	s_barrier
	buffer_gl0_inv
	v_mov_b32_e32 v186, 33
	ds_write2_b64 v178, v[42:43], v[44:45] offset1:1
	s_waitcnt lgkmcnt(0)
	s_barrier
	buffer_gl0_inv
	ds_read2_b64 v[178:181], v1 offset0:66 offset1:67
	s_cmp_lt_i32 s18, 35
	s_cbranch_scc1 .LBB86_695
; %bb.693:
	v_add3_u32 v187, v188, 0, 0x220
	v_mov_b32_e32 v186, 33
	s_mov_b32 s1, 34
	s_inst_prefetch 0x1
	.p2align	6
.LBB86_694:                             ; =>This Inner Loop Header: Depth=1
	s_waitcnt lgkmcnt(0)
	v_cmp_gt_f64_e32 vcc_lo, 0, v[180:181]
	v_cmp_gt_f64_e64 s0, 0, v[178:179]
	ds_read2_b64 v[193:196], v187 offset1:1
	v_xor_b32_e32 v198, 0x80000000, v179
	v_xor_b32_e32 v200, 0x80000000, v181
	v_mov_b32_e32 v197, v178
	v_mov_b32_e32 v199, v180
	v_add_nc_u32_e32 v187, 16, v187
	s_waitcnt lgkmcnt(0)
	v_xor_b32_e32 v202, 0x80000000, v196
	v_cndmask_b32_e64 v198, v179, v198, s0
	v_cndmask_b32_e32 v200, v181, v200, vcc_lo
	v_cmp_gt_f64_e32 vcc_lo, 0, v[195:196]
	v_cmp_gt_f64_e64 s0, 0, v[193:194]
	v_mov_b32_e32 v201, v195
	v_add_f64 v[197:198], v[197:198], v[199:200]
	v_xor_b32_e32 v200, 0x80000000, v194
	v_mov_b32_e32 v199, v193
	v_cndmask_b32_e32 v202, v196, v202, vcc_lo
	v_cndmask_b32_e64 v200, v194, v200, s0
	v_add_f64 v[199:200], v[199:200], v[201:202]
	v_cmp_lt_f64_e32 vcc_lo, v[197:198], v[199:200]
	v_cndmask_b32_e32 v179, v179, v194, vcc_lo
	v_cndmask_b32_e32 v178, v178, v193, vcc_lo
	;; [unrolled: 1-line block ×4, first 2 shown]
	v_cndmask_b32_e64 v186, v186, s1, vcc_lo
	s_add_i32 s1, s1, 1
	s_cmp_lg_u32 s18, s1
	s_cbranch_scc1 .LBB86_694
.LBB86_695:
	s_inst_prefetch 0x2
	s_waitcnt lgkmcnt(0)
	v_cmp_eq_f64_e32 vcc_lo, 0, v[178:179]
	v_cmp_eq_f64_e64 s0, 0, v[180:181]
	s_and_b32 s0, vcc_lo, s0
	s_and_saveexec_b32 s1, s0
	s_xor_b32 s0, exec_lo, s1
; %bb.696:
	v_cmp_ne_u32_e32 vcc_lo, 0, v191
	v_cndmask_b32_e32 v191, 34, v191, vcc_lo
; %bb.697:
	s_andn2_saveexec_b32 s0, s0
	s_cbranch_execz .LBB86_703
; %bb.698:
	v_cmp_ngt_f64_e64 s1, |v[178:179]|, |v[180:181]|
	s_and_saveexec_b32 s2, s1
	s_xor_b32 s1, exec_lo, s2
	s_cbranch_execz .LBB86_700
; %bb.699:
	v_div_scale_f64 v[193:194], null, v[180:181], v[180:181], v[178:179]
	v_div_scale_f64 v[199:200], vcc_lo, v[178:179], v[180:181], v[178:179]
	v_rcp_f64_e32 v[195:196], v[193:194]
	v_fma_f64 v[197:198], -v[193:194], v[195:196], 1.0
	v_fma_f64 v[195:196], v[195:196], v[197:198], v[195:196]
	v_fma_f64 v[197:198], -v[193:194], v[195:196], 1.0
	v_fma_f64 v[195:196], v[195:196], v[197:198], v[195:196]
	v_mul_f64 v[197:198], v[199:200], v[195:196]
	v_fma_f64 v[193:194], -v[193:194], v[197:198], v[199:200]
	v_div_fmas_f64 v[193:194], v[193:194], v[195:196], v[197:198]
	v_div_fixup_f64 v[193:194], v[193:194], v[180:181], v[178:179]
	v_fma_f64 v[178:179], v[178:179], v[193:194], v[180:181]
	v_div_scale_f64 v[180:181], null, v[178:179], v[178:179], 1.0
	v_rcp_f64_e32 v[195:196], v[180:181]
	v_fma_f64 v[197:198], -v[180:181], v[195:196], 1.0
	v_fma_f64 v[195:196], v[195:196], v[197:198], v[195:196]
	v_fma_f64 v[197:198], -v[180:181], v[195:196], 1.0
	v_fma_f64 v[195:196], v[195:196], v[197:198], v[195:196]
	v_div_scale_f64 v[197:198], vcc_lo, 1.0, v[178:179], 1.0
	v_mul_f64 v[199:200], v[197:198], v[195:196]
	v_fma_f64 v[180:181], -v[180:181], v[199:200], v[197:198]
	v_div_fmas_f64 v[180:181], v[180:181], v[195:196], v[199:200]
	v_div_fixup_f64 v[180:181], v[180:181], v[178:179], 1.0
	v_mul_f64 v[178:179], v[193:194], v[180:181]
	v_xor_b32_e32 v181, 0x80000000, v181
.LBB86_700:
	s_andn2_saveexec_b32 s1, s1
	s_cbranch_execz .LBB86_702
; %bb.701:
	v_div_scale_f64 v[193:194], null, v[178:179], v[178:179], v[180:181]
	v_div_scale_f64 v[199:200], vcc_lo, v[180:181], v[178:179], v[180:181]
	v_rcp_f64_e32 v[195:196], v[193:194]
	v_fma_f64 v[197:198], -v[193:194], v[195:196], 1.0
	v_fma_f64 v[195:196], v[195:196], v[197:198], v[195:196]
	v_fma_f64 v[197:198], -v[193:194], v[195:196], 1.0
	v_fma_f64 v[195:196], v[195:196], v[197:198], v[195:196]
	v_mul_f64 v[197:198], v[199:200], v[195:196]
	v_fma_f64 v[193:194], -v[193:194], v[197:198], v[199:200]
	v_div_fmas_f64 v[193:194], v[193:194], v[195:196], v[197:198]
	v_div_fixup_f64 v[193:194], v[193:194], v[178:179], v[180:181]
	v_fma_f64 v[178:179], v[180:181], v[193:194], v[178:179]
	v_div_scale_f64 v[180:181], null, v[178:179], v[178:179], 1.0
	v_rcp_f64_e32 v[195:196], v[180:181]
	v_fma_f64 v[197:198], -v[180:181], v[195:196], 1.0
	v_fma_f64 v[195:196], v[195:196], v[197:198], v[195:196]
	v_fma_f64 v[197:198], -v[180:181], v[195:196], 1.0
	v_fma_f64 v[195:196], v[195:196], v[197:198], v[195:196]
	v_div_scale_f64 v[197:198], vcc_lo, 1.0, v[178:179], 1.0
	v_mul_f64 v[199:200], v[197:198], v[195:196]
	v_fma_f64 v[180:181], -v[180:181], v[199:200], v[197:198]
	v_div_fmas_f64 v[180:181], v[180:181], v[195:196], v[199:200]
	v_div_fixup_f64 v[178:179], v[180:181], v[178:179], 1.0
	v_mul_f64 v[180:181], v[193:194], -v[178:179]
.LBB86_702:
	s_or_b32 exec_lo, exec_lo, s1
.LBB86_703:
	s_or_b32 exec_lo, exec_lo, s0
	s_mov_b32 s0, exec_lo
	v_cmpx_ne_u32_e64 v192, v186
	s_xor_b32 s0, exec_lo, s0
	s_cbranch_execz .LBB86_709
; %bb.704:
	s_mov_b32 s1, exec_lo
	v_cmpx_eq_u32_e32 33, v192
	s_cbranch_execz .LBB86_708
; %bb.705:
	v_cmp_ne_u32_e32 vcc_lo, 33, v186
	s_xor_b32 s2, s16, -1
	s_and_b32 s3, s2, vcc_lo
	s_and_saveexec_b32 s2, s3
	s_cbranch_execz .LBB86_707
; %bb.706:
	v_ashrrev_i32_e32 v187, 31, v186
	v_lshlrev_b64 v[192:193], 2, v[186:187]
	v_add_co_u32 v192, vcc_lo, v184, v192
	v_add_co_ci_u32_e64 v193, null, v185, v193, vcc_lo
	s_clause 0x1
	global_load_dword v0, v[192:193], off
	global_load_dword v187, v[184:185], off offset:132
	s_waitcnt vmcnt(1)
	global_store_dword v[184:185], v0, off offset:132
	s_waitcnt vmcnt(0)
	global_store_dword v[192:193], v187, off
.LBB86_707:
	s_or_b32 exec_lo, exec_lo, s2
	v_mov_b32_e32 v192, v186
	v_mov_b32_e32 v0, v186
.LBB86_708:
	s_or_b32 exec_lo, exec_lo, s1
.LBB86_709:
	s_andn2_saveexec_b32 s0, s0
	s_cbranch_execz .LBB86_711
; %bb.710:
	v_mov_b32_e32 v192, 33
	ds_write2_b64 v1, v[38:39], v[40:41] offset0:68 offset1:69
	ds_write2_b64 v1, v[34:35], v[36:37] offset0:70 offset1:71
	;; [unrolled: 1-line block ×10, first 2 shown]
.LBB86_711:
	s_or_b32 exec_lo, exec_lo, s0
	s_mov_b32 s0, exec_lo
	s_waitcnt lgkmcnt(0)
	s_waitcnt_vscnt null, 0x0
	s_barrier
	buffer_gl0_inv
	v_cmpx_lt_i32_e32 33, v192
	s_cbranch_execz .LBB86_713
; %bb.712:
	v_mul_f64 v[186:187], v[178:179], v[44:45]
	v_mul_f64 v[44:45], v[180:181], v[44:45]
	v_fma_f64 v[186:187], v[180:181], v[42:43], v[186:187]
	v_fma_f64 v[42:43], v[178:179], v[42:43], -v[44:45]
	ds_read2_b64 v[178:181], v1 offset0:68 offset1:69
	s_waitcnt lgkmcnt(0)
	v_mul_f64 v[44:45], v[180:181], v[186:187]
	v_fma_f64 v[44:45], v[178:179], v[42:43], -v[44:45]
	v_mul_f64 v[178:179], v[178:179], v[186:187]
	v_add_f64 v[38:39], v[38:39], -v[44:45]
	v_fma_f64 v[178:179], v[180:181], v[42:43], v[178:179]
	v_add_f64 v[40:41], v[40:41], -v[178:179]
	ds_read2_b64 v[178:181], v1 offset0:70 offset1:71
	s_waitcnt lgkmcnt(0)
	v_mul_f64 v[44:45], v[180:181], v[186:187]
	v_fma_f64 v[44:45], v[178:179], v[42:43], -v[44:45]
	v_mul_f64 v[178:179], v[178:179], v[186:187]
	v_add_f64 v[34:35], v[34:35], -v[44:45]
	v_fma_f64 v[178:179], v[180:181], v[42:43], v[178:179]
	v_add_f64 v[36:37], v[36:37], -v[178:179]
	;; [unrolled: 8-line block ×9, first 2 shown]
	ds_read2_b64 v[178:181], v1 offset0:86 offset1:87
	s_waitcnt lgkmcnt(0)
	v_mul_f64 v[44:45], v[180:181], v[186:187]
	v_fma_f64 v[44:45], v[178:179], v[42:43], -v[44:45]
	v_mul_f64 v[178:179], v[178:179], v[186:187]
	v_add_f64 v[2:3], v[2:3], -v[44:45]
	v_fma_f64 v[178:179], v[180:181], v[42:43], v[178:179]
	v_mov_b32_e32 v44, v186
	v_mov_b32_e32 v45, v187
	v_add_f64 v[4:5], v[4:5], -v[178:179]
.LBB86_713:
	s_or_b32 exec_lo, exec_lo, s0
	v_lshl_add_u32 v178, v192, 4, v1
	s_barrier
	buffer_gl0_inv
	v_mov_b32_e32 v186, 34
	ds_write2_b64 v178, v[38:39], v[40:41] offset1:1
	s_waitcnt lgkmcnt(0)
	s_barrier
	buffer_gl0_inv
	ds_read2_b64 v[178:181], v1 offset0:68 offset1:69
	s_cmp_lt_i32 s18, 36
	s_cbranch_scc1 .LBB86_716
; %bb.714:
	v_add3_u32 v187, v188, 0, 0x230
	v_mov_b32_e32 v186, 34
	s_mov_b32 s1, 35
	s_inst_prefetch 0x1
	.p2align	6
.LBB86_715:                             ; =>This Inner Loop Header: Depth=1
	s_waitcnt lgkmcnt(0)
	v_cmp_gt_f64_e32 vcc_lo, 0, v[180:181]
	v_cmp_gt_f64_e64 s0, 0, v[178:179]
	ds_read2_b64 v[193:196], v187 offset1:1
	v_xor_b32_e32 v198, 0x80000000, v179
	v_xor_b32_e32 v200, 0x80000000, v181
	v_mov_b32_e32 v197, v178
	v_mov_b32_e32 v199, v180
	v_add_nc_u32_e32 v187, 16, v187
	s_waitcnt lgkmcnt(0)
	v_xor_b32_e32 v202, 0x80000000, v196
	v_cndmask_b32_e64 v198, v179, v198, s0
	v_cndmask_b32_e32 v200, v181, v200, vcc_lo
	v_cmp_gt_f64_e32 vcc_lo, 0, v[195:196]
	v_cmp_gt_f64_e64 s0, 0, v[193:194]
	v_mov_b32_e32 v201, v195
	v_add_f64 v[197:198], v[197:198], v[199:200]
	v_xor_b32_e32 v200, 0x80000000, v194
	v_mov_b32_e32 v199, v193
	v_cndmask_b32_e32 v202, v196, v202, vcc_lo
	v_cndmask_b32_e64 v200, v194, v200, s0
	v_add_f64 v[199:200], v[199:200], v[201:202]
	v_cmp_lt_f64_e32 vcc_lo, v[197:198], v[199:200]
	v_cndmask_b32_e32 v179, v179, v194, vcc_lo
	v_cndmask_b32_e32 v178, v178, v193, vcc_lo
	;; [unrolled: 1-line block ×4, first 2 shown]
	v_cndmask_b32_e64 v186, v186, s1, vcc_lo
	s_add_i32 s1, s1, 1
	s_cmp_lg_u32 s18, s1
	s_cbranch_scc1 .LBB86_715
.LBB86_716:
	s_inst_prefetch 0x2
	s_waitcnt lgkmcnt(0)
	v_cmp_eq_f64_e32 vcc_lo, 0, v[178:179]
	v_cmp_eq_f64_e64 s0, 0, v[180:181]
	s_and_b32 s0, vcc_lo, s0
	s_and_saveexec_b32 s1, s0
	s_xor_b32 s0, exec_lo, s1
; %bb.717:
	v_cmp_ne_u32_e32 vcc_lo, 0, v191
	v_cndmask_b32_e32 v191, 35, v191, vcc_lo
; %bb.718:
	s_andn2_saveexec_b32 s0, s0
	s_cbranch_execz .LBB86_724
; %bb.719:
	v_cmp_ngt_f64_e64 s1, |v[178:179]|, |v[180:181]|
	s_and_saveexec_b32 s2, s1
	s_xor_b32 s1, exec_lo, s2
	s_cbranch_execz .LBB86_721
; %bb.720:
	v_div_scale_f64 v[193:194], null, v[180:181], v[180:181], v[178:179]
	v_div_scale_f64 v[199:200], vcc_lo, v[178:179], v[180:181], v[178:179]
	v_rcp_f64_e32 v[195:196], v[193:194]
	v_fma_f64 v[197:198], -v[193:194], v[195:196], 1.0
	v_fma_f64 v[195:196], v[195:196], v[197:198], v[195:196]
	v_fma_f64 v[197:198], -v[193:194], v[195:196], 1.0
	v_fma_f64 v[195:196], v[195:196], v[197:198], v[195:196]
	v_mul_f64 v[197:198], v[199:200], v[195:196]
	v_fma_f64 v[193:194], -v[193:194], v[197:198], v[199:200]
	v_div_fmas_f64 v[193:194], v[193:194], v[195:196], v[197:198]
	v_div_fixup_f64 v[193:194], v[193:194], v[180:181], v[178:179]
	v_fma_f64 v[178:179], v[178:179], v[193:194], v[180:181]
	v_div_scale_f64 v[180:181], null, v[178:179], v[178:179], 1.0
	v_rcp_f64_e32 v[195:196], v[180:181]
	v_fma_f64 v[197:198], -v[180:181], v[195:196], 1.0
	v_fma_f64 v[195:196], v[195:196], v[197:198], v[195:196]
	v_fma_f64 v[197:198], -v[180:181], v[195:196], 1.0
	v_fma_f64 v[195:196], v[195:196], v[197:198], v[195:196]
	v_div_scale_f64 v[197:198], vcc_lo, 1.0, v[178:179], 1.0
	v_mul_f64 v[199:200], v[197:198], v[195:196]
	v_fma_f64 v[180:181], -v[180:181], v[199:200], v[197:198]
	v_div_fmas_f64 v[180:181], v[180:181], v[195:196], v[199:200]
	v_div_fixup_f64 v[180:181], v[180:181], v[178:179], 1.0
	v_mul_f64 v[178:179], v[193:194], v[180:181]
	v_xor_b32_e32 v181, 0x80000000, v181
.LBB86_721:
	s_andn2_saveexec_b32 s1, s1
	s_cbranch_execz .LBB86_723
; %bb.722:
	v_div_scale_f64 v[193:194], null, v[178:179], v[178:179], v[180:181]
	v_div_scale_f64 v[199:200], vcc_lo, v[180:181], v[178:179], v[180:181]
	v_rcp_f64_e32 v[195:196], v[193:194]
	v_fma_f64 v[197:198], -v[193:194], v[195:196], 1.0
	v_fma_f64 v[195:196], v[195:196], v[197:198], v[195:196]
	v_fma_f64 v[197:198], -v[193:194], v[195:196], 1.0
	v_fma_f64 v[195:196], v[195:196], v[197:198], v[195:196]
	v_mul_f64 v[197:198], v[199:200], v[195:196]
	v_fma_f64 v[193:194], -v[193:194], v[197:198], v[199:200]
	v_div_fmas_f64 v[193:194], v[193:194], v[195:196], v[197:198]
	v_div_fixup_f64 v[193:194], v[193:194], v[178:179], v[180:181]
	v_fma_f64 v[178:179], v[180:181], v[193:194], v[178:179]
	v_div_scale_f64 v[180:181], null, v[178:179], v[178:179], 1.0
	v_rcp_f64_e32 v[195:196], v[180:181]
	v_fma_f64 v[197:198], -v[180:181], v[195:196], 1.0
	v_fma_f64 v[195:196], v[195:196], v[197:198], v[195:196]
	v_fma_f64 v[197:198], -v[180:181], v[195:196], 1.0
	v_fma_f64 v[195:196], v[195:196], v[197:198], v[195:196]
	v_div_scale_f64 v[197:198], vcc_lo, 1.0, v[178:179], 1.0
	v_mul_f64 v[199:200], v[197:198], v[195:196]
	v_fma_f64 v[180:181], -v[180:181], v[199:200], v[197:198]
	v_div_fmas_f64 v[180:181], v[180:181], v[195:196], v[199:200]
	v_div_fixup_f64 v[178:179], v[180:181], v[178:179], 1.0
	v_mul_f64 v[180:181], v[193:194], -v[178:179]
.LBB86_723:
	s_or_b32 exec_lo, exec_lo, s1
.LBB86_724:
	s_or_b32 exec_lo, exec_lo, s0
	s_mov_b32 s0, exec_lo
	v_cmpx_ne_u32_e64 v192, v186
	s_xor_b32 s0, exec_lo, s0
	s_cbranch_execz .LBB86_730
; %bb.725:
	s_mov_b32 s1, exec_lo
	v_cmpx_eq_u32_e32 34, v192
	s_cbranch_execz .LBB86_729
; %bb.726:
	v_cmp_ne_u32_e32 vcc_lo, 34, v186
	s_xor_b32 s2, s16, -1
	s_and_b32 s3, s2, vcc_lo
	s_and_saveexec_b32 s2, s3
	s_cbranch_execz .LBB86_728
; %bb.727:
	v_ashrrev_i32_e32 v187, 31, v186
	v_lshlrev_b64 v[192:193], 2, v[186:187]
	v_add_co_u32 v192, vcc_lo, v184, v192
	v_add_co_ci_u32_e64 v193, null, v185, v193, vcc_lo
	s_clause 0x1
	global_load_dword v0, v[192:193], off
	global_load_dword v187, v[184:185], off offset:136
	s_waitcnt vmcnt(1)
	global_store_dword v[184:185], v0, off offset:136
	s_waitcnt vmcnt(0)
	global_store_dword v[192:193], v187, off
.LBB86_728:
	s_or_b32 exec_lo, exec_lo, s2
	v_mov_b32_e32 v192, v186
	v_mov_b32_e32 v0, v186
.LBB86_729:
	s_or_b32 exec_lo, exec_lo, s1
.LBB86_730:
	s_andn2_saveexec_b32 s0, s0
	s_cbranch_execz .LBB86_732
; %bb.731:
	v_mov_b32_e32 v192, 34
	ds_write2_b64 v1, v[34:35], v[36:37] offset0:70 offset1:71
	ds_write2_b64 v1, v[30:31], v[32:33] offset0:72 offset1:73
	;; [unrolled: 1-line block ×9, first 2 shown]
.LBB86_732:
	s_or_b32 exec_lo, exec_lo, s0
	s_mov_b32 s0, exec_lo
	s_waitcnt lgkmcnt(0)
	s_waitcnt_vscnt null, 0x0
	s_barrier
	buffer_gl0_inv
	v_cmpx_lt_i32_e32 34, v192
	s_cbranch_execz .LBB86_734
; %bb.733:
	v_mul_f64 v[186:187], v[178:179], v[40:41]
	v_mul_f64 v[40:41], v[180:181], v[40:41]
	v_fma_f64 v[186:187], v[180:181], v[38:39], v[186:187]
	v_fma_f64 v[38:39], v[178:179], v[38:39], -v[40:41]
	ds_read2_b64 v[178:181], v1 offset0:70 offset1:71
	s_waitcnt lgkmcnt(0)
	v_mul_f64 v[40:41], v[180:181], v[186:187]
	v_fma_f64 v[40:41], v[178:179], v[38:39], -v[40:41]
	v_mul_f64 v[178:179], v[178:179], v[186:187]
	v_add_f64 v[34:35], v[34:35], -v[40:41]
	v_fma_f64 v[178:179], v[180:181], v[38:39], v[178:179]
	v_add_f64 v[36:37], v[36:37], -v[178:179]
	ds_read2_b64 v[178:181], v1 offset0:72 offset1:73
	s_waitcnt lgkmcnt(0)
	v_mul_f64 v[40:41], v[180:181], v[186:187]
	v_fma_f64 v[40:41], v[178:179], v[38:39], -v[40:41]
	v_mul_f64 v[178:179], v[178:179], v[186:187]
	v_add_f64 v[30:31], v[30:31], -v[40:41]
	v_fma_f64 v[178:179], v[180:181], v[38:39], v[178:179]
	v_add_f64 v[32:33], v[32:33], -v[178:179]
	;; [unrolled: 8-line block ×8, first 2 shown]
	ds_read2_b64 v[178:181], v1 offset0:86 offset1:87
	s_waitcnt lgkmcnt(0)
	v_mul_f64 v[40:41], v[180:181], v[186:187]
	v_fma_f64 v[40:41], v[178:179], v[38:39], -v[40:41]
	v_mul_f64 v[178:179], v[178:179], v[186:187]
	v_add_f64 v[2:3], v[2:3], -v[40:41]
	v_fma_f64 v[178:179], v[180:181], v[38:39], v[178:179]
	v_mov_b32_e32 v40, v186
	v_mov_b32_e32 v41, v187
	v_add_f64 v[4:5], v[4:5], -v[178:179]
.LBB86_734:
	s_or_b32 exec_lo, exec_lo, s0
	v_lshl_add_u32 v178, v192, 4, v1
	s_barrier
	buffer_gl0_inv
	v_mov_b32_e32 v186, 35
	ds_write2_b64 v178, v[34:35], v[36:37] offset1:1
	s_waitcnt lgkmcnt(0)
	s_barrier
	buffer_gl0_inv
	ds_read2_b64 v[178:181], v1 offset0:70 offset1:71
	s_cmp_lt_i32 s18, 37
	s_cbranch_scc1 .LBB86_737
; %bb.735:
	v_add3_u32 v187, v188, 0, 0x240
	v_mov_b32_e32 v186, 35
	s_mov_b32 s1, 36
	s_inst_prefetch 0x1
	.p2align	6
.LBB86_736:                             ; =>This Inner Loop Header: Depth=1
	s_waitcnt lgkmcnt(0)
	v_cmp_gt_f64_e32 vcc_lo, 0, v[180:181]
	v_cmp_gt_f64_e64 s0, 0, v[178:179]
	ds_read2_b64 v[193:196], v187 offset1:1
	v_xor_b32_e32 v198, 0x80000000, v179
	v_xor_b32_e32 v200, 0x80000000, v181
	v_mov_b32_e32 v197, v178
	v_mov_b32_e32 v199, v180
	v_add_nc_u32_e32 v187, 16, v187
	s_waitcnt lgkmcnt(0)
	v_xor_b32_e32 v202, 0x80000000, v196
	v_cndmask_b32_e64 v198, v179, v198, s0
	v_cndmask_b32_e32 v200, v181, v200, vcc_lo
	v_cmp_gt_f64_e32 vcc_lo, 0, v[195:196]
	v_cmp_gt_f64_e64 s0, 0, v[193:194]
	v_mov_b32_e32 v201, v195
	v_add_f64 v[197:198], v[197:198], v[199:200]
	v_xor_b32_e32 v200, 0x80000000, v194
	v_mov_b32_e32 v199, v193
	v_cndmask_b32_e32 v202, v196, v202, vcc_lo
	v_cndmask_b32_e64 v200, v194, v200, s0
	v_add_f64 v[199:200], v[199:200], v[201:202]
	v_cmp_lt_f64_e32 vcc_lo, v[197:198], v[199:200]
	v_cndmask_b32_e32 v179, v179, v194, vcc_lo
	v_cndmask_b32_e32 v178, v178, v193, vcc_lo
	;; [unrolled: 1-line block ×4, first 2 shown]
	v_cndmask_b32_e64 v186, v186, s1, vcc_lo
	s_add_i32 s1, s1, 1
	s_cmp_lg_u32 s18, s1
	s_cbranch_scc1 .LBB86_736
.LBB86_737:
	s_inst_prefetch 0x2
	s_waitcnt lgkmcnt(0)
	v_cmp_eq_f64_e32 vcc_lo, 0, v[178:179]
	v_cmp_eq_f64_e64 s0, 0, v[180:181]
	s_and_b32 s0, vcc_lo, s0
	s_and_saveexec_b32 s1, s0
	s_xor_b32 s0, exec_lo, s1
; %bb.738:
	v_cmp_ne_u32_e32 vcc_lo, 0, v191
	v_cndmask_b32_e32 v191, 36, v191, vcc_lo
; %bb.739:
	s_andn2_saveexec_b32 s0, s0
	s_cbranch_execz .LBB86_745
; %bb.740:
	v_cmp_ngt_f64_e64 s1, |v[178:179]|, |v[180:181]|
	s_and_saveexec_b32 s2, s1
	s_xor_b32 s1, exec_lo, s2
	s_cbranch_execz .LBB86_742
; %bb.741:
	v_div_scale_f64 v[193:194], null, v[180:181], v[180:181], v[178:179]
	v_div_scale_f64 v[199:200], vcc_lo, v[178:179], v[180:181], v[178:179]
	v_rcp_f64_e32 v[195:196], v[193:194]
	v_fma_f64 v[197:198], -v[193:194], v[195:196], 1.0
	v_fma_f64 v[195:196], v[195:196], v[197:198], v[195:196]
	v_fma_f64 v[197:198], -v[193:194], v[195:196], 1.0
	v_fma_f64 v[195:196], v[195:196], v[197:198], v[195:196]
	v_mul_f64 v[197:198], v[199:200], v[195:196]
	v_fma_f64 v[193:194], -v[193:194], v[197:198], v[199:200]
	v_div_fmas_f64 v[193:194], v[193:194], v[195:196], v[197:198]
	v_div_fixup_f64 v[193:194], v[193:194], v[180:181], v[178:179]
	v_fma_f64 v[178:179], v[178:179], v[193:194], v[180:181]
	v_div_scale_f64 v[180:181], null, v[178:179], v[178:179], 1.0
	v_rcp_f64_e32 v[195:196], v[180:181]
	v_fma_f64 v[197:198], -v[180:181], v[195:196], 1.0
	v_fma_f64 v[195:196], v[195:196], v[197:198], v[195:196]
	v_fma_f64 v[197:198], -v[180:181], v[195:196], 1.0
	v_fma_f64 v[195:196], v[195:196], v[197:198], v[195:196]
	v_div_scale_f64 v[197:198], vcc_lo, 1.0, v[178:179], 1.0
	v_mul_f64 v[199:200], v[197:198], v[195:196]
	v_fma_f64 v[180:181], -v[180:181], v[199:200], v[197:198]
	v_div_fmas_f64 v[180:181], v[180:181], v[195:196], v[199:200]
	v_div_fixup_f64 v[180:181], v[180:181], v[178:179], 1.0
	v_mul_f64 v[178:179], v[193:194], v[180:181]
	v_xor_b32_e32 v181, 0x80000000, v181
.LBB86_742:
	s_andn2_saveexec_b32 s1, s1
	s_cbranch_execz .LBB86_744
; %bb.743:
	v_div_scale_f64 v[193:194], null, v[178:179], v[178:179], v[180:181]
	v_div_scale_f64 v[199:200], vcc_lo, v[180:181], v[178:179], v[180:181]
	v_rcp_f64_e32 v[195:196], v[193:194]
	v_fma_f64 v[197:198], -v[193:194], v[195:196], 1.0
	v_fma_f64 v[195:196], v[195:196], v[197:198], v[195:196]
	v_fma_f64 v[197:198], -v[193:194], v[195:196], 1.0
	v_fma_f64 v[195:196], v[195:196], v[197:198], v[195:196]
	v_mul_f64 v[197:198], v[199:200], v[195:196]
	v_fma_f64 v[193:194], -v[193:194], v[197:198], v[199:200]
	v_div_fmas_f64 v[193:194], v[193:194], v[195:196], v[197:198]
	v_div_fixup_f64 v[193:194], v[193:194], v[178:179], v[180:181]
	v_fma_f64 v[178:179], v[180:181], v[193:194], v[178:179]
	v_div_scale_f64 v[180:181], null, v[178:179], v[178:179], 1.0
	v_rcp_f64_e32 v[195:196], v[180:181]
	v_fma_f64 v[197:198], -v[180:181], v[195:196], 1.0
	v_fma_f64 v[195:196], v[195:196], v[197:198], v[195:196]
	v_fma_f64 v[197:198], -v[180:181], v[195:196], 1.0
	v_fma_f64 v[195:196], v[195:196], v[197:198], v[195:196]
	v_div_scale_f64 v[197:198], vcc_lo, 1.0, v[178:179], 1.0
	v_mul_f64 v[199:200], v[197:198], v[195:196]
	v_fma_f64 v[180:181], -v[180:181], v[199:200], v[197:198]
	v_div_fmas_f64 v[180:181], v[180:181], v[195:196], v[199:200]
	v_div_fixup_f64 v[178:179], v[180:181], v[178:179], 1.0
	v_mul_f64 v[180:181], v[193:194], -v[178:179]
.LBB86_744:
	s_or_b32 exec_lo, exec_lo, s1
.LBB86_745:
	s_or_b32 exec_lo, exec_lo, s0
	s_mov_b32 s0, exec_lo
	v_cmpx_ne_u32_e64 v192, v186
	s_xor_b32 s0, exec_lo, s0
	s_cbranch_execz .LBB86_751
; %bb.746:
	s_mov_b32 s1, exec_lo
	v_cmpx_eq_u32_e32 35, v192
	s_cbranch_execz .LBB86_750
; %bb.747:
	v_cmp_ne_u32_e32 vcc_lo, 35, v186
	s_xor_b32 s2, s16, -1
	s_and_b32 s3, s2, vcc_lo
	s_and_saveexec_b32 s2, s3
	s_cbranch_execz .LBB86_749
; %bb.748:
	v_ashrrev_i32_e32 v187, 31, v186
	v_lshlrev_b64 v[192:193], 2, v[186:187]
	v_add_co_u32 v192, vcc_lo, v184, v192
	v_add_co_ci_u32_e64 v193, null, v185, v193, vcc_lo
	s_clause 0x1
	global_load_dword v0, v[192:193], off
	global_load_dword v187, v[184:185], off offset:140
	s_waitcnt vmcnt(1)
	global_store_dword v[184:185], v0, off offset:140
	s_waitcnt vmcnt(0)
	global_store_dword v[192:193], v187, off
.LBB86_749:
	s_or_b32 exec_lo, exec_lo, s2
	v_mov_b32_e32 v192, v186
	v_mov_b32_e32 v0, v186
.LBB86_750:
	s_or_b32 exec_lo, exec_lo, s1
.LBB86_751:
	s_andn2_saveexec_b32 s0, s0
	s_cbranch_execz .LBB86_753
; %bb.752:
	v_mov_b32_e32 v192, 35
	ds_write2_b64 v1, v[30:31], v[32:33] offset0:72 offset1:73
	ds_write2_b64 v1, v[26:27], v[28:29] offset0:74 offset1:75
	;; [unrolled: 1-line block ×8, first 2 shown]
.LBB86_753:
	s_or_b32 exec_lo, exec_lo, s0
	s_mov_b32 s0, exec_lo
	s_waitcnt lgkmcnt(0)
	s_waitcnt_vscnt null, 0x0
	s_barrier
	buffer_gl0_inv
	v_cmpx_lt_i32_e32 35, v192
	s_cbranch_execz .LBB86_755
; %bb.754:
	v_mul_f64 v[186:187], v[178:179], v[36:37]
	v_mul_f64 v[36:37], v[180:181], v[36:37]
	ds_read2_b64 v[193:196], v1 offset0:72 offset1:73
	ds_read2_b64 v[197:200], v1 offset0:74 offset1:75
	;; [unrolled: 1-line block ×8, first 2 shown]
	v_fma_f64 v[180:181], v[180:181], v[34:35], v[186:187]
	v_fma_f64 v[34:35], v[178:179], v[34:35], -v[36:37]
	s_waitcnt lgkmcnt(7)
	v_mul_f64 v[36:37], v[195:196], v[180:181]
	v_mul_f64 v[178:179], v[193:194], v[180:181]
	s_waitcnt lgkmcnt(6)
	v_mul_f64 v[186:187], v[199:200], v[180:181]
	v_mul_f64 v[225:226], v[197:198], v[180:181]
	;; [unrolled: 3-line block ×8, first 2 shown]
	v_fma_f64 v[36:37], v[193:194], v[34:35], -v[36:37]
	v_fma_f64 v[178:179], v[195:196], v[34:35], v[178:179]
	v_fma_f64 v[186:187], v[197:198], v[34:35], -v[186:187]
	v_fma_f64 v[193:194], v[199:200], v[34:35], v[225:226]
	;; [unrolled: 2-line block ×8, first 2 shown]
	v_add_f64 v[30:31], v[30:31], -v[36:37]
	v_add_f64 v[32:33], v[32:33], -v[178:179]
	;; [unrolled: 1-line block ×16, first 2 shown]
	v_mov_b32_e32 v36, v180
	v_mov_b32_e32 v37, v181
.LBB86_755:
	s_or_b32 exec_lo, exec_lo, s0
	v_lshl_add_u32 v178, v192, 4, v1
	s_barrier
	buffer_gl0_inv
	v_mov_b32_e32 v186, 36
	ds_write2_b64 v178, v[30:31], v[32:33] offset1:1
	s_waitcnt lgkmcnt(0)
	s_barrier
	buffer_gl0_inv
	ds_read2_b64 v[178:181], v1 offset0:72 offset1:73
	s_cmp_lt_i32 s18, 38
	s_cbranch_scc1 .LBB86_758
; %bb.756:
	v_add3_u32 v187, v188, 0, 0x250
	v_mov_b32_e32 v186, 36
	s_mov_b32 s1, 37
	s_inst_prefetch 0x1
	.p2align	6
.LBB86_757:                             ; =>This Inner Loop Header: Depth=1
	s_waitcnt lgkmcnt(0)
	v_cmp_gt_f64_e32 vcc_lo, 0, v[180:181]
	v_cmp_gt_f64_e64 s0, 0, v[178:179]
	ds_read2_b64 v[193:196], v187 offset1:1
	v_xor_b32_e32 v198, 0x80000000, v179
	v_xor_b32_e32 v200, 0x80000000, v181
	v_mov_b32_e32 v197, v178
	v_mov_b32_e32 v199, v180
	v_add_nc_u32_e32 v187, 16, v187
	s_waitcnt lgkmcnt(0)
	v_xor_b32_e32 v202, 0x80000000, v196
	v_cndmask_b32_e64 v198, v179, v198, s0
	v_cndmask_b32_e32 v200, v181, v200, vcc_lo
	v_cmp_gt_f64_e32 vcc_lo, 0, v[195:196]
	v_cmp_gt_f64_e64 s0, 0, v[193:194]
	v_mov_b32_e32 v201, v195
	v_add_f64 v[197:198], v[197:198], v[199:200]
	v_xor_b32_e32 v200, 0x80000000, v194
	v_mov_b32_e32 v199, v193
	v_cndmask_b32_e32 v202, v196, v202, vcc_lo
	v_cndmask_b32_e64 v200, v194, v200, s0
	v_add_f64 v[199:200], v[199:200], v[201:202]
	v_cmp_lt_f64_e32 vcc_lo, v[197:198], v[199:200]
	v_cndmask_b32_e32 v179, v179, v194, vcc_lo
	v_cndmask_b32_e32 v178, v178, v193, vcc_lo
	;; [unrolled: 1-line block ×4, first 2 shown]
	v_cndmask_b32_e64 v186, v186, s1, vcc_lo
	s_add_i32 s1, s1, 1
	s_cmp_lg_u32 s18, s1
	s_cbranch_scc1 .LBB86_757
.LBB86_758:
	s_inst_prefetch 0x2
	s_waitcnt lgkmcnt(0)
	v_cmp_eq_f64_e32 vcc_lo, 0, v[178:179]
	v_cmp_eq_f64_e64 s0, 0, v[180:181]
	s_and_b32 s0, vcc_lo, s0
	s_and_saveexec_b32 s1, s0
	s_xor_b32 s0, exec_lo, s1
; %bb.759:
	v_cmp_ne_u32_e32 vcc_lo, 0, v191
	v_cndmask_b32_e32 v191, 37, v191, vcc_lo
; %bb.760:
	s_andn2_saveexec_b32 s0, s0
	s_cbranch_execz .LBB86_766
; %bb.761:
	v_cmp_ngt_f64_e64 s1, |v[178:179]|, |v[180:181]|
	s_and_saveexec_b32 s2, s1
	s_xor_b32 s1, exec_lo, s2
	s_cbranch_execz .LBB86_763
; %bb.762:
	v_div_scale_f64 v[193:194], null, v[180:181], v[180:181], v[178:179]
	v_div_scale_f64 v[199:200], vcc_lo, v[178:179], v[180:181], v[178:179]
	v_rcp_f64_e32 v[195:196], v[193:194]
	v_fma_f64 v[197:198], -v[193:194], v[195:196], 1.0
	v_fma_f64 v[195:196], v[195:196], v[197:198], v[195:196]
	v_fma_f64 v[197:198], -v[193:194], v[195:196], 1.0
	v_fma_f64 v[195:196], v[195:196], v[197:198], v[195:196]
	v_mul_f64 v[197:198], v[199:200], v[195:196]
	v_fma_f64 v[193:194], -v[193:194], v[197:198], v[199:200]
	v_div_fmas_f64 v[193:194], v[193:194], v[195:196], v[197:198]
	v_div_fixup_f64 v[193:194], v[193:194], v[180:181], v[178:179]
	v_fma_f64 v[178:179], v[178:179], v[193:194], v[180:181]
	v_div_scale_f64 v[180:181], null, v[178:179], v[178:179], 1.0
	v_rcp_f64_e32 v[195:196], v[180:181]
	v_fma_f64 v[197:198], -v[180:181], v[195:196], 1.0
	v_fma_f64 v[195:196], v[195:196], v[197:198], v[195:196]
	v_fma_f64 v[197:198], -v[180:181], v[195:196], 1.0
	v_fma_f64 v[195:196], v[195:196], v[197:198], v[195:196]
	v_div_scale_f64 v[197:198], vcc_lo, 1.0, v[178:179], 1.0
	v_mul_f64 v[199:200], v[197:198], v[195:196]
	v_fma_f64 v[180:181], -v[180:181], v[199:200], v[197:198]
	v_div_fmas_f64 v[180:181], v[180:181], v[195:196], v[199:200]
	v_div_fixup_f64 v[180:181], v[180:181], v[178:179], 1.0
	v_mul_f64 v[178:179], v[193:194], v[180:181]
	v_xor_b32_e32 v181, 0x80000000, v181
.LBB86_763:
	s_andn2_saveexec_b32 s1, s1
	s_cbranch_execz .LBB86_765
; %bb.764:
	v_div_scale_f64 v[193:194], null, v[178:179], v[178:179], v[180:181]
	v_div_scale_f64 v[199:200], vcc_lo, v[180:181], v[178:179], v[180:181]
	v_rcp_f64_e32 v[195:196], v[193:194]
	v_fma_f64 v[197:198], -v[193:194], v[195:196], 1.0
	v_fma_f64 v[195:196], v[195:196], v[197:198], v[195:196]
	v_fma_f64 v[197:198], -v[193:194], v[195:196], 1.0
	v_fma_f64 v[195:196], v[195:196], v[197:198], v[195:196]
	v_mul_f64 v[197:198], v[199:200], v[195:196]
	v_fma_f64 v[193:194], -v[193:194], v[197:198], v[199:200]
	v_div_fmas_f64 v[193:194], v[193:194], v[195:196], v[197:198]
	v_div_fixup_f64 v[193:194], v[193:194], v[178:179], v[180:181]
	v_fma_f64 v[178:179], v[180:181], v[193:194], v[178:179]
	v_div_scale_f64 v[180:181], null, v[178:179], v[178:179], 1.0
	v_rcp_f64_e32 v[195:196], v[180:181]
	v_fma_f64 v[197:198], -v[180:181], v[195:196], 1.0
	v_fma_f64 v[195:196], v[195:196], v[197:198], v[195:196]
	v_fma_f64 v[197:198], -v[180:181], v[195:196], 1.0
	v_fma_f64 v[195:196], v[195:196], v[197:198], v[195:196]
	v_div_scale_f64 v[197:198], vcc_lo, 1.0, v[178:179], 1.0
	v_mul_f64 v[199:200], v[197:198], v[195:196]
	v_fma_f64 v[180:181], -v[180:181], v[199:200], v[197:198]
	v_div_fmas_f64 v[180:181], v[180:181], v[195:196], v[199:200]
	v_div_fixup_f64 v[178:179], v[180:181], v[178:179], 1.0
	v_mul_f64 v[180:181], v[193:194], -v[178:179]
.LBB86_765:
	s_or_b32 exec_lo, exec_lo, s1
.LBB86_766:
	s_or_b32 exec_lo, exec_lo, s0
	s_mov_b32 s0, exec_lo
	v_cmpx_ne_u32_e64 v192, v186
	s_xor_b32 s0, exec_lo, s0
	s_cbranch_execz .LBB86_772
; %bb.767:
	s_mov_b32 s1, exec_lo
	v_cmpx_eq_u32_e32 36, v192
	s_cbranch_execz .LBB86_771
; %bb.768:
	v_cmp_ne_u32_e32 vcc_lo, 36, v186
	s_xor_b32 s2, s16, -1
	s_and_b32 s3, s2, vcc_lo
	s_and_saveexec_b32 s2, s3
	s_cbranch_execz .LBB86_770
; %bb.769:
	v_ashrrev_i32_e32 v187, 31, v186
	v_lshlrev_b64 v[192:193], 2, v[186:187]
	v_add_co_u32 v192, vcc_lo, v184, v192
	v_add_co_ci_u32_e64 v193, null, v185, v193, vcc_lo
	s_clause 0x1
	global_load_dword v0, v[192:193], off
	global_load_dword v187, v[184:185], off offset:144
	s_waitcnt vmcnt(1)
	global_store_dword v[184:185], v0, off offset:144
	s_waitcnt vmcnt(0)
	global_store_dword v[192:193], v187, off
.LBB86_770:
	s_or_b32 exec_lo, exec_lo, s2
	v_mov_b32_e32 v192, v186
	v_mov_b32_e32 v0, v186
.LBB86_771:
	s_or_b32 exec_lo, exec_lo, s1
.LBB86_772:
	s_andn2_saveexec_b32 s0, s0
	s_cbranch_execz .LBB86_774
; %bb.773:
	v_mov_b32_e32 v192, 36
	ds_write2_b64 v1, v[26:27], v[28:29] offset0:74 offset1:75
	ds_write2_b64 v1, v[22:23], v[24:25] offset0:76 offset1:77
	;; [unrolled: 1-line block ×7, first 2 shown]
.LBB86_774:
	s_or_b32 exec_lo, exec_lo, s0
	s_mov_b32 s0, exec_lo
	s_waitcnt lgkmcnt(0)
	s_waitcnt_vscnt null, 0x0
	s_barrier
	buffer_gl0_inv
	v_cmpx_lt_i32_e32 36, v192
	s_cbranch_execz .LBB86_776
; %bb.775:
	v_mul_f64 v[186:187], v[178:179], v[32:33]
	v_mul_f64 v[32:33], v[180:181], v[32:33]
	ds_read2_b64 v[193:196], v1 offset0:74 offset1:75
	ds_read2_b64 v[197:200], v1 offset0:76 offset1:77
	;; [unrolled: 1-line block ×7, first 2 shown]
	v_fma_f64 v[180:181], v[180:181], v[30:31], v[186:187]
	v_fma_f64 v[30:31], v[178:179], v[30:31], -v[32:33]
	s_waitcnt lgkmcnt(6)
	v_mul_f64 v[32:33], v[195:196], v[180:181]
	v_mul_f64 v[178:179], v[193:194], v[180:181]
	s_waitcnt lgkmcnt(5)
	v_mul_f64 v[186:187], v[199:200], v[180:181]
	v_mul_f64 v[221:222], v[197:198], v[180:181]
	;; [unrolled: 3-line block ×7, first 2 shown]
	v_fma_f64 v[32:33], v[193:194], v[30:31], -v[32:33]
	v_fma_f64 v[178:179], v[195:196], v[30:31], v[178:179]
	v_fma_f64 v[186:187], v[197:198], v[30:31], -v[186:187]
	v_fma_f64 v[193:194], v[199:200], v[30:31], v[221:222]
	;; [unrolled: 2-line block ×7, first 2 shown]
	v_add_f64 v[26:27], v[26:27], -v[32:33]
	v_add_f64 v[28:29], v[28:29], -v[178:179]
	;; [unrolled: 1-line block ×14, first 2 shown]
	v_mov_b32_e32 v32, v180
	v_mov_b32_e32 v33, v181
.LBB86_776:
	s_or_b32 exec_lo, exec_lo, s0
	v_lshl_add_u32 v178, v192, 4, v1
	s_barrier
	buffer_gl0_inv
	v_mov_b32_e32 v186, 37
	ds_write2_b64 v178, v[26:27], v[28:29] offset1:1
	s_waitcnt lgkmcnt(0)
	s_barrier
	buffer_gl0_inv
	ds_read2_b64 v[178:181], v1 offset0:74 offset1:75
	s_cmp_lt_i32 s18, 39
	s_cbranch_scc1 .LBB86_779
; %bb.777:
	v_add3_u32 v187, v188, 0, 0x260
	v_mov_b32_e32 v186, 37
	s_mov_b32 s1, 38
	s_inst_prefetch 0x1
	.p2align	6
.LBB86_778:                             ; =>This Inner Loop Header: Depth=1
	s_waitcnt lgkmcnt(0)
	v_cmp_gt_f64_e32 vcc_lo, 0, v[180:181]
	v_cmp_gt_f64_e64 s0, 0, v[178:179]
	ds_read2_b64 v[193:196], v187 offset1:1
	v_xor_b32_e32 v198, 0x80000000, v179
	v_xor_b32_e32 v200, 0x80000000, v181
	v_mov_b32_e32 v197, v178
	v_mov_b32_e32 v199, v180
	v_add_nc_u32_e32 v187, 16, v187
	s_waitcnt lgkmcnt(0)
	v_xor_b32_e32 v202, 0x80000000, v196
	v_cndmask_b32_e64 v198, v179, v198, s0
	v_cndmask_b32_e32 v200, v181, v200, vcc_lo
	v_cmp_gt_f64_e32 vcc_lo, 0, v[195:196]
	v_cmp_gt_f64_e64 s0, 0, v[193:194]
	v_mov_b32_e32 v201, v195
	v_add_f64 v[197:198], v[197:198], v[199:200]
	v_xor_b32_e32 v200, 0x80000000, v194
	v_mov_b32_e32 v199, v193
	v_cndmask_b32_e32 v202, v196, v202, vcc_lo
	v_cndmask_b32_e64 v200, v194, v200, s0
	v_add_f64 v[199:200], v[199:200], v[201:202]
	v_cmp_lt_f64_e32 vcc_lo, v[197:198], v[199:200]
	v_cndmask_b32_e32 v179, v179, v194, vcc_lo
	v_cndmask_b32_e32 v178, v178, v193, vcc_lo
	;; [unrolled: 1-line block ×4, first 2 shown]
	v_cndmask_b32_e64 v186, v186, s1, vcc_lo
	s_add_i32 s1, s1, 1
	s_cmp_lg_u32 s18, s1
	s_cbranch_scc1 .LBB86_778
.LBB86_779:
	s_inst_prefetch 0x2
	s_waitcnt lgkmcnt(0)
	v_cmp_eq_f64_e32 vcc_lo, 0, v[178:179]
	v_cmp_eq_f64_e64 s0, 0, v[180:181]
	s_and_b32 s0, vcc_lo, s0
	s_and_saveexec_b32 s1, s0
	s_xor_b32 s0, exec_lo, s1
; %bb.780:
	v_cmp_ne_u32_e32 vcc_lo, 0, v191
	v_cndmask_b32_e32 v191, 38, v191, vcc_lo
; %bb.781:
	s_andn2_saveexec_b32 s0, s0
	s_cbranch_execz .LBB86_787
; %bb.782:
	v_cmp_ngt_f64_e64 s1, |v[178:179]|, |v[180:181]|
	s_and_saveexec_b32 s2, s1
	s_xor_b32 s1, exec_lo, s2
	s_cbranch_execz .LBB86_784
; %bb.783:
	v_div_scale_f64 v[193:194], null, v[180:181], v[180:181], v[178:179]
	v_div_scale_f64 v[199:200], vcc_lo, v[178:179], v[180:181], v[178:179]
	v_rcp_f64_e32 v[195:196], v[193:194]
	v_fma_f64 v[197:198], -v[193:194], v[195:196], 1.0
	v_fma_f64 v[195:196], v[195:196], v[197:198], v[195:196]
	v_fma_f64 v[197:198], -v[193:194], v[195:196], 1.0
	v_fma_f64 v[195:196], v[195:196], v[197:198], v[195:196]
	v_mul_f64 v[197:198], v[199:200], v[195:196]
	v_fma_f64 v[193:194], -v[193:194], v[197:198], v[199:200]
	v_div_fmas_f64 v[193:194], v[193:194], v[195:196], v[197:198]
	v_div_fixup_f64 v[193:194], v[193:194], v[180:181], v[178:179]
	v_fma_f64 v[178:179], v[178:179], v[193:194], v[180:181]
	v_div_scale_f64 v[180:181], null, v[178:179], v[178:179], 1.0
	v_rcp_f64_e32 v[195:196], v[180:181]
	v_fma_f64 v[197:198], -v[180:181], v[195:196], 1.0
	v_fma_f64 v[195:196], v[195:196], v[197:198], v[195:196]
	v_fma_f64 v[197:198], -v[180:181], v[195:196], 1.0
	v_fma_f64 v[195:196], v[195:196], v[197:198], v[195:196]
	v_div_scale_f64 v[197:198], vcc_lo, 1.0, v[178:179], 1.0
	v_mul_f64 v[199:200], v[197:198], v[195:196]
	v_fma_f64 v[180:181], -v[180:181], v[199:200], v[197:198]
	v_div_fmas_f64 v[180:181], v[180:181], v[195:196], v[199:200]
	v_div_fixup_f64 v[180:181], v[180:181], v[178:179], 1.0
	v_mul_f64 v[178:179], v[193:194], v[180:181]
	v_xor_b32_e32 v181, 0x80000000, v181
.LBB86_784:
	s_andn2_saveexec_b32 s1, s1
	s_cbranch_execz .LBB86_786
; %bb.785:
	v_div_scale_f64 v[193:194], null, v[178:179], v[178:179], v[180:181]
	v_div_scale_f64 v[199:200], vcc_lo, v[180:181], v[178:179], v[180:181]
	v_rcp_f64_e32 v[195:196], v[193:194]
	v_fma_f64 v[197:198], -v[193:194], v[195:196], 1.0
	v_fma_f64 v[195:196], v[195:196], v[197:198], v[195:196]
	v_fma_f64 v[197:198], -v[193:194], v[195:196], 1.0
	v_fma_f64 v[195:196], v[195:196], v[197:198], v[195:196]
	v_mul_f64 v[197:198], v[199:200], v[195:196]
	v_fma_f64 v[193:194], -v[193:194], v[197:198], v[199:200]
	v_div_fmas_f64 v[193:194], v[193:194], v[195:196], v[197:198]
	v_div_fixup_f64 v[193:194], v[193:194], v[178:179], v[180:181]
	v_fma_f64 v[178:179], v[180:181], v[193:194], v[178:179]
	v_div_scale_f64 v[180:181], null, v[178:179], v[178:179], 1.0
	v_rcp_f64_e32 v[195:196], v[180:181]
	v_fma_f64 v[197:198], -v[180:181], v[195:196], 1.0
	v_fma_f64 v[195:196], v[195:196], v[197:198], v[195:196]
	v_fma_f64 v[197:198], -v[180:181], v[195:196], 1.0
	v_fma_f64 v[195:196], v[195:196], v[197:198], v[195:196]
	v_div_scale_f64 v[197:198], vcc_lo, 1.0, v[178:179], 1.0
	v_mul_f64 v[199:200], v[197:198], v[195:196]
	v_fma_f64 v[180:181], -v[180:181], v[199:200], v[197:198]
	v_div_fmas_f64 v[180:181], v[180:181], v[195:196], v[199:200]
	v_div_fixup_f64 v[178:179], v[180:181], v[178:179], 1.0
	v_mul_f64 v[180:181], v[193:194], -v[178:179]
.LBB86_786:
	s_or_b32 exec_lo, exec_lo, s1
.LBB86_787:
	s_or_b32 exec_lo, exec_lo, s0
	s_mov_b32 s0, exec_lo
	v_cmpx_ne_u32_e64 v192, v186
	s_xor_b32 s0, exec_lo, s0
	s_cbranch_execz .LBB86_793
; %bb.788:
	s_mov_b32 s1, exec_lo
	v_cmpx_eq_u32_e32 37, v192
	s_cbranch_execz .LBB86_792
; %bb.789:
	v_cmp_ne_u32_e32 vcc_lo, 37, v186
	s_xor_b32 s2, s16, -1
	s_and_b32 s3, s2, vcc_lo
	s_and_saveexec_b32 s2, s3
	s_cbranch_execz .LBB86_791
; %bb.790:
	v_ashrrev_i32_e32 v187, 31, v186
	v_lshlrev_b64 v[192:193], 2, v[186:187]
	v_add_co_u32 v192, vcc_lo, v184, v192
	v_add_co_ci_u32_e64 v193, null, v185, v193, vcc_lo
	s_clause 0x1
	global_load_dword v0, v[192:193], off
	global_load_dword v187, v[184:185], off offset:148
	s_waitcnt vmcnt(1)
	global_store_dword v[184:185], v0, off offset:148
	s_waitcnt vmcnt(0)
	global_store_dword v[192:193], v187, off
.LBB86_791:
	s_or_b32 exec_lo, exec_lo, s2
	v_mov_b32_e32 v192, v186
	v_mov_b32_e32 v0, v186
.LBB86_792:
	s_or_b32 exec_lo, exec_lo, s1
.LBB86_793:
	s_andn2_saveexec_b32 s0, s0
	s_cbranch_execz .LBB86_795
; %bb.794:
	v_mov_b32_e32 v192, 37
	ds_write2_b64 v1, v[22:23], v[24:25] offset0:76 offset1:77
	ds_write2_b64 v1, v[18:19], v[20:21] offset0:78 offset1:79
	;; [unrolled: 1-line block ×6, first 2 shown]
.LBB86_795:
	s_or_b32 exec_lo, exec_lo, s0
	s_mov_b32 s0, exec_lo
	s_waitcnt lgkmcnt(0)
	s_waitcnt_vscnt null, 0x0
	s_barrier
	buffer_gl0_inv
	v_cmpx_lt_i32_e32 37, v192
	s_cbranch_execz .LBB86_797
; %bb.796:
	v_mul_f64 v[186:187], v[178:179], v[28:29]
	v_mul_f64 v[28:29], v[180:181], v[28:29]
	ds_read2_b64 v[193:196], v1 offset0:76 offset1:77
	ds_read2_b64 v[197:200], v1 offset0:78 offset1:79
	;; [unrolled: 1-line block ×6, first 2 shown]
	v_fma_f64 v[180:181], v[180:181], v[26:27], v[186:187]
	v_fma_f64 v[26:27], v[178:179], v[26:27], -v[28:29]
	s_waitcnt lgkmcnt(5)
	v_mul_f64 v[28:29], v[195:196], v[180:181]
	v_mul_f64 v[178:179], v[193:194], v[180:181]
	s_waitcnt lgkmcnt(4)
	v_mul_f64 v[186:187], v[199:200], v[180:181]
	v_mul_f64 v[217:218], v[197:198], v[180:181]
	;; [unrolled: 3-line block ×6, first 2 shown]
	v_fma_f64 v[28:29], v[193:194], v[26:27], -v[28:29]
	v_fma_f64 v[178:179], v[195:196], v[26:27], v[178:179]
	v_fma_f64 v[186:187], v[197:198], v[26:27], -v[186:187]
	v_fma_f64 v[193:194], v[199:200], v[26:27], v[217:218]
	;; [unrolled: 2-line block ×6, first 2 shown]
	v_add_f64 v[22:23], v[22:23], -v[28:29]
	v_add_f64 v[24:25], v[24:25], -v[178:179]
	;; [unrolled: 1-line block ×12, first 2 shown]
	v_mov_b32_e32 v28, v180
	v_mov_b32_e32 v29, v181
.LBB86_797:
	s_or_b32 exec_lo, exec_lo, s0
	v_lshl_add_u32 v178, v192, 4, v1
	s_barrier
	buffer_gl0_inv
	v_mov_b32_e32 v186, 38
	ds_write2_b64 v178, v[22:23], v[24:25] offset1:1
	s_waitcnt lgkmcnt(0)
	s_barrier
	buffer_gl0_inv
	ds_read2_b64 v[178:181], v1 offset0:76 offset1:77
	s_cmp_lt_i32 s18, 40
	s_cbranch_scc1 .LBB86_800
; %bb.798:
	v_add3_u32 v187, v188, 0, 0x270
	v_mov_b32_e32 v186, 38
	s_mov_b32 s1, 39
	s_inst_prefetch 0x1
	.p2align	6
.LBB86_799:                             ; =>This Inner Loop Header: Depth=1
	s_waitcnt lgkmcnt(0)
	v_cmp_gt_f64_e32 vcc_lo, 0, v[180:181]
	v_cmp_gt_f64_e64 s0, 0, v[178:179]
	ds_read2_b64 v[193:196], v187 offset1:1
	v_xor_b32_e32 v198, 0x80000000, v179
	v_xor_b32_e32 v200, 0x80000000, v181
	v_mov_b32_e32 v197, v178
	v_mov_b32_e32 v199, v180
	v_add_nc_u32_e32 v187, 16, v187
	s_waitcnt lgkmcnt(0)
	v_xor_b32_e32 v202, 0x80000000, v196
	v_cndmask_b32_e64 v198, v179, v198, s0
	v_cndmask_b32_e32 v200, v181, v200, vcc_lo
	v_cmp_gt_f64_e32 vcc_lo, 0, v[195:196]
	v_cmp_gt_f64_e64 s0, 0, v[193:194]
	v_mov_b32_e32 v201, v195
	v_add_f64 v[197:198], v[197:198], v[199:200]
	v_xor_b32_e32 v200, 0x80000000, v194
	v_mov_b32_e32 v199, v193
	v_cndmask_b32_e32 v202, v196, v202, vcc_lo
	v_cndmask_b32_e64 v200, v194, v200, s0
	v_add_f64 v[199:200], v[199:200], v[201:202]
	v_cmp_lt_f64_e32 vcc_lo, v[197:198], v[199:200]
	v_cndmask_b32_e32 v179, v179, v194, vcc_lo
	v_cndmask_b32_e32 v178, v178, v193, vcc_lo
	;; [unrolled: 1-line block ×4, first 2 shown]
	v_cndmask_b32_e64 v186, v186, s1, vcc_lo
	s_add_i32 s1, s1, 1
	s_cmp_lg_u32 s18, s1
	s_cbranch_scc1 .LBB86_799
.LBB86_800:
	s_inst_prefetch 0x2
	s_waitcnt lgkmcnt(0)
	v_cmp_eq_f64_e32 vcc_lo, 0, v[178:179]
	v_cmp_eq_f64_e64 s0, 0, v[180:181]
	s_and_b32 s0, vcc_lo, s0
	s_and_saveexec_b32 s1, s0
	s_xor_b32 s0, exec_lo, s1
; %bb.801:
	v_cmp_ne_u32_e32 vcc_lo, 0, v191
	v_cndmask_b32_e32 v191, 39, v191, vcc_lo
; %bb.802:
	s_andn2_saveexec_b32 s0, s0
	s_cbranch_execz .LBB86_808
; %bb.803:
	v_cmp_ngt_f64_e64 s1, |v[178:179]|, |v[180:181]|
	s_and_saveexec_b32 s2, s1
	s_xor_b32 s1, exec_lo, s2
	s_cbranch_execz .LBB86_805
; %bb.804:
	v_div_scale_f64 v[193:194], null, v[180:181], v[180:181], v[178:179]
	v_div_scale_f64 v[199:200], vcc_lo, v[178:179], v[180:181], v[178:179]
	v_rcp_f64_e32 v[195:196], v[193:194]
	v_fma_f64 v[197:198], -v[193:194], v[195:196], 1.0
	v_fma_f64 v[195:196], v[195:196], v[197:198], v[195:196]
	v_fma_f64 v[197:198], -v[193:194], v[195:196], 1.0
	v_fma_f64 v[195:196], v[195:196], v[197:198], v[195:196]
	v_mul_f64 v[197:198], v[199:200], v[195:196]
	v_fma_f64 v[193:194], -v[193:194], v[197:198], v[199:200]
	v_div_fmas_f64 v[193:194], v[193:194], v[195:196], v[197:198]
	v_div_fixup_f64 v[193:194], v[193:194], v[180:181], v[178:179]
	v_fma_f64 v[178:179], v[178:179], v[193:194], v[180:181]
	v_div_scale_f64 v[180:181], null, v[178:179], v[178:179], 1.0
	v_rcp_f64_e32 v[195:196], v[180:181]
	v_fma_f64 v[197:198], -v[180:181], v[195:196], 1.0
	v_fma_f64 v[195:196], v[195:196], v[197:198], v[195:196]
	v_fma_f64 v[197:198], -v[180:181], v[195:196], 1.0
	v_fma_f64 v[195:196], v[195:196], v[197:198], v[195:196]
	v_div_scale_f64 v[197:198], vcc_lo, 1.0, v[178:179], 1.0
	v_mul_f64 v[199:200], v[197:198], v[195:196]
	v_fma_f64 v[180:181], -v[180:181], v[199:200], v[197:198]
	v_div_fmas_f64 v[180:181], v[180:181], v[195:196], v[199:200]
	v_div_fixup_f64 v[180:181], v[180:181], v[178:179], 1.0
	v_mul_f64 v[178:179], v[193:194], v[180:181]
	v_xor_b32_e32 v181, 0x80000000, v181
.LBB86_805:
	s_andn2_saveexec_b32 s1, s1
	s_cbranch_execz .LBB86_807
; %bb.806:
	v_div_scale_f64 v[193:194], null, v[178:179], v[178:179], v[180:181]
	v_div_scale_f64 v[199:200], vcc_lo, v[180:181], v[178:179], v[180:181]
	v_rcp_f64_e32 v[195:196], v[193:194]
	v_fma_f64 v[197:198], -v[193:194], v[195:196], 1.0
	v_fma_f64 v[195:196], v[195:196], v[197:198], v[195:196]
	v_fma_f64 v[197:198], -v[193:194], v[195:196], 1.0
	v_fma_f64 v[195:196], v[195:196], v[197:198], v[195:196]
	v_mul_f64 v[197:198], v[199:200], v[195:196]
	v_fma_f64 v[193:194], -v[193:194], v[197:198], v[199:200]
	v_div_fmas_f64 v[193:194], v[193:194], v[195:196], v[197:198]
	v_div_fixup_f64 v[193:194], v[193:194], v[178:179], v[180:181]
	v_fma_f64 v[178:179], v[180:181], v[193:194], v[178:179]
	v_div_scale_f64 v[180:181], null, v[178:179], v[178:179], 1.0
	v_rcp_f64_e32 v[195:196], v[180:181]
	v_fma_f64 v[197:198], -v[180:181], v[195:196], 1.0
	v_fma_f64 v[195:196], v[195:196], v[197:198], v[195:196]
	v_fma_f64 v[197:198], -v[180:181], v[195:196], 1.0
	v_fma_f64 v[195:196], v[195:196], v[197:198], v[195:196]
	v_div_scale_f64 v[197:198], vcc_lo, 1.0, v[178:179], 1.0
	v_mul_f64 v[199:200], v[197:198], v[195:196]
	v_fma_f64 v[180:181], -v[180:181], v[199:200], v[197:198]
	v_div_fmas_f64 v[180:181], v[180:181], v[195:196], v[199:200]
	v_div_fixup_f64 v[178:179], v[180:181], v[178:179], 1.0
	v_mul_f64 v[180:181], v[193:194], -v[178:179]
.LBB86_807:
	s_or_b32 exec_lo, exec_lo, s1
.LBB86_808:
	s_or_b32 exec_lo, exec_lo, s0
	s_mov_b32 s0, exec_lo
	v_cmpx_ne_u32_e64 v192, v186
	s_xor_b32 s0, exec_lo, s0
	s_cbranch_execz .LBB86_814
; %bb.809:
	s_mov_b32 s1, exec_lo
	v_cmpx_eq_u32_e32 38, v192
	s_cbranch_execz .LBB86_813
; %bb.810:
	v_cmp_ne_u32_e32 vcc_lo, 38, v186
	s_xor_b32 s2, s16, -1
	s_and_b32 s3, s2, vcc_lo
	s_and_saveexec_b32 s2, s3
	s_cbranch_execz .LBB86_812
; %bb.811:
	v_ashrrev_i32_e32 v187, 31, v186
	v_lshlrev_b64 v[192:193], 2, v[186:187]
	v_add_co_u32 v192, vcc_lo, v184, v192
	v_add_co_ci_u32_e64 v193, null, v185, v193, vcc_lo
	s_clause 0x1
	global_load_dword v0, v[192:193], off
	global_load_dword v187, v[184:185], off offset:152
	s_waitcnt vmcnt(1)
	global_store_dword v[184:185], v0, off offset:152
	s_waitcnt vmcnt(0)
	global_store_dword v[192:193], v187, off
.LBB86_812:
	s_or_b32 exec_lo, exec_lo, s2
	v_mov_b32_e32 v192, v186
	v_mov_b32_e32 v0, v186
.LBB86_813:
	s_or_b32 exec_lo, exec_lo, s1
.LBB86_814:
	s_andn2_saveexec_b32 s0, s0
	s_cbranch_execz .LBB86_816
; %bb.815:
	v_mov_b32_e32 v192, 38
	ds_write2_b64 v1, v[18:19], v[20:21] offset0:78 offset1:79
	ds_write2_b64 v1, v[14:15], v[16:17] offset0:80 offset1:81
	;; [unrolled: 1-line block ×5, first 2 shown]
.LBB86_816:
	s_or_b32 exec_lo, exec_lo, s0
	s_mov_b32 s0, exec_lo
	s_waitcnt lgkmcnt(0)
	s_waitcnt_vscnt null, 0x0
	s_barrier
	buffer_gl0_inv
	v_cmpx_lt_i32_e32 38, v192
	s_cbranch_execz .LBB86_818
; %bb.817:
	v_mul_f64 v[186:187], v[178:179], v[24:25]
	v_mul_f64 v[24:25], v[180:181], v[24:25]
	ds_read2_b64 v[193:196], v1 offset0:78 offset1:79
	ds_read2_b64 v[197:200], v1 offset0:80 offset1:81
	;; [unrolled: 1-line block ×5, first 2 shown]
	v_fma_f64 v[180:181], v[180:181], v[22:23], v[186:187]
	v_fma_f64 v[22:23], v[178:179], v[22:23], -v[24:25]
	s_waitcnt lgkmcnt(4)
	v_mul_f64 v[24:25], v[195:196], v[180:181]
	v_mul_f64 v[178:179], v[193:194], v[180:181]
	s_waitcnt lgkmcnt(3)
	v_mul_f64 v[186:187], v[199:200], v[180:181]
	v_mul_f64 v[213:214], v[197:198], v[180:181]
	;; [unrolled: 3-line block ×5, first 2 shown]
	v_fma_f64 v[24:25], v[193:194], v[22:23], -v[24:25]
	v_fma_f64 v[178:179], v[195:196], v[22:23], v[178:179]
	v_fma_f64 v[186:187], v[197:198], v[22:23], -v[186:187]
	v_fma_f64 v[193:194], v[199:200], v[22:23], v[213:214]
	;; [unrolled: 2-line block ×5, first 2 shown]
	v_add_f64 v[18:19], v[18:19], -v[24:25]
	v_add_f64 v[20:21], v[20:21], -v[178:179]
	;; [unrolled: 1-line block ×10, first 2 shown]
	v_mov_b32_e32 v24, v180
	v_mov_b32_e32 v25, v181
.LBB86_818:
	s_or_b32 exec_lo, exec_lo, s0
	v_lshl_add_u32 v178, v192, 4, v1
	s_barrier
	buffer_gl0_inv
	v_mov_b32_e32 v186, 39
	ds_write2_b64 v178, v[18:19], v[20:21] offset1:1
	s_waitcnt lgkmcnt(0)
	s_barrier
	buffer_gl0_inv
	ds_read2_b64 v[178:181], v1 offset0:78 offset1:79
	s_cmp_lt_i32 s18, 41
	s_cbranch_scc1 .LBB86_821
; %bb.819:
	v_add3_u32 v187, v188, 0, 0x280
	v_mov_b32_e32 v186, 39
	s_mov_b32 s1, 40
	s_inst_prefetch 0x1
	.p2align	6
.LBB86_820:                             ; =>This Inner Loop Header: Depth=1
	s_waitcnt lgkmcnt(0)
	v_cmp_gt_f64_e32 vcc_lo, 0, v[180:181]
	v_cmp_gt_f64_e64 s0, 0, v[178:179]
	ds_read2_b64 v[193:196], v187 offset1:1
	v_xor_b32_e32 v198, 0x80000000, v179
	v_xor_b32_e32 v200, 0x80000000, v181
	v_mov_b32_e32 v197, v178
	v_mov_b32_e32 v199, v180
	v_add_nc_u32_e32 v187, 16, v187
	s_waitcnt lgkmcnt(0)
	v_xor_b32_e32 v202, 0x80000000, v196
	v_cndmask_b32_e64 v198, v179, v198, s0
	v_cndmask_b32_e32 v200, v181, v200, vcc_lo
	v_cmp_gt_f64_e32 vcc_lo, 0, v[195:196]
	v_cmp_gt_f64_e64 s0, 0, v[193:194]
	v_mov_b32_e32 v201, v195
	v_add_f64 v[197:198], v[197:198], v[199:200]
	v_xor_b32_e32 v200, 0x80000000, v194
	v_mov_b32_e32 v199, v193
	v_cndmask_b32_e32 v202, v196, v202, vcc_lo
	v_cndmask_b32_e64 v200, v194, v200, s0
	v_add_f64 v[199:200], v[199:200], v[201:202]
	v_cmp_lt_f64_e32 vcc_lo, v[197:198], v[199:200]
	v_cndmask_b32_e32 v179, v179, v194, vcc_lo
	v_cndmask_b32_e32 v178, v178, v193, vcc_lo
	;; [unrolled: 1-line block ×4, first 2 shown]
	v_cndmask_b32_e64 v186, v186, s1, vcc_lo
	s_add_i32 s1, s1, 1
	s_cmp_lg_u32 s18, s1
	s_cbranch_scc1 .LBB86_820
.LBB86_821:
	s_inst_prefetch 0x2
	s_waitcnt lgkmcnt(0)
	v_cmp_eq_f64_e32 vcc_lo, 0, v[178:179]
	v_cmp_eq_f64_e64 s0, 0, v[180:181]
	s_and_b32 s0, vcc_lo, s0
	s_and_saveexec_b32 s1, s0
	s_xor_b32 s0, exec_lo, s1
; %bb.822:
	v_cmp_ne_u32_e32 vcc_lo, 0, v191
	v_cndmask_b32_e32 v191, 40, v191, vcc_lo
; %bb.823:
	s_andn2_saveexec_b32 s0, s0
	s_cbranch_execz .LBB86_829
; %bb.824:
	v_cmp_ngt_f64_e64 s1, |v[178:179]|, |v[180:181]|
	s_and_saveexec_b32 s2, s1
	s_xor_b32 s1, exec_lo, s2
	s_cbranch_execz .LBB86_826
; %bb.825:
	v_div_scale_f64 v[193:194], null, v[180:181], v[180:181], v[178:179]
	v_div_scale_f64 v[199:200], vcc_lo, v[178:179], v[180:181], v[178:179]
	v_rcp_f64_e32 v[195:196], v[193:194]
	v_fma_f64 v[197:198], -v[193:194], v[195:196], 1.0
	v_fma_f64 v[195:196], v[195:196], v[197:198], v[195:196]
	v_fma_f64 v[197:198], -v[193:194], v[195:196], 1.0
	v_fma_f64 v[195:196], v[195:196], v[197:198], v[195:196]
	v_mul_f64 v[197:198], v[199:200], v[195:196]
	v_fma_f64 v[193:194], -v[193:194], v[197:198], v[199:200]
	v_div_fmas_f64 v[193:194], v[193:194], v[195:196], v[197:198]
	v_div_fixup_f64 v[193:194], v[193:194], v[180:181], v[178:179]
	v_fma_f64 v[178:179], v[178:179], v[193:194], v[180:181]
	v_div_scale_f64 v[180:181], null, v[178:179], v[178:179], 1.0
	v_rcp_f64_e32 v[195:196], v[180:181]
	v_fma_f64 v[197:198], -v[180:181], v[195:196], 1.0
	v_fma_f64 v[195:196], v[195:196], v[197:198], v[195:196]
	v_fma_f64 v[197:198], -v[180:181], v[195:196], 1.0
	v_fma_f64 v[195:196], v[195:196], v[197:198], v[195:196]
	v_div_scale_f64 v[197:198], vcc_lo, 1.0, v[178:179], 1.0
	v_mul_f64 v[199:200], v[197:198], v[195:196]
	v_fma_f64 v[180:181], -v[180:181], v[199:200], v[197:198]
	v_div_fmas_f64 v[180:181], v[180:181], v[195:196], v[199:200]
	v_div_fixup_f64 v[180:181], v[180:181], v[178:179], 1.0
	v_mul_f64 v[178:179], v[193:194], v[180:181]
	v_xor_b32_e32 v181, 0x80000000, v181
.LBB86_826:
	s_andn2_saveexec_b32 s1, s1
	s_cbranch_execz .LBB86_828
; %bb.827:
	v_div_scale_f64 v[193:194], null, v[178:179], v[178:179], v[180:181]
	v_div_scale_f64 v[199:200], vcc_lo, v[180:181], v[178:179], v[180:181]
	v_rcp_f64_e32 v[195:196], v[193:194]
	v_fma_f64 v[197:198], -v[193:194], v[195:196], 1.0
	v_fma_f64 v[195:196], v[195:196], v[197:198], v[195:196]
	v_fma_f64 v[197:198], -v[193:194], v[195:196], 1.0
	v_fma_f64 v[195:196], v[195:196], v[197:198], v[195:196]
	v_mul_f64 v[197:198], v[199:200], v[195:196]
	v_fma_f64 v[193:194], -v[193:194], v[197:198], v[199:200]
	v_div_fmas_f64 v[193:194], v[193:194], v[195:196], v[197:198]
	v_div_fixup_f64 v[193:194], v[193:194], v[178:179], v[180:181]
	v_fma_f64 v[178:179], v[180:181], v[193:194], v[178:179]
	v_div_scale_f64 v[180:181], null, v[178:179], v[178:179], 1.0
	v_rcp_f64_e32 v[195:196], v[180:181]
	v_fma_f64 v[197:198], -v[180:181], v[195:196], 1.0
	v_fma_f64 v[195:196], v[195:196], v[197:198], v[195:196]
	v_fma_f64 v[197:198], -v[180:181], v[195:196], 1.0
	v_fma_f64 v[195:196], v[195:196], v[197:198], v[195:196]
	v_div_scale_f64 v[197:198], vcc_lo, 1.0, v[178:179], 1.0
	v_mul_f64 v[199:200], v[197:198], v[195:196]
	v_fma_f64 v[180:181], -v[180:181], v[199:200], v[197:198]
	v_div_fmas_f64 v[180:181], v[180:181], v[195:196], v[199:200]
	v_div_fixup_f64 v[178:179], v[180:181], v[178:179], 1.0
	v_mul_f64 v[180:181], v[193:194], -v[178:179]
.LBB86_828:
	s_or_b32 exec_lo, exec_lo, s1
.LBB86_829:
	s_or_b32 exec_lo, exec_lo, s0
	s_mov_b32 s0, exec_lo
	v_cmpx_ne_u32_e64 v192, v186
	s_xor_b32 s0, exec_lo, s0
	s_cbranch_execz .LBB86_835
; %bb.830:
	s_mov_b32 s1, exec_lo
	v_cmpx_eq_u32_e32 39, v192
	s_cbranch_execz .LBB86_834
; %bb.831:
	v_cmp_ne_u32_e32 vcc_lo, 39, v186
	s_xor_b32 s2, s16, -1
	s_and_b32 s3, s2, vcc_lo
	s_and_saveexec_b32 s2, s3
	s_cbranch_execz .LBB86_833
; %bb.832:
	v_ashrrev_i32_e32 v187, 31, v186
	v_lshlrev_b64 v[192:193], 2, v[186:187]
	v_add_co_u32 v192, vcc_lo, v184, v192
	v_add_co_ci_u32_e64 v193, null, v185, v193, vcc_lo
	s_clause 0x1
	global_load_dword v0, v[192:193], off
	global_load_dword v187, v[184:185], off offset:156
	s_waitcnt vmcnt(1)
	global_store_dword v[184:185], v0, off offset:156
	s_waitcnt vmcnt(0)
	global_store_dword v[192:193], v187, off
.LBB86_833:
	s_or_b32 exec_lo, exec_lo, s2
	v_mov_b32_e32 v192, v186
	v_mov_b32_e32 v0, v186
.LBB86_834:
	s_or_b32 exec_lo, exec_lo, s1
.LBB86_835:
	s_andn2_saveexec_b32 s0, s0
	s_cbranch_execz .LBB86_837
; %bb.836:
	v_mov_b32_e32 v192, 39
	ds_write2_b64 v1, v[14:15], v[16:17] offset0:80 offset1:81
	ds_write2_b64 v1, v[10:11], v[12:13] offset0:82 offset1:83
	;; [unrolled: 1-line block ×4, first 2 shown]
.LBB86_837:
	s_or_b32 exec_lo, exec_lo, s0
	s_mov_b32 s0, exec_lo
	s_waitcnt lgkmcnt(0)
	s_waitcnt_vscnt null, 0x0
	s_barrier
	buffer_gl0_inv
	v_cmpx_lt_i32_e32 39, v192
	s_cbranch_execz .LBB86_839
; %bb.838:
	v_mul_f64 v[186:187], v[178:179], v[20:21]
	v_mul_f64 v[20:21], v[180:181], v[20:21]
	ds_read2_b64 v[193:196], v1 offset0:80 offset1:81
	ds_read2_b64 v[197:200], v1 offset0:82 offset1:83
	;; [unrolled: 1-line block ×4, first 2 shown]
	v_fma_f64 v[180:181], v[180:181], v[18:19], v[186:187]
	v_fma_f64 v[18:19], v[178:179], v[18:19], -v[20:21]
	s_waitcnt lgkmcnt(3)
	v_mul_f64 v[20:21], v[195:196], v[180:181]
	v_mul_f64 v[178:179], v[193:194], v[180:181]
	s_waitcnt lgkmcnt(2)
	v_mul_f64 v[186:187], v[199:200], v[180:181]
	v_mul_f64 v[209:210], v[197:198], v[180:181]
	s_waitcnt lgkmcnt(1)
	v_mul_f64 v[211:212], v[203:204], v[180:181]
	v_mul_f64 v[213:214], v[201:202], v[180:181]
	s_waitcnt lgkmcnt(0)
	v_mul_f64 v[215:216], v[207:208], v[180:181]
	v_mul_f64 v[217:218], v[205:206], v[180:181]
	v_fma_f64 v[20:21], v[193:194], v[18:19], -v[20:21]
	v_fma_f64 v[178:179], v[195:196], v[18:19], v[178:179]
	v_fma_f64 v[186:187], v[197:198], v[18:19], -v[186:187]
	v_fma_f64 v[193:194], v[199:200], v[18:19], v[209:210]
	;; [unrolled: 2-line block ×4, first 2 shown]
	v_add_f64 v[14:15], v[14:15], -v[20:21]
	v_add_f64 v[16:17], v[16:17], -v[178:179]
	;; [unrolled: 1-line block ×8, first 2 shown]
	v_mov_b32_e32 v20, v180
	v_mov_b32_e32 v21, v181
.LBB86_839:
	s_or_b32 exec_lo, exec_lo, s0
	v_lshl_add_u32 v178, v192, 4, v1
	s_barrier
	buffer_gl0_inv
	v_mov_b32_e32 v186, 40
	ds_write2_b64 v178, v[14:15], v[16:17] offset1:1
	s_waitcnt lgkmcnt(0)
	s_barrier
	buffer_gl0_inv
	ds_read2_b64 v[178:181], v1 offset0:80 offset1:81
	s_cmp_lt_i32 s18, 42
	s_cbranch_scc1 .LBB86_842
; %bb.840:
	v_add3_u32 v187, v188, 0, 0x290
	v_mov_b32_e32 v186, 40
	s_mov_b32 s1, 41
	s_inst_prefetch 0x1
	.p2align	6
.LBB86_841:                             ; =>This Inner Loop Header: Depth=1
	s_waitcnt lgkmcnt(0)
	v_cmp_gt_f64_e32 vcc_lo, 0, v[180:181]
	v_cmp_gt_f64_e64 s0, 0, v[178:179]
	ds_read2_b64 v[193:196], v187 offset1:1
	v_xor_b32_e32 v198, 0x80000000, v179
	v_xor_b32_e32 v200, 0x80000000, v181
	v_mov_b32_e32 v197, v178
	v_mov_b32_e32 v199, v180
	v_add_nc_u32_e32 v187, 16, v187
	s_waitcnt lgkmcnt(0)
	v_xor_b32_e32 v202, 0x80000000, v196
	v_cndmask_b32_e64 v198, v179, v198, s0
	v_cndmask_b32_e32 v200, v181, v200, vcc_lo
	v_cmp_gt_f64_e32 vcc_lo, 0, v[195:196]
	v_cmp_gt_f64_e64 s0, 0, v[193:194]
	v_mov_b32_e32 v201, v195
	v_add_f64 v[197:198], v[197:198], v[199:200]
	v_xor_b32_e32 v200, 0x80000000, v194
	v_mov_b32_e32 v199, v193
	v_cndmask_b32_e32 v202, v196, v202, vcc_lo
	v_cndmask_b32_e64 v200, v194, v200, s0
	v_add_f64 v[199:200], v[199:200], v[201:202]
	v_cmp_lt_f64_e32 vcc_lo, v[197:198], v[199:200]
	v_cndmask_b32_e32 v179, v179, v194, vcc_lo
	v_cndmask_b32_e32 v178, v178, v193, vcc_lo
	;; [unrolled: 1-line block ×4, first 2 shown]
	v_cndmask_b32_e64 v186, v186, s1, vcc_lo
	s_add_i32 s1, s1, 1
	s_cmp_lg_u32 s18, s1
	s_cbranch_scc1 .LBB86_841
.LBB86_842:
	s_inst_prefetch 0x2
	s_waitcnt lgkmcnt(0)
	v_cmp_eq_f64_e32 vcc_lo, 0, v[178:179]
	v_cmp_eq_f64_e64 s0, 0, v[180:181]
	s_and_b32 s0, vcc_lo, s0
	s_and_saveexec_b32 s1, s0
	s_xor_b32 s0, exec_lo, s1
; %bb.843:
	v_cmp_ne_u32_e32 vcc_lo, 0, v191
	v_cndmask_b32_e32 v191, 41, v191, vcc_lo
; %bb.844:
	s_andn2_saveexec_b32 s0, s0
	s_cbranch_execz .LBB86_850
; %bb.845:
	v_cmp_ngt_f64_e64 s1, |v[178:179]|, |v[180:181]|
	s_and_saveexec_b32 s2, s1
	s_xor_b32 s1, exec_lo, s2
	s_cbranch_execz .LBB86_847
; %bb.846:
	v_div_scale_f64 v[193:194], null, v[180:181], v[180:181], v[178:179]
	v_div_scale_f64 v[199:200], vcc_lo, v[178:179], v[180:181], v[178:179]
	v_rcp_f64_e32 v[195:196], v[193:194]
	v_fma_f64 v[197:198], -v[193:194], v[195:196], 1.0
	v_fma_f64 v[195:196], v[195:196], v[197:198], v[195:196]
	v_fma_f64 v[197:198], -v[193:194], v[195:196], 1.0
	v_fma_f64 v[195:196], v[195:196], v[197:198], v[195:196]
	v_mul_f64 v[197:198], v[199:200], v[195:196]
	v_fma_f64 v[193:194], -v[193:194], v[197:198], v[199:200]
	v_div_fmas_f64 v[193:194], v[193:194], v[195:196], v[197:198]
	v_div_fixup_f64 v[193:194], v[193:194], v[180:181], v[178:179]
	v_fma_f64 v[178:179], v[178:179], v[193:194], v[180:181]
	v_div_scale_f64 v[180:181], null, v[178:179], v[178:179], 1.0
	v_rcp_f64_e32 v[195:196], v[180:181]
	v_fma_f64 v[197:198], -v[180:181], v[195:196], 1.0
	v_fma_f64 v[195:196], v[195:196], v[197:198], v[195:196]
	v_fma_f64 v[197:198], -v[180:181], v[195:196], 1.0
	v_fma_f64 v[195:196], v[195:196], v[197:198], v[195:196]
	v_div_scale_f64 v[197:198], vcc_lo, 1.0, v[178:179], 1.0
	v_mul_f64 v[199:200], v[197:198], v[195:196]
	v_fma_f64 v[180:181], -v[180:181], v[199:200], v[197:198]
	v_div_fmas_f64 v[180:181], v[180:181], v[195:196], v[199:200]
	v_div_fixup_f64 v[180:181], v[180:181], v[178:179], 1.0
	v_mul_f64 v[178:179], v[193:194], v[180:181]
	v_xor_b32_e32 v181, 0x80000000, v181
.LBB86_847:
	s_andn2_saveexec_b32 s1, s1
	s_cbranch_execz .LBB86_849
; %bb.848:
	v_div_scale_f64 v[193:194], null, v[178:179], v[178:179], v[180:181]
	v_div_scale_f64 v[199:200], vcc_lo, v[180:181], v[178:179], v[180:181]
	v_rcp_f64_e32 v[195:196], v[193:194]
	v_fma_f64 v[197:198], -v[193:194], v[195:196], 1.0
	v_fma_f64 v[195:196], v[195:196], v[197:198], v[195:196]
	v_fma_f64 v[197:198], -v[193:194], v[195:196], 1.0
	v_fma_f64 v[195:196], v[195:196], v[197:198], v[195:196]
	v_mul_f64 v[197:198], v[199:200], v[195:196]
	v_fma_f64 v[193:194], -v[193:194], v[197:198], v[199:200]
	v_div_fmas_f64 v[193:194], v[193:194], v[195:196], v[197:198]
	v_div_fixup_f64 v[193:194], v[193:194], v[178:179], v[180:181]
	v_fma_f64 v[178:179], v[180:181], v[193:194], v[178:179]
	v_div_scale_f64 v[180:181], null, v[178:179], v[178:179], 1.0
	v_rcp_f64_e32 v[195:196], v[180:181]
	v_fma_f64 v[197:198], -v[180:181], v[195:196], 1.0
	v_fma_f64 v[195:196], v[195:196], v[197:198], v[195:196]
	v_fma_f64 v[197:198], -v[180:181], v[195:196], 1.0
	v_fma_f64 v[195:196], v[195:196], v[197:198], v[195:196]
	v_div_scale_f64 v[197:198], vcc_lo, 1.0, v[178:179], 1.0
	v_mul_f64 v[199:200], v[197:198], v[195:196]
	v_fma_f64 v[180:181], -v[180:181], v[199:200], v[197:198]
	v_div_fmas_f64 v[180:181], v[180:181], v[195:196], v[199:200]
	v_div_fixup_f64 v[178:179], v[180:181], v[178:179], 1.0
	v_mul_f64 v[180:181], v[193:194], -v[178:179]
.LBB86_849:
	s_or_b32 exec_lo, exec_lo, s1
.LBB86_850:
	s_or_b32 exec_lo, exec_lo, s0
	s_mov_b32 s0, exec_lo
	v_cmpx_ne_u32_e64 v192, v186
	s_xor_b32 s0, exec_lo, s0
	s_cbranch_execz .LBB86_856
; %bb.851:
	s_mov_b32 s1, exec_lo
	v_cmpx_eq_u32_e32 40, v192
	s_cbranch_execz .LBB86_855
; %bb.852:
	v_cmp_ne_u32_e32 vcc_lo, 40, v186
	s_xor_b32 s2, s16, -1
	s_and_b32 s3, s2, vcc_lo
	s_and_saveexec_b32 s2, s3
	s_cbranch_execz .LBB86_854
; %bb.853:
	v_ashrrev_i32_e32 v187, 31, v186
	v_lshlrev_b64 v[192:193], 2, v[186:187]
	v_add_co_u32 v192, vcc_lo, v184, v192
	v_add_co_ci_u32_e64 v193, null, v185, v193, vcc_lo
	s_clause 0x1
	global_load_dword v0, v[192:193], off
	global_load_dword v187, v[184:185], off offset:160
	s_waitcnt vmcnt(1)
	global_store_dword v[184:185], v0, off offset:160
	s_waitcnt vmcnt(0)
	global_store_dword v[192:193], v187, off
.LBB86_854:
	s_or_b32 exec_lo, exec_lo, s2
	v_mov_b32_e32 v192, v186
	v_mov_b32_e32 v0, v186
.LBB86_855:
	s_or_b32 exec_lo, exec_lo, s1
.LBB86_856:
	s_andn2_saveexec_b32 s0, s0
	s_cbranch_execz .LBB86_858
; %bb.857:
	v_mov_b32_e32 v192, 40
	ds_write2_b64 v1, v[10:11], v[12:13] offset0:82 offset1:83
	ds_write2_b64 v1, v[6:7], v[8:9] offset0:84 offset1:85
	;; [unrolled: 1-line block ×3, first 2 shown]
.LBB86_858:
	s_or_b32 exec_lo, exec_lo, s0
	s_mov_b32 s0, exec_lo
	s_waitcnt lgkmcnt(0)
	s_waitcnt_vscnt null, 0x0
	s_barrier
	buffer_gl0_inv
	v_cmpx_lt_i32_e32 40, v192
	s_cbranch_execz .LBB86_860
; %bb.859:
	v_mul_f64 v[186:187], v[178:179], v[16:17]
	v_mul_f64 v[16:17], v[180:181], v[16:17]
	ds_read2_b64 v[193:196], v1 offset0:82 offset1:83
	ds_read2_b64 v[197:200], v1 offset0:84 offset1:85
	;; [unrolled: 1-line block ×3, first 2 shown]
	v_fma_f64 v[180:181], v[180:181], v[14:15], v[186:187]
	v_fma_f64 v[14:15], v[178:179], v[14:15], -v[16:17]
	s_waitcnt lgkmcnt(2)
	v_mul_f64 v[16:17], v[195:196], v[180:181]
	v_mul_f64 v[178:179], v[193:194], v[180:181]
	s_waitcnt lgkmcnt(1)
	v_mul_f64 v[186:187], v[199:200], v[180:181]
	v_mul_f64 v[205:206], v[197:198], v[180:181]
	;; [unrolled: 3-line block ×3, first 2 shown]
	v_fma_f64 v[16:17], v[193:194], v[14:15], -v[16:17]
	v_fma_f64 v[178:179], v[195:196], v[14:15], v[178:179]
	v_fma_f64 v[186:187], v[197:198], v[14:15], -v[186:187]
	v_fma_f64 v[193:194], v[199:200], v[14:15], v[205:206]
	;; [unrolled: 2-line block ×3, first 2 shown]
	v_add_f64 v[10:11], v[10:11], -v[16:17]
	v_add_f64 v[12:13], v[12:13], -v[178:179]
	;; [unrolled: 1-line block ×6, first 2 shown]
	v_mov_b32_e32 v16, v180
	v_mov_b32_e32 v17, v181
.LBB86_860:
	s_or_b32 exec_lo, exec_lo, s0
	v_lshl_add_u32 v178, v192, 4, v1
	s_barrier
	buffer_gl0_inv
	v_mov_b32_e32 v186, 41
	ds_write2_b64 v178, v[10:11], v[12:13] offset1:1
	s_waitcnt lgkmcnt(0)
	s_barrier
	buffer_gl0_inv
	ds_read2_b64 v[178:181], v1 offset0:82 offset1:83
	s_cmp_lt_i32 s18, 43
	s_cbranch_scc1 .LBB86_863
; %bb.861:
	v_add3_u32 v187, v188, 0, 0x2a0
	v_mov_b32_e32 v186, 41
	s_mov_b32 s1, 42
	s_inst_prefetch 0x1
	.p2align	6
.LBB86_862:                             ; =>This Inner Loop Header: Depth=1
	s_waitcnt lgkmcnt(0)
	v_cmp_gt_f64_e32 vcc_lo, 0, v[180:181]
	v_cmp_gt_f64_e64 s0, 0, v[178:179]
	ds_read2_b64 v[193:196], v187 offset1:1
	v_xor_b32_e32 v198, 0x80000000, v179
	v_xor_b32_e32 v200, 0x80000000, v181
	v_mov_b32_e32 v197, v178
	v_mov_b32_e32 v199, v180
	v_add_nc_u32_e32 v187, 16, v187
	s_waitcnt lgkmcnt(0)
	v_xor_b32_e32 v202, 0x80000000, v196
	v_cndmask_b32_e64 v198, v179, v198, s0
	v_cndmask_b32_e32 v200, v181, v200, vcc_lo
	v_cmp_gt_f64_e32 vcc_lo, 0, v[195:196]
	v_cmp_gt_f64_e64 s0, 0, v[193:194]
	v_mov_b32_e32 v201, v195
	v_add_f64 v[197:198], v[197:198], v[199:200]
	v_xor_b32_e32 v200, 0x80000000, v194
	v_mov_b32_e32 v199, v193
	v_cndmask_b32_e32 v202, v196, v202, vcc_lo
	v_cndmask_b32_e64 v200, v194, v200, s0
	v_add_f64 v[199:200], v[199:200], v[201:202]
	v_cmp_lt_f64_e32 vcc_lo, v[197:198], v[199:200]
	v_cndmask_b32_e32 v179, v179, v194, vcc_lo
	v_cndmask_b32_e32 v178, v178, v193, vcc_lo
	v_cndmask_b32_e32 v181, v181, v196, vcc_lo
	v_cndmask_b32_e32 v180, v180, v195, vcc_lo
	v_cndmask_b32_e64 v186, v186, s1, vcc_lo
	s_add_i32 s1, s1, 1
	s_cmp_lg_u32 s18, s1
	s_cbranch_scc1 .LBB86_862
.LBB86_863:
	s_inst_prefetch 0x2
	s_waitcnt lgkmcnt(0)
	v_cmp_eq_f64_e32 vcc_lo, 0, v[178:179]
	v_cmp_eq_f64_e64 s0, 0, v[180:181]
	s_and_b32 s0, vcc_lo, s0
	s_and_saveexec_b32 s1, s0
	s_xor_b32 s0, exec_lo, s1
; %bb.864:
	v_cmp_ne_u32_e32 vcc_lo, 0, v191
	v_cndmask_b32_e32 v191, 42, v191, vcc_lo
; %bb.865:
	s_andn2_saveexec_b32 s0, s0
	s_cbranch_execz .LBB86_871
; %bb.866:
	v_cmp_ngt_f64_e64 s1, |v[178:179]|, |v[180:181]|
	s_and_saveexec_b32 s2, s1
	s_xor_b32 s1, exec_lo, s2
	s_cbranch_execz .LBB86_868
; %bb.867:
	v_div_scale_f64 v[193:194], null, v[180:181], v[180:181], v[178:179]
	v_div_scale_f64 v[199:200], vcc_lo, v[178:179], v[180:181], v[178:179]
	v_rcp_f64_e32 v[195:196], v[193:194]
	v_fma_f64 v[197:198], -v[193:194], v[195:196], 1.0
	v_fma_f64 v[195:196], v[195:196], v[197:198], v[195:196]
	v_fma_f64 v[197:198], -v[193:194], v[195:196], 1.0
	v_fma_f64 v[195:196], v[195:196], v[197:198], v[195:196]
	v_mul_f64 v[197:198], v[199:200], v[195:196]
	v_fma_f64 v[193:194], -v[193:194], v[197:198], v[199:200]
	v_div_fmas_f64 v[193:194], v[193:194], v[195:196], v[197:198]
	v_div_fixup_f64 v[193:194], v[193:194], v[180:181], v[178:179]
	v_fma_f64 v[178:179], v[178:179], v[193:194], v[180:181]
	v_div_scale_f64 v[180:181], null, v[178:179], v[178:179], 1.0
	v_rcp_f64_e32 v[195:196], v[180:181]
	v_fma_f64 v[197:198], -v[180:181], v[195:196], 1.0
	v_fma_f64 v[195:196], v[195:196], v[197:198], v[195:196]
	v_fma_f64 v[197:198], -v[180:181], v[195:196], 1.0
	v_fma_f64 v[195:196], v[195:196], v[197:198], v[195:196]
	v_div_scale_f64 v[197:198], vcc_lo, 1.0, v[178:179], 1.0
	v_mul_f64 v[199:200], v[197:198], v[195:196]
	v_fma_f64 v[180:181], -v[180:181], v[199:200], v[197:198]
	v_div_fmas_f64 v[180:181], v[180:181], v[195:196], v[199:200]
	v_div_fixup_f64 v[180:181], v[180:181], v[178:179], 1.0
	v_mul_f64 v[178:179], v[193:194], v[180:181]
	v_xor_b32_e32 v181, 0x80000000, v181
.LBB86_868:
	s_andn2_saveexec_b32 s1, s1
	s_cbranch_execz .LBB86_870
; %bb.869:
	v_div_scale_f64 v[193:194], null, v[178:179], v[178:179], v[180:181]
	v_div_scale_f64 v[199:200], vcc_lo, v[180:181], v[178:179], v[180:181]
	v_rcp_f64_e32 v[195:196], v[193:194]
	v_fma_f64 v[197:198], -v[193:194], v[195:196], 1.0
	v_fma_f64 v[195:196], v[195:196], v[197:198], v[195:196]
	v_fma_f64 v[197:198], -v[193:194], v[195:196], 1.0
	v_fma_f64 v[195:196], v[195:196], v[197:198], v[195:196]
	v_mul_f64 v[197:198], v[199:200], v[195:196]
	v_fma_f64 v[193:194], -v[193:194], v[197:198], v[199:200]
	v_div_fmas_f64 v[193:194], v[193:194], v[195:196], v[197:198]
	v_div_fixup_f64 v[193:194], v[193:194], v[178:179], v[180:181]
	v_fma_f64 v[178:179], v[180:181], v[193:194], v[178:179]
	v_div_scale_f64 v[180:181], null, v[178:179], v[178:179], 1.0
	v_rcp_f64_e32 v[195:196], v[180:181]
	v_fma_f64 v[197:198], -v[180:181], v[195:196], 1.0
	v_fma_f64 v[195:196], v[195:196], v[197:198], v[195:196]
	v_fma_f64 v[197:198], -v[180:181], v[195:196], 1.0
	v_fma_f64 v[195:196], v[195:196], v[197:198], v[195:196]
	v_div_scale_f64 v[197:198], vcc_lo, 1.0, v[178:179], 1.0
	v_mul_f64 v[199:200], v[197:198], v[195:196]
	v_fma_f64 v[180:181], -v[180:181], v[199:200], v[197:198]
	v_div_fmas_f64 v[180:181], v[180:181], v[195:196], v[199:200]
	v_div_fixup_f64 v[178:179], v[180:181], v[178:179], 1.0
	v_mul_f64 v[180:181], v[193:194], -v[178:179]
.LBB86_870:
	s_or_b32 exec_lo, exec_lo, s1
.LBB86_871:
	s_or_b32 exec_lo, exec_lo, s0
	s_mov_b32 s0, exec_lo
	v_cmpx_ne_u32_e64 v192, v186
	s_xor_b32 s0, exec_lo, s0
	s_cbranch_execz .LBB86_877
; %bb.872:
	s_mov_b32 s1, exec_lo
	v_cmpx_eq_u32_e32 41, v192
	s_cbranch_execz .LBB86_876
; %bb.873:
	v_cmp_ne_u32_e32 vcc_lo, 41, v186
	s_xor_b32 s2, s16, -1
	s_and_b32 s3, s2, vcc_lo
	s_and_saveexec_b32 s2, s3
	s_cbranch_execz .LBB86_875
; %bb.874:
	v_ashrrev_i32_e32 v187, 31, v186
	v_lshlrev_b64 v[192:193], 2, v[186:187]
	v_add_co_u32 v192, vcc_lo, v184, v192
	v_add_co_ci_u32_e64 v193, null, v185, v193, vcc_lo
	s_clause 0x1
	global_load_dword v0, v[192:193], off
	global_load_dword v187, v[184:185], off offset:164
	s_waitcnt vmcnt(1)
	global_store_dword v[184:185], v0, off offset:164
	s_waitcnt vmcnt(0)
	global_store_dword v[192:193], v187, off
.LBB86_875:
	s_or_b32 exec_lo, exec_lo, s2
	v_mov_b32_e32 v192, v186
	v_mov_b32_e32 v0, v186
.LBB86_876:
	s_or_b32 exec_lo, exec_lo, s1
.LBB86_877:
	s_andn2_saveexec_b32 s0, s0
	s_cbranch_execz .LBB86_879
; %bb.878:
	v_mov_b32_e32 v192, 41
	ds_write2_b64 v1, v[6:7], v[8:9] offset0:84 offset1:85
	ds_write2_b64 v1, v[2:3], v[4:5] offset0:86 offset1:87
.LBB86_879:
	s_or_b32 exec_lo, exec_lo, s0
	s_mov_b32 s0, exec_lo
	s_waitcnt lgkmcnt(0)
	s_waitcnt_vscnt null, 0x0
	s_barrier
	buffer_gl0_inv
	v_cmpx_lt_i32_e32 41, v192
	s_cbranch_execz .LBB86_881
; %bb.880:
	v_mul_f64 v[186:187], v[178:179], v[12:13]
	v_mul_f64 v[12:13], v[180:181], v[12:13]
	ds_read2_b64 v[193:196], v1 offset0:84 offset1:85
	ds_read2_b64 v[197:200], v1 offset0:86 offset1:87
	v_fma_f64 v[180:181], v[180:181], v[10:11], v[186:187]
	v_fma_f64 v[10:11], v[178:179], v[10:11], -v[12:13]
	s_waitcnt lgkmcnt(1)
	v_mul_f64 v[12:13], v[195:196], v[180:181]
	v_mul_f64 v[178:179], v[193:194], v[180:181]
	s_waitcnt lgkmcnt(0)
	v_mul_f64 v[186:187], v[199:200], v[180:181]
	v_mul_f64 v[201:202], v[197:198], v[180:181]
	v_fma_f64 v[12:13], v[193:194], v[10:11], -v[12:13]
	v_fma_f64 v[178:179], v[195:196], v[10:11], v[178:179]
	v_fma_f64 v[186:187], v[197:198], v[10:11], -v[186:187]
	v_fma_f64 v[193:194], v[199:200], v[10:11], v[201:202]
	v_add_f64 v[6:7], v[6:7], -v[12:13]
	v_add_f64 v[8:9], v[8:9], -v[178:179]
	;; [unrolled: 1-line block ×4, first 2 shown]
	v_mov_b32_e32 v12, v180
	v_mov_b32_e32 v13, v181
.LBB86_881:
	s_or_b32 exec_lo, exec_lo, s0
	v_lshl_add_u32 v178, v192, 4, v1
	s_barrier
	buffer_gl0_inv
	v_mov_b32_e32 v186, 42
	ds_write2_b64 v178, v[6:7], v[8:9] offset1:1
	s_waitcnt lgkmcnt(0)
	s_barrier
	buffer_gl0_inv
	ds_read2_b64 v[178:181], v1 offset0:84 offset1:85
	s_cmp_lt_i32 s18, 44
	s_cbranch_scc1 .LBB86_884
; %bb.882:
	v_add3_u32 v187, v188, 0, 0x2b0
	v_mov_b32_e32 v186, 42
	s_mov_b32 s1, 43
	s_inst_prefetch 0x1
	.p2align	6
.LBB86_883:                             ; =>This Inner Loop Header: Depth=1
	s_waitcnt lgkmcnt(0)
	v_cmp_gt_f64_e32 vcc_lo, 0, v[180:181]
	v_cmp_gt_f64_e64 s0, 0, v[178:179]
	ds_read2_b64 v[193:196], v187 offset1:1
	v_xor_b32_e32 v198, 0x80000000, v179
	v_xor_b32_e32 v200, 0x80000000, v181
	v_mov_b32_e32 v197, v178
	v_mov_b32_e32 v199, v180
	v_add_nc_u32_e32 v187, 16, v187
	s_waitcnt lgkmcnt(0)
	v_xor_b32_e32 v202, 0x80000000, v196
	v_cndmask_b32_e64 v198, v179, v198, s0
	v_cndmask_b32_e32 v200, v181, v200, vcc_lo
	v_cmp_gt_f64_e32 vcc_lo, 0, v[195:196]
	v_cmp_gt_f64_e64 s0, 0, v[193:194]
	v_mov_b32_e32 v201, v195
	v_add_f64 v[197:198], v[197:198], v[199:200]
	v_xor_b32_e32 v200, 0x80000000, v194
	v_mov_b32_e32 v199, v193
	v_cndmask_b32_e32 v202, v196, v202, vcc_lo
	v_cndmask_b32_e64 v200, v194, v200, s0
	v_add_f64 v[199:200], v[199:200], v[201:202]
	v_cmp_lt_f64_e32 vcc_lo, v[197:198], v[199:200]
	v_cndmask_b32_e32 v179, v179, v194, vcc_lo
	v_cndmask_b32_e32 v178, v178, v193, vcc_lo
	;; [unrolled: 1-line block ×4, first 2 shown]
	v_cndmask_b32_e64 v186, v186, s1, vcc_lo
	s_add_i32 s1, s1, 1
	s_cmp_lg_u32 s18, s1
	s_cbranch_scc1 .LBB86_883
.LBB86_884:
	s_inst_prefetch 0x2
	s_waitcnt lgkmcnt(0)
	v_cmp_eq_f64_e32 vcc_lo, 0, v[178:179]
	v_cmp_eq_f64_e64 s0, 0, v[180:181]
	s_and_b32 s0, vcc_lo, s0
	s_and_saveexec_b32 s1, s0
	s_xor_b32 s0, exec_lo, s1
; %bb.885:
	v_cmp_ne_u32_e32 vcc_lo, 0, v191
	v_cndmask_b32_e32 v191, 43, v191, vcc_lo
; %bb.886:
	s_andn2_saveexec_b32 s0, s0
	s_cbranch_execz .LBB86_892
; %bb.887:
	v_cmp_ngt_f64_e64 s1, |v[178:179]|, |v[180:181]|
	s_and_saveexec_b32 s2, s1
	s_xor_b32 s1, exec_lo, s2
	s_cbranch_execz .LBB86_889
; %bb.888:
	v_div_scale_f64 v[193:194], null, v[180:181], v[180:181], v[178:179]
	v_div_scale_f64 v[199:200], vcc_lo, v[178:179], v[180:181], v[178:179]
	v_rcp_f64_e32 v[195:196], v[193:194]
	v_fma_f64 v[197:198], -v[193:194], v[195:196], 1.0
	v_fma_f64 v[195:196], v[195:196], v[197:198], v[195:196]
	v_fma_f64 v[197:198], -v[193:194], v[195:196], 1.0
	v_fma_f64 v[195:196], v[195:196], v[197:198], v[195:196]
	v_mul_f64 v[197:198], v[199:200], v[195:196]
	v_fma_f64 v[193:194], -v[193:194], v[197:198], v[199:200]
	v_div_fmas_f64 v[193:194], v[193:194], v[195:196], v[197:198]
	v_div_fixup_f64 v[193:194], v[193:194], v[180:181], v[178:179]
	v_fma_f64 v[178:179], v[178:179], v[193:194], v[180:181]
	v_div_scale_f64 v[180:181], null, v[178:179], v[178:179], 1.0
	v_rcp_f64_e32 v[195:196], v[180:181]
	v_fma_f64 v[197:198], -v[180:181], v[195:196], 1.0
	v_fma_f64 v[195:196], v[195:196], v[197:198], v[195:196]
	v_fma_f64 v[197:198], -v[180:181], v[195:196], 1.0
	v_fma_f64 v[195:196], v[195:196], v[197:198], v[195:196]
	v_div_scale_f64 v[197:198], vcc_lo, 1.0, v[178:179], 1.0
	v_mul_f64 v[199:200], v[197:198], v[195:196]
	v_fma_f64 v[180:181], -v[180:181], v[199:200], v[197:198]
	v_div_fmas_f64 v[180:181], v[180:181], v[195:196], v[199:200]
	v_div_fixup_f64 v[180:181], v[180:181], v[178:179], 1.0
	v_mul_f64 v[178:179], v[193:194], v[180:181]
	v_xor_b32_e32 v181, 0x80000000, v181
.LBB86_889:
	s_andn2_saveexec_b32 s1, s1
	s_cbranch_execz .LBB86_891
; %bb.890:
	v_div_scale_f64 v[193:194], null, v[178:179], v[178:179], v[180:181]
	v_div_scale_f64 v[199:200], vcc_lo, v[180:181], v[178:179], v[180:181]
	v_rcp_f64_e32 v[195:196], v[193:194]
	v_fma_f64 v[197:198], -v[193:194], v[195:196], 1.0
	v_fma_f64 v[195:196], v[195:196], v[197:198], v[195:196]
	v_fma_f64 v[197:198], -v[193:194], v[195:196], 1.0
	v_fma_f64 v[195:196], v[195:196], v[197:198], v[195:196]
	v_mul_f64 v[197:198], v[199:200], v[195:196]
	v_fma_f64 v[193:194], -v[193:194], v[197:198], v[199:200]
	v_div_fmas_f64 v[193:194], v[193:194], v[195:196], v[197:198]
	v_div_fixup_f64 v[193:194], v[193:194], v[178:179], v[180:181]
	v_fma_f64 v[178:179], v[180:181], v[193:194], v[178:179]
	v_div_scale_f64 v[180:181], null, v[178:179], v[178:179], 1.0
	v_rcp_f64_e32 v[195:196], v[180:181]
	v_fma_f64 v[197:198], -v[180:181], v[195:196], 1.0
	v_fma_f64 v[195:196], v[195:196], v[197:198], v[195:196]
	v_fma_f64 v[197:198], -v[180:181], v[195:196], 1.0
	v_fma_f64 v[195:196], v[195:196], v[197:198], v[195:196]
	v_div_scale_f64 v[197:198], vcc_lo, 1.0, v[178:179], 1.0
	v_mul_f64 v[199:200], v[197:198], v[195:196]
	v_fma_f64 v[180:181], -v[180:181], v[199:200], v[197:198]
	v_div_fmas_f64 v[180:181], v[180:181], v[195:196], v[199:200]
	v_div_fixup_f64 v[178:179], v[180:181], v[178:179], 1.0
	v_mul_f64 v[180:181], v[193:194], -v[178:179]
.LBB86_891:
	s_or_b32 exec_lo, exec_lo, s1
.LBB86_892:
	s_or_b32 exec_lo, exec_lo, s0
	s_mov_b32 s0, exec_lo
	v_cmpx_ne_u32_e64 v192, v186
	s_xor_b32 s0, exec_lo, s0
	s_cbranch_execz .LBB86_898
; %bb.893:
	s_mov_b32 s1, exec_lo
	v_cmpx_eq_u32_e32 42, v192
	s_cbranch_execz .LBB86_897
; %bb.894:
	v_cmp_ne_u32_e32 vcc_lo, 42, v186
	s_xor_b32 s2, s16, -1
	s_and_b32 s3, s2, vcc_lo
	s_and_saveexec_b32 s2, s3
	s_cbranch_execz .LBB86_896
; %bb.895:
	v_ashrrev_i32_e32 v187, 31, v186
	v_lshlrev_b64 v[192:193], 2, v[186:187]
	v_add_co_u32 v192, vcc_lo, v184, v192
	v_add_co_ci_u32_e64 v193, null, v185, v193, vcc_lo
	s_clause 0x1
	global_load_dword v0, v[192:193], off
	global_load_dword v187, v[184:185], off offset:168
	s_waitcnt vmcnt(1)
	global_store_dword v[184:185], v0, off offset:168
	s_waitcnt vmcnt(0)
	global_store_dword v[192:193], v187, off
.LBB86_896:
	s_or_b32 exec_lo, exec_lo, s2
	v_mov_b32_e32 v192, v186
	v_mov_b32_e32 v0, v186
.LBB86_897:
	s_or_b32 exec_lo, exec_lo, s1
.LBB86_898:
	s_andn2_saveexec_b32 s0, s0
; %bb.899:
	v_mov_b32_e32 v192, 42
	ds_write2_b64 v1, v[2:3], v[4:5] offset0:86 offset1:87
; %bb.900:
	s_or_b32 exec_lo, exec_lo, s0
	s_mov_b32 s0, exec_lo
	s_waitcnt lgkmcnt(0)
	s_waitcnt_vscnt null, 0x0
	s_barrier
	buffer_gl0_inv
	v_cmpx_lt_i32_e32 42, v192
	s_cbranch_execz .LBB86_902
; %bb.901:
	v_mul_f64 v[186:187], v[178:179], v[8:9]
	v_mul_f64 v[8:9], v[180:181], v[8:9]
	ds_read2_b64 v[193:196], v1 offset0:86 offset1:87
	v_fma_f64 v[180:181], v[180:181], v[6:7], v[186:187]
	v_fma_f64 v[6:7], v[178:179], v[6:7], -v[8:9]
	s_waitcnt lgkmcnt(0)
	v_mul_f64 v[8:9], v[195:196], v[180:181]
	v_mul_f64 v[178:179], v[193:194], v[180:181]
	v_fma_f64 v[8:9], v[193:194], v[6:7], -v[8:9]
	v_fma_f64 v[178:179], v[195:196], v[6:7], v[178:179]
	v_add_f64 v[2:3], v[2:3], -v[8:9]
	v_add_f64 v[4:5], v[4:5], -v[178:179]
	v_mov_b32_e32 v8, v180
	v_mov_b32_e32 v9, v181
.LBB86_902:
	s_or_b32 exec_lo, exec_lo, s0
	v_lshl_add_u32 v178, v192, 4, v1
	s_barrier
	buffer_gl0_inv
	v_mov_b32_e32 v186, 43
	ds_write2_b64 v178, v[2:3], v[4:5] offset1:1
	s_waitcnt lgkmcnt(0)
	s_barrier
	buffer_gl0_inv
	ds_read2_b64 v[178:181], v1 offset0:86 offset1:87
	s_cmp_lt_i32 s18, 45
	s_cbranch_scc1 .LBB86_905
; %bb.903:
	v_add3_u32 v1, v188, 0, 0x2c0
	v_mov_b32_e32 v186, 43
	s_mov_b32 s1, 44
	s_inst_prefetch 0x1
	.p2align	6
.LBB86_904:                             ; =>This Inner Loop Header: Depth=1
	s_waitcnt lgkmcnt(0)
	v_cmp_gt_f64_e32 vcc_lo, 0, v[180:181]
	v_cmp_gt_f64_e64 s0, 0, v[178:179]
	ds_read2_b64 v[193:196], v1 offset1:1
	v_xor_b32_e32 v188, 0x80000000, v179
	v_xor_b32_e32 v198, 0x80000000, v181
	v_mov_b32_e32 v187, v178
	v_mov_b32_e32 v197, v180
	v_add_nc_u32_e32 v1, 16, v1
	s_waitcnt lgkmcnt(0)
	v_xor_b32_e32 v200, 0x80000000, v196
	v_cndmask_b32_e64 v188, v179, v188, s0
	v_cndmask_b32_e32 v198, v181, v198, vcc_lo
	v_cmp_gt_f64_e32 vcc_lo, 0, v[195:196]
	v_cmp_gt_f64_e64 s0, 0, v[193:194]
	v_mov_b32_e32 v199, v195
	v_add_f64 v[187:188], v[187:188], v[197:198]
	v_xor_b32_e32 v198, 0x80000000, v194
	v_mov_b32_e32 v197, v193
	v_cndmask_b32_e32 v200, v196, v200, vcc_lo
	v_cndmask_b32_e64 v198, v194, v198, s0
	v_add_f64 v[197:198], v[197:198], v[199:200]
	v_cmp_lt_f64_e32 vcc_lo, v[187:188], v[197:198]
	v_cndmask_b32_e32 v179, v179, v194, vcc_lo
	v_cndmask_b32_e32 v178, v178, v193, vcc_lo
	;; [unrolled: 1-line block ×4, first 2 shown]
	v_cndmask_b32_e64 v186, v186, s1, vcc_lo
	s_add_i32 s1, s1, 1
	s_cmp_lg_u32 s18, s1
	s_cbranch_scc1 .LBB86_904
.LBB86_905:
	s_inst_prefetch 0x2
	s_waitcnt lgkmcnt(0)
	v_cmp_eq_f64_e32 vcc_lo, 0, v[178:179]
	v_cmp_eq_f64_e64 s0, 0, v[180:181]
	s_and_b32 s0, vcc_lo, s0
	s_and_saveexec_b32 s1, s0
	s_xor_b32 s0, exec_lo, s1
; %bb.906:
	v_cmp_ne_u32_e32 vcc_lo, 0, v191
	v_cndmask_b32_e32 v191, 44, v191, vcc_lo
; %bb.907:
	s_andn2_saveexec_b32 s0, s0
	s_cbranch_execz .LBB86_913
; %bb.908:
	v_cmp_ngt_f64_e64 s1, |v[178:179]|, |v[180:181]|
	s_and_saveexec_b32 s2, s1
	s_xor_b32 s1, exec_lo, s2
	s_cbranch_execz .LBB86_910
; %bb.909:
	v_div_scale_f64 v[187:188], null, v[180:181], v[180:181], v[178:179]
	v_div_scale_f64 v[197:198], vcc_lo, v[178:179], v[180:181], v[178:179]
	v_rcp_f64_e32 v[193:194], v[187:188]
	v_fma_f64 v[195:196], -v[187:188], v[193:194], 1.0
	v_fma_f64 v[193:194], v[193:194], v[195:196], v[193:194]
	v_fma_f64 v[195:196], -v[187:188], v[193:194], 1.0
	v_fma_f64 v[193:194], v[193:194], v[195:196], v[193:194]
	v_mul_f64 v[195:196], v[197:198], v[193:194]
	v_fma_f64 v[187:188], -v[187:188], v[195:196], v[197:198]
	v_div_fmas_f64 v[187:188], v[187:188], v[193:194], v[195:196]
	v_div_fixup_f64 v[187:188], v[187:188], v[180:181], v[178:179]
	v_fma_f64 v[178:179], v[178:179], v[187:188], v[180:181]
	v_div_scale_f64 v[180:181], null, v[178:179], v[178:179], 1.0
	v_rcp_f64_e32 v[193:194], v[180:181]
	v_fma_f64 v[195:196], -v[180:181], v[193:194], 1.0
	v_fma_f64 v[193:194], v[193:194], v[195:196], v[193:194]
	v_fma_f64 v[195:196], -v[180:181], v[193:194], 1.0
	v_fma_f64 v[193:194], v[193:194], v[195:196], v[193:194]
	v_div_scale_f64 v[195:196], vcc_lo, 1.0, v[178:179], 1.0
	v_mul_f64 v[197:198], v[195:196], v[193:194]
	v_fma_f64 v[180:181], -v[180:181], v[197:198], v[195:196]
	v_div_fmas_f64 v[180:181], v[180:181], v[193:194], v[197:198]
	v_div_fixup_f64 v[180:181], v[180:181], v[178:179], 1.0
	v_mul_f64 v[178:179], v[187:188], v[180:181]
	v_xor_b32_e32 v181, 0x80000000, v181
.LBB86_910:
	s_andn2_saveexec_b32 s1, s1
	s_cbranch_execz .LBB86_912
; %bb.911:
	v_div_scale_f64 v[187:188], null, v[178:179], v[178:179], v[180:181]
	v_div_scale_f64 v[197:198], vcc_lo, v[180:181], v[178:179], v[180:181]
	v_rcp_f64_e32 v[193:194], v[187:188]
	v_fma_f64 v[195:196], -v[187:188], v[193:194], 1.0
	v_fma_f64 v[193:194], v[193:194], v[195:196], v[193:194]
	v_fma_f64 v[195:196], -v[187:188], v[193:194], 1.0
	v_fma_f64 v[193:194], v[193:194], v[195:196], v[193:194]
	v_mul_f64 v[195:196], v[197:198], v[193:194]
	v_fma_f64 v[187:188], -v[187:188], v[195:196], v[197:198]
	v_div_fmas_f64 v[187:188], v[187:188], v[193:194], v[195:196]
	v_div_fixup_f64 v[187:188], v[187:188], v[178:179], v[180:181]
	v_fma_f64 v[178:179], v[180:181], v[187:188], v[178:179]
	v_div_scale_f64 v[180:181], null, v[178:179], v[178:179], 1.0
	v_rcp_f64_e32 v[193:194], v[180:181]
	v_fma_f64 v[195:196], -v[180:181], v[193:194], 1.0
	v_fma_f64 v[193:194], v[193:194], v[195:196], v[193:194]
	v_fma_f64 v[195:196], -v[180:181], v[193:194], 1.0
	v_fma_f64 v[193:194], v[193:194], v[195:196], v[193:194]
	v_div_scale_f64 v[195:196], vcc_lo, 1.0, v[178:179], 1.0
	v_mul_f64 v[197:198], v[195:196], v[193:194]
	v_fma_f64 v[180:181], -v[180:181], v[197:198], v[195:196]
	v_div_fmas_f64 v[180:181], v[180:181], v[193:194], v[197:198]
	v_div_fixup_f64 v[178:179], v[180:181], v[178:179], 1.0
	v_mul_f64 v[180:181], v[187:188], -v[178:179]
.LBB86_912:
	s_or_b32 exec_lo, exec_lo, s1
.LBB86_913:
	s_or_b32 exec_lo, exec_lo, s0
	v_mov_b32_e32 v187, 43
	s_mov_b32 s0, exec_lo
	v_cmpx_ne_u32_e64 v192, v186
	s_cbranch_execz .LBB86_919
; %bb.914:
	s_mov_b32 s1, exec_lo
	v_cmpx_eq_u32_e32 43, v192
	s_cbranch_execz .LBB86_918
; %bb.915:
	v_cmp_ne_u32_e32 vcc_lo, 43, v186
	s_xor_b32 s2, s16, -1
	s_and_b32 s3, s2, vcc_lo
	s_and_saveexec_b32 s2, s3
	s_cbranch_execz .LBB86_917
; %bb.916:
	v_ashrrev_i32_e32 v187, 31, v186
	v_lshlrev_b64 v[0:1], 2, v[186:187]
	v_add_co_u32 v0, vcc_lo, v184, v0
	v_add_co_ci_u32_e64 v1, null, v185, v1, vcc_lo
	s_clause 0x1
	global_load_dword v187, v[0:1], off
	global_load_dword v188, v[184:185], off offset:172
	s_waitcnt vmcnt(1)
	global_store_dword v[184:185], v187, off offset:172
	s_waitcnt vmcnt(0)
	global_store_dword v[0:1], v188, off
.LBB86_917:
	s_or_b32 exec_lo, exec_lo, s2
	v_mov_b32_e32 v192, v186
	v_mov_b32_e32 v0, v186
.LBB86_918:
	s_or_b32 exec_lo, exec_lo, s1
	v_mov_b32_e32 v187, v192
.LBB86_919:
	s_or_b32 exec_lo, exec_lo, s0
	s_mov_b32 s0, exec_lo
	s_waitcnt_vscnt null, 0x0
	s_barrier
	buffer_gl0_inv
	v_cmpx_lt_i32_e32 43, v187
	s_cbranch_execz .LBB86_921
; %bb.920:
	v_mul_f64 v[184:185], v[180:181], v[4:5]
	v_mul_f64 v[4:5], v[178:179], v[4:5]
	v_fma_f64 v[178:179], v[178:179], v[2:3], -v[184:185]
	v_fma_f64 v[4:5], v[180:181], v[2:3], v[4:5]
	v_mov_b32_e32 v2, v178
	v_mov_b32_e32 v3, v179
.LBB86_921:
	s_or_b32 exec_lo, exec_lo, s0
	v_ashrrev_i32_e32 v188, 31, v187
	s_mov_b32 s0, exec_lo
	s_barrier
	buffer_gl0_inv
	v_cmpx_gt_i32_e32 44, v187
	s_cbranch_execz .LBB86_923
; %bb.922:
	v_mul_lo_u32 v1, s15, v182
	v_mul_lo_u32 v180, s14, v183
	v_mad_u64_u32 v[178:179], null, s14, v182, 0
	s_lshl_b64 s[2:3], s[12:13], 2
	v_add3_u32 v0, v0, s17, 1
	v_add3_u32 v179, v179, v180, v1
	v_lshlrev_b64 v[178:179], 2, v[178:179]
	v_add_co_u32 v1, vcc_lo, s10, v178
	v_add_co_ci_u32_e64 v180, null, s11, v179, vcc_lo
	v_lshlrev_b64 v[178:179], 2, v[187:188]
	v_add_co_u32 v1, vcc_lo, v1, s2
	v_add_co_ci_u32_e64 v180, null, s3, v180, vcc_lo
	v_add_co_u32 v178, vcc_lo, v1, v178
	v_add_co_ci_u32_e64 v179, null, v180, v179, vcc_lo
	global_store_dword v[178:179], v0, off
.LBB86_923:
	s_or_b32 exec_lo, exec_lo, s0
	s_mov_b32 s1, exec_lo
	v_cmpx_eq_u32_e32 0, v187
	s_cbranch_execz .LBB86_926
; %bb.924:
	v_lshlrev_b64 v[0:1], 2, v[182:183]
	v_cmp_ne_u32_e64 s0, 0, v191
	v_add_co_u32 v0, vcc_lo, s4, v0
	v_add_co_ci_u32_e64 v1, null, s5, v1, vcc_lo
	global_load_dword v178, v[0:1], off
	s_waitcnt vmcnt(0)
	v_cmp_eq_u32_e32 vcc_lo, 0, v178
	s_and_b32 s0, vcc_lo, s0
	s_and_b32 exec_lo, exec_lo, s0
	s_cbranch_execz .LBB86_926
; %bb.925:
	v_add_nc_u32_e32 v178, s17, v191
	global_store_dword v[0:1], v178, off
.LBB86_926:
	s_or_b32 exec_lo, exec_lo, s1
	v_lshlrev_b64 v[178:179], 4, v[187:188]
	v_add3_u32 v0, s6, s6, v187
	v_add_nc_u32_e32 v180, s6, v0
	v_add_co_u32 v178, vcc_lo, v189, v178
	v_add_co_ci_u32_e64 v179, null, v190, v179, vcc_lo
	v_ashrrev_i32_e32 v1, 31, v0
	v_add_co_u32 v182, vcc_lo, v178, s8
	v_add_co_ci_u32_e64 v183, null, s9, v179, vcc_lo
	global_store_dwordx4 v[178:179], v[174:177], off
	v_ashrrev_i32_e32 v181, 31, v180
	v_lshlrev_b64 v[0:1], 4, v[0:1]
	global_store_dwordx4 v[182:183], v[170:173], off
	v_add_nc_u32_e32 v170, s6, v180
	v_lshlrev_b64 v[174:175], 4, v[180:181]
	v_add_co_u32 v0, vcc_lo, v189, v0
	v_add_nc_u32_e32 v172, s6, v170
	v_ashrrev_i32_e32 v171, 31, v170
	v_add_co_ci_u32_e64 v1, null, v190, v1, vcc_lo
	v_add_co_u32 v174, vcc_lo, v189, v174
	v_add_nc_u32_e32 v176, s6, v172
	v_ashrrev_i32_e32 v173, 31, v172
	v_add_co_ci_u32_e64 v175, null, v190, v175, vcc_lo
	v_lshlrev_b64 v[170:171], 4, v[170:171]
	v_ashrrev_i32_e32 v177, 31, v176
	global_store_dwordx4 v[0:1], v[166:169], off
	global_store_dwordx4 v[174:175], v[162:165], off
	v_lshlrev_b64 v[0:1], 4, v[172:173]
	v_add_nc_u32_e32 v166, s6, v176
	v_lshlrev_b64 v[164:165], 4, v[176:177]
	v_add_co_u32 v162, vcc_lo, v189, v170
	v_add_co_ci_u32_e64 v163, null, v190, v171, vcc_lo
	v_add_co_u32 v0, vcc_lo, v189, v0
	v_add_co_ci_u32_e64 v1, null, v190, v1, vcc_lo
	v_add_co_u32 v164, vcc_lo, v189, v164
	v_add_nc_u32_e32 v168, s6, v166
	v_add_co_ci_u32_e64 v165, null, v190, v165, vcc_lo
	v_ashrrev_i32_e32 v167, 31, v166
	global_store_dwordx4 v[162:163], v[158:161], off
	global_store_dwordx4 v[0:1], v[154:157], off
	global_store_dwordx4 v[164:165], v[150:153], off
	v_add_nc_u32_e32 v150, s6, v168
	v_ashrrev_i32_e32 v169, 31, v168
	v_lshlrev_b64 v[158:159], 4, v[166:167]
	v_add_nc_u32_e32 v154, s6, v150
	v_lshlrev_b64 v[0:1], 4, v[168:169]
	v_ashrrev_i32_e32 v151, 31, v150
	v_add_co_u32 v152, vcc_lo, v189, v158
	v_add_nc_u32_e32 v156, s6, v154
	v_add_co_ci_u32_e64 v153, null, v190, v159, vcc_lo
	v_add_co_u32 v0, vcc_lo, v189, v0
	v_ashrrev_i32_e32 v155, 31, v154
	v_add_co_ci_u32_e64 v1, null, v190, v1, vcc_lo
	v_ashrrev_i32_e32 v157, 31, v156
	v_lshlrev_b64 v[150:151], 4, v[150:151]
	global_store_dwordx4 v[152:153], v[146:149], off
	global_store_dwordx4 v[0:1], v[142:145], off
	v_lshlrev_b64 v[0:1], 4, v[154:155]
	v_add_nc_u32_e32 v146, s6, v156
	v_lshlrev_b64 v[144:145], 4, v[156:157]
	v_add_co_u32 v142, vcc_lo, v189, v150
	v_add_co_ci_u32_e64 v143, null, v190, v151, vcc_lo
	v_add_co_u32 v0, vcc_lo, v189, v0
	v_add_co_ci_u32_e64 v1, null, v190, v1, vcc_lo
	v_add_co_u32 v144, vcc_lo, v189, v144
	v_add_nc_u32_e32 v148, s6, v146
	v_add_co_ci_u32_e64 v145, null, v190, v145, vcc_lo
	v_ashrrev_i32_e32 v147, 31, v146
	global_store_dwordx4 v[142:143], v[138:141], off
	global_store_dwordx4 v[0:1], v[134:137], off
	global_store_dwordx4 v[144:145], v[130:133], off
	v_add_nc_u32_e32 v130, s6, v148
	v_ashrrev_i32_e32 v149, 31, v148
	v_lshlrev_b64 v[138:139], 4, v[146:147]
	v_add_nc_u32_e32 v134, s6, v130
	v_lshlrev_b64 v[0:1], 4, v[148:149]
	v_ashrrev_i32_e32 v131, 31, v130
	v_add_co_u32 v132, vcc_lo, v189, v138
	v_add_nc_u32_e32 v136, s6, v134
	v_add_co_ci_u32_e64 v133, null, v190, v139, vcc_lo
	v_add_co_u32 v0, vcc_lo, v189, v0
	v_ashrrev_i32_e32 v135, 31, v134
	v_add_co_ci_u32_e64 v1, null, v190, v1, vcc_lo
	v_ashrrev_i32_e32 v137, 31, v136
	v_lshlrev_b64 v[130:131], 4, v[130:131]
	;; [unrolled: 30-line block ×6, first 2 shown]
	global_store_dwordx4 v[52:53], v[46:49], off
	global_store_dwordx4 v[0:1], v[42:45], off
	v_lshlrev_b64 v[0:1], 4, v[54:55]
	v_add_nc_u32_e32 v46, s6, v56
	v_lshlrev_b64 v[44:45], 4, v[56:57]
	v_add_co_u32 v42, vcc_lo, v189, v50
	v_add_co_ci_u32_e64 v43, null, v190, v51, vcc_lo
	v_add_co_u32 v0, vcc_lo, v189, v0
	v_add_nc_u32_e32 v48, s6, v46
	v_add_co_ci_u32_e64 v1, null, v190, v1, vcc_lo
	v_add_co_u32 v44, vcc_lo, v189, v44
	v_ashrrev_i32_e32 v47, 31, v46
	v_add_co_ci_u32_e64 v45, null, v190, v45, vcc_lo
	v_ashrrev_i32_e32 v49, 31, v48
	global_store_dwordx4 v[42:43], v[38:41], off
	v_lshlrev_b64 v[38:39], 4, v[46:47]
	global_store_dwordx4 v[0:1], v[34:37], off
	global_store_dwordx4 v[44:45], v[30:33], off
	v_add_nc_u32_e32 v30, s6, v48
	v_lshlrev_b64 v[0:1], 4, v[48:49]
	v_add_co_u32 v32, vcc_lo, v189, v38
	v_add_nc_u32_e32 v34, s6, v30
	v_add_co_ci_u32_e64 v33, null, v190, v39, vcc_lo
	v_add_co_u32 v0, vcc_lo, v189, v0
	v_add_co_ci_u32_e64 v1, null, v190, v1, vcc_lo
	v_add_nc_u32_e32 v36, s6, v34
	v_ashrrev_i32_e32 v31, 31, v30
	global_store_dwordx4 v[32:33], v[26:29], off
	global_store_dwordx4 v[0:1], v[22:25], off
	v_ashrrev_i32_e32 v35, 31, v34
	v_add_nc_u32_e32 v22, s6, v36
	v_lshlrev_b64 v[26:27], 4, v[30:31]
	v_ashrrev_i32_e32 v37, 31, v36
	v_lshlrev_b64 v[0:1], 4, v[34:35]
	v_add_nc_u32_e32 v28, s6, v22
	v_ashrrev_i32_e32 v23, 31, v22
	v_add_co_u32 v24, vcc_lo, v189, v26
	v_add_co_ci_u32_e64 v25, null, v190, v27, vcc_lo
	v_ashrrev_i32_e32 v29, 31, v28
	v_lshlrev_b64 v[26:27], 4, v[36:37]
	v_lshlrev_b64 v[22:23], 4, v[22:23]
	v_add_co_u32 v0, vcc_lo, v189, v0
	v_lshlrev_b64 v[28:29], 4, v[28:29]
	v_add_co_ci_u32_e64 v1, null, v190, v1, vcc_lo
	v_add_co_u32 v26, vcc_lo, v189, v26
	v_add_co_ci_u32_e64 v27, null, v190, v27, vcc_lo
	v_add_co_u32 v22, vcc_lo, v189, v22
	;; [unrolled: 2-line block ×3, first 2 shown]
	v_add_co_ci_u32_e64 v29, null, v190, v29, vcc_lo
	global_store_dwordx4 v[24:25], v[18:21], off
	global_store_dwordx4 v[0:1], v[14:17], off
	global_store_dwordx4 v[26:27], v[10:13], off
	global_store_dwordx4 v[22:23], v[6:9], off
	global_store_dwordx4 v[28:29], v[2:5], off
.LBB86_927:
	s_endpgm
	.section	.rodata,"a",@progbits
	.p2align	6, 0x0
	.amdhsa_kernel _ZN9rocsolver6v33100L18getf2_small_kernelILi44E19rocblas_complex_numIdEiiPS3_EEvT1_T3_lS5_lPS5_llPT2_S5_S5_S7_l
		.amdhsa_group_segment_fixed_size 0
		.amdhsa_private_segment_fixed_size 0
		.amdhsa_kernarg_size 352
		.amdhsa_user_sgpr_count 6
		.amdhsa_user_sgpr_private_segment_buffer 1
		.amdhsa_user_sgpr_dispatch_ptr 0
		.amdhsa_user_sgpr_queue_ptr 0
		.amdhsa_user_sgpr_kernarg_segment_ptr 1
		.amdhsa_user_sgpr_dispatch_id 0
		.amdhsa_user_sgpr_flat_scratch_init 0
		.amdhsa_user_sgpr_private_segment_size 0
		.amdhsa_wavefront_size32 1
		.amdhsa_uses_dynamic_stack 0
		.amdhsa_system_sgpr_private_segment_wavefront_offset 0
		.amdhsa_system_sgpr_workgroup_id_x 1
		.amdhsa_system_sgpr_workgroup_id_y 1
		.amdhsa_system_sgpr_workgroup_id_z 0
		.amdhsa_system_sgpr_workgroup_info 0
		.amdhsa_system_vgpr_workitem_id 1
		.amdhsa_next_free_vgpr 251
		.amdhsa_next_free_sgpr 19
		.amdhsa_reserve_vcc 1
		.amdhsa_reserve_flat_scratch 0
		.amdhsa_float_round_mode_32 0
		.amdhsa_float_round_mode_16_64 0
		.amdhsa_float_denorm_mode_32 3
		.amdhsa_float_denorm_mode_16_64 3
		.amdhsa_dx10_clamp 1
		.amdhsa_ieee_mode 1
		.amdhsa_fp16_overflow 0
		.amdhsa_workgroup_processor_mode 1
		.amdhsa_memory_ordered 1
		.amdhsa_forward_progress 1
		.amdhsa_shared_vgpr_count 0
		.amdhsa_exception_fp_ieee_invalid_op 0
		.amdhsa_exception_fp_denorm_src 0
		.amdhsa_exception_fp_ieee_div_zero 0
		.amdhsa_exception_fp_ieee_overflow 0
		.amdhsa_exception_fp_ieee_underflow 0
		.amdhsa_exception_fp_ieee_inexact 0
		.amdhsa_exception_int_div_zero 0
	.end_amdhsa_kernel
	.section	.text._ZN9rocsolver6v33100L18getf2_small_kernelILi44E19rocblas_complex_numIdEiiPS3_EEvT1_T3_lS5_lPS5_llPT2_S5_S5_S7_l,"axG",@progbits,_ZN9rocsolver6v33100L18getf2_small_kernelILi44E19rocblas_complex_numIdEiiPS3_EEvT1_T3_lS5_lPS5_llPT2_S5_S5_S7_l,comdat
.Lfunc_end86:
	.size	_ZN9rocsolver6v33100L18getf2_small_kernelILi44E19rocblas_complex_numIdEiiPS3_EEvT1_T3_lS5_lPS5_llPT2_S5_S5_S7_l, .Lfunc_end86-_ZN9rocsolver6v33100L18getf2_small_kernelILi44E19rocblas_complex_numIdEiiPS3_EEvT1_T3_lS5_lPS5_llPT2_S5_S5_S7_l
                                        ; -- End function
	.set _ZN9rocsolver6v33100L18getf2_small_kernelILi44E19rocblas_complex_numIdEiiPS3_EEvT1_T3_lS5_lPS5_llPT2_S5_S5_S7_l.num_vgpr, 251
	.set _ZN9rocsolver6v33100L18getf2_small_kernelILi44E19rocblas_complex_numIdEiiPS3_EEvT1_T3_lS5_lPS5_llPT2_S5_S5_S7_l.num_agpr, 0
	.set _ZN9rocsolver6v33100L18getf2_small_kernelILi44E19rocblas_complex_numIdEiiPS3_EEvT1_T3_lS5_lPS5_llPT2_S5_S5_S7_l.numbered_sgpr, 19
	.set _ZN9rocsolver6v33100L18getf2_small_kernelILi44E19rocblas_complex_numIdEiiPS3_EEvT1_T3_lS5_lPS5_llPT2_S5_S5_S7_l.num_named_barrier, 0
	.set _ZN9rocsolver6v33100L18getf2_small_kernelILi44E19rocblas_complex_numIdEiiPS3_EEvT1_T3_lS5_lPS5_llPT2_S5_S5_S7_l.private_seg_size, 0
	.set _ZN9rocsolver6v33100L18getf2_small_kernelILi44E19rocblas_complex_numIdEiiPS3_EEvT1_T3_lS5_lPS5_llPT2_S5_S5_S7_l.uses_vcc, 1
	.set _ZN9rocsolver6v33100L18getf2_small_kernelILi44E19rocblas_complex_numIdEiiPS3_EEvT1_T3_lS5_lPS5_llPT2_S5_S5_S7_l.uses_flat_scratch, 0
	.set _ZN9rocsolver6v33100L18getf2_small_kernelILi44E19rocblas_complex_numIdEiiPS3_EEvT1_T3_lS5_lPS5_llPT2_S5_S5_S7_l.has_dyn_sized_stack, 0
	.set _ZN9rocsolver6v33100L18getf2_small_kernelILi44E19rocblas_complex_numIdEiiPS3_EEvT1_T3_lS5_lPS5_llPT2_S5_S5_S7_l.has_recursion, 0
	.set _ZN9rocsolver6v33100L18getf2_small_kernelILi44E19rocblas_complex_numIdEiiPS3_EEvT1_T3_lS5_lPS5_llPT2_S5_S5_S7_l.has_indirect_call, 0
	.section	.AMDGPU.csdata,"",@progbits
; Kernel info:
; codeLenInByte = 111632
; TotalNumSgprs: 21
; NumVgprs: 251
; ScratchSize: 0
; MemoryBound: 0
; FloatMode: 240
; IeeeMode: 1
; LDSByteSize: 0 bytes/workgroup (compile time only)
; SGPRBlocks: 0
; VGPRBlocks: 31
; NumSGPRsForWavesPerEU: 21
; NumVGPRsForWavesPerEU: 251
; Occupancy: 4
; WaveLimiterHint : 0
; COMPUTE_PGM_RSRC2:SCRATCH_EN: 0
; COMPUTE_PGM_RSRC2:USER_SGPR: 6
; COMPUTE_PGM_RSRC2:TRAP_HANDLER: 0
; COMPUTE_PGM_RSRC2:TGID_X_EN: 1
; COMPUTE_PGM_RSRC2:TGID_Y_EN: 1
; COMPUTE_PGM_RSRC2:TGID_Z_EN: 0
; COMPUTE_PGM_RSRC2:TIDIG_COMP_CNT: 1
	.section	.text._ZN9rocsolver6v33100L23getf2_npvt_small_kernelILi44E19rocblas_complex_numIdEiiPS3_EEvT1_T3_lS5_lPT2_S5_S5_,"axG",@progbits,_ZN9rocsolver6v33100L23getf2_npvt_small_kernelILi44E19rocblas_complex_numIdEiiPS3_EEvT1_T3_lS5_lPT2_S5_S5_,comdat
	.globl	_ZN9rocsolver6v33100L23getf2_npvt_small_kernelILi44E19rocblas_complex_numIdEiiPS3_EEvT1_T3_lS5_lPT2_S5_S5_ ; -- Begin function _ZN9rocsolver6v33100L23getf2_npvt_small_kernelILi44E19rocblas_complex_numIdEiiPS3_EEvT1_T3_lS5_lPT2_S5_S5_
	.p2align	8
	.type	_ZN9rocsolver6v33100L23getf2_npvt_small_kernelILi44E19rocblas_complex_numIdEiiPS3_EEvT1_T3_lS5_lPT2_S5_S5_,@function
_ZN9rocsolver6v33100L23getf2_npvt_small_kernelILi44E19rocblas_complex_numIdEiiPS3_EEvT1_T3_lS5_lPT2_S5_S5_: ; @_ZN9rocsolver6v33100L23getf2_npvt_small_kernelILi44E19rocblas_complex_numIdEiiPS3_EEvT1_T3_lS5_lPT2_S5_S5_
; %bb.0:
	s_mov_b64 s[18:19], s[2:3]
	s_mov_b64 s[16:17], s[0:1]
	s_clause 0x1
	s_load_dword s0, s[4:5], 0x44
	s_load_dwordx2 s[12:13], s[4:5], 0x30
	s_add_u32 s16, s16, s8
	s_addc_u32 s17, s17, 0
	s_waitcnt lgkmcnt(0)
	s_lshr_b32 s14, s0, 16
	s_mov_b32 s0, exec_lo
	v_mad_u64_u32 v[2:3], null, s7, s14, v[1:2]
	v_cmpx_gt_i32_e64 s12, v2
	s_cbranch_execz .LBB87_401
; %bb.1:
	s_clause 0x2
	s_load_dwordx4 s[8:11], s[4:5], 0x20
	s_load_dword s6, s[4:5], 0x18
	s_load_dwordx4 s[0:3], s[4:5], 0x8
	v_ashrrev_i32_e32 v3, 31, v2
	v_mad_u32_u24 v253, 0x2c0, v1, 0
	v_lshlrev_b32_e32 v1, 4, v1
	s_mulk_i32 s14, 0x2c0
	v_add3_u32 v255, 0, s14, v1
	s_waitcnt lgkmcnt(0)
	v_mul_lo_u32 v5, s9, v2
	v_mul_lo_u32 v7, s8, v3
	buffer_store_dword v2, off, s[16:19], 0 offset:832 ; 4-byte Folded Spill
	buffer_store_dword v3, off, s[16:19], 0 offset:836 ; 4-byte Folded Spill
	v_add3_u32 v4, s6, s6, v0
	s_lshl_b64 s[2:3], s[2:3], 4
	s_ashr_i32 s7, s6, 31
	v_add_nc_u32_e32 v6, s6, v4
	v_add_nc_u32_e32 v8, s6, v6
	;; [unrolled: 1-line block ×3, first 2 shown]
	v_ashrrev_i32_e32 v9, 31, v8
	v_add_nc_u32_e32 v12, s6, v10
	v_ashrrev_i32_e32 v11, 31, v10
	v_lshlrev_b64 v[8:9], 4, v[8:9]
	v_add_nc_u32_e32 v14, s6, v12
	v_ashrrev_i32_e32 v13, 31, v12
	v_lshlrev_b64 v[10:11], 4, v[10:11]
	v_ashrrev_i32_e32 v15, 31, v14
	v_mad_u64_u32 v[2:3], null, s8, v2, 0
	v_add3_u32 v3, v3, v7, v5
	v_ashrrev_i32_e32 v5, 31, v4
	v_ashrrev_i32_e32 v7, 31, v6
	v_lshlrev_b64 v[2:3], 4, v[2:3]
	v_lshlrev_b64 v[4:5], 4, v[4:5]
	;; [unrolled: 1-line block ×3, first 2 shown]
	v_add_co_u32 v2, vcc_lo, s0, v2
	v_add_co_ci_u32_e64 v3, null, s1, v3, vcc_lo
	s_lshl_b64 s[0:1], s[6:7], 4
	v_add_co_u32 v2, vcc_lo, v2, s2
	v_add_co_ci_u32_e64 v3, null, s3, v3, vcc_lo
	v_add_co_u32 v44, vcc_lo, v2, v4
	v_add_co_ci_u32_e64 v45, null, v3, v5, vcc_lo
	v_add_co_u32 v40, vcc_lo, v2, v6
	v_add_nc_u32_e32 v6, s6, v14
	v_lshlrev_b64 v[4:5], 4, v[12:13]
	v_add_co_ci_u32_e64 v41, null, v3, v7, vcc_lo
	v_add_co_u32 v42, vcc_lo, v2, v8
	v_add_co_ci_u32_e64 v43, null, v3, v9, vcc_lo
	v_add_co_u32 v46, vcc_lo, v2, v10
	v_ashrrev_i32_e32 v7, 31, v6
	v_add_nc_u32_e32 v10, s6, v6
	v_lshlrev_b64 v[8:9], 4, v[14:15]
	v_add_co_ci_u32_e64 v47, null, v3, v11, vcc_lo
	v_add_co_u32 v48, vcc_lo, v2, v4
	v_add_co_ci_u32_e64 v49, null, v3, v5, vcc_lo
	v_lshlrev_b64 v[4:5], 4, v[6:7]
	v_ashrrev_i32_e32 v11, 31, v10
	v_add_nc_u32_e32 v6, s6, v10
	v_add_co_u32 v50, vcc_lo, v2, v8
	v_add_co_ci_u32_e64 v51, null, v3, v9, vcc_lo
	v_lshlrev_b64 v[8:9], 4, v[10:11]
	v_ashrrev_i32_e32 v7, 31, v6
	v_add_nc_u32_e32 v10, s6, v6
	;; [unrolled: 5-line block ×33, first 2 shown]
	v_add_co_u32 v181, vcc_lo, v2, v8
	v_add_co_ci_u32_e64 v182, null, v3, v9, vcc_lo
	v_lshlrev_b64 v[8:9], 4, v[10:11]
	v_add_nc_u32_e32 v10, s6, v6
	v_ashrrev_i32_e32 v7, 31, v6
	v_add_co_u32 v187, vcc_lo, v2, v4
	v_add_co_ci_u32_e64 v188, null, v3, v5, vcc_lo
	v_ashrrev_i32_e32 v11, 31, v10
	v_lshlrev_b64 v[4:5], 4, v[6:7]
	v_add_co_u32 v8, vcc_lo, v2, v8
	v_add_co_ci_u32_e64 v9, null, v3, v9, vcc_lo
	v_lshlrev_b64 v[6:7], 4, v[10:11]
	v_add_co_u32 v183, vcc_lo, v2, v4
	v_lshlrev_b32_e32 v4, 4, v0
	v_add_co_ci_u32_e64 v184, null, v3, v5, vcc_lo
	v_add_co_u32 v185, vcc_lo, v2, v6
	v_add_co_ci_u32_e64 v186, null, v3, v7, vcc_lo
	v_add_co_u32 v2, vcc_lo, v2, v4
	;; [unrolled: 2-line block ×3, first 2 shown]
	v_add_co_ci_u32_e64 v5, null, s1, v3, vcc_lo
	buffer_store_dword v2, off, s[16:19], 0 offset:360 ; 4-byte Folded Spill
	buffer_store_dword v3, off, s[16:19], 0 offset:364 ; 4-byte Folded Spill
	v_cmp_ne_u32_e64 s1, 0, v0
	v_cmp_eq_u32_e64 s0, 0, v0
	global_load_dwordx4 v[36:39], v[2:3], off
	s_waitcnt vmcnt(0)
	buffer_store_dword v36, off, s[16:19], 0 offset:176 ; 4-byte Folded Spill
	buffer_store_dword v37, off, s[16:19], 0 offset:180 ; 4-byte Folded Spill
	;; [unrolled: 1-line block ×6, first 2 shown]
	global_load_dwordx4 v[1:4], v[4:5], off
	s_waitcnt vmcnt(0)
	buffer_store_dword v1, off, s[16:19], 0 offset:160 ; 4-byte Folded Spill
	buffer_store_dword v2, off, s[16:19], 0 offset:164 ; 4-byte Folded Spill
	;; [unrolled: 1-line block ×6, first 2 shown]
	global_load_dwordx4 v[165:168], v[44:45], off
	buffer_store_dword v40, off, s[16:19], 0 offset:400 ; 4-byte Folded Spill
	buffer_store_dword v41, off, s[16:19], 0 offset:404 ; 4-byte Folded Spill
	global_load_dwordx4 v[161:164], v[40:41], off
	buffer_store_dword v42, off, s[16:19], 0 offset:392 ; 4-byte Folded Spill
	buffer_store_dword v43, off, s[16:19], 0 offset:396 ; 4-byte Folded Spill
	global_load_dwordx4 v[157:160], v[42:43], off
	buffer_store_dword v46, off, s[16:19], 0 offset:408 ; 4-byte Folded Spill
	buffer_store_dword v47, off, s[16:19], 0 offset:412 ; 4-byte Folded Spill
	global_load_dwordx4 v[1:4], v[46:47], off
	s_waitcnt vmcnt(0)
	buffer_store_dword v1, off, s[16:19], 0 offset:144 ; 4-byte Folded Spill
	buffer_store_dword v2, off, s[16:19], 0 offset:148 ; 4-byte Folded Spill
	;; [unrolled: 1-line block ×6, first 2 shown]
	global_load_dwordx4 v[149:152], v[48:49], off
	buffer_store_dword v50, off, s[16:19], 0 offset:472 ; 4-byte Folded Spill
	buffer_store_dword v51, off, s[16:19], 0 offset:476 ; 4-byte Folded Spill
	global_load_dwordx4 v[225:228], v[50:51], off
	buffer_store_dword v52, off, s[16:19], 0 offset:496 ; 4-byte Folded Spill
	buffer_store_dword v53, off, s[16:19], 0 offset:500 ; 4-byte Folded Spill
	;; [unrolled: 3-line block ×14, first 2 shown]
	global_load_dwordx4 v[1:4], v[12:13], off
	s_waitcnt vmcnt(0)
	buffer_store_dword v1, off, s[16:19], 0 offset:128 ; 4-byte Folded Spill
	buffer_store_dword v2, off, s[16:19], 0 offset:132 ; 4-byte Folded Spill
	buffer_store_dword v3, off, s[16:19], 0 offset:136 ; 4-byte Folded Spill
	buffer_store_dword v4, off, s[16:19], 0 offset:140 ; 4-byte Folded Spill
	buffer_store_dword v78, off, s[16:19], 0 offset:592 ; 4-byte Folded Spill
	buffer_store_dword v79, off, s[16:19], 0 offset:596 ; 4-byte Folded Spill
	global_load_dwordx4 v[1:4], v[78:79], off
	s_waitcnt vmcnt(0)
	buffer_store_dword v1, off, s[16:19], 0 offset:112 ; 4-byte Folded Spill
	buffer_store_dword v2, off, s[16:19], 0 offset:116 ; 4-byte Folded Spill
	buffer_store_dword v3, off, s[16:19], 0 offset:120 ; 4-byte Folded Spill
	buffer_store_dword v4, off, s[16:19], 0 offset:124 ; 4-byte Folded Spill
	buffer_store_dword v80, off, s[16:19], 0 offset:616 ; 4-byte Folded Spill
	buffer_store_dword v81, off, s[16:19], 0 offset:620 ; 4-byte Folded Spill
	;; [unrolled: 8-line block ×8, first 2 shown]
	global_load_dwordx4 v[1:4], v[22:23], off
	s_waitcnt vmcnt(0)
	buffer_store_dword v1, off, s[16:19], 0 ; 4-byte Folded Spill
	buffer_store_dword v2, off, s[16:19], 0 offset:4 ; 4-byte Folded Spill
	buffer_store_dword v3, off, s[16:19], 0 offset:8 ; 4-byte Folded Spill
	;; [unrolled: 1-line block ×5, first 2 shown]
	global_load_dwordx4 v[57:60], v[24:25], off
	buffer_store_dword v26, off, s[16:19], 0 offset:248 ; 4-byte Folded Spill
	buffer_store_dword v27, off, s[16:19], 0 offset:252 ; 4-byte Folded Spill
	global_load_dwordx4 v[241:244], v[26:27], off
	buffer_store_dword v28, off, s[16:19], 0 offset:256 ; 4-byte Folded Spill
	buffer_store_dword v29, off, s[16:19], 0 offset:260 ; 4-byte Folded Spill
	;; [unrolled: 3-line block ×14, first 2 shown]
	global_load_dwordx4 v[1:4], v[185:186], off
	s_and_saveexec_b32 s3, s0
	s_cbranch_execz .LBB87_8
; %bb.2:
	s_clause 0x3
	buffer_load_dword v177, off, s[16:19], 0 offset:176
	buffer_load_dword v178, off, s[16:19], 0 offset:180
	;; [unrolled: 1-line block ×4, first 2 shown]
	s_waitcnt vmcnt(0)
	ds_write2_b64 v255, v[177:178], v[179:180] offset1:1
	s_clause 0x3
	buffer_load_dword v177, off, s[16:19], 0 offset:160
	buffer_load_dword v178, off, s[16:19], 0 offset:164
	;; [unrolled: 1-line block ×4, first 2 shown]
	s_waitcnt vmcnt(0)
	ds_write2_b64 v253, v[177:178], v[179:180] offset0:2 offset1:3
	ds_write2_b64 v253, v[165:166], v[167:168] offset0:4 offset1:5
	;; [unrolled: 1-line block ×4, first 2 shown]
	s_clause 0x3
	buffer_load_dword v153, off, s[16:19], 0 offset:144
	buffer_load_dword v154, off, s[16:19], 0 offset:148
	;; [unrolled: 1-line block ×4, first 2 shown]
	s_waitcnt vmcnt(0)
	ds_write2_b64 v253, v[153:154], v[155:156] offset0:10 offset1:11
	ds_write2_b64 v253, v[149:150], v[151:152] offset0:12 offset1:13
	ds_write2_b64 v253, v[225:226], v[227:228] offset0:14 offset1:15
	ds_write2_b64 v253, v[141:142], v[143:144] offset0:16 offset1:17
	ds_write2_b64 v253, v[229:230], v[231:232] offset0:18 offset1:19
	ds_write2_b64 v253, v[133:134], v[135:136] offset0:20 offset1:21
	ds_write2_b64 v253, v[129:130], v[131:132] offset0:22 offset1:23
	ds_write2_b64 v253, v[125:126], v[127:128] offset0:24 offset1:25
	ds_write2_b64 v253, v[121:122], v[123:124] offset0:26 offset1:27
	ds_write2_b64 v253, v[117:118], v[119:120] offset0:28 offset1:29
	ds_write2_b64 v253, v[113:114], v[115:116] offset0:30 offset1:31
	ds_write2_b64 v253, v[109:110], v[111:112] offset0:32 offset1:33
	ds_write2_b64 v253, v[105:106], v[107:108] offset0:34 offset1:35
	ds_write2_b64 v253, v[101:102], v[103:104] offset0:36 offset1:37
	ds_write2_b64 v253, v[97:98], v[99:100] offset0:38 offset1:39
	s_clause 0x3
	buffer_load_dword v49, off, s[16:19], 0 offset:128
	buffer_load_dword v50, off, s[16:19], 0 offset:132
	buffer_load_dword v51, off, s[16:19], 0 offset:136
	buffer_load_dword v52, off, s[16:19], 0 offset:140
	s_waitcnt vmcnt(0)
	ds_write2_b64 v253, v[49:50], v[51:52] offset0:40 offset1:41
	s_clause 0x3
	buffer_load_dword v49, off, s[16:19], 0 offset:112
	buffer_load_dword v50, off, s[16:19], 0 offset:116
	buffer_load_dword v51, off, s[16:19], 0 offset:120
	buffer_load_dword v52, off, s[16:19], 0 offset:124
	s_waitcnt vmcnt(0)
	ds_write2_b64 v253, v[49:50], v[51:52] offset0:42 offset1:43
	;; [unrolled: 7-line block ×8, first 2 shown]
	s_clause 0x3
	buffer_load_dword v49, off, s[16:19], 0
	buffer_load_dword v50, off, s[16:19], 0 offset:4
	buffer_load_dword v51, off, s[16:19], 0 offset:8
	;; [unrolled: 1-line block ×3, first 2 shown]
	s_waitcnt vmcnt(0)
	ds_write2_b64 v253, v[49:50], v[51:52] offset0:56 offset1:57
	ds_write2_b64 v253, v[57:58], v[59:60] offset0:58 offset1:59
	;; [unrolled: 1-line block ×16, first 2 shown]
	ds_read2_b64 v[177:180], v255 offset1:1
	s_waitcnt lgkmcnt(0)
	v_cmp_neq_f64_e32 vcc_lo, 0, v[177:178]
	v_cmp_neq_f64_e64 s2, 0, v[179:180]
	s_or_b32 s2, vcc_lo, s2
	s_and_b32 exec_lo, exec_lo, s2
	s_cbranch_execz .LBB87_8
; %bb.3:
	v_cmp_ngt_f64_e64 s2, |v[177:178]|, |v[179:180]|
                                        ; implicit-def: $vgpr181_vgpr182
	s_and_saveexec_b32 s4, s2
	s_xor_b32 s2, exec_lo, s4
                                        ; implicit-def: $vgpr183_vgpr184
	s_cbranch_execz .LBB87_5
; %bb.4:
	v_div_scale_f64 v[181:182], null, v[179:180], v[179:180], v[177:178]
	v_div_scale_f64 v[187:188], vcc_lo, v[177:178], v[179:180], v[177:178]
	v_rcp_f64_e32 v[183:184], v[181:182]
	v_fma_f64 v[185:186], -v[181:182], v[183:184], 1.0
	v_fma_f64 v[183:184], v[183:184], v[185:186], v[183:184]
	v_fma_f64 v[185:186], -v[181:182], v[183:184], 1.0
	v_fma_f64 v[183:184], v[183:184], v[185:186], v[183:184]
	v_mul_f64 v[185:186], v[187:188], v[183:184]
	v_fma_f64 v[181:182], -v[181:182], v[185:186], v[187:188]
	v_div_fmas_f64 v[181:182], v[181:182], v[183:184], v[185:186]
	v_div_fixup_f64 v[181:182], v[181:182], v[179:180], v[177:178]
	v_fma_f64 v[177:178], v[177:178], v[181:182], v[179:180]
	v_div_scale_f64 v[179:180], null, v[177:178], v[177:178], 1.0
	v_rcp_f64_e32 v[183:184], v[179:180]
	v_fma_f64 v[185:186], -v[179:180], v[183:184], 1.0
	v_fma_f64 v[183:184], v[183:184], v[185:186], v[183:184]
	v_fma_f64 v[185:186], -v[179:180], v[183:184], 1.0
	v_fma_f64 v[183:184], v[183:184], v[185:186], v[183:184]
	v_div_scale_f64 v[185:186], vcc_lo, 1.0, v[177:178], 1.0
	v_mul_f64 v[187:188], v[185:186], v[183:184]
	v_fma_f64 v[179:180], -v[179:180], v[187:188], v[185:186]
	v_div_fmas_f64 v[179:180], v[179:180], v[183:184], v[187:188]
	v_div_fixup_f64 v[183:184], v[179:180], v[177:178], 1.0
                                        ; implicit-def: $vgpr177_vgpr178
	v_mul_f64 v[181:182], v[181:182], v[183:184]
	v_xor_b32_e32 v184, 0x80000000, v184
.LBB87_5:
	s_andn2_saveexec_b32 s2, s2
	s_cbranch_execz .LBB87_7
; %bb.6:
	v_div_scale_f64 v[181:182], null, v[177:178], v[177:178], v[179:180]
	v_div_scale_f64 v[187:188], vcc_lo, v[179:180], v[177:178], v[179:180]
	v_rcp_f64_e32 v[183:184], v[181:182]
	v_fma_f64 v[185:186], -v[181:182], v[183:184], 1.0
	v_fma_f64 v[183:184], v[183:184], v[185:186], v[183:184]
	v_fma_f64 v[185:186], -v[181:182], v[183:184], 1.0
	v_fma_f64 v[183:184], v[183:184], v[185:186], v[183:184]
	v_mul_f64 v[185:186], v[187:188], v[183:184]
	v_fma_f64 v[181:182], -v[181:182], v[185:186], v[187:188]
	v_div_fmas_f64 v[181:182], v[181:182], v[183:184], v[185:186]
	v_div_fixup_f64 v[183:184], v[181:182], v[177:178], v[179:180]
	v_fma_f64 v[177:178], v[179:180], v[183:184], v[177:178]
	v_div_scale_f64 v[179:180], null, v[177:178], v[177:178], 1.0
	v_rcp_f64_e32 v[181:182], v[179:180]
	v_fma_f64 v[185:186], -v[179:180], v[181:182], 1.0
	v_fma_f64 v[181:182], v[181:182], v[185:186], v[181:182]
	v_fma_f64 v[185:186], -v[179:180], v[181:182], 1.0
	v_fma_f64 v[181:182], v[181:182], v[185:186], v[181:182]
	v_div_scale_f64 v[185:186], vcc_lo, 1.0, v[177:178], 1.0
	v_mul_f64 v[187:188], v[185:186], v[181:182]
	v_fma_f64 v[179:180], -v[179:180], v[187:188], v[185:186]
	v_div_fmas_f64 v[179:180], v[179:180], v[181:182], v[187:188]
	v_div_fixup_f64 v[181:182], v[179:180], v[177:178], 1.0
	v_mul_f64 v[183:184], v[183:184], -v[181:182]
.LBB87_7:
	s_or_b32 exec_lo, exec_lo, s2
	ds_write2_b64 v255, v[181:182], v[183:184] offset1:1
.LBB87_8:
	s_or_b32 exec_lo, exec_lo, s3
	s_waitcnt vmcnt(0) lgkmcnt(0)
	s_waitcnt_vscnt null, 0x0
	s_barrier
	buffer_gl0_inv
	ds_read2_b64 v[177:180], v255 offset1:1
	s_waitcnt lgkmcnt(0)
	buffer_store_dword v177, off, s[16:19], 0 offset:376 ; 4-byte Folded Spill
	buffer_store_dword v178, off, s[16:19], 0 offset:380 ; 4-byte Folded Spill
	;; [unrolled: 1-line block ×4, first 2 shown]
	s_and_saveexec_b32 s2, s1
	s_cbranch_execz .LBB87_10
; %bb.9:
	s_clause 0x7
	buffer_load_dword v183, off, s[16:19], 0 offset:176
	buffer_load_dword v184, off, s[16:19], 0 offset:180
	;; [unrolled: 1-line block ×8, first 2 shown]
	s_waitcnt vmcnt(2)
	v_mul_f64 v[175:176], v[179:180], v[185:186]
	s_waitcnt vmcnt(0)
	v_mul_f64 v[177:178], v[181:182], v[185:186]
	v_fma_f64 v[185:186], v[181:182], v[183:184], v[175:176]
	v_fma_f64 v[177:178], v[179:180], v[183:184], -v[177:178]
	ds_read2_b64 v[179:182], v253 offset0:2 offset1:3
	s_waitcnt lgkmcnt(0)
	v_mul_f64 v[173:174], v[181:182], v[185:186]
	v_fma_f64 v[173:174], v[179:180], v[177:178], -v[173:174]
	v_mul_f64 v[179:180], v[179:180], v[185:186]
	v_fma_f64 v[179:180], v[181:182], v[177:178], v[179:180]
	s_clause 0x3
	buffer_load_dword v181, off, s[16:19], 0 offset:160
	buffer_load_dword v182, off, s[16:19], 0 offset:164
	;; [unrolled: 1-line block ×4, first 2 shown]
	s_waitcnt vmcnt(2)
	v_add_f64 v[181:182], v[181:182], -v[173:174]
	s_waitcnt vmcnt(0)
	v_add_f64 v[183:184], v[183:184], -v[179:180]
	buffer_store_dword v181, off, s[16:19], 0 offset:160 ; 4-byte Folded Spill
	buffer_store_dword v182, off, s[16:19], 0 offset:164 ; 4-byte Folded Spill
	;; [unrolled: 1-line block ×4, first 2 shown]
	ds_read2_b64 v[179:182], v253 offset0:4 offset1:5
	v_mov_b32_e32 v184, v178
	v_mov_b32_e32 v183, v177
	s_waitcnt lgkmcnt(0)
	v_mul_f64 v[173:174], v[181:182], v[185:186]
	v_fma_f64 v[173:174], v[179:180], v[177:178], -v[173:174]
	v_mul_f64 v[179:180], v[179:180], v[185:186]
	v_add_f64 v[165:166], v[165:166], -v[173:174]
	v_fma_f64 v[179:180], v[181:182], v[177:178], v[179:180]
	v_add_f64 v[167:168], v[167:168], -v[179:180]
	ds_read2_b64 v[179:182], v253 offset0:6 offset1:7
	s_waitcnt lgkmcnt(0)
	v_mul_f64 v[173:174], v[181:182], v[185:186]
	v_fma_f64 v[173:174], v[179:180], v[177:178], -v[173:174]
	v_mul_f64 v[179:180], v[179:180], v[185:186]
	v_add_f64 v[161:162], v[161:162], -v[173:174]
	v_fma_f64 v[179:180], v[181:182], v[177:178], v[179:180]
	v_add_f64 v[163:164], v[163:164], -v[179:180]
	ds_read2_b64 v[179:182], v253 offset0:8 offset1:9
	;; [unrolled: 8-line block ×3, first 2 shown]
	s_clause 0x3
	buffer_load_dword v153, off, s[16:19], 0 offset:144
	buffer_load_dword v154, off, s[16:19], 0 offset:148
	;; [unrolled: 1-line block ×4, first 2 shown]
	s_waitcnt lgkmcnt(0)
	v_mul_f64 v[173:174], v[181:182], v[185:186]
	v_fma_f64 v[173:174], v[179:180], v[177:178], -v[173:174]
	v_mul_f64 v[179:180], v[179:180], v[185:186]
	v_fma_f64 v[179:180], v[181:182], v[177:178], v[179:180]
	s_waitcnt vmcnt(2)
	v_add_f64 v[153:154], v[153:154], -v[173:174]
	s_waitcnt vmcnt(0)
	v_add_f64 v[155:156], v[155:156], -v[179:180]
	buffer_store_dword v153, off, s[16:19], 0 offset:144 ; 4-byte Folded Spill
	buffer_store_dword v154, off, s[16:19], 0 offset:148 ; 4-byte Folded Spill
	;; [unrolled: 1-line block ×4, first 2 shown]
	ds_read2_b64 v[179:182], v253 offset0:12 offset1:13
	s_waitcnt lgkmcnt(0)
	v_mul_f64 v[173:174], v[181:182], v[185:186]
	v_fma_f64 v[173:174], v[179:180], v[177:178], -v[173:174]
	v_mul_f64 v[179:180], v[179:180], v[185:186]
	v_add_f64 v[149:150], v[149:150], -v[173:174]
	v_fma_f64 v[179:180], v[181:182], v[177:178], v[179:180]
	v_add_f64 v[151:152], v[151:152], -v[179:180]
	ds_read2_b64 v[179:182], v253 offset0:14 offset1:15
	s_waitcnt lgkmcnt(0)
	v_mul_f64 v[173:174], v[181:182], v[185:186]
	v_fma_f64 v[173:174], v[179:180], v[177:178], -v[173:174]
	v_mul_f64 v[179:180], v[179:180], v[185:186]
	v_add_f64 v[225:226], v[225:226], -v[173:174]
	v_fma_f64 v[179:180], v[181:182], v[177:178], v[179:180]
	v_add_f64 v[227:228], v[227:228], -v[179:180]
	;; [unrolled: 8-line block ×14, first 2 shown]
	ds_read2_b64 v[179:182], v253 offset0:40 offset1:41
	s_clause 0x3
	buffer_load_dword v49, off, s[16:19], 0 offset:128
	buffer_load_dword v50, off, s[16:19], 0 offset:132
	buffer_load_dword v51, off, s[16:19], 0 offset:136
	buffer_load_dword v52, off, s[16:19], 0 offset:140
	s_waitcnt lgkmcnt(0)
	v_mul_f64 v[173:174], v[181:182], v[185:186]
	v_fma_f64 v[173:174], v[179:180], v[177:178], -v[173:174]
	v_mul_f64 v[179:180], v[179:180], v[185:186]
	v_fma_f64 v[179:180], v[181:182], v[177:178], v[179:180]
	s_waitcnt vmcnt(2)
	v_add_f64 v[49:50], v[49:50], -v[173:174]
	s_waitcnt vmcnt(0)
	v_add_f64 v[51:52], v[51:52], -v[179:180]
	buffer_store_dword v49, off, s[16:19], 0 offset:128 ; 4-byte Folded Spill
	buffer_store_dword v50, off, s[16:19], 0 offset:132 ; 4-byte Folded Spill
	buffer_store_dword v51, off, s[16:19], 0 offset:136 ; 4-byte Folded Spill
	buffer_store_dword v52, off, s[16:19], 0 offset:140 ; 4-byte Folded Spill
	ds_read2_b64 v[179:182], v253 offset0:42 offset1:43
	s_clause 0x3
	buffer_load_dword v49, off, s[16:19], 0 offset:112
	buffer_load_dword v50, off, s[16:19], 0 offset:116
	buffer_load_dword v51, off, s[16:19], 0 offset:120
	buffer_load_dword v52, off, s[16:19], 0 offset:124
	s_waitcnt lgkmcnt(0)
	v_mul_f64 v[173:174], v[181:182], v[185:186]
	v_fma_f64 v[173:174], v[179:180], v[177:178], -v[173:174]
	v_mul_f64 v[179:180], v[179:180], v[185:186]
	v_fma_f64 v[179:180], v[181:182], v[177:178], v[179:180]
	s_waitcnt vmcnt(2)
	v_add_f64 v[49:50], v[49:50], -v[173:174]
	s_waitcnt vmcnt(0)
	v_add_f64 v[51:52], v[51:52], -v[179:180]
	buffer_store_dword v49, off, s[16:19], 0 offset:112 ; 4-byte Folded Spill
	buffer_store_dword v50, off, s[16:19], 0 offset:116 ; 4-byte Folded Spill
	buffer_store_dword v51, off, s[16:19], 0 offset:120 ; 4-byte Folded Spill
	buffer_store_dword v52, off, s[16:19], 0 offset:124 ; 4-byte Folded Spill
	;; [unrolled: 19-line block ×8, first 2 shown]
	ds_read2_b64 v[179:182], v253 offset0:56 offset1:57
	s_clause 0x3
	buffer_load_dword v49, off, s[16:19], 0
	buffer_load_dword v50, off, s[16:19], 0 offset:4
	buffer_load_dword v51, off, s[16:19], 0 offset:8
	;; [unrolled: 1-line block ×3, first 2 shown]
	s_waitcnt lgkmcnt(0)
	v_mul_f64 v[173:174], v[181:182], v[185:186]
	v_fma_f64 v[173:174], v[179:180], v[177:178], -v[173:174]
	v_mul_f64 v[179:180], v[179:180], v[185:186]
	v_fma_f64 v[179:180], v[181:182], v[177:178], v[179:180]
	s_waitcnt vmcnt(2)
	v_add_f64 v[49:50], v[49:50], -v[173:174]
	s_waitcnt vmcnt(0)
	v_add_f64 v[51:52], v[51:52], -v[179:180]
	buffer_store_dword v49, off, s[16:19], 0 ; 4-byte Folded Spill
	buffer_store_dword v50, off, s[16:19], 0 offset:4 ; 4-byte Folded Spill
	buffer_store_dword v51, off, s[16:19], 0 offset:8 ; 4-byte Folded Spill
	;; [unrolled: 1-line block ×3, first 2 shown]
	ds_read2_b64 v[179:182], v253 offset0:58 offset1:59
	s_waitcnt lgkmcnt(0)
	v_mul_f64 v[173:174], v[181:182], v[185:186]
	v_fma_f64 v[173:174], v[179:180], v[177:178], -v[173:174]
	v_mul_f64 v[179:180], v[179:180], v[185:186]
	v_add_f64 v[57:58], v[57:58], -v[173:174]
	v_fma_f64 v[179:180], v[181:182], v[177:178], v[179:180]
	v_add_f64 v[59:60], v[59:60], -v[179:180]
	ds_read2_b64 v[179:182], v253 offset0:60 offset1:61
	s_waitcnt lgkmcnt(0)
	v_mul_f64 v[173:174], v[181:182], v[185:186]
	v_fma_f64 v[173:174], v[179:180], v[177:178], -v[173:174]
	v_mul_f64 v[179:180], v[179:180], v[185:186]
	v_add_f64 v[241:242], v[241:242], -v[173:174]
	v_fma_f64 v[179:180], v[181:182], v[177:178], v[179:180]
	v_add_f64 v[243:244], v[243:244], -v[179:180]
	;; [unrolled: 8-line block ×14, first 2 shown]
	ds_read2_b64 v[179:182], v253 offset0:86 offset1:87
	s_waitcnt lgkmcnt(0)
	v_mul_f64 v[173:174], v[181:182], v[185:186]
	v_fma_f64 v[173:174], v[179:180], v[177:178], -v[173:174]
	v_mul_f64 v[179:180], v[179:180], v[185:186]
	buffer_store_dword v183, off, s[16:19], 0 offset:176 ; 4-byte Folded Spill
	buffer_store_dword v184, off, s[16:19], 0 offset:180 ; 4-byte Folded Spill
	;; [unrolled: 1-line block ×4, first 2 shown]
	v_add_f64 v[1:2], v[1:2], -v[173:174]
	v_fma_f64 v[179:180], v[181:182], v[177:178], v[179:180]
	v_add_f64 v[3:4], v[3:4], -v[179:180]
.LBB87_10:
	s_or_b32 exec_lo, exec_lo, s2
	s_mov_b32 s2, exec_lo
	s_waitcnt_vscnt null, 0x0
	s_barrier
	buffer_gl0_inv
	v_cmpx_eq_u32_e32 1, v0
	s_cbranch_execz .LBB87_17
; %bb.11:
	s_clause 0x3
	buffer_load_dword v177, off, s[16:19], 0 offset:160
	buffer_load_dword v178, off, s[16:19], 0 offset:164
	;; [unrolled: 1-line block ×4, first 2 shown]
	s_waitcnt vmcnt(0)
	ds_write2_b64 v255, v[177:178], v[179:180] offset1:1
	ds_write2_b64 v253, v[165:166], v[167:168] offset0:4 offset1:5
	ds_write2_b64 v253, v[161:162], v[163:164] offset0:6 offset1:7
	;; [unrolled: 1-line block ×3, first 2 shown]
	s_clause 0x3
	buffer_load_dword v153, off, s[16:19], 0 offset:144
	buffer_load_dword v154, off, s[16:19], 0 offset:148
	;; [unrolled: 1-line block ×4, first 2 shown]
	s_waitcnt vmcnt(0)
	ds_write2_b64 v253, v[153:154], v[155:156] offset0:10 offset1:11
	ds_write2_b64 v253, v[149:150], v[151:152] offset0:12 offset1:13
	;; [unrolled: 1-line block ×15, first 2 shown]
	s_clause 0x3
	buffer_load_dword v49, off, s[16:19], 0 offset:128
	buffer_load_dword v50, off, s[16:19], 0 offset:132
	buffer_load_dword v51, off, s[16:19], 0 offset:136
	buffer_load_dword v52, off, s[16:19], 0 offset:140
	s_waitcnt vmcnt(0)
	ds_write2_b64 v253, v[49:50], v[51:52] offset0:40 offset1:41
	s_clause 0x3
	buffer_load_dword v49, off, s[16:19], 0 offset:112
	buffer_load_dword v50, off, s[16:19], 0 offset:116
	buffer_load_dword v51, off, s[16:19], 0 offset:120
	buffer_load_dword v52, off, s[16:19], 0 offset:124
	s_waitcnt vmcnt(0)
	ds_write2_b64 v253, v[49:50], v[51:52] offset0:42 offset1:43
	;; [unrolled: 7-line block ×8, first 2 shown]
	s_clause 0x3
	buffer_load_dword v49, off, s[16:19], 0
	buffer_load_dword v50, off, s[16:19], 0 offset:4
	buffer_load_dword v51, off, s[16:19], 0 offset:8
	;; [unrolled: 1-line block ×3, first 2 shown]
	s_waitcnt vmcnt(0)
	ds_write2_b64 v253, v[49:50], v[51:52] offset0:56 offset1:57
	ds_write2_b64 v253, v[57:58], v[59:60] offset0:58 offset1:59
	;; [unrolled: 1-line block ×16, first 2 shown]
	ds_read2_b64 v[177:180], v255 offset1:1
	s_waitcnt lgkmcnt(0)
	v_cmp_neq_f64_e32 vcc_lo, 0, v[177:178]
	v_cmp_neq_f64_e64 s1, 0, v[179:180]
	s_or_b32 s1, vcc_lo, s1
	s_and_b32 exec_lo, exec_lo, s1
	s_cbranch_execz .LBB87_17
; %bb.12:
	v_cmp_ngt_f64_e64 s1, |v[177:178]|, |v[179:180]|
                                        ; implicit-def: $vgpr181_vgpr182
	s_and_saveexec_b32 s3, s1
	s_xor_b32 s1, exec_lo, s3
                                        ; implicit-def: $vgpr183_vgpr184
	s_cbranch_execz .LBB87_14
; %bb.13:
	v_div_scale_f64 v[181:182], null, v[179:180], v[179:180], v[177:178]
	v_div_scale_f64 v[187:188], vcc_lo, v[177:178], v[179:180], v[177:178]
	v_rcp_f64_e32 v[183:184], v[181:182]
	v_fma_f64 v[185:186], -v[181:182], v[183:184], 1.0
	v_fma_f64 v[183:184], v[183:184], v[185:186], v[183:184]
	v_fma_f64 v[185:186], -v[181:182], v[183:184], 1.0
	v_fma_f64 v[183:184], v[183:184], v[185:186], v[183:184]
	v_mul_f64 v[185:186], v[187:188], v[183:184]
	v_fma_f64 v[181:182], -v[181:182], v[185:186], v[187:188]
	v_div_fmas_f64 v[181:182], v[181:182], v[183:184], v[185:186]
	v_div_fixup_f64 v[181:182], v[181:182], v[179:180], v[177:178]
	v_fma_f64 v[177:178], v[177:178], v[181:182], v[179:180]
	v_div_scale_f64 v[179:180], null, v[177:178], v[177:178], 1.0
	v_rcp_f64_e32 v[183:184], v[179:180]
	v_fma_f64 v[185:186], -v[179:180], v[183:184], 1.0
	v_fma_f64 v[183:184], v[183:184], v[185:186], v[183:184]
	v_fma_f64 v[185:186], -v[179:180], v[183:184], 1.0
	v_fma_f64 v[183:184], v[183:184], v[185:186], v[183:184]
	v_div_scale_f64 v[185:186], vcc_lo, 1.0, v[177:178], 1.0
	v_mul_f64 v[187:188], v[185:186], v[183:184]
	v_fma_f64 v[179:180], -v[179:180], v[187:188], v[185:186]
	v_div_fmas_f64 v[179:180], v[179:180], v[183:184], v[187:188]
	v_div_fixup_f64 v[183:184], v[179:180], v[177:178], 1.0
                                        ; implicit-def: $vgpr177_vgpr178
	v_mul_f64 v[181:182], v[181:182], v[183:184]
	v_xor_b32_e32 v184, 0x80000000, v184
.LBB87_14:
	s_andn2_saveexec_b32 s1, s1
	s_cbranch_execz .LBB87_16
; %bb.15:
	v_div_scale_f64 v[181:182], null, v[177:178], v[177:178], v[179:180]
	v_div_scale_f64 v[187:188], vcc_lo, v[179:180], v[177:178], v[179:180]
	v_rcp_f64_e32 v[183:184], v[181:182]
	v_fma_f64 v[185:186], -v[181:182], v[183:184], 1.0
	v_fma_f64 v[183:184], v[183:184], v[185:186], v[183:184]
	v_fma_f64 v[185:186], -v[181:182], v[183:184], 1.0
	v_fma_f64 v[183:184], v[183:184], v[185:186], v[183:184]
	v_mul_f64 v[185:186], v[187:188], v[183:184]
	v_fma_f64 v[181:182], -v[181:182], v[185:186], v[187:188]
	v_div_fmas_f64 v[181:182], v[181:182], v[183:184], v[185:186]
	v_div_fixup_f64 v[183:184], v[181:182], v[177:178], v[179:180]
	v_fma_f64 v[177:178], v[179:180], v[183:184], v[177:178]
	v_div_scale_f64 v[179:180], null, v[177:178], v[177:178], 1.0
	v_rcp_f64_e32 v[181:182], v[179:180]
	v_fma_f64 v[185:186], -v[179:180], v[181:182], 1.0
	v_fma_f64 v[181:182], v[181:182], v[185:186], v[181:182]
	v_fma_f64 v[185:186], -v[179:180], v[181:182], 1.0
	v_fma_f64 v[181:182], v[181:182], v[185:186], v[181:182]
	v_div_scale_f64 v[185:186], vcc_lo, 1.0, v[177:178], 1.0
	v_mul_f64 v[187:188], v[185:186], v[181:182]
	v_fma_f64 v[179:180], -v[179:180], v[187:188], v[185:186]
	v_div_fmas_f64 v[179:180], v[179:180], v[181:182], v[187:188]
	v_div_fixup_f64 v[181:182], v[179:180], v[177:178], 1.0
	v_mul_f64 v[183:184], v[183:184], -v[181:182]
.LBB87_16:
	s_or_b32 exec_lo, exec_lo, s1
	ds_write2_b64 v255, v[181:182], v[183:184] offset1:1
.LBB87_17:
	s_or_b32 exec_lo, exec_lo, s2
	s_waitcnt lgkmcnt(0)
	s_barrier
	buffer_gl0_inv
	ds_read2_b64 v[49:52], v255 offset1:1
	s_mov_b32 s1, exec_lo
	s_waitcnt lgkmcnt(0)
	buffer_store_dword v49, off, s[16:19], 0 offset:640 ; 4-byte Folded Spill
	buffer_store_dword v50, off, s[16:19], 0 offset:644 ; 4-byte Folded Spill
	;; [unrolled: 1-line block ×4, first 2 shown]
	v_cmpx_lt_u32_e32 1, v0
	s_cbranch_execz .LBB87_19
; %bb.18:
	s_clause 0x7
	buffer_load_dword v181, off, s[16:19], 0 offset:160
	buffer_load_dword v182, off, s[16:19], 0 offset:164
	buffer_load_dword v183, off, s[16:19], 0 offset:168
	buffer_load_dword v184, off, s[16:19], 0 offset:172
	buffer_load_dword v49, off, s[16:19], 0 offset:640
	buffer_load_dword v50, off, s[16:19], 0 offset:644
	buffer_load_dword v51, off, s[16:19], 0 offset:648
	buffer_load_dword v52, off, s[16:19], 0 offset:652
	s_waitcnt vmcnt(2)
	v_mul_f64 v[171:172], v[49:50], v[183:184]
	s_waitcnt vmcnt(0)
	v_mul_f64 v[177:178], v[51:52], v[183:184]
	v_fma_f64 v[183:184], v[51:52], v[181:182], v[171:172]
	v_fma_f64 v[177:178], v[49:50], v[181:182], -v[177:178]
	ds_read2_b64 v[179:182], v253 offset0:4 offset1:5
	s_waitcnt lgkmcnt(0)
	v_mul_f64 v[169:170], v[181:182], v[183:184]
	v_fma_f64 v[169:170], v[179:180], v[177:178], -v[169:170]
	v_mul_f64 v[179:180], v[179:180], v[183:184]
	v_add_f64 v[165:166], v[165:166], -v[169:170]
	v_fma_f64 v[179:180], v[181:182], v[177:178], v[179:180]
	v_add_f64 v[167:168], v[167:168], -v[179:180]
	ds_read2_b64 v[179:182], v253 offset0:6 offset1:7
	s_waitcnt lgkmcnt(0)
	v_mul_f64 v[169:170], v[181:182], v[183:184]
	v_fma_f64 v[169:170], v[179:180], v[177:178], -v[169:170]
	v_mul_f64 v[179:180], v[179:180], v[183:184]
	v_add_f64 v[161:162], v[161:162], -v[169:170]
	v_fma_f64 v[179:180], v[181:182], v[177:178], v[179:180]
	v_add_f64 v[163:164], v[163:164], -v[179:180]
	ds_read2_b64 v[179:182], v253 offset0:8 offset1:9
	s_waitcnt lgkmcnt(0)
	v_mul_f64 v[169:170], v[181:182], v[183:184]
	v_fma_f64 v[169:170], v[179:180], v[177:178], -v[169:170]
	v_mul_f64 v[179:180], v[179:180], v[183:184]
	v_add_f64 v[157:158], v[157:158], -v[169:170]
	v_fma_f64 v[179:180], v[181:182], v[177:178], v[179:180]
	v_add_f64 v[159:160], v[159:160], -v[179:180]
	ds_read2_b64 v[179:182], v253 offset0:10 offset1:11
	s_clause 0x3
	buffer_load_dword v153, off, s[16:19], 0 offset:144
	buffer_load_dword v154, off, s[16:19], 0 offset:148
	;; [unrolled: 1-line block ×4, first 2 shown]
	s_waitcnt lgkmcnt(0)
	v_mul_f64 v[169:170], v[181:182], v[183:184]
	v_fma_f64 v[169:170], v[179:180], v[177:178], -v[169:170]
	v_mul_f64 v[179:180], v[179:180], v[183:184]
	v_fma_f64 v[179:180], v[181:182], v[177:178], v[179:180]
	s_waitcnt vmcnt(2)
	v_add_f64 v[153:154], v[153:154], -v[169:170]
	s_waitcnt vmcnt(0)
	v_add_f64 v[155:156], v[155:156], -v[179:180]
	buffer_store_dword v153, off, s[16:19], 0 offset:144 ; 4-byte Folded Spill
	buffer_store_dword v154, off, s[16:19], 0 offset:148 ; 4-byte Folded Spill
	;; [unrolled: 1-line block ×4, first 2 shown]
	ds_read2_b64 v[179:182], v253 offset0:12 offset1:13
	s_waitcnt lgkmcnt(0)
	v_mul_f64 v[169:170], v[181:182], v[183:184]
	v_fma_f64 v[169:170], v[179:180], v[177:178], -v[169:170]
	v_mul_f64 v[179:180], v[179:180], v[183:184]
	v_add_f64 v[149:150], v[149:150], -v[169:170]
	v_fma_f64 v[179:180], v[181:182], v[177:178], v[179:180]
	v_add_f64 v[151:152], v[151:152], -v[179:180]
	ds_read2_b64 v[179:182], v253 offset0:14 offset1:15
	s_waitcnt lgkmcnt(0)
	v_mul_f64 v[169:170], v[181:182], v[183:184]
	v_fma_f64 v[169:170], v[179:180], v[177:178], -v[169:170]
	v_mul_f64 v[179:180], v[179:180], v[183:184]
	v_add_f64 v[225:226], v[225:226], -v[169:170]
	v_fma_f64 v[179:180], v[181:182], v[177:178], v[179:180]
	v_add_f64 v[227:228], v[227:228], -v[179:180]
	;; [unrolled: 8-line block ×14, first 2 shown]
	ds_read2_b64 v[179:182], v253 offset0:40 offset1:41
	s_clause 0x3
	buffer_load_dword v49, off, s[16:19], 0 offset:128
	buffer_load_dword v50, off, s[16:19], 0 offset:132
	buffer_load_dword v51, off, s[16:19], 0 offset:136
	buffer_load_dword v52, off, s[16:19], 0 offset:140
	s_waitcnt lgkmcnt(0)
	v_mul_f64 v[169:170], v[181:182], v[183:184]
	v_fma_f64 v[169:170], v[179:180], v[177:178], -v[169:170]
	v_mul_f64 v[179:180], v[179:180], v[183:184]
	v_fma_f64 v[179:180], v[181:182], v[177:178], v[179:180]
	s_waitcnt vmcnt(2)
	v_add_f64 v[49:50], v[49:50], -v[169:170]
	s_waitcnt vmcnt(0)
	v_add_f64 v[51:52], v[51:52], -v[179:180]
	buffer_store_dword v49, off, s[16:19], 0 offset:128 ; 4-byte Folded Spill
	buffer_store_dword v50, off, s[16:19], 0 offset:132 ; 4-byte Folded Spill
	buffer_store_dword v51, off, s[16:19], 0 offset:136 ; 4-byte Folded Spill
	buffer_store_dword v52, off, s[16:19], 0 offset:140 ; 4-byte Folded Spill
	ds_read2_b64 v[179:182], v253 offset0:42 offset1:43
	s_clause 0x3
	buffer_load_dword v49, off, s[16:19], 0 offset:112
	buffer_load_dword v50, off, s[16:19], 0 offset:116
	buffer_load_dword v51, off, s[16:19], 0 offset:120
	buffer_load_dword v52, off, s[16:19], 0 offset:124
	s_waitcnt lgkmcnt(0)
	v_mul_f64 v[169:170], v[181:182], v[183:184]
	v_fma_f64 v[169:170], v[179:180], v[177:178], -v[169:170]
	v_mul_f64 v[179:180], v[179:180], v[183:184]
	v_fma_f64 v[179:180], v[181:182], v[177:178], v[179:180]
	s_waitcnt vmcnt(2)
	v_add_f64 v[49:50], v[49:50], -v[169:170]
	s_waitcnt vmcnt(0)
	v_add_f64 v[51:52], v[51:52], -v[179:180]
	buffer_store_dword v49, off, s[16:19], 0 offset:112 ; 4-byte Folded Spill
	buffer_store_dword v50, off, s[16:19], 0 offset:116 ; 4-byte Folded Spill
	buffer_store_dword v51, off, s[16:19], 0 offset:120 ; 4-byte Folded Spill
	buffer_store_dword v52, off, s[16:19], 0 offset:124 ; 4-byte Folded Spill
	ds_read2_b64 v[179:182], v253 offset0:44 offset1:45
	s_clause 0x3
	buffer_load_dword v49, off, s[16:19], 0 offset:96
	buffer_load_dword v50, off, s[16:19], 0 offset:100
	buffer_load_dword v51, off, s[16:19], 0 offset:104
	buffer_load_dword v52, off, s[16:19], 0 offset:108
	s_waitcnt lgkmcnt(0)
	v_mul_f64 v[169:170], v[181:182], v[183:184]
	v_fma_f64 v[169:170], v[179:180], v[177:178], -v[169:170]
	v_mul_f64 v[179:180], v[179:180], v[183:184]
	v_fma_f64 v[179:180], v[181:182], v[177:178], v[179:180]
	s_waitcnt vmcnt(2)
	v_add_f64 v[49:50], v[49:50], -v[169:170]
	s_waitcnt vmcnt(0)
	v_add_f64 v[51:52], v[51:52], -v[179:180]
	buffer_store_dword v49, off, s[16:19], 0 offset:96 ; 4-byte Folded Spill
	buffer_store_dword v50, off, s[16:19], 0 offset:100 ; 4-byte Folded Spill
	buffer_store_dword v51, off, s[16:19], 0 offset:104 ; 4-byte Folded Spill
	buffer_store_dword v52, off, s[16:19], 0 offset:108 ; 4-byte Folded Spill
	ds_read2_b64 v[179:182], v253 offset0:46 offset1:47
	s_clause 0x3
	buffer_load_dword v49, off, s[16:19], 0 offset:80
	buffer_load_dword v50, off, s[16:19], 0 offset:84
	buffer_load_dword v51, off, s[16:19], 0 offset:88
	buffer_load_dword v52, off, s[16:19], 0 offset:92
	s_waitcnt lgkmcnt(0)
	v_mul_f64 v[169:170], v[181:182], v[183:184]
	v_fma_f64 v[169:170], v[179:180], v[177:178], -v[169:170]
	v_mul_f64 v[179:180], v[179:180], v[183:184]
	v_fma_f64 v[179:180], v[181:182], v[177:178], v[179:180]
	s_waitcnt vmcnt(2)
	v_add_f64 v[49:50], v[49:50], -v[169:170]
	s_waitcnt vmcnt(0)
	v_add_f64 v[51:52], v[51:52], -v[179:180]
	buffer_store_dword v49, off, s[16:19], 0 offset:80 ; 4-byte Folded Spill
	buffer_store_dword v50, off, s[16:19], 0 offset:84 ; 4-byte Folded Spill
	buffer_store_dword v51, off, s[16:19], 0 offset:88 ; 4-byte Folded Spill
	buffer_store_dword v52, off, s[16:19], 0 offset:92 ; 4-byte Folded Spill
	ds_read2_b64 v[179:182], v253 offset0:48 offset1:49
	s_clause 0x3
	buffer_load_dword v49, off, s[16:19], 0 offset:64
	buffer_load_dword v50, off, s[16:19], 0 offset:68
	buffer_load_dword v51, off, s[16:19], 0 offset:72
	buffer_load_dword v52, off, s[16:19], 0 offset:76
	s_waitcnt lgkmcnt(0)
	v_mul_f64 v[169:170], v[181:182], v[183:184]
	v_fma_f64 v[169:170], v[179:180], v[177:178], -v[169:170]
	v_mul_f64 v[179:180], v[179:180], v[183:184]
	v_fma_f64 v[179:180], v[181:182], v[177:178], v[179:180]
	s_waitcnt vmcnt(2)
	v_add_f64 v[49:50], v[49:50], -v[169:170]
	s_waitcnt vmcnt(0)
	v_add_f64 v[51:52], v[51:52], -v[179:180]
	buffer_store_dword v49, off, s[16:19], 0 offset:64 ; 4-byte Folded Spill
	buffer_store_dword v50, off, s[16:19], 0 offset:68 ; 4-byte Folded Spill
	buffer_store_dword v51, off, s[16:19], 0 offset:72 ; 4-byte Folded Spill
	buffer_store_dword v52, off, s[16:19], 0 offset:76 ; 4-byte Folded Spill
	ds_read2_b64 v[179:182], v253 offset0:50 offset1:51
	s_clause 0x3
	buffer_load_dword v49, off, s[16:19], 0 offset:48
	buffer_load_dword v50, off, s[16:19], 0 offset:52
	buffer_load_dword v51, off, s[16:19], 0 offset:56
	buffer_load_dword v52, off, s[16:19], 0 offset:60
	s_waitcnt lgkmcnt(0)
	v_mul_f64 v[169:170], v[181:182], v[183:184]
	v_fma_f64 v[169:170], v[179:180], v[177:178], -v[169:170]
	v_mul_f64 v[179:180], v[179:180], v[183:184]
	v_fma_f64 v[179:180], v[181:182], v[177:178], v[179:180]
	s_waitcnt vmcnt(2)
	v_add_f64 v[49:50], v[49:50], -v[169:170]
	s_waitcnt vmcnt(0)
	v_add_f64 v[51:52], v[51:52], -v[179:180]
	buffer_store_dword v49, off, s[16:19], 0 offset:48 ; 4-byte Folded Spill
	buffer_store_dword v50, off, s[16:19], 0 offset:52 ; 4-byte Folded Spill
	buffer_store_dword v51, off, s[16:19], 0 offset:56 ; 4-byte Folded Spill
	buffer_store_dword v52, off, s[16:19], 0 offset:60 ; 4-byte Folded Spill
	ds_read2_b64 v[179:182], v253 offset0:52 offset1:53
	s_clause 0x3
	buffer_load_dword v49, off, s[16:19], 0 offset:32
	buffer_load_dword v50, off, s[16:19], 0 offset:36
	buffer_load_dword v51, off, s[16:19], 0 offset:40
	buffer_load_dword v52, off, s[16:19], 0 offset:44
	s_waitcnt lgkmcnt(0)
	v_mul_f64 v[169:170], v[181:182], v[183:184]
	v_fma_f64 v[169:170], v[179:180], v[177:178], -v[169:170]
	v_mul_f64 v[179:180], v[179:180], v[183:184]
	v_fma_f64 v[179:180], v[181:182], v[177:178], v[179:180]
	s_waitcnt vmcnt(2)
	v_add_f64 v[49:50], v[49:50], -v[169:170]
	s_waitcnt vmcnt(0)
	v_add_f64 v[51:52], v[51:52], -v[179:180]
	buffer_store_dword v49, off, s[16:19], 0 offset:32 ; 4-byte Folded Spill
	buffer_store_dword v50, off, s[16:19], 0 offset:36 ; 4-byte Folded Spill
	buffer_store_dword v51, off, s[16:19], 0 offset:40 ; 4-byte Folded Spill
	buffer_store_dword v52, off, s[16:19], 0 offset:44 ; 4-byte Folded Spill
	ds_read2_b64 v[179:182], v253 offset0:54 offset1:55
	s_clause 0x3
	buffer_load_dword v49, off, s[16:19], 0 offset:16
	buffer_load_dword v50, off, s[16:19], 0 offset:20
	buffer_load_dword v51, off, s[16:19], 0 offset:24
	buffer_load_dword v52, off, s[16:19], 0 offset:28
	s_waitcnt lgkmcnt(0)
	v_mul_f64 v[169:170], v[181:182], v[183:184]
	v_fma_f64 v[169:170], v[179:180], v[177:178], -v[169:170]
	v_mul_f64 v[179:180], v[179:180], v[183:184]
	v_fma_f64 v[179:180], v[181:182], v[177:178], v[179:180]
	s_waitcnt vmcnt(2)
	v_add_f64 v[49:50], v[49:50], -v[169:170]
	s_waitcnt vmcnt(0)
	v_add_f64 v[51:52], v[51:52], -v[179:180]
	buffer_store_dword v49, off, s[16:19], 0 offset:16 ; 4-byte Folded Spill
	buffer_store_dword v50, off, s[16:19], 0 offset:20 ; 4-byte Folded Spill
	buffer_store_dword v51, off, s[16:19], 0 offset:24 ; 4-byte Folded Spill
	buffer_store_dword v52, off, s[16:19], 0 offset:28 ; 4-byte Folded Spill
	ds_read2_b64 v[179:182], v253 offset0:56 offset1:57
	s_clause 0x3
	buffer_load_dword v49, off, s[16:19], 0
	buffer_load_dword v50, off, s[16:19], 0 offset:4
	buffer_load_dword v51, off, s[16:19], 0 offset:8
	;; [unrolled: 1-line block ×3, first 2 shown]
	s_waitcnt lgkmcnt(0)
	v_mul_f64 v[169:170], v[181:182], v[183:184]
	v_fma_f64 v[169:170], v[179:180], v[177:178], -v[169:170]
	v_mul_f64 v[179:180], v[179:180], v[183:184]
	v_fma_f64 v[179:180], v[181:182], v[177:178], v[179:180]
	s_waitcnt vmcnt(2)
	v_add_f64 v[49:50], v[49:50], -v[169:170]
	s_waitcnt vmcnt(0)
	v_add_f64 v[51:52], v[51:52], -v[179:180]
	buffer_store_dword v49, off, s[16:19], 0 ; 4-byte Folded Spill
	buffer_store_dword v50, off, s[16:19], 0 offset:4 ; 4-byte Folded Spill
	buffer_store_dword v51, off, s[16:19], 0 offset:8 ; 4-byte Folded Spill
	;; [unrolled: 1-line block ×3, first 2 shown]
	ds_read2_b64 v[179:182], v253 offset0:58 offset1:59
	s_waitcnt lgkmcnt(0)
	v_mul_f64 v[169:170], v[181:182], v[183:184]
	v_fma_f64 v[169:170], v[179:180], v[177:178], -v[169:170]
	v_mul_f64 v[179:180], v[179:180], v[183:184]
	v_add_f64 v[57:58], v[57:58], -v[169:170]
	v_fma_f64 v[179:180], v[181:182], v[177:178], v[179:180]
	v_add_f64 v[59:60], v[59:60], -v[179:180]
	ds_read2_b64 v[179:182], v253 offset0:60 offset1:61
	s_waitcnt lgkmcnt(0)
	v_mul_f64 v[169:170], v[181:182], v[183:184]
	v_fma_f64 v[169:170], v[179:180], v[177:178], -v[169:170]
	v_mul_f64 v[179:180], v[179:180], v[183:184]
	v_add_f64 v[241:242], v[241:242], -v[169:170]
	v_fma_f64 v[179:180], v[181:182], v[177:178], v[179:180]
	v_add_f64 v[243:244], v[243:244], -v[179:180]
	;; [unrolled: 8-line block ×14, first 2 shown]
	ds_read2_b64 v[179:182], v253 offset0:86 offset1:87
	s_waitcnt lgkmcnt(0)
	v_mul_f64 v[169:170], v[181:182], v[183:184]
	v_fma_f64 v[169:170], v[179:180], v[177:178], -v[169:170]
	v_mul_f64 v[179:180], v[179:180], v[183:184]
	v_add_f64 v[1:2], v[1:2], -v[169:170]
	v_fma_f64 v[179:180], v[181:182], v[177:178], v[179:180]
	v_mov_b32_e32 v182, v178
	v_mov_b32_e32 v181, v177
	buffer_store_dword v181, off, s[16:19], 0 offset:160 ; 4-byte Folded Spill
	buffer_store_dword v182, off, s[16:19], 0 offset:164 ; 4-byte Folded Spill
	;; [unrolled: 1-line block ×4, first 2 shown]
	v_add_f64 v[3:4], v[3:4], -v[179:180]
.LBB87_19:
	s_or_b32 exec_lo, exec_lo, s1
	s_mov_b32 s2, exec_lo
	s_waitcnt_vscnt null, 0x0
	s_barrier
	buffer_gl0_inv
	v_cmpx_eq_u32_e32 2, v0
	s_cbranch_execz .LBB87_26
; %bb.20:
	ds_write2_b64 v255, v[165:166], v[167:168] offset1:1
	ds_write2_b64 v253, v[161:162], v[163:164] offset0:6 offset1:7
	ds_write2_b64 v253, v[157:158], v[159:160] offset0:8 offset1:9
	s_clause 0x3
	buffer_load_dword v153, off, s[16:19], 0 offset:144
	buffer_load_dword v154, off, s[16:19], 0 offset:148
	;; [unrolled: 1-line block ×4, first 2 shown]
	s_waitcnt vmcnt(0)
	ds_write2_b64 v253, v[153:154], v[155:156] offset0:10 offset1:11
	ds_write2_b64 v253, v[149:150], v[151:152] offset0:12 offset1:13
	;; [unrolled: 1-line block ×15, first 2 shown]
	s_clause 0x3
	buffer_load_dword v49, off, s[16:19], 0 offset:128
	buffer_load_dword v50, off, s[16:19], 0 offset:132
	buffer_load_dword v51, off, s[16:19], 0 offset:136
	buffer_load_dword v52, off, s[16:19], 0 offset:140
	s_waitcnt vmcnt(0)
	ds_write2_b64 v253, v[49:50], v[51:52] offset0:40 offset1:41
	s_clause 0x3
	buffer_load_dword v49, off, s[16:19], 0 offset:112
	buffer_load_dword v50, off, s[16:19], 0 offset:116
	buffer_load_dword v51, off, s[16:19], 0 offset:120
	buffer_load_dword v52, off, s[16:19], 0 offset:124
	s_waitcnt vmcnt(0)
	ds_write2_b64 v253, v[49:50], v[51:52] offset0:42 offset1:43
	;; [unrolled: 7-line block ×8, first 2 shown]
	s_clause 0x3
	buffer_load_dword v49, off, s[16:19], 0
	buffer_load_dword v50, off, s[16:19], 0 offset:4
	buffer_load_dword v51, off, s[16:19], 0 offset:8
	;; [unrolled: 1-line block ×3, first 2 shown]
	s_waitcnt vmcnt(0)
	ds_write2_b64 v253, v[49:50], v[51:52] offset0:56 offset1:57
	ds_write2_b64 v253, v[57:58], v[59:60] offset0:58 offset1:59
	;; [unrolled: 1-line block ×16, first 2 shown]
	ds_read2_b64 v[177:180], v255 offset1:1
	s_waitcnt lgkmcnt(0)
	v_cmp_neq_f64_e32 vcc_lo, 0, v[177:178]
	v_cmp_neq_f64_e64 s1, 0, v[179:180]
	s_or_b32 s1, vcc_lo, s1
	s_and_b32 exec_lo, exec_lo, s1
	s_cbranch_execz .LBB87_26
; %bb.21:
	v_cmp_ngt_f64_e64 s1, |v[177:178]|, |v[179:180]|
                                        ; implicit-def: $vgpr181_vgpr182
	s_and_saveexec_b32 s3, s1
	s_xor_b32 s1, exec_lo, s3
                                        ; implicit-def: $vgpr183_vgpr184
	s_cbranch_execz .LBB87_23
; %bb.22:
	v_div_scale_f64 v[181:182], null, v[179:180], v[179:180], v[177:178]
	v_div_scale_f64 v[187:188], vcc_lo, v[177:178], v[179:180], v[177:178]
	v_rcp_f64_e32 v[183:184], v[181:182]
	v_fma_f64 v[185:186], -v[181:182], v[183:184], 1.0
	v_fma_f64 v[183:184], v[183:184], v[185:186], v[183:184]
	v_fma_f64 v[185:186], -v[181:182], v[183:184], 1.0
	v_fma_f64 v[183:184], v[183:184], v[185:186], v[183:184]
	v_mul_f64 v[185:186], v[187:188], v[183:184]
	v_fma_f64 v[181:182], -v[181:182], v[185:186], v[187:188]
	v_div_fmas_f64 v[181:182], v[181:182], v[183:184], v[185:186]
	v_div_fixup_f64 v[181:182], v[181:182], v[179:180], v[177:178]
	v_fma_f64 v[177:178], v[177:178], v[181:182], v[179:180]
	v_div_scale_f64 v[179:180], null, v[177:178], v[177:178], 1.0
	v_rcp_f64_e32 v[183:184], v[179:180]
	v_fma_f64 v[185:186], -v[179:180], v[183:184], 1.0
	v_fma_f64 v[183:184], v[183:184], v[185:186], v[183:184]
	v_fma_f64 v[185:186], -v[179:180], v[183:184], 1.0
	v_fma_f64 v[183:184], v[183:184], v[185:186], v[183:184]
	v_div_scale_f64 v[185:186], vcc_lo, 1.0, v[177:178], 1.0
	v_mul_f64 v[187:188], v[185:186], v[183:184]
	v_fma_f64 v[179:180], -v[179:180], v[187:188], v[185:186]
	v_div_fmas_f64 v[179:180], v[179:180], v[183:184], v[187:188]
	v_div_fixup_f64 v[183:184], v[179:180], v[177:178], 1.0
                                        ; implicit-def: $vgpr177_vgpr178
	v_mul_f64 v[181:182], v[181:182], v[183:184]
	v_xor_b32_e32 v184, 0x80000000, v184
.LBB87_23:
	s_andn2_saveexec_b32 s1, s1
	s_cbranch_execz .LBB87_25
; %bb.24:
	v_div_scale_f64 v[181:182], null, v[177:178], v[177:178], v[179:180]
	v_div_scale_f64 v[187:188], vcc_lo, v[179:180], v[177:178], v[179:180]
	v_rcp_f64_e32 v[183:184], v[181:182]
	v_fma_f64 v[185:186], -v[181:182], v[183:184], 1.0
	v_fma_f64 v[183:184], v[183:184], v[185:186], v[183:184]
	v_fma_f64 v[185:186], -v[181:182], v[183:184], 1.0
	v_fma_f64 v[183:184], v[183:184], v[185:186], v[183:184]
	v_mul_f64 v[185:186], v[187:188], v[183:184]
	v_fma_f64 v[181:182], -v[181:182], v[185:186], v[187:188]
	v_div_fmas_f64 v[181:182], v[181:182], v[183:184], v[185:186]
	v_div_fixup_f64 v[183:184], v[181:182], v[177:178], v[179:180]
	v_fma_f64 v[177:178], v[179:180], v[183:184], v[177:178]
	v_div_scale_f64 v[179:180], null, v[177:178], v[177:178], 1.0
	v_rcp_f64_e32 v[181:182], v[179:180]
	v_fma_f64 v[185:186], -v[179:180], v[181:182], 1.0
	v_fma_f64 v[181:182], v[181:182], v[185:186], v[181:182]
	v_fma_f64 v[185:186], -v[179:180], v[181:182], 1.0
	v_fma_f64 v[181:182], v[181:182], v[185:186], v[181:182]
	v_div_scale_f64 v[185:186], vcc_lo, 1.0, v[177:178], 1.0
	v_mul_f64 v[187:188], v[185:186], v[181:182]
	v_fma_f64 v[179:180], -v[179:180], v[187:188], v[185:186]
	v_div_fmas_f64 v[179:180], v[179:180], v[181:182], v[187:188]
	v_div_fixup_f64 v[181:182], v[179:180], v[177:178], 1.0
	v_mul_f64 v[183:184], v[183:184], -v[181:182]
.LBB87_25:
	s_or_b32 exec_lo, exec_lo, s1
	ds_write2_b64 v255, v[181:182], v[183:184] offset1:1
.LBB87_26:
	s_or_b32 exec_lo, exec_lo, s2
	s_waitcnt lgkmcnt(0)
	s_barrier
	buffer_gl0_inv
	ds_read2_b64 v[49:52], v255 offset1:1
	s_mov_b32 s1, exec_lo
	s_waitcnt lgkmcnt(0)
	buffer_store_dword v49, off, s[16:19], 0 offset:656 ; 4-byte Folded Spill
	buffer_store_dword v50, off, s[16:19], 0 offset:660 ; 4-byte Folded Spill
	;; [unrolled: 1-line block ×4, first 2 shown]
	v_cmpx_lt_u32_e32 2, v0
	s_cbranch_execz .LBB87_28
; %bb.27:
	s_clause 0x3
	buffer_load_dword v49, off, s[16:19], 0 offset:656
	buffer_load_dword v50, off, s[16:19], 0 offset:660
	;; [unrolled: 1-line block ×4, first 2 shown]
	ds_read2_b64 v[179:182], v253 offset0:6 offset1:7
	s_waitcnt vmcnt(0)
	v_mul_f64 v[177:178], v[51:52], v[167:168]
	v_mul_f64 v[167:168], v[49:50], v[167:168]
	v_fma_f64 v[177:178], v[49:50], v[165:166], -v[177:178]
	v_fma_f64 v[167:168], v[51:52], v[165:166], v[167:168]
	s_waitcnt lgkmcnt(0)
	v_mul_f64 v[165:166], v[181:182], v[167:168]
	v_fma_f64 v[165:166], v[179:180], v[177:178], -v[165:166]
	v_mul_f64 v[179:180], v[179:180], v[167:168]
	v_add_f64 v[161:162], v[161:162], -v[165:166]
	v_fma_f64 v[179:180], v[181:182], v[177:178], v[179:180]
	v_add_f64 v[163:164], v[163:164], -v[179:180]
	ds_read2_b64 v[179:182], v253 offset0:8 offset1:9
	s_waitcnt lgkmcnt(0)
	v_mul_f64 v[165:166], v[181:182], v[167:168]
	v_fma_f64 v[165:166], v[179:180], v[177:178], -v[165:166]
	v_mul_f64 v[179:180], v[179:180], v[167:168]
	v_add_f64 v[157:158], v[157:158], -v[165:166]
	v_fma_f64 v[179:180], v[181:182], v[177:178], v[179:180]
	v_add_f64 v[159:160], v[159:160], -v[179:180]
	ds_read2_b64 v[179:182], v253 offset0:10 offset1:11
	s_clause 0x3
	buffer_load_dword v153, off, s[16:19], 0 offset:144
	buffer_load_dword v154, off, s[16:19], 0 offset:148
	;; [unrolled: 1-line block ×4, first 2 shown]
	s_waitcnt lgkmcnt(0)
	v_mul_f64 v[165:166], v[181:182], v[167:168]
	v_fma_f64 v[165:166], v[179:180], v[177:178], -v[165:166]
	v_mul_f64 v[179:180], v[179:180], v[167:168]
	v_fma_f64 v[179:180], v[181:182], v[177:178], v[179:180]
	s_waitcnt vmcnt(2)
	v_add_f64 v[153:154], v[153:154], -v[165:166]
	s_waitcnt vmcnt(0)
	v_add_f64 v[155:156], v[155:156], -v[179:180]
	buffer_store_dword v153, off, s[16:19], 0 offset:144 ; 4-byte Folded Spill
	buffer_store_dword v154, off, s[16:19], 0 offset:148 ; 4-byte Folded Spill
	;; [unrolled: 1-line block ×4, first 2 shown]
	ds_read2_b64 v[179:182], v253 offset0:12 offset1:13
	s_waitcnt lgkmcnt(0)
	v_mul_f64 v[165:166], v[181:182], v[167:168]
	v_fma_f64 v[165:166], v[179:180], v[177:178], -v[165:166]
	v_mul_f64 v[179:180], v[179:180], v[167:168]
	v_add_f64 v[149:150], v[149:150], -v[165:166]
	v_fma_f64 v[179:180], v[181:182], v[177:178], v[179:180]
	v_add_f64 v[151:152], v[151:152], -v[179:180]
	ds_read2_b64 v[179:182], v253 offset0:14 offset1:15
	s_waitcnt lgkmcnt(0)
	v_mul_f64 v[165:166], v[181:182], v[167:168]
	v_fma_f64 v[165:166], v[179:180], v[177:178], -v[165:166]
	v_mul_f64 v[179:180], v[179:180], v[167:168]
	v_add_f64 v[225:226], v[225:226], -v[165:166]
	v_fma_f64 v[179:180], v[181:182], v[177:178], v[179:180]
	v_add_f64 v[227:228], v[227:228], -v[179:180]
	;; [unrolled: 8-line block ×14, first 2 shown]
	ds_read2_b64 v[179:182], v253 offset0:40 offset1:41
	s_clause 0x3
	buffer_load_dword v49, off, s[16:19], 0 offset:128
	buffer_load_dword v50, off, s[16:19], 0 offset:132
	buffer_load_dword v51, off, s[16:19], 0 offset:136
	buffer_load_dword v52, off, s[16:19], 0 offset:140
	s_waitcnt lgkmcnt(0)
	v_mul_f64 v[165:166], v[181:182], v[167:168]
	v_fma_f64 v[165:166], v[179:180], v[177:178], -v[165:166]
	v_mul_f64 v[179:180], v[179:180], v[167:168]
	v_fma_f64 v[179:180], v[181:182], v[177:178], v[179:180]
	s_waitcnt vmcnt(2)
	v_add_f64 v[49:50], v[49:50], -v[165:166]
	s_waitcnt vmcnt(0)
	v_add_f64 v[51:52], v[51:52], -v[179:180]
	buffer_store_dword v49, off, s[16:19], 0 offset:128 ; 4-byte Folded Spill
	buffer_store_dword v50, off, s[16:19], 0 offset:132 ; 4-byte Folded Spill
	buffer_store_dword v51, off, s[16:19], 0 offset:136 ; 4-byte Folded Spill
	buffer_store_dword v52, off, s[16:19], 0 offset:140 ; 4-byte Folded Spill
	ds_read2_b64 v[179:182], v253 offset0:42 offset1:43
	s_clause 0x3
	buffer_load_dword v49, off, s[16:19], 0 offset:112
	buffer_load_dword v50, off, s[16:19], 0 offset:116
	buffer_load_dword v51, off, s[16:19], 0 offset:120
	buffer_load_dword v52, off, s[16:19], 0 offset:124
	s_waitcnt lgkmcnt(0)
	v_mul_f64 v[165:166], v[181:182], v[167:168]
	v_fma_f64 v[165:166], v[179:180], v[177:178], -v[165:166]
	v_mul_f64 v[179:180], v[179:180], v[167:168]
	v_fma_f64 v[179:180], v[181:182], v[177:178], v[179:180]
	s_waitcnt vmcnt(2)
	v_add_f64 v[49:50], v[49:50], -v[165:166]
	s_waitcnt vmcnt(0)
	v_add_f64 v[51:52], v[51:52], -v[179:180]
	buffer_store_dword v49, off, s[16:19], 0 offset:112 ; 4-byte Folded Spill
	buffer_store_dword v50, off, s[16:19], 0 offset:116 ; 4-byte Folded Spill
	buffer_store_dword v51, off, s[16:19], 0 offset:120 ; 4-byte Folded Spill
	buffer_store_dword v52, off, s[16:19], 0 offset:124 ; 4-byte Folded Spill
	ds_read2_b64 v[179:182], v253 offset0:44 offset1:45
	s_clause 0x3
	buffer_load_dword v49, off, s[16:19], 0 offset:96
	buffer_load_dword v50, off, s[16:19], 0 offset:100
	buffer_load_dword v51, off, s[16:19], 0 offset:104
	buffer_load_dword v52, off, s[16:19], 0 offset:108
	s_waitcnt lgkmcnt(0)
	v_mul_f64 v[165:166], v[181:182], v[167:168]
	v_fma_f64 v[165:166], v[179:180], v[177:178], -v[165:166]
	v_mul_f64 v[179:180], v[179:180], v[167:168]
	v_fma_f64 v[179:180], v[181:182], v[177:178], v[179:180]
	s_waitcnt vmcnt(2)
	v_add_f64 v[49:50], v[49:50], -v[165:166]
	s_waitcnt vmcnt(0)
	v_add_f64 v[51:52], v[51:52], -v[179:180]
	buffer_store_dword v49, off, s[16:19], 0 offset:96 ; 4-byte Folded Spill
	buffer_store_dword v50, off, s[16:19], 0 offset:100 ; 4-byte Folded Spill
	buffer_store_dword v51, off, s[16:19], 0 offset:104 ; 4-byte Folded Spill
	buffer_store_dword v52, off, s[16:19], 0 offset:108 ; 4-byte Folded Spill
	ds_read2_b64 v[179:182], v253 offset0:46 offset1:47
	s_clause 0x3
	buffer_load_dword v49, off, s[16:19], 0 offset:80
	buffer_load_dword v50, off, s[16:19], 0 offset:84
	buffer_load_dword v51, off, s[16:19], 0 offset:88
	buffer_load_dword v52, off, s[16:19], 0 offset:92
	s_waitcnt lgkmcnt(0)
	v_mul_f64 v[165:166], v[181:182], v[167:168]
	v_fma_f64 v[165:166], v[179:180], v[177:178], -v[165:166]
	v_mul_f64 v[179:180], v[179:180], v[167:168]
	v_fma_f64 v[179:180], v[181:182], v[177:178], v[179:180]
	s_waitcnt vmcnt(2)
	v_add_f64 v[49:50], v[49:50], -v[165:166]
	s_waitcnt vmcnt(0)
	v_add_f64 v[51:52], v[51:52], -v[179:180]
	buffer_store_dword v49, off, s[16:19], 0 offset:80 ; 4-byte Folded Spill
	buffer_store_dword v50, off, s[16:19], 0 offset:84 ; 4-byte Folded Spill
	buffer_store_dword v51, off, s[16:19], 0 offset:88 ; 4-byte Folded Spill
	buffer_store_dword v52, off, s[16:19], 0 offset:92 ; 4-byte Folded Spill
	ds_read2_b64 v[179:182], v253 offset0:48 offset1:49
	s_clause 0x3
	buffer_load_dword v49, off, s[16:19], 0 offset:64
	buffer_load_dword v50, off, s[16:19], 0 offset:68
	buffer_load_dword v51, off, s[16:19], 0 offset:72
	buffer_load_dword v52, off, s[16:19], 0 offset:76
	s_waitcnt lgkmcnt(0)
	v_mul_f64 v[165:166], v[181:182], v[167:168]
	v_fma_f64 v[165:166], v[179:180], v[177:178], -v[165:166]
	v_mul_f64 v[179:180], v[179:180], v[167:168]
	v_fma_f64 v[179:180], v[181:182], v[177:178], v[179:180]
	s_waitcnt vmcnt(2)
	v_add_f64 v[49:50], v[49:50], -v[165:166]
	s_waitcnt vmcnt(0)
	v_add_f64 v[51:52], v[51:52], -v[179:180]
	buffer_store_dword v49, off, s[16:19], 0 offset:64 ; 4-byte Folded Spill
	buffer_store_dword v50, off, s[16:19], 0 offset:68 ; 4-byte Folded Spill
	buffer_store_dword v51, off, s[16:19], 0 offset:72 ; 4-byte Folded Spill
	buffer_store_dword v52, off, s[16:19], 0 offset:76 ; 4-byte Folded Spill
	ds_read2_b64 v[179:182], v253 offset0:50 offset1:51
	s_clause 0x3
	buffer_load_dword v49, off, s[16:19], 0 offset:48
	buffer_load_dword v50, off, s[16:19], 0 offset:52
	buffer_load_dword v51, off, s[16:19], 0 offset:56
	buffer_load_dword v52, off, s[16:19], 0 offset:60
	s_waitcnt lgkmcnt(0)
	v_mul_f64 v[165:166], v[181:182], v[167:168]
	v_fma_f64 v[165:166], v[179:180], v[177:178], -v[165:166]
	v_mul_f64 v[179:180], v[179:180], v[167:168]
	v_fma_f64 v[179:180], v[181:182], v[177:178], v[179:180]
	s_waitcnt vmcnt(2)
	v_add_f64 v[49:50], v[49:50], -v[165:166]
	s_waitcnt vmcnt(0)
	v_add_f64 v[51:52], v[51:52], -v[179:180]
	buffer_store_dword v49, off, s[16:19], 0 offset:48 ; 4-byte Folded Spill
	buffer_store_dword v50, off, s[16:19], 0 offset:52 ; 4-byte Folded Spill
	buffer_store_dword v51, off, s[16:19], 0 offset:56 ; 4-byte Folded Spill
	buffer_store_dword v52, off, s[16:19], 0 offset:60 ; 4-byte Folded Spill
	ds_read2_b64 v[179:182], v253 offset0:52 offset1:53
	s_clause 0x3
	buffer_load_dword v49, off, s[16:19], 0 offset:32
	buffer_load_dword v50, off, s[16:19], 0 offset:36
	buffer_load_dword v51, off, s[16:19], 0 offset:40
	buffer_load_dword v52, off, s[16:19], 0 offset:44
	s_waitcnt lgkmcnt(0)
	v_mul_f64 v[165:166], v[181:182], v[167:168]
	v_fma_f64 v[165:166], v[179:180], v[177:178], -v[165:166]
	v_mul_f64 v[179:180], v[179:180], v[167:168]
	v_fma_f64 v[179:180], v[181:182], v[177:178], v[179:180]
	s_waitcnt vmcnt(2)
	v_add_f64 v[49:50], v[49:50], -v[165:166]
	s_waitcnt vmcnt(0)
	v_add_f64 v[51:52], v[51:52], -v[179:180]
	buffer_store_dword v49, off, s[16:19], 0 offset:32 ; 4-byte Folded Spill
	buffer_store_dword v50, off, s[16:19], 0 offset:36 ; 4-byte Folded Spill
	buffer_store_dword v51, off, s[16:19], 0 offset:40 ; 4-byte Folded Spill
	buffer_store_dword v52, off, s[16:19], 0 offset:44 ; 4-byte Folded Spill
	ds_read2_b64 v[179:182], v253 offset0:54 offset1:55
	s_clause 0x3
	buffer_load_dword v49, off, s[16:19], 0 offset:16
	buffer_load_dword v50, off, s[16:19], 0 offset:20
	buffer_load_dword v51, off, s[16:19], 0 offset:24
	buffer_load_dword v52, off, s[16:19], 0 offset:28
	s_waitcnt lgkmcnt(0)
	v_mul_f64 v[165:166], v[181:182], v[167:168]
	v_fma_f64 v[165:166], v[179:180], v[177:178], -v[165:166]
	v_mul_f64 v[179:180], v[179:180], v[167:168]
	v_fma_f64 v[179:180], v[181:182], v[177:178], v[179:180]
	s_waitcnt vmcnt(2)
	v_add_f64 v[49:50], v[49:50], -v[165:166]
	s_waitcnt vmcnt(0)
	v_add_f64 v[51:52], v[51:52], -v[179:180]
	buffer_store_dword v49, off, s[16:19], 0 offset:16 ; 4-byte Folded Spill
	buffer_store_dword v50, off, s[16:19], 0 offset:20 ; 4-byte Folded Spill
	buffer_store_dword v51, off, s[16:19], 0 offset:24 ; 4-byte Folded Spill
	buffer_store_dword v52, off, s[16:19], 0 offset:28 ; 4-byte Folded Spill
	ds_read2_b64 v[179:182], v253 offset0:56 offset1:57
	s_clause 0x3
	buffer_load_dword v49, off, s[16:19], 0
	buffer_load_dword v50, off, s[16:19], 0 offset:4
	buffer_load_dword v51, off, s[16:19], 0 offset:8
	buffer_load_dword v52, off, s[16:19], 0 offset:12
	s_waitcnt lgkmcnt(0)
	v_mul_f64 v[165:166], v[181:182], v[167:168]
	v_fma_f64 v[165:166], v[179:180], v[177:178], -v[165:166]
	v_mul_f64 v[179:180], v[179:180], v[167:168]
	v_fma_f64 v[179:180], v[181:182], v[177:178], v[179:180]
	s_waitcnt vmcnt(2)
	v_add_f64 v[49:50], v[49:50], -v[165:166]
	s_waitcnt vmcnt(0)
	v_add_f64 v[51:52], v[51:52], -v[179:180]
	buffer_store_dword v49, off, s[16:19], 0 ; 4-byte Folded Spill
	buffer_store_dword v50, off, s[16:19], 0 offset:4 ; 4-byte Folded Spill
	buffer_store_dword v51, off, s[16:19], 0 offset:8 ; 4-byte Folded Spill
	buffer_store_dword v52, off, s[16:19], 0 offset:12 ; 4-byte Folded Spill
	ds_read2_b64 v[179:182], v253 offset0:58 offset1:59
	s_waitcnt lgkmcnt(0)
	v_mul_f64 v[165:166], v[181:182], v[167:168]
	v_fma_f64 v[165:166], v[179:180], v[177:178], -v[165:166]
	v_mul_f64 v[179:180], v[179:180], v[167:168]
	v_add_f64 v[57:58], v[57:58], -v[165:166]
	v_fma_f64 v[179:180], v[181:182], v[177:178], v[179:180]
	v_add_f64 v[59:60], v[59:60], -v[179:180]
	ds_read2_b64 v[179:182], v253 offset0:60 offset1:61
	s_waitcnt lgkmcnt(0)
	v_mul_f64 v[165:166], v[181:182], v[167:168]
	v_fma_f64 v[165:166], v[179:180], v[177:178], -v[165:166]
	v_mul_f64 v[179:180], v[179:180], v[167:168]
	v_add_f64 v[241:242], v[241:242], -v[165:166]
	v_fma_f64 v[179:180], v[181:182], v[177:178], v[179:180]
	v_add_f64 v[243:244], v[243:244], -v[179:180]
	;; [unrolled: 8-line block ×14, first 2 shown]
	ds_read2_b64 v[179:182], v253 offset0:86 offset1:87
	s_waitcnt lgkmcnt(0)
	v_mul_f64 v[165:166], v[181:182], v[167:168]
	v_fma_f64 v[165:166], v[179:180], v[177:178], -v[165:166]
	v_mul_f64 v[179:180], v[179:180], v[167:168]
	v_add_f64 v[1:2], v[1:2], -v[165:166]
	v_fma_f64 v[179:180], v[181:182], v[177:178], v[179:180]
	v_mov_b32_e32 v165, v177
	v_mov_b32_e32 v166, v178
	v_add_f64 v[3:4], v[3:4], -v[179:180]
.LBB87_28:
	s_or_b32 exec_lo, exec_lo, s1
	s_mov_b32 s2, exec_lo
	s_waitcnt_vscnt null, 0x0
	s_barrier
	buffer_gl0_inv
	v_cmpx_eq_u32_e32 3, v0
	s_cbranch_execz .LBB87_35
; %bb.29:
	ds_write2_b64 v255, v[161:162], v[163:164] offset1:1
	ds_write2_b64 v253, v[157:158], v[159:160] offset0:8 offset1:9
	s_clause 0x3
	buffer_load_dword v153, off, s[16:19], 0 offset:144
	buffer_load_dword v154, off, s[16:19], 0 offset:148
	;; [unrolled: 1-line block ×4, first 2 shown]
	s_waitcnt vmcnt(0)
	ds_write2_b64 v253, v[153:154], v[155:156] offset0:10 offset1:11
	ds_write2_b64 v253, v[149:150], v[151:152] offset0:12 offset1:13
	;; [unrolled: 1-line block ×15, first 2 shown]
	s_clause 0x3
	buffer_load_dword v49, off, s[16:19], 0 offset:128
	buffer_load_dword v50, off, s[16:19], 0 offset:132
	buffer_load_dword v51, off, s[16:19], 0 offset:136
	buffer_load_dword v52, off, s[16:19], 0 offset:140
	s_waitcnt vmcnt(0)
	ds_write2_b64 v253, v[49:50], v[51:52] offset0:40 offset1:41
	s_clause 0x3
	buffer_load_dword v49, off, s[16:19], 0 offset:112
	buffer_load_dword v50, off, s[16:19], 0 offset:116
	buffer_load_dword v51, off, s[16:19], 0 offset:120
	buffer_load_dword v52, off, s[16:19], 0 offset:124
	s_waitcnt vmcnt(0)
	ds_write2_b64 v253, v[49:50], v[51:52] offset0:42 offset1:43
	;; [unrolled: 7-line block ×8, first 2 shown]
	s_clause 0x3
	buffer_load_dword v49, off, s[16:19], 0
	buffer_load_dword v50, off, s[16:19], 0 offset:4
	buffer_load_dword v51, off, s[16:19], 0 offset:8
	buffer_load_dword v52, off, s[16:19], 0 offset:12
	s_waitcnt vmcnt(0)
	ds_write2_b64 v253, v[49:50], v[51:52] offset0:56 offset1:57
	ds_write2_b64 v253, v[57:58], v[59:60] offset0:58 offset1:59
	;; [unrolled: 1-line block ×16, first 2 shown]
	ds_read2_b64 v[177:180], v255 offset1:1
	s_waitcnt lgkmcnt(0)
	v_cmp_neq_f64_e32 vcc_lo, 0, v[177:178]
	v_cmp_neq_f64_e64 s1, 0, v[179:180]
	s_or_b32 s1, vcc_lo, s1
	s_and_b32 exec_lo, exec_lo, s1
	s_cbranch_execz .LBB87_35
; %bb.30:
	v_cmp_ngt_f64_e64 s1, |v[177:178]|, |v[179:180]|
                                        ; implicit-def: $vgpr181_vgpr182
	s_and_saveexec_b32 s3, s1
	s_xor_b32 s1, exec_lo, s3
                                        ; implicit-def: $vgpr183_vgpr184
	s_cbranch_execz .LBB87_32
; %bb.31:
	v_div_scale_f64 v[181:182], null, v[179:180], v[179:180], v[177:178]
	v_div_scale_f64 v[187:188], vcc_lo, v[177:178], v[179:180], v[177:178]
	v_rcp_f64_e32 v[183:184], v[181:182]
	v_fma_f64 v[185:186], -v[181:182], v[183:184], 1.0
	v_fma_f64 v[183:184], v[183:184], v[185:186], v[183:184]
	v_fma_f64 v[185:186], -v[181:182], v[183:184], 1.0
	v_fma_f64 v[183:184], v[183:184], v[185:186], v[183:184]
	v_mul_f64 v[185:186], v[187:188], v[183:184]
	v_fma_f64 v[181:182], -v[181:182], v[185:186], v[187:188]
	v_div_fmas_f64 v[181:182], v[181:182], v[183:184], v[185:186]
	v_div_fixup_f64 v[181:182], v[181:182], v[179:180], v[177:178]
	v_fma_f64 v[177:178], v[177:178], v[181:182], v[179:180]
	v_div_scale_f64 v[179:180], null, v[177:178], v[177:178], 1.0
	v_rcp_f64_e32 v[183:184], v[179:180]
	v_fma_f64 v[185:186], -v[179:180], v[183:184], 1.0
	v_fma_f64 v[183:184], v[183:184], v[185:186], v[183:184]
	v_fma_f64 v[185:186], -v[179:180], v[183:184], 1.0
	v_fma_f64 v[183:184], v[183:184], v[185:186], v[183:184]
	v_div_scale_f64 v[185:186], vcc_lo, 1.0, v[177:178], 1.0
	v_mul_f64 v[187:188], v[185:186], v[183:184]
	v_fma_f64 v[179:180], -v[179:180], v[187:188], v[185:186]
	v_div_fmas_f64 v[179:180], v[179:180], v[183:184], v[187:188]
	v_div_fixup_f64 v[183:184], v[179:180], v[177:178], 1.0
                                        ; implicit-def: $vgpr177_vgpr178
	v_mul_f64 v[181:182], v[181:182], v[183:184]
	v_xor_b32_e32 v184, 0x80000000, v184
.LBB87_32:
	s_andn2_saveexec_b32 s1, s1
	s_cbranch_execz .LBB87_34
; %bb.33:
	v_div_scale_f64 v[181:182], null, v[177:178], v[177:178], v[179:180]
	v_div_scale_f64 v[187:188], vcc_lo, v[179:180], v[177:178], v[179:180]
	v_rcp_f64_e32 v[183:184], v[181:182]
	v_fma_f64 v[185:186], -v[181:182], v[183:184], 1.0
	v_fma_f64 v[183:184], v[183:184], v[185:186], v[183:184]
	v_fma_f64 v[185:186], -v[181:182], v[183:184], 1.0
	v_fma_f64 v[183:184], v[183:184], v[185:186], v[183:184]
	v_mul_f64 v[185:186], v[187:188], v[183:184]
	v_fma_f64 v[181:182], -v[181:182], v[185:186], v[187:188]
	v_div_fmas_f64 v[181:182], v[181:182], v[183:184], v[185:186]
	v_div_fixup_f64 v[183:184], v[181:182], v[177:178], v[179:180]
	v_fma_f64 v[177:178], v[179:180], v[183:184], v[177:178]
	v_div_scale_f64 v[179:180], null, v[177:178], v[177:178], 1.0
	v_rcp_f64_e32 v[181:182], v[179:180]
	v_fma_f64 v[185:186], -v[179:180], v[181:182], 1.0
	v_fma_f64 v[181:182], v[181:182], v[185:186], v[181:182]
	v_fma_f64 v[185:186], -v[179:180], v[181:182], 1.0
	v_fma_f64 v[181:182], v[181:182], v[185:186], v[181:182]
	v_div_scale_f64 v[185:186], vcc_lo, 1.0, v[177:178], 1.0
	v_mul_f64 v[187:188], v[185:186], v[181:182]
	v_fma_f64 v[179:180], -v[179:180], v[187:188], v[185:186]
	v_div_fmas_f64 v[179:180], v[179:180], v[181:182], v[187:188]
	v_div_fixup_f64 v[181:182], v[179:180], v[177:178], 1.0
	v_mul_f64 v[183:184], v[183:184], -v[181:182]
.LBB87_34:
	s_or_b32 exec_lo, exec_lo, s1
	ds_write2_b64 v255, v[181:182], v[183:184] offset1:1
.LBB87_35:
	s_or_b32 exec_lo, exec_lo, s2
	s_waitcnt lgkmcnt(0)
	s_barrier
	buffer_gl0_inv
	ds_read2_b64 v[153:156], v255 offset1:1
	s_mov_b32 s1, exec_lo
	s_waitcnt lgkmcnt(0)
	buffer_store_dword v153, off, s[16:19], 0 offset:424 ; 4-byte Folded Spill
	buffer_store_dword v154, off, s[16:19], 0 offset:428 ; 4-byte Folded Spill
	;; [unrolled: 1-line block ×4, first 2 shown]
	v_cmpx_lt_u32_e32 3, v0
	s_cbranch_execz .LBB87_37
; %bb.36:
	s_clause 0x3
	buffer_load_dword v153, off, s[16:19], 0 offset:424
	buffer_load_dword v154, off, s[16:19], 0 offset:428
	;; [unrolled: 1-line block ×4, first 2 shown]
	ds_read2_b64 v[179:182], v253 offset0:8 offset1:9
	s_waitcnt vmcnt(0)
	v_mul_f64 v[177:178], v[155:156], v[163:164]
	v_mul_f64 v[163:164], v[153:154], v[163:164]
	v_fma_f64 v[177:178], v[153:154], v[161:162], -v[177:178]
	v_fma_f64 v[163:164], v[155:156], v[161:162], v[163:164]
	s_waitcnt lgkmcnt(0)
	v_mul_f64 v[161:162], v[181:182], v[163:164]
	v_fma_f64 v[161:162], v[179:180], v[177:178], -v[161:162]
	v_mul_f64 v[179:180], v[179:180], v[163:164]
	v_add_f64 v[157:158], v[157:158], -v[161:162]
	v_fma_f64 v[179:180], v[181:182], v[177:178], v[179:180]
	v_add_f64 v[159:160], v[159:160], -v[179:180]
	ds_read2_b64 v[179:182], v253 offset0:10 offset1:11
	s_clause 0x3
	buffer_load_dword v153, off, s[16:19], 0 offset:144
	buffer_load_dword v154, off, s[16:19], 0 offset:148
	buffer_load_dword v155, off, s[16:19], 0 offset:152
	buffer_load_dword v156, off, s[16:19], 0 offset:156
	s_waitcnt lgkmcnt(0)
	v_mul_f64 v[161:162], v[181:182], v[163:164]
	v_fma_f64 v[161:162], v[179:180], v[177:178], -v[161:162]
	v_mul_f64 v[179:180], v[179:180], v[163:164]
	v_fma_f64 v[179:180], v[181:182], v[177:178], v[179:180]
	s_waitcnt vmcnt(2)
	v_add_f64 v[153:154], v[153:154], -v[161:162]
	s_waitcnt vmcnt(0)
	v_add_f64 v[155:156], v[155:156], -v[179:180]
	buffer_store_dword v153, off, s[16:19], 0 offset:144 ; 4-byte Folded Spill
	buffer_store_dword v154, off, s[16:19], 0 offset:148 ; 4-byte Folded Spill
	;; [unrolled: 1-line block ×4, first 2 shown]
	ds_read2_b64 v[179:182], v253 offset0:12 offset1:13
	s_waitcnt lgkmcnt(0)
	v_mul_f64 v[161:162], v[181:182], v[163:164]
	v_fma_f64 v[161:162], v[179:180], v[177:178], -v[161:162]
	v_mul_f64 v[179:180], v[179:180], v[163:164]
	v_add_f64 v[149:150], v[149:150], -v[161:162]
	v_fma_f64 v[179:180], v[181:182], v[177:178], v[179:180]
	v_add_f64 v[151:152], v[151:152], -v[179:180]
	ds_read2_b64 v[179:182], v253 offset0:14 offset1:15
	s_waitcnt lgkmcnt(0)
	v_mul_f64 v[161:162], v[181:182], v[163:164]
	v_fma_f64 v[161:162], v[179:180], v[177:178], -v[161:162]
	v_mul_f64 v[179:180], v[179:180], v[163:164]
	v_add_f64 v[225:226], v[225:226], -v[161:162]
	v_fma_f64 v[179:180], v[181:182], v[177:178], v[179:180]
	v_add_f64 v[227:228], v[227:228], -v[179:180]
	;; [unrolled: 8-line block ×14, first 2 shown]
	ds_read2_b64 v[179:182], v253 offset0:40 offset1:41
	s_clause 0x3
	buffer_load_dword v49, off, s[16:19], 0 offset:128
	buffer_load_dword v50, off, s[16:19], 0 offset:132
	buffer_load_dword v51, off, s[16:19], 0 offset:136
	buffer_load_dword v52, off, s[16:19], 0 offset:140
	s_waitcnt lgkmcnt(0)
	v_mul_f64 v[161:162], v[181:182], v[163:164]
	v_fma_f64 v[161:162], v[179:180], v[177:178], -v[161:162]
	v_mul_f64 v[179:180], v[179:180], v[163:164]
	v_fma_f64 v[179:180], v[181:182], v[177:178], v[179:180]
	s_waitcnt vmcnt(2)
	v_add_f64 v[49:50], v[49:50], -v[161:162]
	s_waitcnt vmcnt(0)
	v_add_f64 v[51:52], v[51:52], -v[179:180]
	buffer_store_dword v49, off, s[16:19], 0 offset:128 ; 4-byte Folded Spill
	buffer_store_dword v50, off, s[16:19], 0 offset:132 ; 4-byte Folded Spill
	buffer_store_dword v51, off, s[16:19], 0 offset:136 ; 4-byte Folded Spill
	buffer_store_dword v52, off, s[16:19], 0 offset:140 ; 4-byte Folded Spill
	ds_read2_b64 v[179:182], v253 offset0:42 offset1:43
	s_clause 0x3
	buffer_load_dword v49, off, s[16:19], 0 offset:112
	buffer_load_dword v50, off, s[16:19], 0 offset:116
	buffer_load_dword v51, off, s[16:19], 0 offset:120
	buffer_load_dword v52, off, s[16:19], 0 offset:124
	s_waitcnt lgkmcnt(0)
	v_mul_f64 v[161:162], v[181:182], v[163:164]
	v_fma_f64 v[161:162], v[179:180], v[177:178], -v[161:162]
	v_mul_f64 v[179:180], v[179:180], v[163:164]
	v_fma_f64 v[179:180], v[181:182], v[177:178], v[179:180]
	s_waitcnt vmcnt(2)
	v_add_f64 v[49:50], v[49:50], -v[161:162]
	s_waitcnt vmcnt(0)
	v_add_f64 v[51:52], v[51:52], -v[179:180]
	buffer_store_dword v49, off, s[16:19], 0 offset:112 ; 4-byte Folded Spill
	buffer_store_dword v50, off, s[16:19], 0 offset:116 ; 4-byte Folded Spill
	buffer_store_dword v51, off, s[16:19], 0 offset:120 ; 4-byte Folded Spill
	buffer_store_dword v52, off, s[16:19], 0 offset:124 ; 4-byte Folded Spill
	;; [unrolled: 19-line block ×8, first 2 shown]
	ds_read2_b64 v[179:182], v253 offset0:56 offset1:57
	s_clause 0x3
	buffer_load_dword v49, off, s[16:19], 0
	buffer_load_dword v50, off, s[16:19], 0 offset:4
	buffer_load_dword v51, off, s[16:19], 0 offset:8
	;; [unrolled: 1-line block ×3, first 2 shown]
	s_waitcnt lgkmcnt(0)
	v_mul_f64 v[161:162], v[181:182], v[163:164]
	v_fma_f64 v[161:162], v[179:180], v[177:178], -v[161:162]
	v_mul_f64 v[179:180], v[179:180], v[163:164]
	v_fma_f64 v[179:180], v[181:182], v[177:178], v[179:180]
	s_waitcnt vmcnt(2)
	v_add_f64 v[49:50], v[49:50], -v[161:162]
	s_waitcnt vmcnt(0)
	v_add_f64 v[51:52], v[51:52], -v[179:180]
	buffer_store_dword v49, off, s[16:19], 0 ; 4-byte Folded Spill
	buffer_store_dword v50, off, s[16:19], 0 offset:4 ; 4-byte Folded Spill
	buffer_store_dword v51, off, s[16:19], 0 offset:8 ; 4-byte Folded Spill
	;; [unrolled: 1-line block ×3, first 2 shown]
	ds_read2_b64 v[179:182], v253 offset0:58 offset1:59
	s_waitcnt lgkmcnt(0)
	v_mul_f64 v[161:162], v[181:182], v[163:164]
	v_fma_f64 v[161:162], v[179:180], v[177:178], -v[161:162]
	v_mul_f64 v[179:180], v[179:180], v[163:164]
	v_add_f64 v[57:58], v[57:58], -v[161:162]
	v_fma_f64 v[179:180], v[181:182], v[177:178], v[179:180]
	v_add_f64 v[59:60], v[59:60], -v[179:180]
	ds_read2_b64 v[179:182], v253 offset0:60 offset1:61
	s_waitcnt lgkmcnt(0)
	v_mul_f64 v[161:162], v[181:182], v[163:164]
	v_fma_f64 v[161:162], v[179:180], v[177:178], -v[161:162]
	v_mul_f64 v[179:180], v[179:180], v[163:164]
	v_add_f64 v[241:242], v[241:242], -v[161:162]
	v_fma_f64 v[179:180], v[181:182], v[177:178], v[179:180]
	v_add_f64 v[243:244], v[243:244], -v[179:180]
	;; [unrolled: 8-line block ×14, first 2 shown]
	ds_read2_b64 v[179:182], v253 offset0:86 offset1:87
	s_waitcnt lgkmcnt(0)
	v_mul_f64 v[161:162], v[181:182], v[163:164]
	v_fma_f64 v[161:162], v[179:180], v[177:178], -v[161:162]
	v_mul_f64 v[179:180], v[179:180], v[163:164]
	v_add_f64 v[1:2], v[1:2], -v[161:162]
	v_fma_f64 v[179:180], v[181:182], v[177:178], v[179:180]
	v_mov_b32_e32 v161, v177
	v_mov_b32_e32 v162, v178
	v_add_f64 v[3:4], v[3:4], -v[179:180]
.LBB87_37:
	s_or_b32 exec_lo, exec_lo, s1
	s_mov_b32 s2, exec_lo
	s_waitcnt_vscnt null, 0x0
	s_barrier
	buffer_gl0_inv
	v_cmpx_eq_u32_e32 4, v0
	s_cbranch_execz .LBB87_44
; %bb.38:
	ds_write2_b64 v255, v[157:158], v[159:160] offset1:1
	s_clause 0x3
	buffer_load_dword v153, off, s[16:19], 0 offset:144
	buffer_load_dword v154, off, s[16:19], 0 offset:148
	;; [unrolled: 1-line block ×4, first 2 shown]
	s_waitcnt vmcnt(0)
	ds_write2_b64 v253, v[153:154], v[155:156] offset0:10 offset1:11
	ds_write2_b64 v253, v[149:150], v[151:152] offset0:12 offset1:13
	ds_write2_b64 v253, v[225:226], v[227:228] offset0:14 offset1:15
	ds_write2_b64 v253, v[141:142], v[143:144] offset0:16 offset1:17
	ds_write2_b64 v253, v[229:230], v[231:232] offset0:18 offset1:19
	ds_write2_b64 v253, v[133:134], v[135:136] offset0:20 offset1:21
	ds_write2_b64 v253, v[129:130], v[131:132] offset0:22 offset1:23
	ds_write2_b64 v253, v[125:126], v[127:128] offset0:24 offset1:25
	ds_write2_b64 v253, v[121:122], v[123:124] offset0:26 offset1:27
	ds_write2_b64 v253, v[117:118], v[119:120] offset0:28 offset1:29
	ds_write2_b64 v253, v[113:114], v[115:116] offset0:30 offset1:31
	ds_write2_b64 v253, v[109:110], v[111:112] offset0:32 offset1:33
	ds_write2_b64 v253, v[105:106], v[107:108] offset0:34 offset1:35
	ds_write2_b64 v253, v[101:102], v[103:104] offset0:36 offset1:37
	ds_write2_b64 v253, v[97:98], v[99:100] offset0:38 offset1:39
	s_clause 0x3
	buffer_load_dword v49, off, s[16:19], 0 offset:128
	buffer_load_dword v50, off, s[16:19], 0 offset:132
	buffer_load_dword v51, off, s[16:19], 0 offset:136
	buffer_load_dword v52, off, s[16:19], 0 offset:140
	s_waitcnt vmcnt(0)
	ds_write2_b64 v253, v[49:50], v[51:52] offset0:40 offset1:41
	s_clause 0x3
	buffer_load_dword v49, off, s[16:19], 0 offset:112
	buffer_load_dword v50, off, s[16:19], 0 offset:116
	buffer_load_dword v51, off, s[16:19], 0 offset:120
	buffer_load_dword v52, off, s[16:19], 0 offset:124
	s_waitcnt vmcnt(0)
	ds_write2_b64 v253, v[49:50], v[51:52] offset0:42 offset1:43
	;; [unrolled: 7-line block ×8, first 2 shown]
	s_clause 0x3
	buffer_load_dword v49, off, s[16:19], 0
	buffer_load_dword v50, off, s[16:19], 0 offset:4
	buffer_load_dword v51, off, s[16:19], 0 offset:8
	;; [unrolled: 1-line block ×3, first 2 shown]
	s_waitcnt vmcnt(0)
	ds_write2_b64 v253, v[49:50], v[51:52] offset0:56 offset1:57
	ds_write2_b64 v253, v[57:58], v[59:60] offset0:58 offset1:59
	;; [unrolled: 1-line block ×16, first 2 shown]
	ds_read2_b64 v[177:180], v255 offset1:1
	s_waitcnt lgkmcnt(0)
	v_cmp_neq_f64_e32 vcc_lo, 0, v[177:178]
	v_cmp_neq_f64_e64 s1, 0, v[179:180]
	s_or_b32 s1, vcc_lo, s1
	s_and_b32 exec_lo, exec_lo, s1
	s_cbranch_execz .LBB87_44
; %bb.39:
	v_cmp_ngt_f64_e64 s1, |v[177:178]|, |v[179:180]|
                                        ; implicit-def: $vgpr181_vgpr182
	s_and_saveexec_b32 s3, s1
	s_xor_b32 s1, exec_lo, s3
                                        ; implicit-def: $vgpr183_vgpr184
	s_cbranch_execz .LBB87_41
; %bb.40:
	v_div_scale_f64 v[181:182], null, v[179:180], v[179:180], v[177:178]
	v_div_scale_f64 v[187:188], vcc_lo, v[177:178], v[179:180], v[177:178]
	v_rcp_f64_e32 v[183:184], v[181:182]
	v_fma_f64 v[185:186], -v[181:182], v[183:184], 1.0
	v_fma_f64 v[183:184], v[183:184], v[185:186], v[183:184]
	v_fma_f64 v[185:186], -v[181:182], v[183:184], 1.0
	v_fma_f64 v[183:184], v[183:184], v[185:186], v[183:184]
	v_mul_f64 v[185:186], v[187:188], v[183:184]
	v_fma_f64 v[181:182], -v[181:182], v[185:186], v[187:188]
	v_div_fmas_f64 v[181:182], v[181:182], v[183:184], v[185:186]
	v_div_fixup_f64 v[181:182], v[181:182], v[179:180], v[177:178]
	v_fma_f64 v[177:178], v[177:178], v[181:182], v[179:180]
	v_div_scale_f64 v[179:180], null, v[177:178], v[177:178], 1.0
	v_rcp_f64_e32 v[183:184], v[179:180]
	v_fma_f64 v[185:186], -v[179:180], v[183:184], 1.0
	v_fma_f64 v[183:184], v[183:184], v[185:186], v[183:184]
	v_fma_f64 v[185:186], -v[179:180], v[183:184], 1.0
	v_fma_f64 v[183:184], v[183:184], v[185:186], v[183:184]
	v_div_scale_f64 v[185:186], vcc_lo, 1.0, v[177:178], 1.0
	v_mul_f64 v[187:188], v[185:186], v[183:184]
	v_fma_f64 v[179:180], -v[179:180], v[187:188], v[185:186]
	v_div_fmas_f64 v[179:180], v[179:180], v[183:184], v[187:188]
	v_div_fixup_f64 v[183:184], v[179:180], v[177:178], 1.0
                                        ; implicit-def: $vgpr177_vgpr178
	v_mul_f64 v[181:182], v[181:182], v[183:184]
	v_xor_b32_e32 v184, 0x80000000, v184
.LBB87_41:
	s_andn2_saveexec_b32 s1, s1
	s_cbranch_execz .LBB87_43
; %bb.42:
	v_div_scale_f64 v[181:182], null, v[177:178], v[177:178], v[179:180]
	v_div_scale_f64 v[187:188], vcc_lo, v[179:180], v[177:178], v[179:180]
	v_rcp_f64_e32 v[183:184], v[181:182]
	v_fma_f64 v[185:186], -v[181:182], v[183:184], 1.0
	v_fma_f64 v[183:184], v[183:184], v[185:186], v[183:184]
	v_fma_f64 v[185:186], -v[181:182], v[183:184], 1.0
	v_fma_f64 v[183:184], v[183:184], v[185:186], v[183:184]
	v_mul_f64 v[185:186], v[187:188], v[183:184]
	v_fma_f64 v[181:182], -v[181:182], v[185:186], v[187:188]
	v_div_fmas_f64 v[181:182], v[181:182], v[183:184], v[185:186]
	v_div_fixup_f64 v[183:184], v[181:182], v[177:178], v[179:180]
	v_fma_f64 v[177:178], v[179:180], v[183:184], v[177:178]
	v_div_scale_f64 v[179:180], null, v[177:178], v[177:178], 1.0
	v_rcp_f64_e32 v[181:182], v[179:180]
	v_fma_f64 v[185:186], -v[179:180], v[181:182], 1.0
	v_fma_f64 v[181:182], v[181:182], v[185:186], v[181:182]
	v_fma_f64 v[185:186], -v[179:180], v[181:182], 1.0
	v_fma_f64 v[181:182], v[181:182], v[185:186], v[181:182]
	v_div_scale_f64 v[185:186], vcc_lo, 1.0, v[177:178], 1.0
	v_mul_f64 v[187:188], v[185:186], v[181:182]
	v_fma_f64 v[179:180], -v[179:180], v[187:188], v[185:186]
	v_div_fmas_f64 v[179:180], v[179:180], v[181:182], v[187:188]
	v_div_fixup_f64 v[181:182], v[179:180], v[177:178], 1.0
	v_mul_f64 v[183:184], v[183:184], -v[181:182]
.LBB87_43:
	s_or_b32 exec_lo, exec_lo, s1
	ds_write2_b64 v255, v[181:182], v[183:184] offset1:1
.LBB87_44:
	s_or_b32 exec_lo, exec_lo, s2
	s_waitcnt lgkmcnt(0)
	s_barrier
	buffer_gl0_inv
	ds_read2_b64 v[153:156], v255 offset1:1
	s_mov_b32 s1, exec_lo
	s_waitcnt lgkmcnt(0)
	buffer_store_dword v153, off, s[16:19], 0 offset:440 ; 4-byte Folded Spill
	buffer_store_dword v154, off, s[16:19], 0 offset:444 ; 4-byte Folded Spill
	;; [unrolled: 1-line block ×4, first 2 shown]
	v_cmpx_lt_u32_e32 4, v0
	s_cbranch_execz .LBB87_46
; %bb.45:
	s_clause 0x3
	buffer_load_dword v153, off, s[16:19], 0 offset:440
	buffer_load_dword v154, off, s[16:19], 0 offset:444
	;; [unrolled: 1-line block ×4, first 2 shown]
	ds_read2_b64 v[179:182], v253 offset0:10 offset1:11
	s_waitcnt vmcnt(0)
	v_mul_f64 v[177:178], v[155:156], v[159:160]
	v_mul_f64 v[159:160], v[153:154], v[159:160]
	v_fma_f64 v[177:178], v[153:154], v[157:158], -v[177:178]
	v_fma_f64 v[159:160], v[155:156], v[157:158], v[159:160]
	s_clause 0x3
	buffer_load_dword v153, off, s[16:19], 0 offset:144
	buffer_load_dword v154, off, s[16:19], 0 offset:148
	;; [unrolled: 1-line block ×4, first 2 shown]
	s_waitcnt lgkmcnt(0)
	v_mul_f64 v[157:158], v[181:182], v[159:160]
	v_fma_f64 v[157:158], v[179:180], v[177:178], -v[157:158]
	v_mul_f64 v[179:180], v[179:180], v[159:160]
	v_fma_f64 v[179:180], v[181:182], v[177:178], v[179:180]
	s_waitcnt vmcnt(2)
	v_add_f64 v[153:154], v[153:154], -v[157:158]
	s_waitcnt vmcnt(0)
	v_add_f64 v[155:156], v[155:156], -v[179:180]
	buffer_store_dword v153, off, s[16:19], 0 offset:144 ; 4-byte Folded Spill
	buffer_store_dword v154, off, s[16:19], 0 offset:148 ; 4-byte Folded Spill
	;; [unrolled: 1-line block ×4, first 2 shown]
	ds_read2_b64 v[179:182], v253 offset0:12 offset1:13
	s_waitcnt lgkmcnt(0)
	v_mul_f64 v[157:158], v[181:182], v[159:160]
	v_fma_f64 v[157:158], v[179:180], v[177:178], -v[157:158]
	v_mul_f64 v[179:180], v[179:180], v[159:160]
	v_add_f64 v[149:150], v[149:150], -v[157:158]
	v_fma_f64 v[179:180], v[181:182], v[177:178], v[179:180]
	v_add_f64 v[151:152], v[151:152], -v[179:180]
	ds_read2_b64 v[179:182], v253 offset0:14 offset1:15
	s_waitcnt lgkmcnt(0)
	v_mul_f64 v[157:158], v[181:182], v[159:160]
	v_fma_f64 v[157:158], v[179:180], v[177:178], -v[157:158]
	v_mul_f64 v[179:180], v[179:180], v[159:160]
	v_add_f64 v[225:226], v[225:226], -v[157:158]
	v_fma_f64 v[179:180], v[181:182], v[177:178], v[179:180]
	v_add_f64 v[227:228], v[227:228], -v[179:180]
	;; [unrolled: 8-line block ×14, first 2 shown]
	ds_read2_b64 v[179:182], v253 offset0:40 offset1:41
	s_clause 0x3
	buffer_load_dword v49, off, s[16:19], 0 offset:128
	buffer_load_dword v50, off, s[16:19], 0 offset:132
	buffer_load_dword v51, off, s[16:19], 0 offset:136
	buffer_load_dword v52, off, s[16:19], 0 offset:140
	s_waitcnt lgkmcnt(0)
	v_mul_f64 v[157:158], v[181:182], v[159:160]
	v_fma_f64 v[157:158], v[179:180], v[177:178], -v[157:158]
	v_mul_f64 v[179:180], v[179:180], v[159:160]
	v_fma_f64 v[179:180], v[181:182], v[177:178], v[179:180]
	s_waitcnt vmcnt(2)
	v_add_f64 v[49:50], v[49:50], -v[157:158]
	s_waitcnt vmcnt(0)
	v_add_f64 v[51:52], v[51:52], -v[179:180]
	buffer_store_dword v49, off, s[16:19], 0 offset:128 ; 4-byte Folded Spill
	buffer_store_dword v50, off, s[16:19], 0 offset:132 ; 4-byte Folded Spill
	buffer_store_dword v51, off, s[16:19], 0 offset:136 ; 4-byte Folded Spill
	buffer_store_dword v52, off, s[16:19], 0 offset:140 ; 4-byte Folded Spill
	ds_read2_b64 v[179:182], v253 offset0:42 offset1:43
	s_clause 0x3
	buffer_load_dword v49, off, s[16:19], 0 offset:112
	buffer_load_dword v50, off, s[16:19], 0 offset:116
	buffer_load_dword v51, off, s[16:19], 0 offset:120
	buffer_load_dword v52, off, s[16:19], 0 offset:124
	s_waitcnt lgkmcnt(0)
	v_mul_f64 v[157:158], v[181:182], v[159:160]
	v_fma_f64 v[157:158], v[179:180], v[177:178], -v[157:158]
	v_mul_f64 v[179:180], v[179:180], v[159:160]
	v_fma_f64 v[179:180], v[181:182], v[177:178], v[179:180]
	s_waitcnt vmcnt(2)
	v_add_f64 v[49:50], v[49:50], -v[157:158]
	s_waitcnt vmcnt(0)
	v_add_f64 v[51:52], v[51:52], -v[179:180]
	buffer_store_dword v49, off, s[16:19], 0 offset:112 ; 4-byte Folded Spill
	buffer_store_dword v50, off, s[16:19], 0 offset:116 ; 4-byte Folded Spill
	buffer_store_dword v51, off, s[16:19], 0 offset:120 ; 4-byte Folded Spill
	buffer_store_dword v52, off, s[16:19], 0 offset:124 ; 4-byte Folded Spill
	;; [unrolled: 19-line block ×8, first 2 shown]
	ds_read2_b64 v[179:182], v253 offset0:56 offset1:57
	s_clause 0x3
	buffer_load_dword v49, off, s[16:19], 0
	buffer_load_dword v50, off, s[16:19], 0 offset:4
	buffer_load_dword v51, off, s[16:19], 0 offset:8
	buffer_load_dword v52, off, s[16:19], 0 offset:12
	s_waitcnt lgkmcnt(0)
	v_mul_f64 v[157:158], v[181:182], v[159:160]
	v_fma_f64 v[157:158], v[179:180], v[177:178], -v[157:158]
	v_mul_f64 v[179:180], v[179:180], v[159:160]
	v_fma_f64 v[179:180], v[181:182], v[177:178], v[179:180]
	s_waitcnt vmcnt(2)
	v_add_f64 v[49:50], v[49:50], -v[157:158]
	s_waitcnt vmcnt(0)
	v_add_f64 v[51:52], v[51:52], -v[179:180]
	buffer_store_dword v49, off, s[16:19], 0 ; 4-byte Folded Spill
	buffer_store_dword v50, off, s[16:19], 0 offset:4 ; 4-byte Folded Spill
	buffer_store_dword v51, off, s[16:19], 0 offset:8 ; 4-byte Folded Spill
	;; [unrolled: 1-line block ×3, first 2 shown]
	ds_read2_b64 v[179:182], v253 offset0:58 offset1:59
	s_waitcnt lgkmcnt(0)
	v_mul_f64 v[157:158], v[181:182], v[159:160]
	v_fma_f64 v[157:158], v[179:180], v[177:178], -v[157:158]
	v_mul_f64 v[179:180], v[179:180], v[159:160]
	v_add_f64 v[57:58], v[57:58], -v[157:158]
	v_fma_f64 v[179:180], v[181:182], v[177:178], v[179:180]
	v_add_f64 v[59:60], v[59:60], -v[179:180]
	ds_read2_b64 v[179:182], v253 offset0:60 offset1:61
	s_waitcnt lgkmcnt(0)
	v_mul_f64 v[157:158], v[181:182], v[159:160]
	v_fma_f64 v[157:158], v[179:180], v[177:178], -v[157:158]
	v_mul_f64 v[179:180], v[179:180], v[159:160]
	v_add_f64 v[241:242], v[241:242], -v[157:158]
	v_fma_f64 v[179:180], v[181:182], v[177:178], v[179:180]
	v_add_f64 v[243:244], v[243:244], -v[179:180]
	;; [unrolled: 8-line block ×14, first 2 shown]
	ds_read2_b64 v[179:182], v253 offset0:86 offset1:87
	s_waitcnt lgkmcnt(0)
	v_mul_f64 v[157:158], v[181:182], v[159:160]
	v_fma_f64 v[157:158], v[179:180], v[177:178], -v[157:158]
	v_mul_f64 v[179:180], v[179:180], v[159:160]
	v_add_f64 v[1:2], v[1:2], -v[157:158]
	v_fma_f64 v[179:180], v[181:182], v[177:178], v[179:180]
	v_mov_b32_e32 v157, v177
	v_mov_b32_e32 v158, v178
	v_add_f64 v[3:4], v[3:4], -v[179:180]
.LBB87_46:
	s_or_b32 exec_lo, exec_lo, s1
	s_mov_b32 s2, exec_lo
	s_waitcnt_vscnt null, 0x0
	s_barrier
	buffer_gl0_inv
	v_cmpx_eq_u32_e32 5, v0
	s_cbranch_execz .LBB87_53
; %bb.47:
	s_clause 0x3
	buffer_load_dword v153, off, s[16:19], 0 offset:144
	buffer_load_dword v154, off, s[16:19], 0 offset:148
	;; [unrolled: 1-line block ×4, first 2 shown]
	s_waitcnt vmcnt(0)
	ds_write2_b64 v255, v[153:154], v[155:156] offset1:1
	ds_write2_b64 v253, v[149:150], v[151:152] offset0:12 offset1:13
	ds_write2_b64 v253, v[225:226], v[227:228] offset0:14 offset1:15
	;; [unrolled: 1-line block ×14, first 2 shown]
	s_clause 0x3
	buffer_load_dword v49, off, s[16:19], 0 offset:128
	buffer_load_dword v50, off, s[16:19], 0 offset:132
	buffer_load_dword v51, off, s[16:19], 0 offset:136
	buffer_load_dword v52, off, s[16:19], 0 offset:140
	s_waitcnt vmcnt(0)
	ds_write2_b64 v253, v[49:50], v[51:52] offset0:40 offset1:41
	s_clause 0x3
	buffer_load_dword v49, off, s[16:19], 0 offset:112
	buffer_load_dword v50, off, s[16:19], 0 offset:116
	buffer_load_dword v51, off, s[16:19], 0 offset:120
	buffer_load_dword v52, off, s[16:19], 0 offset:124
	s_waitcnt vmcnt(0)
	ds_write2_b64 v253, v[49:50], v[51:52] offset0:42 offset1:43
	;; [unrolled: 7-line block ×8, first 2 shown]
	s_clause 0x3
	buffer_load_dword v49, off, s[16:19], 0
	buffer_load_dword v50, off, s[16:19], 0 offset:4
	buffer_load_dword v51, off, s[16:19], 0 offset:8
	;; [unrolled: 1-line block ×3, first 2 shown]
	s_waitcnt vmcnt(0)
	ds_write2_b64 v253, v[49:50], v[51:52] offset0:56 offset1:57
	ds_write2_b64 v253, v[57:58], v[59:60] offset0:58 offset1:59
	;; [unrolled: 1-line block ×16, first 2 shown]
	ds_read2_b64 v[177:180], v255 offset1:1
	s_waitcnt lgkmcnt(0)
	v_cmp_neq_f64_e32 vcc_lo, 0, v[177:178]
	v_cmp_neq_f64_e64 s1, 0, v[179:180]
	s_or_b32 s1, vcc_lo, s1
	s_and_b32 exec_lo, exec_lo, s1
	s_cbranch_execz .LBB87_53
; %bb.48:
	v_cmp_ngt_f64_e64 s1, |v[177:178]|, |v[179:180]|
                                        ; implicit-def: $vgpr181_vgpr182
	s_and_saveexec_b32 s3, s1
	s_xor_b32 s1, exec_lo, s3
                                        ; implicit-def: $vgpr183_vgpr184
	s_cbranch_execz .LBB87_50
; %bb.49:
	v_div_scale_f64 v[181:182], null, v[179:180], v[179:180], v[177:178]
	v_div_scale_f64 v[187:188], vcc_lo, v[177:178], v[179:180], v[177:178]
	v_rcp_f64_e32 v[183:184], v[181:182]
	v_fma_f64 v[185:186], -v[181:182], v[183:184], 1.0
	v_fma_f64 v[183:184], v[183:184], v[185:186], v[183:184]
	v_fma_f64 v[185:186], -v[181:182], v[183:184], 1.0
	v_fma_f64 v[183:184], v[183:184], v[185:186], v[183:184]
	v_mul_f64 v[185:186], v[187:188], v[183:184]
	v_fma_f64 v[181:182], -v[181:182], v[185:186], v[187:188]
	v_div_fmas_f64 v[181:182], v[181:182], v[183:184], v[185:186]
	v_div_fixup_f64 v[181:182], v[181:182], v[179:180], v[177:178]
	v_fma_f64 v[177:178], v[177:178], v[181:182], v[179:180]
	v_div_scale_f64 v[179:180], null, v[177:178], v[177:178], 1.0
	v_rcp_f64_e32 v[183:184], v[179:180]
	v_fma_f64 v[185:186], -v[179:180], v[183:184], 1.0
	v_fma_f64 v[183:184], v[183:184], v[185:186], v[183:184]
	v_fma_f64 v[185:186], -v[179:180], v[183:184], 1.0
	v_fma_f64 v[183:184], v[183:184], v[185:186], v[183:184]
	v_div_scale_f64 v[185:186], vcc_lo, 1.0, v[177:178], 1.0
	v_mul_f64 v[187:188], v[185:186], v[183:184]
	v_fma_f64 v[179:180], -v[179:180], v[187:188], v[185:186]
	v_div_fmas_f64 v[179:180], v[179:180], v[183:184], v[187:188]
	v_div_fixup_f64 v[183:184], v[179:180], v[177:178], 1.0
                                        ; implicit-def: $vgpr177_vgpr178
	v_mul_f64 v[181:182], v[181:182], v[183:184]
	v_xor_b32_e32 v184, 0x80000000, v184
.LBB87_50:
	s_andn2_saveexec_b32 s1, s1
	s_cbranch_execz .LBB87_52
; %bb.51:
	v_div_scale_f64 v[181:182], null, v[177:178], v[177:178], v[179:180]
	v_div_scale_f64 v[187:188], vcc_lo, v[179:180], v[177:178], v[179:180]
	v_rcp_f64_e32 v[183:184], v[181:182]
	v_fma_f64 v[185:186], -v[181:182], v[183:184], 1.0
	v_fma_f64 v[183:184], v[183:184], v[185:186], v[183:184]
	v_fma_f64 v[185:186], -v[181:182], v[183:184], 1.0
	v_fma_f64 v[183:184], v[183:184], v[185:186], v[183:184]
	v_mul_f64 v[185:186], v[187:188], v[183:184]
	v_fma_f64 v[181:182], -v[181:182], v[185:186], v[187:188]
	v_div_fmas_f64 v[181:182], v[181:182], v[183:184], v[185:186]
	v_div_fixup_f64 v[183:184], v[181:182], v[177:178], v[179:180]
	v_fma_f64 v[177:178], v[179:180], v[183:184], v[177:178]
	v_div_scale_f64 v[179:180], null, v[177:178], v[177:178], 1.0
	v_rcp_f64_e32 v[181:182], v[179:180]
	v_fma_f64 v[185:186], -v[179:180], v[181:182], 1.0
	v_fma_f64 v[181:182], v[181:182], v[185:186], v[181:182]
	v_fma_f64 v[185:186], -v[179:180], v[181:182], 1.0
	v_fma_f64 v[181:182], v[181:182], v[185:186], v[181:182]
	v_div_scale_f64 v[185:186], vcc_lo, 1.0, v[177:178], 1.0
	v_mul_f64 v[187:188], v[185:186], v[181:182]
	v_fma_f64 v[179:180], -v[179:180], v[187:188], v[185:186]
	v_div_fmas_f64 v[179:180], v[179:180], v[181:182], v[187:188]
	v_div_fixup_f64 v[181:182], v[179:180], v[177:178], 1.0
	v_mul_f64 v[183:184], v[183:184], -v[181:182]
.LBB87_52:
	s_or_b32 exec_lo, exec_lo, s1
	ds_write2_b64 v255, v[181:182], v[183:184] offset1:1
.LBB87_53:
	s_or_b32 exec_lo, exec_lo, s2
	s_waitcnt lgkmcnt(0)
	s_barrier
	buffer_gl0_inv
	ds_read2_b64 v[153:156], v255 offset1:1
	s_mov_b32 s1, exec_lo
	s_waitcnt lgkmcnt(0)
	buffer_store_dword v153, off, s[16:19], 0 offset:456 ; 4-byte Folded Spill
	buffer_store_dword v154, off, s[16:19], 0 offset:460 ; 4-byte Folded Spill
	buffer_store_dword v155, off, s[16:19], 0 offset:464 ; 4-byte Folded Spill
	buffer_store_dword v156, off, s[16:19], 0 offset:468 ; 4-byte Folded Spill
	v_cmpx_lt_u32_e32 5, v0
	s_cbranch_execz .LBB87_55
; %bb.54:
	s_clause 0x7
	buffer_load_dword v179, off, s[16:19], 0 offset:456
	buffer_load_dword v180, off, s[16:19], 0 offset:460
	;; [unrolled: 1-line block ×8, first 2 shown]
	s_waitcnt vmcnt(0)
	v_mul_f64 v[177:178], v[181:182], v[155:156]
	v_mul_f64 v[155:156], v[179:180], v[155:156]
	v_fma_f64 v[177:178], v[179:180], v[153:154], -v[177:178]
	v_fma_f64 v[155:156], v[181:182], v[153:154], v[155:156]
	ds_read2_b64 v[179:182], v253 offset0:12 offset1:13
	s_waitcnt lgkmcnt(0)
	v_mul_f64 v[153:154], v[181:182], v[155:156]
	v_fma_f64 v[153:154], v[179:180], v[177:178], -v[153:154]
	v_mul_f64 v[179:180], v[179:180], v[155:156]
	v_add_f64 v[149:150], v[149:150], -v[153:154]
	v_fma_f64 v[179:180], v[181:182], v[177:178], v[179:180]
	v_add_f64 v[151:152], v[151:152], -v[179:180]
	ds_read2_b64 v[179:182], v253 offset0:14 offset1:15
	s_waitcnt lgkmcnt(0)
	v_mul_f64 v[153:154], v[181:182], v[155:156]
	v_fma_f64 v[153:154], v[179:180], v[177:178], -v[153:154]
	v_mul_f64 v[179:180], v[179:180], v[155:156]
	v_add_f64 v[225:226], v[225:226], -v[153:154]
	v_fma_f64 v[179:180], v[181:182], v[177:178], v[179:180]
	v_add_f64 v[227:228], v[227:228], -v[179:180]
	;; [unrolled: 8-line block ×14, first 2 shown]
	ds_read2_b64 v[179:182], v253 offset0:40 offset1:41
	s_clause 0x3
	buffer_load_dword v49, off, s[16:19], 0 offset:128
	buffer_load_dword v50, off, s[16:19], 0 offset:132
	buffer_load_dword v51, off, s[16:19], 0 offset:136
	buffer_load_dword v52, off, s[16:19], 0 offset:140
	s_waitcnt lgkmcnt(0)
	v_mul_f64 v[153:154], v[181:182], v[155:156]
	v_fma_f64 v[153:154], v[179:180], v[177:178], -v[153:154]
	v_mul_f64 v[179:180], v[179:180], v[155:156]
	v_fma_f64 v[179:180], v[181:182], v[177:178], v[179:180]
	s_waitcnt vmcnt(2)
	v_add_f64 v[49:50], v[49:50], -v[153:154]
	s_waitcnt vmcnt(0)
	v_add_f64 v[51:52], v[51:52], -v[179:180]
	buffer_store_dword v49, off, s[16:19], 0 offset:128 ; 4-byte Folded Spill
	buffer_store_dword v50, off, s[16:19], 0 offset:132 ; 4-byte Folded Spill
	buffer_store_dword v51, off, s[16:19], 0 offset:136 ; 4-byte Folded Spill
	buffer_store_dword v52, off, s[16:19], 0 offset:140 ; 4-byte Folded Spill
	ds_read2_b64 v[179:182], v253 offset0:42 offset1:43
	s_clause 0x3
	buffer_load_dword v49, off, s[16:19], 0 offset:112
	buffer_load_dword v50, off, s[16:19], 0 offset:116
	buffer_load_dword v51, off, s[16:19], 0 offset:120
	buffer_load_dword v52, off, s[16:19], 0 offset:124
	s_waitcnt lgkmcnt(0)
	v_mul_f64 v[153:154], v[181:182], v[155:156]
	v_fma_f64 v[153:154], v[179:180], v[177:178], -v[153:154]
	v_mul_f64 v[179:180], v[179:180], v[155:156]
	v_fma_f64 v[179:180], v[181:182], v[177:178], v[179:180]
	s_waitcnt vmcnt(2)
	v_add_f64 v[49:50], v[49:50], -v[153:154]
	s_waitcnt vmcnt(0)
	v_add_f64 v[51:52], v[51:52], -v[179:180]
	buffer_store_dword v49, off, s[16:19], 0 offset:112 ; 4-byte Folded Spill
	buffer_store_dword v50, off, s[16:19], 0 offset:116 ; 4-byte Folded Spill
	buffer_store_dword v51, off, s[16:19], 0 offset:120 ; 4-byte Folded Spill
	buffer_store_dword v52, off, s[16:19], 0 offset:124 ; 4-byte Folded Spill
	;; [unrolled: 19-line block ×8, first 2 shown]
	ds_read2_b64 v[179:182], v253 offset0:56 offset1:57
	s_clause 0x3
	buffer_load_dword v49, off, s[16:19], 0
	buffer_load_dword v50, off, s[16:19], 0 offset:4
	buffer_load_dword v51, off, s[16:19], 0 offset:8
	;; [unrolled: 1-line block ×3, first 2 shown]
	s_waitcnt lgkmcnt(0)
	v_mul_f64 v[153:154], v[181:182], v[155:156]
	v_fma_f64 v[153:154], v[179:180], v[177:178], -v[153:154]
	v_mul_f64 v[179:180], v[179:180], v[155:156]
	v_fma_f64 v[179:180], v[181:182], v[177:178], v[179:180]
	s_waitcnt vmcnt(2)
	v_add_f64 v[49:50], v[49:50], -v[153:154]
	s_waitcnt vmcnt(0)
	v_add_f64 v[51:52], v[51:52], -v[179:180]
	buffer_store_dword v49, off, s[16:19], 0 ; 4-byte Folded Spill
	buffer_store_dword v50, off, s[16:19], 0 offset:4 ; 4-byte Folded Spill
	buffer_store_dword v51, off, s[16:19], 0 offset:8 ; 4-byte Folded Spill
	;; [unrolled: 1-line block ×3, first 2 shown]
	ds_read2_b64 v[179:182], v253 offset0:58 offset1:59
	s_waitcnt lgkmcnt(0)
	v_mul_f64 v[153:154], v[181:182], v[155:156]
	v_fma_f64 v[153:154], v[179:180], v[177:178], -v[153:154]
	v_mul_f64 v[179:180], v[179:180], v[155:156]
	v_add_f64 v[57:58], v[57:58], -v[153:154]
	v_fma_f64 v[179:180], v[181:182], v[177:178], v[179:180]
	v_add_f64 v[59:60], v[59:60], -v[179:180]
	ds_read2_b64 v[179:182], v253 offset0:60 offset1:61
	s_waitcnt lgkmcnt(0)
	v_mul_f64 v[153:154], v[181:182], v[155:156]
	v_fma_f64 v[153:154], v[179:180], v[177:178], -v[153:154]
	v_mul_f64 v[179:180], v[179:180], v[155:156]
	v_add_f64 v[241:242], v[241:242], -v[153:154]
	v_fma_f64 v[179:180], v[181:182], v[177:178], v[179:180]
	v_add_f64 v[243:244], v[243:244], -v[179:180]
	;; [unrolled: 8-line block ×14, first 2 shown]
	ds_read2_b64 v[179:182], v253 offset0:86 offset1:87
	s_waitcnt lgkmcnt(0)
	v_mul_f64 v[153:154], v[181:182], v[155:156]
	v_fma_f64 v[153:154], v[179:180], v[177:178], -v[153:154]
	v_mul_f64 v[179:180], v[179:180], v[155:156]
	v_add_f64 v[1:2], v[1:2], -v[153:154]
	v_fma_f64 v[179:180], v[181:182], v[177:178], v[179:180]
	v_mov_b32_e32 v153, v177
	v_mov_b32_e32 v154, v178
	buffer_store_dword v153, off, s[16:19], 0 offset:144 ; 4-byte Folded Spill
	buffer_store_dword v154, off, s[16:19], 0 offset:148 ; 4-byte Folded Spill
	buffer_store_dword v155, off, s[16:19], 0 offset:152 ; 4-byte Folded Spill
	buffer_store_dword v156, off, s[16:19], 0 offset:156 ; 4-byte Folded Spill
	v_add_f64 v[3:4], v[3:4], -v[179:180]
.LBB87_55:
	s_or_b32 exec_lo, exec_lo, s1
	s_mov_b32 s2, exec_lo
	s_waitcnt_vscnt null, 0x0
	s_barrier
	buffer_gl0_inv
	v_cmpx_eq_u32_e32 6, v0
	s_cbranch_execz .LBB87_62
; %bb.56:
	ds_write2_b64 v255, v[149:150], v[151:152] offset1:1
	ds_write2_b64 v253, v[225:226], v[227:228] offset0:14 offset1:15
	ds_write2_b64 v253, v[141:142], v[143:144] offset0:16 offset1:17
	;; [unrolled: 1-line block ×13, first 2 shown]
	s_clause 0x3
	buffer_load_dword v49, off, s[16:19], 0 offset:128
	buffer_load_dword v50, off, s[16:19], 0 offset:132
	buffer_load_dword v51, off, s[16:19], 0 offset:136
	buffer_load_dword v52, off, s[16:19], 0 offset:140
	s_waitcnt vmcnt(0)
	ds_write2_b64 v253, v[49:50], v[51:52] offset0:40 offset1:41
	s_clause 0x3
	buffer_load_dword v49, off, s[16:19], 0 offset:112
	buffer_load_dword v50, off, s[16:19], 0 offset:116
	buffer_load_dword v51, off, s[16:19], 0 offset:120
	buffer_load_dword v52, off, s[16:19], 0 offset:124
	s_waitcnt vmcnt(0)
	ds_write2_b64 v253, v[49:50], v[51:52] offset0:42 offset1:43
	;; [unrolled: 7-line block ×8, first 2 shown]
	s_clause 0x3
	buffer_load_dword v49, off, s[16:19], 0
	buffer_load_dword v50, off, s[16:19], 0 offset:4
	buffer_load_dword v51, off, s[16:19], 0 offset:8
	;; [unrolled: 1-line block ×3, first 2 shown]
	s_waitcnt vmcnt(0)
	ds_write2_b64 v253, v[49:50], v[51:52] offset0:56 offset1:57
	ds_write2_b64 v253, v[57:58], v[59:60] offset0:58 offset1:59
	;; [unrolled: 1-line block ×16, first 2 shown]
	ds_read2_b64 v[177:180], v255 offset1:1
	s_waitcnt lgkmcnt(0)
	v_cmp_neq_f64_e32 vcc_lo, 0, v[177:178]
	v_cmp_neq_f64_e64 s1, 0, v[179:180]
	s_or_b32 s1, vcc_lo, s1
	s_and_b32 exec_lo, exec_lo, s1
	s_cbranch_execz .LBB87_62
; %bb.57:
	v_cmp_ngt_f64_e64 s1, |v[177:178]|, |v[179:180]|
                                        ; implicit-def: $vgpr181_vgpr182
	s_and_saveexec_b32 s3, s1
	s_xor_b32 s1, exec_lo, s3
                                        ; implicit-def: $vgpr183_vgpr184
	s_cbranch_execz .LBB87_59
; %bb.58:
	v_div_scale_f64 v[181:182], null, v[179:180], v[179:180], v[177:178]
	v_div_scale_f64 v[187:188], vcc_lo, v[177:178], v[179:180], v[177:178]
	v_rcp_f64_e32 v[183:184], v[181:182]
	v_fma_f64 v[185:186], -v[181:182], v[183:184], 1.0
	v_fma_f64 v[183:184], v[183:184], v[185:186], v[183:184]
	v_fma_f64 v[185:186], -v[181:182], v[183:184], 1.0
	v_fma_f64 v[183:184], v[183:184], v[185:186], v[183:184]
	v_mul_f64 v[185:186], v[187:188], v[183:184]
	v_fma_f64 v[181:182], -v[181:182], v[185:186], v[187:188]
	v_div_fmas_f64 v[181:182], v[181:182], v[183:184], v[185:186]
	v_div_fixup_f64 v[181:182], v[181:182], v[179:180], v[177:178]
	v_fma_f64 v[177:178], v[177:178], v[181:182], v[179:180]
	v_div_scale_f64 v[179:180], null, v[177:178], v[177:178], 1.0
	v_rcp_f64_e32 v[183:184], v[179:180]
	v_fma_f64 v[185:186], -v[179:180], v[183:184], 1.0
	v_fma_f64 v[183:184], v[183:184], v[185:186], v[183:184]
	v_fma_f64 v[185:186], -v[179:180], v[183:184], 1.0
	v_fma_f64 v[183:184], v[183:184], v[185:186], v[183:184]
	v_div_scale_f64 v[185:186], vcc_lo, 1.0, v[177:178], 1.0
	v_mul_f64 v[187:188], v[185:186], v[183:184]
	v_fma_f64 v[179:180], -v[179:180], v[187:188], v[185:186]
	v_div_fmas_f64 v[179:180], v[179:180], v[183:184], v[187:188]
	v_div_fixup_f64 v[183:184], v[179:180], v[177:178], 1.0
                                        ; implicit-def: $vgpr177_vgpr178
	v_mul_f64 v[181:182], v[181:182], v[183:184]
	v_xor_b32_e32 v184, 0x80000000, v184
.LBB87_59:
	s_andn2_saveexec_b32 s1, s1
	s_cbranch_execz .LBB87_61
; %bb.60:
	v_div_scale_f64 v[181:182], null, v[177:178], v[177:178], v[179:180]
	v_div_scale_f64 v[187:188], vcc_lo, v[179:180], v[177:178], v[179:180]
	v_rcp_f64_e32 v[183:184], v[181:182]
	v_fma_f64 v[185:186], -v[181:182], v[183:184], 1.0
	v_fma_f64 v[183:184], v[183:184], v[185:186], v[183:184]
	v_fma_f64 v[185:186], -v[181:182], v[183:184], 1.0
	v_fma_f64 v[183:184], v[183:184], v[185:186], v[183:184]
	v_mul_f64 v[185:186], v[187:188], v[183:184]
	v_fma_f64 v[181:182], -v[181:182], v[185:186], v[187:188]
	v_div_fmas_f64 v[181:182], v[181:182], v[183:184], v[185:186]
	v_div_fixup_f64 v[183:184], v[181:182], v[177:178], v[179:180]
	v_fma_f64 v[177:178], v[179:180], v[183:184], v[177:178]
	v_div_scale_f64 v[179:180], null, v[177:178], v[177:178], 1.0
	v_rcp_f64_e32 v[181:182], v[179:180]
	v_fma_f64 v[185:186], -v[179:180], v[181:182], 1.0
	v_fma_f64 v[181:182], v[181:182], v[185:186], v[181:182]
	v_fma_f64 v[185:186], -v[179:180], v[181:182], 1.0
	v_fma_f64 v[181:182], v[181:182], v[185:186], v[181:182]
	v_div_scale_f64 v[185:186], vcc_lo, 1.0, v[177:178], 1.0
	v_mul_f64 v[187:188], v[185:186], v[181:182]
	v_fma_f64 v[179:180], -v[179:180], v[187:188], v[185:186]
	v_div_fmas_f64 v[179:180], v[179:180], v[181:182], v[187:188]
	v_div_fixup_f64 v[181:182], v[179:180], v[177:178], 1.0
	v_mul_f64 v[183:184], v[183:184], -v[181:182]
.LBB87_61:
	s_or_b32 exec_lo, exec_lo, s1
	ds_write2_b64 v255, v[181:182], v[183:184] offset1:1
.LBB87_62:
	s_or_b32 exec_lo, exec_lo, s2
	s_waitcnt lgkmcnt(0)
	s_barrier
	buffer_gl0_inv
	ds_read2_b64 v[153:156], v255 offset1:1
	s_mov_b32 s1, exec_lo
	v_cmpx_lt_u32_e32 6, v0
	s_cbranch_execz .LBB87_64
; %bb.63:
	s_waitcnt lgkmcnt(0)
	v_mul_f64 v[177:178], v[155:156], v[151:152]
	v_mul_f64 v[151:152], v[153:154], v[151:152]
	ds_read2_b64 v[179:182], v253 offset0:14 offset1:15
	v_fma_f64 v[177:178], v[153:154], v[149:150], -v[177:178]
	v_fma_f64 v[151:152], v[155:156], v[149:150], v[151:152]
	s_waitcnt lgkmcnt(0)
	v_mul_f64 v[149:150], v[181:182], v[151:152]
	v_fma_f64 v[149:150], v[179:180], v[177:178], -v[149:150]
	v_mul_f64 v[179:180], v[179:180], v[151:152]
	v_add_f64 v[225:226], v[225:226], -v[149:150]
	v_fma_f64 v[179:180], v[181:182], v[177:178], v[179:180]
	v_add_f64 v[227:228], v[227:228], -v[179:180]
	ds_read2_b64 v[179:182], v253 offset0:16 offset1:17
	s_waitcnt lgkmcnt(0)
	v_mul_f64 v[149:150], v[181:182], v[151:152]
	v_fma_f64 v[149:150], v[179:180], v[177:178], -v[149:150]
	v_mul_f64 v[179:180], v[179:180], v[151:152]
	v_add_f64 v[141:142], v[141:142], -v[149:150]
	v_fma_f64 v[179:180], v[181:182], v[177:178], v[179:180]
	v_add_f64 v[143:144], v[143:144], -v[179:180]
	ds_read2_b64 v[179:182], v253 offset0:18 offset1:19
	;; [unrolled: 8-line block ×13, first 2 shown]
	s_clause 0x3
	buffer_load_dword v49, off, s[16:19], 0 offset:128
	buffer_load_dword v50, off, s[16:19], 0 offset:132
	buffer_load_dword v51, off, s[16:19], 0 offset:136
	buffer_load_dword v52, off, s[16:19], 0 offset:140
	s_waitcnt lgkmcnt(0)
	v_mul_f64 v[149:150], v[181:182], v[151:152]
	v_fma_f64 v[149:150], v[179:180], v[177:178], -v[149:150]
	v_mul_f64 v[179:180], v[179:180], v[151:152]
	v_fma_f64 v[179:180], v[181:182], v[177:178], v[179:180]
	s_waitcnt vmcnt(2)
	v_add_f64 v[49:50], v[49:50], -v[149:150]
	s_waitcnt vmcnt(0)
	v_add_f64 v[51:52], v[51:52], -v[179:180]
	buffer_store_dword v49, off, s[16:19], 0 offset:128 ; 4-byte Folded Spill
	buffer_store_dword v50, off, s[16:19], 0 offset:132 ; 4-byte Folded Spill
	buffer_store_dword v51, off, s[16:19], 0 offset:136 ; 4-byte Folded Spill
	buffer_store_dword v52, off, s[16:19], 0 offset:140 ; 4-byte Folded Spill
	ds_read2_b64 v[179:182], v253 offset0:42 offset1:43
	s_clause 0x3
	buffer_load_dword v49, off, s[16:19], 0 offset:112
	buffer_load_dword v50, off, s[16:19], 0 offset:116
	buffer_load_dword v51, off, s[16:19], 0 offset:120
	buffer_load_dword v52, off, s[16:19], 0 offset:124
	s_waitcnt lgkmcnt(0)
	v_mul_f64 v[149:150], v[181:182], v[151:152]
	v_fma_f64 v[149:150], v[179:180], v[177:178], -v[149:150]
	v_mul_f64 v[179:180], v[179:180], v[151:152]
	v_fma_f64 v[179:180], v[181:182], v[177:178], v[179:180]
	s_waitcnt vmcnt(2)
	v_add_f64 v[49:50], v[49:50], -v[149:150]
	s_waitcnt vmcnt(0)
	v_add_f64 v[51:52], v[51:52], -v[179:180]
	buffer_store_dword v49, off, s[16:19], 0 offset:112 ; 4-byte Folded Spill
	buffer_store_dword v50, off, s[16:19], 0 offset:116 ; 4-byte Folded Spill
	buffer_store_dword v51, off, s[16:19], 0 offset:120 ; 4-byte Folded Spill
	buffer_store_dword v52, off, s[16:19], 0 offset:124 ; 4-byte Folded Spill
	ds_read2_b64 v[179:182], v253 offset0:44 offset1:45
	;; [unrolled: 19-line block ×8, first 2 shown]
	s_clause 0x3
	buffer_load_dword v49, off, s[16:19], 0
	buffer_load_dword v50, off, s[16:19], 0 offset:4
	buffer_load_dword v51, off, s[16:19], 0 offset:8
	;; [unrolled: 1-line block ×3, first 2 shown]
	s_waitcnt lgkmcnt(0)
	v_mul_f64 v[149:150], v[181:182], v[151:152]
	v_fma_f64 v[149:150], v[179:180], v[177:178], -v[149:150]
	v_mul_f64 v[179:180], v[179:180], v[151:152]
	v_fma_f64 v[179:180], v[181:182], v[177:178], v[179:180]
	s_waitcnt vmcnt(2)
	v_add_f64 v[49:50], v[49:50], -v[149:150]
	s_waitcnt vmcnt(0)
	v_add_f64 v[51:52], v[51:52], -v[179:180]
	buffer_store_dword v49, off, s[16:19], 0 ; 4-byte Folded Spill
	buffer_store_dword v50, off, s[16:19], 0 offset:4 ; 4-byte Folded Spill
	buffer_store_dword v51, off, s[16:19], 0 offset:8 ; 4-byte Folded Spill
	;; [unrolled: 1-line block ×3, first 2 shown]
	ds_read2_b64 v[179:182], v253 offset0:58 offset1:59
	s_waitcnt lgkmcnt(0)
	v_mul_f64 v[149:150], v[181:182], v[151:152]
	v_fma_f64 v[149:150], v[179:180], v[177:178], -v[149:150]
	v_mul_f64 v[179:180], v[179:180], v[151:152]
	v_add_f64 v[57:58], v[57:58], -v[149:150]
	v_fma_f64 v[179:180], v[181:182], v[177:178], v[179:180]
	v_add_f64 v[59:60], v[59:60], -v[179:180]
	ds_read2_b64 v[179:182], v253 offset0:60 offset1:61
	s_waitcnt lgkmcnt(0)
	v_mul_f64 v[149:150], v[181:182], v[151:152]
	v_fma_f64 v[149:150], v[179:180], v[177:178], -v[149:150]
	v_mul_f64 v[179:180], v[179:180], v[151:152]
	v_add_f64 v[241:242], v[241:242], -v[149:150]
	v_fma_f64 v[179:180], v[181:182], v[177:178], v[179:180]
	v_add_f64 v[243:244], v[243:244], -v[179:180]
	ds_read2_b64 v[179:182], v253 offset0:62 offset1:63
	s_waitcnt lgkmcnt(0)
	v_mul_f64 v[149:150], v[181:182], v[151:152]
	v_fma_f64 v[149:150], v[179:180], v[177:178], -v[149:150]
	v_mul_f64 v[179:180], v[179:180], v[151:152]
	v_add_f64 v[205:206], v[205:206], -v[149:150]
	v_fma_f64 v[179:180], v[181:182], v[177:178], v[179:180]
	v_add_f64 v[207:208], v[207:208], -v[179:180]
	ds_read2_b64 v[179:182], v253 offset0:64 offset1:65
	s_waitcnt lgkmcnt(0)
	v_mul_f64 v[149:150], v[181:182], v[151:152]
	v_fma_f64 v[149:150], v[179:180], v[177:178], -v[149:150]
	v_mul_f64 v[179:180], v[179:180], v[151:152]
	v_add_f64 v[45:46], v[45:46], -v[149:150]
	v_fma_f64 v[179:180], v[181:182], v[177:178], v[179:180]
	v_add_f64 v[47:48], v[47:48], -v[179:180]
	ds_read2_b64 v[179:182], v253 offset0:66 offset1:67
	s_waitcnt lgkmcnt(0)
	v_mul_f64 v[149:150], v[181:182], v[151:152]
	v_fma_f64 v[149:150], v[179:180], v[177:178], -v[149:150]
	v_mul_f64 v[179:180], v[179:180], v[151:152]
	v_add_f64 v[41:42], v[41:42], -v[149:150]
	v_fma_f64 v[179:180], v[181:182], v[177:178], v[179:180]
	v_add_f64 v[43:44], v[43:44], -v[179:180]
	ds_read2_b64 v[179:182], v253 offset0:68 offset1:69
	s_waitcnt lgkmcnt(0)
	v_mul_f64 v[149:150], v[181:182], v[151:152]
	v_fma_f64 v[149:150], v[179:180], v[177:178], -v[149:150]
	v_mul_f64 v[179:180], v[179:180], v[151:152]
	v_add_f64 v[37:38], v[37:38], -v[149:150]
	v_fma_f64 v[179:180], v[181:182], v[177:178], v[179:180]
	v_add_f64 v[39:40], v[39:40], -v[179:180]
	ds_read2_b64 v[179:182], v253 offset0:70 offset1:71
	s_waitcnt lgkmcnt(0)
	v_mul_f64 v[149:150], v[181:182], v[151:152]
	v_fma_f64 v[149:150], v[179:180], v[177:178], -v[149:150]
	v_mul_f64 v[179:180], v[179:180], v[151:152]
	v_add_f64 v[33:34], v[33:34], -v[149:150]
	v_fma_f64 v[179:180], v[181:182], v[177:178], v[179:180]
	v_add_f64 v[35:36], v[35:36], -v[179:180]
	ds_read2_b64 v[179:182], v253 offset0:72 offset1:73
	s_waitcnt lgkmcnt(0)
	v_mul_f64 v[149:150], v[181:182], v[151:152]
	v_fma_f64 v[149:150], v[179:180], v[177:178], -v[149:150]
	v_mul_f64 v[179:180], v[179:180], v[151:152]
	v_add_f64 v[29:30], v[29:30], -v[149:150]
	v_fma_f64 v[179:180], v[181:182], v[177:178], v[179:180]
	v_add_f64 v[31:32], v[31:32], -v[179:180]
	ds_read2_b64 v[179:182], v253 offset0:74 offset1:75
	s_waitcnt lgkmcnt(0)
	v_mul_f64 v[149:150], v[181:182], v[151:152]
	v_fma_f64 v[149:150], v[179:180], v[177:178], -v[149:150]
	v_mul_f64 v[179:180], v[179:180], v[151:152]
	v_add_f64 v[25:26], v[25:26], -v[149:150]
	v_fma_f64 v[179:180], v[181:182], v[177:178], v[179:180]
	v_add_f64 v[27:28], v[27:28], -v[179:180]
	ds_read2_b64 v[179:182], v253 offset0:76 offset1:77
	s_waitcnt lgkmcnt(0)
	v_mul_f64 v[149:150], v[181:182], v[151:152]
	v_fma_f64 v[149:150], v[179:180], v[177:178], -v[149:150]
	v_mul_f64 v[179:180], v[179:180], v[151:152]
	v_add_f64 v[21:22], v[21:22], -v[149:150]
	v_fma_f64 v[179:180], v[181:182], v[177:178], v[179:180]
	v_add_f64 v[23:24], v[23:24], -v[179:180]
	ds_read2_b64 v[179:182], v253 offset0:78 offset1:79
	s_waitcnt lgkmcnt(0)
	v_mul_f64 v[149:150], v[181:182], v[151:152]
	v_fma_f64 v[149:150], v[179:180], v[177:178], -v[149:150]
	v_mul_f64 v[179:180], v[179:180], v[151:152]
	v_add_f64 v[17:18], v[17:18], -v[149:150]
	v_fma_f64 v[179:180], v[181:182], v[177:178], v[179:180]
	v_add_f64 v[19:20], v[19:20], -v[179:180]
	ds_read2_b64 v[179:182], v253 offset0:80 offset1:81
	s_waitcnt lgkmcnt(0)
	v_mul_f64 v[149:150], v[181:182], v[151:152]
	v_fma_f64 v[149:150], v[179:180], v[177:178], -v[149:150]
	v_mul_f64 v[179:180], v[179:180], v[151:152]
	v_add_f64 v[13:14], v[13:14], -v[149:150]
	v_fma_f64 v[179:180], v[181:182], v[177:178], v[179:180]
	v_add_f64 v[15:16], v[15:16], -v[179:180]
	ds_read2_b64 v[179:182], v253 offset0:82 offset1:83
	s_waitcnt lgkmcnt(0)
	v_mul_f64 v[149:150], v[181:182], v[151:152]
	v_fma_f64 v[149:150], v[179:180], v[177:178], -v[149:150]
	v_mul_f64 v[179:180], v[179:180], v[151:152]
	v_add_f64 v[9:10], v[9:10], -v[149:150]
	v_fma_f64 v[179:180], v[181:182], v[177:178], v[179:180]
	v_add_f64 v[11:12], v[11:12], -v[179:180]
	ds_read2_b64 v[179:182], v253 offset0:84 offset1:85
	s_waitcnt lgkmcnt(0)
	v_mul_f64 v[149:150], v[181:182], v[151:152]
	v_fma_f64 v[149:150], v[179:180], v[177:178], -v[149:150]
	v_mul_f64 v[179:180], v[179:180], v[151:152]
	v_add_f64 v[5:6], v[5:6], -v[149:150]
	v_fma_f64 v[179:180], v[181:182], v[177:178], v[179:180]
	v_add_f64 v[7:8], v[7:8], -v[179:180]
	ds_read2_b64 v[179:182], v253 offset0:86 offset1:87
	s_waitcnt lgkmcnt(0)
	v_mul_f64 v[149:150], v[181:182], v[151:152]
	v_fma_f64 v[149:150], v[179:180], v[177:178], -v[149:150]
	v_mul_f64 v[179:180], v[179:180], v[151:152]
	v_add_f64 v[1:2], v[1:2], -v[149:150]
	v_fma_f64 v[179:180], v[181:182], v[177:178], v[179:180]
	v_mov_b32_e32 v149, v177
	v_mov_b32_e32 v150, v178
	v_add_f64 v[3:4], v[3:4], -v[179:180]
.LBB87_64:
	s_or_b32 exec_lo, exec_lo, s1
	s_mov_b32 s2, exec_lo
	s_waitcnt lgkmcnt(0)
	s_waitcnt_vscnt null, 0x0
	s_barrier
	buffer_gl0_inv
	v_cmpx_eq_u32_e32 7, v0
	s_cbranch_execz .LBB87_71
; %bb.65:
	ds_write2_b64 v255, v[225:226], v[227:228] offset1:1
	ds_write2_b64 v253, v[141:142], v[143:144] offset0:16 offset1:17
	ds_write2_b64 v253, v[229:230], v[231:232] offset0:18 offset1:19
	;; [unrolled: 1-line block ×12, first 2 shown]
	s_clause 0x3
	buffer_load_dword v49, off, s[16:19], 0 offset:128
	buffer_load_dword v50, off, s[16:19], 0 offset:132
	buffer_load_dword v51, off, s[16:19], 0 offset:136
	buffer_load_dword v52, off, s[16:19], 0 offset:140
	s_waitcnt vmcnt(0)
	ds_write2_b64 v253, v[49:50], v[51:52] offset0:40 offset1:41
	s_clause 0x3
	buffer_load_dword v49, off, s[16:19], 0 offset:112
	buffer_load_dword v50, off, s[16:19], 0 offset:116
	buffer_load_dword v51, off, s[16:19], 0 offset:120
	buffer_load_dword v52, off, s[16:19], 0 offset:124
	s_waitcnt vmcnt(0)
	ds_write2_b64 v253, v[49:50], v[51:52] offset0:42 offset1:43
	;; [unrolled: 7-line block ×8, first 2 shown]
	s_clause 0x3
	buffer_load_dword v49, off, s[16:19], 0
	buffer_load_dword v50, off, s[16:19], 0 offset:4
	buffer_load_dword v51, off, s[16:19], 0 offset:8
	;; [unrolled: 1-line block ×3, first 2 shown]
	s_waitcnt vmcnt(0)
	ds_write2_b64 v253, v[49:50], v[51:52] offset0:56 offset1:57
	ds_write2_b64 v253, v[57:58], v[59:60] offset0:58 offset1:59
	;; [unrolled: 1-line block ×16, first 2 shown]
	ds_read2_b64 v[177:180], v255 offset1:1
	s_waitcnt lgkmcnt(0)
	v_cmp_neq_f64_e32 vcc_lo, 0, v[177:178]
	v_cmp_neq_f64_e64 s1, 0, v[179:180]
	s_or_b32 s1, vcc_lo, s1
	s_and_b32 exec_lo, exec_lo, s1
	s_cbranch_execz .LBB87_71
; %bb.66:
	v_cmp_ngt_f64_e64 s1, |v[177:178]|, |v[179:180]|
                                        ; implicit-def: $vgpr181_vgpr182
	s_and_saveexec_b32 s3, s1
	s_xor_b32 s1, exec_lo, s3
                                        ; implicit-def: $vgpr183_vgpr184
	s_cbranch_execz .LBB87_68
; %bb.67:
	v_div_scale_f64 v[181:182], null, v[179:180], v[179:180], v[177:178]
	v_div_scale_f64 v[187:188], vcc_lo, v[177:178], v[179:180], v[177:178]
	v_rcp_f64_e32 v[183:184], v[181:182]
	v_fma_f64 v[185:186], -v[181:182], v[183:184], 1.0
	v_fma_f64 v[183:184], v[183:184], v[185:186], v[183:184]
	v_fma_f64 v[185:186], -v[181:182], v[183:184], 1.0
	v_fma_f64 v[183:184], v[183:184], v[185:186], v[183:184]
	v_mul_f64 v[185:186], v[187:188], v[183:184]
	v_fma_f64 v[181:182], -v[181:182], v[185:186], v[187:188]
	v_div_fmas_f64 v[181:182], v[181:182], v[183:184], v[185:186]
	v_div_fixup_f64 v[181:182], v[181:182], v[179:180], v[177:178]
	v_fma_f64 v[177:178], v[177:178], v[181:182], v[179:180]
	v_div_scale_f64 v[179:180], null, v[177:178], v[177:178], 1.0
	v_rcp_f64_e32 v[183:184], v[179:180]
	v_fma_f64 v[185:186], -v[179:180], v[183:184], 1.0
	v_fma_f64 v[183:184], v[183:184], v[185:186], v[183:184]
	v_fma_f64 v[185:186], -v[179:180], v[183:184], 1.0
	v_fma_f64 v[183:184], v[183:184], v[185:186], v[183:184]
	v_div_scale_f64 v[185:186], vcc_lo, 1.0, v[177:178], 1.0
	v_mul_f64 v[187:188], v[185:186], v[183:184]
	v_fma_f64 v[179:180], -v[179:180], v[187:188], v[185:186]
	v_div_fmas_f64 v[179:180], v[179:180], v[183:184], v[187:188]
	v_div_fixup_f64 v[183:184], v[179:180], v[177:178], 1.0
                                        ; implicit-def: $vgpr177_vgpr178
	v_mul_f64 v[181:182], v[181:182], v[183:184]
	v_xor_b32_e32 v184, 0x80000000, v184
.LBB87_68:
	s_andn2_saveexec_b32 s1, s1
	s_cbranch_execz .LBB87_70
; %bb.69:
	v_div_scale_f64 v[181:182], null, v[177:178], v[177:178], v[179:180]
	v_div_scale_f64 v[187:188], vcc_lo, v[179:180], v[177:178], v[179:180]
	v_rcp_f64_e32 v[183:184], v[181:182]
	v_fma_f64 v[185:186], -v[181:182], v[183:184], 1.0
	v_fma_f64 v[183:184], v[183:184], v[185:186], v[183:184]
	v_fma_f64 v[185:186], -v[181:182], v[183:184], 1.0
	v_fma_f64 v[183:184], v[183:184], v[185:186], v[183:184]
	v_mul_f64 v[185:186], v[187:188], v[183:184]
	v_fma_f64 v[181:182], -v[181:182], v[185:186], v[187:188]
	v_div_fmas_f64 v[181:182], v[181:182], v[183:184], v[185:186]
	v_div_fixup_f64 v[183:184], v[181:182], v[177:178], v[179:180]
	v_fma_f64 v[177:178], v[179:180], v[183:184], v[177:178]
	v_div_scale_f64 v[179:180], null, v[177:178], v[177:178], 1.0
	v_rcp_f64_e32 v[181:182], v[179:180]
	v_fma_f64 v[185:186], -v[179:180], v[181:182], 1.0
	v_fma_f64 v[181:182], v[181:182], v[185:186], v[181:182]
	v_fma_f64 v[185:186], -v[179:180], v[181:182], 1.0
	v_fma_f64 v[181:182], v[181:182], v[185:186], v[181:182]
	v_div_scale_f64 v[185:186], vcc_lo, 1.0, v[177:178], 1.0
	v_mul_f64 v[187:188], v[185:186], v[181:182]
	v_fma_f64 v[179:180], -v[179:180], v[187:188], v[185:186]
	v_div_fmas_f64 v[179:180], v[179:180], v[181:182], v[187:188]
	v_div_fixup_f64 v[181:182], v[179:180], v[177:178], 1.0
	v_mul_f64 v[183:184], v[183:184], -v[181:182]
.LBB87_70:
	s_or_b32 exec_lo, exec_lo, s1
	ds_write2_b64 v255, v[181:182], v[183:184] offset1:1
.LBB87_71:
	s_or_b32 exec_lo, exec_lo, s2
	s_waitcnt lgkmcnt(0)
	s_barrier
	buffer_gl0_inv
	ds_read2_b64 v[213:216], v255 offset1:1
	s_mov_b32 s1, exec_lo
	v_cmpx_lt_u32_e32 7, v0
	s_cbranch_execz .LBB87_73
; %bb.72:
	s_waitcnt lgkmcnt(0)
	v_mul_f64 v[147:148], v[213:214], v[227:228]
	v_mul_f64 v[177:178], v[215:216], v[227:228]
	ds_read2_b64 v[179:182], v253 offset0:16 offset1:17
	v_fma_f64 v[227:228], v[215:216], v[225:226], v[147:148]
	v_fma_f64 v[177:178], v[213:214], v[225:226], -v[177:178]
	s_waitcnt lgkmcnt(0)
	v_mul_f64 v[145:146], v[181:182], v[227:228]
	v_mov_b32_e32 v226, v178
	v_mov_b32_e32 v225, v177
	v_fma_f64 v[145:146], v[179:180], v[177:178], -v[145:146]
	v_mul_f64 v[179:180], v[179:180], v[227:228]
	v_add_f64 v[141:142], v[141:142], -v[145:146]
	v_fma_f64 v[179:180], v[181:182], v[177:178], v[179:180]
	v_add_f64 v[143:144], v[143:144], -v[179:180]
	ds_read2_b64 v[179:182], v253 offset0:18 offset1:19
	s_waitcnt lgkmcnt(0)
	v_mul_f64 v[145:146], v[181:182], v[227:228]
	v_fma_f64 v[145:146], v[179:180], v[177:178], -v[145:146]
	v_mul_f64 v[179:180], v[179:180], v[227:228]
	v_add_f64 v[229:230], v[229:230], -v[145:146]
	v_fma_f64 v[179:180], v[181:182], v[177:178], v[179:180]
	v_add_f64 v[231:232], v[231:232], -v[179:180]
	ds_read2_b64 v[179:182], v253 offset0:20 offset1:21
	s_waitcnt lgkmcnt(0)
	v_mul_f64 v[145:146], v[181:182], v[227:228]
	;; [unrolled: 8-line block ×11, first 2 shown]
	v_fma_f64 v[145:146], v[179:180], v[177:178], -v[145:146]
	v_mul_f64 v[179:180], v[179:180], v[227:228]
	v_add_f64 v[97:98], v[97:98], -v[145:146]
	v_fma_f64 v[179:180], v[181:182], v[177:178], v[179:180]
	v_add_f64 v[99:100], v[99:100], -v[179:180]
	ds_read2_b64 v[179:182], v253 offset0:40 offset1:41
	s_clause 0x3
	buffer_load_dword v49, off, s[16:19], 0 offset:128
	buffer_load_dword v50, off, s[16:19], 0 offset:132
	buffer_load_dword v51, off, s[16:19], 0 offset:136
	buffer_load_dword v52, off, s[16:19], 0 offset:140
	s_waitcnt lgkmcnt(0)
	v_mul_f64 v[145:146], v[181:182], v[227:228]
	v_fma_f64 v[145:146], v[179:180], v[177:178], -v[145:146]
	v_mul_f64 v[179:180], v[179:180], v[227:228]
	v_fma_f64 v[179:180], v[181:182], v[177:178], v[179:180]
	s_waitcnt vmcnt(2)
	v_add_f64 v[49:50], v[49:50], -v[145:146]
	s_waitcnt vmcnt(0)
	v_add_f64 v[51:52], v[51:52], -v[179:180]
	buffer_store_dword v49, off, s[16:19], 0 offset:128 ; 4-byte Folded Spill
	buffer_store_dword v50, off, s[16:19], 0 offset:132 ; 4-byte Folded Spill
	buffer_store_dword v51, off, s[16:19], 0 offset:136 ; 4-byte Folded Spill
	buffer_store_dword v52, off, s[16:19], 0 offset:140 ; 4-byte Folded Spill
	ds_read2_b64 v[179:182], v253 offset0:42 offset1:43
	s_clause 0x3
	buffer_load_dword v49, off, s[16:19], 0 offset:112
	buffer_load_dword v50, off, s[16:19], 0 offset:116
	buffer_load_dword v51, off, s[16:19], 0 offset:120
	buffer_load_dword v52, off, s[16:19], 0 offset:124
	s_waitcnt lgkmcnt(0)
	v_mul_f64 v[145:146], v[181:182], v[227:228]
	v_fma_f64 v[145:146], v[179:180], v[177:178], -v[145:146]
	v_mul_f64 v[179:180], v[179:180], v[227:228]
	v_fma_f64 v[179:180], v[181:182], v[177:178], v[179:180]
	s_waitcnt vmcnt(2)
	v_add_f64 v[49:50], v[49:50], -v[145:146]
	s_waitcnt vmcnt(0)
	v_add_f64 v[51:52], v[51:52], -v[179:180]
	buffer_store_dword v49, off, s[16:19], 0 offset:112 ; 4-byte Folded Spill
	buffer_store_dword v50, off, s[16:19], 0 offset:116 ; 4-byte Folded Spill
	buffer_store_dword v51, off, s[16:19], 0 offset:120 ; 4-byte Folded Spill
	buffer_store_dword v52, off, s[16:19], 0 offset:124 ; 4-byte Folded Spill
	;; [unrolled: 19-line block ×8, first 2 shown]
	ds_read2_b64 v[179:182], v253 offset0:56 offset1:57
	s_clause 0x3
	buffer_load_dword v49, off, s[16:19], 0
	buffer_load_dword v50, off, s[16:19], 0 offset:4
	buffer_load_dword v51, off, s[16:19], 0 offset:8
	;; [unrolled: 1-line block ×3, first 2 shown]
	s_waitcnt lgkmcnt(0)
	v_mul_f64 v[145:146], v[181:182], v[227:228]
	v_fma_f64 v[145:146], v[179:180], v[177:178], -v[145:146]
	v_mul_f64 v[179:180], v[179:180], v[227:228]
	v_fma_f64 v[179:180], v[181:182], v[177:178], v[179:180]
	s_waitcnt vmcnt(2)
	v_add_f64 v[49:50], v[49:50], -v[145:146]
	s_waitcnt vmcnt(0)
	v_add_f64 v[51:52], v[51:52], -v[179:180]
	buffer_store_dword v49, off, s[16:19], 0 ; 4-byte Folded Spill
	buffer_store_dword v50, off, s[16:19], 0 offset:4 ; 4-byte Folded Spill
	buffer_store_dword v51, off, s[16:19], 0 offset:8 ; 4-byte Folded Spill
	;; [unrolled: 1-line block ×3, first 2 shown]
	ds_read2_b64 v[179:182], v253 offset0:58 offset1:59
	s_waitcnt lgkmcnt(0)
	v_mul_f64 v[145:146], v[181:182], v[227:228]
	v_fma_f64 v[145:146], v[179:180], v[177:178], -v[145:146]
	v_mul_f64 v[179:180], v[179:180], v[227:228]
	v_add_f64 v[57:58], v[57:58], -v[145:146]
	v_fma_f64 v[179:180], v[181:182], v[177:178], v[179:180]
	v_add_f64 v[59:60], v[59:60], -v[179:180]
	ds_read2_b64 v[179:182], v253 offset0:60 offset1:61
	s_waitcnt lgkmcnt(0)
	v_mul_f64 v[145:146], v[181:182], v[227:228]
	v_fma_f64 v[145:146], v[179:180], v[177:178], -v[145:146]
	v_mul_f64 v[179:180], v[179:180], v[227:228]
	v_add_f64 v[241:242], v[241:242], -v[145:146]
	v_fma_f64 v[179:180], v[181:182], v[177:178], v[179:180]
	v_add_f64 v[243:244], v[243:244], -v[179:180]
	;; [unrolled: 8-line block ×15, first 2 shown]
.LBB87_73:
	s_or_b32 exec_lo, exec_lo, s1
	s_mov_b32 s2, exec_lo
	s_waitcnt lgkmcnt(0)
	s_waitcnt_vscnt null, 0x0
	s_barrier
	buffer_gl0_inv
	v_cmpx_eq_u32_e32 8, v0
	s_cbranch_execz .LBB87_80
; %bb.74:
	ds_write2_b64 v255, v[141:142], v[143:144] offset1:1
	ds_write2_b64 v253, v[229:230], v[231:232] offset0:18 offset1:19
	ds_write2_b64 v253, v[133:134], v[135:136] offset0:20 offset1:21
	;; [unrolled: 1-line block ×11, first 2 shown]
	s_clause 0x3
	buffer_load_dword v49, off, s[16:19], 0 offset:128
	buffer_load_dword v50, off, s[16:19], 0 offset:132
	buffer_load_dword v51, off, s[16:19], 0 offset:136
	buffer_load_dword v52, off, s[16:19], 0 offset:140
	s_waitcnt vmcnt(0)
	ds_write2_b64 v253, v[49:50], v[51:52] offset0:40 offset1:41
	s_clause 0x3
	buffer_load_dword v49, off, s[16:19], 0 offset:112
	buffer_load_dword v50, off, s[16:19], 0 offset:116
	buffer_load_dword v51, off, s[16:19], 0 offset:120
	buffer_load_dword v52, off, s[16:19], 0 offset:124
	s_waitcnt vmcnt(0)
	ds_write2_b64 v253, v[49:50], v[51:52] offset0:42 offset1:43
	;; [unrolled: 7-line block ×8, first 2 shown]
	s_clause 0x3
	buffer_load_dword v49, off, s[16:19], 0
	buffer_load_dword v50, off, s[16:19], 0 offset:4
	buffer_load_dword v51, off, s[16:19], 0 offset:8
	;; [unrolled: 1-line block ×3, first 2 shown]
	s_waitcnt vmcnt(0)
	ds_write2_b64 v253, v[49:50], v[51:52] offset0:56 offset1:57
	ds_write2_b64 v253, v[57:58], v[59:60] offset0:58 offset1:59
	;; [unrolled: 1-line block ×16, first 2 shown]
	ds_read2_b64 v[177:180], v255 offset1:1
	s_waitcnt lgkmcnt(0)
	v_cmp_neq_f64_e32 vcc_lo, 0, v[177:178]
	v_cmp_neq_f64_e64 s1, 0, v[179:180]
	s_or_b32 s1, vcc_lo, s1
	s_and_b32 exec_lo, exec_lo, s1
	s_cbranch_execz .LBB87_80
; %bb.75:
	v_cmp_ngt_f64_e64 s1, |v[177:178]|, |v[179:180]|
                                        ; implicit-def: $vgpr181_vgpr182
	s_and_saveexec_b32 s3, s1
	s_xor_b32 s1, exec_lo, s3
                                        ; implicit-def: $vgpr183_vgpr184
	s_cbranch_execz .LBB87_77
; %bb.76:
	v_div_scale_f64 v[181:182], null, v[179:180], v[179:180], v[177:178]
	v_div_scale_f64 v[187:188], vcc_lo, v[177:178], v[179:180], v[177:178]
	v_rcp_f64_e32 v[183:184], v[181:182]
	v_fma_f64 v[185:186], -v[181:182], v[183:184], 1.0
	v_fma_f64 v[183:184], v[183:184], v[185:186], v[183:184]
	v_fma_f64 v[185:186], -v[181:182], v[183:184], 1.0
	v_fma_f64 v[183:184], v[183:184], v[185:186], v[183:184]
	v_mul_f64 v[185:186], v[187:188], v[183:184]
	v_fma_f64 v[181:182], -v[181:182], v[185:186], v[187:188]
	v_div_fmas_f64 v[181:182], v[181:182], v[183:184], v[185:186]
	v_div_fixup_f64 v[181:182], v[181:182], v[179:180], v[177:178]
	v_fma_f64 v[177:178], v[177:178], v[181:182], v[179:180]
	v_div_scale_f64 v[179:180], null, v[177:178], v[177:178], 1.0
	v_rcp_f64_e32 v[183:184], v[179:180]
	v_fma_f64 v[185:186], -v[179:180], v[183:184], 1.0
	v_fma_f64 v[183:184], v[183:184], v[185:186], v[183:184]
	v_fma_f64 v[185:186], -v[179:180], v[183:184], 1.0
	v_fma_f64 v[183:184], v[183:184], v[185:186], v[183:184]
	v_div_scale_f64 v[185:186], vcc_lo, 1.0, v[177:178], 1.0
	v_mul_f64 v[187:188], v[185:186], v[183:184]
	v_fma_f64 v[179:180], -v[179:180], v[187:188], v[185:186]
	v_div_fmas_f64 v[179:180], v[179:180], v[183:184], v[187:188]
	v_div_fixup_f64 v[183:184], v[179:180], v[177:178], 1.0
                                        ; implicit-def: $vgpr177_vgpr178
	v_mul_f64 v[181:182], v[181:182], v[183:184]
	v_xor_b32_e32 v184, 0x80000000, v184
.LBB87_77:
	s_andn2_saveexec_b32 s1, s1
	s_cbranch_execz .LBB87_79
; %bb.78:
	v_div_scale_f64 v[181:182], null, v[177:178], v[177:178], v[179:180]
	v_div_scale_f64 v[187:188], vcc_lo, v[179:180], v[177:178], v[179:180]
	v_rcp_f64_e32 v[183:184], v[181:182]
	v_fma_f64 v[185:186], -v[181:182], v[183:184], 1.0
	v_fma_f64 v[183:184], v[183:184], v[185:186], v[183:184]
	v_fma_f64 v[185:186], -v[181:182], v[183:184], 1.0
	v_fma_f64 v[183:184], v[183:184], v[185:186], v[183:184]
	v_mul_f64 v[185:186], v[187:188], v[183:184]
	v_fma_f64 v[181:182], -v[181:182], v[185:186], v[187:188]
	v_div_fmas_f64 v[181:182], v[181:182], v[183:184], v[185:186]
	v_div_fixup_f64 v[183:184], v[181:182], v[177:178], v[179:180]
	v_fma_f64 v[177:178], v[179:180], v[183:184], v[177:178]
	v_div_scale_f64 v[179:180], null, v[177:178], v[177:178], 1.0
	v_rcp_f64_e32 v[181:182], v[179:180]
	v_fma_f64 v[185:186], -v[179:180], v[181:182], 1.0
	v_fma_f64 v[181:182], v[181:182], v[185:186], v[181:182]
	v_fma_f64 v[185:186], -v[179:180], v[181:182], 1.0
	v_fma_f64 v[181:182], v[181:182], v[185:186], v[181:182]
	v_div_scale_f64 v[185:186], vcc_lo, 1.0, v[177:178], 1.0
	v_mul_f64 v[187:188], v[185:186], v[181:182]
	v_fma_f64 v[179:180], -v[179:180], v[187:188], v[185:186]
	v_div_fmas_f64 v[179:180], v[179:180], v[181:182], v[187:188]
	v_div_fixup_f64 v[181:182], v[179:180], v[177:178], 1.0
	v_mul_f64 v[183:184], v[183:184], -v[181:182]
.LBB87_79:
	s_or_b32 exec_lo, exec_lo, s1
	ds_write2_b64 v255, v[181:182], v[183:184] offset1:1
.LBB87_80:
	s_or_b32 exec_lo, exec_lo, s2
	s_waitcnt lgkmcnt(0)
	s_barrier
	buffer_gl0_inv
	ds_read2_b64 v[217:220], v255 offset1:1
	s_mov_b32 s1, exec_lo
	v_cmpx_lt_u32_e32 8, v0
	s_cbranch_execz .LBB87_82
; %bb.81:
	s_waitcnt lgkmcnt(0)
	v_mul_f64 v[177:178], v[219:220], v[143:144]
	v_mul_f64 v[143:144], v[217:218], v[143:144]
	ds_read2_b64 v[179:182], v253 offset0:18 offset1:19
	v_fma_f64 v[177:178], v[217:218], v[141:142], -v[177:178]
	v_fma_f64 v[143:144], v[219:220], v[141:142], v[143:144]
	s_waitcnt lgkmcnt(0)
	v_mul_f64 v[141:142], v[181:182], v[143:144]
	v_fma_f64 v[141:142], v[179:180], v[177:178], -v[141:142]
	v_mul_f64 v[179:180], v[179:180], v[143:144]
	v_add_f64 v[229:230], v[229:230], -v[141:142]
	v_fma_f64 v[179:180], v[181:182], v[177:178], v[179:180]
	v_add_f64 v[231:232], v[231:232], -v[179:180]
	ds_read2_b64 v[179:182], v253 offset0:20 offset1:21
	s_waitcnt lgkmcnt(0)
	v_mul_f64 v[141:142], v[181:182], v[143:144]
	v_fma_f64 v[141:142], v[179:180], v[177:178], -v[141:142]
	v_mul_f64 v[179:180], v[179:180], v[143:144]
	v_add_f64 v[133:134], v[133:134], -v[141:142]
	v_fma_f64 v[179:180], v[181:182], v[177:178], v[179:180]
	v_add_f64 v[135:136], v[135:136], -v[179:180]
	ds_read2_b64 v[179:182], v253 offset0:22 offset1:23
	;; [unrolled: 8-line block ×11, first 2 shown]
	s_clause 0x3
	buffer_load_dword v49, off, s[16:19], 0 offset:128
	buffer_load_dword v50, off, s[16:19], 0 offset:132
	buffer_load_dword v51, off, s[16:19], 0 offset:136
	buffer_load_dword v52, off, s[16:19], 0 offset:140
	s_waitcnt lgkmcnt(0)
	v_mul_f64 v[141:142], v[181:182], v[143:144]
	v_fma_f64 v[141:142], v[179:180], v[177:178], -v[141:142]
	v_mul_f64 v[179:180], v[179:180], v[143:144]
	v_fma_f64 v[179:180], v[181:182], v[177:178], v[179:180]
	s_waitcnt vmcnt(2)
	v_add_f64 v[49:50], v[49:50], -v[141:142]
	s_waitcnt vmcnt(0)
	v_add_f64 v[51:52], v[51:52], -v[179:180]
	buffer_store_dword v49, off, s[16:19], 0 offset:128 ; 4-byte Folded Spill
	buffer_store_dword v50, off, s[16:19], 0 offset:132 ; 4-byte Folded Spill
	buffer_store_dword v51, off, s[16:19], 0 offset:136 ; 4-byte Folded Spill
	buffer_store_dword v52, off, s[16:19], 0 offset:140 ; 4-byte Folded Spill
	ds_read2_b64 v[179:182], v253 offset0:42 offset1:43
	s_clause 0x3
	buffer_load_dword v49, off, s[16:19], 0 offset:112
	buffer_load_dword v50, off, s[16:19], 0 offset:116
	buffer_load_dword v51, off, s[16:19], 0 offset:120
	buffer_load_dword v52, off, s[16:19], 0 offset:124
	s_waitcnt lgkmcnt(0)
	v_mul_f64 v[141:142], v[181:182], v[143:144]
	v_fma_f64 v[141:142], v[179:180], v[177:178], -v[141:142]
	v_mul_f64 v[179:180], v[179:180], v[143:144]
	v_fma_f64 v[179:180], v[181:182], v[177:178], v[179:180]
	s_waitcnt vmcnt(2)
	v_add_f64 v[49:50], v[49:50], -v[141:142]
	s_waitcnt vmcnt(0)
	v_add_f64 v[51:52], v[51:52], -v[179:180]
	buffer_store_dword v49, off, s[16:19], 0 offset:112 ; 4-byte Folded Spill
	buffer_store_dword v50, off, s[16:19], 0 offset:116 ; 4-byte Folded Spill
	buffer_store_dword v51, off, s[16:19], 0 offset:120 ; 4-byte Folded Spill
	buffer_store_dword v52, off, s[16:19], 0 offset:124 ; 4-byte Folded Spill
	ds_read2_b64 v[179:182], v253 offset0:44 offset1:45
	;; [unrolled: 19-line block ×8, first 2 shown]
	s_clause 0x3
	buffer_load_dword v49, off, s[16:19], 0
	buffer_load_dword v50, off, s[16:19], 0 offset:4
	buffer_load_dword v51, off, s[16:19], 0 offset:8
	;; [unrolled: 1-line block ×3, first 2 shown]
	s_waitcnt lgkmcnt(0)
	v_mul_f64 v[141:142], v[181:182], v[143:144]
	v_fma_f64 v[141:142], v[179:180], v[177:178], -v[141:142]
	v_mul_f64 v[179:180], v[179:180], v[143:144]
	v_fma_f64 v[179:180], v[181:182], v[177:178], v[179:180]
	s_waitcnt vmcnt(2)
	v_add_f64 v[49:50], v[49:50], -v[141:142]
	s_waitcnt vmcnt(0)
	v_add_f64 v[51:52], v[51:52], -v[179:180]
	buffer_store_dword v49, off, s[16:19], 0 ; 4-byte Folded Spill
	buffer_store_dword v50, off, s[16:19], 0 offset:4 ; 4-byte Folded Spill
	buffer_store_dword v51, off, s[16:19], 0 offset:8 ; 4-byte Folded Spill
	;; [unrolled: 1-line block ×3, first 2 shown]
	ds_read2_b64 v[179:182], v253 offset0:58 offset1:59
	s_waitcnt lgkmcnt(0)
	v_mul_f64 v[141:142], v[181:182], v[143:144]
	v_fma_f64 v[141:142], v[179:180], v[177:178], -v[141:142]
	v_mul_f64 v[179:180], v[179:180], v[143:144]
	v_add_f64 v[57:58], v[57:58], -v[141:142]
	v_fma_f64 v[179:180], v[181:182], v[177:178], v[179:180]
	v_add_f64 v[59:60], v[59:60], -v[179:180]
	ds_read2_b64 v[179:182], v253 offset0:60 offset1:61
	s_waitcnt lgkmcnt(0)
	v_mul_f64 v[141:142], v[181:182], v[143:144]
	v_fma_f64 v[141:142], v[179:180], v[177:178], -v[141:142]
	v_mul_f64 v[179:180], v[179:180], v[143:144]
	v_add_f64 v[241:242], v[241:242], -v[141:142]
	v_fma_f64 v[179:180], v[181:182], v[177:178], v[179:180]
	v_add_f64 v[243:244], v[243:244], -v[179:180]
	;; [unrolled: 8-line block ×14, first 2 shown]
	ds_read2_b64 v[179:182], v253 offset0:86 offset1:87
	s_waitcnt lgkmcnt(0)
	v_mul_f64 v[141:142], v[181:182], v[143:144]
	v_fma_f64 v[141:142], v[179:180], v[177:178], -v[141:142]
	v_mul_f64 v[179:180], v[179:180], v[143:144]
	v_add_f64 v[1:2], v[1:2], -v[141:142]
	v_fma_f64 v[179:180], v[181:182], v[177:178], v[179:180]
	v_mov_b32_e32 v141, v177
	v_mov_b32_e32 v142, v178
	v_add_f64 v[3:4], v[3:4], -v[179:180]
.LBB87_82:
	s_or_b32 exec_lo, exec_lo, s1
	s_mov_b32 s2, exec_lo
	s_waitcnt lgkmcnt(0)
	s_waitcnt_vscnt null, 0x0
	s_barrier
	buffer_gl0_inv
	v_cmpx_eq_u32_e32 9, v0
	s_cbranch_execz .LBB87_89
; %bb.83:
	ds_write2_b64 v255, v[229:230], v[231:232] offset1:1
	ds_write2_b64 v253, v[133:134], v[135:136] offset0:20 offset1:21
	ds_write2_b64 v253, v[129:130], v[131:132] offset0:22 offset1:23
	;; [unrolled: 1-line block ×10, first 2 shown]
	s_clause 0x3
	buffer_load_dword v49, off, s[16:19], 0 offset:128
	buffer_load_dword v50, off, s[16:19], 0 offset:132
	buffer_load_dword v51, off, s[16:19], 0 offset:136
	buffer_load_dword v52, off, s[16:19], 0 offset:140
	s_waitcnt vmcnt(0)
	ds_write2_b64 v253, v[49:50], v[51:52] offset0:40 offset1:41
	s_clause 0x3
	buffer_load_dword v49, off, s[16:19], 0 offset:112
	buffer_load_dword v50, off, s[16:19], 0 offset:116
	buffer_load_dword v51, off, s[16:19], 0 offset:120
	buffer_load_dword v52, off, s[16:19], 0 offset:124
	s_waitcnt vmcnt(0)
	ds_write2_b64 v253, v[49:50], v[51:52] offset0:42 offset1:43
	;; [unrolled: 7-line block ×8, first 2 shown]
	s_clause 0x3
	buffer_load_dword v49, off, s[16:19], 0
	buffer_load_dword v50, off, s[16:19], 0 offset:4
	buffer_load_dword v51, off, s[16:19], 0 offset:8
	;; [unrolled: 1-line block ×3, first 2 shown]
	s_waitcnt vmcnt(0)
	ds_write2_b64 v253, v[49:50], v[51:52] offset0:56 offset1:57
	ds_write2_b64 v253, v[57:58], v[59:60] offset0:58 offset1:59
	;; [unrolled: 1-line block ×16, first 2 shown]
	ds_read2_b64 v[177:180], v255 offset1:1
	s_waitcnt lgkmcnt(0)
	v_cmp_neq_f64_e32 vcc_lo, 0, v[177:178]
	v_cmp_neq_f64_e64 s1, 0, v[179:180]
	s_or_b32 s1, vcc_lo, s1
	s_and_b32 exec_lo, exec_lo, s1
	s_cbranch_execz .LBB87_89
; %bb.84:
	v_cmp_ngt_f64_e64 s1, |v[177:178]|, |v[179:180]|
                                        ; implicit-def: $vgpr181_vgpr182
	s_and_saveexec_b32 s3, s1
	s_xor_b32 s1, exec_lo, s3
                                        ; implicit-def: $vgpr183_vgpr184
	s_cbranch_execz .LBB87_86
; %bb.85:
	v_div_scale_f64 v[181:182], null, v[179:180], v[179:180], v[177:178]
	v_div_scale_f64 v[187:188], vcc_lo, v[177:178], v[179:180], v[177:178]
	v_rcp_f64_e32 v[183:184], v[181:182]
	v_fma_f64 v[185:186], -v[181:182], v[183:184], 1.0
	v_fma_f64 v[183:184], v[183:184], v[185:186], v[183:184]
	v_fma_f64 v[185:186], -v[181:182], v[183:184], 1.0
	v_fma_f64 v[183:184], v[183:184], v[185:186], v[183:184]
	v_mul_f64 v[185:186], v[187:188], v[183:184]
	v_fma_f64 v[181:182], -v[181:182], v[185:186], v[187:188]
	v_div_fmas_f64 v[181:182], v[181:182], v[183:184], v[185:186]
	v_div_fixup_f64 v[181:182], v[181:182], v[179:180], v[177:178]
	v_fma_f64 v[177:178], v[177:178], v[181:182], v[179:180]
	v_div_scale_f64 v[179:180], null, v[177:178], v[177:178], 1.0
	v_rcp_f64_e32 v[183:184], v[179:180]
	v_fma_f64 v[185:186], -v[179:180], v[183:184], 1.0
	v_fma_f64 v[183:184], v[183:184], v[185:186], v[183:184]
	v_fma_f64 v[185:186], -v[179:180], v[183:184], 1.0
	v_fma_f64 v[183:184], v[183:184], v[185:186], v[183:184]
	v_div_scale_f64 v[185:186], vcc_lo, 1.0, v[177:178], 1.0
	v_mul_f64 v[187:188], v[185:186], v[183:184]
	v_fma_f64 v[179:180], -v[179:180], v[187:188], v[185:186]
	v_div_fmas_f64 v[179:180], v[179:180], v[183:184], v[187:188]
	v_div_fixup_f64 v[183:184], v[179:180], v[177:178], 1.0
                                        ; implicit-def: $vgpr177_vgpr178
	v_mul_f64 v[181:182], v[181:182], v[183:184]
	v_xor_b32_e32 v184, 0x80000000, v184
.LBB87_86:
	s_andn2_saveexec_b32 s1, s1
	s_cbranch_execz .LBB87_88
; %bb.87:
	v_div_scale_f64 v[181:182], null, v[177:178], v[177:178], v[179:180]
	v_div_scale_f64 v[187:188], vcc_lo, v[179:180], v[177:178], v[179:180]
	v_rcp_f64_e32 v[183:184], v[181:182]
	v_fma_f64 v[185:186], -v[181:182], v[183:184], 1.0
	v_fma_f64 v[183:184], v[183:184], v[185:186], v[183:184]
	v_fma_f64 v[185:186], -v[181:182], v[183:184], 1.0
	v_fma_f64 v[183:184], v[183:184], v[185:186], v[183:184]
	v_mul_f64 v[185:186], v[187:188], v[183:184]
	v_fma_f64 v[181:182], -v[181:182], v[185:186], v[187:188]
	v_div_fmas_f64 v[181:182], v[181:182], v[183:184], v[185:186]
	v_div_fixup_f64 v[183:184], v[181:182], v[177:178], v[179:180]
	v_fma_f64 v[177:178], v[179:180], v[183:184], v[177:178]
	v_div_scale_f64 v[179:180], null, v[177:178], v[177:178], 1.0
	v_rcp_f64_e32 v[181:182], v[179:180]
	v_fma_f64 v[185:186], -v[179:180], v[181:182], 1.0
	v_fma_f64 v[181:182], v[181:182], v[185:186], v[181:182]
	v_fma_f64 v[185:186], -v[179:180], v[181:182], 1.0
	v_fma_f64 v[181:182], v[181:182], v[185:186], v[181:182]
	v_div_scale_f64 v[185:186], vcc_lo, 1.0, v[177:178], 1.0
	v_mul_f64 v[187:188], v[185:186], v[181:182]
	v_fma_f64 v[179:180], -v[179:180], v[187:188], v[185:186]
	v_div_fmas_f64 v[179:180], v[179:180], v[181:182], v[187:188]
	v_div_fixup_f64 v[181:182], v[179:180], v[177:178], 1.0
	v_mul_f64 v[183:184], v[183:184], -v[181:182]
.LBB87_88:
	s_or_b32 exec_lo, exec_lo, s1
	ds_write2_b64 v255, v[181:182], v[183:184] offset1:1
.LBB87_89:
	s_or_b32 exec_lo, exec_lo, s2
	s_waitcnt lgkmcnt(0)
	s_barrier
	buffer_gl0_inv
	ds_read2_b64 v[221:224], v255 offset1:1
	s_mov_b32 s1, exec_lo
	v_cmpx_lt_u32_e32 9, v0
	s_cbranch_execz .LBB87_91
; %bb.90:
	s_waitcnt lgkmcnt(0)
	v_mul_f64 v[139:140], v[221:222], v[231:232]
	v_mul_f64 v[177:178], v[223:224], v[231:232]
	ds_read2_b64 v[179:182], v253 offset0:20 offset1:21
	v_fma_f64 v[231:232], v[223:224], v[229:230], v[139:140]
	v_fma_f64 v[177:178], v[221:222], v[229:230], -v[177:178]
	s_waitcnt lgkmcnt(0)
	v_mul_f64 v[137:138], v[181:182], v[231:232]
	v_mov_b32_e32 v230, v178
	v_mov_b32_e32 v229, v177
	v_fma_f64 v[137:138], v[179:180], v[177:178], -v[137:138]
	v_mul_f64 v[179:180], v[179:180], v[231:232]
	v_add_f64 v[133:134], v[133:134], -v[137:138]
	v_fma_f64 v[179:180], v[181:182], v[177:178], v[179:180]
	v_add_f64 v[135:136], v[135:136], -v[179:180]
	ds_read2_b64 v[179:182], v253 offset0:22 offset1:23
	s_waitcnt lgkmcnt(0)
	v_mul_f64 v[137:138], v[181:182], v[231:232]
	v_fma_f64 v[137:138], v[179:180], v[177:178], -v[137:138]
	v_mul_f64 v[179:180], v[179:180], v[231:232]
	v_add_f64 v[129:130], v[129:130], -v[137:138]
	v_fma_f64 v[179:180], v[181:182], v[177:178], v[179:180]
	v_add_f64 v[131:132], v[131:132], -v[179:180]
	ds_read2_b64 v[179:182], v253 offset0:24 offset1:25
	s_waitcnt lgkmcnt(0)
	v_mul_f64 v[137:138], v[181:182], v[231:232]
	;; [unrolled: 8-line block ×9, first 2 shown]
	v_fma_f64 v[137:138], v[179:180], v[177:178], -v[137:138]
	v_mul_f64 v[179:180], v[179:180], v[231:232]
	v_add_f64 v[97:98], v[97:98], -v[137:138]
	v_fma_f64 v[179:180], v[181:182], v[177:178], v[179:180]
	v_add_f64 v[99:100], v[99:100], -v[179:180]
	ds_read2_b64 v[179:182], v253 offset0:40 offset1:41
	s_clause 0x3
	buffer_load_dword v49, off, s[16:19], 0 offset:128
	buffer_load_dword v50, off, s[16:19], 0 offset:132
	buffer_load_dword v51, off, s[16:19], 0 offset:136
	buffer_load_dword v52, off, s[16:19], 0 offset:140
	s_waitcnt lgkmcnt(0)
	v_mul_f64 v[137:138], v[181:182], v[231:232]
	v_fma_f64 v[137:138], v[179:180], v[177:178], -v[137:138]
	v_mul_f64 v[179:180], v[179:180], v[231:232]
	v_fma_f64 v[179:180], v[181:182], v[177:178], v[179:180]
	s_waitcnt vmcnt(2)
	v_add_f64 v[49:50], v[49:50], -v[137:138]
	s_waitcnt vmcnt(0)
	v_add_f64 v[51:52], v[51:52], -v[179:180]
	buffer_store_dword v49, off, s[16:19], 0 offset:128 ; 4-byte Folded Spill
	buffer_store_dword v50, off, s[16:19], 0 offset:132 ; 4-byte Folded Spill
	buffer_store_dword v51, off, s[16:19], 0 offset:136 ; 4-byte Folded Spill
	buffer_store_dword v52, off, s[16:19], 0 offset:140 ; 4-byte Folded Spill
	ds_read2_b64 v[179:182], v253 offset0:42 offset1:43
	s_clause 0x3
	buffer_load_dword v49, off, s[16:19], 0 offset:112
	buffer_load_dword v50, off, s[16:19], 0 offset:116
	buffer_load_dword v51, off, s[16:19], 0 offset:120
	buffer_load_dword v52, off, s[16:19], 0 offset:124
	s_waitcnt lgkmcnt(0)
	v_mul_f64 v[137:138], v[181:182], v[231:232]
	v_fma_f64 v[137:138], v[179:180], v[177:178], -v[137:138]
	v_mul_f64 v[179:180], v[179:180], v[231:232]
	v_fma_f64 v[179:180], v[181:182], v[177:178], v[179:180]
	s_waitcnt vmcnt(2)
	v_add_f64 v[49:50], v[49:50], -v[137:138]
	s_waitcnt vmcnt(0)
	v_add_f64 v[51:52], v[51:52], -v[179:180]
	buffer_store_dword v49, off, s[16:19], 0 offset:112 ; 4-byte Folded Spill
	buffer_store_dword v50, off, s[16:19], 0 offset:116 ; 4-byte Folded Spill
	buffer_store_dword v51, off, s[16:19], 0 offset:120 ; 4-byte Folded Spill
	buffer_store_dword v52, off, s[16:19], 0 offset:124 ; 4-byte Folded Spill
	;; [unrolled: 19-line block ×8, first 2 shown]
	ds_read2_b64 v[179:182], v253 offset0:56 offset1:57
	s_clause 0x3
	buffer_load_dword v49, off, s[16:19], 0
	buffer_load_dword v50, off, s[16:19], 0 offset:4
	buffer_load_dword v51, off, s[16:19], 0 offset:8
	;; [unrolled: 1-line block ×3, first 2 shown]
	s_waitcnt lgkmcnt(0)
	v_mul_f64 v[137:138], v[181:182], v[231:232]
	v_fma_f64 v[137:138], v[179:180], v[177:178], -v[137:138]
	v_mul_f64 v[179:180], v[179:180], v[231:232]
	v_fma_f64 v[179:180], v[181:182], v[177:178], v[179:180]
	s_waitcnt vmcnt(2)
	v_add_f64 v[49:50], v[49:50], -v[137:138]
	s_waitcnt vmcnt(0)
	v_add_f64 v[51:52], v[51:52], -v[179:180]
	buffer_store_dword v49, off, s[16:19], 0 ; 4-byte Folded Spill
	buffer_store_dword v50, off, s[16:19], 0 offset:4 ; 4-byte Folded Spill
	buffer_store_dword v51, off, s[16:19], 0 offset:8 ; 4-byte Folded Spill
	;; [unrolled: 1-line block ×3, first 2 shown]
	ds_read2_b64 v[179:182], v253 offset0:58 offset1:59
	s_waitcnt lgkmcnt(0)
	v_mul_f64 v[137:138], v[181:182], v[231:232]
	v_fma_f64 v[137:138], v[179:180], v[177:178], -v[137:138]
	v_mul_f64 v[179:180], v[179:180], v[231:232]
	v_add_f64 v[57:58], v[57:58], -v[137:138]
	v_fma_f64 v[179:180], v[181:182], v[177:178], v[179:180]
	v_add_f64 v[59:60], v[59:60], -v[179:180]
	ds_read2_b64 v[179:182], v253 offset0:60 offset1:61
	s_waitcnt lgkmcnt(0)
	v_mul_f64 v[137:138], v[181:182], v[231:232]
	v_fma_f64 v[137:138], v[179:180], v[177:178], -v[137:138]
	v_mul_f64 v[179:180], v[179:180], v[231:232]
	v_add_f64 v[241:242], v[241:242], -v[137:138]
	v_fma_f64 v[179:180], v[181:182], v[177:178], v[179:180]
	v_add_f64 v[243:244], v[243:244], -v[179:180]
	;; [unrolled: 8-line block ×15, first 2 shown]
.LBB87_91:
	s_or_b32 exec_lo, exec_lo, s1
	s_mov_b32 s2, exec_lo
	s_waitcnt lgkmcnt(0)
	s_waitcnt_vscnt null, 0x0
	s_barrier
	buffer_gl0_inv
	v_cmpx_eq_u32_e32 10, v0
	s_cbranch_execz .LBB87_98
; %bb.92:
	ds_write2_b64 v255, v[133:134], v[135:136] offset1:1
	ds_write2_b64 v253, v[129:130], v[131:132] offset0:22 offset1:23
	ds_write2_b64 v253, v[125:126], v[127:128] offset0:24 offset1:25
	;; [unrolled: 1-line block ×9, first 2 shown]
	s_clause 0x3
	buffer_load_dword v49, off, s[16:19], 0 offset:128
	buffer_load_dword v50, off, s[16:19], 0 offset:132
	buffer_load_dword v51, off, s[16:19], 0 offset:136
	buffer_load_dword v52, off, s[16:19], 0 offset:140
	s_waitcnt vmcnt(0)
	ds_write2_b64 v253, v[49:50], v[51:52] offset0:40 offset1:41
	s_clause 0x3
	buffer_load_dword v49, off, s[16:19], 0 offset:112
	buffer_load_dword v50, off, s[16:19], 0 offset:116
	buffer_load_dword v51, off, s[16:19], 0 offset:120
	buffer_load_dword v52, off, s[16:19], 0 offset:124
	s_waitcnt vmcnt(0)
	ds_write2_b64 v253, v[49:50], v[51:52] offset0:42 offset1:43
	;; [unrolled: 7-line block ×8, first 2 shown]
	s_clause 0x3
	buffer_load_dword v49, off, s[16:19], 0
	buffer_load_dword v50, off, s[16:19], 0 offset:4
	buffer_load_dword v51, off, s[16:19], 0 offset:8
	;; [unrolled: 1-line block ×3, first 2 shown]
	s_waitcnt vmcnt(0)
	ds_write2_b64 v253, v[49:50], v[51:52] offset0:56 offset1:57
	ds_write2_b64 v253, v[57:58], v[59:60] offset0:58 offset1:59
	;; [unrolled: 1-line block ×16, first 2 shown]
	ds_read2_b64 v[177:180], v255 offset1:1
	s_waitcnt lgkmcnt(0)
	v_cmp_neq_f64_e32 vcc_lo, 0, v[177:178]
	v_cmp_neq_f64_e64 s1, 0, v[179:180]
	s_or_b32 s1, vcc_lo, s1
	s_and_b32 exec_lo, exec_lo, s1
	s_cbranch_execz .LBB87_98
; %bb.93:
	v_cmp_ngt_f64_e64 s1, |v[177:178]|, |v[179:180]|
                                        ; implicit-def: $vgpr181_vgpr182
	s_and_saveexec_b32 s3, s1
	s_xor_b32 s1, exec_lo, s3
                                        ; implicit-def: $vgpr183_vgpr184
	s_cbranch_execz .LBB87_95
; %bb.94:
	v_div_scale_f64 v[181:182], null, v[179:180], v[179:180], v[177:178]
	v_div_scale_f64 v[187:188], vcc_lo, v[177:178], v[179:180], v[177:178]
	v_rcp_f64_e32 v[183:184], v[181:182]
	v_fma_f64 v[185:186], -v[181:182], v[183:184], 1.0
	v_fma_f64 v[183:184], v[183:184], v[185:186], v[183:184]
	v_fma_f64 v[185:186], -v[181:182], v[183:184], 1.0
	v_fma_f64 v[183:184], v[183:184], v[185:186], v[183:184]
	v_mul_f64 v[185:186], v[187:188], v[183:184]
	v_fma_f64 v[181:182], -v[181:182], v[185:186], v[187:188]
	v_div_fmas_f64 v[181:182], v[181:182], v[183:184], v[185:186]
	v_div_fixup_f64 v[181:182], v[181:182], v[179:180], v[177:178]
	v_fma_f64 v[177:178], v[177:178], v[181:182], v[179:180]
	v_div_scale_f64 v[179:180], null, v[177:178], v[177:178], 1.0
	v_rcp_f64_e32 v[183:184], v[179:180]
	v_fma_f64 v[185:186], -v[179:180], v[183:184], 1.0
	v_fma_f64 v[183:184], v[183:184], v[185:186], v[183:184]
	v_fma_f64 v[185:186], -v[179:180], v[183:184], 1.0
	v_fma_f64 v[183:184], v[183:184], v[185:186], v[183:184]
	v_div_scale_f64 v[185:186], vcc_lo, 1.0, v[177:178], 1.0
	v_mul_f64 v[187:188], v[185:186], v[183:184]
	v_fma_f64 v[179:180], -v[179:180], v[187:188], v[185:186]
	v_div_fmas_f64 v[179:180], v[179:180], v[183:184], v[187:188]
	v_div_fixup_f64 v[183:184], v[179:180], v[177:178], 1.0
                                        ; implicit-def: $vgpr177_vgpr178
	v_mul_f64 v[181:182], v[181:182], v[183:184]
	v_xor_b32_e32 v184, 0x80000000, v184
.LBB87_95:
	s_andn2_saveexec_b32 s1, s1
	s_cbranch_execz .LBB87_97
; %bb.96:
	v_div_scale_f64 v[181:182], null, v[177:178], v[177:178], v[179:180]
	v_div_scale_f64 v[187:188], vcc_lo, v[179:180], v[177:178], v[179:180]
	v_rcp_f64_e32 v[183:184], v[181:182]
	v_fma_f64 v[185:186], -v[181:182], v[183:184], 1.0
	v_fma_f64 v[183:184], v[183:184], v[185:186], v[183:184]
	v_fma_f64 v[185:186], -v[181:182], v[183:184], 1.0
	v_fma_f64 v[183:184], v[183:184], v[185:186], v[183:184]
	v_mul_f64 v[185:186], v[187:188], v[183:184]
	v_fma_f64 v[181:182], -v[181:182], v[185:186], v[187:188]
	v_div_fmas_f64 v[181:182], v[181:182], v[183:184], v[185:186]
	v_div_fixup_f64 v[183:184], v[181:182], v[177:178], v[179:180]
	v_fma_f64 v[177:178], v[179:180], v[183:184], v[177:178]
	v_div_scale_f64 v[179:180], null, v[177:178], v[177:178], 1.0
	v_rcp_f64_e32 v[181:182], v[179:180]
	v_fma_f64 v[185:186], -v[179:180], v[181:182], 1.0
	v_fma_f64 v[181:182], v[181:182], v[185:186], v[181:182]
	v_fma_f64 v[185:186], -v[179:180], v[181:182], 1.0
	v_fma_f64 v[181:182], v[181:182], v[185:186], v[181:182]
	v_div_scale_f64 v[185:186], vcc_lo, 1.0, v[177:178], 1.0
	v_mul_f64 v[187:188], v[185:186], v[181:182]
	v_fma_f64 v[179:180], -v[179:180], v[187:188], v[185:186]
	v_div_fmas_f64 v[179:180], v[179:180], v[181:182], v[187:188]
	v_div_fixup_f64 v[181:182], v[179:180], v[177:178], 1.0
	v_mul_f64 v[183:184], v[183:184], -v[181:182]
.LBB87_97:
	s_or_b32 exec_lo, exec_lo, s1
	ds_write2_b64 v255, v[181:182], v[183:184] offset1:1
.LBB87_98:
	s_or_b32 exec_lo, exec_lo, s2
	s_waitcnt lgkmcnt(0)
	s_barrier
	buffer_gl0_inv
	ds_read2_b64 v[169:172], v255 offset1:1
	s_mov_b32 s1, exec_lo
	s_waitcnt lgkmcnt(0)
	buffer_store_dword v169, off, s[16:19], 0 offset:600 ; 4-byte Folded Spill
	buffer_store_dword v170, off, s[16:19], 0 offset:604 ; 4-byte Folded Spill
	buffer_store_dword v171, off, s[16:19], 0 offset:608 ; 4-byte Folded Spill
	buffer_store_dword v172, off, s[16:19], 0 offset:612 ; 4-byte Folded Spill
	v_cmpx_lt_u32_e32 10, v0
	s_cbranch_execz .LBB87_100
; %bb.99:
	s_clause 0x3
	buffer_load_dword v169, off, s[16:19], 0 offset:600
	buffer_load_dword v170, off, s[16:19], 0 offset:604
	;; [unrolled: 1-line block ×4, first 2 shown]
	ds_read2_b64 v[179:182], v253 offset0:22 offset1:23
	s_waitcnt vmcnt(0)
	v_mul_f64 v[177:178], v[171:172], v[135:136]
	v_mul_f64 v[135:136], v[169:170], v[135:136]
	v_fma_f64 v[177:178], v[169:170], v[133:134], -v[177:178]
	v_fma_f64 v[135:136], v[171:172], v[133:134], v[135:136]
	s_waitcnt lgkmcnt(0)
	v_mul_f64 v[133:134], v[181:182], v[135:136]
	v_fma_f64 v[133:134], v[179:180], v[177:178], -v[133:134]
	v_mul_f64 v[179:180], v[179:180], v[135:136]
	v_add_f64 v[129:130], v[129:130], -v[133:134]
	v_fma_f64 v[179:180], v[181:182], v[177:178], v[179:180]
	v_add_f64 v[131:132], v[131:132], -v[179:180]
	ds_read2_b64 v[179:182], v253 offset0:24 offset1:25
	s_waitcnt lgkmcnt(0)
	v_mul_f64 v[133:134], v[181:182], v[135:136]
	v_fma_f64 v[133:134], v[179:180], v[177:178], -v[133:134]
	v_mul_f64 v[179:180], v[179:180], v[135:136]
	v_add_f64 v[125:126], v[125:126], -v[133:134]
	v_fma_f64 v[179:180], v[181:182], v[177:178], v[179:180]
	v_add_f64 v[127:128], v[127:128], -v[179:180]
	ds_read2_b64 v[179:182], v253 offset0:26 offset1:27
	;; [unrolled: 8-line block ×9, first 2 shown]
	s_clause 0x3
	buffer_load_dword v49, off, s[16:19], 0 offset:128
	buffer_load_dword v50, off, s[16:19], 0 offset:132
	buffer_load_dword v51, off, s[16:19], 0 offset:136
	buffer_load_dword v52, off, s[16:19], 0 offset:140
	s_waitcnt lgkmcnt(0)
	v_mul_f64 v[133:134], v[181:182], v[135:136]
	v_fma_f64 v[133:134], v[179:180], v[177:178], -v[133:134]
	v_mul_f64 v[179:180], v[179:180], v[135:136]
	v_fma_f64 v[179:180], v[181:182], v[177:178], v[179:180]
	s_waitcnt vmcnt(2)
	v_add_f64 v[49:50], v[49:50], -v[133:134]
	s_waitcnt vmcnt(0)
	v_add_f64 v[51:52], v[51:52], -v[179:180]
	buffer_store_dword v49, off, s[16:19], 0 offset:128 ; 4-byte Folded Spill
	buffer_store_dword v50, off, s[16:19], 0 offset:132 ; 4-byte Folded Spill
	buffer_store_dword v51, off, s[16:19], 0 offset:136 ; 4-byte Folded Spill
	buffer_store_dword v52, off, s[16:19], 0 offset:140 ; 4-byte Folded Spill
	ds_read2_b64 v[179:182], v253 offset0:42 offset1:43
	s_clause 0x3
	buffer_load_dword v49, off, s[16:19], 0 offset:112
	buffer_load_dword v50, off, s[16:19], 0 offset:116
	buffer_load_dword v51, off, s[16:19], 0 offset:120
	buffer_load_dword v52, off, s[16:19], 0 offset:124
	s_waitcnt lgkmcnt(0)
	v_mul_f64 v[133:134], v[181:182], v[135:136]
	v_fma_f64 v[133:134], v[179:180], v[177:178], -v[133:134]
	v_mul_f64 v[179:180], v[179:180], v[135:136]
	v_fma_f64 v[179:180], v[181:182], v[177:178], v[179:180]
	s_waitcnt vmcnt(2)
	v_add_f64 v[49:50], v[49:50], -v[133:134]
	s_waitcnt vmcnt(0)
	v_add_f64 v[51:52], v[51:52], -v[179:180]
	buffer_store_dword v49, off, s[16:19], 0 offset:112 ; 4-byte Folded Spill
	buffer_store_dword v50, off, s[16:19], 0 offset:116 ; 4-byte Folded Spill
	buffer_store_dword v51, off, s[16:19], 0 offset:120 ; 4-byte Folded Spill
	buffer_store_dword v52, off, s[16:19], 0 offset:124 ; 4-byte Folded Spill
	ds_read2_b64 v[179:182], v253 offset0:44 offset1:45
	;; [unrolled: 19-line block ×8, first 2 shown]
	s_clause 0x3
	buffer_load_dword v49, off, s[16:19], 0
	buffer_load_dword v50, off, s[16:19], 0 offset:4
	buffer_load_dword v51, off, s[16:19], 0 offset:8
	;; [unrolled: 1-line block ×3, first 2 shown]
	s_waitcnt lgkmcnt(0)
	v_mul_f64 v[133:134], v[181:182], v[135:136]
	v_fma_f64 v[133:134], v[179:180], v[177:178], -v[133:134]
	v_mul_f64 v[179:180], v[179:180], v[135:136]
	v_fma_f64 v[179:180], v[181:182], v[177:178], v[179:180]
	s_waitcnt vmcnt(2)
	v_add_f64 v[49:50], v[49:50], -v[133:134]
	s_waitcnt vmcnt(0)
	v_add_f64 v[51:52], v[51:52], -v[179:180]
	buffer_store_dword v49, off, s[16:19], 0 ; 4-byte Folded Spill
	buffer_store_dword v50, off, s[16:19], 0 offset:4 ; 4-byte Folded Spill
	buffer_store_dword v51, off, s[16:19], 0 offset:8 ; 4-byte Folded Spill
	;; [unrolled: 1-line block ×3, first 2 shown]
	ds_read2_b64 v[179:182], v253 offset0:58 offset1:59
	s_waitcnt lgkmcnt(0)
	v_mul_f64 v[133:134], v[181:182], v[135:136]
	v_fma_f64 v[133:134], v[179:180], v[177:178], -v[133:134]
	v_mul_f64 v[179:180], v[179:180], v[135:136]
	v_add_f64 v[57:58], v[57:58], -v[133:134]
	v_fma_f64 v[179:180], v[181:182], v[177:178], v[179:180]
	v_add_f64 v[59:60], v[59:60], -v[179:180]
	ds_read2_b64 v[179:182], v253 offset0:60 offset1:61
	s_waitcnt lgkmcnt(0)
	v_mul_f64 v[133:134], v[181:182], v[135:136]
	v_fma_f64 v[133:134], v[179:180], v[177:178], -v[133:134]
	v_mul_f64 v[179:180], v[179:180], v[135:136]
	v_add_f64 v[241:242], v[241:242], -v[133:134]
	v_fma_f64 v[179:180], v[181:182], v[177:178], v[179:180]
	v_add_f64 v[243:244], v[243:244], -v[179:180]
	ds_read2_b64 v[179:182], v253 offset0:62 offset1:63
	s_waitcnt lgkmcnt(0)
	v_mul_f64 v[133:134], v[181:182], v[135:136]
	v_fma_f64 v[133:134], v[179:180], v[177:178], -v[133:134]
	v_mul_f64 v[179:180], v[179:180], v[135:136]
	v_add_f64 v[205:206], v[205:206], -v[133:134]
	v_fma_f64 v[179:180], v[181:182], v[177:178], v[179:180]
	v_add_f64 v[207:208], v[207:208], -v[179:180]
	ds_read2_b64 v[179:182], v253 offset0:64 offset1:65
	s_waitcnt lgkmcnt(0)
	v_mul_f64 v[133:134], v[181:182], v[135:136]
	v_fma_f64 v[133:134], v[179:180], v[177:178], -v[133:134]
	v_mul_f64 v[179:180], v[179:180], v[135:136]
	v_add_f64 v[45:46], v[45:46], -v[133:134]
	v_fma_f64 v[179:180], v[181:182], v[177:178], v[179:180]
	v_add_f64 v[47:48], v[47:48], -v[179:180]
	ds_read2_b64 v[179:182], v253 offset0:66 offset1:67
	s_waitcnt lgkmcnt(0)
	v_mul_f64 v[133:134], v[181:182], v[135:136]
	v_fma_f64 v[133:134], v[179:180], v[177:178], -v[133:134]
	v_mul_f64 v[179:180], v[179:180], v[135:136]
	v_add_f64 v[41:42], v[41:42], -v[133:134]
	v_fma_f64 v[179:180], v[181:182], v[177:178], v[179:180]
	v_add_f64 v[43:44], v[43:44], -v[179:180]
	ds_read2_b64 v[179:182], v253 offset0:68 offset1:69
	s_waitcnt lgkmcnt(0)
	v_mul_f64 v[133:134], v[181:182], v[135:136]
	v_fma_f64 v[133:134], v[179:180], v[177:178], -v[133:134]
	v_mul_f64 v[179:180], v[179:180], v[135:136]
	v_add_f64 v[37:38], v[37:38], -v[133:134]
	v_fma_f64 v[179:180], v[181:182], v[177:178], v[179:180]
	v_add_f64 v[39:40], v[39:40], -v[179:180]
	ds_read2_b64 v[179:182], v253 offset0:70 offset1:71
	s_waitcnt lgkmcnt(0)
	v_mul_f64 v[133:134], v[181:182], v[135:136]
	v_fma_f64 v[133:134], v[179:180], v[177:178], -v[133:134]
	v_mul_f64 v[179:180], v[179:180], v[135:136]
	v_add_f64 v[33:34], v[33:34], -v[133:134]
	v_fma_f64 v[179:180], v[181:182], v[177:178], v[179:180]
	v_add_f64 v[35:36], v[35:36], -v[179:180]
	ds_read2_b64 v[179:182], v253 offset0:72 offset1:73
	s_waitcnt lgkmcnt(0)
	v_mul_f64 v[133:134], v[181:182], v[135:136]
	v_fma_f64 v[133:134], v[179:180], v[177:178], -v[133:134]
	v_mul_f64 v[179:180], v[179:180], v[135:136]
	v_add_f64 v[29:30], v[29:30], -v[133:134]
	v_fma_f64 v[179:180], v[181:182], v[177:178], v[179:180]
	v_add_f64 v[31:32], v[31:32], -v[179:180]
	ds_read2_b64 v[179:182], v253 offset0:74 offset1:75
	s_waitcnt lgkmcnt(0)
	v_mul_f64 v[133:134], v[181:182], v[135:136]
	v_fma_f64 v[133:134], v[179:180], v[177:178], -v[133:134]
	v_mul_f64 v[179:180], v[179:180], v[135:136]
	v_add_f64 v[25:26], v[25:26], -v[133:134]
	v_fma_f64 v[179:180], v[181:182], v[177:178], v[179:180]
	v_add_f64 v[27:28], v[27:28], -v[179:180]
	ds_read2_b64 v[179:182], v253 offset0:76 offset1:77
	s_waitcnt lgkmcnt(0)
	v_mul_f64 v[133:134], v[181:182], v[135:136]
	v_fma_f64 v[133:134], v[179:180], v[177:178], -v[133:134]
	v_mul_f64 v[179:180], v[179:180], v[135:136]
	v_add_f64 v[21:22], v[21:22], -v[133:134]
	v_fma_f64 v[179:180], v[181:182], v[177:178], v[179:180]
	v_add_f64 v[23:24], v[23:24], -v[179:180]
	ds_read2_b64 v[179:182], v253 offset0:78 offset1:79
	s_waitcnt lgkmcnt(0)
	v_mul_f64 v[133:134], v[181:182], v[135:136]
	v_fma_f64 v[133:134], v[179:180], v[177:178], -v[133:134]
	v_mul_f64 v[179:180], v[179:180], v[135:136]
	v_add_f64 v[17:18], v[17:18], -v[133:134]
	v_fma_f64 v[179:180], v[181:182], v[177:178], v[179:180]
	v_add_f64 v[19:20], v[19:20], -v[179:180]
	ds_read2_b64 v[179:182], v253 offset0:80 offset1:81
	s_waitcnt lgkmcnt(0)
	v_mul_f64 v[133:134], v[181:182], v[135:136]
	v_fma_f64 v[133:134], v[179:180], v[177:178], -v[133:134]
	v_mul_f64 v[179:180], v[179:180], v[135:136]
	v_add_f64 v[13:14], v[13:14], -v[133:134]
	v_fma_f64 v[179:180], v[181:182], v[177:178], v[179:180]
	v_add_f64 v[15:16], v[15:16], -v[179:180]
	ds_read2_b64 v[179:182], v253 offset0:82 offset1:83
	s_waitcnt lgkmcnt(0)
	v_mul_f64 v[133:134], v[181:182], v[135:136]
	v_fma_f64 v[133:134], v[179:180], v[177:178], -v[133:134]
	v_mul_f64 v[179:180], v[179:180], v[135:136]
	v_add_f64 v[9:10], v[9:10], -v[133:134]
	v_fma_f64 v[179:180], v[181:182], v[177:178], v[179:180]
	v_add_f64 v[11:12], v[11:12], -v[179:180]
	ds_read2_b64 v[179:182], v253 offset0:84 offset1:85
	s_waitcnt lgkmcnt(0)
	v_mul_f64 v[133:134], v[181:182], v[135:136]
	v_fma_f64 v[133:134], v[179:180], v[177:178], -v[133:134]
	v_mul_f64 v[179:180], v[179:180], v[135:136]
	v_add_f64 v[5:6], v[5:6], -v[133:134]
	v_fma_f64 v[179:180], v[181:182], v[177:178], v[179:180]
	v_add_f64 v[7:8], v[7:8], -v[179:180]
	ds_read2_b64 v[179:182], v253 offset0:86 offset1:87
	s_waitcnt lgkmcnt(0)
	v_mul_f64 v[133:134], v[181:182], v[135:136]
	v_fma_f64 v[133:134], v[179:180], v[177:178], -v[133:134]
	v_mul_f64 v[179:180], v[179:180], v[135:136]
	v_add_f64 v[1:2], v[1:2], -v[133:134]
	v_fma_f64 v[179:180], v[181:182], v[177:178], v[179:180]
	v_mov_b32_e32 v133, v177
	v_mov_b32_e32 v134, v178
	v_add_f64 v[3:4], v[3:4], -v[179:180]
.LBB87_100:
	s_or_b32 exec_lo, exec_lo, s1
	s_mov_b32 s2, exec_lo
	s_waitcnt_vscnt null, 0x0
	s_barrier
	buffer_gl0_inv
	v_cmpx_eq_u32_e32 11, v0
	s_cbranch_execz .LBB87_107
; %bb.101:
	ds_write2_b64 v255, v[129:130], v[131:132] offset1:1
	ds_write2_b64 v253, v[125:126], v[127:128] offset0:24 offset1:25
	ds_write2_b64 v253, v[121:122], v[123:124] offset0:26 offset1:27
	;; [unrolled: 1-line block ×8, first 2 shown]
	s_clause 0x3
	buffer_load_dword v49, off, s[16:19], 0 offset:128
	buffer_load_dword v50, off, s[16:19], 0 offset:132
	buffer_load_dword v51, off, s[16:19], 0 offset:136
	buffer_load_dword v52, off, s[16:19], 0 offset:140
	s_waitcnt vmcnt(0)
	ds_write2_b64 v253, v[49:50], v[51:52] offset0:40 offset1:41
	s_clause 0x3
	buffer_load_dword v49, off, s[16:19], 0 offset:112
	buffer_load_dword v50, off, s[16:19], 0 offset:116
	buffer_load_dword v51, off, s[16:19], 0 offset:120
	buffer_load_dword v52, off, s[16:19], 0 offset:124
	s_waitcnt vmcnt(0)
	ds_write2_b64 v253, v[49:50], v[51:52] offset0:42 offset1:43
	s_clause 0x3
	buffer_load_dword v49, off, s[16:19], 0 offset:96
	buffer_load_dword v50, off, s[16:19], 0 offset:100
	buffer_load_dword v51, off, s[16:19], 0 offset:104
	buffer_load_dword v52, off, s[16:19], 0 offset:108
	s_waitcnt vmcnt(0)
	ds_write2_b64 v253, v[49:50], v[51:52] offset0:44 offset1:45
	s_clause 0x3
	buffer_load_dword v49, off, s[16:19], 0 offset:80
	buffer_load_dword v50, off, s[16:19], 0 offset:84
	buffer_load_dword v51, off, s[16:19], 0 offset:88
	buffer_load_dword v52, off, s[16:19], 0 offset:92
	s_waitcnt vmcnt(0)
	ds_write2_b64 v253, v[49:50], v[51:52] offset0:46 offset1:47
	s_clause 0x3
	buffer_load_dword v49, off, s[16:19], 0 offset:64
	buffer_load_dword v50, off, s[16:19], 0 offset:68
	buffer_load_dword v51, off, s[16:19], 0 offset:72
	buffer_load_dword v52, off, s[16:19], 0 offset:76
	s_waitcnt vmcnt(0)
	ds_write2_b64 v253, v[49:50], v[51:52] offset0:48 offset1:49
	s_clause 0x3
	buffer_load_dword v49, off, s[16:19], 0 offset:48
	buffer_load_dword v50, off, s[16:19], 0 offset:52
	buffer_load_dword v51, off, s[16:19], 0 offset:56
	buffer_load_dword v52, off, s[16:19], 0 offset:60
	s_waitcnt vmcnt(0)
	ds_write2_b64 v253, v[49:50], v[51:52] offset0:50 offset1:51
	s_clause 0x3
	buffer_load_dword v49, off, s[16:19], 0 offset:32
	buffer_load_dword v50, off, s[16:19], 0 offset:36
	buffer_load_dword v51, off, s[16:19], 0 offset:40
	buffer_load_dword v52, off, s[16:19], 0 offset:44
	s_waitcnt vmcnt(0)
	ds_write2_b64 v253, v[49:50], v[51:52] offset0:52 offset1:53
	s_clause 0x3
	buffer_load_dword v49, off, s[16:19], 0 offset:16
	buffer_load_dword v50, off, s[16:19], 0 offset:20
	buffer_load_dword v51, off, s[16:19], 0 offset:24
	buffer_load_dword v52, off, s[16:19], 0 offset:28
	s_waitcnt vmcnt(0)
	ds_write2_b64 v253, v[49:50], v[51:52] offset0:54 offset1:55
	s_clause 0x3
	buffer_load_dword v49, off, s[16:19], 0
	buffer_load_dword v50, off, s[16:19], 0 offset:4
	buffer_load_dword v51, off, s[16:19], 0 offset:8
	;; [unrolled: 1-line block ×3, first 2 shown]
	s_waitcnt vmcnt(0)
	ds_write2_b64 v253, v[49:50], v[51:52] offset0:56 offset1:57
	ds_write2_b64 v253, v[57:58], v[59:60] offset0:58 offset1:59
	;; [unrolled: 1-line block ×16, first 2 shown]
	ds_read2_b64 v[177:180], v255 offset1:1
	s_waitcnt lgkmcnt(0)
	v_cmp_neq_f64_e32 vcc_lo, 0, v[177:178]
	v_cmp_neq_f64_e64 s1, 0, v[179:180]
	s_or_b32 s1, vcc_lo, s1
	s_and_b32 exec_lo, exec_lo, s1
	s_cbranch_execz .LBB87_107
; %bb.102:
	v_cmp_ngt_f64_e64 s1, |v[177:178]|, |v[179:180]|
                                        ; implicit-def: $vgpr181_vgpr182
	s_and_saveexec_b32 s3, s1
	s_xor_b32 s1, exec_lo, s3
                                        ; implicit-def: $vgpr183_vgpr184
	s_cbranch_execz .LBB87_104
; %bb.103:
	v_div_scale_f64 v[181:182], null, v[179:180], v[179:180], v[177:178]
	v_div_scale_f64 v[187:188], vcc_lo, v[177:178], v[179:180], v[177:178]
	v_rcp_f64_e32 v[183:184], v[181:182]
	v_fma_f64 v[185:186], -v[181:182], v[183:184], 1.0
	v_fma_f64 v[183:184], v[183:184], v[185:186], v[183:184]
	v_fma_f64 v[185:186], -v[181:182], v[183:184], 1.0
	v_fma_f64 v[183:184], v[183:184], v[185:186], v[183:184]
	v_mul_f64 v[185:186], v[187:188], v[183:184]
	v_fma_f64 v[181:182], -v[181:182], v[185:186], v[187:188]
	v_div_fmas_f64 v[181:182], v[181:182], v[183:184], v[185:186]
	v_div_fixup_f64 v[181:182], v[181:182], v[179:180], v[177:178]
	v_fma_f64 v[177:178], v[177:178], v[181:182], v[179:180]
	v_div_scale_f64 v[179:180], null, v[177:178], v[177:178], 1.0
	v_rcp_f64_e32 v[183:184], v[179:180]
	v_fma_f64 v[185:186], -v[179:180], v[183:184], 1.0
	v_fma_f64 v[183:184], v[183:184], v[185:186], v[183:184]
	v_fma_f64 v[185:186], -v[179:180], v[183:184], 1.0
	v_fma_f64 v[183:184], v[183:184], v[185:186], v[183:184]
	v_div_scale_f64 v[185:186], vcc_lo, 1.0, v[177:178], 1.0
	v_mul_f64 v[187:188], v[185:186], v[183:184]
	v_fma_f64 v[179:180], -v[179:180], v[187:188], v[185:186]
	v_div_fmas_f64 v[179:180], v[179:180], v[183:184], v[187:188]
	v_div_fixup_f64 v[183:184], v[179:180], v[177:178], 1.0
                                        ; implicit-def: $vgpr177_vgpr178
	v_mul_f64 v[181:182], v[181:182], v[183:184]
	v_xor_b32_e32 v184, 0x80000000, v184
.LBB87_104:
	s_andn2_saveexec_b32 s1, s1
	s_cbranch_execz .LBB87_106
; %bb.105:
	v_div_scale_f64 v[181:182], null, v[177:178], v[177:178], v[179:180]
	v_div_scale_f64 v[187:188], vcc_lo, v[179:180], v[177:178], v[179:180]
	v_rcp_f64_e32 v[183:184], v[181:182]
	v_fma_f64 v[185:186], -v[181:182], v[183:184], 1.0
	v_fma_f64 v[183:184], v[183:184], v[185:186], v[183:184]
	v_fma_f64 v[185:186], -v[181:182], v[183:184], 1.0
	v_fma_f64 v[183:184], v[183:184], v[185:186], v[183:184]
	v_mul_f64 v[185:186], v[187:188], v[183:184]
	v_fma_f64 v[181:182], -v[181:182], v[185:186], v[187:188]
	v_div_fmas_f64 v[181:182], v[181:182], v[183:184], v[185:186]
	v_div_fixup_f64 v[183:184], v[181:182], v[177:178], v[179:180]
	v_fma_f64 v[177:178], v[179:180], v[183:184], v[177:178]
	v_div_scale_f64 v[179:180], null, v[177:178], v[177:178], 1.0
	v_rcp_f64_e32 v[181:182], v[179:180]
	v_fma_f64 v[185:186], -v[179:180], v[181:182], 1.0
	v_fma_f64 v[181:182], v[181:182], v[185:186], v[181:182]
	v_fma_f64 v[185:186], -v[179:180], v[181:182], 1.0
	v_fma_f64 v[181:182], v[181:182], v[185:186], v[181:182]
	v_div_scale_f64 v[185:186], vcc_lo, 1.0, v[177:178], 1.0
	v_mul_f64 v[187:188], v[185:186], v[181:182]
	v_fma_f64 v[179:180], -v[179:180], v[187:188], v[185:186]
	v_div_fmas_f64 v[179:180], v[179:180], v[181:182], v[187:188]
	v_div_fixup_f64 v[181:182], v[179:180], v[177:178], 1.0
	v_mul_f64 v[183:184], v[183:184], -v[181:182]
.LBB87_106:
	s_or_b32 exec_lo, exec_lo, s1
	ds_write2_b64 v255, v[181:182], v[183:184] offset1:1
.LBB87_107:
	s_or_b32 exec_lo, exec_lo, s2
	s_waitcnt lgkmcnt(0)
	s_barrier
	buffer_gl0_inv
	ds_read2_b64 v[169:172], v255 offset1:1
	s_mov_b32 s1, exec_lo
	s_waitcnt lgkmcnt(0)
	buffer_store_dword v169, off, s[16:19], 0 offset:624 ; 4-byte Folded Spill
	buffer_store_dword v170, off, s[16:19], 0 offset:628 ; 4-byte Folded Spill
	;; [unrolled: 1-line block ×4, first 2 shown]
	v_cmpx_lt_u32_e32 11, v0
	s_cbranch_execz .LBB87_109
; %bb.108:
	s_clause 0x3
	buffer_load_dword v169, off, s[16:19], 0 offset:624
	buffer_load_dword v170, off, s[16:19], 0 offset:628
	;; [unrolled: 1-line block ×4, first 2 shown]
	ds_read2_b64 v[179:182], v253 offset0:24 offset1:25
	s_waitcnt vmcnt(0)
	v_mul_f64 v[177:178], v[171:172], v[131:132]
	v_mul_f64 v[131:132], v[169:170], v[131:132]
	v_fma_f64 v[177:178], v[169:170], v[129:130], -v[177:178]
	v_fma_f64 v[131:132], v[171:172], v[129:130], v[131:132]
	s_waitcnt lgkmcnt(0)
	v_mul_f64 v[129:130], v[181:182], v[131:132]
	v_fma_f64 v[129:130], v[179:180], v[177:178], -v[129:130]
	v_mul_f64 v[179:180], v[179:180], v[131:132]
	v_add_f64 v[125:126], v[125:126], -v[129:130]
	v_fma_f64 v[179:180], v[181:182], v[177:178], v[179:180]
	v_add_f64 v[127:128], v[127:128], -v[179:180]
	ds_read2_b64 v[179:182], v253 offset0:26 offset1:27
	s_waitcnt lgkmcnt(0)
	v_mul_f64 v[129:130], v[181:182], v[131:132]
	v_fma_f64 v[129:130], v[179:180], v[177:178], -v[129:130]
	v_mul_f64 v[179:180], v[179:180], v[131:132]
	v_add_f64 v[121:122], v[121:122], -v[129:130]
	v_fma_f64 v[179:180], v[181:182], v[177:178], v[179:180]
	v_add_f64 v[123:124], v[123:124], -v[179:180]
	ds_read2_b64 v[179:182], v253 offset0:28 offset1:29
	s_waitcnt lgkmcnt(0)
	v_mul_f64 v[129:130], v[181:182], v[131:132]
	v_fma_f64 v[129:130], v[179:180], v[177:178], -v[129:130]
	v_mul_f64 v[179:180], v[179:180], v[131:132]
	v_add_f64 v[117:118], v[117:118], -v[129:130]
	v_fma_f64 v[179:180], v[181:182], v[177:178], v[179:180]
	v_add_f64 v[119:120], v[119:120], -v[179:180]
	ds_read2_b64 v[179:182], v253 offset0:30 offset1:31
	s_waitcnt lgkmcnt(0)
	v_mul_f64 v[129:130], v[181:182], v[131:132]
	v_fma_f64 v[129:130], v[179:180], v[177:178], -v[129:130]
	v_mul_f64 v[179:180], v[179:180], v[131:132]
	v_add_f64 v[113:114], v[113:114], -v[129:130]
	v_fma_f64 v[179:180], v[181:182], v[177:178], v[179:180]
	v_add_f64 v[115:116], v[115:116], -v[179:180]
	ds_read2_b64 v[179:182], v253 offset0:32 offset1:33
	s_waitcnt lgkmcnt(0)
	v_mul_f64 v[129:130], v[181:182], v[131:132]
	v_fma_f64 v[129:130], v[179:180], v[177:178], -v[129:130]
	v_mul_f64 v[179:180], v[179:180], v[131:132]
	v_add_f64 v[109:110], v[109:110], -v[129:130]
	v_fma_f64 v[179:180], v[181:182], v[177:178], v[179:180]
	v_add_f64 v[111:112], v[111:112], -v[179:180]
	ds_read2_b64 v[179:182], v253 offset0:34 offset1:35
	s_waitcnt lgkmcnt(0)
	v_mul_f64 v[129:130], v[181:182], v[131:132]
	v_fma_f64 v[129:130], v[179:180], v[177:178], -v[129:130]
	v_mul_f64 v[179:180], v[179:180], v[131:132]
	v_add_f64 v[105:106], v[105:106], -v[129:130]
	v_fma_f64 v[179:180], v[181:182], v[177:178], v[179:180]
	v_add_f64 v[107:108], v[107:108], -v[179:180]
	ds_read2_b64 v[179:182], v253 offset0:36 offset1:37
	s_waitcnt lgkmcnt(0)
	v_mul_f64 v[129:130], v[181:182], v[131:132]
	v_fma_f64 v[129:130], v[179:180], v[177:178], -v[129:130]
	v_mul_f64 v[179:180], v[179:180], v[131:132]
	v_add_f64 v[101:102], v[101:102], -v[129:130]
	v_fma_f64 v[179:180], v[181:182], v[177:178], v[179:180]
	v_add_f64 v[103:104], v[103:104], -v[179:180]
	ds_read2_b64 v[179:182], v253 offset0:38 offset1:39
	s_waitcnt lgkmcnt(0)
	v_mul_f64 v[129:130], v[181:182], v[131:132]
	v_fma_f64 v[129:130], v[179:180], v[177:178], -v[129:130]
	v_mul_f64 v[179:180], v[179:180], v[131:132]
	v_add_f64 v[97:98], v[97:98], -v[129:130]
	v_fma_f64 v[179:180], v[181:182], v[177:178], v[179:180]
	v_add_f64 v[99:100], v[99:100], -v[179:180]
	ds_read2_b64 v[179:182], v253 offset0:40 offset1:41
	s_clause 0x3
	buffer_load_dword v49, off, s[16:19], 0 offset:128
	buffer_load_dword v50, off, s[16:19], 0 offset:132
	buffer_load_dword v51, off, s[16:19], 0 offset:136
	buffer_load_dword v52, off, s[16:19], 0 offset:140
	s_waitcnt lgkmcnt(0)
	v_mul_f64 v[129:130], v[181:182], v[131:132]
	v_fma_f64 v[129:130], v[179:180], v[177:178], -v[129:130]
	v_mul_f64 v[179:180], v[179:180], v[131:132]
	v_fma_f64 v[179:180], v[181:182], v[177:178], v[179:180]
	s_waitcnt vmcnt(2)
	v_add_f64 v[49:50], v[49:50], -v[129:130]
	s_waitcnt vmcnt(0)
	v_add_f64 v[51:52], v[51:52], -v[179:180]
	buffer_store_dword v49, off, s[16:19], 0 offset:128 ; 4-byte Folded Spill
	buffer_store_dword v50, off, s[16:19], 0 offset:132 ; 4-byte Folded Spill
	buffer_store_dword v51, off, s[16:19], 0 offset:136 ; 4-byte Folded Spill
	buffer_store_dword v52, off, s[16:19], 0 offset:140 ; 4-byte Folded Spill
	ds_read2_b64 v[179:182], v253 offset0:42 offset1:43
	s_clause 0x3
	buffer_load_dword v49, off, s[16:19], 0 offset:112
	buffer_load_dword v50, off, s[16:19], 0 offset:116
	buffer_load_dword v51, off, s[16:19], 0 offset:120
	buffer_load_dword v52, off, s[16:19], 0 offset:124
	s_waitcnt lgkmcnt(0)
	v_mul_f64 v[129:130], v[181:182], v[131:132]
	v_fma_f64 v[129:130], v[179:180], v[177:178], -v[129:130]
	v_mul_f64 v[179:180], v[179:180], v[131:132]
	v_fma_f64 v[179:180], v[181:182], v[177:178], v[179:180]
	s_waitcnt vmcnt(2)
	v_add_f64 v[49:50], v[49:50], -v[129:130]
	s_waitcnt vmcnt(0)
	v_add_f64 v[51:52], v[51:52], -v[179:180]
	buffer_store_dword v49, off, s[16:19], 0 offset:112 ; 4-byte Folded Spill
	buffer_store_dword v50, off, s[16:19], 0 offset:116 ; 4-byte Folded Spill
	buffer_store_dword v51, off, s[16:19], 0 offset:120 ; 4-byte Folded Spill
	buffer_store_dword v52, off, s[16:19], 0 offset:124 ; 4-byte Folded Spill
	ds_read2_b64 v[179:182], v253 offset0:44 offset1:45
	;; [unrolled: 19-line block ×8, first 2 shown]
	s_clause 0x3
	buffer_load_dword v49, off, s[16:19], 0
	buffer_load_dword v50, off, s[16:19], 0 offset:4
	buffer_load_dword v51, off, s[16:19], 0 offset:8
	;; [unrolled: 1-line block ×3, first 2 shown]
	s_waitcnt lgkmcnt(0)
	v_mul_f64 v[129:130], v[181:182], v[131:132]
	v_fma_f64 v[129:130], v[179:180], v[177:178], -v[129:130]
	v_mul_f64 v[179:180], v[179:180], v[131:132]
	v_fma_f64 v[179:180], v[181:182], v[177:178], v[179:180]
	s_waitcnt vmcnt(2)
	v_add_f64 v[49:50], v[49:50], -v[129:130]
	s_waitcnt vmcnt(0)
	v_add_f64 v[51:52], v[51:52], -v[179:180]
	buffer_store_dword v49, off, s[16:19], 0 ; 4-byte Folded Spill
	buffer_store_dword v50, off, s[16:19], 0 offset:4 ; 4-byte Folded Spill
	buffer_store_dword v51, off, s[16:19], 0 offset:8 ; 4-byte Folded Spill
	;; [unrolled: 1-line block ×3, first 2 shown]
	ds_read2_b64 v[179:182], v253 offset0:58 offset1:59
	s_waitcnt lgkmcnt(0)
	v_mul_f64 v[129:130], v[181:182], v[131:132]
	v_fma_f64 v[129:130], v[179:180], v[177:178], -v[129:130]
	v_mul_f64 v[179:180], v[179:180], v[131:132]
	v_add_f64 v[57:58], v[57:58], -v[129:130]
	v_fma_f64 v[179:180], v[181:182], v[177:178], v[179:180]
	v_add_f64 v[59:60], v[59:60], -v[179:180]
	ds_read2_b64 v[179:182], v253 offset0:60 offset1:61
	s_waitcnt lgkmcnt(0)
	v_mul_f64 v[129:130], v[181:182], v[131:132]
	v_fma_f64 v[129:130], v[179:180], v[177:178], -v[129:130]
	v_mul_f64 v[179:180], v[179:180], v[131:132]
	v_add_f64 v[241:242], v[241:242], -v[129:130]
	v_fma_f64 v[179:180], v[181:182], v[177:178], v[179:180]
	v_add_f64 v[243:244], v[243:244], -v[179:180]
	;; [unrolled: 8-line block ×14, first 2 shown]
	ds_read2_b64 v[179:182], v253 offset0:86 offset1:87
	s_waitcnt lgkmcnt(0)
	v_mul_f64 v[129:130], v[181:182], v[131:132]
	v_fma_f64 v[129:130], v[179:180], v[177:178], -v[129:130]
	v_mul_f64 v[179:180], v[179:180], v[131:132]
	v_add_f64 v[1:2], v[1:2], -v[129:130]
	v_fma_f64 v[179:180], v[181:182], v[177:178], v[179:180]
	v_mov_b32_e32 v129, v177
	v_mov_b32_e32 v130, v178
	v_add_f64 v[3:4], v[3:4], -v[179:180]
.LBB87_109:
	s_or_b32 exec_lo, exec_lo, s1
	s_mov_b32 s2, exec_lo
	s_waitcnt_vscnt null, 0x0
	s_barrier
	buffer_gl0_inv
	v_cmpx_eq_u32_e32 12, v0
	s_cbranch_execz .LBB87_116
; %bb.110:
	ds_write2_b64 v255, v[125:126], v[127:128] offset1:1
	ds_write2_b64 v253, v[121:122], v[123:124] offset0:26 offset1:27
	ds_write2_b64 v253, v[117:118], v[119:120] offset0:28 offset1:29
	;; [unrolled: 1-line block ×7, first 2 shown]
	s_clause 0x3
	buffer_load_dword v49, off, s[16:19], 0 offset:128
	buffer_load_dword v50, off, s[16:19], 0 offset:132
	buffer_load_dword v51, off, s[16:19], 0 offset:136
	buffer_load_dword v52, off, s[16:19], 0 offset:140
	s_waitcnt vmcnt(0)
	ds_write2_b64 v253, v[49:50], v[51:52] offset0:40 offset1:41
	s_clause 0x3
	buffer_load_dword v49, off, s[16:19], 0 offset:112
	buffer_load_dword v50, off, s[16:19], 0 offset:116
	buffer_load_dword v51, off, s[16:19], 0 offset:120
	buffer_load_dword v52, off, s[16:19], 0 offset:124
	s_waitcnt vmcnt(0)
	ds_write2_b64 v253, v[49:50], v[51:52] offset0:42 offset1:43
	s_clause 0x3
	buffer_load_dword v49, off, s[16:19], 0 offset:96
	buffer_load_dword v50, off, s[16:19], 0 offset:100
	buffer_load_dword v51, off, s[16:19], 0 offset:104
	buffer_load_dword v52, off, s[16:19], 0 offset:108
	s_waitcnt vmcnt(0)
	ds_write2_b64 v253, v[49:50], v[51:52] offset0:44 offset1:45
	s_clause 0x3
	buffer_load_dword v49, off, s[16:19], 0 offset:80
	buffer_load_dword v50, off, s[16:19], 0 offset:84
	buffer_load_dword v51, off, s[16:19], 0 offset:88
	buffer_load_dword v52, off, s[16:19], 0 offset:92
	s_waitcnt vmcnt(0)
	ds_write2_b64 v253, v[49:50], v[51:52] offset0:46 offset1:47
	s_clause 0x3
	buffer_load_dword v49, off, s[16:19], 0 offset:64
	buffer_load_dword v50, off, s[16:19], 0 offset:68
	buffer_load_dword v51, off, s[16:19], 0 offset:72
	buffer_load_dword v52, off, s[16:19], 0 offset:76
	s_waitcnt vmcnt(0)
	ds_write2_b64 v253, v[49:50], v[51:52] offset0:48 offset1:49
	s_clause 0x3
	buffer_load_dword v49, off, s[16:19], 0 offset:48
	buffer_load_dword v50, off, s[16:19], 0 offset:52
	buffer_load_dword v51, off, s[16:19], 0 offset:56
	buffer_load_dword v52, off, s[16:19], 0 offset:60
	s_waitcnt vmcnt(0)
	ds_write2_b64 v253, v[49:50], v[51:52] offset0:50 offset1:51
	s_clause 0x3
	buffer_load_dword v49, off, s[16:19], 0 offset:32
	buffer_load_dword v50, off, s[16:19], 0 offset:36
	buffer_load_dword v51, off, s[16:19], 0 offset:40
	buffer_load_dword v52, off, s[16:19], 0 offset:44
	s_waitcnt vmcnt(0)
	ds_write2_b64 v253, v[49:50], v[51:52] offset0:52 offset1:53
	s_clause 0x3
	buffer_load_dword v49, off, s[16:19], 0 offset:16
	buffer_load_dword v50, off, s[16:19], 0 offset:20
	buffer_load_dword v51, off, s[16:19], 0 offset:24
	buffer_load_dword v52, off, s[16:19], 0 offset:28
	s_waitcnt vmcnt(0)
	ds_write2_b64 v253, v[49:50], v[51:52] offset0:54 offset1:55
	s_clause 0x3
	buffer_load_dword v49, off, s[16:19], 0
	buffer_load_dword v50, off, s[16:19], 0 offset:4
	buffer_load_dword v51, off, s[16:19], 0 offset:8
	buffer_load_dword v52, off, s[16:19], 0 offset:12
	s_waitcnt vmcnt(0)
	ds_write2_b64 v253, v[49:50], v[51:52] offset0:56 offset1:57
	ds_write2_b64 v253, v[57:58], v[59:60] offset0:58 offset1:59
	;; [unrolled: 1-line block ×16, first 2 shown]
	ds_read2_b64 v[177:180], v255 offset1:1
	s_waitcnt lgkmcnt(0)
	v_cmp_neq_f64_e32 vcc_lo, 0, v[177:178]
	v_cmp_neq_f64_e64 s1, 0, v[179:180]
	s_or_b32 s1, vcc_lo, s1
	s_and_b32 exec_lo, exec_lo, s1
	s_cbranch_execz .LBB87_116
; %bb.111:
	v_cmp_ngt_f64_e64 s1, |v[177:178]|, |v[179:180]|
                                        ; implicit-def: $vgpr181_vgpr182
	s_and_saveexec_b32 s3, s1
	s_xor_b32 s1, exec_lo, s3
                                        ; implicit-def: $vgpr183_vgpr184
	s_cbranch_execz .LBB87_113
; %bb.112:
	v_div_scale_f64 v[181:182], null, v[179:180], v[179:180], v[177:178]
	v_div_scale_f64 v[187:188], vcc_lo, v[177:178], v[179:180], v[177:178]
	v_rcp_f64_e32 v[183:184], v[181:182]
	v_fma_f64 v[185:186], -v[181:182], v[183:184], 1.0
	v_fma_f64 v[183:184], v[183:184], v[185:186], v[183:184]
	v_fma_f64 v[185:186], -v[181:182], v[183:184], 1.0
	v_fma_f64 v[183:184], v[183:184], v[185:186], v[183:184]
	v_mul_f64 v[185:186], v[187:188], v[183:184]
	v_fma_f64 v[181:182], -v[181:182], v[185:186], v[187:188]
	v_div_fmas_f64 v[181:182], v[181:182], v[183:184], v[185:186]
	v_div_fixup_f64 v[181:182], v[181:182], v[179:180], v[177:178]
	v_fma_f64 v[177:178], v[177:178], v[181:182], v[179:180]
	v_div_scale_f64 v[179:180], null, v[177:178], v[177:178], 1.0
	v_rcp_f64_e32 v[183:184], v[179:180]
	v_fma_f64 v[185:186], -v[179:180], v[183:184], 1.0
	v_fma_f64 v[183:184], v[183:184], v[185:186], v[183:184]
	v_fma_f64 v[185:186], -v[179:180], v[183:184], 1.0
	v_fma_f64 v[183:184], v[183:184], v[185:186], v[183:184]
	v_div_scale_f64 v[185:186], vcc_lo, 1.0, v[177:178], 1.0
	v_mul_f64 v[187:188], v[185:186], v[183:184]
	v_fma_f64 v[179:180], -v[179:180], v[187:188], v[185:186]
	v_div_fmas_f64 v[179:180], v[179:180], v[183:184], v[187:188]
	v_div_fixup_f64 v[183:184], v[179:180], v[177:178], 1.0
                                        ; implicit-def: $vgpr177_vgpr178
	v_mul_f64 v[181:182], v[181:182], v[183:184]
	v_xor_b32_e32 v184, 0x80000000, v184
.LBB87_113:
	s_andn2_saveexec_b32 s1, s1
	s_cbranch_execz .LBB87_115
; %bb.114:
	v_div_scale_f64 v[181:182], null, v[177:178], v[177:178], v[179:180]
	v_div_scale_f64 v[187:188], vcc_lo, v[179:180], v[177:178], v[179:180]
	v_rcp_f64_e32 v[183:184], v[181:182]
	v_fma_f64 v[185:186], -v[181:182], v[183:184], 1.0
	v_fma_f64 v[183:184], v[183:184], v[185:186], v[183:184]
	v_fma_f64 v[185:186], -v[181:182], v[183:184], 1.0
	v_fma_f64 v[183:184], v[183:184], v[185:186], v[183:184]
	v_mul_f64 v[185:186], v[187:188], v[183:184]
	v_fma_f64 v[181:182], -v[181:182], v[185:186], v[187:188]
	v_div_fmas_f64 v[181:182], v[181:182], v[183:184], v[185:186]
	v_div_fixup_f64 v[183:184], v[181:182], v[177:178], v[179:180]
	v_fma_f64 v[177:178], v[179:180], v[183:184], v[177:178]
	v_div_scale_f64 v[179:180], null, v[177:178], v[177:178], 1.0
	v_rcp_f64_e32 v[181:182], v[179:180]
	v_fma_f64 v[185:186], -v[179:180], v[181:182], 1.0
	v_fma_f64 v[181:182], v[181:182], v[185:186], v[181:182]
	v_fma_f64 v[185:186], -v[179:180], v[181:182], 1.0
	v_fma_f64 v[181:182], v[181:182], v[185:186], v[181:182]
	v_div_scale_f64 v[185:186], vcc_lo, 1.0, v[177:178], 1.0
	v_mul_f64 v[187:188], v[185:186], v[181:182]
	v_fma_f64 v[179:180], -v[179:180], v[187:188], v[185:186]
	v_div_fmas_f64 v[179:180], v[179:180], v[181:182], v[187:188]
	v_div_fixup_f64 v[181:182], v[179:180], v[177:178], 1.0
	v_mul_f64 v[183:184], v[183:184], -v[181:182]
.LBB87_115:
	s_or_b32 exec_lo, exec_lo, s1
	ds_write2_b64 v255, v[181:182], v[183:184] offset1:1
.LBB87_116:
	s_or_b32 exec_lo, exec_lo, s2
	s_waitcnt lgkmcnt(0)
	s_barrier
	buffer_gl0_inv
	ds_read2_b64 v[49:52], v255 offset1:1
	s_mov_b32 s1, exec_lo
	s_waitcnt lgkmcnt(0)
	buffer_store_dword v49, off, s[16:19], 0 offset:672 ; 4-byte Folded Spill
	buffer_store_dword v50, off, s[16:19], 0 offset:676 ; 4-byte Folded Spill
	;; [unrolled: 1-line block ×4, first 2 shown]
	v_cmpx_lt_u32_e32 12, v0
	s_cbranch_execz .LBB87_118
; %bb.117:
	s_clause 0x3
	buffer_load_dword v49, off, s[16:19], 0 offset:672
	buffer_load_dword v50, off, s[16:19], 0 offset:676
	buffer_load_dword v51, off, s[16:19], 0 offset:680
	buffer_load_dword v52, off, s[16:19], 0 offset:684
	ds_read2_b64 v[179:182], v253 offset0:26 offset1:27
	s_waitcnt vmcnt(0)
	v_mul_f64 v[177:178], v[51:52], v[127:128]
	v_mul_f64 v[127:128], v[49:50], v[127:128]
	v_fma_f64 v[177:178], v[49:50], v[125:126], -v[177:178]
	v_fma_f64 v[127:128], v[51:52], v[125:126], v[127:128]
	s_waitcnt lgkmcnt(0)
	v_mul_f64 v[125:126], v[181:182], v[127:128]
	v_fma_f64 v[125:126], v[179:180], v[177:178], -v[125:126]
	v_mul_f64 v[179:180], v[179:180], v[127:128]
	v_add_f64 v[121:122], v[121:122], -v[125:126]
	v_fma_f64 v[179:180], v[181:182], v[177:178], v[179:180]
	v_add_f64 v[123:124], v[123:124], -v[179:180]
	ds_read2_b64 v[179:182], v253 offset0:28 offset1:29
	s_waitcnt lgkmcnt(0)
	v_mul_f64 v[125:126], v[181:182], v[127:128]
	v_fma_f64 v[125:126], v[179:180], v[177:178], -v[125:126]
	v_mul_f64 v[179:180], v[179:180], v[127:128]
	v_add_f64 v[117:118], v[117:118], -v[125:126]
	v_fma_f64 v[179:180], v[181:182], v[177:178], v[179:180]
	v_add_f64 v[119:120], v[119:120], -v[179:180]
	ds_read2_b64 v[179:182], v253 offset0:30 offset1:31
	;; [unrolled: 8-line block ×7, first 2 shown]
	s_clause 0x3
	buffer_load_dword v49, off, s[16:19], 0 offset:128
	buffer_load_dword v50, off, s[16:19], 0 offset:132
	buffer_load_dword v51, off, s[16:19], 0 offset:136
	buffer_load_dword v52, off, s[16:19], 0 offset:140
	s_waitcnt lgkmcnt(0)
	v_mul_f64 v[125:126], v[181:182], v[127:128]
	v_fma_f64 v[125:126], v[179:180], v[177:178], -v[125:126]
	v_mul_f64 v[179:180], v[179:180], v[127:128]
	v_fma_f64 v[179:180], v[181:182], v[177:178], v[179:180]
	s_waitcnt vmcnt(2)
	v_add_f64 v[49:50], v[49:50], -v[125:126]
	s_waitcnt vmcnt(0)
	v_add_f64 v[51:52], v[51:52], -v[179:180]
	buffer_store_dword v49, off, s[16:19], 0 offset:128 ; 4-byte Folded Spill
	buffer_store_dword v50, off, s[16:19], 0 offset:132 ; 4-byte Folded Spill
	buffer_store_dword v51, off, s[16:19], 0 offset:136 ; 4-byte Folded Spill
	buffer_store_dword v52, off, s[16:19], 0 offset:140 ; 4-byte Folded Spill
	ds_read2_b64 v[179:182], v253 offset0:42 offset1:43
	s_clause 0x3
	buffer_load_dword v49, off, s[16:19], 0 offset:112
	buffer_load_dword v50, off, s[16:19], 0 offset:116
	buffer_load_dword v51, off, s[16:19], 0 offset:120
	buffer_load_dword v52, off, s[16:19], 0 offset:124
	s_waitcnt lgkmcnt(0)
	v_mul_f64 v[125:126], v[181:182], v[127:128]
	v_fma_f64 v[125:126], v[179:180], v[177:178], -v[125:126]
	v_mul_f64 v[179:180], v[179:180], v[127:128]
	v_fma_f64 v[179:180], v[181:182], v[177:178], v[179:180]
	s_waitcnt vmcnt(2)
	v_add_f64 v[49:50], v[49:50], -v[125:126]
	s_waitcnt vmcnt(0)
	v_add_f64 v[51:52], v[51:52], -v[179:180]
	buffer_store_dword v49, off, s[16:19], 0 offset:112 ; 4-byte Folded Spill
	buffer_store_dword v50, off, s[16:19], 0 offset:116 ; 4-byte Folded Spill
	buffer_store_dword v51, off, s[16:19], 0 offset:120 ; 4-byte Folded Spill
	buffer_store_dword v52, off, s[16:19], 0 offset:124 ; 4-byte Folded Spill
	ds_read2_b64 v[179:182], v253 offset0:44 offset1:45
	;; [unrolled: 19-line block ×8, first 2 shown]
	s_clause 0x3
	buffer_load_dword v49, off, s[16:19], 0
	buffer_load_dword v50, off, s[16:19], 0 offset:4
	buffer_load_dword v51, off, s[16:19], 0 offset:8
	;; [unrolled: 1-line block ×3, first 2 shown]
	s_waitcnt lgkmcnt(0)
	v_mul_f64 v[125:126], v[181:182], v[127:128]
	v_fma_f64 v[125:126], v[179:180], v[177:178], -v[125:126]
	v_mul_f64 v[179:180], v[179:180], v[127:128]
	v_fma_f64 v[179:180], v[181:182], v[177:178], v[179:180]
	s_waitcnt vmcnt(2)
	v_add_f64 v[49:50], v[49:50], -v[125:126]
	s_waitcnt vmcnt(0)
	v_add_f64 v[51:52], v[51:52], -v[179:180]
	buffer_store_dword v49, off, s[16:19], 0 ; 4-byte Folded Spill
	buffer_store_dword v50, off, s[16:19], 0 offset:4 ; 4-byte Folded Spill
	buffer_store_dword v51, off, s[16:19], 0 offset:8 ; 4-byte Folded Spill
	;; [unrolled: 1-line block ×3, first 2 shown]
	ds_read2_b64 v[179:182], v253 offset0:58 offset1:59
	s_waitcnt lgkmcnt(0)
	v_mul_f64 v[125:126], v[181:182], v[127:128]
	v_fma_f64 v[125:126], v[179:180], v[177:178], -v[125:126]
	v_mul_f64 v[179:180], v[179:180], v[127:128]
	v_add_f64 v[57:58], v[57:58], -v[125:126]
	v_fma_f64 v[179:180], v[181:182], v[177:178], v[179:180]
	v_add_f64 v[59:60], v[59:60], -v[179:180]
	ds_read2_b64 v[179:182], v253 offset0:60 offset1:61
	s_waitcnt lgkmcnt(0)
	v_mul_f64 v[125:126], v[181:182], v[127:128]
	v_fma_f64 v[125:126], v[179:180], v[177:178], -v[125:126]
	v_mul_f64 v[179:180], v[179:180], v[127:128]
	v_add_f64 v[241:242], v[241:242], -v[125:126]
	v_fma_f64 v[179:180], v[181:182], v[177:178], v[179:180]
	v_add_f64 v[243:244], v[243:244], -v[179:180]
	;; [unrolled: 8-line block ×14, first 2 shown]
	ds_read2_b64 v[179:182], v253 offset0:86 offset1:87
	s_waitcnt lgkmcnt(0)
	v_mul_f64 v[125:126], v[181:182], v[127:128]
	v_fma_f64 v[125:126], v[179:180], v[177:178], -v[125:126]
	v_mul_f64 v[179:180], v[179:180], v[127:128]
	v_add_f64 v[1:2], v[1:2], -v[125:126]
	v_fma_f64 v[179:180], v[181:182], v[177:178], v[179:180]
	v_mov_b32_e32 v125, v177
	v_mov_b32_e32 v126, v178
	v_add_f64 v[3:4], v[3:4], -v[179:180]
.LBB87_118:
	s_or_b32 exec_lo, exec_lo, s1
	s_mov_b32 s2, exec_lo
	s_waitcnt_vscnt null, 0x0
	s_barrier
	buffer_gl0_inv
	v_cmpx_eq_u32_e32 13, v0
	s_cbranch_execz .LBB87_125
; %bb.119:
	ds_write2_b64 v255, v[121:122], v[123:124] offset1:1
	ds_write2_b64 v253, v[117:118], v[119:120] offset0:28 offset1:29
	ds_write2_b64 v253, v[113:114], v[115:116] offset0:30 offset1:31
	;; [unrolled: 1-line block ×6, first 2 shown]
	s_clause 0x3
	buffer_load_dword v49, off, s[16:19], 0 offset:128
	buffer_load_dword v50, off, s[16:19], 0 offset:132
	buffer_load_dword v51, off, s[16:19], 0 offset:136
	buffer_load_dword v52, off, s[16:19], 0 offset:140
	s_waitcnt vmcnt(0)
	ds_write2_b64 v253, v[49:50], v[51:52] offset0:40 offset1:41
	s_clause 0x3
	buffer_load_dword v49, off, s[16:19], 0 offset:112
	buffer_load_dword v50, off, s[16:19], 0 offset:116
	buffer_load_dword v51, off, s[16:19], 0 offset:120
	buffer_load_dword v52, off, s[16:19], 0 offset:124
	s_waitcnt vmcnt(0)
	ds_write2_b64 v253, v[49:50], v[51:52] offset0:42 offset1:43
	;; [unrolled: 7-line block ×8, first 2 shown]
	s_clause 0x3
	buffer_load_dword v49, off, s[16:19], 0
	buffer_load_dword v50, off, s[16:19], 0 offset:4
	buffer_load_dword v51, off, s[16:19], 0 offset:8
	;; [unrolled: 1-line block ×3, first 2 shown]
	s_waitcnt vmcnt(0)
	ds_write2_b64 v253, v[49:50], v[51:52] offset0:56 offset1:57
	ds_write2_b64 v253, v[57:58], v[59:60] offset0:58 offset1:59
	;; [unrolled: 1-line block ×16, first 2 shown]
	ds_read2_b64 v[177:180], v255 offset1:1
	s_waitcnt lgkmcnt(0)
	v_cmp_neq_f64_e32 vcc_lo, 0, v[177:178]
	v_cmp_neq_f64_e64 s1, 0, v[179:180]
	s_or_b32 s1, vcc_lo, s1
	s_and_b32 exec_lo, exec_lo, s1
	s_cbranch_execz .LBB87_125
; %bb.120:
	v_cmp_ngt_f64_e64 s1, |v[177:178]|, |v[179:180]|
                                        ; implicit-def: $vgpr181_vgpr182
	s_and_saveexec_b32 s3, s1
	s_xor_b32 s1, exec_lo, s3
                                        ; implicit-def: $vgpr183_vgpr184
	s_cbranch_execz .LBB87_122
; %bb.121:
	v_div_scale_f64 v[181:182], null, v[179:180], v[179:180], v[177:178]
	v_div_scale_f64 v[187:188], vcc_lo, v[177:178], v[179:180], v[177:178]
	v_rcp_f64_e32 v[183:184], v[181:182]
	v_fma_f64 v[185:186], -v[181:182], v[183:184], 1.0
	v_fma_f64 v[183:184], v[183:184], v[185:186], v[183:184]
	v_fma_f64 v[185:186], -v[181:182], v[183:184], 1.0
	v_fma_f64 v[183:184], v[183:184], v[185:186], v[183:184]
	v_mul_f64 v[185:186], v[187:188], v[183:184]
	v_fma_f64 v[181:182], -v[181:182], v[185:186], v[187:188]
	v_div_fmas_f64 v[181:182], v[181:182], v[183:184], v[185:186]
	v_div_fixup_f64 v[181:182], v[181:182], v[179:180], v[177:178]
	v_fma_f64 v[177:178], v[177:178], v[181:182], v[179:180]
	v_div_scale_f64 v[179:180], null, v[177:178], v[177:178], 1.0
	v_rcp_f64_e32 v[183:184], v[179:180]
	v_fma_f64 v[185:186], -v[179:180], v[183:184], 1.0
	v_fma_f64 v[183:184], v[183:184], v[185:186], v[183:184]
	v_fma_f64 v[185:186], -v[179:180], v[183:184], 1.0
	v_fma_f64 v[183:184], v[183:184], v[185:186], v[183:184]
	v_div_scale_f64 v[185:186], vcc_lo, 1.0, v[177:178], 1.0
	v_mul_f64 v[187:188], v[185:186], v[183:184]
	v_fma_f64 v[179:180], -v[179:180], v[187:188], v[185:186]
	v_div_fmas_f64 v[179:180], v[179:180], v[183:184], v[187:188]
	v_div_fixup_f64 v[183:184], v[179:180], v[177:178], 1.0
                                        ; implicit-def: $vgpr177_vgpr178
	v_mul_f64 v[181:182], v[181:182], v[183:184]
	v_xor_b32_e32 v184, 0x80000000, v184
.LBB87_122:
	s_andn2_saveexec_b32 s1, s1
	s_cbranch_execz .LBB87_124
; %bb.123:
	v_div_scale_f64 v[181:182], null, v[177:178], v[177:178], v[179:180]
	v_div_scale_f64 v[187:188], vcc_lo, v[179:180], v[177:178], v[179:180]
	v_rcp_f64_e32 v[183:184], v[181:182]
	v_fma_f64 v[185:186], -v[181:182], v[183:184], 1.0
	v_fma_f64 v[183:184], v[183:184], v[185:186], v[183:184]
	v_fma_f64 v[185:186], -v[181:182], v[183:184], 1.0
	v_fma_f64 v[183:184], v[183:184], v[185:186], v[183:184]
	v_mul_f64 v[185:186], v[187:188], v[183:184]
	v_fma_f64 v[181:182], -v[181:182], v[185:186], v[187:188]
	v_div_fmas_f64 v[181:182], v[181:182], v[183:184], v[185:186]
	v_div_fixup_f64 v[183:184], v[181:182], v[177:178], v[179:180]
	v_fma_f64 v[177:178], v[179:180], v[183:184], v[177:178]
	v_div_scale_f64 v[179:180], null, v[177:178], v[177:178], 1.0
	v_rcp_f64_e32 v[181:182], v[179:180]
	v_fma_f64 v[185:186], -v[179:180], v[181:182], 1.0
	v_fma_f64 v[181:182], v[181:182], v[185:186], v[181:182]
	v_fma_f64 v[185:186], -v[179:180], v[181:182], 1.0
	v_fma_f64 v[181:182], v[181:182], v[185:186], v[181:182]
	v_div_scale_f64 v[185:186], vcc_lo, 1.0, v[177:178], 1.0
	v_mul_f64 v[187:188], v[185:186], v[181:182]
	v_fma_f64 v[179:180], -v[179:180], v[187:188], v[185:186]
	v_div_fmas_f64 v[179:180], v[179:180], v[181:182], v[187:188]
	v_div_fixup_f64 v[181:182], v[179:180], v[177:178], 1.0
	v_mul_f64 v[183:184], v[183:184], -v[181:182]
.LBB87_124:
	s_or_b32 exec_lo, exec_lo, s1
	ds_write2_b64 v255, v[181:182], v[183:184] offset1:1
.LBB87_125:
	s_or_b32 exec_lo, exec_lo, s2
	s_waitcnt lgkmcnt(0)
	s_barrier
	buffer_gl0_inv
	ds_read2_b64 v[49:52], v255 offset1:1
	s_mov_b32 s1, exec_lo
	s_waitcnt lgkmcnt(0)
	buffer_store_dword v49, off, s[16:19], 0 offset:688 ; 4-byte Folded Spill
	buffer_store_dword v50, off, s[16:19], 0 offset:692 ; 4-byte Folded Spill
	;; [unrolled: 1-line block ×4, first 2 shown]
	v_cmpx_lt_u32_e32 13, v0
	s_cbranch_execz .LBB87_127
; %bb.126:
	s_clause 0x3
	buffer_load_dword v49, off, s[16:19], 0 offset:688
	buffer_load_dword v50, off, s[16:19], 0 offset:692
	;; [unrolled: 1-line block ×4, first 2 shown]
	ds_read2_b64 v[179:182], v253 offset0:28 offset1:29
	s_waitcnt vmcnt(0)
	v_mul_f64 v[177:178], v[51:52], v[123:124]
	v_mul_f64 v[123:124], v[49:50], v[123:124]
	v_fma_f64 v[177:178], v[49:50], v[121:122], -v[177:178]
	v_fma_f64 v[123:124], v[51:52], v[121:122], v[123:124]
	s_waitcnt lgkmcnt(0)
	v_mul_f64 v[121:122], v[181:182], v[123:124]
	v_fma_f64 v[121:122], v[179:180], v[177:178], -v[121:122]
	v_mul_f64 v[179:180], v[179:180], v[123:124]
	v_add_f64 v[117:118], v[117:118], -v[121:122]
	v_fma_f64 v[179:180], v[181:182], v[177:178], v[179:180]
	v_add_f64 v[119:120], v[119:120], -v[179:180]
	ds_read2_b64 v[179:182], v253 offset0:30 offset1:31
	s_waitcnt lgkmcnt(0)
	v_mul_f64 v[121:122], v[181:182], v[123:124]
	v_fma_f64 v[121:122], v[179:180], v[177:178], -v[121:122]
	v_mul_f64 v[179:180], v[179:180], v[123:124]
	v_add_f64 v[113:114], v[113:114], -v[121:122]
	v_fma_f64 v[179:180], v[181:182], v[177:178], v[179:180]
	v_add_f64 v[115:116], v[115:116], -v[179:180]
	ds_read2_b64 v[179:182], v253 offset0:32 offset1:33
	;; [unrolled: 8-line block ×6, first 2 shown]
	s_clause 0x3
	buffer_load_dword v49, off, s[16:19], 0 offset:128
	buffer_load_dword v50, off, s[16:19], 0 offset:132
	buffer_load_dword v51, off, s[16:19], 0 offset:136
	buffer_load_dword v52, off, s[16:19], 0 offset:140
	s_waitcnt lgkmcnt(0)
	v_mul_f64 v[121:122], v[181:182], v[123:124]
	v_fma_f64 v[121:122], v[179:180], v[177:178], -v[121:122]
	v_mul_f64 v[179:180], v[179:180], v[123:124]
	v_fma_f64 v[179:180], v[181:182], v[177:178], v[179:180]
	s_waitcnt vmcnt(2)
	v_add_f64 v[49:50], v[49:50], -v[121:122]
	s_waitcnt vmcnt(0)
	v_add_f64 v[51:52], v[51:52], -v[179:180]
	buffer_store_dword v49, off, s[16:19], 0 offset:128 ; 4-byte Folded Spill
	buffer_store_dword v50, off, s[16:19], 0 offset:132 ; 4-byte Folded Spill
	buffer_store_dword v51, off, s[16:19], 0 offset:136 ; 4-byte Folded Spill
	buffer_store_dword v52, off, s[16:19], 0 offset:140 ; 4-byte Folded Spill
	ds_read2_b64 v[179:182], v253 offset0:42 offset1:43
	s_clause 0x3
	buffer_load_dword v49, off, s[16:19], 0 offset:112
	buffer_load_dword v50, off, s[16:19], 0 offset:116
	buffer_load_dword v51, off, s[16:19], 0 offset:120
	buffer_load_dword v52, off, s[16:19], 0 offset:124
	s_waitcnt lgkmcnt(0)
	v_mul_f64 v[121:122], v[181:182], v[123:124]
	v_fma_f64 v[121:122], v[179:180], v[177:178], -v[121:122]
	v_mul_f64 v[179:180], v[179:180], v[123:124]
	v_fma_f64 v[179:180], v[181:182], v[177:178], v[179:180]
	s_waitcnt vmcnt(2)
	v_add_f64 v[49:50], v[49:50], -v[121:122]
	s_waitcnt vmcnt(0)
	v_add_f64 v[51:52], v[51:52], -v[179:180]
	buffer_store_dword v49, off, s[16:19], 0 offset:112 ; 4-byte Folded Spill
	buffer_store_dword v50, off, s[16:19], 0 offset:116 ; 4-byte Folded Spill
	buffer_store_dword v51, off, s[16:19], 0 offset:120 ; 4-byte Folded Spill
	buffer_store_dword v52, off, s[16:19], 0 offset:124 ; 4-byte Folded Spill
	ds_read2_b64 v[179:182], v253 offset0:44 offset1:45
	;; [unrolled: 19-line block ×8, first 2 shown]
	s_clause 0x3
	buffer_load_dword v49, off, s[16:19], 0
	buffer_load_dword v50, off, s[16:19], 0 offset:4
	buffer_load_dword v51, off, s[16:19], 0 offset:8
	;; [unrolled: 1-line block ×3, first 2 shown]
	s_waitcnt lgkmcnt(0)
	v_mul_f64 v[121:122], v[181:182], v[123:124]
	v_fma_f64 v[121:122], v[179:180], v[177:178], -v[121:122]
	v_mul_f64 v[179:180], v[179:180], v[123:124]
	v_fma_f64 v[179:180], v[181:182], v[177:178], v[179:180]
	s_waitcnt vmcnt(2)
	v_add_f64 v[49:50], v[49:50], -v[121:122]
	s_waitcnt vmcnt(0)
	v_add_f64 v[51:52], v[51:52], -v[179:180]
	buffer_store_dword v49, off, s[16:19], 0 ; 4-byte Folded Spill
	buffer_store_dword v50, off, s[16:19], 0 offset:4 ; 4-byte Folded Spill
	buffer_store_dword v51, off, s[16:19], 0 offset:8 ; 4-byte Folded Spill
	;; [unrolled: 1-line block ×3, first 2 shown]
	ds_read2_b64 v[179:182], v253 offset0:58 offset1:59
	s_waitcnt lgkmcnt(0)
	v_mul_f64 v[121:122], v[181:182], v[123:124]
	v_fma_f64 v[121:122], v[179:180], v[177:178], -v[121:122]
	v_mul_f64 v[179:180], v[179:180], v[123:124]
	v_add_f64 v[57:58], v[57:58], -v[121:122]
	v_fma_f64 v[179:180], v[181:182], v[177:178], v[179:180]
	v_add_f64 v[59:60], v[59:60], -v[179:180]
	ds_read2_b64 v[179:182], v253 offset0:60 offset1:61
	s_waitcnt lgkmcnt(0)
	v_mul_f64 v[121:122], v[181:182], v[123:124]
	v_fma_f64 v[121:122], v[179:180], v[177:178], -v[121:122]
	v_mul_f64 v[179:180], v[179:180], v[123:124]
	v_add_f64 v[241:242], v[241:242], -v[121:122]
	v_fma_f64 v[179:180], v[181:182], v[177:178], v[179:180]
	v_add_f64 v[243:244], v[243:244], -v[179:180]
	;; [unrolled: 8-line block ×14, first 2 shown]
	ds_read2_b64 v[179:182], v253 offset0:86 offset1:87
	s_waitcnt lgkmcnt(0)
	v_mul_f64 v[121:122], v[181:182], v[123:124]
	v_fma_f64 v[121:122], v[179:180], v[177:178], -v[121:122]
	v_mul_f64 v[179:180], v[179:180], v[123:124]
	v_add_f64 v[1:2], v[1:2], -v[121:122]
	v_fma_f64 v[179:180], v[181:182], v[177:178], v[179:180]
	v_mov_b32_e32 v121, v177
	v_mov_b32_e32 v122, v178
	v_add_f64 v[3:4], v[3:4], -v[179:180]
.LBB87_127:
	s_or_b32 exec_lo, exec_lo, s1
	s_mov_b32 s2, exec_lo
	s_waitcnt_vscnt null, 0x0
	s_barrier
	buffer_gl0_inv
	v_cmpx_eq_u32_e32 14, v0
	s_cbranch_execz .LBB87_134
; %bb.128:
	ds_write2_b64 v255, v[117:118], v[119:120] offset1:1
	ds_write2_b64 v253, v[113:114], v[115:116] offset0:30 offset1:31
	ds_write2_b64 v253, v[109:110], v[111:112] offset0:32 offset1:33
	;; [unrolled: 1-line block ×5, first 2 shown]
	s_clause 0x3
	buffer_load_dword v49, off, s[16:19], 0 offset:128
	buffer_load_dword v50, off, s[16:19], 0 offset:132
	buffer_load_dword v51, off, s[16:19], 0 offset:136
	buffer_load_dword v52, off, s[16:19], 0 offset:140
	s_waitcnt vmcnt(0)
	ds_write2_b64 v253, v[49:50], v[51:52] offset0:40 offset1:41
	s_clause 0x3
	buffer_load_dword v49, off, s[16:19], 0 offset:112
	buffer_load_dword v50, off, s[16:19], 0 offset:116
	buffer_load_dword v51, off, s[16:19], 0 offset:120
	buffer_load_dword v52, off, s[16:19], 0 offset:124
	s_waitcnt vmcnt(0)
	ds_write2_b64 v253, v[49:50], v[51:52] offset0:42 offset1:43
	;; [unrolled: 7-line block ×8, first 2 shown]
	s_clause 0x3
	buffer_load_dword v49, off, s[16:19], 0
	buffer_load_dword v50, off, s[16:19], 0 offset:4
	buffer_load_dword v51, off, s[16:19], 0 offset:8
	;; [unrolled: 1-line block ×3, first 2 shown]
	s_waitcnt vmcnt(0)
	ds_write2_b64 v253, v[49:50], v[51:52] offset0:56 offset1:57
	ds_write2_b64 v253, v[57:58], v[59:60] offset0:58 offset1:59
	;; [unrolled: 1-line block ×16, first 2 shown]
	ds_read2_b64 v[177:180], v255 offset1:1
	s_waitcnt lgkmcnt(0)
	v_cmp_neq_f64_e32 vcc_lo, 0, v[177:178]
	v_cmp_neq_f64_e64 s1, 0, v[179:180]
	s_or_b32 s1, vcc_lo, s1
	s_and_b32 exec_lo, exec_lo, s1
	s_cbranch_execz .LBB87_134
; %bb.129:
	v_cmp_ngt_f64_e64 s1, |v[177:178]|, |v[179:180]|
                                        ; implicit-def: $vgpr181_vgpr182
	s_and_saveexec_b32 s3, s1
	s_xor_b32 s1, exec_lo, s3
                                        ; implicit-def: $vgpr183_vgpr184
	s_cbranch_execz .LBB87_131
; %bb.130:
	v_div_scale_f64 v[181:182], null, v[179:180], v[179:180], v[177:178]
	v_div_scale_f64 v[187:188], vcc_lo, v[177:178], v[179:180], v[177:178]
	v_rcp_f64_e32 v[183:184], v[181:182]
	v_fma_f64 v[185:186], -v[181:182], v[183:184], 1.0
	v_fma_f64 v[183:184], v[183:184], v[185:186], v[183:184]
	v_fma_f64 v[185:186], -v[181:182], v[183:184], 1.0
	v_fma_f64 v[183:184], v[183:184], v[185:186], v[183:184]
	v_mul_f64 v[185:186], v[187:188], v[183:184]
	v_fma_f64 v[181:182], -v[181:182], v[185:186], v[187:188]
	v_div_fmas_f64 v[181:182], v[181:182], v[183:184], v[185:186]
	v_div_fixup_f64 v[181:182], v[181:182], v[179:180], v[177:178]
	v_fma_f64 v[177:178], v[177:178], v[181:182], v[179:180]
	v_div_scale_f64 v[179:180], null, v[177:178], v[177:178], 1.0
	v_rcp_f64_e32 v[183:184], v[179:180]
	v_fma_f64 v[185:186], -v[179:180], v[183:184], 1.0
	v_fma_f64 v[183:184], v[183:184], v[185:186], v[183:184]
	v_fma_f64 v[185:186], -v[179:180], v[183:184], 1.0
	v_fma_f64 v[183:184], v[183:184], v[185:186], v[183:184]
	v_div_scale_f64 v[185:186], vcc_lo, 1.0, v[177:178], 1.0
	v_mul_f64 v[187:188], v[185:186], v[183:184]
	v_fma_f64 v[179:180], -v[179:180], v[187:188], v[185:186]
	v_div_fmas_f64 v[179:180], v[179:180], v[183:184], v[187:188]
	v_div_fixup_f64 v[183:184], v[179:180], v[177:178], 1.0
                                        ; implicit-def: $vgpr177_vgpr178
	v_mul_f64 v[181:182], v[181:182], v[183:184]
	v_xor_b32_e32 v184, 0x80000000, v184
.LBB87_131:
	s_andn2_saveexec_b32 s1, s1
	s_cbranch_execz .LBB87_133
; %bb.132:
	v_div_scale_f64 v[181:182], null, v[177:178], v[177:178], v[179:180]
	v_div_scale_f64 v[187:188], vcc_lo, v[179:180], v[177:178], v[179:180]
	v_rcp_f64_e32 v[183:184], v[181:182]
	v_fma_f64 v[185:186], -v[181:182], v[183:184], 1.0
	v_fma_f64 v[183:184], v[183:184], v[185:186], v[183:184]
	v_fma_f64 v[185:186], -v[181:182], v[183:184], 1.0
	v_fma_f64 v[183:184], v[183:184], v[185:186], v[183:184]
	v_mul_f64 v[185:186], v[187:188], v[183:184]
	v_fma_f64 v[181:182], -v[181:182], v[185:186], v[187:188]
	v_div_fmas_f64 v[181:182], v[181:182], v[183:184], v[185:186]
	v_div_fixup_f64 v[183:184], v[181:182], v[177:178], v[179:180]
	v_fma_f64 v[177:178], v[179:180], v[183:184], v[177:178]
	v_div_scale_f64 v[179:180], null, v[177:178], v[177:178], 1.0
	v_rcp_f64_e32 v[181:182], v[179:180]
	v_fma_f64 v[185:186], -v[179:180], v[181:182], 1.0
	v_fma_f64 v[181:182], v[181:182], v[185:186], v[181:182]
	v_fma_f64 v[185:186], -v[179:180], v[181:182], 1.0
	v_fma_f64 v[181:182], v[181:182], v[185:186], v[181:182]
	v_div_scale_f64 v[185:186], vcc_lo, 1.0, v[177:178], 1.0
	v_mul_f64 v[187:188], v[185:186], v[181:182]
	v_fma_f64 v[179:180], -v[179:180], v[187:188], v[185:186]
	v_div_fmas_f64 v[179:180], v[179:180], v[181:182], v[187:188]
	v_div_fixup_f64 v[181:182], v[179:180], v[177:178], 1.0
	v_mul_f64 v[183:184], v[183:184], -v[181:182]
.LBB87_133:
	s_or_b32 exec_lo, exec_lo, s1
	ds_write2_b64 v255, v[181:182], v[183:184] offset1:1
.LBB87_134:
	s_or_b32 exec_lo, exec_lo, s2
	s_waitcnt lgkmcnt(0)
	s_barrier
	buffer_gl0_inv
	ds_read2_b64 v[169:172], v255 offset1:1
	s_mov_b32 s1, exec_lo
	v_cmpx_lt_u32_e32 14, v0
	s_cbranch_execz .LBB87_136
; %bb.135:
	s_waitcnt lgkmcnt(0)
	v_mul_f64 v[177:178], v[171:172], v[119:120]
	v_mul_f64 v[119:120], v[169:170], v[119:120]
	ds_read2_b64 v[179:182], v253 offset0:30 offset1:31
	v_fma_f64 v[177:178], v[169:170], v[117:118], -v[177:178]
	v_fma_f64 v[119:120], v[171:172], v[117:118], v[119:120]
	s_waitcnt lgkmcnt(0)
	v_mul_f64 v[117:118], v[181:182], v[119:120]
	v_fma_f64 v[117:118], v[179:180], v[177:178], -v[117:118]
	v_mul_f64 v[179:180], v[179:180], v[119:120]
	v_add_f64 v[113:114], v[113:114], -v[117:118]
	v_fma_f64 v[179:180], v[181:182], v[177:178], v[179:180]
	v_add_f64 v[115:116], v[115:116], -v[179:180]
	ds_read2_b64 v[179:182], v253 offset0:32 offset1:33
	s_waitcnt lgkmcnt(0)
	v_mul_f64 v[117:118], v[181:182], v[119:120]
	v_fma_f64 v[117:118], v[179:180], v[177:178], -v[117:118]
	v_mul_f64 v[179:180], v[179:180], v[119:120]
	v_add_f64 v[109:110], v[109:110], -v[117:118]
	v_fma_f64 v[179:180], v[181:182], v[177:178], v[179:180]
	v_add_f64 v[111:112], v[111:112], -v[179:180]
	ds_read2_b64 v[179:182], v253 offset0:34 offset1:35
	;; [unrolled: 8-line block ×5, first 2 shown]
	s_clause 0x3
	buffer_load_dword v49, off, s[16:19], 0 offset:128
	buffer_load_dword v50, off, s[16:19], 0 offset:132
	buffer_load_dword v51, off, s[16:19], 0 offset:136
	buffer_load_dword v52, off, s[16:19], 0 offset:140
	s_waitcnt lgkmcnt(0)
	v_mul_f64 v[117:118], v[181:182], v[119:120]
	v_fma_f64 v[117:118], v[179:180], v[177:178], -v[117:118]
	v_mul_f64 v[179:180], v[179:180], v[119:120]
	v_fma_f64 v[179:180], v[181:182], v[177:178], v[179:180]
	s_waitcnt vmcnt(2)
	v_add_f64 v[49:50], v[49:50], -v[117:118]
	s_waitcnt vmcnt(0)
	v_add_f64 v[51:52], v[51:52], -v[179:180]
	buffer_store_dword v49, off, s[16:19], 0 offset:128 ; 4-byte Folded Spill
	buffer_store_dword v50, off, s[16:19], 0 offset:132 ; 4-byte Folded Spill
	buffer_store_dword v51, off, s[16:19], 0 offset:136 ; 4-byte Folded Spill
	buffer_store_dword v52, off, s[16:19], 0 offset:140 ; 4-byte Folded Spill
	ds_read2_b64 v[179:182], v253 offset0:42 offset1:43
	s_clause 0x3
	buffer_load_dword v49, off, s[16:19], 0 offset:112
	buffer_load_dword v50, off, s[16:19], 0 offset:116
	buffer_load_dword v51, off, s[16:19], 0 offset:120
	buffer_load_dword v52, off, s[16:19], 0 offset:124
	s_waitcnt lgkmcnt(0)
	v_mul_f64 v[117:118], v[181:182], v[119:120]
	v_fma_f64 v[117:118], v[179:180], v[177:178], -v[117:118]
	v_mul_f64 v[179:180], v[179:180], v[119:120]
	v_fma_f64 v[179:180], v[181:182], v[177:178], v[179:180]
	s_waitcnt vmcnt(2)
	v_add_f64 v[49:50], v[49:50], -v[117:118]
	s_waitcnt vmcnt(0)
	v_add_f64 v[51:52], v[51:52], -v[179:180]
	buffer_store_dword v49, off, s[16:19], 0 offset:112 ; 4-byte Folded Spill
	buffer_store_dword v50, off, s[16:19], 0 offset:116 ; 4-byte Folded Spill
	buffer_store_dword v51, off, s[16:19], 0 offset:120 ; 4-byte Folded Spill
	buffer_store_dword v52, off, s[16:19], 0 offset:124 ; 4-byte Folded Spill
	ds_read2_b64 v[179:182], v253 offset0:44 offset1:45
	;; [unrolled: 19-line block ×8, first 2 shown]
	s_clause 0x3
	buffer_load_dword v49, off, s[16:19], 0
	buffer_load_dword v50, off, s[16:19], 0 offset:4
	buffer_load_dword v51, off, s[16:19], 0 offset:8
	;; [unrolled: 1-line block ×3, first 2 shown]
	s_waitcnt lgkmcnt(0)
	v_mul_f64 v[117:118], v[181:182], v[119:120]
	v_fma_f64 v[117:118], v[179:180], v[177:178], -v[117:118]
	v_mul_f64 v[179:180], v[179:180], v[119:120]
	v_fma_f64 v[179:180], v[181:182], v[177:178], v[179:180]
	s_waitcnt vmcnt(2)
	v_add_f64 v[49:50], v[49:50], -v[117:118]
	s_waitcnt vmcnt(0)
	v_add_f64 v[51:52], v[51:52], -v[179:180]
	buffer_store_dword v49, off, s[16:19], 0 ; 4-byte Folded Spill
	buffer_store_dword v50, off, s[16:19], 0 offset:4 ; 4-byte Folded Spill
	buffer_store_dword v51, off, s[16:19], 0 offset:8 ; 4-byte Folded Spill
	;; [unrolled: 1-line block ×3, first 2 shown]
	ds_read2_b64 v[179:182], v253 offset0:58 offset1:59
	s_waitcnt lgkmcnt(0)
	v_mul_f64 v[117:118], v[181:182], v[119:120]
	v_fma_f64 v[117:118], v[179:180], v[177:178], -v[117:118]
	v_mul_f64 v[179:180], v[179:180], v[119:120]
	v_add_f64 v[57:58], v[57:58], -v[117:118]
	v_fma_f64 v[179:180], v[181:182], v[177:178], v[179:180]
	v_add_f64 v[59:60], v[59:60], -v[179:180]
	ds_read2_b64 v[179:182], v253 offset0:60 offset1:61
	s_waitcnt lgkmcnt(0)
	v_mul_f64 v[117:118], v[181:182], v[119:120]
	v_fma_f64 v[117:118], v[179:180], v[177:178], -v[117:118]
	v_mul_f64 v[179:180], v[179:180], v[119:120]
	v_add_f64 v[241:242], v[241:242], -v[117:118]
	v_fma_f64 v[179:180], v[181:182], v[177:178], v[179:180]
	v_add_f64 v[243:244], v[243:244], -v[179:180]
	;; [unrolled: 8-line block ×14, first 2 shown]
	ds_read2_b64 v[179:182], v253 offset0:86 offset1:87
	s_waitcnt lgkmcnt(0)
	v_mul_f64 v[117:118], v[181:182], v[119:120]
	v_fma_f64 v[117:118], v[179:180], v[177:178], -v[117:118]
	v_mul_f64 v[179:180], v[179:180], v[119:120]
	v_add_f64 v[1:2], v[1:2], -v[117:118]
	v_fma_f64 v[179:180], v[181:182], v[177:178], v[179:180]
	v_mov_b32_e32 v117, v177
	v_mov_b32_e32 v118, v178
	v_add_f64 v[3:4], v[3:4], -v[179:180]
.LBB87_136:
	s_or_b32 exec_lo, exec_lo, s1
	s_mov_b32 s2, exec_lo
	s_waitcnt lgkmcnt(0)
	s_waitcnt_vscnt null, 0x0
	s_barrier
	buffer_gl0_inv
	v_cmpx_eq_u32_e32 15, v0
	s_cbranch_execz .LBB87_143
; %bb.137:
	ds_write2_b64 v255, v[113:114], v[115:116] offset1:1
	ds_write2_b64 v253, v[109:110], v[111:112] offset0:32 offset1:33
	ds_write2_b64 v253, v[105:106], v[107:108] offset0:34 offset1:35
	;; [unrolled: 1-line block ×4, first 2 shown]
	s_clause 0x3
	buffer_load_dword v49, off, s[16:19], 0 offset:128
	buffer_load_dword v50, off, s[16:19], 0 offset:132
	buffer_load_dword v51, off, s[16:19], 0 offset:136
	buffer_load_dword v52, off, s[16:19], 0 offset:140
	s_waitcnt vmcnt(0)
	ds_write2_b64 v253, v[49:50], v[51:52] offset0:40 offset1:41
	s_clause 0x3
	buffer_load_dword v49, off, s[16:19], 0 offset:112
	buffer_load_dword v50, off, s[16:19], 0 offset:116
	buffer_load_dword v51, off, s[16:19], 0 offset:120
	buffer_load_dword v52, off, s[16:19], 0 offset:124
	s_waitcnt vmcnt(0)
	ds_write2_b64 v253, v[49:50], v[51:52] offset0:42 offset1:43
	;; [unrolled: 7-line block ×8, first 2 shown]
	s_clause 0x3
	buffer_load_dword v49, off, s[16:19], 0
	buffer_load_dword v50, off, s[16:19], 0 offset:4
	buffer_load_dword v51, off, s[16:19], 0 offset:8
	buffer_load_dword v52, off, s[16:19], 0 offset:12
	s_waitcnt vmcnt(0)
	ds_write2_b64 v253, v[49:50], v[51:52] offset0:56 offset1:57
	ds_write2_b64 v253, v[57:58], v[59:60] offset0:58 offset1:59
	;; [unrolled: 1-line block ×16, first 2 shown]
	ds_read2_b64 v[177:180], v255 offset1:1
	s_waitcnt lgkmcnt(0)
	v_cmp_neq_f64_e32 vcc_lo, 0, v[177:178]
	v_cmp_neq_f64_e64 s1, 0, v[179:180]
	s_or_b32 s1, vcc_lo, s1
	s_and_b32 exec_lo, exec_lo, s1
	s_cbranch_execz .LBB87_143
; %bb.138:
	v_cmp_ngt_f64_e64 s1, |v[177:178]|, |v[179:180]|
                                        ; implicit-def: $vgpr181_vgpr182
	s_and_saveexec_b32 s3, s1
	s_xor_b32 s1, exec_lo, s3
                                        ; implicit-def: $vgpr183_vgpr184
	s_cbranch_execz .LBB87_140
; %bb.139:
	v_div_scale_f64 v[181:182], null, v[179:180], v[179:180], v[177:178]
	v_div_scale_f64 v[187:188], vcc_lo, v[177:178], v[179:180], v[177:178]
	v_rcp_f64_e32 v[183:184], v[181:182]
	v_fma_f64 v[185:186], -v[181:182], v[183:184], 1.0
	v_fma_f64 v[183:184], v[183:184], v[185:186], v[183:184]
	v_fma_f64 v[185:186], -v[181:182], v[183:184], 1.0
	v_fma_f64 v[183:184], v[183:184], v[185:186], v[183:184]
	v_mul_f64 v[185:186], v[187:188], v[183:184]
	v_fma_f64 v[181:182], -v[181:182], v[185:186], v[187:188]
	v_div_fmas_f64 v[181:182], v[181:182], v[183:184], v[185:186]
	v_div_fixup_f64 v[181:182], v[181:182], v[179:180], v[177:178]
	v_fma_f64 v[177:178], v[177:178], v[181:182], v[179:180]
	v_div_scale_f64 v[179:180], null, v[177:178], v[177:178], 1.0
	v_rcp_f64_e32 v[183:184], v[179:180]
	v_fma_f64 v[185:186], -v[179:180], v[183:184], 1.0
	v_fma_f64 v[183:184], v[183:184], v[185:186], v[183:184]
	v_fma_f64 v[185:186], -v[179:180], v[183:184], 1.0
	v_fma_f64 v[183:184], v[183:184], v[185:186], v[183:184]
	v_div_scale_f64 v[185:186], vcc_lo, 1.0, v[177:178], 1.0
	v_mul_f64 v[187:188], v[185:186], v[183:184]
	v_fma_f64 v[179:180], -v[179:180], v[187:188], v[185:186]
	v_div_fmas_f64 v[179:180], v[179:180], v[183:184], v[187:188]
	v_div_fixup_f64 v[183:184], v[179:180], v[177:178], 1.0
                                        ; implicit-def: $vgpr177_vgpr178
	v_mul_f64 v[181:182], v[181:182], v[183:184]
	v_xor_b32_e32 v184, 0x80000000, v184
.LBB87_140:
	s_andn2_saveexec_b32 s1, s1
	s_cbranch_execz .LBB87_142
; %bb.141:
	v_div_scale_f64 v[181:182], null, v[177:178], v[177:178], v[179:180]
	v_div_scale_f64 v[187:188], vcc_lo, v[179:180], v[177:178], v[179:180]
	v_rcp_f64_e32 v[183:184], v[181:182]
	v_fma_f64 v[185:186], -v[181:182], v[183:184], 1.0
	v_fma_f64 v[183:184], v[183:184], v[185:186], v[183:184]
	v_fma_f64 v[185:186], -v[181:182], v[183:184], 1.0
	v_fma_f64 v[183:184], v[183:184], v[185:186], v[183:184]
	v_mul_f64 v[185:186], v[187:188], v[183:184]
	v_fma_f64 v[181:182], -v[181:182], v[185:186], v[187:188]
	v_div_fmas_f64 v[181:182], v[181:182], v[183:184], v[185:186]
	v_div_fixup_f64 v[183:184], v[181:182], v[177:178], v[179:180]
	v_fma_f64 v[177:178], v[179:180], v[183:184], v[177:178]
	v_div_scale_f64 v[179:180], null, v[177:178], v[177:178], 1.0
	v_rcp_f64_e32 v[181:182], v[179:180]
	v_fma_f64 v[185:186], -v[179:180], v[181:182], 1.0
	v_fma_f64 v[181:182], v[181:182], v[185:186], v[181:182]
	v_fma_f64 v[185:186], -v[179:180], v[181:182], 1.0
	v_fma_f64 v[181:182], v[181:182], v[185:186], v[181:182]
	v_div_scale_f64 v[185:186], vcc_lo, 1.0, v[177:178], 1.0
	v_mul_f64 v[187:188], v[185:186], v[181:182]
	v_fma_f64 v[179:180], -v[179:180], v[187:188], v[185:186]
	v_div_fmas_f64 v[179:180], v[179:180], v[181:182], v[187:188]
	v_div_fixup_f64 v[181:182], v[179:180], v[177:178], 1.0
	v_mul_f64 v[183:184], v[183:184], -v[181:182]
.LBB87_142:
	s_or_b32 exec_lo, exec_lo, s1
	ds_write2_b64 v255, v[181:182], v[183:184] offset1:1
.LBB87_143:
	s_or_b32 exec_lo, exec_lo, s2
	s_waitcnt lgkmcnt(0)
	s_barrier
	buffer_gl0_inv
	ds_read2_b64 v[209:212], v255 offset1:1
	s_mov_b32 s1, exec_lo
	v_cmpx_lt_u32_e32 15, v0
	s_cbranch_execz .LBB87_145
; %bb.144:
	s_waitcnt lgkmcnt(0)
	v_mul_f64 v[177:178], v[211:212], v[115:116]
	v_mul_f64 v[115:116], v[209:210], v[115:116]
	ds_read2_b64 v[179:182], v253 offset0:32 offset1:33
	v_fma_f64 v[177:178], v[209:210], v[113:114], -v[177:178]
	v_fma_f64 v[115:116], v[211:212], v[113:114], v[115:116]
	s_waitcnt lgkmcnt(0)
	v_mul_f64 v[113:114], v[181:182], v[115:116]
	v_fma_f64 v[113:114], v[179:180], v[177:178], -v[113:114]
	v_mul_f64 v[179:180], v[179:180], v[115:116]
	v_add_f64 v[109:110], v[109:110], -v[113:114]
	v_fma_f64 v[179:180], v[181:182], v[177:178], v[179:180]
	v_add_f64 v[111:112], v[111:112], -v[179:180]
	ds_read2_b64 v[179:182], v253 offset0:34 offset1:35
	s_waitcnt lgkmcnt(0)
	v_mul_f64 v[113:114], v[181:182], v[115:116]
	v_fma_f64 v[113:114], v[179:180], v[177:178], -v[113:114]
	v_mul_f64 v[179:180], v[179:180], v[115:116]
	v_add_f64 v[105:106], v[105:106], -v[113:114]
	v_fma_f64 v[179:180], v[181:182], v[177:178], v[179:180]
	v_add_f64 v[107:108], v[107:108], -v[179:180]
	ds_read2_b64 v[179:182], v253 offset0:36 offset1:37
	;; [unrolled: 8-line block ×4, first 2 shown]
	s_clause 0x3
	buffer_load_dword v49, off, s[16:19], 0 offset:128
	buffer_load_dword v50, off, s[16:19], 0 offset:132
	buffer_load_dword v51, off, s[16:19], 0 offset:136
	buffer_load_dword v52, off, s[16:19], 0 offset:140
	s_waitcnt lgkmcnt(0)
	v_mul_f64 v[113:114], v[181:182], v[115:116]
	v_fma_f64 v[113:114], v[179:180], v[177:178], -v[113:114]
	v_mul_f64 v[179:180], v[179:180], v[115:116]
	v_fma_f64 v[179:180], v[181:182], v[177:178], v[179:180]
	s_waitcnt vmcnt(2)
	v_add_f64 v[49:50], v[49:50], -v[113:114]
	s_waitcnt vmcnt(0)
	v_add_f64 v[51:52], v[51:52], -v[179:180]
	buffer_store_dword v49, off, s[16:19], 0 offset:128 ; 4-byte Folded Spill
	buffer_store_dword v50, off, s[16:19], 0 offset:132 ; 4-byte Folded Spill
	buffer_store_dword v51, off, s[16:19], 0 offset:136 ; 4-byte Folded Spill
	buffer_store_dword v52, off, s[16:19], 0 offset:140 ; 4-byte Folded Spill
	ds_read2_b64 v[179:182], v253 offset0:42 offset1:43
	s_clause 0x3
	buffer_load_dword v49, off, s[16:19], 0 offset:112
	buffer_load_dword v50, off, s[16:19], 0 offset:116
	buffer_load_dword v51, off, s[16:19], 0 offset:120
	buffer_load_dword v52, off, s[16:19], 0 offset:124
	s_waitcnt lgkmcnt(0)
	v_mul_f64 v[113:114], v[181:182], v[115:116]
	v_fma_f64 v[113:114], v[179:180], v[177:178], -v[113:114]
	v_mul_f64 v[179:180], v[179:180], v[115:116]
	v_fma_f64 v[179:180], v[181:182], v[177:178], v[179:180]
	s_waitcnt vmcnt(2)
	v_add_f64 v[49:50], v[49:50], -v[113:114]
	s_waitcnt vmcnt(0)
	v_add_f64 v[51:52], v[51:52], -v[179:180]
	buffer_store_dword v49, off, s[16:19], 0 offset:112 ; 4-byte Folded Spill
	buffer_store_dword v50, off, s[16:19], 0 offset:116 ; 4-byte Folded Spill
	buffer_store_dword v51, off, s[16:19], 0 offset:120 ; 4-byte Folded Spill
	buffer_store_dword v52, off, s[16:19], 0 offset:124 ; 4-byte Folded Spill
	ds_read2_b64 v[179:182], v253 offset0:44 offset1:45
	s_clause 0x3
	buffer_load_dword v49, off, s[16:19], 0 offset:96
	buffer_load_dword v50, off, s[16:19], 0 offset:100
	buffer_load_dword v51, off, s[16:19], 0 offset:104
	buffer_load_dword v52, off, s[16:19], 0 offset:108
	s_waitcnt lgkmcnt(0)
	v_mul_f64 v[113:114], v[181:182], v[115:116]
	v_fma_f64 v[113:114], v[179:180], v[177:178], -v[113:114]
	v_mul_f64 v[179:180], v[179:180], v[115:116]
	v_fma_f64 v[179:180], v[181:182], v[177:178], v[179:180]
	s_waitcnt vmcnt(2)
	v_add_f64 v[49:50], v[49:50], -v[113:114]
	s_waitcnt vmcnt(0)
	v_add_f64 v[51:52], v[51:52], -v[179:180]
	buffer_store_dword v49, off, s[16:19], 0 offset:96 ; 4-byte Folded Spill
	buffer_store_dword v50, off, s[16:19], 0 offset:100 ; 4-byte Folded Spill
	buffer_store_dword v51, off, s[16:19], 0 offset:104 ; 4-byte Folded Spill
	buffer_store_dword v52, off, s[16:19], 0 offset:108 ; 4-byte Folded Spill
	ds_read2_b64 v[179:182], v253 offset0:46 offset1:47
	s_clause 0x3
	buffer_load_dword v49, off, s[16:19], 0 offset:80
	buffer_load_dword v50, off, s[16:19], 0 offset:84
	buffer_load_dword v51, off, s[16:19], 0 offset:88
	buffer_load_dword v52, off, s[16:19], 0 offset:92
	s_waitcnt lgkmcnt(0)
	v_mul_f64 v[113:114], v[181:182], v[115:116]
	v_fma_f64 v[113:114], v[179:180], v[177:178], -v[113:114]
	v_mul_f64 v[179:180], v[179:180], v[115:116]
	v_fma_f64 v[179:180], v[181:182], v[177:178], v[179:180]
	s_waitcnt vmcnt(2)
	v_add_f64 v[49:50], v[49:50], -v[113:114]
	s_waitcnt vmcnt(0)
	v_add_f64 v[51:52], v[51:52], -v[179:180]
	buffer_store_dword v49, off, s[16:19], 0 offset:80 ; 4-byte Folded Spill
	buffer_store_dword v50, off, s[16:19], 0 offset:84 ; 4-byte Folded Spill
	buffer_store_dword v51, off, s[16:19], 0 offset:88 ; 4-byte Folded Spill
	buffer_store_dword v52, off, s[16:19], 0 offset:92 ; 4-byte Folded Spill
	ds_read2_b64 v[179:182], v253 offset0:48 offset1:49
	s_clause 0x3
	buffer_load_dword v49, off, s[16:19], 0 offset:64
	buffer_load_dword v50, off, s[16:19], 0 offset:68
	buffer_load_dword v51, off, s[16:19], 0 offset:72
	buffer_load_dword v52, off, s[16:19], 0 offset:76
	s_waitcnt lgkmcnt(0)
	v_mul_f64 v[113:114], v[181:182], v[115:116]
	v_fma_f64 v[113:114], v[179:180], v[177:178], -v[113:114]
	v_mul_f64 v[179:180], v[179:180], v[115:116]
	v_fma_f64 v[179:180], v[181:182], v[177:178], v[179:180]
	s_waitcnt vmcnt(2)
	v_add_f64 v[49:50], v[49:50], -v[113:114]
	s_waitcnt vmcnt(0)
	v_add_f64 v[51:52], v[51:52], -v[179:180]
	buffer_store_dword v49, off, s[16:19], 0 offset:64 ; 4-byte Folded Spill
	buffer_store_dword v50, off, s[16:19], 0 offset:68 ; 4-byte Folded Spill
	buffer_store_dword v51, off, s[16:19], 0 offset:72 ; 4-byte Folded Spill
	buffer_store_dword v52, off, s[16:19], 0 offset:76 ; 4-byte Folded Spill
	ds_read2_b64 v[179:182], v253 offset0:50 offset1:51
	s_clause 0x3
	buffer_load_dword v49, off, s[16:19], 0 offset:48
	buffer_load_dword v50, off, s[16:19], 0 offset:52
	buffer_load_dword v51, off, s[16:19], 0 offset:56
	buffer_load_dword v52, off, s[16:19], 0 offset:60
	s_waitcnt lgkmcnt(0)
	v_mul_f64 v[113:114], v[181:182], v[115:116]
	v_fma_f64 v[113:114], v[179:180], v[177:178], -v[113:114]
	v_mul_f64 v[179:180], v[179:180], v[115:116]
	v_fma_f64 v[179:180], v[181:182], v[177:178], v[179:180]
	s_waitcnt vmcnt(2)
	v_add_f64 v[49:50], v[49:50], -v[113:114]
	s_waitcnt vmcnt(0)
	v_add_f64 v[51:52], v[51:52], -v[179:180]
	buffer_store_dword v49, off, s[16:19], 0 offset:48 ; 4-byte Folded Spill
	buffer_store_dword v50, off, s[16:19], 0 offset:52 ; 4-byte Folded Spill
	buffer_store_dword v51, off, s[16:19], 0 offset:56 ; 4-byte Folded Spill
	buffer_store_dword v52, off, s[16:19], 0 offset:60 ; 4-byte Folded Spill
	ds_read2_b64 v[179:182], v253 offset0:52 offset1:53
	s_clause 0x3
	buffer_load_dword v49, off, s[16:19], 0 offset:32
	buffer_load_dword v50, off, s[16:19], 0 offset:36
	buffer_load_dword v51, off, s[16:19], 0 offset:40
	buffer_load_dword v52, off, s[16:19], 0 offset:44
	s_waitcnt lgkmcnt(0)
	v_mul_f64 v[113:114], v[181:182], v[115:116]
	v_fma_f64 v[113:114], v[179:180], v[177:178], -v[113:114]
	v_mul_f64 v[179:180], v[179:180], v[115:116]
	v_fma_f64 v[179:180], v[181:182], v[177:178], v[179:180]
	s_waitcnt vmcnt(2)
	v_add_f64 v[49:50], v[49:50], -v[113:114]
	s_waitcnt vmcnt(0)
	v_add_f64 v[51:52], v[51:52], -v[179:180]
	buffer_store_dword v49, off, s[16:19], 0 offset:32 ; 4-byte Folded Spill
	buffer_store_dword v50, off, s[16:19], 0 offset:36 ; 4-byte Folded Spill
	buffer_store_dword v51, off, s[16:19], 0 offset:40 ; 4-byte Folded Spill
	buffer_store_dword v52, off, s[16:19], 0 offset:44 ; 4-byte Folded Spill
	ds_read2_b64 v[179:182], v253 offset0:54 offset1:55
	s_clause 0x3
	buffer_load_dword v49, off, s[16:19], 0 offset:16
	buffer_load_dword v50, off, s[16:19], 0 offset:20
	buffer_load_dword v51, off, s[16:19], 0 offset:24
	buffer_load_dword v52, off, s[16:19], 0 offset:28
	s_waitcnt lgkmcnt(0)
	v_mul_f64 v[113:114], v[181:182], v[115:116]
	v_fma_f64 v[113:114], v[179:180], v[177:178], -v[113:114]
	v_mul_f64 v[179:180], v[179:180], v[115:116]
	v_fma_f64 v[179:180], v[181:182], v[177:178], v[179:180]
	s_waitcnt vmcnt(2)
	v_add_f64 v[49:50], v[49:50], -v[113:114]
	s_waitcnt vmcnt(0)
	v_add_f64 v[51:52], v[51:52], -v[179:180]
	buffer_store_dword v49, off, s[16:19], 0 offset:16 ; 4-byte Folded Spill
	buffer_store_dword v50, off, s[16:19], 0 offset:20 ; 4-byte Folded Spill
	buffer_store_dword v51, off, s[16:19], 0 offset:24 ; 4-byte Folded Spill
	buffer_store_dword v52, off, s[16:19], 0 offset:28 ; 4-byte Folded Spill
	ds_read2_b64 v[179:182], v253 offset0:56 offset1:57
	s_clause 0x3
	buffer_load_dword v49, off, s[16:19], 0
	buffer_load_dword v50, off, s[16:19], 0 offset:4
	buffer_load_dword v51, off, s[16:19], 0 offset:8
	;; [unrolled: 1-line block ×3, first 2 shown]
	s_waitcnt lgkmcnt(0)
	v_mul_f64 v[113:114], v[181:182], v[115:116]
	v_fma_f64 v[113:114], v[179:180], v[177:178], -v[113:114]
	v_mul_f64 v[179:180], v[179:180], v[115:116]
	v_fma_f64 v[179:180], v[181:182], v[177:178], v[179:180]
	s_waitcnt vmcnt(2)
	v_add_f64 v[49:50], v[49:50], -v[113:114]
	s_waitcnt vmcnt(0)
	v_add_f64 v[51:52], v[51:52], -v[179:180]
	buffer_store_dword v49, off, s[16:19], 0 ; 4-byte Folded Spill
	buffer_store_dword v50, off, s[16:19], 0 offset:4 ; 4-byte Folded Spill
	buffer_store_dword v51, off, s[16:19], 0 offset:8 ; 4-byte Folded Spill
	;; [unrolled: 1-line block ×3, first 2 shown]
	ds_read2_b64 v[179:182], v253 offset0:58 offset1:59
	s_waitcnt lgkmcnt(0)
	v_mul_f64 v[113:114], v[181:182], v[115:116]
	v_fma_f64 v[113:114], v[179:180], v[177:178], -v[113:114]
	v_mul_f64 v[179:180], v[179:180], v[115:116]
	v_add_f64 v[57:58], v[57:58], -v[113:114]
	v_fma_f64 v[179:180], v[181:182], v[177:178], v[179:180]
	v_add_f64 v[59:60], v[59:60], -v[179:180]
	ds_read2_b64 v[179:182], v253 offset0:60 offset1:61
	s_waitcnt lgkmcnt(0)
	v_mul_f64 v[113:114], v[181:182], v[115:116]
	v_fma_f64 v[113:114], v[179:180], v[177:178], -v[113:114]
	v_mul_f64 v[179:180], v[179:180], v[115:116]
	v_add_f64 v[241:242], v[241:242], -v[113:114]
	v_fma_f64 v[179:180], v[181:182], v[177:178], v[179:180]
	v_add_f64 v[243:244], v[243:244], -v[179:180]
	;; [unrolled: 8-line block ×14, first 2 shown]
	ds_read2_b64 v[179:182], v253 offset0:86 offset1:87
	s_waitcnt lgkmcnt(0)
	v_mul_f64 v[113:114], v[181:182], v[115:116]
	v_fma_f64 v[113:114], v[179:180], v[177:178], -v[113:114]
	v_mul_f64 v[179:180], v[179:180], v[115:116]
	v_add_f64 v[1:2], v[1:2], -v[113:114]
	v_fma_f64 v[179:180], v[181:182], v[177:178], v[179:180]
	v_mov_b32_e32 v113, v177
	v_mov_b32_e32 v114, v178
	v_add_f64 v[3:4], v[3:4], -v[179:180]
.LBB87_145:
	s_or_b32 exec_lo, exec_lo, s1
	s_mov_b32 s2, exec_lo
	s_waitcnt lgkmcnt(0)
	s_waitcnt_vscnt null, 0x0
	s_barrier
	buffer_gl0_inv
	v_cmpx_eq_u32_e32 16, v0
	s_cbranch_execz .LBB87_152
; %bb.146:
	ds_write2_b64 v255, v[109:110], v[111:112] offset1:1
	ds_write2_b64 v253, v[105:106], v[107:108] offset0:34 offset1:35
	ds_write2_b64 v253, v[101:102], v[103:104] offset0:36 offset1:37
	;; [unrolled: 1-line block ×3, first 2 shown]
	s_clause 0x3
	buffer_load_dword v49, off, s[16:19], 0 offset:128
	buffer_load_dword v50, off, s[16:19], 0 offset:132
	buffer_load_dword v51, off, s[16:19], 0 offset:136
	buffer_load_dword v52, off, s[16:19], 0 offset:140
	s_waitcnt vmcnt(0)
	ds_write2_b64 v253, v[49:50], v[51:52] offset0:40 offset1:41
	s_clause 0x3
	buffer_load_dword v49, off, s[16:19], 0 offset:112
	buffer_load_dword v50, off, s[16:19], 0 offset:116
	buffer_load_dword v51, off, s[16:19], 0 offset:120
	buffer_load_dword v52, off, s[16:19], 0 offset:124
	s_waitcnt vmcnt(0)
	ds_write2_b64 v253, v[49:50], v[51:52] offset0:42 offset1:43
	;; [unrolled: 7-line block ×8, first 2 shown]
	s_clause 0x3
	buffer_load_dword v49, off, s[16:19], 0
	buffer_load_dword v50, off, s[16:19], 0 offset:4
	buffer_load_dword v51, off, s[16:19], 0 offset:8
	;; [unrolled: 1-line block ×3, first 2 shown]
	s_waitcnt vmcnt(0)
	ds_write2_b64 v253, v[49:50], v[51:52] offset0:56 offset1:57
	ds_write2_b64 v253, v[57:58], v[59:60] offset0:58 offset1:59
	;; [unrolled: 1-line block ×16, first 2 shown]
	ds_read2_b64 v[177:180], v255 offset1:1
	s_waitcnt lgkmcnt(0)
	v_cmp_neq_f64_e32 vcc_lo, 0, v[177:178]
	v_cmp_neq_f64_e64 s1, 0, v[179:180]
	s_or_b32 s1, vcc_lo, s1
	s_and_b32 exec_lo, exec_lo, s1
	s_cbranch_execz .LBB87_152
; %bb.147:
	v_cmp_ngt_f64_e64 s1, |v[177:178]|, |v[179:180]|
                                        ; implicit-def: $vgpr181_vgpr182
	s_and_saveexec_b32 s3, s1
	s_xor_b32 s1, exec_lo, s3
                                        ; implicit-def: $vgpr183_vgpr184
	s_cbranch_execz .LBB87_149
; %bb.148:
	v_div_scale_f64 v[181:182], null, v[179:180], v[179:180], v[177:178]
	v_div_scale_f64 v[187:188], vcc_lo, v[177:178], v[179:180], v[177:178]
	v_rcp_f64_e32 v[183:184], v[181:182]
	v_fma_f64 v[185:186], -v[181:182], v[183:184], 1.0
	v_fma_f64 v[183:184], v[183:184], v[185:186], v[183:184]
	v_fma_f64 v[185:186], -v[181:182], v[183:184], 1.0
	v_fma_f64 v[183:184], v[183:184], v[185:186], v[183:184]
	v_mul_f64 v[185:186], v[187:188], v[183:184]
	v_fma_f64 v[181:182], -v[181:182], v[185:186], v[187:188]
	v_div_fmas_f64 v[181:182], v[181:182], v[183:184], v[185:186]
	v_div_fixup_f64 v[181:182], v[181:182], v[179:180], v[177:178]
	v_fma_f64 v[177:178], v[177:178], v[181:182], v[179:180]
	v_div_scale_f64 v[179:180], null, v[177:178], v[177:178], 1.0
	v_rcp_f64_e32 v[183:184], v[179:180]
	v_fma_f64 v[185:186], -v[179:180], v[183:184], 1.0
	v_fma_f64 v[183:184], v[183:184], v[185:186], v[183:184]
	v_fma_f64 v[185:186], -v[179:180], v[183:184], 1.0
	v_fma_f64 v[183:184], v[183:184], v[185:186], v[183:184]
	v_div_scale_f64 v[185:186], vcc_lo, 1.0, v[177:178], 1.0
	v_mul_f64 v[187:188], v[185:186], v[183:184]
	v_fma_f64 v[179:180], -v[179:180], v[187:188], v[185:186]
	v_div_fmas_f64 v[179:180], v[179:180], v[183:184], v[187:188]
	v_div_fixup_f64 v[183:184], v[179:180], v[177:178], 1.0
                                        ; implicit-def: $vgpr177_vgpr178
	v_mul_f64 v[181:182], v[181:182], v[183:184]
	v_xor_b32_e32 v184, 0x80000000, v184
.LBB87_149:
	s_andn2_saveexec_b32 s1, s1
	s_cbranch_execz .LBB87_151
; %bb.150:
	v_div_scale_f64 v[181:182], null, v[177:178], v[177:178], v[179:180]
	v_div_scale_f64 v[187:188], vcc_lo, v[179:180], v[177:178], v[179:180]
	v_rcp_f64_e32 v[183:184], v[181:182]
	v_fma_f64 v[185:186], -v[181:182], v[183:184], 1.0
	v_fma_f64 v[183:184], v[183:184], v[185:186], v[183:184]
	v_fma_f64 v[185:186], -v[181:182], v[183:184], 1.0
	v_fma_f64 v[183:184], v[183:184], v[185:186], v[183:184]
	v_mul_f64 v[185:186], v[187:188], v[183:184]
	v_fma_f64 v[181:182], -v[181:182], v[185:186], v[187:188]
	v_div_fmas_f64 v[181:182], v[181:182], v[183:184], v[185:186]
	v_div_fixup_f64 v[183:184], v[181:182], v[177:178], v[179:180]
	v_fma_f64 v[177:178], v[179:180], v[183:184], v[177:178]
	v_div_scale_f64 v[179:180], null, v[177:178], v[177:178], 1.0
	v_rcp_f64_e32 v[181:182], v[179:180]
	v_fma_f64 v[185:186], -v[179:180], v[181:182], 1.0
	v_fma_f64 v[181:182], v[181:182], v[185:186], v[181:182]
	v_fma_f64 v[185:186], -v[179:180], v[181:182], 1.0
	v_fma_f64 v[181:182], v[181:182], v[185:186], v[181:182]
	v_div_scale_f64 v[185:186], vcc_lo, 1.0, v[177:178], 1.0
	v_mul_f64 v[187:188], v[185:186], v[181:182]
	v_fma_f64 v[179:180], -v[179:180], v[187:188], v[185:186]
	v_div_fmas_f64 v[179:180], v[179:180], v[181:182], v[187:188]
	v_div_fixup_f64 v[181:182], v[179:180], v[177:178], 1.0
	v_mul_f64 v[183:184], v[183:184], -v[181:182]
.LBB87_151:
	s_or_b32 exec_lo, exec_lo, s1
	ds_write2_b64 v255, v[181:182], v[183:184] offset1:1
.LBB87_152:
	s_or_b32 exec_lo, exec_lo, s2
	s_waitcnt lgkmcnt(0)
	s_barrier
	buffer_gl0_inv
	ds_read2_b64 v[173:176], v255 offset1:1
	s_mov_b32 s1, exec_lo
	v_cmpx_lt_u32_e32 16, v0
	s_cbranch_execz .LBB87_154
; %bb.153:
	s_waitcnt lgkmcnt(0)
	v_mul_f64 v[177:178], v[175:176], v[111:112]
	v_mul_f64 v[111:112], v[173:174], v[111:112]
	ds_read2_b64 v[179:182], v253 offset0:34 offset1:35
	v_fma_f64 v[177:178], v[173:174], v[109:110], -v[177:178]
	v_fma_f64 v[111:112], v[175:176], v[109:110], v[111:112]
	s_waitcnt lgkmcnt(0)
	v_mul_f64 v[109:110], v[181:182], v[111:112]
	v_fma_f64 v[109:110], v[179:180], v[177:178], -v[109:110]
	v_mul_f64 v[179:180], v[179:180], v[111:112]
	v_add_f64 v[105:106], v[105:106], -v[109:110]
	v_fma_f64 v[179:180], v[181:182], v[177:178], v[179:180]
	v_add_f64 v[107:108], v[107:108], -v[179:180]
	ds_read2_b64 v[179:182], v253 offset0:36 offset1:37
	s_waitcnt lgkmcnt(0)
	v_mul_f64 v[109:110], v[181:182], v[111:112]
	v_fma_f64 v[109:110], v[179:180], v[177:178], -v[109:110]
	v_mul_f64 v[179:180], v[179:180], v[111:112]
	v_add_f64 v[101:102], v[101:102], -v[109:110]
	v_fma_f64 v[179:180], v[181:182], v[177:178], v[179:180]
	v_add_f64 v[103:104], v[103:104], -v[179:180]
	ds_read2_b64 v[179:182], v253 offset0:38 offset1:39
	;; [unrolled: 8-line block ×3, first 2 shown]
	s_clause 0x3
	buffer_load_dword v49, off, s[16:19], 0 offset:128
	buffer_load_dword v50, off, s[16:19], 0 offset:132
	buffer_load_dword v51, off, s[16:19], 0 offset:136
	buffer_load_dword v52, off, s[16:19], 0 offset:140
	s_waitcnt lgkmcnt(0)
	v_mul_f64 v[109:110], v[181:182], v[111:112]
	v_fma_f64 v[109:110], v[179:180], v[177:178], -v[109:110]
	v_mul_f64 v[179:180], v[179:180], v[111:112]
	v_fma_f64 v[179:180], v[181:182], v[177:178], v[179:180]
	s_waitcnt vmcnt(2)
	v_add_f64 v[49:50], v[49:50], -v[109:110]
	s_waitcnt vmcnt(0)
	v_add_f64 v[51:52], v[51:52], -v[179:180]
	buffer_store_dword v49, off, s[16:19], 0 offset:128 ; 4-byte Folded Spill
	buffer_store_dword v50, off, s[16:19], 0 offset:132 ; 4-byte Folded Spill
	buffer_store_dword v51, off, s[16:19], 0 offset:136 ; 4-byte Folded Spill
	buffer_store_dword v52, off, s[16:19], 0 offset:140 ; 4-byte Folded Spill
	ds_read2_b64 v[179:182], v253 offset0:42 offset1:43
	s_clause 0x3
	buffer_load_dword v49, off, s[16:19], 0 offset:112
	buffer_load_dword v50, off, s[16:19], 0 offset:116
	buffer_load_dword v51, off, s[16:19], 0 offset:120
	buffer_load_dword v52, off, s[16:19], 0 offset:124
	s_waitcnt lgkmcnt(0)
	v_mul_f64 v[109:110], v[181:182], v[111:112]
	v_fma_f64 v[109:110], v[179:180], v[177:178], -v[109:110]
	v_mul_f64 v[179:180], v[179:180], v[111:112]
	v_fma_f64 v[179:180], v[181:182], v[177:178], v[179:180]
	s_waitcnt vmcnt(2)
	v_add_f64 v[49:50], v[49:50], -v[109:110]
	s_waitcnt vmcnt(0)
	v_add_f64 v[51:52], v[51:52], -v[179:180]
	buffer_store_dword v49, off, s[16:19], 0 offset:112 ; 4-byte Folded Spill
	buffer_store_dword v50, off, s[16:19], 0 offset:116 ; 4-byte Folded Spill
	buffer_store_dword v51, off, s[16:19], 0 offset:120 ; 4-byte Folded Spill
	buffer_store_dword v52, off, s[16:19], 0 offset:124 ; 4-byte Folded Spill
	ds_read2_b64 v[179:182], v253 offset0:44 offset1:45
	s_clause 0x3
	buffer_load_dword v49, off, s[16:19], 0 offset:96
	buffer_load_dword v50, off, s[16:19], 0 offset:100
	buffer_load_dword v51, off, s[16:19], 0 offset:104
	buffer_load_dword v52, off, s[16:19], 0 offset:108
	s_waitcnt lgkmcnt(0)
	v_mul_f64 v[109:110], v[181:182], v[111:112]
	v_fma_f64 v[109:110], v[179:180], v[177:178], -v[109:110]
	v_mul_f64 v[179:180], v[179:180], v[111:112]
	v_fma_f64 v[179:180], v[181:182], v[177:178], v[179:180]
	s_waitcnt vmcnt(2)
	v_add_f64 v[49:50], v[49:50], -v[109:110]
	s_waitcnt vmcnt(0)
	v_add_f64 v[51:52], v[51:52], -v[179:180]
	buffer_store_dword v49, off, s[16:19], 0 offset:96 ; 4-byte Folded Spill
	buffer_store_dword v50, off, s[16:19], 0 offset:100 ; 4-byte Folded Spill
	buffer_store_dword v51, off, s[16:19], 0 offset:104 ; 4-byte Folded Spill
	buffer_store_dword v52, off, s[16:19], 0 offset:108 ; 4-byte Folded Spill
	ds_read2_b64 v[179:182], v253 offset0:46 offset1:47
	s_clause 0x3
	buffer_load_dword v49, off, s[16:19], 0 offset:80
	buffer_load_dword v50, off, s[16:19], 0 offset:84
	buffer_load_dword v51, off, s[16:19], 0 offset:88
	buffer_load_dword v52, off, s[16:19], 0 offset:92
	s_waitcnt lgkmcnt(0)
	v_mul_f64 v[109:110], v[181:182], v[111:112]
	v_fma_f64 v[109:110], v[179:180], v[177:178], -v[109:110]
	v_mul_f64 v[179:180], v[179:180], v[111:112]
	v_fma_f64 v[179:180], v[181:182], v[177:178], v[179:180]
	s_waitcnt vmcnt(2)
	v_add_f64 v[49:50], v[49:50], -v[109:110]
	s_waitcnt vmcnt(0)
	v_add_f64 v[51:52], v[51:52], -v[179:180]
	buffer_store_dword v49, off, s[16:19], 0 offset:80 ; 4-byte Folded Spill
	buffer_store_dword v50, off, s[16:19], 0 offset:84 ; 4-byte Folded Spill
	buffer_store_dword v51, off, s[16:19], 0 offset:88 ; 4-byte Folded Spill
	buffer_store_dword v52, off, s[16:19], 0 offset:92 ; 4-byte Folded Spill
	ds_read2_b64 v[179:182], v253 offset0:48 offset1:49
	s_clause 0x3
	buffer_load_dword v49, off, s[16:19], 0 offset:64
	buffer_load_dword v50, off, s[16:19], 0 offset:68
	buffer_load_dword v51, off, s[16:19], 0 offset:72
	buffer_load_dword v52, off, s[16:19], 0 offset:76
	s_waitcnt lgkmcnt(0)
	v_mul_f64 v[109:110], v[181:182], v[111:112]
	v_fma_f64 v[109:110], v[179:180], v[177:178], -v[109:110]
	v_mul_f64 v[179:180], v[179:180], v[111:112]
	v_fma_f64 v[179:180], v[181:182], v[177:178], v[179:180]
	s_waitcnt vmcnt(2)
	v_add_f64 v[49:50], v[49:50], -v[109:110]
	s_waitcnt vmcnt(0)
	v_add_f64 v[51:52], v[51:52], -v[179:180]
	buffer_store_dword v49, off, s[16:19], 0 offset:64 ; 4-byte Folded Spill
	buffer_store_dword v50, off, s[16:19], 0 offset:68 ; 4-byte Folded Spill
	buffer_store_dword v51, off, s[16:19], 0 offset:72 ; 4-byte Folded Spill
	buffer_store_dword v52, off, s[16:19], 0 offset:76 ; 4-byte Folded Spill
	ds_read2_b64 v[179:182], v253 offset0:50 offset1:51
	s_clause 0x3
	buffer_load_dword v49, off, s[16:19], 0 offset:48
	buffer_load_dword v50, off, s[16:19], 0 offset:52
	buffer_load_dword v51, off, s[16:19], 0 offset:56
	buffer_load_dword v52, off, s[16:19], 0 offset:60
	s_waitcnt lgkmcnt(0)
	v_mul_f64 v[109:110], v[181:182], v[111:112]
	v_fma_f64 v[109:110], v[179:180], v[177:178], -v[109:110]
	v_mul_f64 v[179:180], v[179:180], v[111:112]
	v_fma_f64 v[179:180], v[181:182], v[177:178], v[179:180]
	s_waitcnt vmcnt(2)
	v_add_f64 v[49:50], v[49:50], -v[109:110]
	s_waitcnt vmcnt(0)
	v_add_f64 v[51:52], v[51:52], -v[179:180]
	buffer_store_dword v49, off, s[16:19], 0 offset:48 ; 4-byte Folded Spill
	buffer_store_dword v50, off, s[16:19], 0 offset:52 ; 4-byte Folded Spill
	buffer_store_dword v51, off, s[16:19], 0 offset:56 ; 4-byte Folded Spill
	buffer_store_dword v52, off, s[16:19], 0 offset:60 ; 4-byte Folded Spill
	ds_read2_b64 v[179:182], v253 offset0:52 offset1:53
	s_clause 0x3
	buffer_load_dword v49, off, s[16:19], 0 offset:32
	buffer_load_dword v50, off, s[16:19], 0 offset:36
	buffer_load_dword v51, off, s[16:19], 0 offset:40
	buffer_load_dword v52, off, s[16:19], 0 offset:44
	s_waitcnt lgkmcnt(0)
	v_mul_f64 v[109:110], v[181:182], v[111:112]
	v_fma_f64 v[109:110], v[179:180], v[177:178], -v[109:110]
	v_mul_f64 v[179:180], v[179:180], v[111:112]
	v_fma_f64 v[179:180], v[181:182], v[177:178], v[179:180]
	s_waitcnt vmcnt(2)
	v_add_f64 v[49:50], v[49:50], -v[109:110]
	s_waitcnt vmcnt(0)
	v_add_f64 v[51:52], v[51:52], -v[179:180]
	buffer_store_dword v49, off, s[16:19], 0 offset:32 ; 4-byte Folded Spill
	buffer_store_dword v50, off, s[16:19], 0 offset:36 ; 4-byte Folded Spill
	buffer_store_dword v51, off, s[16:19], 0 offset:40 ; 4-byte Folded Spill
	buffer_store_dword v52, off, s[16:19], 0 offset:44 ; 4-byte Folded Spill
	ds_read2_b64 v[179:182], v253 offset0:54 offset1:55
	s_clause 0x3
	buffer_load_dword v49, off, s[16:19], 0 offset:16
	buffer_load_dword v50, off, s[16:19], 0 offset:20
	buffer_load_dword v51, off, s[16:19], 0 offset:24
	buffer_load_dword v52, off, s[16:19], 0 offset:28
	s_waitcnt lgkmcnt(0)
	v_mul_f64 v[109:110], v[181:182], v[111:112]
	v_fma_f64 v[109:110], v[179:180], v[177:178], -v[109:110]
	v_mul_f64 v[179:180], v[179:180], v[111:112]
	v_fma_f64 v[179:180], v[181:182], v[177:178], v[179:180]
	s_waitcnt vmcnt(2)
	v_add_f64 v[49:50], v[49:50], -v[109:110]
	s_waitcnt vmcnt(0)
	v_add_f64 v[51:52], v[51:52], -v[179:180]
	buffer_store_dword v49, off, s[16:19], 0 offset:16 ; 4-byte Folded Spill
	buffer_store_dword v50, off, s[16:19], 0 offset:20 ; 4-byte Folded Spill
	buffer_store_dword v51, off, s[16:19], 0 offset:24 ; 4-byte Folded Spill
	buffer_store_dword v52, off, s[16:19], 0 offset:28 ; 4-byte Folded Spill
	ds_read2_b64 v[179:182], v253 offset0:56 offset1:57
	s_clause 0x3
	buffer_load_dword v49, off, s[16:19], 0
	buffer_load_dword v50, off, s[16:19], 0 offset:4
	buffer_load_dword v51, off, s[16:19], 0 offset:8
	;; [unrolled: 1-line block ×3, first 2 shown]
	s_waitcnt lgkmcnt(0)
	v_mul_f64 v[109:110], v[181:182], v[111:112]
	v_fma_f64 v[109:110], v[179:180], v[177:178], -v[109:110]
	v_mul_f64 v[179:180], v[179:180], v[111:112]
	v_fma_f64 v[179:180], v[181:182], v[177:178], v[179:180]
	s_waitcnt vmcnt(2)
	v_add_f64 v[49:50], v[49:50], -v[109:110]
	s_waitcnt vmcnt(0)
	v_add_f64 v[51:52], v[51:52], -v[179:180]
	buffer_store_dword v49, off, s[16:19], 0 ; 4-byte Folded Spill
	buffer_store_dword v50, off, s[16:19], 0 offset:4 ; 4-byte Folded Spill
	buffer_store_dword v51, off, s[16:19], 0 offset:8 ; 4-byte Folded Spill
	;; [unrolled: 1-line block ×3, first 2 shown]
	ds_read2_b64 v[179:182], v253 offset0:58 offset1:59
	s_waitcnt lgkmcnt(0)
	v_mul_f64 v[109:110], v[181:182], v[111:112]
	v_fma_f64 v[109:110], v[179:180], v[177:178], -v[109:110]
	v_mul_f64 v[179:180], v[179:180], v[111:112]
	v_add_f64 v[57:58], v[57:58], -v[109:110]
	v_fma_f64 v[179:180], v[181:182], v[177:178], v[179:180]
	v_add_f64 v[59:60], v[59:60], -v[179:180]
	ds_read2_b64 v[179:182], v253 offset0:60 offset1:61
	s_waitcnt lgkmcnt(0)
	v_mul_f64 v[109:110], v[181:182], v[111:112]
	v_fma_f64 v[109:110], v[179:180], v[177:178], -v[109:110]
	v_mul_f64 v[179:180], v[179:180], v[111:112]
	v_add_f64 v[241:242], v[241:242], -v[109:110]
	v_fma_f64 v[179:180], v[181:182], v[177:178], v[179:180]
	v_add_f64 v[243:244], v[243:244], -v[179:180]
	;; [unrolled: 8-line block ×14, first 2 shown]
	ds_read2_b64 v[179:182], v253 offset0:86 offset1:87
	s_waitcnt lgkmcnt(0)
	v_mul_f64 v[109:110], v[181:182], v[111:112]
	v_fma_f64 v[109:110], v[179:180], v[177:178], -v[109:110]
	v_mul_f64 v[179:180], v[179:180], v[111:112]
	v_add_f64 v[1:2], v[1:2], -v[109:110]
	v_fma_f64 v[179:180], v[181:182], v[177:178], v[179:180]
	v_mov_b32_e32 v109, v177
	v_mov_b32_e32 v110, v178
	v_add_f64 v[3:4], v[3:4], -v[179:180]
.LBB87_154:
	s_or_b32 exec_lo, exec_lo, s1
	s_mov_b32 s2, exec_lo
	s_waitcnt lgkmcnt(0)
	s_waitcnt_vscnt null, 0x0
	s_barrier
	buffer_gl0_inv
	v_cmpx_eq_u32_e32 17, v0
	s_cbranch_execz .LBB87_161
; %bb.155:
	ds_write2_b64 v255, v[105:106], v[107:108] offset1:1
	ds_write2_b64 v253, v[101:102], v[103:104] offset0:36 offset1:37
	ds_write2_b64 v253, v[97:98], v[99:100] offset0:38 offset1:39
	s_clause 0x3
	buffer_load_dword v49, off, s[16:19], 0 offset:128
	buffer_load_dword v50, off, s[16:19], 0 offset:132
	buffer_load_dword v51, off, s[16:19], 0 offset:136
	buffer_load_dword v52, off, s[16:19], 0 offset:140
	s_waitcnt vmcnt(0)
	ds_write2_b64 v253, v[49:50], v[51:52] offset0:40 offset1:41
	s_clause 0x3
	buffer_load_dword v49, off, s[16:19], 0 offset:112
	buffer_load_dword v50, off, s[16:19], 0 offset:116
	buffer_load_dword v51, off, s[16:19], 0 offset:120
	buffer_load_dword v52, off, s[16:19], 0 offset:124
	s_waitcnt vmcnt(0)
	;; [unrolled: 7-line block ×8, first 2 shown]
	ds_write2_b64 v253, v[49:50], v[51:52] offset0:54 offset1:55
	s_clause 0x3
	buffer_load_dword v49, off, s[16:19], 0
	buffer_load_dword v50, off, s[16:19], 0 offset:4
	buffer_load_dword v51, off, s[16:19], 0 offset:8
	buffer_load_dword v52, off, s[16:19], 0 offset:12
	s_waitcnt vmcnt(0)
	ds_write2_b64 v253, v[49:50], v[51:52] offset0:56 offset1:57
	ds_write2_b64 v253, v[57:58], v[59:60] offset0:58 offset1:59
	;; [unrolled: 1-line block ×16, first 2 shown]
	ds_read2_b64 v[177:180], v255 offset1:1
	s_waitcnt lgkmcnt(0)
	v_cmp_neq_f64_e32 vcc_lo, 0, v[177:178]
	v_cmp_neq_f64_e64 s1, 0, v[179:180]
	s_or_b32 s1, vcc_lo, s1
	s_and_b32 exec_lo, exec_lo, s1
	s_cbranch_execz .LBB87_161
; %bb.156:
	v_cmp_ngt_f64_e64 s1, |v[177:178]|, |v[179:180]|
                                        ; implicit-def: $vgpr181_vgpr182
	s_and_saveexec_b32 s3, s1
	s_xor_b32 s1, exec_lo, s3
                                        ; implicit-def: $vgpr183_vgpr184
	s_cbranch_execz .LBB87_158
; %bb.157:
	v_div_scale_f64 v[181:182], null, v[179:180], v[179:180], v[177:178]
	v_div_scale_f64 v[187:188], vcc_lo, v[177:178], v[179:180], v[177:178]
	v_rcp_f64_e32 v[183:184], v[181:182]
	v_fma_f64 v[185:186], -v[181:182], v[183:184], 1.0
	v_fma_f64 v[183:184], v[183:184], v[185:186], v[183:184]
	v_fma_f64 v[185:186], -v[181:182], v[183:184], 1.0
	v_fma_f64 v[183:184], v[183:184], v[185:186], v[183:184]
	v_mul_f64 v[185:186], v[187:188], v[183:184]
	v_fma_f64 v[181:182], -v[181:182], v[185:186], v[187:188]
	v_div_fmas_f64 v[181:182], v[181:182], v[183:184], v[185:186]
	v_div_fixup_f64 v[181:182], v[181:182], v[179:180], v[177:178]
	v_fma_f64 v[177:178], v[177:178], v[181:182], v[179:180]
	v_div_scale_f64 v[179:180], null, v[177:178], v[177:178], 1.0
	v_rcp_f64_e32 v[183:184], v[179:180]
	v_fma_f64 v[185:186], -v[179:180], v[183:184], 1.0
	v_fma_f64 v[183:184], v[183:184], v[185:186], v[183:184]
	v_fma_f64 v[185:186], -v[179:180], v[183:184], 1.0
	v_fma_f64 v[183:184], v[183:184], v[185:186], v[183:184]
	v_div_scale_f64 v[185:186], vcc_lo, 1.0, v[177:178], 1.0
	v_mul_f64 v[187:188], v[185:186], v[183:184]
	v_fma_f64 v[179:180], -v[179:180], v[187:188], v[185:186]
	v_div_fmas_f64 v[179:180], v[179:180], v[183:184], v[187:188]
	v_div_fixup_f64 v[183:184], v[179:180], v[177:178], 1.0
                                        ; implicit-def: $vgpr177_vgpr178
	v_mul_f64 v[181:182], v[181:182], v[183:184]
	v_xor_b32_e32 v184, 0x80000000, v184
.LBB87_158:
	s_andn2_saveexec_b32 s1, s1
	s_cbranch_execz .LBB87_160
; %bb.159:
	v_div_scale_f64 v[181:182], null, v[177:178], v[177:178], v[179:180]
	v_div_scale_f64 v[187:188], vcc_lo, v[179:180], v[177:178], v[179:180]
	v_rcp_f64_e32 v[183:184], v[181:182]
	v_fma_f64 v[185:186], -v[181:182], v[183:184], 1.0
	v_fma_f64 v[183:184], v[183:184], v[185:186], v[183:184]
	v_fma_f64 v[185:186], -v[181:182], v[183:184], 1.0
	v_fma_f64 v[183:184], v[183:184], v[185:186], v[183:184]
	v_mul_f64 v[185:186], v[187:188], v[183:184]
	v_fma_f64 v[181:182], -v[181:182], v[185:186], v[187:188]
	v_div_fmas_f64 v[181:182], v[181:182], v[183:184], v[185:186]
	v_div_fixup_f64 v[183:184], v[181:182], v[177:178], v[179:180]
	v_fma_f64 v[177:178], v[179:180], v[183:184], v[177:178]
	v_div_scale_f64 v[179:180], null, v[177:178], v[177:178], 1.0
	v_rcp_f64_e32 v[181:182], v[179:180]
	v_fma_f64 v[185:186], -v[179:180], v[181:182], 1.0
	v_fma_f64 v[181:182], v[181:182], v[185:186], v[181:182]
	v_fma_f64 v[185:186], -v[179:180], v[181:182], 1.0
	v_fma_f64 v[181:182], v[181:182], v[185:186], v[181:182]
	v_div_scale_f64 v[185:186], vcc_lo, 1.0, v[177:178], 1.0
	v_mul_f64 v[187:188], v[185:186], v[181:182]
	v_fma_f64 v[179:180], -v[179:180], v[187:188], v[185:186]
	v_div_fmas_f64 v[179:180], v[179:180], v[181:182], v[187:188]
	v_div_fixup_f64 v[181:182], v[179:180], v[177:178], 1.0
	v_mul_f64 v[183:184], v[183:184], -v[181:182]
.LBB87_160:
	s_or_b32 exec_lo, exec_lo, s1
	ds_write2_b64 v255, v[181:182], v[183:184] offset1:1
.LBB87_161:
	s_or_b32 exec_lo, exec_lo, s2
	s_waitcnt lgkmcnt(0)
	s_barrier
	buffer_gl0_inv
	ds_read2_b64 v[49:52], v255 offset1:1
	s_mov_b32 s1, exec_lo
	s_waitcnt lgkmcnt(0)
	buffer_store_dword v49, off, s[16:19], 0 offset:704 ; 4-byte Folded Spill
	buffer_store_dword v50, off, s[16:19], 0 offset:708 ; 4-byte Folded Spill
	buffer_store_dword v51, off, s[16:19], 0 offset:712 ; 4-byte Folded Spill
	buffer_store_dword v52, off, s[16:19], 0 offset:716 ; 4-byte Folded Spill
	v_cmpx_lt_u32_e32 17, v0
	s_cbranch_execz .LBB87_163
; %bb.162:
	s_clause 0x3
	buffer_load_dword v49, off, s[16:19], 0 offset:704
	buffer_load_dword v50, off, s[16:19], 0 offset:708
	buffer_load_dword v51, off, s[16:19], 0 offset:712
	buffer_load_dword v52, off, s[16:19], 0 offset:716
	ds_read2_b64 v[179:182], v253 offset0:36 offset1:37
	s_waitcnt vmcnt(0)
	v_mul_f64 v[177:178], v[51:52], v[107:108]
	v_mul_f64 v[107:108], v[49:50], v[107:108]
	v_fma_f64 v[177:178], v[49:50], v[105:106], -v[177:178]
	v_fma_f64 v[107:108], v[51:52], v[105:106], v[107:108]
	s_waitcnt lgkmcnt(0)
	v_mul_f64 v[105:106], v[181:182], v[107:108]
	v_fma_f64 v[105:106], v[179:180], v[177:178], -v[105:106]
	v_mul_f64 v[179:180], v[179:180], v[107:108]
	v_add_f64 v[101:102], v[101:102], -v[105:106]
	v_fma_f64 v[179:180], v[181:182], v[177:178], v[179:180]
	v_add_f64 v[103:104], v[103:104], -v[179:180]
	ds_read2_b64 v[179:182], v253 offset0:38 offset1:39
	s_waitcnt lgkmcnt(0)
	v_mul_f64 v[105:106], v[181:182], v[107:108]
	v_fma_f64 v[105:106], v[179:180], v[177:178], -v[105:106]
	v_mul_f64 v[179:180], v[179:180], v[107:108]
	v_add_f64 v[97:98], v[97:98], -v[105:106]
	v_fma_f64 v[179:180], v[181:182], v[177:178], v[179:180]
	v_add_f64 v[99:100], v[99:100], -v[179:180]
	ds_read2_b64 v[179:182], v253 offset0:40 offset1:41
	s_clause 0x3
	buffer_load_dword v49, off, s[16:19], 0 offset:128
	buffer_load_dword v50, off, s[16:19], 0 offset:132
	buffer_load_dword v51, off, s[16:19], 0 offset:136
	buffer_load_dword v52, off, s[16:19], 0 offset:140
	s_waitcnt lgkmcnt(0)
	v_mul_f64 v[105:106], v[181:182], v[107:108]
	v_fma_f64 v[105:106], v[179:180], v[177:178], -v[105:106]
	v_mul_f64 v[179:180], v[179:180], v[107:108]
	v_fma_f64 v[179:180], v[181:182], v[177:178], v[179:180]
	s_waitcnt vmcnt(2)
	v_add_f64 v[49:50], v[49:50], -v[105:106]
	s_waitcnt vmcnt(0)
	v_add_f64 v[51:52], v[51:52], -v[179:180]
	buffer_store_dword v49, off, s[16:19], 0 offset:128 ; 4-byte Folded Spill
	buffer_store_dword v50, off, s[16:19], 0 offset:132 ; 4-byte Folded Spill
	buffer_store_dword v51, off, s[16:19], 0 offset:136 ; 4-byte Folded Spill
	buffer_store_dword v52, off, s[16:19], 0 offset:140 ; 4-byte Folded Spill
	ds_read2_b64 v[179:182], v253 offset0:42 offset1:43
	s_clause 0x3
	buffer_load_dword v49, off, s[16:19], 0 offset:112
	buffer_load_dword v50, off, s[16:19], 0 offset:116
	buffer_load_dword v51, off, s[16:19], 0 offset:120
	buffer_load_dword v52, off, s[16:19], 0 offset:124
	s_waitcnt lgkmcnt(0)
	v_mul_f64 v[105:106], v[181:182], v[107:108]
	v_fma_f64 v[105:106], v[179:180], v[177:178], -v[105:106]
	v_mul_f64 v[179:180], v[179:180], v[107:108]
	v_fma_f64 v[179:180], v[181:182], v[177:178], v[179:180]
	s_waitcnt vmcnt(2)
	v_add_f64 v[49:50], v[49:50], -v[105:106]
	s_waitcnt vmcnt(0)
	v_add_f64 v[51:52], v[51:52], -v[179:180]
	buffer_store_dword v49, off, s[16:19], 0 offset:112 ; 4-byte Folded Spill
	buffer_store_dword v50, off, s[16:19], 0 offset:116 ; 4-byte Folded Spill
	buffer_store_dword v51, off, s[16:19], 0 offset:120 ; 4-byte Folded Spill
	buffer_store_dword v52, off, s[16:19], 0 offset:124 ; 4-byte Folded Spill
	;; [unrolled: 19-line block ×8, first 2 shown]
	ds_read2_b64 v[179:182], v253 offset0:56 offset1:57
	s_clause 0x3
	buffer_load_dword v49, off, s[16:19], 0
	buffer_load_dword v50, off, s[16:19], 0 offset:4
	buffer_load_dword v51, off, s[16:19], 0 offset:8
	;; [unrolled: 1-line block ×3, first 2 shown]
	s_waitcnt lgkmcnt(0)
	v_mul_f64 v[105:106], v[181:182], v[107:108]
	v_fma_f64 v[105:106], v[179:180], v[177:178], -v[105:106]
	v_mul_f64 v[179:180], v[179:180], v[107:108]
	v_fma_f64 v[179:180], v[181:182], v[177:178], v[179:180]
	s_waitcnt vmcnt(2)
	v_add_f64 v[49:50], v[49:50], -v[105:106]
	s_waitcnt vmcnt(0)
	v_add_f64 v[51:52], v[51:52], -v[179:180]
	buffer_store_dword v49, off, s[16:19], 0 ; 4-byte Folded Spill
	buffer_store_dword v50, off, s[16:19], 0 offset:4 ; 4-byte Folded Spill
	buffer_store_dword v51, off, s[16:19], 0 offset:8 ; 4-byte Folded Spill
	;; [unrolled: 1-line block ×3, first 2 shown]
	ds_read2_b64 v[179:182], v253 offset0:58 offset1:59
	s_waitcnt lgkmcnt(0)
	v_mul_f64 v[105:106], v[181:182], v[107:108]
	v_fma_f64 v[105:106], v[179:180], v[177:178], -v[105:106]
	v_mul_f64 v[179:180], v[179:180], v[107:108]
	v_add_f64 v[57:58], v[57:58], -v[105:106]
	v_fma_f64 v[179:180], v[181:182], v[177:178], v[179:180]
	v_add_f64 v[59:60], v[59:60], -v[179:180]
	ds_read2_b64 v[179:182], v253 offset0:60 offset1:61
	s_waitcnt lgkmcnt(0)
	v_mul_f64 v[105:106], v[181:182], v[107:108]
	v_fma_f64 v[105:106], v[179:180], v[177:178], -v[105:106]
	v_mul_f64 v[179:180], v[179:180], v[107:108]
	v_add_f64 v[241:242], v[241:242], -v[105:106]
	v_fma_f64 v[179:180], v[181:182], v[177:178], v[179:180]
	v_add_f64 v[243:244], v[243:244], -v[179:180]
	ds_read2_b64 v[179:182], v253 offset0:62 offset1:63
	s_waitcnt lgkmcnt(0)
	v_mul_f64 v[105:106], v[181:182], v[107:108]
	v_fma_f64 v[105:106], v[179:180], v[177:178], -v[105:106]
	v_mul_f64 v[179:180], v[179:180], v[107:108]
	v_add_f64 v[205:206], v[205:206], -v[105:106]
	v_fma_f64 v[179:180], v[181:182], v[177:178], v[179:180]
	v_add_f64 v[207:208], v[207:208], -v[179:180]
	ds_read2_b64 v[179:182], v253 offset0:64 offset1:65
	s_waitcnt lgkmcnt(0)
	v_mul_f64 v[105:106], v[181:182], v[107:108]
	v_fma_f64 v[105:106], v[179:180], v[177:178], -v[105:106]
	v_mul_f64 v[179:180], v[179:180], v[107:108]
	v_add_f64 v[45:46], v[45:46], -v[105:106]
	v_fma_f64 v[179:180], v[181:182], v[177:178], v[179:180]
	v_add_f64 v[47:48], v[47:48], -v[179:180]
	ds_read2_b64 v[179:182], v253 offset0:66 offset1:67
	s_waitcnt lgkmcnt(0)
	v_mul_f64 v[105:106], v[181:182], v[107:108]
	v_fma_f64 v[105:106], v[179:180], v[177:178], -v[105:106]
	v_mul_f64 v[179:180], v[179:180], v[107:108]
	v_add_f64 v[41:42], v[41:42], -v[105:106]
	v_fma_f64 v[179:180], v[181:182], v[177:178], v[179:180]
	v_add_f64 v[43:44], v[43:44], -v[179:180]
	ds_read2_b64 v[179:182], v253 offset0:68 offset1:69
	s_waitcnt lgkmcnt(0)
	v_mul_f64 v[105:106], v[181:182], v[107:108]
	v_fma_f64 v[105:106], v[179:180], v[177:178], -v[105:106]
	v_mul_f64 v[179:180], v[179:180], v[107:108]
	v_add_f64 v[37:38], v[37:38], -v[105:106]
	v_fma_f64 v[179:180], v[181:182], v[177:178], v[179:180]
	v_add_f64 v[39:40], v[39:40], -v[179:180]
	ds_read2_b64 v[179:182], v253 offset0:70 offset1:71
	s_waitcnt lgkmcnt(0)
	v_mul_f64 v[105:106], v[181:182], v[107:108]
	v_fma_f64 v[105:106], v[179:180], v[177:178], -v[105:106]
	v_mul_f64 v[179:180], v[179:180], v[107:108]
	v_add_f64 v[33:34], v[33:34], -v[105:106]
	v_fma_f64 v[179:180], v[181:182], v[177:178], v[179:180]
	v_add_f64 v[35:36], v[35:36], -v[179:180]
	ds_read2_b64 v[179:182], v253 offset0:72 offset1:73
	s_waitcnt lgkmcnt(0)
	v_mul_f64 v[105:106], v[181:182], v[107:108]
	v_fma_f64 v[105:106], v[179:180], v[177:178], -v[105:106]
	v_mul_f64 v[179:180], v[179:180], v[107:108]
	v_add_f64 v[29:30], v[29:30], -v[105:106]
	v_fma_f64 v[179:180], v[181:182], v[177:178], v[179:180]
	v_add_f64 v[31:32], v[31:32], -v[179:180]
	ds_read2_b64 v[179:182], v253 offset0:74 offset1:75
	s_waitcnt lgkmcnt(0)
	v_mul_f64 v[105:106], v[181:182], v[107:108]
	v_fma_f64 v[105:106], v[179:180], v[177:178], -v[105:106]
	v_mul_f64 v[179:180], v[179:180], v[107:108]
	v_add_f64 v[25:26], v[25:26], -v[105:106]
	v_fma_f64 v[179:180], v[181:182], v[177:178], v[179:180]
	v_add_f64 v[27:28], v[27:28], -v[179:180]
	ds_read2_b64 v[179:182], v253 offset0:76 offset1:77
	s_waitcnt lgkmcnt(0)
	v_mul_f64 v[105:106], v[181:182], v[107:108]
	v_fma_f64 v[105:106], v[179:180], v[177:178], -v[105:106]
	v_mul_f64 v[179:180], v[179:180], v[107:108]
	v_add_f64 v[21:22], v[21:22], -v[105:106]
	v_fma_f64 v[179:180], v[181:182], v[177:178], v[179:180]
	v_add_f64 v[23:24], v[23:24], -v[179:180]
	ds_read2_b64 v[179:182], v253 offset0:78 offset1:79
	s_waitcnt lgkmcnt(0)
	v_mul_f64 v[105:106], v[181:182], v[107:108]
	v_fma_f64 v[105:106], v[179:180], v[177:178], -v[105:106]
	v_mul_f64 v[179:180], v[179:180], v[107:108]
	v_add_f64 v[17:18], v[17:18], -v[105:106]
	v_fma_f64 v[179:180], v[181:182], v[177:178], v[179:180]
	v_add_f64 v[19:20], v[19:20], -v[179:180]
	ds_read2_b64 v[179:182], v253 offset0:80 offset1:81
	s_waitcnt lgkmcnt(0)
	v_mul_f64 v[105:106], v[181:182], v[107:108]
	v_fma_f64 v[105:106], v[179:180], v[177:178], -v[105:106]
	v_mul_f64 v[179:180], v[179:180], v[107:108]
	v_add_f64 v[13:14], v[13:14], -v[105:106]
	v_fma_f64 v[179:180], v[181:182], v[177:178], v[179:180]
	v_add_f64 v[15:16], v[15:16], -v[179:180]
	ds_read2_b64 v[179:182], v253 offset0:82 offset1:83
	s_waitcnt lgkmcnt(0)
	v_mul_f64 v[105:106], v[181:182], v[107:108]
	v_fma_f64 v[105:106], v[179:180], v[177:178], -v[105:106]
	v_mul_f64 v[179:180], v[179:180], v[107:108]
	v_add_f64 v[9:10], v[9:10], -v[105:106]
	v_fma_f64 v[179:180], v[181:182], v[177:178], v[179:180]
	v_add_f64 v[11:12], v[11:12], -v[179:180]
	ds_read2_b64 v[179:182], v253 offset0:84 offset1:85
	s_waitcnt lgkmcnt(0)
	v_mul_f64 v[105:106], v[181:182], v[107:108]
	v_fma_f64 v[105:106], v[179:180], v[177:178], -v[105:106]
	v_mul_f64 v[179:180], v[179:180], v[107:108]
	v_add_f64 v[5:6], v[5:6], -v[105:106]
	v_fma_f64 v[179:180], v[181:182], v[177:178], v[179:180]
	v_add_f64 v[7:8], v[7:8], -v[179:180]
	ds_read2_b64 v[179:182], v253 offset0:86 offset1:87
	s_waitcnt lgkmcnt(0)
	v_mul_f64 v[105:106], v[181:182], v[107:108]
	v_fma_f64 v[105:106], v[179:180], v[177:178], -v[105:106]
	v_mul_f64 v[179:180], v[179:180], v[107:108]
	v_add_f64 v[1:2], v[1:2], -v[105:106]
	v_fma_f64 v[179:180], v[181:182], v[177:178], v[179:180]
	v_mov_b32_e32 v105, v177
	v_mov_b32_e32 v106, v178
	v_add_f64 v[3:4], v[3:4], -v[179:180]
.LBB87_163:
	s_or_b32 exec_lo, exec_lo, s1
	s_mov_b32 s2, exec_lo
	s_waitcnt_vscnt null, 0x0
	s_barrier
	buffer_gl0_inv
	v_cmpx_eq_u32_e32 18, v0
	s_cbranch_execz .LBB87_170
; %bb.164:
	ds_write2_b64 v255, v[101:102], v[103:104] offset1:1
	ds_write2_b64 v253, v[97:98], v[99:100] offset0:38 offset1:39
	s_clause 0x3
	buffer_load_dword v49, off, s[16:19], 0 offset:128
	buffer_load_dword v50, off, s[16:19], 0 offset:132
	buffer_load_dword v51, off, s[16:19], 0 offset:136
	buffer_load_dword v52, off, s[16:19], 0 offset:140
	s_waitcnt vmcnt(0)
	ds_write2_b64 v253, v[49:50], v[51:52] offset0:40 offset1:41
	s_clause 0x3
	buffer_load_dword v49, off, s[16:19], 0 offset:112
	buffer_load_dword v50, off, s[16:19], 0 offset:116
	buffer_load_dword v51, off, s[16:19], 0 offset:120
	buffer_load_dword v52, off, s[16:19], 0 offset:124
	s_waitcnt vmcnt(0)
	;; [unrolled: 7-line block ×8, first 2 shown]
	ds_write2_b64 v253, v[49:50], v[51:52] offset0:54 offset1:55
	s_clause 0x3
	buffer_load_dword v49, off, s[16:19], 0
	buffer_load_dword v50, off, s[16:19], 0 offset:4
	buffer_load_dword v51, off, s[16:19], 0 offset:8
	;; [unrolled: 1-line block ×3, first 2 shown]
	s_waitcnt vmcnt(0)
	ds_write2_b64 v253, v[49:50], v[51:52] offset0:56 offset1:57
	ds_write2_b64 v253, v[57:58], v[59:60] offset0:58 offset1:59
	;; [unrolled: 1-line block ×16, first 2 shown]
	ds_read2_b64 v[177:180], v255 offset1:1
	s_waitcnt lgkmcnt(0)
	v_cmp_neq_f64_e32 vcc_lo, 0, v[177:178]
	v_cmp_neq_f64_e64 s1, 0, v[179:180]
	s_or_b32 s1, vcc_lo, s1
	s_and_b32 exec_lo, exec_lo, s1
	s_cbranch_execz .LBB87_170
; %bb.165:
	v_cmp_ngt_f64_e64 s1, |v[177:178]|, |v[179:180]|
                                        ; implicit-def: $vgpr181_vgpr182
	s_and_saveexec_b32 s3, s1
	s_xor_b32 s1, exec_lo, s3
                                        ; implicit-def: $vgpr183_vgpr184
	s_cbranch_execz .LBB87_167
; %bb.166:
	v_div_scale_f64 v[181:182], null, v[179:180], v[179:180], v[177:178]
	v_div_scale_f64 v[187:188], vcc_lo, v[177:178], v[179:180], v[177:178]
	v_rcp_f64_e32 v[183:184], v[181:182]
	v_fma_f64 v[185:186], -v[181:182], v[183:184], 1.0
	v_fma_f64 v[183:184], v[183:184], v[185:186], v[183:184]
	v_fma_f64 v[185:186], -v[181:182], v[183:184], 1.0
	v_fma_f64 v[183:184], v[183:184], v[185:186], v[183:184]
	v_mul_f64 v[185:186], v[187:188], v[183:184]
	v_fma_f64 v[181:182], -v[181:182], v[185:186], v[187:188]
	v_div_fmas_f64 v[181:182], v[181:182], v[183:184], v[185:186]
	v_div_fixup_f64 v[181:182], v[181:182], v[179:180], v[177:178]
	v_fma_f64 v[177:178], v[177:178], v[181:182], v[179:180]
	v_div_scale_f64 v[179:180], null, v[177:178], v[177:178], 1.0
	v_rcp_f64_e32 v[183:184], v[179:180]
	v_fma_f64 v[185:186], -v[179:180], v[183:184], 1.0
	v_fma_f64 v[183:184], v[183:184], v[185:186], v[183:184]
	v_fma_f64 v[185:186], -v[179:180], v[183:184], 1.0
	v_fma_f64 v[183:184], v[183:184], v[185:186], v[183:184]
	v_div_scale_f64 v[185:186], vcc_lo, 1.0, v[177:178], 1.0
	v_mul_f64 v[187:188], v[185:186], v[183:184]
	v_fma_f64 v[179:180], -v[179:180], v[187:188], v[185:186]
	v_div_fmas_f64 v[179:180], v[179:180], v[183:184], v[187:188]
	v_div_fixup_f64 v[183:184], v[179:180], v[177:178], 1.0
                                        ; implicit-def: $vgpr177_vgpr178
	v_mul_f64 v[181:182], v[181:182], v[183:184]
	v_xor_b32_e32 v184, 0x80000000, v184
.LBB87_167:
	s_andn2_saveexec_b32 s1, s1
	s_cbranch_execz .LBB87_169
; %bb.168:
	v_div_scale_f64 v[181:182], null, v[177:178], v[177:178], v[179:180]
	v_div_scale_f64 v[187:188], vcc_lo, v[179:180], v[177:178], v[179:180]
	v_rcp_f64_e32 v[183:184], v[181:182]
	v_fma_f64 v[185:186], -v[181:182], v[183:184], 1.0
	v_fma_f64 v[183:184], v[183:184], v[185:186], v[183:184]
	v_fma_f64 v[185:186], -v[181:182], v[183:184], 1.0
	v_fma_f64 v[183:184], v[183:184], v[185:186], v[183:184]
	v_mul_f64 v[185:186], v[187:188], v[183:184]
	v_fma_f64 v[181:182], -v[181:182], v[185:186], v[187:188]
	v_div_fmas_f64 v[181:182], v[181:182], v[183:184], v[185:186]
	v_div_fixup_f64 v[183:184], v[181:182], v[177:178], v[179:180]
	v_fma_f64 v[177:178], v[179:180], v[183:184], v[177:178]
	v_div_scale_f64 v[179:180], null, v[177:178], v[177:178], 1.0
	v_rcp_f64_e32 v[181:182], v[179:180]
	v_fma_f64 v[185:186], -v[179:180], v[181:182], 1.0
	v_fma_f64 v[181:182], v[181:182], v[185:186], v[181:182]
	v_fma_f64 v[185:186], -v[179:180], v[181:182], 1.0
	v_fma_f64 v[181:182], v[181:182], v[185:186], v[181:182]
	v_div_scale_f64 v[185:186], vcc_lo, 1.0, v[177:178], 1.0
	v_mul_f64 v[187:188], v[185:186], v[181:182]
	v_fma_f64 v[179:180], -v[179:180], v[187:188], v[185:186]
	v_div_fmas_f64 v[179:180], v[179:180], v[181:182], v[187:188]
	v_div_fixup_f64 v[181:182], v[179:180], v[177:178], 1.0
	v_mul_f64 v[183:184], v[183:184], -v[181:182]
.LBB87_169:
	s_or_b32 exec_lo, exec_lo, s1
	ds_write2_b64 v255, v[181:182], v[183:184] offset1:1
.LBB87_170:
	s_or_b32 exec_lo, exec_lo, s2
	s_waitcnt lgkmcnt(0)
	s_barrier
	buffer_gl0_inv
	ds_read2_b64 v[249:252], v255 offset1:1
	s_mov_b32 s1, exec_lo
	v_cmpx_lt_u32_e32 18, v0
	s_cbranch_execz .LBB87_172
; %bb.171:
	s_waitcnt lgkmcnt(0)
	v_mul_f64 v[177:178], v[251:252], v[103:104]
	v_mul_f64 v[103:104], v[249:250], v[103:104]
	ds_read2_b64 v[179:182], v253 offset0:38 offset1:39
	v_fma_f64 v[177:178], v[249:250], v[101:102], -v[177:178]
	v_fma_f64 v[103:104], v[251:252], v[101:102], v[103:104]
	s_waitcnt lgkmcnt(0)
	v_mul_f64 v[101:102], v[181:182], v[103:104]
	v_fma_f64 v[101:102], v[179:180], v[177:178], -v[101:102]
	v_mul_f64 v[179:180], v[179:180], v[103:104]
	v_add_f64 v[97:98], v[97:98], -v[101:102]
	v_fma_f64 v[179:180], v[181:182], v[177:178], v[179:180]
	v_add_f64 v[99:100], v[99:100], -v[179:180]
	ds_read2_b64 v[179:182], v253 offset0:40 offset1:41
	s_clause 0x3
	buffer_load_dword v49, off, s[16:19], 0 offset:128
	buffer_load_dword v50, off, s[16:19], 0 offset:132
	buffer_load_dword v51, off, s[16:19], 0 offset:136
	buffer_load_dword v52, off, s[16:19], 0 offset:140
	s_waitcnt lgkmcnt(0)
	v_mul_f64 v[101:102], v[181:182], v[103:104]
	v_fma_f64 v[101:102], v[179:180], v[177:178], -v[101:102]
	v_mul_f64 v[179:180], v[179:180], v[103:104]
	v_fma_f64 v[179:180], v[181:182], v[177:178], v[179:180]
	s_waitcnt vmcnt(2)
	v_add_f64 v[49:50], v[49:50], -v[101:102]
	s_waitcnt vmcnt(0)
	v_add_f64 v[51:52], v[51:52], -v[179:180]
	buffer_store_dword v49, off, s[16:19], 0 offset:128 ; 4-byte Folded Spill
	buffer_store_dword v50, off, s[16:19], 0 offset:132 ; 4-byte Folded Spill
	buffer_store_dword v51, off, s[16:19], 0 offset:136 ; 4-byte Folded Spill
	buffer_store_dword v52, off, s[16:19], 0 offset:140 ; 4-byte Folded Spill
	ds_read2_b64 v[179:182], v253 offset0:42 offset1:43
	s_clause 0x3
	buffer_load_dword v49, off, s[16:19], 0 offset:112
	buffer_load_dword v50, off, s[16:19], 0 offset:116
	buffer_load_dword v51, off, s[16:19], 0 offset:120
	buffer_load_dword v52, off, s[16:19], 0 offset:124
	s_waitcnt lgkmcnt(0)
	v_mul_f64 v[101:102], v[181:182], v[103:104]
	v_fma_f64 v[101:102], v[179:180], v[177:178], -v[101:102]
	v_mul_f64 v[179:180], v[179:180], v[103:104]
	v_fma_f64 v[179:180], v[181:182], v[177:178], v[179:180]
	s_waitcnt vmcnt(2)
	v_add_f64 v[49:50], v[49:50], -v[101:102]
	s_waitcnt vmcnt(0)
	v_add_f64 v[51:52], v[51:52], -v[179:180]
	buffer_store_dword v49, off, s[16:19], 0 offset:112 ; 4-byte Folded Spill
	buffer_store_dword v50, off, s[16:19], 0 offset:116 ; 4-byte Folded Spill
	buffer_store_dword v51, off, s[16:19], 0 offset:120 ; 4-byte Folded Spill
	buffer_store_dword v52, off, s[16:19], 0 offset:124 ; 4-byte Folded Spill
	;; [unrolled: 19-line block ×8, first 2 shown]
	ds_read2_b64 v[179:182], v253 offset0:56 offset1:57
	s_clause 0x3
	buffer_load_dword v49, off, s[16:19], 0
	buffer_load_dword v50, off, s[16:19], 0 offset:4
	buffer_load_dword v51, off, s[16:19], 0 offset:8
	;; [unrolled: 1-line block ×3, first 2 shown]
	s_waitcnt lgkmcnt(0)
	v_mul_f64 v[101:102], v[181:182], v[103:104]
	v_fma_f64 v[101:102], v[179:180], v[177:178], -v[101:102]
	v_mul_f64 v[179:180], v[179:180], v[103:104]
	v_fma_f64 v[179:180], v[181:182], v[177:178], v[179:180]
	s_waitcnt vmcnt(2)
	v_add_f64 v[49:50], v[49:50], -v[101:102]
	s_waitcnt vmcnt(0)
	v_add_f64 v[51:52], v[51:52], -v[179:180]
	buffer_store_dword v49, off, s[16:19], 0 ; 4-byte Folded Spill
	buffer_store_dword v50, off, s[16:19], 0 offset:4 ; 4-byte Folded Spill
	buffer_store_dword v51, off, s[16:19], 0 offset:8 ; 4-byte Folded Spill
	;; [unrolled: 1-line block ×3, first 2 shown]
	ds_read2_b64 v[179:182], v253 offset0:58 offset1:59
	s_waitcnt lgkmcnt(0)
	v_mul_f64 v[101:102], v[181:182], v[103:104]
	v_fma_f64 v[101:102], v[179:180], v[177:178], -v[101:102]
	v_mul_f64 v[179:180], v[179:180], v[103:104]
	v_add_f64 v[57:58], v[57:58], -v[101:102]
	v_fma_f64 v[179:180], v[181:182], v[177:178], v[179:180]
	v_add_f64 v[59:60], v[59:60], -v[179:180]
	ds_read2_b64 v[179:182], v253 offset0:60 offset1:61
	s_waitcnt lgkmcnt(0)
	v_mul_f64 v[101:102], v[181:182], v[103:104]
	v_fma_f64 v[101:102], v[179:180], v[177:178], -v[101:102]
	v_mul_f64 v[179:180], v[179:180], v[103:104]
	v_add_f64 v[241:242], v[241:242], -v[101:102]
	v_fma_f64 v[179:180], v[181:182], v[177:178], v[179:180]
	v_add_f64 v[243:244], v[243:244], -v[179:180]
	;; [unrolled: 8-line block ×14, first 2 shown]
	ds_read2_b64 v[179:182], v253 offset0:86 offset1:87
	s_waitcnt lgkmcnt(0)
	v_mul_f64 v[101:102], v[181:182], v[103:104]
	v_fma_f64 v[101:102], v[179:180], v[177:178], -v[101:102]
	v_mul_f64 v[179:180], v[179:180], v[103:104]
	v_add_f64 v[1:2], v[1:2], -v[101:102]
	v_fma_f64 v[179:180], v[181:182], v[177:178], v[179:180]
	v_mov_b32_e32 v101, v177
	v_mov_b32_e32 v102, v178
	v_add_f64 v[3:4], v[3:4], -v[179:180]
.LBB87_172:
	s_or_b32 exec_lo, exec_lo, s1
	s_mov_b32 s2, exec_lo
	s_waitcnt lgkmcnt(0)
	s_waitcnt_vscnt null, 0x0
	s_barrier
	buffer_gl0_inv
	v_cmpx_eq_u32_e32 19, v0
	s_cbranch_execz .LBB87_179
; %bb.173:
	ds_write2_b64 v255, v[97:98], v[99:100] offset1:1
	s_clause 0x3
	buffer_load_dword v49, off, s[16:19], 0 offset:128
	buffer_load_dword v50, off, s[16:19], 0 offset:132
	buffer_load_dword v51, off, s[16:19], 0 offset:136
	buffer_load_dword v52, off, s[16:19], 0 offset:140
	s_waitcnt vmcnt(0)
	ds_write2_b64 v253, v[49:50], v[51:52] offset0:40 offset1:41
	s_clause 0x3
	buffer_load_dword v49, off, s[16:19], 0 offset:112
	buffer_load_dword v50, off, s[16:19], 0 offset:116
	buffer_load_dword v51, off, s[16:19], 0 offset:120
	buffer_load_dword v52, off, s[16:19], 0 offset:124
	s_waitcnt vmcnt(0)
	ds_write2_b64 v253, v[49:50], v[51:52] offset0:42 offset1:43
	;; [unrolled: 7-line block ×8, first 2 shown]
	s_clause 0x3
	buffer_load_dword v49, off, s[16:19], 0
	buffer_load_dword v50, off, s[16:19], 0 offset:4
	buffer_load_dword v51, off, s[16:19], 0 offset:8
	;; [unrolled: 1-line block ×3, first 2 shown]
	s_waitcnt vmcnt(0)
	ds_write2_b64 v253, v[49:50], v[51:52] offset0:56 offset1:57
	ds_write2_b64 v253, v[57:58], v[59:60] offset0:58 offset1:59
	;; [unrolled: 1-line block ×16, first 2 shown]
	ds_read2_b64 v[177:180], v255 offset1:1
	s_waitcnt lgkmcnt(0)
	v_cmp_neq_f64_e32 vcc_lo, 0, v[177:178]
	v_cmp_neq_f64_e64 s1, 0, v[179:180]
	s_or_b32 s1, vcc_lo, s1
	s_and_b32 exec_lo, exec_lo, s1
	s_cbranch_execz .LBB87_179
; %bb.174:
	v_cmp_ngt_f64_e64 s1, |v[177:178]|, |v[179:180]|
                                        ; implicit-def: $vgpr181_vgpr182
	s_and_saveexec_b32 s3, s1
	s_xor_b32 s1, exec_lo, s3
                                        ; implicit-def: $vgpr183_vgpr184
	s_cbranch_execz .LBB87_176
; %bb.175:
	v_div_scale_f64 v[181:182], null, v[179:180], v[179:180], v[177:178]
	v_div_scale_f64 v[187:188], vcc_lo, v[177:178], v[179:180], v[177:178]
	v_rcp_f64_e32 v[183:184], v[181:182]
	v_fma_f64 v[185:186], -v[181:182], v[183:184], 1.0
	v_fma_f64 v[183:184], v[183:184], v[185:186], v[183:184]
	v_fma_f64 v[185:186], -v[181:182], v[183:184], 1.0
	v_fma_f64 v[183:184], v[183:184], v[185:186], v[183:184]
	v_mul_f64 v[185:186], v[187:188], v[183:184]
	v_fma_f64 v[181:182], -v[181:182], v[185:186], v[187:188]
	v_div_fmas_f64 v[181:182], v[181:182], v[183:184], v[185:186]
	v_div_fixup_f64 v[181:182], v[181:182], v[179:180], v[177:178]
	v_fma_f64 v[177:178], v[177:178], v[181:182], v[179:180]
	v_div_scale_f64 v[179:180], null, v[177:178], v[177:178], 1.0
	v_rcp_f64_e32 v[183:184], v[179:180]
	v_fma_f64 v[185:186], -v[179:180], v[183:184], 1.0
	v_fma_f64 v[183:184], v[183:184], v[185:186], v[183:184]
	v_fma_f64 v[185:186], -v[179:180], v[183:184], 1.0
	v_fma_f64 v[183:184], v[183:184], v[185:186], v[183:184]
	v_div_scale_f64 v[185:186], vcc_lo, 1.0, v[177:178], 1.0
	v_mul_f64 v[187:188], v[185:186], v[183:184]
	v_fma_f64 v[179:180], -v[179:180], v[187:188], v[185:186]
	v_div_fmas_f64 v[179:180], v[179:180], v[183:184], v[187:188]
	v_div_fixup_f64 v[183:184], v[179:180], v[177:178], 1.0
                                        ; implicit-def: $vgpr177_vgpr178
	v_mul_f64 v[181:182], v[181:182], v[183:184]
	v_xor_b32_e32 v184, 0x80000000, v184
.LBB87_176:
	s_andn2_saveexec_b32 s1, s1
	s_cbranch_execz .LBB87_178
; %bb.177:
	v_div_scale_f64 v[181:182], null, v[177:178], v[177:178], v[179:180]
	v_div_scale_f64 v[187:188], vcc_lo, v[179:180], v[177:178], v[179:180]
	v_rcp_f64_e32 v[183:184], v[181:182]
	v_fma_f64 v[185:186], -v[181:182], v[183:184], 1.0
	v_fma_f64 v[183:184], v[183:184], v[185:186], v[183:184]
	v_fma_f64 v[185:186], -v[181:182], v[183:184], 1.0
	v_fma_f64 v[183:184], v[183:184], v[185:186], v[183:184]
	v_mul_f64 v[185:186], v[187:188], v[183:184]
	v_fma_f64 v[181:182], -v[181:182], v[185:186], v[187:188]
	v_div_fmas_f64 v[181:182], v[181:182], v[183:184], v[185:186]
	v_div_fixup_f64 v[183:184], v[181:182], v[177:178], v[179:180]
	v_fma_f64 v[177:178], v[179:180], v[183:184], v[177:178]
	v_div_scale_f64 v[179:180], null, v[177:178], v[177:178], 1.0
	v_rcp_f64_e32 v[181:182], v[179:180]
	v_fma_f64 v[185:186], -v[179:180], v[181:182], 1.0
	v_fma_f64 v[181:182], v[181:182], v[185:186], v[181:182]
	v_fma_f64 v[185:186], -v[179:180], v[181:182], 1.0
	v_fma_f64 v[181:182], v[181:182], v[185:186], v[181:182]
	v_div_scale_f64 v[185:186], vcc_lo, 1.0, v[177:178], 1.0
	v_mul_f64 v[187:188], v[185:186], v[181:182]
	v_fma_f64 v[179:180], -v[179:180], v[187:188], v[185:186]
	v_div_fmas_f64 v[179:180], v[179:180], v[181:182], v[187:188]
	v_div_fixup_f64 v[181:182], v[179:180], v[177:178], 1.0
	v_mul_f64 v[183:184], v[183:184], -v[181:182]
.LBB87_178:
	s_or_b32 exec_lo, exec_lo, s1
	ds_write2_b64 v255, v[181:182], v[183:184] offset1:1
.LBB87_179:
	s_or_b32 exec_lo, exec_lo, s2
	s_waitcnt lgkmcnt(0)
	s_barrier
	buffer_gl0_inv
	ds_read2_b64 v[137:140], v255 offset1:1
	s_mov_b32 s1, exec_lo
	v_cmpx_lt_u32_e32 19, v0
	s_cbranch_execz .LBB87_181
; %bb.180:
	ds_read2_b64 v[179:182], v253 offset0:40 offset1:41
	s_clause 0x3
	buffer_load_dword v49, off, s[16:19], 0 offset:128
	buffer_load_dword v50, off, s[16:19], 0 offset:132
	;; [unrolled: 1-line block ×4, first 2 shown]
	s_waitcnt lgkmcnt(1)
	v_mul_f64 v[177:178], v[139:140], v[99:100]
	v_mul_f64 v[99:100], v[137:138], v[99:100]
	v_fma_f64 v[177:178], v[137:138], v[97:98], -v[177:178]
	v_fma_f64 v[99:100], v[139:140], v[97:98], v[99:100]
	s_waitcnt lgkmcnt(0)
	v_mul_f64 v[97:98], v[181:182], v[99:100]
	v_fma_f64 v[97:98], v[179:180], v[177:178], -v[97:98]
	v_mul_f64 v[179:180], v[179:180], v[99:100]
	v_fma_f64 v[179:180], v[181:182], v[177:178], v[179:180]
	s_waitcnt vmcnt(2)
	v_add_f64 v[49:50], v[49:50], -v[97:98]
	s_waitcnt vmcnt(0)
	v_add_f64 v[51:52], v[51:52], -v[179:180]
	buffer_store_dword v49, off, s[16:19], 0 offset:128 ; 4-byte Folded Spill
	buffer_store_dword v50, off, s[16:19], 0 offset:132 ; 4-byte Folded Spill
	buffer_store_dword v51, off, s[16:19], 0 offset:136 ; 4-byte Folded Spill
	buffer_store_dword v52, off, s[16:19], 0 offset:140 ; 4-byte Folded Spill
	ds_read2_b64 v[179:182], v253 offset0:42 offset1:43
	s_clause 0x3
	buffer_load_dword v49, off, s[16:19], 0 offset:112
	buffer_load_dword v50, off, s[16:19], 0 offset:116
	buffer_load_dword v51, off, s[16:19], 0 offset:120
	buffer_load_dword v52, off, s[16:19], 0 offset:124
	s_waitcnt lgkmcnt(0)
	v_mul_f64 v[97:98], v[181:182], v[99:100]
	v_fma_f64 v[97:98], v[179:180], v[177:178], -v[97:98]
	v_mul_f64 v[179:180], v[179:180], v[99:100]
	v_fma_f64 v[179:180], v[181:182], v[177:178], v[179:180]
	s_waitcnt vmcnt(2)
	v_add_f64 v[49:50], v[49:50], -v[97:98]
	s_waitcnt vmcnt(0)
	v_add_f64 v[51:52], v[51:52], -v[179:180]
	buffer_store_dword v49, off, s[16:19], 0 offset:112 ; 4-byte Folded Spill
	buffer_store_dword v50, off, s[16:19], 0 offset:116 ; 4-byte Folded Spill
	buffer_store_dword v51, off, s[16:19], 0 offset:120 ; 4-byte Folded Spill
	buffer_store_dword v52, off, s[16:19], 0 offset:124 ; 4-byte Folded Spill
	ds_read2_b64 v[179:182], v253 offset0:44 offset1:45
	s_clause 0x3
	buffer_load_dword v49, off, s[16:19], 0 offset:96
	buffer_load_dword v50, off, s[16:19], 0 offset:100
	buffer_load_dword v51, off, s[16:19], 0 offset:104
	buffer_load_dword v52, off, s[16:19], 0 offset:108
	;; [unrolled: 19-line block ×7, first 2 shown]
	s_waitcnt lgkmcnt(0)
	v_mul_f64 v[97:98], v[181:182], v[99:100]
	v_fma_f64 v[97:98], v[179:180], v[177:178], -v[97:98]
	v_mul_f64 v[179:180], v[179:180], v[99:100]
	v_fma_f64 v[179:180], v[181:182], v[177:178], v[179:180]
	s_waitcnt vmcnt(2)
	v_add_f64 v[49:50], v[49:50], -v[97:98]
	s_waitcnt vmcnt(0)
	v_add_f64 v[51:52], v[51:52], -v[179:180]
	buffer_store_dword v49, off, s[16:19], 0 offset:16 ; 4-byte Folded Spill
	buffer_store_dword v50, off, s[16:19], 0 offset:20 ; 4-byte Folded Spill
	;; [unrolled: 1-line block ×4, first 2 shown]
	ds_read2_b64 v[179:182], v253 offset0:56 offset1:57
	s_clause 0x3
	buffer_load_dword v49, off, s[16:19], 0
	buffer_load_dword v50, off, s[16:19], 0 offset:4
	buffer_load_dword v51, off, s[16:19], 0 offset:8
	buffer_load_dword v52, off, s[16:19], 0 offset:12
	s_waitcnt lgkmcnt(0)
	v_mul_f64 v[97:98], v[181:182], v[99:100]
	v_fma_f64 v[97:98], v[179:180], v[177:178], -v[97:98]
	v_mul_f64 v[179:180], v[179:180], v[99:100]
	v_fma_f64 v[179:180], v[181:182], v[177:178], v[179:180]
	s_waitcnt vmcnt(2)
	v_add_f64 v[49:50], v[49:50], -v[97:98]
	s_waitcnt vmcnt(0)
	v_add_f64 v[51:52], v[51:52], -v[179:180]
	buffer_store_dword v49, off, s[16:19], 0 ; 4-byte Folded Spill
	buffer_store_dword v50, off, s[16:19], 0 offset:4 ; 4-byte Folded Spill
	buffer_store_dword v51, off, s[16:19], 0 offset:8 ; 4-byte Folded Spill
	;; [unrolled: 1-line block ×3, first 2 shown]
	ds_read2_b64 v[179:182], v253 offset0:58 offset1:59
	s_waitcnt lgkmcnt(0)
	v_mul_f64 v[97:98], v[181:182], v[99:100]
	v_fma_f64 v[97:98], v[179:180], v[177:178], -v[97:98]
	v_mul_f64 v[179:180], v[179:180], v[99:100]
	v_add_f64 v[57:58], v[57:58], -v[97:98]
	v_fma_f64 v[179:180], v[181:182], v[177:178], v[179:180]
	v_add_f64 v[59:60], v[59:60], -v[179:180]
	ds_read2_b64 v[179:182], v253 offset0:60 offset1:61
	s_waitcnt lgkmcnt(0)
	v_mul_f64 v[97:98], v[181:182], v[99:100]
	v_fma_f64 v[97:98], v[179:180], v[177:178], -v[97:98]
	v_mul_f64 v[179:180], v[179:180], v[99:100]
	v_add_f64 v[241:242], v[241:242], -v[97:98]
	v_fma_f64 v[179:180], v[181:182], v[177:178], v[179:180]
	v_add_f64 v[243:244], v[243:244], -v[179:180]
	;; [unrolled: 8-line block ×14, first 2 shown]
	ds_read2_b64 v[179:182], v253 offset0:86 offset1:87
	s_waitcnt lgkmcnt(0)
	v_mul_f64 v[97:98], v[181:182], v[99:100]
	v_fma_f64 v[97:98], v[179:180], v[177:178], -v[97:98]
	v_mul_f64 v[179:180], v[179:180], v[99:100]
	v_add_f64 v[1:2], v[1:2], -v[97:98]
	v_fma_f64 v[179:180], v[181:182], v[177:178], v[179:180]
	v_mov_b32_e32 v97, v177
	v_mov_b32_e32 v98, v178
	v_add_f64 v[3:4], v[3:4], -v[179:180]
.LBB87_181:
	s_or_b32 exec_lo, exec_lo, s1
	s_mov_b32 s2, exec_lo
	s_waitcnt lgkmcnt(0)
	s_waitcnt_vscnt null, 0x0
	s_barrier
	buffer_gl0_inv
	v_cmpx_eq_u32_e32 20, v0
	s_cbranch_execz .LBB87_188
; %bb.182:
	s_clause 0x3
	buffer_load_dword v49, off, s[16:19], 0 offset:128
	buffer_load_dword v50, off, s[16:19], 0 offset:132
	;; [unrolled: 1-line block ×4, first 2 shown]
	s_waitcnt vmcnt(0)
	ds_write2_b64 v255, v[49:50], v[51:52] offset1:1
	s_clause 0x3
	buffer_load_dword v49, off, s[16:19], 0 offset:112
	buffer_load_dword v50, off, s[16:19], 0 offset:116
	buffer_load_dword v51, off, s[16:19], 0 offset:120
	buffer_load_dword v52, off, s[16:19], 0 offset:124
	s_waitcnt vmcnt(0)
	ds_write2_b64 v253, v[49:50], v[51:52] offset0:42 offset1:43
	s_clause 0x3
	buffer_load_dword v49, off, s[16:19], 0 offset:96
	buffer_load_dword v50, off, s[16:19], 0 offset:100
	buffer_load_dword v51, off, s[16:19], 0 offset:104
	buffer_load_dword v52, off, s[16:19], 0 offset:108
	s_waitcnt vmcnt(0)
	ds_write2_b64 v253, v[49:50], v[51:52] offset0:44 offset1:45
	;; [unrolled: 7-line block ×7, first 2 shown]
	s_clause 0x3
	buffer_load_dword v49, off, s[16:19], 0
	buffer_load_dword v50, off, s[16:19], 0 offset:4
	buffer_load_dword v51, off, s[16:19], 0 offset:8
	;; [unrolled: 1-line block ×3, first 2 shown]
	s_waitcnt vmcnt(0)
	ds_write2_b64 v253, v[49:50], v[51:52] offset0:56 offset1:57
	ds_write2_b64 v253, v[57:58], v[59:60] offset0:58 offset1:59
	;; [unrolled: 1-line block ×16, first 2 shown]
	ds_read2_b64 v[177:180], v255 offset1:1
	s_waitcnt lgkmcnt(0)
	v_cmp_neq_f64_e32 vcc_lo, 0, v[177:178]
	v_cmp_neq_f64_e64 s1, 0, v[179:180]
	s_or_b32 s1, vcc_lo, s1
	s_and_b32 exec_lo, exec_lo, s1
	s_cbranch_execz .LBB87_188
; %bb.183:
	v_cmp_ngt_f64_e64 s1, |v[177:178]|, |v[179:180]|
                                        ; implicit-def: $vgpr181_vgpr182
	s_and_saveexec_b32 s3, s1
	s_xor_b32 s1, exec_lo, s3
                                        ; implicit-def: $vgpr183_vgpr184
	s_cbranch_execz .LBB87_185
; %bb.184:
	v_div_scale_f64 v[181:182], null, v[179:180], v[179:180], v[177:178]
	v_div_scale_f64 v[187:188], vcc_lo, v[177:178], v[179:180], v[177:178]
	v_rcp_f64_e32 v[183:184], v[181:182]
	v_fma_f64 v[185:186], -v[181:182], v[183:184], 1.0
	v_fma_f64 v[183:184], v[183:184], v[185:186], v[183:184]
	v_fma_f64 v[185:186], -v[181:182], v[183:184], 1.0
	v_fma_f64 v[183:184], v[183:184], v[185:186], v[183:184]
	v_mul_f64 v[185:186], v[187:188], v[183:184]
	v_fma_f64 v[181:182], -v[181:182], v[185:186], v[187:188]
	v_div_fmas_f64 v[181:182], v[181:182], v[183:184], v[185:186]
	v_div_fixup_f64 v[181:182], v[181:182], v[179:180], v[177:178]
	v_fma_f64 v[177:178], v[177:178], v[181:182], v[179:180]
	v_div_scale_f64 v[179:180], null, v[177:178], v[177:178], 1.0
	v_rcp_f64_e32 v[183:184], v[179:180]
	v_fma_f64 v[185:186], -v[179:180], v[183:184], 1.0
	v_fma_f64 v[183:184], v[183:184], v[185:186], v[183:184]
	v_fma_f64 v[185:186], -v[179:180], v[183:184], 1.0
	v_fma_f64 v[183:184], v[183:184], v[185:186], v[183:184]
	v_div_scale_f64 v[185:186], vcc_lo, 1.0, v[177:178], 1.0
	v_mul_f64 v[187:188], v[185:186], v[183:184]
	v_fma_f64 v[179:180], -v[179:180], v[187:188], v[185:186]
	v_div_fmas_f64 v[179:180], v[179:180], v[183:184], v[187:188]
	v_div_fixup_f64 v[183:184], v[179:180], v[177:178], 1.0
                                        ; implicit-def: $vgpr177_vgpr178
	v_mul_f64 v[181:182], v[181:182], v[183:184]
	v_xor_b32_e32 v184, 0x80000000, v184
.LBB87_185:
	s_andn2_saveexec_b32 s1, s1
	s_cbranch_execz .LBB87_187
; %bb.186:
	v_div_scale_f64 v[181:182], null, v[177:178], v[177:178], v[179:180]
	v_div_scale_f64 v[187:188], vcc_lo, v[179:180], v[177:178], v[179:180]
	v_rcp_f64_e32 v[183:184], v[181:182]
	v_fma_f64 v[185:186], -v[181:182], v[183:184], 1.0
	v_fma_f64 v[183:184], v[183:184], v[185:186], v[183:184]
	v_fma_f64 v[185:186], -v[181:182], v[183:184], 1.0
	v_fma_f64 v[183:184], v[183:184], v[185:186], v[183:184]
	v_mul_f64 v[185:186], v[187:188], v[183:184]
	v_fma_f64 v[181:182], -v[181:182], v[185:186], v[187:188]
	v_div_fmas_f64 v[181:182], v[181:182], v[183:184], v[185:186]
	v_div_fixup_f64 v[183:184], v[181:182], v[177:178], v[179:180]
	v_fma_f64 v[177:178], v[179:180], v[183:184], v[177:178]
	v_div_scale_f64 v[179:180], null, v[177:178], v[177:178], 1.0
	v_rcp_f64_e32 v[181:182], v[179:180]
	v_fma_f64 v[185:186], -v[179:180], v[181:182], 1.0
	v_fma_f64 v[181:182], v[181:182], v[185:186], v[181:182]
	v_fma_f64 v[185:186], -v[179:180], v[181:182], 1.0
	v_fma_f64 v[181:182], v[181:182], v[185:186], v[181:182]
	v_div_scale_f64 v[185:186], vcc_lo, 1.0, v[177:178], 1.0
	v_mul_f64 v[187:188], v[185:186], v[181:182]
	v_fma_f64 v[179:180], -v[179:180], v[187:188], v[185:186]
	v_div_fmas_f64 v[179:180], v[179:180], v[181:182], v[187:188]
	v_div_fixup_f64 v[181:182], v[179:180], v[177:178], 1.0
	v_mul_f64 v[183:184], v[183:184], -v[181:182]
.LBB87_187:
	s_or_b32 exec_lo, exec_lo, s1
	ds_write2_b64 v255, v[181:182], v[183:184] offset1:1
.LBB87_188:
	s_or_b32 exec_lo, exec_lo, s2
	s_waitcnt lgkmcnt(0)
	s_barrier
	buffer_gl0_inv
	ds_read2_b64 v[145:148], v255 offset1:1
	s_mov_b32 s1, exec_lo
	v_cmpx_lt_u32_e32 20, v0
	s_cbranch_execz .LBB87_190
; %bb.189:
	s_clause 0x3
	buffer_load_dword v93, off, s[16:19], 0 offset:128
	buffer_load_dword v94, off, s[16:19], 0 offset:132
	;; [unrolled: 1-line block ×4, first 2 shown]
	ds_read2_b64 v[179:182], v253 offset0:42 offset1:43
	s_clause 0x3
	buffer_load_dword v49, off, s[16:19], 0 offset:112
	buffer_load_dword v50, off, s[16:19], 0 offset:116
	;; [unrolled: 1-line block ×4, first 2 shown]
	s_waitcnt vmcnt(4) lgkmcnt(1)
	v_mul_f64 v[177:178], v[147:148], v[95:96]
	v_mul_f64 v[95:96], v[145:146], v[95:96]
	v_fma_f64 v[177:178], v[145:146], v[93:94], -v[177:178]
	v_fma_f64 v[95:96], v[147:148], v[93:94], v[95:96]
	s_waitcnt lgkmcnt(0)
	v_mul_f64 v[93:94], v[181:182], v[95:96]
	v_fma_f64 v[93:94], v[179:180], v[177:178], -v[93:94]
	v_mul_f64 v[179:180], v[179:180], v[95:96]
	s_waitcnt vmcnt(2)
	v_add_f64 v[49:50], v[49:50], -v[93:94]
	v_fma_f64 v[179:180], v[181:182], v[177:178], v[179:180]
	s_waitcnt vmcnt(0)
	v_add_f64 v[51:52], v[51:52], -v[179:180]
	buffer_store_dword v49, off, s[16:19], 0 offset:112 ; 4-byte Folded Spill
	buffer_store_dword v50, off, s[16:19], 0 offset:116 ; 4-byte Folded Spill
	buffer_store_dword v51, off, s[16:19], 0 offset:120 ; 4-byte Folded Spill
	buffer_store_dword v52, off, s[16:19], 0 offset:124 ; 4-byte Folded Spill
	ds_read2_b64 v[179:182], v253 offset0:44 offset1:45
	s_clause 0x3
	buffer_load_dword v49, off, s[16:19], 0 offset:96
	buffer_load_dword v50, off, s[16:19], 0 offset:100
	buffer_load_dword v51, off, s[16:19], 0 offset:104
	buffer_load_dword v52, off, s[16:19], 0 offset:108
	s_waitcnt lgkmcnt(0)
	v_mul_f64 v[93:94], v[181:182], v[95:96]
	v_fma_f64 v[93:94], v[179:180], v[177:178], -v[93:94]
	v_mul_f64 v[179:180], v[179:180], v[95:96]
	v_fma_f64 v[179:180], v[181:182], v[177:178], v[179:180]
	s_waitcnt vmcnt(2)
	v_add_f64 v[49:50], v[49:50], -v[93:94]
	s_waitcnt vmcnt(0)
	v_add_f64 v[51:52], v[51:52], -v[179:180]
	buffer_store_dword v49, off, s[16:19], 0 offset:96 ; 4-byte Folded Spill
	buffer_store_dword v50, off, s[16:19], 0 offset:100 ; 4-byte Folded Spill
	buffer_store_dword v51, off, s[16:19], 0 offset:104 ; 4-byte Folded Spill
	buffer_store_dword v52, off, s[16:19], 0 offset:108 ; 4-byte Folded Spill
	ds_read2_b64 v[179:182], v253 offset0:46 offset1:47
	s_clause 0x3
	buffer_load_dword v49, off, s[16:19], 0 offset:80
	buffer_load_dword v50, off, s[16:19], 0 offset:84
	buffer_load_dword v51, off, s[16:19], 0 offset:88
	buffer_load_dword v52, off, s[16:19], 0 offset:92
	s_waitcnt lgkmcnt(0)
	v_mul_f64 v[93:94], v[181:182], v[95:96]
	v_fma_f64 v[93:94], v[179:180], v[177:178], -v[93:94]
	v_mul_f64 v[179:180], v[179:180], v[95:96]
	v_fma_f64 v[179:180], v[181:182], v[177:178], v[179:180]
	s_waitcnt vmcnt(2)
	v_add_f64 v[49:50], v[49:50], -v[93:94]
	;; [unrolled: 19-line block ×6, first 2 shown]
	s_waitcnt vmcnt(0)
	v_add_f64 v[51:52], v[51:52], -v[179:180]
	buffer_store_dword v49, off, s[16:19], 0 offset:16 ; 4-byte Folded Spill
	buffer_store_dword v50, off, s[16:19], 0 offset:20 ; 4-byte Folded Spill
	;; [unrolled: 1-line block ×4, first 2 shown]
	ds_read2_b64 v[179:182], v253 offset0:56 offset1:57
	s_clause 0x3
	buffer_load_dword v49, off, s[16:19], 0
	buffer_load_dword v50, off, s[16:19], 0 offset:4
	buffer_load_dword v51, off, s[16:19], 0 offset:8
	;; [unrolled: 1-line block ×3, first 2 shown]
	s_waitcnt lgkmcnt(0)
	v_mul_f64 v[93:94], v[181:182], v[95:96]
	v_fma_f64 v[93:94], v[179:180], v[177:178], -v[93:94]
	v_mul_f64 v[179:180], v[179:180], v[95:96]
	v_fma_f64 v[179:180], v[181:182], v[177:178], v[179:180]
	s_waitcnt vmcnt(2)
	v_add_f64 v[49:50], v[49:50], -v[93:94]
	s_waitcnt vmcnt(0)
	v_add_f64 v[51:52], v[51:52], -v[179:180]
	buffer_store_dword v49, off, s[16:19], 0 ; 4-byte Folded Spill
	buffer_store_dword v50, off, s[16:19], 0 offset:4 ; 4-byte Folded Spill
	buffer_store_dword v51, off, s[16:19], 0 offset:8 ; 4-byte Folded Spill
	;; [unrolled: 1-line block ×3, first 2 shown]
	ds_read2_b64 v[179:182], v253 offset0:58 offset1:59
	s_waitcnt lgkmcnt(0)
	v_mul_f64 v[93:94], v[181:182], v[95:96]
	v_fma_f64 v[93:94], v[179:180], v[177:178], -v[93:94]
	v_mul_f64 v[179:180], v[179:180], v[95:96]
	v_add_f64 v[57:58], v[57:58], -v[93:94]
	v_fma_f64 v[179:180], v[181:182], v[177:178], v[179:180]
	v_add_f64 v[59:60], v[59:60], -v[179:180]
	ds_read2_b64 v[179:182], v253 offset0:60 offset1:61
	s_waitcnt lgkmcnt(0)
	v_mul_f64 v[93:94], v[181:182], v[95:96]
	v_fma_f64 v[93:94], v[179:180], v[177:178], -v[93:94]
	v_mul_f64 v[179:180], v[179:180], v[95:96]
	v_add_f64 v[241:242], v[241:242], -v[93:94]
	v_fma_f64 v[179:180], v[181:182], v[177:178], v[179:180]
	v_add_f64 v[243:244], v[243:244], -v[179:180]
	;; [unrolled: 8-line block ×14, first 2 shown]
	ds_read2_b64 v[179:182], v253 offset0:86 offset1:87
	s_waitcnt lgkmcnt(0)
	v_mul_f64 v[93:94], v[181:182], v[95:96]
	v_fma_f64 v[93:94], v[179:180], v[177:178], -v[93:94]
	v_mul_f64 v[179:180], v[179:180], v[95:96]
	v_add_f64 v[1:2], v[1:2], -v[93:94]
	v_fma_f64 v[179:180], v[181:182], v[177:178], v[179:180]
	v_mov_b32_e32 v93, v177
	v_mov_b32_e32 v94, v178
	buffer_store_dword v93, off, s[16:19], 0 offset:128 ; 4-byte Folded Spill
	buffer_store_dword v94, off, s[16:19], 0 offset:132 ; 4-byte Folded Spill
	;; [unrolled: 1-line block ×4, first 2 shown]
	v_add_f64 v[3:4], v[3:4], -v[179:180]
.LBB87_190:
	s_or_b32 exec_lo, exec_lo, s1
	s_mov_b32 s2, exec_lo
	s_waitcnt lgkmcnt(0)
	s_waitcnt_vscnt null, 0x0
	s_barrier
	buffer_gl0_inv
	v_cmpx_eq_u32_e32 21, v0
	s_cbranch_execz .LBB87_197
; %bb.191:
	s_clause 0x3
	buffer_load_dword v49, off, s[16:19], 0 offset:112
	buffer_load_dword v50, off, s[16:19], 0 offset:116
	;; [unrolled: 1-line block ×4, first 2 shown]
	s_waitcnt vmcnt(0)
	ds_write2_b64 v255, v[49:50], v[51:52] offset1:1
	s_clause 0x3
	buffer_load_dword v49, off, s[16:19], 0 offset:96
	buffer_load_dword v50, off, s[16:19], 0 offset:100
	buffer_load_dword v51, off, s[16:19], 0 offset:104
	buffer_load_dword v52, off, s[16:19], 0 offset:108
	s_waitcnt vmcnt(0)
	ds_write2_b64 v253, v[49:50], v[51:52] offset0:44 offset1:45
	s_clause 0x3
	buffer_load_dword v49, off, s[16:19], 0 offset:80
	buffer_load_dword v50, off, s[16:19], 0 offset:84
	buffer_load_dword v51, off, s[16:19], 0 offset:88
	buffer_load_dword v52, off, s[16:19], 0 offset:92
	s_waitcnt vmcnt(0)
	ds_write2_b64 v253, v[49:50], v[51:52] offset0:46 offset1:47
	;; [unrolled: 7-line block ×6, first 2 shown]
	s_clause 0x3
	buffer_load_dword v49, off, s[16:19], 0
	buffer_load_dword v50, off, s[16:19], 0 offset:4
	buffer_load_dword v51, off, s[16:19], 0 offset:8
	buffer_load_dword v52, off, s[16:19], 0 offset:12
	s_waitcnt vmcnt(0)
	ds_write2_b64 v253, v[49:50], v[51:52] offset0:56 offset1:57
	ds_write2_b64 v253, v[57:58], v[59:60] offset0:58 offset1:59
	;; [unrolled: 1-line block ×16, first 2 shown]
	ds_read2_b64 v[177:180], v255 offset1:1
	s_waitcnt lgkmcnt(0)
	v_cmp_neq_f64_e32 vcc_lo, 0, v[177:178]
	v_cmp_neq_f64_e64 s1, 0, v[179:180]
	s_or_b32 s1, vcc_lo, s1
	s_and_b32 exec_lo, exec_lo, s1
	s_cbranch_execz .LBB87_197
; %bb.192:
	v_cmp_ngt_f64_e64 s1, |v[177:178]|, |v[179:180]|
                                        ; implicit-def: $vgpr181_vgpr182
	s_and_saveexec_b32 s3, s1
	s_xor_b32 s1, exec_lo, s3
                                        ; implicit-def: $vgpr183_vgpr184
	s_cbranch_execz .LBB87_194
; %bb.193:
	v_div_scale_f64 v[181:182], null, v[179:180], v[179:180], v[177:178]
	v_div_scale_f64 v[187:188], vcc_lo, v[177:178], v[179:180], v[177:178]
	v_rcp_f64_e32 v[183:184], v[181:182]
	v_fma_f64 v[185:186], -v[181:182], v[183:184], 1.0
	v_fma_f64 v[183:184], v[183:184], v[185:186], v[183:184]
	v_fma_f64 v[185:186], -v[181:182], v[183:184], 1.0
	v_fma_f64 v[183:184], v[183:184], v[185:186], v[183:184]
	v_mul_f64 v[185:186], v[187:188], v[183:184]
	v_fma_f64 v[181:182], -v[181:182], v[185:186], v[187:188]
	v_div_fmas_f64 v[181:182], v[181:182], v[183:184], v[185:186]
	v_div_fixup_f64 v[181:182], v[181:182], v[179:180], v[177:178]
	v_fma_f64 v[177:178], v[177:178], v[181:182], v[179:180]
	v_div_scale_f64 v[179:180], null, v[177:178], v[177:178], 1.0
	v_rcp_f64_e32 v[183:184], v[179:180]
	v_fma_f64 v[185:186], -v[179:180], v[183:184], 1.0
	v_fma_f64 v[183:184], v[183:184], v[185:186], v[183:184]
	v_fma_f64 v[185:186], -v[179:180], v[183:184], 1.0
	v_fma_f64 v[183:184], v[183:184], v[185:186], v[183:184]
	v_div_scale_f64 v[185:186], vcc_lo, 1.0, v[177:178], 1.0
	v_mul_f64 v[187:188], v[185:186], v[183:184]
	v_fma_f64 v[179:180], -v[179:180], v[187:188], v[185:186]
	v_div_fmas_f64 v[179:180], v[179:180], v[183:184], v[187:188]
	v_div_fixup_f64 v[183:184], v[179:180], v[177:178], 1.0
                                        ; implicit-def: $vgpr177_vgpr178
	v_mul_f64 v[181:182], v[181:182], v[183:184]
	v_xor_b32_e32 v184, 0x80000000, v184
.LBB87_194:
	s_andn2_saveexec_b32 s1, s1
	s_cbranch_execz .LBB87_196
; %bb.195:
	v_div_scale_f64 v[181:182], null, v[177:178], v[177:178], v[179:180]
	v_div_scale_f64 v[187:188], vcc_lo, v[179:180], v[177:178], v[179:180]
	v_rcp_f64_e32 v[183:184], v[181:182]
	v_fma_f64 v[185:186], -v[181:182], v[183:184], 1.0
	v_fma_f64 v[183:184], v[183:184], v[185:186], v[183:184]
	v_fma_f64 v[185:186], -v[181:182], v[183:184], 1.0
	v_fma_f64 v[183:184], v[183:184], v[185:186], v[183:184]
	v_mul_f64 v[185:186], v[187:188], v[183:184]
	v_fma_f64 v[181:182], -v[181:182], v[185:186], v[187:188]
	v_div_fmas_f64 v[181:182], v[181:182], v[183:184], v[185:186]
	v_div_fixup_f64 v[183:184], v[181:182], v[177:178], v[179:180]
	v_fma_f64 v[177:178], v[179:180], v[183:184], v[177:178]
	v_div_scale_f64 v[179:180], null, v[177:178], v[177:178], 1.0
	v_rcp_f64_e32 v[181:182], v[179:180]
	v_fma_f64 v[185:186], -v[179:180], v[181:182], 1.0
	v_fma_f64 v[181:182], v[181:182], v[185:186], v[181:182]
	v_fma_f64 v[185:186], -v[179:180], v[181:182], 1.0
	v_fma_f64 v[181:182], v[181:182], v[185:186], v[181:182]
	v_div_scale_f64 v[185:186], vcc_lo, 1.0, v[177:178], 1.0
	v_mul_f64 v[187:188], v[185:186], v[181:182]
	v_fma_f64 v[179:180], -v[179:180], v[187:188], v[185:186]
	v_div_fmas_f64 v[179:180], v[179:180], v[181:182], v[187:188]
	v_div_fixup_f64 v[181:182], v[179:180], v[177:178], 1.0
	v_mul_f64 v[183:184], v[183:184], -v[181:182]
.LBB87_196:
	s_or_b32 exec_lo, exec_lo, s1
	ds_write2_b64 v255, v[181:182], v[183:184] offset1:1
.LBB87_197:
	s_or_b32 exec_lo, exec_lo, s2
	s_waitcnt lgkmcnt(0)
	s_barrier
	buffer_gl0_inv
	ds_read2_b64 v[233:236], v255 offset1:1
	s_mov_b32 s1, exec_lo
	v_cmpx_lt_u32_e32 21, v0
	s_cbranch_execz .LBB87_199
; %bb.198:
	s_clause 0x3
	buffer_load_dword v89, off, s[16:19], 0 offset:112
	buffer_load_dword v90, off, s[16:19], 0 offset:116
	;; [unrolled: 1-line block ×4, first 2 shown]
	ds_read2_b64 v[179:182], v253 offset0:44 offset1:45
	s_clause 0x3
	buffer_load_dword v49, off, s[16:19], 0 offset:96
	buffer_load_dword v50, off, s[16:19], 0 offset:100
	;; [unrolled: 1-line block ×4, first 2 shown]
	s_waitcnt vmcnt(4) lgkmcnt(1)
	v_mul_f64 v[177:178], v[235:236], v[91:92]
	v_mul_f64 v[91:92], v[233:234], v[91:92]
	v_fma_f64 v[177:178], v[233:234], v[89:90], -v[177:178]
	v_fma_f64 v[91:92], v[235:236], v[89:90], v[91:92]
	s_waitcnt lgkmcnt(0)
	v_mul_f64 v[89:90], v[181:182], v[91:92]
	v_fma_f64 v[89:90], v[179:180], v[177:178], -v[89:90]
	v_mul_f64 v[179:180], v[179:180], v[91:92]
	s_waitcnt vmcnt(2)
	v_add_f64 v[49:50], v[49:50], -v[89:90]
	v_fma_f64 v[179:180], v[181:182], v[177:178], v[179:180]
	s_waitcnt vmcnt(0)
	v_add_f64 v[51:52], v[51:52], -v[179:180]
	buffer_store_dword v49, off, s[16:19], 0 offset:96 ; 4-byte Folded Spill
	buffer_store_dword v50, off, s[16:19], 0 offset:100 ; 4-byte Folded Spill
	buffer_store_dword v51, off, s[16:19], 0 offset:104 ; 4-byte Folded Spill
	buffer_store_dword v52, off, s[16:19], 0 offset:108 ; 4-byte Folded Spill
	ds_read2_b64 v[179:182], v253 offset0:46 offset1:47
	s_clause 0x3
	buffer_load_dword v49, off, s[16:19], 0 offset:80
	buffer_load_dword v50, off, s[16:19], 0 offset:84
	buffer_load_dword v51, off, s[16:19], 0 offset:88
	buffer_load_dword v52, off, s[16:19], 0 offset:92
	s_waitcnt lgkmcnt(0)
	v_mul_f64 v[89:90], v[181:182], v[91:92]
	v_fma_f64 v[89:90], v[179:180], v[177:178], -v[89:90]
	v_mul_f64 v[179:180], v[179:180], v[91:92]
	v_fma_f64 v[179:180], v[181:182], v[177:178], v[179:180]
	s_waitcnt vmcnt(2)
	v_add_f64 v[49:50], v[49:50], -v[89:90]
	s_waitcnt vmcnt(0)
	v_add_f64 v[51:52], v[51:52], -v[179:180]
	buffer_store_dword v49, off, s[16:19], 0 offset:80 ; 4-byte Folded Spill
	buffer_store_dword v50, off, s[16:19], 0 offset:84 ; 4-byte Folded Spill
	buffer_store_dword v51, off, s[16:19], 0 offset:88 ; 4-byte Folded Spill
	buffer_store_dword v52, off, s[16:19], 0 offset:92 ; 4-byte Folded Spill
	ds_read2_b64 v[179:182], v253 offset0:48 offset1:49
	s_clause 0x3
	buffer_load_dword v49, off, s[16:19], 0 offset:64
	buffer_load_dword v50, off, s[16:19], 0 offset:68
	buffer_load_dword v51, off, s[16:19], 0 offset:72
	buffer_load_dword v52, off, s[16:19], 0 offset:76
	s_waitcnt lgkmcnt(0)
	v_mul_f64 v[89:90], v[181:182], v[91:92]
	v_fma_f64 v[89:90], v[179:180], v[177:178], -v[89:90]
	v_mul_f64 v[179:180], v[179:180], v[91:92]
	v_fma_f64 v[179:180], v[181:182], v[177:178], v[179:180]
	s_waitcnt vmcnt(2)
	v_add_f64 v[49:50], v[49:50], -v[89:90]
	;; [unrolled: 19-line block ×5, first 2 shown]
	s_waitcnt vmcnt(0)
	v_add_f64 v[51:52], v[51:52], -v[179:180]
	buffer_store_dword v49, off, s[16:19], 0 offset:16 ; 4-byte Folded Spill
	buffer_store_dword v50, off, s[16:19], 0 offset:20 ; 4-byte Folded Spill
	;; [unrolled: 1-line block ×4, first 2 shown]
	ds_read2_b64 v[179:182], v253 offset0:56 offset1:57
	s_clause 0x3
	buffer_load_dword v49, off, s[16:19], 0
	buffer_load_dword v50, off, s[16:19], 0 offset:4
	buffer_load_dword v51, off, s[16:19], 0 offset:8
	;; [unrolled: 1-line block ×3, first 2 shown]
	s_waitcnt lgkmcnt(0)
	v_mul_f64 v[89:90], v[181:182], v[91:92]
	v_fma_f64 v[89:90], v[179:180], v[177:178], -v[89:90]
	v_mul_f64 v[179:180], v[179:180], v[91:92]
	v_fma_f64 v[179:180], v[181:182], v[177:178], v[179:180]
	s_waitcnt vmcnt(2)
	v_add_f64 v[49:50], v[49:50], -v[89:90]
	s_waitcnt vmcnt(0)
	v_add_f64 v[51:52], v[51:52], -v[179:180]
	buffer_store_dword v49, off, s[16:19], 0 ; 4-byte Folded Spill
	buffer_store_dword v50, off, s[16:19], 0 offset:4 ; 4-byte Folded Spill
	buffer_store_dword v51, off, s[16:19], 0 offset:8 ; 4-byte Folded Spill
	;; [unrolled: 1-line block ×3, first 2 shown]
	ds_read2_b64 v[179:182], v253 offset0:58 offset1:59
	s_waitcnt lgkmcnt(0)
	v_mul_f64 v[89:90], v[181:182], v[91:92]
	v_fma_f64 v[89:90], v[179:180], v[177:178], -v[89:90]
	v_mul_f64 v[179:180], v[179:180], v[91:92]
	v_add_f64 v[57:58], v[57:58], -v[89:90]
	v_fma_f64 v[179:180], v[181:182], v[177:178], v[179:180]
	v_add_f64 v[59:60], v[59:60], -v[179:180]
	ds_read2_b64 v[179:182], v253 offset0:60 offset1:61
	s_waitcnt lgkmcnt(0)
	v_mul_f64 v[89:90], v[181:182], v[91:92]
	v_fma_f64 v[89:90], v[179:180], v[177:178], -v[89:90]
	v_mul_f64 v[179:180], v[179:180], v[91:92]
	v_add_f64 v[241:242], v[241:242], -v[89:90]
	v_fma_f64 v[179:180], v[181:182], v[177:178], v[179:180]
	v_add_f64 v[243:244], v[243:244], -v[179:180]
	;; [unrolled: 8-line block ×14, first 2 shown]
	ds_read2_b64 v[179:182], v253 offset0:86 offset1:87
	s_waitcnt lgkmcnt(0)
	v_mul_f64 v[89:90], v[181:182], v[91:92]
	v_fma_f64 v[89:90], v[179:180], v[177:178], -v[89:90]
	v_mul_f64 v[179:180], v[179:180], v[91:92]
	v_add_f64 v[1:2], v[1:2], -v[89:90]
	v_fma_f64 v[179:180], v[181:182], v[177:178], v[179:180]
	v_mov_b32_e32 v89, v177
	v_mov_b32_e32 v90, v178
	buffer_store_dword v89, off, s[16:19], 0 offset:112 ; 4-byte Folded Spill
	buffer_store_dword v90, off, s[16:19], 0 offset:116 ; 4-byte Folded Spill
	;; [unrolled: 1-line block ×4, first 2 shown]
	v_add_f64 v[3:4], v[3:4], -v[179:180]
.LBB87_199:
	s_or_b32 exec_lo, exec_lo, s1
	s_mov_b32 s2, exec_lo
	s_waitcnt lgkmcnt(0)
	s_waitcnt_vscnt null, 0x0
	s_barrier
	buffer_gl0_inv
	v_cmpx_eq_u32_e32 22, v0
	s_cbranch_execz .LBB87_206
; %bb.200:
	s_clause 0x3
	buffer_load_dword v49, off, s[16:19], 0 offset:96
	buffer_load_dword v50, off, s[16:19], 0 offset:100
	;; [unrolled: 1-line block ×4, first 2 shown]
	s_waitcnt vmcnt(0)
	ds_write2_b64 v255, v[49:50], v[51:52] offset1:1
	s_clause 0x3
	buffer_load_dword v49, off, s[16:19], 0 offset:80
	buffer_load_dword v50, off, s[16:19], 0 offset:84
	buffer_load_dword v51, off, s[16:19], 0 offset:88
	buffer_load_dword v52, off, s[16:19], 0 offset:92
	s_waitcnt vmcnt(0)
	ds_write2_b64 v253, v[49:50], v[51:52] offset0:46 offset1:47
	s_clause 0x3
	buffer_load_dword v49, off, s[16:19], 0 offset:64
	buffer_load_dword v50, off, s[16:19], 0 offset:68
	buffer_load_dword v51, off, s[16:19], 0 offset:72
	buffer_load_dword v52, off, s[16:19], 0 offset:76
	s_waitcnt vmcnt(0)
	ds_write2_b64 v253, v[49:50], v[51:52] offset0:48 offset1:49
	;; [unrolled: 7-line block ×5, first 2 shown]
	s_clause 0x3
	buffer_load_dword v49, off, s[16:19], 0
	buffer_load_dword v50, off, s[16:19], 0 offset:4
	buffer_load_dword v51, off, s[16:19], 0 offset:8
	;; [unrolled: 1-line block ×3, first 2 shown]
	s_waitcnt vmcnt(0)
	ds_write2_b64 v253, v[49:50], v[51:52] offset0:56 offset1:57
	ds_write2_b64 v253, v[57:58], v[59:60] offset0:58 offset1:59
	ds_write2_b64 v253, v[241:242], v[243:244] offset0:60 offset1:61
	ds_write2_b64 v253, v[205:206], v[207:208] offset0:62 offset1:63
	ds_write2_b64 v253, v[45:46], v[47:48] offset0:64 offset1:65
	ds_write2_b64 v253, v[41:42], v[43:44] offset0:66 offset1:67
	ds_write2_b64 v253, v[37:38], v[39:40] offset0:68 offset1:69
	ds_write2_b64 v253, v[33:34], v[35:36] offset0:70 offset1:71
	ds_write2_b64 v253, v[29:30], v[31:32] offset0:72 offset1:73
	ds_write2_b64 v253, v[25:26], v[27:28] offset0:74 offset1:75
	ds_write2_b64 v253, v[21:22], v[23:24] offset0:76 offset1:77
	ds_write2_b64 v253, v[17:18], v[19:20] offset0:78 offset1:79
	ds_write2_b64 v253, v[13:14], v[15:16] offset0:80 offset1:81
	ds_write2_b64 v253, v[9:10], v[11:12] offset0:82 offset1:83
	ds_write2_b64 v253, v[5:6], v[7:8] offset0:84 offset1:85
	ds_write2_b64 v253, v[1:2], v[3:4] offset0:86 offset1:87
	ds_read2_b64 v[177:180], v255 offset1:1
	s_waitcnt lgkmcnt(0)
	v_cmp_neq_f64_e32 vcc_lo, 0, v[177:178]
	v_cmp_neq_f64_e64 s1, 0, v[179:180]
	s_or_b32 s1, vcc_lo, s1
	s_and_b32 exec_lo, exec_lo, s1
	s_cbranch_execz .LBB87_206
; %bb.201:
	v_cmp_ngt_f64_e64 s1, |v[177:178]|, |v[179:180]|
                                        ; implicit-def: $vgpr181_vgpr182
	s_and_saveexec_b32 s3, s1
	s_xor_b32 s1, exec_lo, s3
                                        ; implicit-def: $vgpr183_vgpr184
	s_cbranch_execz .LBB87_203
; %bb.202:
	v_div_scale_f64 v[181:182], null, v[179:180], v[179:180], v[177:178]
	v_div_scale_f64 v[187:188], vcc_lo, v[177:178], v[179:180], v[177:178]
	v_rcp_f64_e32 v[183:184], v[181:182]
	v_fma_f64 v[185:186], -v[181:182], v[183:184], 1.0
	v_fma_f64 v[183:184], v[183:184], v[185:186], v[183:184]
	v_fma_f64 v[185:186], -v[181:182], v[183:184], 1.0
	v_fma_f64 v[183:184], v[183:184], v[185:186], v[183:184]
	v_mul_f64 v[185:186], v[187:188], v[183:184]
	v_fma_f64 v[181:182], -v[181:182], v[185:186], v[187:188]
	v_div_fmas_f64 v[181:182], v[181:182], v[183:184], v[185:186]
	v_div_fixup_f64 v[181:182], v[181:182], v[179:180], v[177:178]
	v_fma_f64 v[177:178], v[177:178], v[181:182], v[179:180]
	v_div_scale_f64 v[179:180], null, v[177:178], v[177:178], 1.0
	v_rcp_f64_e32 v[183:184], v[179:180]
	v_fma_f64 v[185:186], -v[179:180], v[183:184], 1.0
	v_fma_f64 v[183:184], v[183:184], v[185:186], v[183:184]
	v_fma_f64 v[185:186], -v[179:180], v[183:184], 1.0
	v_fma_f64 v[183:184], v[183:184], v[185:186], v[183:184]
	v_div_scale_f64 v[185:186], vcc_lo, 1.0, v[177:178], 1.0
	v_mul_f64 v[187:188], v[185:186], v[183:184]
	v_fma_f64 v[179:180], -v[179:180], v[187:188], v[185:186]
	v_div_fmas_f64 v[179:180], v[179:180], v[183:184], v[187:188]
	v_div_fixup_f64 v[183:184], v[179:180], v[177:178], 1.0
                                        ; implicit-def: $vgpr177_vgpr178
	v_mul_f64 v[181:182], v[181:182], v[183:184]
	v_xor_b32_e32 v184, 0x80000000, v184
.LBB87_203:
	s_andn2_saveexec_b32 s1, s1
	s_cbranch_execz .LBB87_205
; %bb.204:
	v_div_scale_f64 v[181:182], null, v[177:178], v[177:178], v[179:180]
	v_div_scale_f64 v[187:188], vcc_lo, v[179:180], v[177:178], v[179:180]
	v_rcp_f64_e32 v[183:184], v[181:182]
	v_fma_f64 v[185:186], -v[181:182], v[183:184], 1.0
	v_fma_f64 v[183:184], v[183:184], v[185:186], v[183:184]
	v_fma_f64 v[185:186], -v[181:182], v[183:184], 1.0
	v_fma_f64 v[183:184], v[183:184], v[185:186], v[183:184]
	v_mul_f64 v[185:186], v[187:188], v[183:184]
	v_fma_f64 v[181:182], -v[181:182], v[185:186], v[187:188]
	v_div_fmas_f64 v[181:182], v[181:182], v[183:184], v[185:186]
	v_div_fixup_f64 v[183:184], v[181:182], v[177:178], v[179:180]
	v_fma_f64 v[177:178], v[179:180], v[183:184], v[177:178]
	v_div_scale_f64 v[179:180], null, v[177:178], v[177:178], 1.0
	v_rcp_f64_e32 v[181:182], v[179:180]
	v_fma_f64 v[185:186], -v[179:180], v[181:182], 1.0
	v_fma_f64 v[181:182], v[181:182], v[185:186], v[181:182]
	v_fma_f64 v[185:186], -v[179:180], v[181:182], 1.0
	v_fma_f64 v[181:182], v[181:182], v[185:186], v[181:182]
	v_div_scale_f64 v[185:186], vcc_lo, 1.0, v[177:178], 1.0
	v_mul_f64 v[187:188], v[185:186], v[181:182]
	v_fma_f64 v[179:180], -v[179:180], v[187:188], v[185:186]
	v_div_fmas_f64 v[179:180], v[179:180], v[181:182], v[187:188]
	v_div_fixup_f64 v[181:182], v[179:180], v[177:178], 1.0
	v_mul_f64 v[183:184], v[183:184], -v[181:182]
.LBB87_205:
	s_or_b32 exec_lo, exec_lo, s1
	ds_write2_b64 v255, v[181:182], v[183:184] offset1:1
.LBB87_206:
	s_or_b32 exec_lo, exec_lo, s2
	s_waitcnt lgkmcnt(0)
	s_barrier
	buffer_gl0_inv
	ds_read2_b64 v[237:240], v255 offset1:1
	s_mov_b32 s1, exec_lo
	v_cmpx_lt_u32_e32 22, v0
	s_cbranch_execz .LBB87_208
; %bb.207:
	s_clause 0x3
	buffer_load_dword v85, off, s[16:19], 0 offset:96
	buffer_load_dword v86, off, s[16:19], 0 offset:100
	;; [unrolled: 1-line block ×4, first 2 shown]
	ds_read2_b64 v[179:182], v253 offset0:46 offset1:47
	s_clause 0x3
	buffer_load_dword v49, off, s[16:19], 0 offset:80
	buffer_load_dword v50, off, s[16:19], 0 offset:84
	buffer_load_dword v51, off, s[16:19], 0 offset:88
	buffer_load_dword v52, off, s[16:19], 0 offset:92
	s_waitcnt vmcnt(4) lgkmcnt(1)
	v_mul_f64 v[177:178], v[239:240], v[87:88]
	v_mul_f64 v[87:88], v[237:238], v[87:88]
	v_fma_f64 v[177:178], v[237:238], v[85:86], -v[177:178]
	v_fma_f64 v[87:88], v[239:240], v[85:86], v[87:88]
	s_waitcnt lgkmcnt(0)
	v_mul_f64 v[85:86], v[181:182], v[87:88]
	v_fma_f64 v[85:86], v[179:180], v[177:178], -v[85:86]
	v_mul_f64 v[179:180], v[179:180], v[87:88]
	s_waitcnt vmcnt(2)
	v_add_f64 v[49:50], v[49:50], -v[85:86]
	v_fma_f64 v[179:180], v[181:182], v[177:178], v[179:180]
	s_waitcnt vmcnt(0)
	v_add_f64 v[51:52], v[51:52], -v[179:180]
	buffer_store_dword v49, off, s[16:19], 0 offset:80 ; 4-byte Folded Spill
	buffer_store_dword v50, off, s[16:19], 0 offset:84 ; 4-byte Folded Spill
	buffer_store_dword v51, off, s[16:19], 0 offset:88 ; 4-byte Folded Spill
	buffer_store_dword v52, off, s[16:19], 0 offset:92 ; 4-byte Folded Spill
	ds_read2_b64 v[179:182], v253 offset0:48 offset1:49
	s_clause 0x3
	buffer_load_dword v49, off, s[16:19], 0 offset:64
	buffer_load_dword v50, off, s[16:19], 0 offset:68
	buffer_load_dword v51, off, s[16:19], 0 offset:72
	buffer_load_dword v52, off, s[16:19], 0 offset:76
	s_waitcnt lgkmcnt(0)
	v_mul_f64 v[85:86], v[181:182], v[87:88]
	v_fma_f64 v[85:86], v[179:180], v[177:178], -v[85:86]
	v_mul_f64 v[179:180], v[179:180], v[87:88]
	v_fma_f64 v[179:180], v[181:182], v[177:178], v[179:180]
	s_waitcnt vmcnt(2)
	v_add_f64 v[49:50], v[49:50], -v[85:86]
	s_waitcnt vmcnt(0)
	v_add_f64 v[51:52], v[51:52], -v[179:180]
	buffer_store_dword v49, off, s[16:19], 0 offset:64 ; 4-byte Folded Spill
	buffer_store_dword v50, off, s[16:19], 0 offset:68 ; 4-byte Folded Spill
	buffer_store_dword v51, off, s[16:19], 0 offset:72 ; 4-byte Folded Spill
	buffer_store_dword v52, off, s[16:19], 0 offset:76 ; 4-byte Folded Spill
	ds_read2_b64 v[179:182], v253 offset0:50 offset1:51
	s_clause 0x3
	buffer_load_dword v49, off, s[16:19], 0 offset:48
	buffer_load_dword v50, off, s[16:19], 0 offset:52
	buffer_load_dword v51, off, s[16:19], 0 offset:56
	buffer_load_dword v52, off, s[16:19], 0 offset:60
	s_waitcnt lgkmcnt(0)
	v_mul_f64 v[85:86], v[181:182], v[87:88]
	v_fma_f64 v[85:86], v[179:180], v[177:178], -v[85:86]
	v_mul_f64 v[179:180], v[179:180], v[87:88]
	v_fma_f64 v[179:180], v[181:182], v[177:178], v[179:180]
	s_waitcnt vmcnt(2)
	v_add_f64 v[49:50], v[49:50], -v[85:86]
	s_waitcnt vmcnt(0)
	v_add_f64 v[51:52], v[51:52], -v[179:180]
	buffer_store_dword v49, off, s[16:19], 0 offset:48 ; 4-byte Folded Spill
	buffer_store_dword v50, off, s[16:19], 0 offset:52 ; 4-byte Folded Spill
	buffer_store_dword v51, off, s[16:19], 0 offset:56 ; 4-byte Folded Spill
	buffer_store_dword v52, off, s[16:19], 0 offset:60 ; 4-byte Folded Spill
	ds_read2_b64 v[179:182], v253 offset0:52 offset1:53
	s_clause 0x3
	buffer_load_dword v49, off, s[16:19], 0 offset:32
	buffer_load_dword v50, off, s[16:19], 0 offset:36
	buffer_load_dword v51, off, s[16:19], 0 offset:40
	buffer_load_dword v52, off, s[16:19], 0 offset:44
	s_waitcnt lgkmcnt(0)
	v_mul_f64 v[85:86], v[181:182], v[87:88]
	v_fma_f64 v[85:86], v[179:180], v[177:178], -v[85:86]
	v_mul_f64 v[179:180], v[179:180], v[87:88]
	v_fma_f64 v[179:180], v[181:182], v[177:178], v[179:180]
	s_waitcnt vmcnt(2)
	v_add_f64 v[49:50], v[49:50], -v[85:86]
	s_waitcnt vmcnt(0)
	v_add_f64 v[51:52], v[51:52], -v[179:180]
	buffer_store_dword v49, off, s[16:19], 0 offset:32 ; 4-byte Folded Spill
	buffer_store_dword v50, off, s[16:19], 0 offset:36 ; 4-byte Folded Spill
	buffer_store_dword v51, off, s[16:19], 0 offset:40 ; 4-byte Folded Spill
	buffer_store_dword v52, off, s[16:19], 0 offset:44 ; 4-byte Folded Spill
	ds_read2_b64 v[179:182], v253 offset0:54 offset1:55
	s_clause 0x3
	buffer_load_dword v49, off, s[16:19], 0 offset:16
	buffer_load_dword v50, off, s[16:19], 0 offset:20
	buffer_load_dword v51, off, s[16:19], 0 offset:24
	buffer_load_dword v52, off, s[16:19], 0 offset:28
	s_waitcnt lgkmcnt(0)
	v_mul_f64 v[85:86], v[181:182], v[87:88]
	v_fma_f64 v[85:86], v[179:180], v[177:178], -v[85:86]
	v_mul_f64 v[179:180], v[179:180], v[87:88]
	v_fma_f64 v[179:180], v[181:182], v[177:178], v[179:180]
	s_waitcnt vmcnt(2)
	v_add_f64 v[49:50], v[49:50], -v[85:86]
	s_waitcnt vmcnt(0)
	v_add_f64 v[51:52], v[51:52], -v[179:180]
	buffer_store_dword v49, off, s[16:19], 0 offset:16 ; 4-byte Folded Spill
	buffer_store_dword v50, off, s[16:19], 0 offset:20 ; 4-byte Folded Spill
	buffer_store_dword v51, off, s[16:19], 0 offset:24 ; 4-byte Folded Spill
	buffer_store_dword v52, off, s[16:19], 0 offset:28 ; 4-byte Folded Spill
	ds_read2_b64 v[179:182], v253 offset0:56 offset1:57
	s_clause 0x3
	buffer_load_dword v49, off, s[16:19], 0
	buffer_load_dword v50, off, s[16:19], 0 offset:4
	buffer_load_dword v51, off, s[16:19], 0 offset:8
	;; [unrolled: 1-line block ×3, first 2 shown]
	s_waitcnt lgkmcnt(0)
	v_mul_f64 v[85:86], v[181:182], v[87:88]
	v_fma_f64 v[85:86], v[179:180], v[177:178], -v[85:86]
	v_mul_f64 v[179:180], v[179:180], v[87:88]
	v_fma_f64 v[179:180], v[181:182], v[177:178], v[179:180]
	s_waitcnt vmcnt(2)
	v_add_f64 v[49:50], v[49:50], -v[85:86]
	s_waitcnt vmcnt(0)
	v_add_f64 v[51:52], v[51:52], -v[179:180]
	buffer_store_dword v49, off, s[16:19], 0 ; 4-byte Folded Spill
	buffer_store_dword v50, off, s[16:19], 0 offset:4 ; 4-byte Folded Spill
	buffer_store_dword v51, off, s[16:19], 0 offset:8 ; 4-byte Folded Spill
	;; [unrolled: 1-line block ×3, first 2 shown]
	ds_read2_b64 v[179:182], v253 offset0:58 offset1:59
	s_waitcnt lgkmcnt(0)
	v_mul_f64 v[85:86], v[181:182], v[87:88]
	v_fma_f64 v[85:86], v[179:180], v[177:178], -v[85:86]
	v_mul_f64 v[179:180], v[179:180], v[87:88]
	v_add_f64 v[57:58], v[57:58], -v[85:86]
	v_fma_f64 v[179:180], v[181:182], v[177:178], v[179:180]
	v_add_f64 v[59:60], v[59:60], -v[179:180]
	ds_read2_b64 v[179:182], v253 offset0:60 offset1:61
	s_waitcnt lgkmcnt(0)
	v_mul_f64 v[85:86], v[181:182], v[87:88]
	v_fma_f64 v[85:86], v[179:180], v[177:178], -v[85:86]
	v_mul_f64 v[179:180], v[179:180], v[87:88]
	v_add_f64 v[241:242], v[241:242], -v[85:86]
	v_fma_f64 v[179:180], v[181:182], v[177:178], v[179:180]
	v_add_f64 v[243:244], v[243:244], -v[179:180]
	;; [unrolled: 8-line block ×14, first 2 shown]
	ds_read2_b64 v[179:182], v253 offset0:86 offset1:87
	s_waitcnt lgkmcnt(0)
	v_mul_f64 v[85:86], v[181:182], v[87:88]
	v_fma_f64 v[85:86], v[179:180], v[177:178], -v[85:86]
	v_mul_f64 v[179:180], v[179:180], v[87:88]
	v_add_f64 v[1:2], v[1:2], -v[85:86]
	v_fma_f64 v[179:180], v[181:182], v[177:178], v[179:180]
	v_mov_b32_e32 v85, v177
	v_mov_b32_e32 v86, v178
	buffer_store_dword v85, off, s[16:19], 0 offset:96 ; 4-byte Folded Spill
	buffer_store_dword v86, off, s[16:19], 0 offset:100 ; 4-byte Folded Spill
	;; [unrolled: 1-line block ×4, first 2 shown]
	v_add_f64 v[3:4], v[3:4], -v[179:180]
.LBB87_208:
	s_or_b32 exec_lo, exec_lo, s1
	s_mov_b32 s2, exec_lo
	s_waitcnt lgkmcnt(0)
	s_waitcnt_vscnt null, 0x0
	s_barrier
	buffer_gl0_inv
	v_cmpx_eq_u32_e32 23, v0
	s_cbranch_execz .LBB87_215
; %bb.209:
	s_clause 0x3
	buffer_load_dword v49, off, s[16:19], 0 offset:80
	buffer_load_dword v50, off, s[16:19], 0 offset:84
	;; [unrolled: 1-line block ×4, first 2 shown]
	s_waitcnt vmcnt(0)
	ds_write2_b64 v255, v[49:50], v[51:52] offset1:1
	s_clause 0x3
	buffer_load_dword v49, off, s[16:19], 0 offset:64
	buffer_load_dword v50, off, s[16:19], 0 offset:68
	buffer_load_dword v51, off, s[16:19], 0 offset:72
	buffer_load_dword v52, off, s[16:19], 0 offset:76
	s_waitcnt vmcnt(0)
	ds_write2_b64 v253, v[49:50], v[51:52] offset0:48 offset1:49
	s_clause 0x3
	buffer_load_dword v49, off, s[16:19], 0 offset:48
	buffer_load_dword v50, off, s[16:19], 0 offset:52
	buffer_load_dword v51, off, s[16:19], 0 offset:56
	buffer_load_dword v52, off, s[16:19], 0 offset:60
	s_waitcnt vmcnt(0)
	ds_write2_b64 v253, v[49:50], v[51:52] offset0:50 offset1:51
	s_clause 0x3
	buffer_load_dword v49, off, s[16:19], 0 offset:32
	buffer_load_dword v50, off, s[16:19], 0 offset:36
	buffer_load_dword v51, off, s[16:19], 0 offset:40
	buffer_load_dword v52, off, s[16:19], 0 offset:44
	s_waitcnt vmcnt(0)
	ds_write2_b64 v253, v[49:50], v[51:52] offset0:52 offset1:53
	s_clause 0x3
	buffer_load_dword v49, off, s[16:19], 0 offset:16
	buffer_load_dword v50, off, s[16:19], 0 offset:20
	buffer_load_dword v51, off, s[16:19], 0 offset:24
	buffer_load_dword v52, off, s[16:19], 0 offset:28
	s_waitcnt vmcnt(0)
	ds_write2_b64 v253, v[49:50], v[51:52] offset0:54 offset1:55
	s_clause 0x3
	buffer_load_dword v49, off, s[16:19], 0
	buffer_load_dword v50, off, s[16:19], 0 offset:4
	buffer_load_dword v51, off, s[16:19], 0 offset:8
	;; [unrolled: 1-line block ×3, first 2 shown]
	s_waitcnt vmcnt(0)
	ds_write2_b64 v253, v[49:50], v[51:52] offset0:56 offset1:57
	ds_write2_b64 v253, v[57:58], v[59:60] offset0:58 offset1:59
	;; [unrolled: 1-line block ×16, first 2 shown]
	ds_read2_b64 v[177:180], v255 offset1:1
	s_waitcnt lgkmcnt(0)
	v_cmp_neq_f64_e32 vcc_lo, 0, v[177:178]
	v_cmp_neq_f64_e64 s1, 0, v[179:180]
	s_or_b32 s1, vcc_lo, s1
	s_and_b32 exec_lo, exec_lo, s1
	s_cbranch_execz .LBB87_215
; %bb.210:
	v_cmp_ngt_f64_e64 s1, |v[177:178]|, |v[179:180]|
                                        ; implicit-def: $vgpr181_vgpr182
	s_and_saveexec_b32 s3, s1
	s_xor_b32 s1, exec_lo, s3
                                        ; implicit-def: $vgpr183_vgpr184
	s_cbranch_execz .LBB87_212
; %bb.211:
	v_div_scale_f64 v[181:182], null, v[179:180], v[179:180], v[177:178]
	v_div_scale_f64 v[187:188], vcc_lo, v[177:178], v[179:180], v[177:178]
	v_rcp_f64_e32 v[183:184], v[181:182]
	v_fma_f64 v[185:186], -v[181:182], v[183:184], 1.0
	v_fma_f64 v[183:184], v[183:184], v[185:186], v[183:184]
	v_fma_f64 v[185:186], -v[181:182], v[183:184], 1.0
	v_fma_f64 v[183:184], v[183:184], v[185:186], v[183:184]
	v_mul_f64 v[185:186], v[187:188], v[183:184]
	v_fma_f64 v[181:182], -v[181:182], v[185:186], v[187:188]
	v_div_fmas_f64 v[181:182], v[181:182], v[183:184], v[185:186]
	v_div_fixup_f64 v[181:182], v[181:182], v[179:180], v[177:178]
	v_fma_f64 v[177:178], v[177:178], v[181:182], v[179:180]
	v_div_scale_f64 v[179:180], null, v[177:178], v[177:178], 1.0
	v_rcp_f64_e32 v[183:184], v[179:180]
	v_fma_f64 v[185:186], -v[179:180], v[183:184], 1.0
	v_fma_f64 v[183:184], v[183:184], v[185:186], v[183:184]
	v_fma_f64 v[185:186], -v[179:180], v[183:184], 1.0
	v_fma_f64 v[183:184], v[183:184], v[185:186], v[183:184]
	v_div_scale_f64 v[185:186], vcc_lo, 1.0, v[177:178], 1.0
	v_mul_f64 v[187:188], v[185:186], v[183:184]
	v_fma_f64 v[179:180], -v[179:180], v[187:188], v[185:186]
	v_div_fmas_f64 v[179:180], v[179:180], v[183:184], v[187:188]
	v_div_fixup_f64 v[183:184], v[179:180], v[177:178], 1.0
                                        ; implicit-def: $vgpr177_vgpr178
	v_mul_f64 v[181:182], v[181:182], v[183:184]
	v_xor_b32_e32 v184, 0x80000000, v184
.LBB87_212:
	s_andn2_saveexec_b32 s1, s1
	s_cbranch_execz .LBB87_214
; %bb.213:
	v_div_scale_f64 v[181:182], null, v[177:178], v[177:178], v[179:180]
	v_div_scale_f64 v[187:188], vcc_lo, v[179:180], v[177:178], v[179:180]
	v_rcp_f64_e32 v[183:184], v[181:182]
	v_fma_f64 v[185:186], -v[181:182], v[183:184], 1.0
	v_fma_f64 v[183:184], v[183:184], v[185:186], v[183:184]
	v_fma_f64 v[185:186], -v[181:182], v[183:184], 1.0
	v_fma_f64 v[183:184], v[183:184], v[185:186], v[183:184]
	v_mul_f64 v[185:186], v[187:188], v[183:184]
	v_fma_f64 v[181:182], -v[181:182], v[185:186], v[187:188]
	v_div_fmas_f64 v[181:182], v[181:182], v[183:184], v[185:186]
	v_div_fixup_f64 v[183:184], v[181:182], v[177:178], v[179:180]
	v_fma_f64 v[177:178], v[179:180], v[183:184], v[177:178]
	v_div_scale_f64 v[179:180], null, v[177:178], v[177:178], 1.0
	v_rcp_f64_e32 v[181:182], v[179:180]
	v_fma_f64 v[185:186], -v[179:180], v[181:182], 1.0
	v_fma_f64 v[181:182], v[181:182], v[185:186], v[181:182]
	v_fma_f64 v[185:186], -v[179:180], v[181:182], 1.0
	v_fma_f64 v[181:182], v[181:182], v[185:186], v[181:182]
	v_div_scale_f64 v[185:186], vcc_lo, 1.0, v[177:178], 1.0
	v_mul_f64 v[187:188], v[185:186], v[181:182]
	v_fma_f64 v[179:180], -v[179:180], v[187:188], v[185:186]
	v_div_fmas_f64 v[179:180], v[179:180], v[181:182], v[187:188]
	v_div_fixup_f64 v[181:182], v[179:180], v[177:178], 1.0
	v_mul_f64 v[183:184], v[183:184], -v[181:182]
.LBB87_214:
	s_or_b32 exec_lo, exec_lo, s1
	ds_write2_b64 v255, v[181:182], v[183:184] offset1:1
.LBB87_215:
	s_or_b32 exec_lo, exec_lo, s2
	s_waitcnt lgkmcnt(0)
	s_barrier
	buffer_gl0_inv
	ds_read2_b64 v[245:248], v255 offset1:1
	s_mov_b32 s1, exec_lo
	v_cmpx_lt_u32_e32 23, v0
	s_cbranch_execz .LBB87_217
; %bb.216:
	s_clause 0x3
	buffer_load_dword v81, off, s[16:19], 0 offset:80
	buffer_load_dword v82, off, s[16:19], 0 offset:84
	;; [unrolled: 1-line block ×4, first 2 shown]
	ds_read2_b64 v[179:182], v253 offset0:48 offset1:49
	s_clause 0x3
	buffer_load_dword v49, off, s[16:19], 0 offset:64
	buffer_load_dword v50, off, s[16:19], 0 offset:68
	;; [unrolled: 1-line block ×4, first 2 shown]
	s_waitcnt vmcnt(4) lgkmcnt(1)
	v_mul_f64 v[177:178], v[247:248], v[83:84]
	v_mul_f64 v[83:84], v[245:246], v[83:84]
	v_fma_f64 v[177:178], v[245:246], v[81:82], -v[177:178]
	v_fma_f64 v[83:84], v[247:248], v[81:82], v[83:84]
	s_waitcnt lgkmcnt(0)
	v_mul_f64 v[81:82], v[181:182], v[83:84]
	v_fma_f64 v[81:82], v[179:180], v[177:178], -v[81:82]
	v_mul_f64 v[179:180], v[179:180], v[83:84]
	s_waitcnt vmcnt(2)
	v_add_f64 v[49:50], v[49:50], -v[81:82]
	v_fma_f64 v[179:180], v[181:182], v[177:178], v[179:180]
	s_waitcnt vmcnt(0)
	v_add_f64 v[51:52], v[51:52], -v[179:180]
	buffer_store_dword v49, off, s[16:19], 0 offset:64 ; 4-byte Folded Spill
	buffer_store_dword v50, off, s[16:19], 0 offset:68 ; 4-byte Folded Spill
	buffer_store_dword v51, off, s[16:19], 0 offset:72 ; 4-byte Folded Spill
	buffer_store_dword v52, off, s[16:19], 0 offset:76 ; 4-byte Folded Spill
	ds_read2_b64 v[179:182], v253 offset0:50 offset1:51
	s_clause 0x3
	buffer_load_dword v49, off, s[16:19], 0 offset:48
	buffer_load_dword v50, off, s[16:19], 0 offset:52
	buffer_load_dword v51, off, s[16:19], 0 offset:56
	buffer_load_dword v52, off, s[16:19], 0 offset:60
	s_waitcnt lgkmcnt(0)
	v_mul_f64 v[81:82], v[181:182], v[83:84]
	v_fma_f64 v[81:82], v[179:180], v[177:178], -v[81:82]
	v_mul_f64 v[179:180], v[179:180], v[83:84]
	v_fma_f64 v[179:180], v[181:182], v[177:178], v[179:180]
	s_waitcnt vmcnt(2)
	v_add_f64 v[49:50], v[49:50], -v[81:82]
	s_waitcnt vmcnt(0)
	v_add_f64 v[51:52], v[51:52], -v[179:180]
	buffer_store_dword v49, off, s[16:19], 0 offset:48 ; 4-byte Folded Spill
	buffer_store_dword v50, off, s[16:19], 0 offset:52 ; 4-byte Folded Spill
	buffer_store_dword v51, off, s[16:19], 0 offset:56 ; 4-byte Folded Spill
	buffer_store_dword v52, off, s[16:19], 0 offset:60 ; 4-byte Folded Spill
	ds_read2_b64 v[179:182], v253 offset0:52 offset1:53
	s_clause 0x3
	buffer_load_dword v49, off, s[16:19], 0 offset:32
	buffer_load_dword v50, off, s[16:19], 0 offset:36
	buffer_load_dword v51, off, s[16:19], 0 offset:40
	buffer_load_dword v52, off, s[16:19], 0 offset:44
	s_waitcnt lgkmcnt(0)
	v_mul_f64 v[81:82], v[181:182], v[83:84]
	v_fma_f64 v[81:82], v[179:180], v[177:178], -v[81:82]
	v_mul_f64 v[179:180], v[179:180], v[83:84]
	v_fma_f64 v[179:180], v[181:182], v[177:178], v[179:180]
	s_waitcnt vmcnt(2)
	v_add_f64 v[49:50], v[49:50], -v[81:82]
	;; [unrolled: 19-line block ×3, first 2 shown]
	s_waitcnt vmcnt(0)
	v_add_f64 v[51:52], v[51:52], -v[179:180]
	buffer_store_dword v49, off, s[16:19], 0 offset:16 ; 4-byte Folded Spill
	buffer_store_dword v50, off, s[16:19], 0 offset:20 ; 4-byte Folded Spill
	;; [unrolled: 1-line block ×4, first 2 shown]
	ds_read2_b64 v[179:182], v253 offset0:56 offset1:57
	s_clause 0x3
	buffer_load_dword v49, off, s[16:19], 0
	buffer_load_dword v50, off, s[16:19], 0 offset:4
	buffer_load_dword v51, off, s[16:19], 0 offset:8
	;; [unrolled: 1-line block ×3, first 2 shown]
	s_waitcnt lgkmcnt(0)
	v_mul_f64 v[81:82], v[181:182], v[83:84]
	v_fma_f64 v[81:82], v[179:180], v[177:178], -v[81:82]
	v_mul_f64 v[179:180], v[179:180], v[83:84]
	v_fma_f64 v[179:180], v[181:182], v[177:178], v[179:180]
	s_waitcnt vmcnt(2)
	v_add_f64 v[49:50], v[49:50], -v[81:82]
	s_waitcnt vmcnt(0)
	v_add_f64 v[51:52], v[51:52], -v[179:180]
	buffer_store_dword v49, off, s[16:19], 0 ; 4-byte Folded Spill
	buffer_store_dword v50, off, s[16:19], 0 offset:4 ; 4-byte Folded Spill
	buffer_store_dword v51, off, s[16:19], 0 offset:8 ; 4-byte Folded Spill
	;; [unrolled: 1-line block ×3, first 2 shown]
	ds_read2_b64 v[179:182], v253 offset0:58 offset1:59
	s_waitcnt lgkmcnt(0)
	v_mul_f64 v[81:82], v[181:182], v[83:84]
	v_fma_f64 v[81:82], v[179:180], v[177:178], -v[81:82]
	v_mul_f64 v[179:180], v[179:180], v[83:84]
	v_add_f64 v[57:58], v[57:58], -v[81:82]
	v_fma_f64 v[179:180], v[181:182], v[177:178], v[179:180]
	v_add_f64 v[59:60], v[59:60], -v[179:180]
	ds_read2_b64 v[179:182], v253 offset0:60 offset1:61
	s_waitcnt lgkmcnt(0)
	v_mul_f64 v[81:82], v[181:182], v[83:84]
	v_fma_f64 v[81:82], v[179:180], v[177:178], -v[81:82]
	v_mul_f64 v[179:180], v[179:180], v[83:84]
	v_add_f64 v[241:242], v[241:242], -v[81:82]
	v_fma_f64 v[179:180], v[181:182], v[177:178], v[179:180]
	v_add_f64 v[243:244], v[243:244], -v[179:180]
	;; [unrolled: 8-line block ×14, first 2 shown]
	ds_read2_b64 v[179:182], v253 offset0:86 offset1:87
	s_waitcnt lgkmcnt(0)
	v_mul_f64 v[81:82], v[181:182], v[83:84]
	v_fma_f64 v[81:82], v[179:180], v[177:178], -v[81:82]
	v_mul_f64 v[179:180], v[179:180], v[83:84]
	v_add_f64 v[1:2], v[1:2], -v[81:82]
	v_fma_f64 v[179:180], v[181:182], v[177:178], v[179:180]
	v_mov_b32_e32 v81, v177
	v_mov_b32_e32 v82, v178
	buffer_store_dword v81, off, s[16:19], 0 offset:80 ; 4-byte Folded Spill
	buffer_store_dword v82, off, s[16:19], 0 offset:84 ; 4-byte Folded Spill
	;; [unrolled: 1-line block ×4, first 2 shown]
	v_add_f64 v[3:4], v[3:4], -v[179:180]
.LBB87_217:
	s_or_b32 exec_lo, exec_lo, s1
	s_mov_b32 s2, exec_lo
	s_waitcnt lgkmcnt(0)
	s_waitcnt_vscnt null, 0x0
	s_barrier
	buffer_gl0_inv
	v_cmpx_eq_u32_e32 24, v0
	s_cbranch_execz .LBB87_224
; %bb.218:
	s_clause 0x3
	buffer_load_dword v49, off, s[16:19], 0 offset:64
	buffer_load_dword v50, off, s[16:19], 0 offset:68
	buffer_load_dword v51, off, s[16:19], 0 offset:72
	buffer_load_dword v52, off, s[16:19], 0 offset:76
	s_waitcnt vmcnt(0)
	ds_write2_b64 v255, v[49:50], v[51:52] offset1:1
	s_clause 0x3
	buffer_load_dword v49, off, s[16:19], 0 offset:48
	buffer_load_dword v50, off, s[16:19], 0 offset:52
	buffer_load_dword v51, off, s[16:19], 0 offset:56
	buffer_load_dword v52, off, s[16:19], 0 offset:60
	s_waitcnt vmcnt(0)
	ds_write2_b64 v253, v[49:50], v[51:52] offset0:50 offset1:51
	s_clause 0x3
	buffer_load_dword v49, off, s[16:19], 0 offset:32
	buffer_load_dword v50, off, s[16:19], 0 offset:36
	buffer_load_dword v51, off, s[16:19], 0 offset:40
	buffer_load_dword v52, off, s[16:19], 0 offset:44
	s_waitcnt vmcnt(0)
	ds_write2_b64 v253, v[49:50], v[51:52] offset0:52 offset1:53
	;; [unrolled: 7-line block ×3, first 2 shown]
	s_clause 0x3
	buffer_load_dword v49, off, s[16:19], 0
	buffer_load_dword v50, off, s[16:19], 0 offset:4
	buffer_load_dword v51, off, s[16:19], 0 offset:8
	;; [unrolled: 1-line block ×3, first 2 shown]
	s_waitcnt vmcnt(0)
	ds_write2_b64 v253, v[49:50], v[51:52] offset0:56 offset1:57
	ds_write2_b64 v253, v[57:58], v[59:60] offset0:58 offset1:59
	;; [unrolled: 1-line block ×16, first 2 shown]
	ds_read2_b64 v[177:180], v255 offset1:1
	s_waitcnt lgkmcnt(0)
	v_cmp_neq_f64_e32 vcc_lo, 0, v[177:178]
	v_cmp_neq_f64_e64 s1, 0, v[179:180]
	s_or_b32 s1, vcc_lo, s1
	s_and_b32 exec_lo, exec_lo, s1
	s_cbranch_execz .LBB87_224
; %bb.219:
	v_cmp_ngt_f64_e64 s1, |v[177:178]|, |v[179:180]|
                                        ; implicit-def: $vgpr181_vgpr182
	s_and_saveexec_b32 s3, s1
	s_xor_b32 s1, exec_lo, s3
                                        ; implicit-def: $vgpr183_vgpr184
	s_cbranch_execz .LBB87_221
; %bb.220:
	v_div_scale_f64 v[181:182], null, v[179:180], v[179:180], v[177:178]
	v_div_scale_f64 v[187:188], vcc_lo, v[177:178], v[179:180], v[177:178]
	v_rcp_f64_e32 v[183:184], v[181:182]
	v_fma_f64 v[185:186], -v[181:182], v[183:184], 1.0
	v_fma_f64 v[183:184], v[183:184], v[185:186], v[183:184]
	v_fma_f64 v[185:186], -v[181:182], v[183:184], 1.0
	v_fma_f64 v[183:184], v[183:184], v[185:186], v[183:184]
	v_mul_f64 v[185:186], v[187:188], v[183:184]
	v_fma_f64 v[181:182], -v[181:182], v[185:186], v[187:188]
	v_div_fmas_f64 v[181:182], v[181:182], v[183:184], v[185:186]
	v_div_fixup_f64 v[181:182], v[181:182], v[179:180], v[177:178]
	v_fma_f64 v[177:178], v[177:178], v[181:182], v[179:180]
	v_div_scale_f64 v[179:180], null, v[177:178], v[177:178], 1.0
	v_rcp_f64_e32 v[183:184], v[179:180]
	v_fma_f64 v[185:186], -v[179:180], v[183:184], 1.0
	v_fma_f64 v[183:184], v[183:184], v[185:186], v[183:184]
	v_fma_f64 v[185:186], -v[179:180], v[183:184], 1.0
	v_fma_f64 v[183:184], v[183:184], v[185:186], v[183:184]
	v_div_scale_f64 v[185:186], vcc_lo, 1.0, v[177:178], 1.0
	v_mul_f64 v[187:188], v[185:186], v[183:184]
	v_fma_f64 v[179:180], -v[179:180], v[187:188], v[185:186]
	v_div_fmas_f64 v[179:180], v[179:180], v[183:184], v[187:188]
	v_div_fixup_f64 v[183:184], v[179:180], v[177:178], 1.0
                                        ; implicit-def: $vgpr177_vgpr178
	v_mul_f64 v[181:182], v[181:182], v[183:184]
	v_xor_b32_e32 v184, 0x80000000, v184
.LBB87_221:
	s_andn2_saveexec_b32 s1, s1
	s_cbranch_execz .LBB87_223
; %bb.222:
	v_div_scale_f64 v[181:182], null, v[177:178], v[177:178], v[179:180]
	v_div_scale_f64 v[187:188], vcc_lo, v[179:180], v[177:178], v[179:180]
	v_rcp_f64_e32 v[183:184], v[181:182]
	v_fma_f64 v[185:186], -v[181:182], v[183:184], 1.0
	v_fma_f64 v[183:184], v[183:184], v[185:186], v[183:184]
	v_fma_f64 v[185:186], -v[181:182], v[183:184], 1.0
	v_fma_f64 v[183:184], v[183:184], v[185:186], v[183:184]
	v_mul_f64 v[185:186], v[187:188], v[183:184]
	v_fma_f64 v[181:182], -v[181:182], v[185:186], v[187:188]
	v_div_fmas_f64 v[181:182], v[181:182], v[183:184], v[185:186]
	v_div_fixup_f64 v[183:184], v[181:182], v[177:178], v[179:180]
	v_fma_f64 v[177:178], v[179:180], v[183:184], v[177:178]
	v_div_scale_f64 v[179:180], null, v[177:178], v[177:178], 1.0
	v_rcp_f64_e32 v[181:182], v[179:180]
	v_fma_f64 v[185:186], -v[179:180], v[181:182], 1.0
	v_fma_f64 v[181:182], v[181:182], v[185:186], v[181:182]
	v_fma_f64 v[185:186], -v[179:180], v[181:182], 1.0
	v_fma_f64 v[181:182], v[181:182], v[185:186], v[181:182]
	v_div_scale_f64 v[185:186], vcc_lo, 1.0, v[177:178], 1.0
	v_mul_f64 v[187:188], v[185:186], v[181:182]
	v_fma_f64 v[179:180], -v[179:180], v[187:188], v[185:186]
	v_div_fmas_f64 v[179:180], v[179:180], v[181:182], v[187:188]
	v_div_fixup_f64 v[181:182], v[179:180], v[177:178], 1.0
	v_mul_f64 v[183:184], v[183:184], -v[181:182]
.LBB87_223:
	s_or_b32 exec_lo, exec_lo, s1
	ds_write2_b64 v255, v[181:182], v[183:184] offset1:1
.LBB87_224:
	s_or_b32 exec_lo, exec_lo, s2
	s_waitcnt lgkmcnt(0)
	s_barrier
	buffer_gl0_inv
	ds_read2_b64 v[49:52], v255 offset1:1
	s_mov_b32 s1, exec_lo
	s_waitcnt lgkmcnt(0)
	buffer_store_dword v49, off, s[16:19], 0 offset:720 ; 4-byte Folded Spill
	buffer_store_dword v50, off, s[16:19], 0 offset:724 ; 4-byte Folded Spill
	;; [unrolled: 1-line block ×4, first 2 shown]
	v_cmpx_lt_u32_e32 24, v0
	s_cbranch_execz .LBB87_226
; %bb.225:
	s_clause 0x7
	buffer_load_dword v49, off, s[16:19], 0 offset:720
	buffer_load_dword v50, off, s[16:19], 0 offset:724
	;; [unrolled: 1-line block ×8, first 2 shown]
	ds_read2_b64 v[179:182], v253 offset0:50 offset1:51
	s_waitcnt vmcnt(0)
	v_mul_f64 v[177:178], v[51:52], v[79:80]
	v_mul_f64 v[79:80], v[49:50], v[79:80]
	v_fma_f64 v[177:178], v[49:50], v[77:78], -v[177:178]
	v_fma_f64 v[79:80], v[51:52], v[77:78], v[79:80]
	s_clause 0x3
	buffer_load_dword v49, off, s[16:19], 0 offset:48
	buffer_load_dword v50, off, s[16:19], 0 offset:52
	buffer_load_dword v51, off, s[16:19], 0 offset:56
	buffer_load_dword v52, off, s[16:19], 0 offset:60
	s_waitcnt lgkmcnt(0)
	v_mul_f64 v[77:78], v[181:182], v[79:80]
	v_fma_f64 v[77:78], v[179:180], v[177:178], -v[77:78]
	v_mul_f64 v[179:180], v[179:180], v[79:80]
	v_fma_f64 v[179:180], v[181:182], v[177:178], v[179:180]
	s_waitcnt vmcnt(2)
	v_add_f64 v[49:50], v[49:50], -v[77:78]
	s_waitcnt vmcnt(0)
	v_add_f64 v[51:52], v[51:52], -v[179:180]
	buffer_store_dword v49, off, s[16:19], 0 offset:48 ; 4-byte Folded Spill
	buffer_store_dword v50, off, s[16:19], 0 offset:52 ; 4-byte Folded Spill
	buffer_store_dword v51, off, s[16:19], 0 offset:56 ; 4-byte Folded Spill
	buffer_store_dword v52, off, s[16:19], 0 offset:60 ; 4-byte Folded Spill
	ds_read2_b64 v[179:182], v253 offset0:52 offset1:53
	s_clause 0x3
	buffer_load_dword v49, off, s[16:19], 0 offset:32
	buffer_load_dword v50, off, s[16:19], 0 offset:36
	buffer_load_dword v51, off, s[16:19], 0 offset:40
	buffer_load_dword v52, off, s[16:19], 0 offset:44
	s_waitcnt lgkmcnt(0)
	v_mul_f64 v[77:78], v[181:182], v[79:80]
	v_fma_f64 v[77:78], v[179:180], v[177:178], -v[77:78]
	v_mul_f64 v[179:180], v[179:180], v[79:80]
	v_fma_f64 v[179:180], v[181:182], v[177:178], v[179:180]
	s_waitcnt vmcnt(2)
	v_add_f64 v[49:50], v[49:50], -v[77:78]
	s_waitcnt vmcnt(0)
	v_add_f64 v[51:52], v[51:52], -v[179:180]
	buffer_store_dword v49, off, s[16:19], 0 offset:32 ; 4-byte Folded Spill
	buffer_store_dword v50, off, s[16:19], 0 offset:36 ; 4-byte Folded Spill
	buffer_store_dword v51, off, s[16:19], 0 offset:40 ; 4-byte Folded Spill
	buffer_store_dword v52, off, s[16:19], 0 offset:44 ; 4-byte Folded Spill
	ds_read2_b64 v[179:182], v253 offset0:54 offset1:55
	;; [unrolled: 19-line block ×3, first 2 shown]
	s_clause 0x3
	buffer_load_dword v49, off, s[16:19], 0
	buffer_load_dword v50, off, s[16:19], 0 offset:4
	buffer_load_dword v51, off, s[16:19], 0 offset:8
	;; [unrolled: 1-line block ×3, first 2 shown]
	s_waitcnt lgkmcnt(0)
	v_mul_f64 v[77:78], v[181:182], v[79:80]
	v_fma_f64 v[77:78], v[179:180], v[177:178], -v[77:78]
	v_mul_f64 v[179:180], v[179:180], v[79:80]
	v_fma_f64 v[179:180], v[181:182], v[177:178], v[179:180]
	s_waitcnt vmcnt(2)
	v_add_f64 v[49:50], v[49:50], -v[77:78]
	s_waitcnt vmcnt(0)
	v_add_f64 v[51:52], v[51:52], -v[179:180]
	buffer_store_dword v49, off, s[16:19], 0 ; 4-byte Folded Spill
	buffer_store_dword v50, off, s[16:19], 0 offset:4 ; 4-byte Folded Spill
	buffer_store_dword v51, off, s[16:19], 0 offset:8 ; 4-byte Folded Spill
	;; [unrolled: 1-line block ×3, first 2 shown]
	ds_read2_b64 v[179:182], v253 offset0:58 offset1:59
	s_waitcnt lgkmcnt(0)
	v_mul_f64 v[77:78], v[181:182], v[79:80]
	v_fma_f64 v[77:78], v[179:180], v[177:178], -v[77:78]
	v_mul_f64 v[179:180], v[179:180], v[79:80]
	v_add_f64 v[57:58], v[57:58], -v[77:78]
	v_fma_f64 v[179:180], v[181:182], v[177:178], v[179:180]
	v_add_f64 v[59:60], v[59:60], -v[179:180]
	ds_read2_b64 v[179:182], v253 offset0:60 offset1:61
	s_waitcnt lgkmcnt(0)
	v_mul_f64 v[77:78], v[181:182], v[79:80]
	v_fma_f64 v[77:78], v[179:180], v[177:178], -v[77:78]
	v_mul_f64 v[179:180], v[179:180], v[79:80]
	v_add_f64 v[241:242], v[241:242], -v[77:78]
	v_fma_f64 v[179:180], v[181:182], v[177:178], v[179:180]
	v_add_f64 v[243:244], v[243:244], -v[179:180]
	;; [unrolled: 8-line block ×14, first 2 shown]
	ds_read2_b64 v[179:182], v253 offset0:86 offset1:87
	s_waitcnt lgkmcnt(0)
	v_mul_f64 v[77:78], v[181:182], v[79:80]
	v_fma_f64 v[77:78], v[179:180], v[177:178], -v[77:78]
	v_mul_f64 v[179:180], v[179:180], v[79:80]
	v_add_f64 v[1:2], v[1:2], -v[77:78]
	v_fma_f64 v[179:180], v[181:182], v[177:178], v[179:180]
	v_mov_b32_e32 v77, v177
	v_mov_b32_e32 v78, v178
	buffer_store_dword v77, off, s[16:19], 0 offset:64 ; 4-byte Folded Spill
	buffer_store_dword v78, off, s[16:19], 0 offset:68 ; 4-byte Folded Spill
	;; [unrolled: 1-line block ×4, first 2 shown]
	v_add_f64 v[3:4], v[3:4], -v[179:180]
.LBB87_226:
	s_or_b32 exec_lo, exec_lo, s1
	s_mov_b32 s2, exec_lo
	s_waitcnt_vscnt null, 0x0
	s_barrier
	buffer_gl0_inv
	v_cmpx_eq_u32_e32 25, v0
	s_cbranch_execz .LBB87_233
; %bb.227:
	s_clause 0x3
	buffer_load_dword v49, off, s[16:19], 0 offset:48
	buffer_load_dword v50, off, s[16:19], 0 offset:52
	;; [unrolled: 1-line block ×4, first 2 shown]
	s_waitcnt vmcnt(0)
	ds_write2_b64 v255, v[49:50], v[51:52] offset1:1
	s_clause 0x3
	buffer_load_dword v49, off, s[16:19], 0 offset:32
	buffer_load_dword v50, off, s[16:19], 0 offset:36
	buffer_load_dword v51, off, s[16:19], 0 offset:40
	buffer_load_dword v52, off, s[16:19], 0 offset:44
	s_waitcnt vmcnt(0)
	ds_write2_b64 v253, v[49:50], v[51:52] offset0:52 offset1:53
	s_clause 0x3
	buffer_load_dword v49, off, s[16:19], 0 offset:16
	buffer_load_dword v50, off, s[16:19], 0 offset:20
	;; [unrolled: 1-line block ×4, first 2 shown]
	s_waitcnt vmcnt(0)
	ds_write2_b64 v253, v[49:50], v[51:52] offset0:54 offset1:55
	s_clause 0x3
	buffer_load_dword v49, off, s[16:19], 0
	buffer_load_dword v50, off, s[16:19], 0 offset:4
	buffer_load_dword v51, off, s[16:19], 0 offset:8
	;; [unrolled: 1-line block ×3, first 2 shown]
	s_waitcnt vmcnt(0)
	ds_write2_b64 v253, v[49:50], v[51:52] offset0:56 offset1:57
	ds_write2_b64 v253, v[57:58], v[59:60] offset0:58 offset1:59
	ds_write2_b64 v253, v[241:242], v[243:244] offset0:60 offset1:61
	ds_write2_b64 v253, v[205:206], v[207:208] offset0:62 offset1:63
	ds_write2_b64 v253, v[45:46], v[47:48] offset0:64 offset1:65
	ds_write2_b64 v253, v[41:42], v[43:44] offset0:66 offset1:67
	ds_write2_b64 v253, v[37:38], v[39:40] offset0:68 offset1:69
	ds_write2_b64 v253, v[33:34], v[35:36] offset0:70 offset1:71
	ds_write2_b64 v253, v[29:30], v[31:32] offset0:72 offset1:73
	ds_write2_b64 v253, v[25:26], v[27:28] offset0:74 offset1:75
	ds_write2_b64 v253, v[21:22], v[23:24] offset0:76 offset1:77
	ds_write2_b64 v253, v[17:18], v[19:20] offset0:78 offset1:79
	ds_write2_b64 v253, v[13:14], v[15:16] offset0:80 offset1:81
	ds_write2_b64 v253, v[9:10], v[11:12] offset0:82 offset1:83
	ds_write2_b64 v253, v[5:6], v[7:8] offset0:84 offset1:85
	ds_write2_b64 v253, v[1:2], v[3:4] offset0:86 offset1:87
	ds_read2_b64 v[177:180], v255 offset1:1
	s_waitcnt lgkmcnt(0)
	v_cmp_neq_f64_e32 vcc_lo, 0, v[177:178]
	v_cmp_neq_f64_e64 s1, 0, v[179:180]
	s_or_b32 s1, vcc_lo, s1
	s_and_b32 exec_lo, exec_lo, s1
	s_cbranch_execz .LBB87_233
; %bb.228:
	v_cmp_ngt_f64_e64 s1, |v[177:178]|, |v[179:180]|
                                        ; implicit-def: $vgpr181_vgpr182
	s_and_saveexec_b32 s3, s1
	s_xor_b32 s1, exec_lo, s3
                                        ; implicit-def: $vgpr183_vgpr184
	s_cbranch_execz .LBB87_230
; %bb.229:
	v_div_scale_f64 v[181:182], null, v[179:180], v[179:180], v[177:178]
	v_div_scale_f64 v[187:188], vcc_lo, v[177:178], v[179:180], v[177:178]
	v_rcp_f64_e32 v[183:184], v[181:182]
	v_fma_f64 v[185:186], -v[181:182], v[183:184], 1.0
	v_fma_f64 v[183:184], v[183:184], v[185:186], v[183:184]
	v_fma_f64 v[185:186], -v[181:182], v[183:184], 1.0
	v_fma_f64 v[183:184], v[183:184], v[185:186], v[183:184]
	v_mul_f64 v[185:186], v[187:188], v[183:184]
	v_fma_f64 v[181:182], -v[181:182], v[185:186], v[187:188]
	v_div_fmas_f64 v[181:182], v[181:182], v[183:184], v[185:186]
	v_div_fixup_f64 v[181:182], v[181:182], v[179:180], v[177:178]
	v_fma_f64 v[177:178], v[177:178], v[181:182], v[179:180]
	v_div_scale_f64 v[179:180], null, v[177:178], v[177:178], 1.0
	v_rcp_f64_e32 v[183:184], v[179:180]
	v_fma_f64 v[185:186], -v[179:180], v[183:184], 1.0
	v_fma_f64 v[183:184], v[183:184], v[185:186], v[183:184]
	v_fma_f64 v[185:186], -v[179:180], v[183:184], 1.0
	v_fma_f64 v[183:184], v[183:184], v[185:186], v[183:184]
	v_div_scale_f64 v[185:186], vcc_lo, 1.0, v[177:178], 1.0
	v_mul_f64 v[187:188], v[185:186], v[183:184]
	v_fma_f64 v[179:180], -v[179:180], v[187:188], v[185:186]
	v_div_fmas_f64 v[179:180], v[179:180], v[183:184], v[187:188]
	v_div_fixup_f64 v[183:184], v[179:180], v[177:178], 1.0
                                        ; implicit-def: $vgpr177_vgpr178
	v_mul_f64 v[181:182], v[181:182], v[183:184]
	v_xor_b32_e32 v184, 0x80000000, v184
.LBB87_230:
	s_andn2_saveexec_b32 s1, s1
	s_cbranch_execz .LBB87_232
; %bb.231:
	v_div_scale_f64 v[181:182], null, v[177:178], v[177:178], v[179:180]
	v_div_scale_f64 v[187:188], vcc_lo, v[179:180], v[177:178], v[179:180]
	v_rcp_f64_e32 v[183:184], v[181:182]
	v_fma_f64 v[185:186], -v[181:182], v[183:184], 1.0
	v_fma_f64 v[183:184], v[183:184], v[185:186], v[183:184]
	v_fma_f64 v[185:186], -v[181:182], v[183:184], 1.0
	v_fma_f64 v[183:184], v[183:184], v[185:186], v[183:184]
	v_mul_f64 v[185:186], v[187:188], v[183:184]
	v_fma_f64 v[181:182], -v[181:182], v[185:186], v[187:188]
	v_div_fmas_f64 v[181:182], v[181:182], v[183:184], v[185:186]
	v_div_fixup_f64 v[183:184], v[181:182], v[177:178], v[179:180]
	v_fma_f64 v[177:178], v[179:180], v[183:184], v[177:178]
	v_div_scale_f64 v[179:180], null, v[177:178], v[177:178], 1.0
	v_rcp_f64_e32 v[181:182], v[179:180]
	v_fma_f64 v[185:186], -v[179:180], v[181:182], 1.0
	v_fma_f64 v[181:182], v[181:182], v[185:186], v[181:182]
	v_fma_f64 v[185:186], -v[179:180], v[181:182], 1.0
	v_fma_f64 v[181:182], v[181:182], v[185:186], v[181:182]
	v_div_scale_f64 v[185:186], vcc_lo, 1.0, v[177:178], 1.0
	v_mul_f64 v[187:188], v[185:186], v[181:182]
	v_fma_f64 v[179:180], -v[179:180], v[187:188], v[185:186]
	v_div_fmas_f64 v[179:180], v[179:180], v[181:182], v[187:188]
	v_div_fixup_f64 v[181:182], v[179:180], v[177:178], 1.0
	v_mul_f64 v[183:184], v[183:184], -v[181:182]
.LBB87_232:
	s_or_b32 exec_lo, exec_lo, s1
	ds_write2_b64 v255, v[181:182], v[183:184] offset1:1
.LBB87_233:
	s_or_b32 exec_lo, exec_lo, s2
	s_waitcnt lgkmcnt(0)
	s_barrier
	buffer_gl0_inv
	ds_read2_b64 v[49:52], v255 offset1:1
	s_mov_b32 s1, exec_lo
	s_waitcnt lgkmcnt(0)
	buffer_store_dword v49, off, s[16:19], 0 offset:736 ; 4-byte Folded Spill
	buffer_store_dword v50, off, s[16:19], 0 offset:740 ; 4-byte Folded Spill
	;; [unrolled: 1-line block ×4, first 2 shown]
	v_cmpx_lt_u32_e32 25, v0
	s_cbranch_execz .LBB87_235
; %bb.234:
	s_clause 0x7
	buffer_load_dword v49, off, s[16:19], 0 offset:736
	buffer_load_dword v50, off, s[16:19], 0 offset:740
	;; [unrolled: 1-line block ×8, first 2 shown]
	ds_read2_b64 v[179:182], v253 offset0:52 offset1:53
	s_waitcnt vmcnt(0)
	v_mul_f64 v[177:178], v[51:52], v[75:76]
	v_mul_f64 v[75:76], v[49:50], v[75:76]
	v_fma_f64 v[177:178], v[49:50], v[73:74], -v[177:178]
	v_fma_f64 v[75:76], v[51:52], v[73:74], v[75:76]
	s_clause 0x3
	buffer_load_dword v49, off, s[16:19], 0 offset:32
	buffer_load_dword v50, off, s[16:19], 0 offset:36
	;; [unrolled: 1-line block ×4, first 2 shown]
	s_waitcnt lgkmcnt(0)
	v_mul_f64 v[73:74], v[181:182], v[75:76]
	v_fma_f64 v[73:74], v[179:180], v[177:178], -v[73:74]
	v_mul_f64 v[179:180], v[179:180], v[75:76]
	v_fma_f64 v[179:180], v[181:182], v[177:178], v[179:180]
	s_waitcnt vmcnt(2)
	v_add_f64 v[49:50], v[49:50], -v[73:74]
	s_waitcnt vmcnt(0)
	v_add_f64 v[51:52], v[51:52], -v[179:180]
	buffer_store_dword v49, off, s[16:19], 0 offset:32 ; 4-byte Folded Spill
	buffer_store_dword v50, off, s[16:19], 0 offset:36 ; 4-byte Folded Spill
	;; [unrolled: 1-line block ×4, first 2 shown]
	ds_read2_b64 v[179:182], v253 offset0:54 offset1:55
	s_clause 0x3
	buffer_load_dword v49, off, s[16:19], 0 offset:16
	buffer_load_dword v50, off, s[16:19], 0 offset:20
	;; [unrolled: 1-line block ×4, first 2 shown]
	s_waitcnt lgkmcnt(0)
	v_mul_f64 v[73:74], v[181:182], v[75:76]
	v_fma_f64 v[73:74], v[179:180], v[177:178], -v[73:74]
	v_mul_f64 v[179:180], v[179:180], v[75:76]
	v_fma_f64 v[179:180], v[181:182], v[177:178], v[179:180]
	s_waitcnt vmcnt(2)
	v_add_f64 v[49:50], v[49:50], -v[73:74]
	s_waitcnt vmcnt(0)
	v_add_f64 v[51:52], v[51:52], -v[179:180]
	buffer_store_dword v49, off, s[16:19], 0 offset:16 ; 4-byte Folded Spill
	buffer_store_dword v50, off, s[16:19], 0 offset:20 ; 4-byte Folded Spill
	;; [unrolled: 1-line block ×4, first 2 shown]
	ds_read2_b64 v[179:182], v253 offset0:56 offset1:57
	s_clause 0x3
	buffer_load_dword v49, off, s[16:19], 0
	buffer_load_dword v50, off, s[16:19], 0 offset:4
	buffer_load_dword v51, off, s[16:19], 0 offset:8
	;; [unrolled: 1-line block ×3, first 2 shown]
	s_waitcnt lgkmcnt(0)
	v_mul_f64 v[73:74], v[181:182], v[75:76]
	v_fma_f64 v[73:74], v[179:180], v[177:178], -v[73:74]
	v_mul_f64 v[179:180], v[179:180], v[75:76]
	v_fma_f64 v[179:180], v[181:182], v[177:178], v[179:180]
	s_waitcnt vmcnt(2)
	v_add_f64 v[49:50], v[49:50], -v[73:74]
	s_waitcnt vmcnt(0)
	v_add_f64 v[51:52], v[51:52], -v[179:180]
	buffer_store_dword v49, off, s[16:19], 0 ; 4-byte Folded Spill
	buffer_store_dword v50, off, s[16:19], 0 offset:4 ; 4-byte Folded Spill
	buffer_store_dword v51, off, s[16:19], 0 offset:8 ; 4-byte Folded Spill
	;; [unrolled: 1-line block ×3, first 2 shown]
	ds_read2_b64 v[179:182], v253 offset0:58 offset1:59
	s_waitcnt lgkmcnt(0)
	v_mul_f64 v[73:74], v[181:182], v[75:76]
	v_fma_f64 v[73:74], v[179:180], v[177:178], -v[73:74]
	v_mul_f64 v[179:180], v[179:180], v[75:76]
	v_add_f64 v[57:58], v[57:58], -v[73:74]
	v_fma_f64 v[179:180], v[181:182], v[177:178], v[179:180]
	v_add_f64 v[59:60], v[59:60], -v[179:180]
	ds_read2_b64 v[179:182], v253 offset0:60 offset1:61
	s_waitcnt lgkmcnt(0)
	v_mul_f64 v[73:74], v[181:182], v[75:76]
	v_fma_f64 v[73:74], v[179:180], v[177:178], -v[73:74]
	v_mul_f64 v[179:180], v[179:180], v[75:76]
	v_add_f64 v[241:242], v[241:242], -v[73:74]
	v_fma_f64 v[179:180], v[181:182], v[177:178], v[179:180]
	v_add_f64 v[243:244], v[243:244], -v[179:180]
	;; [unrolled: 8-line block ×14, first 2 shown]
	ds_read2_b64 v[179:182], v253 offset0:86 offset1:87
	s_waitcnt lgkmcnt(0)
	v_mul_f64 v[73:74], v[181:182], v[75:76]
	v_fma_f64 v[73:74], v[179:180], v[177:178], -v[73:74]
	v_mul_f64 v[179:180], v[179:180], v[75:76]
	v_add_f64 v[1:2], v[1:2], -v[73:74]
	v_fma_f64 v[179:180], v[181:182], v[177:178], v[179:180]
	v_mov_b32_e32 v73, v177
	v_mov_b32_e32 v74, v178
	buffer_store_dword v73, off, s[16:19], 0 offset:48 ; 4-byte Folded Spill
	buffer_store_dword v74, off, s[16:19], 0 offset:52 ; 4-byte Folded Spill
	;; [unrolled: 1-line block ×4, first 2 shown]
	v_add_f64 v[3:4], v[3:4], -v[179:180]
.LBB87_235:
	s_or_b32 exec_lo, exec_lo, s1
	s_mov_b32 s2, exec_lo
	s_waitcnt_vscnt null, 0x0
	s_barrier
	buffer_gl0_inv
	v_cmpx_eq_u32_e32 26, v0
	s_cbranch_execz .LBB87_242
; %bb.236:
	s_clause 0x3
	buffer_load_dword v49, off, s[16:19], 0 offset:32
	buffer_load_dword v50, off, s[16:19], 0 offset:36
	;; [unrolled: 1-line block ×4, first 2 shown]
	s_waitcnt vmcnt(0)
	ds_write2_b64 v255, v[49:50], v[51:52] offset1:1
	s_clause 0x3
	buffer_load_dword v49, off, s[16:19], 0 offset:16
	buffer_load_dword v50, off, s[16:19], 0 offset:20
	;; [unrolled: 1-line block ×4, first 2 shown]
	s_waitcnt vmcnt(0)
	ds_write2_b64 v253, v[49:50], v[51:52] offset0:54 offset1:55
	s_clause 0x3
	buffer_load_dword v49, off, s[16:19], 0
	buffer_load_dword v50, off, s[16:19], 0 offset:4
	buffer_load_dword v51, off, s[16:19], 0 offset:8
	;; [unrolled: 1-line block ×3, first 2 shown]
	s_waitcnt vmcnt(0)
	ds_write2_b64 v253, v[49:50], v[51:52] offset0:56 offset1:57
	ds_write2_b64 v253, v[57:58], v[59:60] offset0:58 offset1:59
	;; [unrolled: 1-line block ×16, first 2 shown]
	ds_read2_b64 v[177:180], v255 offset1:1
	s_waitcnt lgkmcnt(0)
	v_cmp_neq_f64_e32 vcc_lo, 0, v[177:178]
	v_cmp_neq_f64_e64 s1, 0, v[179:180]
	s_or_b32 s1, vcc_lo, s1
	s_and_b32 exec_lo, exec_lo, s1
	s_cbranch_execz .LBB87_242
; %bb.237:
	v_cmp_ngt_f64_e64 s1, |v[177:178]|, |v[179:180]|
                                        ; implicit-def: $vgpr181_vgpr182
	s_and_saveexec_b32 s3, s1
	s_xor_b32 s1, exec_lo, s3
                                        ; implicit-def: $vgpr183_vgpr184
	s_cbranch_execz .LBB87_239
; %bb.238:
	v_div_scale_f64 v[181:182], null, v[179:180], v[179:180], v[177:178]
	v_div_scale_f64 v[187:188], vcc_lo, v[177:178], v[179:180], v[177:178]
	v_rcp_f64_e32 v[183:184], v[181:182]
	v_fma_f64 v[185:186], -v[181:182], v[183:184], 1.0
	v_fma_f64 v[183:184], v[183:184], v[185:186], v[183:184]
	v_fma_f64 v[185:186], -v[181:182], v[183:184], 1.0
	v_fma_f64 v[183:184], v[183:184], v[185:186], v[183:184]
	v_mul_f64 v[185:186], v[187:188], v[183:184]
	v_fma_f64 v[181:182], -v[181:182], v[185:186], v[187:188]
	v_div_fmas_f64 v[181:182], v[181:182], v[183:184], v[185:186]
	v_div_fixup_f64 v[181:182], v[181:182], v[179:180], v[177:178]
	v_fma_f64 v[177:178], v[177:178], v[181:182], v[179:180]
	v_div_scale_f64 v[179:180], null, v[177:178], v[177:178], 1.0
	v_rcp_f64_e32 v[183:184], v[179:180]
	v_fma_f64 v[185:186], -v[179:180], v[183:184], 1.0
	v_fma_f64 v[183:184], v[183:184], v[185:186], v[183:184]
	v_fma_f64 v[185:186], -v[179:180], v[183:184], 1.0
	v_fma_f64 v[183:184], v[183:184], v[185:186], v[183:184]
	v_div_scale_f64 v[185:186], vcc_lo, 1.0, v[177:178], 1.0
	v_mul_f64 v[187:188], v[185:186], v[183:184]
	v_fma_f64 v[179:180], -v[179:180], v[187:188], v[185:186]
	v_div_fmas_f64 v[179:180], v[179:180], v[183:184], v[187:188]
	v_div_fixup_f64 v[183:184], v[179:180], v[177:178], 1.0
                                        ; implicit-def: $vgpr177_vgpr178
	v_mul_f64 v[181:182], v[181:182], v[183:184]
	v_xor_b32_e32 v184, 0x80000000, v184
.LBB87_239:
	s_andn2_saveexec_b32 s1, s1
	s_cbranch_execz .LBB87_241
; %bb.240:
	v_div_scale_f64 v[181:182], null, v[177:178], v[177:178], v[179:180]
	v_div_scale_f64 v[187:188], vcc_lo, v[179:180], v[177:178], v[179:180]
	v_rcp_f64_e32 v[183:184], v[181:182]
	v_fma_f64 v[185:186], -v[181:182], v[183:184], 1.0
	v_fma_f64 v[183:184], v[183:184], v[185:186], v[183:184]
	v_fma_f64 v[185:186], -v[181:182], v[183:184], 1.0
	v_fma_f64 v[183:184], v[183:184], v[185:186], v[183:184]
	v_mul_f64 v[185:186], v[187:188], v[183:184]
	v_fma_f64 v[181:182], -v[181:182], v[185:186], v[187:188]
	v_div_fmas_f64 v[181:182], v[181:182], v[183:184], v[185:186]
	v_div_fixup_f64 v[183:184], v[181:182], v[177:178], v[179:180]
	v_fma_f64 v[177:178], v[179:180], v[183:184], v[177:178]
	v_div_scale_f64 v[179:180], null, v[177:178], v[177:178], 1.0
	v_rcp_f64_e32 v[181:182], v[179:180]
	v_fma_f64 v[185:186], -v[179:180], v[181:182], 1.0
	v_fma_f64 v[181:182], v[181:182], v[185:186], v[181:182]
	v_fma_f64 v[185:186], -v[179:180], v[181:182], 1.0
	v_fma_f64 v[181:182], v[181:182], v[185:186], v[181:182]
	v_div_scale_f64 v[185:186], vcc_lo, 1.0, v[177:178], 1.0
	v_mul_f64 v[187:188], v[185:186], v[181:182]
	v_fma_f64 v[179:180], -v[179:180], v[187:188], v[185:186]
	v_div_fmas_f64 v[179:180], v[179:180], v[181:182], v[187:188]
	v_div_fixup_f64 v[181:182], v[179:180], v[177:178], 1.0
	v_mul_f64 v[183:184], v[183:184], -v[181:182]
.LBB87_241:
	s_or_b32 exec_lo, exec_lo, s1
	ds_write2_b64 v255, v[181:182], v[183:184] offset1:1
.LBB87_242:
	s_or_b32 exec_lo, exec_lo, s2
	s_waitcnt lgkmcnt(0)
	s_barrier
	buffer_gl0_inv
	ds_read2_b64 v[49:52], v255 offset1:1
	s_mov_b32 s1, exec_lo
	s_waitcnt lgkmcnt(0)
	buffer_store_dword v49, off, s[16:19], 0 offset:752 ; 4-byte Folded Spill
	buffer_store_dword v50, off, s[16:19], 0 offset:756 ; 4-byte Folded Spill
	;; [unrolled: 1-line block ×4, first 2 shown]
	v_cmpx_lt_u32_e32 26, v0
	s_cbranch_execz .LBB87_244
; %bb.243:
	s_clause 0x7
	buffer_load_dword v49, off, s[16:19], 0 offset:752
	buffer_load_dword v50, off, s[16:19], 0 offset:756
	;; [unrolled: 1-line block ×8, first 2 shown]
	ds_read2_b64 v[179:182], v253 offset0:54 offset1:55
	s_waitcnt vmcnt(0)
	v_mul_f64 v[177:178], v[51:52], v[71:72]
	v_mul_f64 v[71:72], v[49:50], v[71:72]
	v_fma_f64 v[177:178], v[49:50], v[69:70], -v[177:178]
	v_fma_f64 v[71:72], v[51:52], v[69:70], v[71:72]
	s_clause 0x3
	buffer_load_dword v49, off, s[16:19], 0 offset:16
	buffer_load_dword v50, off, s[16:19], 0 offset:20
	;; [unrolled: 1-line block ×4, first 2 shown]
	s_waitcnt lgkmcnt(0)
	v_mul_f64 v[69:70], v[181:182], v[71:72]
	v_fma_f64 v[69:70], v[179:180], v[177:178], -v[69:70]
	v_mul_f64 v[179:180], v[179:180], v[71:72]
	v_fma_f64 v[179:180], v[181:182], v[177:178], v[179:180]
	s_waitcnt vmcnt(2)
	v_add_f64 v[49:50], v[49:50], -v[69:70]
	s_waitcnt vmcnt(0)
	v_add_f64 v[51:52], v[51:52], -v[179:180]
	buffer_store_dword v49, off, s[16:19], 0 offset:16 ; 4-byte Folded Spill
	buffer_store_dword v50, off, s[16:19], 0 offset:20 ; 4-byte Folded Spill
	;; [unrolled: 1-line block ×4, first 2 shown]
	ds_read2_b64 v[179:182], v253 offset0:56 offset1:57
	s_clause 0x3
	buffer_load_dword v49, off, s[16:19], 0
	buffer_load_dword v50, off, s[16:19], 0 offset:4
	buffer_load_dword v51, off, s[16:19], 0 offset:8
	;; [unrolled: 1-line block ×3, first 2 shown]
	s_waitcnt lgkmcnt(0)
	v_mul_f64 v[69:70], v[181:182], v[71:72]
	v_fma_f64 v[69:70], v[179:180], v[177:178], -v[69:70]
	v_mul_f64 v[179:180], v[179:180], v[71:72]
	v_fma_f64 v[179:180], v[181:182], v[177:178], v[179:180]
	s_waitcnt vmcnt(2)
	v_add_f64 v[49:50], v[49:50], -v[69:70]
	s_waitcnt vmcnt(0)
	v_add_f64 v[51:52], v[51:52], -v[179:180]
	buffer_store_dword v49, off, s[16:19], 0 ; 4-byte Folded Spill
	buffer_store_dword v50, off, s[16:19], 0 offset:4 ; 4-byte Folded Spill
	buffer_store_dword v51, off, s[16:19], 0 offset:8 ; 4-byte Folded Spill
	;; [unrolled: 1-line block ×3, first 2 shown]
	ds_read2_b64 v[179:182], v253 offset0:58 offset1:59
	s_waitcnt lgkmcnt(0)
	v_mul_f64 v[69:70], v[181:182], v[71:72]
	v_fma_f64 v[69:70], v[179:180], v[177:178], -v[69:70]
	v_mul_f64 v[179:180], v[179:180], v[71:72]
	v_add_f64 v[57:58], v[57:58], -v[69:70]
	v_fma_f64 v[179:180], v[181:182], v[177:178], v[179:180]
	v_add_f64 v[59:60], v[59:60], -v[179:180]
	ds_read2_b64 v[179:182], v253 offset0:60 offset1:61
	s_waitcnt lgkmcnt(0)
	v_mul_f64 v[69:70], v[181:182], v[71:72]
	v_fma_f64 v[69:70], v[179:180], v[177:178], -v[69:70]
	v_mul_f64 v[179:180], v[179:180], v[71:72]
	v_add_f64 v[241:242], v[241:242], -v[69:70]
	v_fma_f64 v[179:180], v[181:182], v[177:178], v[179:180]
	v_add_f64 v[243:244], v[243:244], -v[179:180]
	;; [unrolled: 8-line block ×14, first 2 shown]
	ds_read2_b64 v[179:182], v253 offset0:86 offset1:87
	s_waitcnt lgkmcnt(0)
	v_mul_f64 v[69:70], v[181:182], v[71:72]
	v_fma_f64 v[69:70], v[179:180], v[177:178], -v[69:70]
	v_mul_f64 v[179:180], v[179:180], v[71:72]
	v_add_f64 v[1:2], v[1:2], -v[69:70]
	v_fma_f64 v[179:180], v[181:182], v[177:178], v[179:180]
	v_mov_b32_e32 v69, v177
	v_mov_b32_e32 v70, v178
	buffer_store_dword v69, off, s[16:19], 0 offset:32 ; 4-byte Folded Spill
	buffer_store_dword v70, off, s[16:19], 0 offset:36 ; 4-byte Folded Spill
	;; [unrolled: 1-line block ×4, first 2 shown]
	v_add_f64 v[3:4], v[3:4], -v[179:180]
.LBB87_244:
	s_or_b32 exec_lo, exec_lo, s1
	s_mov_b32 s2, exec_lo
	s_waitcnt_vscnt null, 0x0
	s_barrier
	buffer_gl0_inv
	v_cmpx_eq_u32_e32 27, v0
	s_cbranch_execz .LBB87_251
; %bb.245:
	s_clause 0x3
	buffer_load_dword v49, off, s[16:19], 0 offset:16
	buffer_load_dword v50, off, s[16:19], 0 offset:20
	;; [unrolled: 1-line block ×4, first 2 shown]
	s_waitcnt vmcnt(0)
	ds_write2_b64 v255, v[49:50], v[51:52] offset1:1
	s_clause 0x3
	buffer_load_dword v49, off, s[16:19], 0
	buffer_load_dword v50, off, s[16:19], 0 offset:4
	buffer_load_dword v51, off, s[16:19], 0 offset:8
	;; [unrolled: 1-line block ×3, first 2 shown]
	s_waitcnt vmcnt(0)
	ds_write2_b64 v253, v[49:50], v[51:52] offset0:56 offset1:57
	ds_write2_b64 v253, v[57:58], v[59:60] offset0:58 offset1:59
	;; [unrolled: 1-line block ×16, first 2 shown]
	ds_read2_b64 v[177:180], v255 offset1:1
	s_waitcnt lgkmcnt(0)
	v_cmp_neq_f64_e32 vcc_lo, 0, v[177:178]
	v_cmp_neq_f64_e64 s1, 0, v[179:180]
	s_or_b32 s1, vcc_lo, s1
	s_and_b32 exec_lo, exec_lo, s1
	s_cbranch_execz .LBB87_251
; %bb.246:
	v_cmp_ngt_f64_e64 s1, |v[177:178]|, |v[179:180]|
                                        ; implicit-def: $vgpr181_vgpr182
	s_and_saveexec_b32 s3, s1
	s_xor_b32 s1, exec_lo, s3
                                        ; implicit-def: $vgpr183_vgpr184
	s_cbranch_execz .LBB87_248
; %bb.247:
	v_div_scale_f64 v[181:182], null, v[179:180], v[179:180], v[177:178]
	v_div_scale_f64 v[187:188], vcc_lo, v[177:178], v[179:180], v[177:178]
	v_rcp_f64_e32 v[183:184], v[181:182]
	v_fma_f64 v[185:186], -v[181:182], v[183:184], 1.0
	v_fma_f64 v[183:184], v[183:184], v[185:186], v[183:184]
	v_fma_f64 v[185:186], -v[181:182], v[183:184], 1.0
	v_fma_f64 v[183:184], v[183:184], v[185:186], v[183:184]
	v_mul_f64 v[185:186], v[187:188], v[183:184]
	v_fma_f64 v[181:182], -v[181:182], v[185:186], v[187:188]
	v_div_fmas_f64 v[181:182], v[181:182], v[183:184], v[185:186]
	v_div_fixup_f64 v[181:182], v[181:182], v[179:180], v[177:178]
	v_fma_f64 v[177:178], v[177:178], v[181:182], v[179:180]
	v_div_scale_f64 v[179:180], null, v[177:178], v[177:178], 1.0
	v_rcp_f64_e32 v[183:184], v[179:180]
	v_fma_f64 v[185:186], -v[179:180], v[183:184], 1.0
	v_fma_f64 v[183:184], v[183:184], v[185:186], v[183:184]
	v_fma_f64 v[185:186], -v[179:180], v[183:184], 1.0
	v_fma_f64 v[183:184], v[183:184], v[185:186], v[183:184]
	v_div_scale_f64 v[185:186], vcc_lo, 1.0, v[177:178], 1.0
	v_mul_f64 v[187:188], v[185:186], v[183:184]
	v_fma_f64 v[179:180], -v[179:180], v[187:188], v[185:186]
	v_div_fmas_f64 v[179:180], v[179:180], v[183:184], v[187:188]
	v_div_fixup_f64 v[183:184], v[179:180], v[177:178], 1.0
                                        ; implicit-def: $vgpr177_vgpr178
	v_mul_f64 v[181:182], v[181:182], v[183:184]
	v_xor_b32_e32 v184, 0x80000000, v184
.LBB87_248:
	s_andn2_saveexec_b32 s1, s1
	s_cbranch_execz .LBB87_250
; %bb.249:
	v_div_scale_f64 v[181:182], null, v[177:178], v[177:178], v[179:180]
	v_div_scale_f64 v[187:188], vcc_lo, v[179:180], v[177:178], v[179:180]
	v_rcp_f64_e32 v[183:184], v[181:182]
	v_fma_f64 v[185:186], -v[181:182], v[183:184], 1.0
	v_fma_f64 v[183:184], v[183:184], v[185:186], v[183:184]
	v_fma_f64 v[185:186], -v[181:182], v[183:184], 1.0
	v_fma_f64 v[183:184], v[183:184], v[185:186], v[183:184]
	v_mul_f64 v[185:186], v[187:188], v[183:184]
	v_fma_f64 v[181:182], -v[181:182], v[185:186], v[187:188]
	v_div_fmas_f64 v[181:182], v[181:182], v[183:184], v[185:186]
	v_div_fixup_f64 v[183:184], v[181:182], v[177:178], v[179:180]
	v_fma_f64 v[177:178], v[179:180], v[183:184], v[177:178]
	v_div_scale_f64 v[179:180], null, v[177:178], v[177:178], 1.0
	v_rcp_f64_e32 v[181:182], v[179:180]
	v_fma_f64 v[185:186], -v[179:180], v[181:182], 1.0
	v_fma_f64 v[181:182], v[181:182], v[185:186], v[181:182]
	v_fma_f64 v[185:186], -v[179:180], v[181:182], 1.0
	v_fma_f64 v[181:182], v[181:182], v[185:186], v[181:182]
	v_div_scale_f64 v[185:186], vcc_lo, 1.0, v[177:178], 1.0
	v_mul_f64 v[187:188], v[185:186], v[181:182]
	v_fma_f64 v[179:180], -v[179:180], v[187:188], v[185:186]
	v_div_fmas_f64 v[179:180], v[179:180], v[181:182], v[187:188]
	v_div_fixup_f64 v[181:182], v[179:180], v[177:178], 1.0
	v_mul_f64 v[183:184], v[183:184], -v[181:182]
.LBB87_250:
	s_or_b32 exec_lo, exec_lo, s1
	ds_write2_b64 v255, v[181:182], v[183:184] offset1:1
.LBB87_251:
	s_or_b32 exec_lo, exec_lo, s2
	s_waitcnt lgkmcnt(0)
	s_barrier
	buffer_gl0_inv
	ds_read2_b64 v[49:52], v255 offset1:1
	s_mov_b32 s1, exec_lo
	s_waitcnt lgkmcnt(0)
	buffer_store_dword v49, off, s[16:19], 0 offset:768 ; 4-byte Folded Spill
	buffer_store_dword v50, off, s[16:19], 0 offset:772 ; 4-byte Folded Spill
	;; [unrolled: 1-line block ×4, first 2 shown]
	v_cmpx_lt_u32_e32 27, v0
	s_cbranch_execz .LBB87_253
; %bb.252:
	s_clause 0x7
	buffer_load_dword v49, off, s[16:19], 0 offset:768
	buffer_load_dword v50, off, s[16:19], 0 offset:772
	;; [unrolled: 1-line block ×8, first 2 shown]
	ds_read2_b64 v[179:182], v253 offset0:56 offset1:57
	s_waitcnt vmcnt(0)
	v_mul_f64 v[177:178], v[49:50], v[67:68]
	v_mul_f64 v[67:68], v[51:52], v[67:68]
	v_fma_f64 v[177:178], v[51:52], v[65:66], v[177:178]
	v_fma_f64 v[65:66], v[49:50], v[65:66], -v[67:68]
	s_clause 0x3
	buffer_load_dword v49, off, s[16:19], 0
	buffer_load_dword v50, off, s[16:19], 0 offset:4
	buffer_load_dword v51, off, s[16:19], 0 offset:8
	;; [unrolled: 1-line block ×3, first 2 shown]
	s_waitcnt lgkmcnt(0)
	v_mul_f64 v[67:68], v[181:182], v[177:178]
	v_fma_f64 v[67:68], v[179:180], v[65:66], -v[67:68]
	v_mul_f64 v[179:180], v[179:180], v[177:178]
	v_fma_f64 v[179:180], v[181:182], v[65:66], v[179:180]
	s_waitcnt vmcnt(2)
	v_add_f64 v[49:50], v[49:50], -v[67:68]
	s_waitcnt vmcnt(0)
	v_add_f64 v[51:52], v[51:52], -v[179:180]
	buffer_store_dword v49, off, s[16:19], 0 ; 4-byte Folded Spill
	buffer_store_dword v50, off, s[16:19], 0 offset:4 ; 4-byte Folded Spill
	buffer_store_dword v51, off, s[16:19], 0 offset:8 ; 4-byte Folded Spill
	;; [unrolled: 1-line block ×3, first 2 shown]
	ds_read2_b64 v[179:182], v253 offset0:58 offset1:59
	s_waitcnt lgkmcnt(0)
	v_mul_f64 v[67:68], v[181:182], v[177:178]
	v_fma_f64 v[67:68], v[179:180], v[65:66], -v[67:68]
	v_mul_f64 v[179:180], v[179:180], v[177:178]
	v_add_f64 v[57:58], v[57:58], -v[67:68]
	v_fma_f64 v[179:180], v[181:182], v[65:66], v[179:180]
	v_add_f64 v[59:60], v[59:60], -v[179:180]
	ds_read2_b64 v[179:182], v253 offset0:60 offset1:61
	s_waitcnt lgkmcnt(0)
	v_mul_f64 v[67:68], v[181:182], v[177:178]
	v_fma_f64 v[67:68], v[179:180], v[65:66], -v[67:68]
	v_mul_f64 v[179:180], v[179:180], v[177:178]
	v_add_f64 v[241:242], v[241:242], -v[67:68]
	v_fma_f64 v[179:180], v[181:182], v[65:66], v[179:180]
	v_add_f64 v[243:244], v[243:244], -v[179:180]
	;; [unrolled: 8-line block ×14, first 2 shown]
	ds_read2_b64 v[179:182], v253 offset0:86 offset1:87
	s_waitcnt lgkmcnt(0)
	v_mul_f64 v[67:68], v[181:182], v[177:178]
	v_fma_f64 v[67:68], v[179:180], v[65:66], -v[67:68]
	v_mul_f64 v[179:180], v[179:180], v[177:178]
	v_add_f64 v[1:2], v[1:2], -v[67:68]
	v_fma_f64 v[179:180], v[181:182], v[65:66], v[179:180]
	v_mov_b32_e32 v67, v177
	v_mov_b32_e32 v68, v178
	buffer_store_dword v65, off, s[16:19], 0 offset:16 ; 4-byte Folded Spill
	buffer_store_dword v66, off, s[16:19], 0 offset:20 ; 4-byte Folded Spill
	;; [unrolled: 1-line block ×4, first 2 shown]
	v_add_f64 v[3:4], v[3:4], -v[179:180]
.LBB87_253:
	s_or_b32 exec_lo, exec_lo, s1
	s_mov_b32 s2, exec_lo
	s_waitcnt_vscnt null, 0x0
	s_barrier
	buffer_gl0_inv
	v_cmpx_eq_u32_e32 28, v0
	s_cbranch_execz .LBB87_260
; %bb.254:
	s_clause 0x3
	buffer_load_dword v49, off, s[16:19], 0
	buffer_load_dword v50, off, s[16:19], 0 offset:4
	buffer_load_dword v51, off, s[16:19], 0 offset:8
	;; [unrolled: 1-line block ×3, first 2 shown]
	s_waitcnt vmcnt(0)
	ds_write2_b64 v255, v[49:50], v[51:52] offset1:1
	ds_write2_b64 v253, v[57:58], v[59:60] offset0:58 offset1:59
	ds_write2_b64 v253, v[241:242], v[243:244] offset0:60 offset1:61
	;; [unrolled: 1-line block ×15, first 2 shown]
	ds_read2_b64 v[177:180], v255 offset1:1
	s_waitcnt lgkmcnt(0)
	v_cmp_neq_f64_e32 vcc_lo, 0, v[177:178]
	v_cmp_neq_f64_e64 s1, 0, v[179:180]
	s_or_b32 s1, vcc_lo, s1
	s_and_b32 exec_lo, exec_lo, s1
	s_cbranch_execz .LBB87_260
; %bb.255:
	v_cmp_ngt_f64_e64 s1, |v[177:178]|, |v[179:180]|
                                        ; implicit-def: $vgpr181_vgpr182
	s_and_saveexec_b32 s3, s1
	s_xor_b32 s1, exec_lo, s3
                                        ; implicit-def: $vgpr183_vgpr184
	s_cbranch_execz .LBB87_257
; %bb.256:
	v_div_scale_f64 v[181:182], null, v[179:180], v[179:180], v[177:178]
	v_div_scale_f64 v[187:188], vcc_lo, v[177:178], v[179:180], v[177:178]
	v_rcp_f64_e32 v[183:184], v[181:182]
	v_fma_f64 v[185:186], -v[181:182], v[183:184], 1.0
	v_fma_f64 v[183:184], v[183:184], v[185:186], v[183:184]
	v_fma_f64 v[185:186], -v[181:182], v[183:184], 1.0
	v_fma_f64 v[183:184], v[183:184], v[185:186], v[183:184]
	v_mul_f64 v[185:186], v[187:188], v[183:184]
	v_fma_f64 v[181:182], -v[181:182], v[185:186], v[187:188]
	v_div_fmas_f64 v[181:182], v[181:182], v[183:184], v[185:186]
	v_div_fixup_f64 v[181:182], v[181:182], v[179:180], v[177:178]
	v_fma_f64 v[177:178], v[177:178], v[181:182], v[179:180]
	v_div_scale_f64 v[179:180], null, v[177:178], v[177:178], 1.0
	v_rcp_f64_e32 v[183:184], v[179:180]
	v_fma_f64 v[185:186], -v[179:180], v[183:184], 1.0
	v_fma_f64 v[183:184], v[183:184], v[185:186], v[183:184]
	v_fma_f64 v[185:186], -v[179:180], v[183:184], 1.0
	v_fma_f64 v[183:184], v[183:184], v[185:186], v[183:184]
	v_div_scale_f64 v[185:186], vcc_lo, 1.0, v[177:178], 1.0
	v_mul_f64 v[187:188], v[185:186], v[183:184]
	v_fma_f64 v[179:180], -v[179:180], v[187:188], v[185:186]
	v_div_fmas_f64 v[179:180], v[179:180], v[183:184], v[187:188]
	v_div_fixup_f64 v[183:184], v[179:180], v[177:178], 1.0
                                        ; implicit-def: $vgpr177_vgpr178
	v_mul_f64 v[181:182], v[181:182], v[183:184]
	v_xor_b32_e32 v184, 0x80000000, v184
.LBB87_257:
	s_andn2_saveexec_b32 s1, s1
	s_cbranch_execz .LBB87_259
; %bb.258:
	v_div_scale_f64 v[181:182], null, v[177:178], v[177:178], v[179:180]
	v_div_scale_f64 v[187:188], vcc_lo, v[179:180], v[177:178], v[179:180]
	v_rcp_f64_e32 v[183:184], v[181:182]
	v_fma_f64 v[185:186], -v[181:182], v[183:184], 1.0
	v_fma_f64 v[183:184], v[183:184], v[185:186], v[183:184]
	v_fma_f64 v[185:186], -v[181:182], v[183:184], 1.0
	v_fma_f64 v[183:184], v[183:184], v[185:186], v[183:184]
	v_mul_f64 v[185:186], v[187:188], v[183:184]
	v_fma_f64 v[181:182], -v[181:182], v[185:186], v[187:188]
	v_div_fmas_f64 v[181:182], v[181:182], v[183:184], v[185:186]
	v_div_fixup_f64 v[183:184], v[181:182], v[177:178], v[179:180]
	v_fma_f64 v[177:178], v[179:180], v[183:184], v[177:178]
	v_div_scale_f64 v[179:180], null, v[177:178], v[177:178], 1.0
	v_rcp_f64_e32 v[181:182], v[179:180]
	v_fma_f64 v[185:186], -v[179:180], v[181:182], 1.0
	v_fma_f64 v[181:182], v[181:182], v[185:186], v[181:182]
	v_fma_f64 v[185:186], -v[179:180], v[181:182], 1.0
	v_fma_f64 v[181:182], v[181:182], v[185:186], v[181:182]
	v_div_scale_f64 v[185:186], vcc_lo, 1.0, v[177:178], 1.0
	v_mul_f64 v[187:188], v[185:186], v[181:182]
	v_fma_f64 v[179:180], -v[179:180], v[187:188], v[185:186]
	v_div_fmas_f64 v[179:180], v[179:180], v[181:182], v[187:188]
	v_div_fixup_f64 v[181:182], v[179:180], v[177:178], 1.0
	v_mul_f64 v[183:184], v[183:184], -v[181:182]
.LBB87_259:
	s_or_b32 exec_lo, exec_lo, s1
	ds_write2_b64 v255, v[181:182], v[183:184] offset1:1
.LBB87_260:
	s_or_b32 exec_lo, exec_lo, s2
	s_waitcnt lgkmcnt(0)
	s_barrier
	buffer_gl0_inv
	ds_read2_b64 v[49:52], v255 offset1:1
	s_mov_b32 s1, exec_lo
	s_waitcnt lgkmcnt(0)
	buffer_store_dword v49, off, s[16:19], 0 offset:784 ; 4-byte Folded Spill
	buffer_store_dword v50, off, s[16:19], 0 offset:788 ; 4-byte Folded Spill
	;; [unrolled: 1-line block ×4, first 2 shown]
	v_cmpx_lt_u32_e32 28, v0
	s_cbranch_execz .LBB87_262
; %bb.261:
	s_clause 0x7
	buffer_load_dword v61, off, s[16:19], 0
	buffer_load_dword v62, off, s[16:19], 0 offset:4
	buffer_load_dword v63, off, s[16:19], 0 offset:8
	;; [unrolled: 1-line block ×7, first 2 shown]
	ds_read2_b64 v[179:182], v253 offset0:58 offset1:59
	s_waitcnt vmcnt(2)
	v_mul_f64 v[177:178], v[49:50], v[63:64]
	s_waitcnt vmcnt(0)
	v_mul_f64 v[63:64], v[51:52], v[63:64]
	v_fma_f64 v[177:178], v[51:52], v[61:62], v[177:178]
	v_fma_f64 v[61:62], v[49:50], v[61:62], -v[63:64]
	s_waitcnt lgkmcnt(0)
	v_mul_f64 v[63:64], v[181:182], v[177:178]
	v_fma_f64 v[63:64], v[179:180], v[61:62], -v[63:64]
	v_mul_f64 v[179:180], v[179:180], v[177:178]
	v_add_f64 v[57:58], v[57:58], -v[63:64]
	v_fma_f64 v[179:180], v[181:182], v[61:62], v[179:180]
	v_add_f64 v[59:60], v[59:60], -v[179:180]
	ds_read2_b64 v[179:182], v253 offset0:60 offset1:61
	s_waitcnt lgkmcnt(0)
	v_mul_f64 v[63:64], v[181:182], v[177:178]
	v_fma_f64 v[63:64], v[179:180], v[61:62], -v[63:64]
	v_mul_f64 v[179:180], v[179:180], v[177:178]
	v_add_f64 v[241:242], v[241:242], -v[63:64]
	v_fma_f64 v[179:180], v[181:182], v[61:62], v[179:180]
	v_add_f64 v[243:244], v[243:244], -v[179:180]
	ds_read2_b64 v[179:182], v253 offset0:62 offset1:63
	;; [unrolled: 8-line block ×14, first 2 shown]
	s_waitcnt lgkmcnt(0)
	v_mul_f64 v[63:64], v[181:182], v[177:178]
	v_fma_f64 v[63:64], v[179:180], v[61:62], -v[63:64]
	v_mul_f64 v[179:180], v[179:180], v[177:178]
	v_add_f64 v[1:2], v[1:2], -v[63:64]
	v_fma_f64 v[179:180], v[181:182], v[61:62], v[179:180]
	v_mov_b32_e32 v63, v177
	v_mov_b32_e32 v64, v178
	buffer_store_dword v61, off, s[16:19], 0 ; 4-byte Folded Spill
	buffer_store_dword v62, off, s[16:19], 0 offset:4 ; 4-byte Folded Spill
	buffer_store_dword v63, off, s[16:19], 0 offset:8 ; 4-byte Folded Spill
	buffer_store_dword v64, off, s[16:19], 0 offset:12 ; 4-byte Folded Spill
	v_add_f64 v[3:4], v[3:4], -v[179:180]
.LBB87_262:
	s_or_b32 exec_lo, exec_lo, s1
	s_mov_b32 s2, exec_lo
	s_waitcnt_vscnt null, 0x0
	s_barrier
	buffer_gl0_inv
	v_cmpx_eq_u32_e32 29, v0
	s_cbranch_execz .LBB87_269
; %bb.263:
	ds_write2_b64 v255, v[57:58], v[59:60] offset1:1
	ds_write2_b64 v253, v[241:242], v[243:244] offset0:60 offset1:61
	ds_write2_b64 v253, v[205:206], v[207:208] offset0:62 offset1:63
	;; [unrolled: 1-line block ×14, first 2 shown]
	ds_read2_b64 v[177:180], v255 offset1:1
	s_waitcnt lgkmcnt(0)
	v_cmp_neq_f64_e32 vcc_lo, 0, v[177:178]
	v_cmp_neq_f64_e64 s1, 0, v[179:180]
	s_or_b32 s1, vcc_lo, s1
	s_and_b32 exec_lo, exec_lo, s1
	s_cbranch_execz .LBB87_269
; %bb.264:
	v_cmp_ngt_f64_e64 s1, |v[177:178]|, |v[179:180]|
                                        ; implicit-def: $vgpr181_vgpr182
	s_and_saveexec_b32 s3, s1
	s_xor_b32 s1, exec_lo, s3
                                        ; implicit-def: $vgpr183_vgpr184
	s_cbranch_execz .LBB87_266
; %bb.265:
	v_div_scale_f64 v[181:182], null, v[179:180], v[179:180], v[177:178]
	v_div_scale_f64 v[187:188], vcc_lo, v[177:178], v[179:180], v[177:178]
	v_rcp_f64_e32 v[183:184], v[181:182]
	v_fma_f64 v[185:186], -v[181:182], v[183:184], 1.0
	v_fma_f64 v[183:184], v[183:184], v[185:186], v[183:184]
	v_fma_f64 v[185:186], -v[181:182], v[183:184], 1.0
	v_fma_f64 v[183:184], v[183:184], v[185:186], v[183:184]
	v_mul_f64 v[185:186], v[187:188], v[183:184]
	v_fma_f64 v[181:182], -v[181:182], v[185:186], v[187:188]
	v_div_fmas_f64 v[181:182], v[181:182], v[183:184], v[185:186]
	v_div_fixup_f64 v[181:182], v[181:182], v[179:180], v[177:178]
	v_fma_f64 v[177:178], v[177:178], v[181:182], v[179:180]
	v_div_scale_f64 v[179:180], null, v[177:178], v[177:178], 1.0
	v_rcp_f64_e32 v[183:184], v[179:180]
	v_fma_f64 v[185:186], -v[179:180], v[183:184], 1.0
	v_fma_f64 v[183:184], v[183:184], v[185:186], v[183:184]
	v_fma_f64 v[185:186], -v[179:180], v[183:184], 1.0
	v_fma_f64 v[183:184], v[183:184], v[185:186], v[183:184]
	v_div_scale_f64 v[185:186], vcc_lo, 1.0, v[177:178], 1.0
	v_mul_f64 v[187:188], v[185:186], v[183:184]
	v_fma_f64 v[179:180], -v[179:180], v[187:188], v[185:186]
	v_div_fmas_f64 v[179:180], v[179:180], v[183:184], v[187:188]
	v_div_fixup_f64 v[183:184], v[179:180], v[177:178], 1.0
                                        ; implicit-def: $vgpr177_vgpr178
	v_mul_f64 v[181:182], v[181:182], v[183:184]
	v_xor_b32_e32 v184, 0x80000000, v184
.LBB87_266:
	s_andn2_saveexec_b32 s1, s1
	s_cbranch_execz .LBB87_268
; %bb.267:
	v_div_scale_f64 v[181:182], null, v[177:178], v[177:178], v[179:180]
	v_div_scale_f64 v[187:188], vcc_lo, v[179:180], v[177:178], v[179:180]
	v_rcp_f64_e32 v[183:184], v[181:182]
	v_fma_f64 v[185:186], -v[181:182], v[183:184], 1.0
	v_fma_f64 v[183:184], v[183:184], v[185:186], v[183:184]
	v_fma_f64 v[185:186], -v[181:182], v[183:184], 1.0
	v_fma_f64 v[183:184], v[183:184], v[185:186], v[183:184]
	v_mul_f64 v[185:186], v[187:188], v[183:184]
	v_fma_f64 v[181:182], -v[181:182], v[185:186], v[187:188]
	v_div_fmas_f64 v[181:182], v[181:182], v[183:184], v[185:186]
	v_div_fixup_f64 v[183:184], v[181:182], v[177:178], v[179:180]
	v_fma_f64 v[177:178], v[179:180], v[183:184], v[177:178]
	v_div_scale_f64 v[179:180], null, v[177:178], v[177:178], 1.0
	v_rcp_f64_e32 v[181:182], v[179:180]
	v_fma_f64 v[185:186], -v[179:180], v[181:182], 1.0
	v_fma_f64 v[181:182], v[181:182], v[185:186], v[181:182]
	v_fma_f64 v[185:186], -v[179:180], v[181:182], 1.0
	v_fma_f64 v[181:182], v[181:182], v[185:186], v[181:182]
	v_div_scale_f64 v[185:186], vcc_lo, 1.0, v[177:178], 1.0
	v_mul_f64 v[187:188], v[185:186], v[181:182]
	v_fma_f64 v[179:180], -v[179:180], v[187:188], v[185:186]
	v_div_fmas_f64 v[179:180], v[179:180], v[181:182], v[187:188]
	v_div_fixup_f64 v[181:182], v[179:180], v[177:178], 1.0
	v_mul_f64 v[183:184], v[183:184], -v[181:182]
.LBB87_268:
	s_or_b32 exec_lo, exec_lo, s1
	ds_write2_b64 v255, v[181:182], v[183:184] offset1:1
.LBB87_269:
	s_or_b32 exec_lo, exec_lo, s2
	s_waitcnt lgkmcnt(0)
	s_barrier
	buffer_gl0_inv
	ds_read2_b64 v[49:52], v255 offset1:1
	s_mov_b32 s1, exec_lo
	s_waitcnt lgkmcnt(0)
	buffer_store_dword v49, off, s[16:19], 0 offset:800 ; 4-byte Folded Spill
	buffer_store_dword v50, off, s[16:19], 0 offset:804 ; 4-byte Folded Spill
	;; [unrolled: 1-line block ×4, first 2 shown]
	v_cmpx_lt_u32_e32 29, v0
	s_cbranch_execz .LBB87_271
; %bb.270:
	s_clause 0x3
	buffer_load_dword v49, off, s[16:19], 0 offset:800
	buffer_load_dword v50, off, s[16:19], 0 offset:804
	;; [unrolled: 1-line block ×4, first 2 shown]
	ds_read2_b64 v[179:182], v253 offset0:60 offset1:61
	s_waitcnt vmcnt(2)
	v_mul_f64 v[177:178], v[49:50], v[59:60]
	s_waitcnt vmcnt(0)
	v_mul_f64 v[59:60], v[51:52], v[59:60]
	v_fma_f64 v[177:178], v[51:52], v[57:58], v[177:178]
	v_fma_f64 v[57:58], v[49:50], v[57:58], -v[59:60]
	s_waitcnt lgkmcnt(0)
	v_mul_f64 v[59:60], v[181:182], v[177:178]
	v_fma_f64 v[59:60], v[179:180], v[57:58], -v[59:60]
	v_mul_f64 v[179:180], v[179:180], v[177:178]
	v_add_f64 v[241:242], v[241:242], -v[59:60]
	v_fma_f64 v[179:180], v[181:182], v[57:58], v[179:180]
	v_add_f64 v[243:244], v[243:244], -v[179:180]
	ds_read2_b64 v[179:182], v253 offset0:62 offset1:63
	s_waitcnt lgkmcnt(0)
	v_mul_f64 v[59:60], v[181:182], v[177:178]
	v_fma_f64 v[59:60], v[179:180], v[57:58], -v[59:60]
	v_mul_f64 v[179:180], v[179:180], v[177:178]
	v_add_f64 v[205:206], v[205:206], -v[59:60]
	v_fma_f64 v[179:180], v[181:182], v[57:58], v[179:180]
	v_add_f64 v[207:208], v[207:208], -v[179:180]
	ds_read2_b64 v[179:182], v253 offset0:64 offset1:65
	;; [unrolled: 8-line block ×13, first 2 shown]
	s_waitcnt lgkmcnt(0)
	v_mul_f64 v[59:60], v[181:182], v[177:178]
	v_fma_f64 v[59:60], v[179:180], v[57:58], -v[59:60]
	v_mul_f64 v[179:180], v[179:180], v[177:178]
	v_add_f64 v[1:2], v[1:2], -v[59:60]
	v_fma_f64 v[179:180], v[181:182], v[57:58], v[179:180]
	v_mov_b32_e32 v59, v177
	v_mov_b32_e32 v60, v178
	v_add_f64 v[3:4], v[3:4], -v[179:180]
.LBB87_271:
	s_or_b32 exec_lo, exec_lo, s1
	s_mov_b32 s2, exec_lo
	s_waitcnt_vscnt null, 0x0
	s_barrier
	buffer_gl0_inv
	v_cmpx_eq_u32_e32 30, v0
	s_cbranch_execz .LBB87_278
; %bb.272:
	ds_write2_b64 v255, v[241:242], v[243:244] offset1:1
	ds_write2_b64 v253, v[205:206], v[207:208] offset0:62 offset1:63
	ds_write2_b64 v253, v[45:46], v[47:48] offset0:64 offset1:65
	;; [unrolled: 1-line block ×13, first 2 shown]
	ds_read2_b64 v[177:180], v255 offset1:1
	s_waitcnt lgkmcnt(0)
	v_cmp_neq_f64_e32 vcc_lo, 0, v[177:178]
	v_cmp_neq_f64_e64 s1, 0, v[179:180]
	s_or_b32 s1, vcc_lo, s1
	s_and_b32 exec_lo, exec_lo, s1
	s_cbranch_execz .LBB87_278
; %bb.273:
	v_cmp_ngt_f64_e64 s1, |v[177:178]|, |v[179:180]|
                                        ; implicit-def: $vgpr181_vgpr182
	s_and_saveexec_b32 s3, s1
	s_xor_b32 s1, exec_lo, s3
                                        ; implicit-def: $vgpr183_vgpr184
	s_cbranch_execz .LBB87_275
; %bb.274:
	v_div_scale_f64 v[181:182], null, v[179:180], v[179:180], v[177:178]
	v_div_scale_f64 v[187:188], vcc_lo, v[177:178], v[179:180], v[177:178]
	v_rcp_f64_e32 v[183:184], v[181:182]
	v_fma_f64 v[185:186], -v[181:182], v[183:184], 1.0
	v_fma_f64 v[183:184], v[183:184], v[185:186], v[183:184]
	v_fma_f64 v[185:186], -v[181:182], v[183:184], 1.0
	v_fma_f64 v[183:184], v[183:184], v[185:186], v[183:184]
	v_mul_f64 v[185:186], v[187:188], v[183:184]
	v_fma_f64 v[181:182], -v[181:182], v[185:186], v[187:188]
	v_div_fmas_f64 v[181:182], v[181:182], v[183:184], v[185:186]
	v_div_fixup_f64 v[181:182], v[181:182], v[179:180], v[177:178]
	v_fma_f64 v[177:178], v[177:178], v[181:182], v[179:180]
	v_div_scale_f64 v[179:180], null, v[177:178], v[177:178], 1.0
	v_rcp_f64_e32 v[183:184], v[179:180]
	v_fma_f64 v[185:186], -v[179:180], v[183:184], 1.0
	v_fma_f64 v[183:184], v[183:184], v[185:186], v[183:184]
	v_fma_f64 v[185:186], -v[179:180], v[183:184], 1.0
	v_fma_f64 v[183:184], v[183:184], v[185:186], v[183:184]
	v_div_scale_f64 v[185:186], vcc_lo, 1.0, v[177:178], 1.0
	v_mul_f64 v[187:188], v[185:186], v[183:184]
	v_fma_f64 v[179:180], -v[179:180], v[187:188], v[185:186]
	v_div_fmas_f64 v[179:180], v[179:180], v[183:184], v[187:188]
	v_div_fixup_f64 v[183:184], v[179:180], v[177:178], 1.0
                                        ; implicit-def: $vgpr177_vgpr178
	v_mul_f64 v[181:182], v[181:182], v[183:184]
	v_xor_b32_e32 v184, 0x80000000, v184
.LBB87_275:
	s_andn2_saveexec_b32 s1, s1
	s_cbranch_execz .LBB87_277
; %bb.276:
	v_div_scale_f64 v[181:182], null, v[177:178], v[177:178], v[179:180]
	v_div_scale_f64 v[187:188], vcc_lo, v[179:180], v[177:178], v[179:180]
	v_rcp_f64_e32 v[183:184], v[181:182]
	v_fma_f64 v[185:186], -v[181:182], v[183:184], 1.0
	v_fma_f64 v[183:184], v[183:184], v[185:186], v[183:184]
	v_fma_f64 v[185:186], -v[181:182], v[183:184], 1.0
	v_fma_f64 v[183:184], v[183:184], v[185:186], v[183:184]
	v_mul_f64 v[185:186], v[187:188], v[183:184]
	v_fma_f64 v[181:182], -v[181:182], v[185:186], v[187:188]
	v_div_fmas_f64 v[181:182], v[181:182], v[183:184], v[185:186]
	v_div_fixup_f64 v[183:184], v[181:182], v[177:178], v[179:180]
	v_fma_f64 v[177:178], v[179:180], v[183:184], v[177:178]
	v_div_scale_f64 v[179:180], null, v[177:178], v[177:178], 1.0
	v_rcp_f64_e32 v[181:182], v[179:180]
	v_fma_f64 v[185:186], -v[179:180], v[181:182], 1.0
	v_fma_f64 v[181:182], v[181:182], v[185:186], v[181:182]
	v_fma_f64 v[185:186], -v[179:180], v[181:182], 1.0
	v_fma_f64 v[181:182], v[181:182], v[185:186], v[181:182]
	v_div_scale_f64 v[185:186], vcc_lo, 1.0, v[177:178], 1.0
	v_mul_f64 v[187:188], v[185:186], v[181:182]
	v_fma_f64 v[179:180], -v[179:180], v[187:188], v[185:186]
	v_div_fmas_f64 v[179:180], v[179:180], v[181:182], v[187:188]
	v_div_fixup_f64 v[181:182], v[179:180], v[177:178], 1.0
	v_mul_f64 v[183:184], v[183:184], -v[181:182]
.LBB87_277:
	s_or_b32 exec_lo, exec_lo, s1
	ds_write2_b64 v255, v[181:182], v[183:184] offset1:1
.LBB87_278:
	s_or_b32 exec_lo, exec_lo, s2
	s_waitcnt lgkmcnt(0)
	s_barrier
	buffer_gl0_inv
	ds_read2_b64 v[49:52], v255 offset1:1
	s_mov_b32 s1, exec_lo
	s_waitcnt lgkmcnt(0)
	buffer_store_dword v49, off, s[16:19], 0 offset:816 ; 4-byte Folded Spill
	buffer_store_dword v50, off, s[16:19], 0 offset:820 ; 4-byte Folded Spill
	;; [unrolled: 1-line block ×4, first 2 shown]
	v_cmpx_lt_u32_e32 30, v0
	s_cbranch_execz .LBB87_280
; %bb.279:
	s_clause 0x3
	buffer_load_dword v49, off, s[16:19], 0 offset:816
	buffer_load_dword v50, off, s[16:19], 0 offset:820
	;; [unrolled: 1-line block ×4, first 2 shown]
	ds_read2_b64 v[179:182], v253 offset0:62 offset1:63
	s_waitcnt vmcnt(2)
	v_mul_f64 v[177:178], v[49:50], v[243:244]
	s_waitcnt vmcnt(0)
	v_mul_f64 v[55:56], v[51:52], v[243:244]
	v_fma_f64 v[177:178], v[51:52], v[241:242], v[177:178]
	v_fma_f64 v[241:242], v[49:50], v[241:242], -v[55:56]
	s_waitcnt lgkmcnt(0)
	v_mul_f64 v[55:56], v[181:182], v[177:178]
	v_mov_b32_e32 v244, v178
	v_mov_b32_e32 v243, v177
	v_fma_f64 v[55:56], v[179:180], v[241:242], -v[55:56]
	v_mul_f64 v[179:180], v[179:180], v[177:178]
	v_add_f64 v[205:206], v[205:206], -v[55:56]
	v_fma_f64 v[179:180], v[181:182], v[241:242], v[179:180]
	v_add_f64 v[207:208], v[207:208], -v[179:180]
	ds_read2_b64 v[179:182], v253 offset0:64 offset1:65
	s_waitcnt lgkmcnt(0)
	v_mul_f64 v[55:56], v[181:182], v[177:178]
	v_fma_f64 v[55:56], v[179:180], v[241:242], -v[55:56]
	v_mul_f64 v[179:180], v[179:180], v[177:178]
	v_add_f64 v[45:46], v[45:46], -v[55:56]
	v_fma_f64 v[179:180], v[181:182], v[241:242], v[179:180]
	v_add_f64 v[47:48], v[47:48], -v[179:180]
	ds_read2_b64 v[179:182], v253 offset0:66 offset1:67
	s_waitcnt lgkmcnt(0)
	v_mul_f64 v[55:56], v[181:182], v[177:178]
	;; [unrolled: 8-line block ×12, first 2 shown]
	v_fma_f64 v[55:56], v[179:180], v[241:242], -v[55:56]
	v_mul_f64 v[179:180], v[179:180], v[177:178]
	v_add_f64 v[1:2], v[1:2], -v[55:56]
	v_fma_f64 v[179:180], v[181:182], v[241:242], v[179:180]
	v_add_f64 v[3:4], v[3:4], -v[179:180]
.LBB87_280:
	s_or_b32 exec_lo, exec_lo, s1
	s_mov_b32 s2, exec_lo
	s_waitcnt_vscnt null, 0x0
	s_barrier
	buffer_gl0_inv
	v_cmpx_eq_u32_e32 31, v0
	s_cbranch_execz .LBB87_287
; %bb.281:
	ds_write2_b64 v255, v[205:206], v[207:208] offset1:1
	ds_write2_b64 v253, v[45:46], v[47:48] offset0:64 offset1:65
	ds_write2_b64 v253, v[41:42], v[43:44] offset0:66 offset1:67
	;; [unrolled: 1-line block ×12, first 2 shown]
	ds_read2_b64 v[177:180], v255 offset1:1
	s_waitcnt lgkmcnt(0)
	v_cmp_neq_f64_e32 vcc_lo, 0, v[177:178]
	v_cmp_neq_f64_e64 s1, 0, v[179:180]
	s_or_b32 s1, vcc_lo, s1
	s_and_b32 exec_lo, exec_lo, s1
	s_cbranch_execz .LBB87_287
; %bb.282:
	v_cmp_ngt_f64_e64 s1, |v[177:178]|, |v[179:180]|
                                        ; implicit-def: $vgpr181_vgpr182
	s_and_saveexec_b32 s3, s1
	s_xor_b32 s1, exec_lo, s3
                                        ; implicit-def: $vgpr183_vgpr184
	s_cbranch_execz .LBB87_284
; %bb.283:
	v_div_scale_f64 v[181:182], null, v[179:180], v[179:180], v[177:178]
	v_div_scale_f64 v[187:188], vcc_lo, v[177:178], v[179:180], v[177:178]
	v_rcp_f64_e32 v[183:184], v[181:182]
	v_fma_f64 v[185:186], -v[181:182], v[183:184], 1.0
	v_fma_f64 v[183:184], v[183:184], v[185:186], v[183:184]
	v_fma_f64 v[185:186], -v[181:182], v[183:184], 1.0
	v_fma_f64 v[183:184], v[183:184], v[185:186], v[183:184]
	v_mul_f64 v[185:186], v[187:188], v[183:184]
	v_fma_f64 v[181:182], -v[181:182], v[185:186], v[187:188]
	v_div_fmas_f64 v[181:182], v[181:182], v[183:184], v[185:186]
	v_div_fixup_f64 v[181:182], v[181:182], v[179:180], v[177:178]
	v_fma_f64 v[177:178], v[177:178], v[181:182], v[179:180]
	v_div_scale_f64 v[179:180], null, v[177:178], v[177:178], 1.0
	v_rcp_f64_e32 v[183:184], v[179:180]
	v_fma_f64 v[185:186], -v[179:180], v[183:184], 1.0
	v_fma_f64 v[183:184], v[183:184], v[185:186], v[183:184]
	v_fma_f64 v[185:186], -v[179:180], v[183:184], 1.0
	v_fma_f64 v[183:184], v[183:184], v[185:186], v[183:184]
	v_div_scale_f64 v[185:186], vcc_lo, 1.0, v[177:178], 1.0
	v_mul_f64 v[187:188], v[185:186], v[183:184]
	v_fma_f64 v[179:180], -v[179:180], v[187:188], v[185:186]
	v_div_fmas_f64 v[179:180], v[179:180], v[183:184], v[187:188]
	v_div_fixup_f64 v[183:184], v[179:180], v[177:178], 1.0
                                        ; implicit-def: $vgpr177_vgpr178
	v_mul_f64 v[181:182], v[181:182], v[183:184]
	v_xor_b32_e32 v184, 0x80000000, v184
.LBB87_284:
	s_andn2_saveexec_b32 s1, s1
	s_cbranch_execz .LBB87_286
; %bb.285:
	v_div_scale_f64 v[181:182], null, v[177:178], v[177:178], v[179:180]
	v_div_scale_f64 v[187:188], vcc_lo, v[179:180], v[177:178], v[179:180]
	v_rcp_f64_e32 v[183:184], v[181:182]
	v_fma_f64 v[185:186], -v[181:182], v[183:184], 1.0
	v_fma_f64 v[183:184], v[183:184], v[185:186], v[183:184]
	v_fma_f64 v[185:186], -v[181:182], v[183:184], 1.0
	v_fma_f64 v[183:184], v[183:184], v[185:186], v[183:184]
	v_mul_f64 v[185:186], v[187:188], v[183:184]
	v_fma_f64 v[181:182], -v[181:182], v[185:186], v[187:188]
	v_div_fmas_f64 v[181:182], v[181:182], v[183:184], v[185:186]
	v_div_fixup_f64 v[183:184], v[181:182], v[177:178], v[179:180]
	v_fma_f64 v[177:178], v[179:180], v[183:184], v[177:178]
	v_div_scale_f64 v[179:180], null, v[177:178], v[177:178], 1.0
	v_rcp_f64_e32 v[181:182], v[179:180]
	v_fma_f64 v[185:186], -v[179:180], v[181:182], 1.0
	v_fma_f64 v[181:182], v[181:182], v[185:186], v[181:182]
	v_fma_f64 v[185:186], -v[179:180], v[181:182], 1.0
	v_fma_f64 v[181:182], v[181:182], v[185:186], v[181:182]
	v_div_scale_f64 v[185:186], vcc_lo, 1.0, v[177:178], 1.0
	v_mul_f64 v[187:188], v[185:186], v[181:182]
	v_fma_f64 v[179:180], -v[179:180], v[187:188], v[185:186]
	v_div_fmas_f64 v[179:180], v[179:180], v[181:182], v[187:188]
	v_div_fixup_f64 v[181:182], v[179:180], v[177:178], 1.0
	v_mul_f64 v[183:184], v[183:184], -v[181:182]
.LBB87_286:
	s_or_b32 exec_lo, exec_lo, s1
	ds_write2_b64 v255, v[181:182], v[183:184] offset1:1
.LBB87_287:
	s_or_b32 exec_lo, exec_lo, s2
	s_waitcnt lgkmcnt(0)
	s_barrier
	buffer_gl0_inv
	ds_read2_b64 v[61:64], v255 offset1:1
	s_mov_b32 s1, exec_lo
	v_cmpx_lt_u32_e32 31, v0
	s_cbranch_execz .LBB87_289
; %bb.288:
	s_waitcnt lgkmcnt(0)
	v_mul_f64 v[177:178], v[61:62], v[207:208]
	v_mul_f64 v[51:52], v[63:64], v[207:208]
	ds_read2_b64 v[179:182], v253 offset0:64 offset1:65
	v_fma_f64 v[177:178], v[63:64], v[205:206], v[177:178]
	v_fma_f64 v[205:206], v[61:62], v[205:206], -v[51:52]
	s_waitcnt lgkmcnt(0)
	v_mul_f64 v[51:52], v[181:182], v[177:178]
	v_mov_b32_e32 v208, v178
	v_mov_b32_e32 v207, v177
	v_fma_f64 v[51:52], v[179:180], v[205:206], -v[51:52]
	v_mul_f64 v[179:180], v[179:180], v[177:178]
	v_add_f64 v[45:46], v[45:46], -v[51:52]
	v_fma_f64 v[179:180], v[181:182], v[205:206], v[179:180]
	v_add_f64 v[47:48], v[47:48], -v[179:180]
	ds_read2_b64 v[179:182], v253 offset0:66 offset1:67
	s_waitcnt lgkmcnt(0)
	v_mul_f64 v[51:52], v[181:182], v[177:178]
	v_fma_f64 v[51:52], v[179:180], v[205:206], -v[51:52]
	v_mul_f64 v[179:180], v[179:180], v[177:178]
	v_add_f64 v[41:42], v[41:42], -v[51:52]
	v_fma_f64 v[179:180], v[181:182], v[205:206], v[179:180]
	v_add_f64 v[43:44], v[43:44], -v[179:180]
	ds_read2_b64 v[179:182], v253 offset0:68 offset1:69
	s_waitcnt lgkmcnt(0)
	v_mul_f64 v[51:52], v[181:182], v[177:178]
	;; [unrolled: 8-line block ×11, first 2 shown]
	v_fma_f64 v[51:52], v[179:180], v[205:206], -v[51:52]
	v_mul_f64 v[179:180], v[179:180], v[177:178]
	v_add_f64 v[1:2], v[1:2], -v[51:52]
	v_fma_f64 v[179:180], v[181:182], v[205:206], v[179:180]
	v_add_f64 v[3:4], v[3:4], -v[179:180]
.LBB87_289:
	s_or_b32 exec_lo, exec_lo, s1
	s_mov_b32 s2, exec_lo
	s_waitcnt lgkmcnt(0)
	s_barrier
	buffer_gl0_inv
	v_cmpx_eq_u32_e32 32, v0
	s_cbranch_execz .LBB87_296
; %bb.290:
	ds_write2_b64 v255, v[45:46], v[47:48] offset1:1
	ds_write2_b64 v253, v[41:42], v[43:44] offset0:66 offset1:67
	ds_write2_b64 v253, v[37:38], v[39:40] offset0:68 offset1:69
	;; [unrolled: 1-line block ×11, first 2 shown]
	ds_read2_b64 v[177:180], v255 offset1:1
	s_waitcnt lgkmcnt(0)
	v_cmp_neq_f64_e32 vcc_lo, 0, v[177:178]
	v_cmp_neq_f64_e64 s1, 0, v[179:180]
	s_or_b32 s1, vcc_lo, s1
	s_and_b32 exec_lo, exec_lo, s1
	s_cbranch_execz .LBB87_296
; %bb.291:
	v_cmp_ngt_f64_e64 s1, |v[177:178]|, |v[179:180]|
                                        ; implicit-def: $vgpr181_vgpr182
	s_and_saveexec_b32 s3, s1
	s_xor_b32 s1, exec_lo, s3
                                        ; implicit-def: $vgpr183_vgpr184
	s_cbranch_execz .LBB87_293
; %bb.292:
	v_div_scale_f64 v[181:182], null, v[179:180], v[179:180], v[177:178]
	v_div_scale_f64 v[187:188], vcc_lo, v[177:178], v[179:180], v[177:178]
	v_rcp_f64_e32 v[183:184], v[181:182]
	v_fma_f64 v[185:186], -v[181:182], v[183:184], 1.0
	v_fma_f64 v[183:184], v[183:184], v[185:186], v[183:184]
	v_fma_f64 v[185:186], -v[181:182], v[183:184], 1.0
	v_fma_f64 v[183:184], v[183:184], v[185:186], v[183:184]
	v_mul_f64 v[185:186], v[187:188], v[183:184]
	v_fma_f64 v[181:182], -v[181:182], v[185:186], v[187:188]
	v_div_fmas_f64 v[181:182], v[181:182], v[183:184], v[185:186]
	v_div_fixup_f64 v[181:182], v[181:182], v[179:180], v[177:178]
	v_fma_f64 v[177:178], v[177:178], v[181:182], v[179:180]
	v_div_scale_f64 v[179:180], null, v[177:178], v[177:178], 1.0
	v_rcp_f64_e32 v[183:184], v[179:180]
	v_fma_f64 v[185:186], -v[179:180], v[183:184], 1.0
	v_fma_f64 v[183:184], v[183:184], v[185:186], v[183:184]
	v_fma_f64 v[185:186], -v[179:180], v[183:184], 1.0
	v_fma_f64 v[183:184], v[183:184], v[185:186], v[183:184]
	v_div_scale_f64 v[185:186], vcc_lo, 1.0, v[177:178], 1.0
	v_mul_f64 v[187:188], v[185:186], v[183:184]
	v_fma_f64 v[179:180], -v[179:180], v[187:188], v[185:186]
	v_div_fmas_f64 v[179:180], v[179:180], v[183:184], v[187:188]
	v_div_fixup_f64 v[183:184], v[179:180], v[177:178], 1.0
                                        ; implicit-def: $vgpr177_vgpr178
	v_mul_f64 v[181:182], v[181:182], v[183:184]
	v_xor_b32_e32 v184, 0x80000000, v184
.LBB87_293:
	s_andn2_saveexec_b32 s1, s1
	s_cbranch_execz .LBB87_295
; %bb.294:
	v_div_scale_f64 v[181:182], null, v[177:178], v[177:178], v[179:180]
	v_div_scale_f64 v[187:188], vcc_lo, v[179:180], v[177:178], v[179:180]
	v_rcp_f64_e32 v[183:184], v[181:182]
	v_fma_f64 v[185:186], -v[181:182], v[183:184], 1.0
	v_fma_f64 v[183:184], v[183:184], v[185:186], v[183:184]
	v_fma_f64 v[185:186], -v[181:182], v[183:184], 1.0
	v_fma_f64 v[183:184], v[183:184], v[185:186], v[183:184]
	v_mul_f64 v[185:186], v[187:188], v[183:184]
	v_fma_f64 v[181:182], -v[181:182], v[185:186], v[187:188]
	v_div_fmas_f64 v[181:182], v[181:182], v[183:184], v[185:186]
	v_div_fixup_f64 v[183:184], v[181:182], v[177:178], v[179:180]
	v_fma_f64 v[177:178], v[179:180], v[183:184], v[177:178]
	v_div_scale_f64 v[179:180], null, v[177:178], v[177:178], 1.0
	v_rcp_f64_e32 v[181:182], v[179:180]
	v_fma_f64 v[185:186], -v[179:180], v[181:182], 1.0
	v_fma_f64 v[181:182], v[181:182], v[185:186], v[181:182]
	v_fma_f64 v[185:186], -v[179:180], v[181:182], 1.0
	v_fma_f64 v[181:182], v[181:182], v[185:186], v[181:182]
	v_div_scale_f64 v[185:186], vcc_lo, 1.0, v[177:178], 1.0
	v_mul_f64 v[187:188], v[185:186], v[181:182]
	v_fma_f64 v[179:180], -v[179:180], v[187:188], v[185:186]
	v_div_fmas_f64 v[179:180], v[179:180], v[181:182], v[187:188]
	v_div_fixup_f64 v[181:182], v[179:180], v[177:178], 1.0
	v_mul_f64 v[183:184], v[183:184], -v[181:182]
.LBB87_295:
	s_or_b32 exec_lo, exec_lo, s1
	ds_write2_b64 v255, v[181:182], v[183:184] offset1:1
.LBB87_296:
	s_or_b32 exec_lo, exec_lo, s2
	s_waitcnt lgkmcnt(0)
	s_barrier
	buffer_gl0_inv
	ds_read2_b64 v[49:52], v255 offset1:1
	s_mov_b32 s1, exec_lo
	v_cmpx_lt_u32_e32 32, v0
	s_cbranch_execz .LBB87_298
; %bb.297:
	s_waitcnt lgkmcnt(0)
	v_mul_f64 v[177:178], v[49:50], v[47:48]
	v_mul_f64 v[47:48], v[51:52], v[47:48]
	ds_read2_b64 v[179:182], v253 offset0:66 offset1:67
	v_fma_f64 v[177:178], v[51:52], v[45:46], v[177:178]
	v_fma_f64 v[45:46], v[49:50], v[45:46], -v[47:48]
	s_waitcnt lgkmcnt(0)
	v_mul_f64 v[47:48], v[181:182], v[177:178]
	v_fma_f64 v[47:48], v[179:180], v[45:46], -v[47:48]
	v_mul_f64 v[179:180], v[179:180], v[177:178]
	v_add_f64 v[41:42], v[41:42], -v[47:48]
	v_fma_f64 v[179:180], v[181:182], v[45:46], v[179:180]
	v_add_f64 v[43:44], v[43:44], -v[179:180]
	ds_read2_b64 v[179:182], v253 offset0:68 offset1:69
	s_waitcnt lgkmcnt(0)
	v_mul_f64 v[47:48], v[181:182], v[177:178]
	v_fma_f64 v[47:48], v[179:180], v[45:46], -v[47:48]
	v_mul_f64 v[179:180], v[179:180], v[177:178]
	v_add_f64 v[37:38], v[37:38], -v[47:48]
	v_fma_f64 v[179:180], v[181:182], v[45:46], v[179:180]
	v_add_f64 v[39:40], v[39:40], -v[179:180]
	ds_read2_b64 v[179:182], v253 offset0:70 offset1:71
	;; [unrolled: 8-line block ×10, first 2 shown]
	s_waitcnt lgkmcnt(0)
	v_mul_f64 v[47:48], v[181:182], v[177:178]
	v_fma_f64 v[47:48], v[179:180], v[45:46], -v[47:48]
	v_mul_f64 v[179:180], v[179:180], v[177:178]
	v_add_f64 v[1:2], v[1:2], -v[47:48]
	v_fma_f64 v[179:180], v[181:182], v[45:46], v[179:180]
	v_mov_b32_e32 v47, v177
	v_mov_b32_e32 v48, v178
	v_add_f64 v[3:4], v[3:4], -v[179:180]
.LBB87_298:
	s_or_b32 exec_lo, exec_lo, s1
	s_mov_b32 s2, exec_lo
	s_waitcnt lgkmcnt(0)
	s_barrier
	buffer_gl0_inv
	v_cmpx_eq_u32_e32 33, v0
	s_cbranch_execz .LBB87_305
; %bb.299:
	ds_write2_b64 v255, v[41:42], v[43:44] offset1:1
	ds_write2_b64 v253, v[37:38], v[39:40] offset0:68 offset1:69
	ds_write2_b64 v253, v[33:34], v[35:36] offset0:70 offset1:71
	;; [unrolled: 1-line block ×10, first 2 shown]
	ds_read2_b64 v[177:180], v255 offset1:1
	s_waitcnt lgkmcnt(0)
	v_cmp_neq_f64_e32 vcc_lo, 0, v[177:178]
	v_cmp_neq_f64_e64 s1, 0, v[179:180]
	s_or_b32 s1, vcc_lo, s1
	s_and_b32 exec_lo, exec_lo, s1
	s_cbranch_execz .LBB87_305
; %bb.300:
	v_cmp_ngt_f64_e64 s1, |v[177:178]|, |v[179:180]|
                                        ; implicit-def: $vgpr181_vgpr182
	s_and_saveexec_b32 s3, s1
	s_xor_b32 s1, exec_lo, s3
                                        ; implicit-def: $vgpr183_vgpr184
	s_cbranch_execz .LBB87_302
; %bb.301:
	v_div_scale_f64 v[181:182], null, v[179:180], v[179:180], v[177:178]
	v_div_scale_f64 v[187:188], vcc_lo, v[177:178], v[179:180], v[177:178]
	v_rcp_f64_e32 v[183:184], v[181:182]
	v_fma_f64 v[185:186], -v[181:182], v[183:184], 1.0
	v_fma_f64 v[183:184], v[183:184], v[185:186], v[183:184]
	v_fma_f64 v[185:186], -v[181:182], v[183:184], 1.0
	v_fma_f64 v[183:184], v[183:184], v[185:186], v[183:184]
	v_mul_f64 v[185:186], v[187:188], v[183:184]
	v_fma_f64 v[181:182], -v[181:182], v[185:186], v[187:188]
	v_div_fmas_f64 v[181:182], v[181:182], v[183:184], v[185:186]
	v_div_fixup_f64 v[181:182], v[181:182], v[179:180], v[177:178]
	v_fma_f64 v[177:178], v[177:178], v[181:182], v[179:180]
	v_div_scale_f64 v[179:180], null, v[177:178], v[177:178], 1.0
	v_rcp_f64_e32 v[183:184], v[179:180]
	v_fma_f64 v[185:186], -v[179:180], v[183:184], 1.0
	v_fma_f64 v[183:184], v[183:184], v[185:186], v[183:184]
	v_fma_f64 v[185:186], -v[179:180], v[183:184], 1.0
	v_fma_f64 v[183:184], v[183:184], v[185:186], v[183:184]
	v_div_scale_f64 v[185:186], vcc_lo, 1.0, v[177:178], 1.0
	v_mul_f64 v[187:188], v[185:186], v[183:184]
	v_fma_f64 v[179:180], -v[179:180], v[187:188], v[185:186]
	v_div_fmas_f64 v[179:180], v[179:180], v[183:184], v[187:188]
	v_div_fixup_f64 v[183:184], v[179:180], v[177:178], 1.0
                                        ; implicit-def: $vgpr177_vgpr178
	v_mul_f64 v[181:182], v[181:182], v[183:184]
	v_xor_b32_e32 v184, 0x80000000, v184
.LBB87_302:
	s_andn2_saveexec_b32 s1, s1
	s_cbranch_execz .LBB87_304
; %bb.303:
	v_div_scale_f64 v[181:182], null, v[177:178], v[177:178], v[179:180]
	v_div_scale_f64 v[187:188], vcc_lo, v[179:180], v[177:178], v[179:180]
	v_rcp_f64_e32 v[183:184], v[181:182]
	v_fma_f64 v[185:186], -v[181:182], v[183:184], 1.0
	v_fma_f64 v[183:184], v[183:184], v[185:186], v[183:184]
	v_fma_f64 v[185:186], -v[181:182], v[183:184], 1.0
	v_fma_f64 v[183:184], v[183:184], v[185:186], v[183:184]
	v_mul_f64 v[185:186], v[187:188], v[183:184]
	v_fma_f64 v[181:182], -v[181:182], v[185:186], v[187:188]
	v_div_fmas_f64 v[181:182], v[181:182], v[183:184], v[185:186]
	v_div_fixup_f64 v[183:184], v[181:182], v[177:178], v[179:180]
	v_fma_f64 v[177:178], v[179:180], v[183:184], v[177:178]
	v_div_scale_f64 v[179:180], null, v[177:178], v[177:178], 1.0
	v_rcp_f64_e32 v[181:182], v[179:180]
	v_fma_f64 v[185:186], -v[179:180], v[181:182], 1.0
	v_fma_f64 v[181:182], v[181:182], v[185:186], v[181:182]
	v_fma_f64 v[185:186], -v[179:180], v[181:182], 1.0
	v_fma_f64 v[181:182], v[181:182], v[185:186], v[181:182]
	v_div_scale_f64 v[185:186], vcc_lo, 1.0, v[177:178], 1.0
	v_mul_f64 v[187:188], v[185:186], v[181:182]
	v_fma_f64 v[179:180], -v[179:180], v[187:188], v[185:186]
	v_div_fmas_f64 v[179:180], v[179:180], v[181:182], v[187:188]
	v_div_fixup_f64 v[181:182], v[179:180], v[177:178], 1.0
	v_mul_f64 v[183:184], v[183:184], -v[181:182]
.LBB87_304:
	s_or_b32 exec_lo, exec_lo, s1
	ds_write2_b64 v255, v[181:182], v[183:184] offset1:1
.LBB87_305:
	s_or_b32 exec_lo, exec_lo, s2
	s_waitcnt lgkmcnt(0)
	s_barrier
	buffer_gl0_inv
	ds_read2_b64 v[65:68], v255 offset1:1
	s_mov_b32 s1, exec_lo
	v_cmpx_lt_u32_e32 33, v0
	s_cbranch_execz .LBB87_307
; %bb.306:
	s_waitcnt lgkmcnt(0)
	v_mul_f64 v[177:178], v[65:66], v[43:44]
	v_mul_f64 v[43:44], v[67:68], v[43:44]
	v_fma_f64 v[181:182], v[67:68], v[41:42], v[177:178]
	ds_read2_b64 v[177:180], v253 offset0:68 offset1:69
	v_fma_f64 v[41:42], v[65:66], v[41:42], -v[43:44]
	s_waitcnt lgkmcnt(0)
	v_mul_f64 v[43:44], v[179:180], v[181:182]
	v_fma_f64 v[43:44], v[177:178], v[41:42], -v[43:44]
	v_mul_f64 v[177:178], v[177:178], v[181:182]
	v_add_f64 v[37:38], v[37:38], -v[43:44]
	v_fma_f64 v[177:178], v[179:180], v[41:42], v[177:178]
	v_add_f64 v[39:40], v[39:40], -v[177:178]
	ds_read2_b64 v[177:180], v253 offset0:70 offset1:71
	s_waitcnt lgkmcnt(0)
	v_mul_f64 v[43:44], v[179:180], v[181:182]
	v_fma_f64 v[43:44], v[177:178], v[41:42], -v[43:44]
	v_mul_f64 v[177:178], v[177:178], v[181:182]
	v_add_f64 v[33:34], v[33:34], -v[43:44]
	v_fma_f64 v[177:178], v[179:180], v[41:42], v[177:178]
	v_add_f64 v[35:36], v[35:36], -v[177:178]
	ds_read2_b64 v[177:180], v253 offset0:72 offset1:73
	;; [unrolled: 8-line block ×9, first 2 shown]
	s_waitcnt lgkmcnt(0)
	v_mul_f64 v[43:44], v[179:180], v[181:182]
	v_fma_f64 v[43:44], v[177:178], v[41:42], -v[43:44]
	v_mul_f64 v[177:178], v[177:178], v[181:182]
	v_add_f64 v[1:2], v[1:2], -v[43:44]
	v_fma_f64 v[177:178], v[179:180], v[41:42], v[177:178]
	v_mov_b32_e32 v43, v181
	v_mov_b32_e32 v44, v182
	v_add_f64 v[3:4], v[3:4], -v[177:178]
.LBB87_307:
	s_or_b32 exec_lo, exec_lo, s1
	s_mov_b32 s2, exec_lo
	s_waitcnt lgkmcnt(0)
	s_barrier
	buffer_gl0_inv
	v_cmpx_eq_u32_e32 34, v0
	s_cbranch_execz .LBB87_314
; %bb.308:
	ds_write2_b64 v255, v[37:38], v[39:40] offset1:1
	ds_write2_b64 v253, v[33:34], v[35:36] offset0:70 offset1:71
	ds_write2_b64 v253, v[29:30], v[31:32] offset0:72 offset1:73
	;; [unrolled: 1-line block ×9, first 2 shown]
	ds_read2_b64 v[177:180], v255 offset1:1
	s_waitcnt lgkmcnt(0)
	v_cmp_neq_f64_e32 vcc_lo, 0, v[177:178]
	v_cmp_neq_f64_e64 s1, 0, v[179:180]
	s_or_b32 s1, vcc_lo, s1
	s_and_b32 exec_lo, exec_lo, s1
	s_cbranch_execz .LBB87_314
; %bb.309:
	v_cmp_ngt_f64_e64 s1, |v[177:178]|, |v[179:180]|
                                        ; implicit-def: $vgpr181_vgpr182
	s_and_saveexec_b32 s3, s1
	s_xor_b32 s1, exec_lo, s3
                                        ; implicit-def: $vgpr183_vgpr184
	s_cbranch_execz .LBB87_311
; %bb.310:
	v_div_scale_f64 v[181:182], null, v[179:180], v[179:180], v[177:178]
	v_div_scale_f64 v[187:188], vcc_lo, v[177:178], v[179:180], v[177:178]
	v_rcp_f64_e32 v[183:184], v[181:182]
	v_fma_f64 v[185:186], -v[181:182], v[183:184], 1.0
	v_fma_f64 v[183:184], v[183:184], v[185:186], v[183:184]
	v_fma_f64 v[185:186], -v[181:182], v[183:184], 1.0
	v_fma_f64 v[183:184], v[183:184], v[185:186], v[183:184]
	v_mul_f64 v[185:186], v[187:188], v[183:184]
	v_fma_f64 v[181:182], -v[181:182], v[185:186], v[187:188]
	v_div_fmas_f64 v[181:182], v[181:182], v[183:184], v[185:186]
	v_div_fixup_f64 v[181:182], v[181:182], v[179:180], v[177:178]
	v_fma_f64 v[177:178], v[177:178], v[181:182], v[179:180]
	v_div_scale_f64 v[179:180], null, v[177:178], v[177:178], 1.0
	v_rcp_f64_e32 v[183:184], v[179:180]
	v_fma_f64 v[185:186], -v[179:180], v[183:184], 1.0
	v_fma_f64 v[183:184], v[183:184], v[185:186], v[183:184]
	v_fma_f64 v[185:186], -v[179:180], v[183:184], 1.0
	v_fma_f64 v[183:184], v[183:184], v[185:186], v[183:184]
	v_div_scale_f64 v[185:186], vcc_lo, 1.0, v[177:178], 1.0
	v_mul_f64 v[187:188], v[185:186], v[183:184]
	v_fma_f64 v[179:180], -v[179:180], v[187:188], v[185:186]
	v_div_fmas_f64 v[179:180], v[179:180], v[183:184], v[187:188]
	v_div_fixup_f64 v[183:184], v[179:180], v[177:178], 1.0
                                        ; implicit-def: $vgpr177_vgpr178
	v_mul_f64 v[181:182], v[181:182], v[183:184]
	v_xor_b32_e32 v184, 0x80000000, v184
.LBB87_311:
	s_andn2_saveexec_b32 s1, s1
	s_cbranch_execz .LBB87_313
; %bb.312:
	v_div_scale_f64 v[181:182], null, v[177:178], v[177:178], v[179:180]
	v_div_scale_f64 v[187:188], vcc_lo, v[179:180], v[177:178], v[179:180]
	v_rcp_f64_e32 v[183:184], v[181:182]
	v_fma_f64 v[185:186], -v[181:182], v[183:184], 1.0
	v_fma_f64 v[183:184], v[183:184], v[185:186], v[183:184]
	v_fma_f64 v[185:186], -v[181:182], v[183:184], 1.0
	v_fma_f64 v[183:184], v[183:184], v[185:186], v[183:184]
	v_mul_f64 v[185:186], v[187:188], v[183:184]
	v_fma_f64 v[181:182], -v[181:182], v[185:186], v[187:188]
	v_div_fmas_f64 v[181:182], v[181:182], v[183:184], v[185:186]
	v_div_fixup_f64 v[183:184], v[181:182], v[177:178], v[179:180]
	v_fma_f64 v[177:178], v[179:180], v[183:184], v[177:178]
	v_div_scale_f64 v[179:180], null, v[177:178], v[177:178], 1.0
	v_rcp_f64_e32 v[181:182], v[179:180]
	v_fma_f64 v[185:186], -v[179:180], v[181:182], 1.0
	v_fma_f64 v[181:182], v[181:182], v[185:186], v[181:182]
	v_fma_f64 v[185:186], -v[179:180], v[181:182], 1.0
	v_fma_f64 v[181:182], v[181:182], v[185:186], v[181:182]
	v_div_scale_f64 v[185:186], vcc_lo, 1.0, v[177:178], 1.0
	v_mul_f64 v[187:188], v[185:186], v[181:182]
	v_fma_f64 v[179:180], -v[179:180], v[187:188], v[185:186]
	v_div_fmas_f64 v[179:180], v[179:180], v[181:182], v[187:188]
	v_div_fixup_f64 v[181:182], v[179:180], v[177:178], 1.0
	v_mul_f64 v[183:184], v[183:184], -v[181:182]
.LBB87_313:
	s_or_b32 exec_lo, exec_lo, s1
	ds_write2_b64 v255, v[181:182], v[183:184] offset1:1
.LBB87_314:
	s_or_b32 exec_lo, exec_lo, s2
	s_waitcnt lgkmcnt(0)
	s_barrier
	buffer_gl0_inv
	ds_read2_b64 v[69:72], v255 offset1:1
	s_mov_b32 s1, exec_lo
	v_cmpx_lt_u32_e32 34, v0
	s_cbranch_execz .LBB87_316
; %bb.315:
	s_waitcnt lgkmcnt(0)
	v_mul_f64 v[177:178], v[69:70], v[39:40]
	v_mul_f64 v[39:40], v[71:72], v[39:40]
	v_fma_f64 v[181:182], v[71:72], v[37:38], v[177:178]
	ds_read2_b64 v[177:180], v253 offset0:70 offset1:71
	v_fma_f64 v[37:38], v[69:70], v[37:38], -v[39:40]
	s_waitcnt lgkmcnt(0)
	v_mul_f64 v[39:40], v[179:180], v[181:182]
	v_fma_f64 v[39:40], v[177:178], v[37:38], -v[39:40]
	v_mul_f64 v[177:178], v[177:178], v[181:182]
	v_add_f64 v[33:34], v[33:34], -v[39:40]
	v_fma_f64 v[177:178], v[179:180], v[37:38], v[177:178]
	v_add_f64 v[35:36], v[35:36], -v[177:178]
	ds_read2_b64 v[177:180], v253 offset0:72 offset1:73
	s_waitcnt lgkmcnt(0)
	v_mul_f64 v[39:40], v[179:180], v[181:182]
	v_fma_f64 v[39:40], v[177:178], v[37:38], -v[39:40]
	v_mul_f64 v[177:178], v[177:178], v[181:182]
	v_add_f64 v[29:30], v[29:30], -v[39:40]
	v_fma_f64 v[177:178], v[179:180], v[37:38], v[177:178]
	v_add_f64 v[31:32], v[31:32], -v[177:178]
	ds_read2_b64 v[177:180], v253 offset0:74 offset1:75
	;; [unrolled: 8-line block ×8, first 2 shown]
	s_waitcnt lgkmcnt(0)
	v_mul_f64 v[39:40], v[179:180], v[181:182]
	v_fma_f64 v[39:40], v[177:178], v[37:38], -v[39:40]
	v_mul_f64 v[177:178], v[177:178], v[181:182]
	v_add_f64 v[1:2], v[1:2], -v[39:40]
	v_fma_f64 v[177:178], v[179:180], v[37:38], v[177:178]
	v_mov_b32_e32 v39, v181
	v_mov_b32_e32 v40, v182
	v_add_f64 v[3:4], v[3:4], -v[177:178]
.LBB87_316:
	s_or_b32 exec_lo, exec_lo, s1
	s_mov_b32 s2, exec_lo
	s_waitcnt lgkmcnt(0)
	s_barrier
	buffer_gl0_inv
	v_cmpx_eq_u32_e32 35, v0
	s_cbranch_execz .LBB87_323
; %bb.317:
	ds_write2_b64 v255, v[33:34], v[35:36] offset1:1
	ds_write2_b64 v253, v[29:30], v[31:32] offset0:72 offset1:73
	ds_write2_b64 v253, v[25:26], v[27:28] offset0:74 offset1:75
	;; [unrolled: 1-line block ×8, first 2 shown]
	ds_read2_b64 v[177:180], v255 offset1:1
	s_waitcnt lgkmcnt(0)
	v_cmp_neq_f64_e32 vcc_lo, 0, v[177:178]
	v_cmp_neq_f64_e64 s1, 0, v[179:180]
	s_or_b32 s1, vcc_lo, s1
	s_and_b32 exec_lo, exec_lo, s1
	s_cbranch_execz .LBB87_323
; %bb.318:
	v_cmp_ngt_f64_e64 s1, |v[177:178]|, |v[179:180]|
                                        ; implicit-def: $vgpr181_vgpr182
	s_and_saveexec_b32 s3, s1
	s_xor_b32 s1, exec_lo, s3
                                        ; implicit-def: $vgpr183_vgpr184
	s_cbranch_execz .LBB87_320
; %bb.319:
	v_div_scale_f64 v[181:182], null, v[179:180], v[179:180], v[177:178]
	v_div_scale_f64 v[187:188], vcc_lo, v[177:178], v[179:180], v[177:178]
	v_rcp_f64_e32 v[183:184], v[181:182]
	v_fma_f64 v[185:186], -v[181:182], v[183:184], 1.0
	v_fma_f64 v[183:184], v[183:184], v[185:186], v[183:184]
	v_fma_f64 v[185:186], -v[181:182], v[183:184], 1.0
	v_fma_f64 v[183:184], v[183:184], v[185:186], v[183:184]
	v_mul_f64 v[185:186], v[187:188], v[183:184]
	v_fma_f64 v[181:182], -v[181:182], v[185:186], v[187:188]
	v_div_fmas_f64 v[181:182], v[181:182], v[183:184], v[185:186]
	v_div_fixup_f64 v[181:182], v[181:182], v[179:180], v[177:178]
	v_fma_f64 v[177:178], v[177:178], v[181:182], v[179:180]
	v_div_scale_f64 v[179:180], null, v[177:178], v[177:178], 1.0
	v_rcp_f64_e32 v[183:184], v[179:180]
	v_fma_f64 v[185:186], -v[179:180], v[183:184], 1.0
	v_fma_f64 v[183:184], v[183:184], v[185:186], v[183:184]
	v_fma_f64 v[185:186], -v[179:180], v[183:184], 1.0
	v_fma_f64 v[183:184], v[183:184], v[185:186], v[183:184]
	v_div_scale_f64 v[185:186], vcc_lo, 1.0, v[177:178], 1.0
	v_mul_f64 v[187:188], v[185:186], v[183:184]
	v_fma_f64 v[179:180], -v[179:180], v[187:188], v[185:186]
	v_div_fmas_f64 v[179:180], v[179:180], v[183:184], v[187:188]
	v_div_fixup_f64 v[183:184], v[179:180], v[177:178], 1.0
                                        ; implicit-def: $vgpr177_vgpr178
	v_mul_f64 v[181:182], v[181:182], v[183:184]
	v_xor_b32_e32 v184, 0x80000000, v184
.LBB87_320:
	s_andn2_saveexec_b32 s1, s1
	s_cbranch_execz .LBB87_322
; %bb.321:
	v_div_scale_f64 v[181:182], null, v[177:178], v[177:178], v[179:180]
	v_div_scale_f64 v[187:188], vcc_lo, v[179:180], v[177:178], v[179:180]
	v_rcp_f64_e32 v[183:184], v[181:182]
	v_fma_f64 v[185:186], -v[181:182], v[183:184], 1.0
	v_fma_f64 v[183:184], v[183:184], v[185:186], v[183:184]
	v_fma_f64 v[185:186], -v[181:182], v[183:184], 1.0
	v_fma_f64 v[183:184], v[183:184], v[185:186], v[183:184]
	v_mul_f64 v[185:186], v[187:188], v[183:184]
	v_fma_f64 v[181:182], -v[181:182], v[185:186], v[187:188]
	v_div_fmas_f64 v[181:182], v[181:182], v[183:184], v[185:186]
	v_div_fixup_f64 v[183:184], v[181:182], v[177:178], v[179:180]
	v_fma_f64 v[177:178], v[179:180], v[183:184], v[177:178]
	v_div_scale_f64 v[179:180], null, v[177:178], v[177:178], 1.0
	v_rcp_f64_e32 v[181:182], v[179:180]
	v_fma_f64 v[185:186], -v[179:180], v[181:182], 1.0
	v_fma_f64 v[181:182], v[181:182], v[185:186], v[181:182]
	v_fma_f64 v[185:186], -v[179:180], v[181:182], 1.0
	v_fma_f64 v[181:182], v[181:182], v[185:186], v[181:182]
	v_div_scale_f64 v[185:186], vcc_lo, 1.0, v[177:178], 1.0
	v_mul_f64 v[187:188], v[185:186], v[181:182]
	v_fma_f64 v[179:180], -v[179:180], v[187:188], v[185:186]
	v_div_fmas_f64 v[179:180], v[179:180], v[181:182], v[187:188]
	v_div_fixup_f64 v[181:182], v[179:180], v[177:178], 1.0
	v_mul_f64 v[183:184], v[183:184], -v[181:182]
.LBB87_322:
	s_or_b32 exec_lo, exec_lo, s1
	ds_write2_b64 v255, v[181:182], v[183:184] offset1:1
.LBB87_323:
	s_or_b32 exec_lo, exec_lo, s2
	s_waitcnt lgkmcnt(0)
	s_barrier
	buffer_gl0_inv
	ds_read2_b64 v[73:76], v255 offset1:1
	s_mov_b32 s1, exec_lo
	v_cmpx_lt_u32_e32 35, v0
	s_cbranch_execz .LBB87_325
; %bb.324:
	s_waitcnt lgkmcnt(0)
	v_mul_f64 v[177:178], v[73:74], v[35:36]
	v_mul_f64 v[35:36], v[75:76], v[35:36]
	v_fma_f64 v[181:182], v[75:76], v[33:34], v[177:178]
	ds_read2_b64 v[177:180], v253 offset0:72 offset1:73
	v_fma_f64 v[33:34], v[73:74], v[33:34], -v[35:36]
	s_waitcnt lgkmcnt(0)
	v_mul_f64 v[35:36], v[179:180], v[181:182]
	v_fma_f64 v[35:36], v[177:178], v[33:34], -v[35:36]
	v_mul_f64 v[177:178], v[177:178], v[181:182]
	v_add_f64 v[29:30], v[29:30], -v[35:36]
	v_fma_f64 v[177:178], v[179:180], v[33:34], v[177:178]
	v_add_f64 v[31:32], v[31:32], -v[177:178]
	ds_read2_b64 v[177:180], v253 offset0:74 offset1:75
	s_waitcnt lgkmcnt(0)
	v_mul_f64 v[35:36], v[179:180], v[181:182]
	v_fma_f64 v[35:36], v[177:178], v[33:34], -v[35:36]
	v_mul_f64 v[177:178], v[177:178], v[181:182]
	v_add_f64 v[25:26], v[25:26], -v[35:36]
	v_fma_f64 v[177:178], v[179:180], v[33:34], v[177:178]
	v_add_f64 v[27:28], v[27:28], -v[177:178]
	ds_read2_b64 v[177:180], v253 offset0:76 offset1:77
	s_waitcnt lgkmcnt(0)
	v_mul_f64 v[35:36], v[179:180], v[181:182]
	v_fma_f64 v[35:36], v[177:178], v[33:34], -v[35:36]
	v_mul_f64 v[177:178], v[177:178], v[181:182]
	v_add_f64 v[21:22], v[21:22], -v[35:36]
	v_fma_f64 v[177:178], v[179:180], v[33:34], v[177:178]
	v_add_f64 v[23:24], v[23:24], -v[177:178]
	ds_read2_b64 v[177:180], v253 offset0:78 offset1:79
	s_waitcnt lgkmcnt(0)
	v_mul_f64 v[35:36], v[179:180], v[181:182]
	v_fma_f64 v[35:36], v[177:178], v[33:34], -v[35:36]
	v_mul_f64 v[177:178], v[177:178], v[181:182]
	v_add_f64 v[17:18], v[17:18], -v[35:36]
	v_fma_f64 v[177:178], v[179:180], v[33:34], v[177:178]
	v_add_f64 v[19:20], v[19:20], -v[177:178]
	ds_read2_b64 v[177:180], v253 offset0:80 offset1:81
	s_waitcnt lgkmcnt(0)
	v_mul_f64 v[35:36], v[179:180], v[181:182]
	v_fma_f64 v[35:36], v[177:178], v[33:34], -v[35:36]
	v_mul_f64 v[177:178], v[177:178], v[181:182]
	v_add_f64 v[13:14], v[13:14], -v[35:36]
	v_fma_f64 v[177:178], v[179:180], v[33:34], v[177:178]
	v_add_f64 v[15:16], v[15:16], -v[177:178]
	ds_read2_b64 v[177:180], v253 offset0:82 offset1:83
	s_waitcnt lgkmcnt(0)
	v_mul_f64 v[35:36], v[179:180], v[181:182]
	v_fma_f64 v[35:36], v[177:178], v[33:34], -v[35:36]
	v_mul_f64 v[177:178], v[177:178], v[181:182]
	v_add_f64 v[9:10], v[9:10], -v[35:36]
	v_fma_f64 v[177:178], v[179:180], v[33:34], v[177:178]
	v_add_f64 v[11:12], v[11:12], -v[177:178]
	ds_read2_b64 v[177:180], v253 offset0:84 offset1:85
	s_waitcnt lgkmcnt(0)
	v_mul_f64 v[35:36], v[179:180], v[181:182]
	v_fma_f64 v[35:36], v[177:178], v[33:34], -v[35:36]
	v_mul_f64 v[177:178], v[177:178], v[181:182]
	v_add_f64 v[5:6], v[5:6], -v[35:36]
	v_fma_f64 v[177:178], v[179:180], v[33:34], v[177:178]
	v_add_f64 v[7:8], v[7:8], -v[177:178]
	ds_read2_b64 v[177:180], v253 offset0:86 offset1:87
	s_waitcnt lgkmcnt(0)
	v_mul_f64 v[35:36], v[179:180], v[181:182]
	v_fma_f64 v[35:36], v[177:178], v[33:34], -v[35:36]
	v_mul_f64 v[177:178], v[177:178], v[181:182]
	v_add_f64 v[1:2], v[1:2], -v[35:36]
	v_fma_f64 v[177:178], v[179:180], v[33:34], v[177:178]
	v_mov_b32_e32 v35, v181
	v_mov_b32_e32 v36, v182
	v_add_f64 v[3:4], v[3:4], -v[177:178]
.LBB87_325:
	s_or_b32 exec_lo, exec_lo, s1
	s_mov_b32 s2, exec_lo
	s_waitcnt lgkmcnt(0)
	s_barrier
	buffer_gl0_inv
	v_cmpx_eq_u32_e32 36, v0
	s_cbranch_execz .LBB87_332
; %bb.326:
	ds_write2_b64 v255, v[29:30], v[31:32] offset1:1
	ds_write2_b64 v253, v[25:26], v[27:28] offset0:74 offset1:75
	ds_write2_b64 v253, v[21:22], v[23:24] offset0:76 offset1:77
	;; [unrolled: 1-line block ×7, first 2 shown]
	ds_read2_b64 v[177:180], v255 offset1:1
	s_waitcnt lgkmcnt(0)
	v_cmp_neq_f64_e32 vcc_lo, 0, v[177:178]
	v_cmp_neq_f64_e64 s1, 0, v[179:180]
	s_or_b32 s1, vcc_lo, s1
	s_and_b32 exec_lo, exec_lo, s1
	s_cbranch_execz .LBB87_332
; %bb.327:
	v_cmp_ngt_f64_e64 s1, |v[177:178]|, |v[179:180]|
                                        ; implicit-def: $vgpr181_vgpr182
	s_and_saveexec_b32 s3, s1
	s_xor_b32 s1, exec_lo, s3
                                        ; implicit-def: $vgpr183_vgpr184
	s_cbranch_execz .LBB87_329
; %bb.328:
	v_div_scale_f64 v[181:182], null, v[179:180], v[179:180], v[177:178]
	v_div_scale_f64 v[187:188], vcc_lo, v[177:178], v[179:180], v[177:178]
	v_rcp_f64_e32 v[183:184], v[181:182]
	v_fma_f64 v[185:186], -v[181:182], v[183:184], 1.0
	v_fma_f64 v[183:184], v[183:184], v[185:186], v[183:184]
	v_fma_f64 v[185:186], -v[181:182], v[183:184], 1.0
	v_fma_f64 v[183:184], v[183:184], v[185:186], v[183:184]
	v_mul_f64 v[185:186], v[187:188], v[183:184]
	v_fma_f64 v[181:182], -v[181:182], v[185:186], v[187:188]
	v_div_fmas_f64 v[181:182], v[181:182], v[183:184], v[185:186]
	v_div_fixup_f64 v[181:182], v[181:182], v[179:180], v[177:178]
	v_fma_f64 v[177:178], v[177:178], v[181:182], v[179:180]
	v_div_scale_f64 v[179:180], null, v[177:178], v[177:178], 1.0
	v_rcp_f64_e32 v[183:184], v[179:180]
	v_fma_f64 v[185:186], -v[179:180], v[183:184], 1.0
	v_fma_f64 v[183:184], v[183:184], v[185:186], v[183:184]
	v_fma_f64 v[185:186], -v[179:180], v[183:184], 1.0
	v_fma_f64 v[183:184], v[183:184], v[185:186], v[183:184]
	v_div_scale_f64 v[185:186], vcc_lo, 1.0, v[177:178], 1.0
	v_mul_f64 v[187:188], v[185:186], v[183:184]
	v_fma_f64 v[179:180], -v[179:180], v[187:188], v[185:186]
	v_div_fmas_f64 v[179:180], v[179:180], v[183:184], v[187:188]
	v_div_fixup_f64 v[183:184], v[179:180], v[177:178], 1.0
                                        ; implicit-def: $vgpr177_vgpr178
	v_mul_f64 v[181:182], v[181:182], v[183:184]
	v_xor_b32_e32 v184, 0x80000000, v184
.LBB87_329:
	s_andn2_saveexec_b32 s1, s1
	s_cbranch_execz .LBB87_331
; %bb.330:
	v_div_scale_f64 v[181:182], null, v[177:178], v[177:178], v[179:180]
	v_div_scale_f64 v[187:188], vcc_lo, v[179:180], v[177:178], v[179:180]
	v_rcp_f64_e32 v[183:184], v[181:182]
	v_fma_f64 v[185:186], -v[181:182], v[183:184], 1.0
	v_fma_f64 v[183:184], v[183:184], v[185:186], v[183:184]
	v_fma_f64 v[185:186], -v[181:182], v[183:184], 1.0
	v_fma_f64 v[183:184], v[183:184], v[185:186], v[183:184]
	v_mul_f64 v[185:186], v[187:188], v[183:184]
	v_fma_f64 v[181:182], -v[181:182], v[185:186], v[187:188]
	v_div_fmas_f64 v[181:182], v[181:182], v[183:184], v[185:186]
	v_div_fixup_f64 v[183:184], v[181:182], v[177:178], v[179:180]
	v_fma_f64 v[177:178], v[179:180], v[183:184], v[177:178]
	v_div_scale_f64 v[179:180], null, v[177:178], v[177:178], 1.0
	v_rcp_f64_e32 v[181:182], v[179:180]
	v_fma_f64 v[185:186], -v[179:180], v[181:182], 1.0
	v_fma_f64 v[181:182], v[181:182], v[185:186], v[181:182]
	v_fma_f64 v[185:186], -v[179:180], v[181:182], 1.0
	v_fma_f64 v[181:182], v[181:182], v[185:186], v[181:182]
	v_div_scale_f64 v[185:186], vcc_lo, 1.0, v[177:178], 1.0
	v_mul_f64 v[187:188], v[185:186], v[181:182]
	v_fma_f64 v[179:180], -v[179:180], v[187:188], v[185:186]
	v_div_fmas_f64 v[179:180], v[179:180], v[181:182], v[187:188]
	v_div_fixup_f64 v[181:182], v[179:180], v[177:178], 1.0
	v_mul_f64 v[183:184], v[183:184], -v[181:182]
.LBB87_331:
	s_or_b32 exec_lo, exec_lo, s1
	ds_write2_b64 v255, v[181:182], v[183:184] offset1:1
.LBB87_332:
	s_or_b32 exec_lo, exec_lo, s2
	s_waitcnt lgkmcnt(0)
	s_barrier
	buffer_gl0_inv
	ds_read2_b64 v[77:80], v255 offset1:1
	s_mov_b32 s1, exec_lo
	v_cmpx_lt_u32_e32 36, v0
	s_cbranch_execz .LBB87_334
; %bb.333:
	s_waitcnt lgkmcnt(0)
	v_mul_f64 v[177:178], v[77:78], v[31:32]
	v_mul_f64 v[31:32], v[79:80], v[31:32]
	v_fma_f64 v[181:182], v[79:80], v[29:30], v[177:178]
	ds_read2_b64 v[177:180], v253 offset0:74 offset1:75
	v_fma_f64 v[29:30], v[77:78], v[29:30], -v[31:32]
	s_waitcnt lgkmcnt(0)
	v_mul_f64 v[31:32], v[179:180], v[181:182]
	v_fma_f64 v[31:32], v[177:178], v[29:30], -v[31:32]
	v_mul_f64 v[177:178], v[177:178], v[181:182]
	v_add_f64 v[25:26], v[25:26], -v[31:32]
	v_fma_f64 v[177:178], v[179:180], v[29:30], v[177:178]
	v_add_f64 v[27:28], v[27:28], -v[177:178]
	ds_read2_b64 v[177:180], v253 offset0:76 offset1:77
	s_waitcnt lgkmcnt(0)
	v_mul_f64 v[31:32], v[179:180], v[181:182]
	v_fma_f64 v[31:32], v[177:178], v[29:30], -v[31:32]
	v_mul_f64 v[177:178], v[177:178], v[181:182]
	v_add_f64 v[21:22], v[21:22], -v[31:32]
	v_fma_f64 v[177:178], v[179:180], v[29:30], v[177:178]
	v_add_f64 v[23:24], v[23:24], -v[177:178]
	ds_read2_b64 v[177:180], v253 offset0:78 offset1:79
	;; [unrolled: 8-line block ×6, first 2 shown]
	s_waitcnt lgkmcnt(0)
	v_mul_f64 v[31:32], v[179:180], v[181:182]
	v_fma_f64 v[31:32], v[177:178], v[29:30], -v[31:32]
	v_mul_f64 v[177:178], v[177:178], v[181:182]
	v_add_f64 v[1:2], v[1:2], -v[31:32]
	v_fma_f64 v[177:178], v[179:180], v[29:30], v[177:178]
	v_mov_b32_e32 v31, v181
	v_mov_b32_e32 v32, v182
	v_add_f64 v[3:4], v[3:4], -v[177:178]
.LBB87_334:
	s_or_b32 exec_lo, exec_lo, s1
	s_mov_b32 s2, exec_lo
	s_waitcnt lgkmcnt(0)
	s_barrier
	buffer_gl0_inv
	v_cmpx_eq_u32_e32 37, v0
	s_cbranch_execz .LBB87_341
; %bb.335:
	ds_write2_b64 v255, v[25:26], v[27:28] offset1:1
	ds_write2_b64 v253, v[21:22], v[23:24] offset0:76 offset1:77
	ds_write2_b64 v253, v[17:18], v[19:20] offset0:78 offset1:79
	ds_write2_b64 v253, v[13:14], v[15:16] offset0:80 offset1:81
	ds_write2_b64 v253, v[9:10], v[11:12] offset0:82 offset1:83
	ds_write2_b64 v253, v[5:6], v[7:8] offset0:84 offset1:85
	ds_write2_b64 v253, v[1:2], v[3:4] offset0:86 offset1:87
	ds_read2_b64 v[177:180], v255 offset1:1
	s_waitcnt lgkmcnt(0)
	v_cmp_neq_f64_e32 vcc_lo, 0, v[177:178]
	v_cmp_neq_f64_e64 s1, 0, v[179:180]
	s_or_b32 s1, vcc_lo, s1
	s_and_b32 exec_lo, exec_lo, s1
	s_cbranch_execz .LBB87_341
; %bb.336:
	v_cmp_ngt_f64_e64 s1, |v[177:178]|, |v[179:180]|
                                        ; implicit-def: $vgpr181_vgpr182
	s_and_saveexec_b32 s3, s1
	s_xor_b32 s1, exec_lo, s3
                                        ; implicit-def: $vgpr183_vgpr184
	s_cbranch_execz .LBB87_338
; %bb.337:
	v_div_scale_f64 v[181:182], null, v[179:180], v[179:180], v[177:178]
	v_div_scale_f64 v[187:188], vcc_lo, v[177:178], v[179:180], v[177:178]
	v_rcp_f64_e32 v[183:184], v[181:182]
	v_fma_f64 v[185:186], -v[181:182], v[183:184], 1.0
	v_fma_f64 v[183:184], v[183:184], v[185:186], v[183:184]
	v_fma_f64 v[185:186], -v[181:182], v[183:184], 1.0
	v_fma_f64 v[183:184], v[183:184], v[185:186], v[183:184]
	v_mul_f64 v[185:186], v[187:188], v[183:184]
	v_fma_f64 v[181:182], -v[181:182], v[185:186], v[187:188]
	v_div_fmas_f64 v[181:182], v[181:182], v[183:184], v[185:186]
	v_div_fixup_f64 v[181:182], v[181:182], v[179:180], v[177:178]
	v_fma_f64 v[177:178], v[177:178], v[181:182], v[179:180]
	v_div_scale_f64 v[179:180], null, v[177:178], v[177:178], 1.0
	v_rcp_f64_e32 v[183:184], v[179:180]
	v_fma_f64 v[185:186], -v[179:180], v[183:184], 1.0
	v_fma_f64 v[183:184], v[183:184], v[185:186], v[183:184]
	v_fma_f64 v[185:186], -v[179:180], v[183:184], 1.0
	v_fma_f64 v[183:184], v[183:184], v[185:186], v[183:184]
	v_div_scale_f64 v[185:186], vcc_lo, 1.0, v[177:178], 1.0
	v_mul_f64 v[187:188], v[185:186], v[183:184]
	v_fma_f64 v[179:180], -v[179:180], v[187:188], v[185:186]
	v_div_fmas_f64 v[179:180], v[179:180], v[183:184], v[187:188]
	v_div_fixup_f64 v[183:184], v[179:180], v[177:178], 1.0
                                        ; implicit-def: $vgpr177_vgpr178
	v_mul_f64 v[181:182], v[181:182], v[183:184]
	v_xor_b32_e32 v184, 0x80000000, v184
.LBB87_338:
	s_andn2_saveexec_b32 s1, s1
	s_cbranch_execz .LBB87_340
; %bb.339:
	v_div_scale_f64 v[181:182], null, v[177:178], v[177:178], v[179:180]
	v_div_scale_f64 v[187:188], vcc_lo, v[179:180], v[177:178], v[179:180]
	v_rcp_f64_e32 v[183:184], v[181:182]
	v_fma_f64 v[185:186], -v[181:182], v[183:184], 1.0
	v_fma_f64 v[183:184], v[183:184], v[185:186], v[183:184]
	v_fma_f64 v[185:186], -v[181:182], v[183:184], 1.0
	v_fma_f64 v[183:184], v[183:184], v[185:186], v[183:184]
	v_mul_f64 v[185:186], v[187:188], v[183:184]
	v_fma_f64 v[181:182], -v[181:182], v[185:186], v[187:188]
	v_div_fmas_f64 v[181:182], v[181:182], v[183:184], v[185:186]
	v_div_fixup_f64 v[183:184], v[181:182], v[177:178], v[179:180]
	v_fma_f64 v[177:178], v[179:180], v[183:184], v[177:178]
	v_div_scale_f64 v[179:180], null, v[177:178], v[177:178], 1.0
	v_rcp_f64_e32 v[181:182], v[179:180]
	v_fma_f64 v[185:186], -v[179:180], v[181:182], 1.0
	v_fma_f64 v[181:182], v[181:182], v[185:186], v[181:182]
	v_fma_f64 v[185:186], -v[179:180], v[181:182], 1.0
	v_fma_f64 v[181:182], v[181:182], v[185:186], v[181:182]
	v_div_scale_f64 v[185:186], vcc_lo, 1.0, v[177:178], 1.0
	v_mul_f64 v[187:188], v[185:186], v[181:182]
	v_fma_f64 v[179:180], -v[179:180], v[187:188], v[185:186]
	v_div_fmas_f64 v[179:180], v[179:180], v[181:182], v[187:188]
	v_div_fixup_f64 v[181:182], v[179:180], v[177:178], 1.0
	v_mul_f64 v[183:184], v[183:184], -v[181:182]
.LBB87_340:
	s_or_b32 exec_lo, exec_lo, s1
	ds_write2_b64 v255, v[181:182], v[183:184] offset1:1
.LBB87_341:
	s_or_b32 exec_lo, exec_lo, s2
	s_waitcnt lgkmcnt(0)
	s_barrier
	buffer_gl0_inv
	ds_read2_b64 v[81:84], v255 offset1:1
	s_mov_b32 s1, exec_lo
	v_cmpx_lt_u32_e32 37, v0
	s_cbranch_execz .LBB87_343
; %bb.342:
	s_waitcnt lgkmcnt(0)
	v_mul_f64 v[177:178], v[81:82], v[27:28]
	v_mul_f64 v[27:28], v[83:84], v[27:28]
	v_fma_f64 v[181:182], v[83:84], v[25:26], v[177:178]
	ds_read2_b64 v[177:180], v253 offset0:76 offset1:77
	v_fma_f64 v[25:26], v[81:82], v[25:26], -v[27:28]
	s_waitcnt lgkmcnt(0)
	v_mul_f64 v[27:28], v[179:180], v[181:182]
	v_fma_f64 v[27:28], v[177:178], v[25:26], -v[27:28]
	v_mul_f64 v[177:178], v[177:178], v[181:182]
	v_add_f64 v[21:22], v[21:22], -v[27:28]
	v_fma_f64 v[177:178], v[179:180], v[25:26], v[177:178]
	v_add_f64 v[23:24], v[23:24], -v[177:178]
	ds_read2_b64 v[177:180], v253 offset0:78 offset1:79
	s_waitcnt lgkmcnt(0)
	v_mul_f64 v[27:28], v[179:180], v[181:182]
	v_fma_f64 v[27:28], v[177:178], v[25:26], -v[27:28]
	v_mul_f64 v[177:178], v[177:178], v[181:182]
	v_add_f64 v[17:18], v[17:18], -v[27:28]
	v_fma_f64 v[177:178], v[179:180], v[25:26], v[177:178]
	v_add_f64 v[19:20], v[19:20], -v[177:178]
	ds_read2_b64 v[177:180], v253 offset0:80 offset1:81
	;; [unrolled: 8-line block ×5, first 2 shown]
	s_waitcnt lgkmcnt(0)
	v_mul_f64 v[27:28], v[179:180], v[181:182]
	v_fma_f64 v[27:28], v[177:178], v[25:26], -v[27:28]
	v_mul_f64 v[177:178], v[177:178], v[181:182]
	v_add_f64 v[1:2], v[1:2], -v[27:28]
	v_fma_f64 v[177:178], v[179:180], v[25:26], v[177:178]
	v_mov_b32_e32 v27, v181
	v_mov_b32_e32 v28, v182
	v_add_f64 v[3:4], v[3:4], -v[177:178]
.LBB87_343:
	s_or_b32 exec_lo, exec_lo, s1
	s_mov_b32 s2, exec_lo
	s_waitcnt lgkmcnt(0)
	s_barrier
	buffer_gl0_inv
	v_cmpx_eq_u32_e32 38, v0
	s_cbranch_execz .LBB87_350
; %bb.344:
	ds_write2_b64 v255, v[21:22], v[23:24] offset1:1
	ds_write2_b64 v253, v[17:18], v[19:20] offset0:78 offset1:79
	ds_write2_b64 v253, v[13:14], v[15:16] offset0:80 offset1:81
	;; [unrolled: 1-line block ×5, first 2 shown]
	ds_read2_b64 v[177:180], v255 offset1:1
	s_waitcnt lgkmcnt(0)
	v_cmp_neq_f64_e32 vcc_lo, 0, v[177:178]
	v_cmp_neq_f64_e64 s1, 0, v[179:180]
	s_or_b32 s1, vcc_lo, s1
	s_and_b32 exec_lo, exec_lo, s1
	s_cbranch_execz .LBB87_350
; %bb.345:
	v_cmp_ngt_f64_e64 s1, |v[177:178]|, |v[179:180]|
                                        ; implicit-def: $vgpr181_vgpr182
	s_and_saveexec_b32 s3, s1
	s_xor_b32 s1, exec_lo, s3
                                        ; implicit-def: $vgpr183_vgpr184
	s_cbranch_execz .LBB87_347
; %bb.346:
	v_div_scale_f64 v[181:182], null, v[179:180], v[179:180], v[177:178]
	v_div_scale_f64 v[187:188], vcc_lo, v[177:178], v[179:180], v[177:178]
	v_rcp_f64_e32 v[183:184], v[181:182]
	v_fma_f64 v[185:186], -v[181:182], v[183:184], 1.0
	v_fma_f64 v[183:184], v[183:184], v[185:186], v[183:184]
	v_fma_f64 v[185:186], -v[181:182], v[183:184], 1.0
	v_fma_f64 v[183:184], v[183:184], v[185:186], v[183:184]
	v_mul_f64 v[185:186], v[187:188], v[183:184]
	v_fma_f64 v[181:182], -v[181:182], v[185:186], v[187:188]
	v_div_fmas_f64 v[181:182], v[181:182], v[183:184], v[185:186]
	v_div_fixup_f64 v[181:182], v[181:182], v[179:180], v[177:178]
	v_fma_f64 v[177:178], v[177:178], v[181:182], v[179:180]
	v_div_scale_f64 v[179:180], null, v[177:178], v[177:178], 1.0
	v_rcp_f64_e32 v[183:184], v[179:180]
	v_fma_f64 v[185:186], -v[179:180], v[183:184], 1.0
	v_fma_f64 v[183:184], v[183:184], v[185:186], v[183:184]
	v_fma_f64 v[185:186], -v[179:180], v[183:184], 1.0
	v_fma_f64 v[183:184], v[183:184], v[185:186], v[183:184]
	v_div_scale_f64 v[185:186], vcc_lo, 1.0, v[177:178], 1.0
	v_mul_f64 v[187:188], v[185:186], v[183:184]
	v_fma_f64 v[179:180], -v[179:180], v[187:188], v[185:186]
	v_div_fmas_f64 v[179:180], v[179:180], v[183:184], v[187:188]
	v_div_fixup_f64 v[183:184], v[179:180], v[177:178], 1.0
                                        ; implicit-def: $vgpr177_vgpr178
	v_mul_f64 v[181:182], v[181:182], v[183:184]
	v_xor_b32_e32 v184, 0x80000000, v184
.LBB87_347:
	s_andn2_saveexec_b32 s1, s1
	s_cbranch_execz .LBB87_349
; %bb.348:
	v_div_scale_f64 v[181:182], null, v[177:178], v[177:178], v[179:180]
	v_div_scale_f64 v[187:188], vcc_lo, v[179:180], v[177:178], v[179:180]
	v_rcp_f64_e32 v[183:184], v[181:182]
	v_fma_f64 v[185:186], -v[181:182], v[183:184], 1.0
	v_fma_f64 v[183:184], v[183:184], v[185:186], v[183:184]
	v_fma_f64 v[185:186], -v[181:182], v[183:184], 1.0
	v_fma_f64 v[183:184], v[183:184], v[185:186], v[183:184]
	v_mul_f64 v[185:186], v[187:188], v[183:184]
	v_fma_f64 v[181:182], -v[181:182], v[185:186], v[187:188]
	v_div_fmas_f64 v[181:182], v[181:182], v[183:184], v[185:186]
	v_div_fixup_f64 v[183:184], v[181:182], v[177:178], v[179:180]
	v_fma_f64 v[177:178], v[179:180], v[183:184], v[177:178]
	v_div_scale_f64 v[179:180], null, v[177:178], v[177:178], 1.0
	v_rcp_f64_e32 v[181:182], v[179:180]
	v_fma_f64 v[185:186], -v[179:180], v[181:182], 1.0
	v_fma_f64 v[181:182], v[181:182], v[185:186], v[181:182]
	v_fma_f64 v[185:186], -v[179:180], v[181:182], 1.0
	v_fma_f64 v[181:182], v[181:182], v[185:186], v[181:182]
	v_div_scale_f64 v[185:186], vcc_lo, 1.0, v[177:178], 1.0
	v_mul_f64 v[187:188], v[185:186], v[181:182]
	v_fma_f64 v[179:180], -v[179:180], v[187:188], v[185:186]
	v_div_fmas_f64 v[179:180], v[179:180], v[181:182], v[187:188]
	v_div_fixup_f64 v[181:182], v[179:180], v[177:178], 1.0
	v_mul_f64 v[183:184], v[183:184], -v[181:182]
.LBB87_349:
	s_or_b32 exec_lo, exec_lo, s1
	ds_write2_b64 v255, v[181:182], v[183:184] offset1:1
.LBB87_350:
	s_or_b32 exec_lo, exec_lo, s2
	s_waitcnt lgkmcnt(0)
	s_barrier
	buffer_gl0_inv
	ds_read2_b64 v[89:92], v255 offset1:1
	s_mov_b32 s1, exec_lo
	v_cmpx_lt_u32_e32 38, v0
	s_cbranch_execz .LBB87_352
; %bb.351:
	s_waitcnt lgkmcnt(0)
	v_mul_f64 v[181:182], v[89:90], v[23:24]
	v_mul_f64 v[23:24], v[91:92], v[23:24]
	v_fma_f64 v[185:186], v[91:92], v[21:22], v[181:182]
	ds_read2_b64 v[181:184], v253 offset0:78 offset1:79
	v_fma_f64 v[21:22], v[89:90], v[21:22], -v[23:24]
	s_waitcnt lgkmcnt(0)
	v_mul_f64 v[23:24], v[183:184], v[185:186]
	v_fma_f64 v[23:24], v[181:182], v[21:22], -v[23:24]
	v_mul_f64 v[181:182], v[181:182], v[185:186]
	v_add_f64 v[17:18], v[17:18], -v[23:24]
	v_fma_f64 v[181:182], v[183:184], v[21:22], v[181:182]
	v_add_f64 v[19:20], v[19:20], -v[181:182]
	ds_read2_b64 v[181:184], v253 offset0:80 offset1:81
	s_waitcnt lgkmcnt(0)
	v_mul_f64 v[23:24], v[183:184], v[185:186]
	v_fma_f64 v[23:24], v[181:182], v[21:22], -v[23:24]
	v_mul_f64 v[181:182], v[181:182], v[185:186]
	v_add_f64 v[13:14], v[13:14], -v[23:24]
	v_fma_f64 v[181:182], v[183:184], v[21:22], v[181:182]
	v_add_f64 v[15:16], v[15:16], -v[181:182]
	ds_read2_b64 v[181:184], v253 offset0:82 offset1:83
	s_waitcnt lgkmcnt(0)
	v_mul_f64 v[23:24], v[183:184], v[185:186]
	v_fma_f64 v[23:24], v[181:182], v[21:22], -v[23:24]
	v_mul_f64 v[181:182], v[181:182], v[185:186]
	v_add_f64 v[9:10], v[9:10], -v[23:24]
	v_fma_f64 v[181:182], v[183:184], v[21:22], v[181:182]
	v_add_f64 v[11:12], v[11:12], -v[181:182]
	ds_read2_b64 v[181:184], v253 offset0:84 offset1:85
	s_waitcnt lgkmcnt(0)
	v_mul_f64 v[23:24], v[183:184], v[185:186]
	v_fma_f64 v[23:24], v[181:182], v[21:22], -v[23:24]
	v_mul_f64 v[181:182], v[181:182], v[185:186]
	v_add_f64 v[5:6], v[5:6], -v[23:24]
	v_fma_f64 v[181:182], v[183:184], v[21:22], v[181:182]
	v_add_f64 v[7:8], v[7:8], -v[181:182]
	ds_read2_b64 v[181:184], v253 offset0:86 offset1:87
	s_waitcnt lgkmcnt(0)
	v_mul_f64 v[23:24], v[183:184], v[185:186]
	v_fma_f64 v[23:24], v[181:182], v[21:22], -v[23:24]
	v_mul_f64 v[181:182], v[181:182], v[185:186]
	v_add_f64 v[1:2], v[1:2], -v[23:24]
	v_fma_f64 v[181:182], v[183:184], v[21:22], v[181:182]
	v_mov_b32_e32 v23, v185
	v_mov_b32_e32 v24, v186
	v_add_f64 v[3:4], v[3:4], -v[181:182]
.LBB87_352:
	s_or_b32 exec_lo, exec_lo, s1
	s_mov_b32 s2, exec_lo
	s_waitcnt lgkmcnt(0)
	s_barrier
	buffer_gl0_inv
	v_cmpx_eq_u32_e32 39, v0
	s_cbranch_execz .LBB87_359
; %bb.353:
	ds_write2_b64 v255, v[17:18], v[19:20] offset1:1
	ds_write2_b64 v253, v[13:14], v[15:16] offset0:80 offset1:81
	ds_write2_b64 v253, v[9:10], v[11:12] offset0:82 offset1:83
	;; [unrolled: 1-line block ×4, first 2 shown]
	ds_read2_b64 v[181:184], v255 offset1:1
	s_waitcnt lgkmcnt(0)
	v_cmp_neq_f64_e32 vcc_lo, 0, v[181:182]
	v_cmp_neq_f64_e64 s1, 0, v[183:184]
	s_or_b32 s1, vcc_lo, s1
	s_and_b32 exec_lo, exec_lo, s1
	s_cbranch_execz .LBB87_359
; %bb.354:
	v_cmp_ngt_f64_e64 s1, |v[181:182]|, |v[183:184]|
                                        ; implicit-def: $vgpr185_vgpr186
	s_and_saveexec_b32 s3, s1
	s_xor_b32 s1, exec_lo, s3
                                        ; implicit-def: $vgpr187_vgpr188
	s_cbranch_execz .LBB87_356
; %bb.355:
	v_div_scale_f64 v[185:186], null, v[183:184], v[183:184], v[181:182]
	v_div_scale_f64 v[191:192], vcc_lo, v[181:182], v[183:184], v[181:182]
	v_rcp_f64_e32 v[187:188], v[185:186]
	v_fma_f64 v[189:190], -v[185:186], v[187:188], 1.0
	v_fma_f64 v[187:188], v[187:188], v[189:190], v[187:188]
	v_fma_f64 v[189:190], -v[185:186], v[187:188], 1.0
	v_fma_f64 v[187:188], v[187:188], v[189:190], v[187:188]
	v_mul_f64 v[189:190], v[191:192], v[187:188]
	v_fma_f64 v[185:186], -v[185:186], v[189:190], v[191:192]
	v_div_fmas_f64 v[185:186], v[185:186], v[187:188], v[189:190]
	v_div_fixup_f64 v[185:186], v[185:186], v[183:184], v[181:182]
	v_fma_f64 v[181:182], v[181:182], v[185:186], v[183:184]
	v_div_scale_f64 v[183:184], null, v[181:182], v[181:182], 1.0
	v_rcp_f64_e32 v[187:188], v[183:184]
	v_fma_f64 v[189:190], -v[183:184], v[187:188], 1.0
	v_fma_f64 v[187:188], v[187:188], v[189:190], v[187:188]
	v_fma_f64 v[189:190], -v[183:184], v[187:188], 1.0
	v_fma_f64 v[187:188], v[187:188], v[189:190], v[187:188]
	v_div_scale_f64 v[189:190], vcc_lo, 1.0, v[181:182], 1.0
	v_mul_f64 v[191:192], v[189:190], v[187:188]
	v_fma_f64 v[183:184], -v[183:184], v[191:192], v[189:190]
	v_div_fmas_f64 v[183:184], v[183:184], v[187:188], v[191:192]
	v_div_fixup_f64 v[187:188], v[183:184], v[181:182], 1.0
                                        ; implicit-def: $vgpr181_vgpr182
	v_mul_f64 v[185:186], v[185:186], v[187:188]
	v_xor_b32_e32 v188, 0x80000000, v188
.LBB87_356:
	s_andn2_saveexec_b32 s1, s1
	s_cbranch_execz .LBB87_358
; %bb.357:
	v_div_scale_f64 v[185:186], null, v[181:182], v[181:182], v[183:184]
	v_div_scale_f64 v[191:192], vcc_lo, v[183:184], v[181:182], v[183:184]
	v_rcp_f64_e32 v[187:188], v[185:186]
	v_fma_f64 v[189:190], -v[185:186], v[187:188], 1.0
	v_fma_f64 v[187:188], v[187:188], v[189:190], v[187:188]
	v_fma_f64 v[189:190], -v[185:186], v[187:188], 1.0
	v_fma_f64 v[187:188], v[187:188], v[189:190], v[187:188]
	v_mul_f64 v[189:190], v[191:192], v[187:188]
	v_fma_f64 v[185:186], -v[185:186], v[189:190], v[191:192]
	v_div_fmas_f64 v[185:186], v[185:186], v[187:188], v[189:190]
	v_div_fixup_f64 v[187:188], v[185:186], v[181:182], v[183:184]
	v_fma_f64 v[181:182], v[183:184], v[187:188], v[181:182]
	v_div_scale_f64 v[183:184], null, v[181:182], v[181:182], 1.0
	v_rcp_f64_e32 v[185:186], v[183:184]
	v_fma_f64 v[189:190], -v[183:184], v[185:186], 1.0
	v_fma_f64 v[185:186], v[185:186], v[189:190], v[185:186]
	v_fma_f64 v[189:190], -v[183:184], v[185:186], 1.0
	v_fma_f64 v[185:186], v[185:186], v[189:190], v[185:186]
	v_div_scale_f64 v[189:190], vcc_lo, 1.0, v[181:182], 1.0
	v_mul_f64 v[191:192], v[189:190], v[185:186]
	v_fma_f64 v[183:184], -v[183:184], v[191:192], v[189:190]
	v_div_fmas_f64 v[183:184], v[183:184], v[185:186], v[191:192]
	v_div_fixup_f64 v[185:186], v[183:184], v[181:182], 1.0
	v_mul_f64 v[187:188], v[187:188], -v[185:186]
.LBB87_358:
	s_or_b32 exec_lo, exec_lo, s1
	ds_write2_b64 v255, v[185:186], v[187:188] offset1:1
.LBB87_359:
	s_or_b32 exec_lo, exec_lo, s2
	s_waitcnt lgkmcnt(0)
	s_barrier
	buffer_gl0_inv
	ds_read2_b64 v[93:96], v255 offset1:1
	s_mov_b32 s1, exec_lo
	v_cmpx_lt_u32_e32 39, v0
	s_cbranch_execz .LBB87_361
; %bb.360:
	s_waitcnt lgkmcnt(0)
	v_mul_f64 v[185:186], v[93:94], v[19:20]
	v_mul_f64 v[19:20], v[95:96], v[19:20]
	v_fma_f64 v[189:190], v[95:96], v[17:18], v[185:186]
	ds_read2_b64 v[185:188], v253 offset0:80 offset1:81
	v_fma_f64 v[17:18], v[93:94], v[17:18], -v[19:20]
	s_waitcnt lgkmcnt(0)
	v_mul_f64 v[19:20], v[187:188], v[189:190]
	v_fma_f64 v[19:20], v[185:186], v[17:18], -v[19:20]
	v_mul_f64 v[185:186], v[185:186], v[189:190]
	v_add_f64 v[13:14], v[13:14], -v[19:20]
	v_fma_f64 v[185:186], v[187:188], v[17:18], v[185:186]
	v_add_f64 v[15:16], v[15:16], -v[185:186]
	ds_read2_b64 v[185:188], v253 offset0:82 offset1:83
	s_waitcnt lgkmcnt(0)
	v_mul_f64 v[19:20], v[187:188], v[189:190]
	v_fma_f64 v[19:20], v[185:186], v[17:18], -v[19:20]
	v_mul_f64 v[185:186], v[185:186], v[189:190]
	v_add_f64 v[9:10], v[9:10], -v[19:20]
	v_fma_f64 v[185:186], v[187:188], v[17:18], v[185:186]
	v_add_f64 v[11:12], v[11:12], -v[185:186]
	ds_read2_b64 v[185:188], v253 offset0:84 offset1:85
	;; [unrolled: 8-line block ×3, first 2 shown]
	s_waitcnt lgkmcnt(0)
	v_mul_f64 v[19:20], v[187:188], v[189:190]
	v_fma_f64 v[19:20], v[185:186], v[17:18], -v[19:20]
	v_mul_f64 v[185:186], v[185:186], v[189:190]
	v_add_f64 v[1:2], v[1:2], -v[19:20]
	v_fma_f64 v[185:186], v[187:188], v[17:18], v[185:186]
	v_mov_b32_e32 v19, v189
	v_mov_b32_e32 v20, v190
	v_add_f64 v[3:4], v[3:4], -v[185:186]
.LBB87_361:
	s_or_b32 exec_lo, exec_lo, s1
	s_mov_b32 s2, exec_lo
	s_waitcnt lgkmcnt(0)
	s_barrier
	buffer_gl0_inv
	v_cmpx_eq_u32_e32 40, v0
	s_cbranch_execz .LBB87_368
; %bb.362:
	ds_write2_b64 v255, v[13:14], v[15:16] offset1:1
	ds_write2_b64 v253, v[9:10], v[11:12] offset0:82 offset1:83
	ds_write2_b64 v253, v[5:6], v[7:8] offset0:84 offset1:85
	;; [unrolled: 1-line block ×3, first 2 shown]
	ds_read2_b64 v[185:188], v255 offset1:1
	s_waitcnt lgkmcnt(0)
	v_cmp_neq_f64_e32 vcc_lo, 0, v[185:186]
	v_cmp_neq_f64_e64 s1, 0, v[187:188]
	s_or_b32 s1, vcc_lo, s1
	s_and_b32 exec_lo, exec_lo, s1
	s_cbranch_execz .LBB87_368
; %bb.363:
	v_cmp_ngt_f64_e64 s1, |v[185:186]|, |v[187:188]|
                                        ; implicit-def: $vgpr189_vgpr190
	s_and_saveexec_b32 s3, s1
	s_xor_b32 s1, exec_lo, s3
                                        ; implicit-def: $vgpr191_vgpr192
	s_cbranch_execz .LBB87_365
; %bb.364:
	v_div_scale_f64 v[189:190], null, v[187:188], v[187:188], v[185:186]
	v_div_scale_f64 v[195:196], vcc_lo, v[185:186], v[187:188], v[185:186]
	v_rcp_f64_e32 v[191:192], v[189:190]
	v_fma_f64 v[193:194], -v[189:190], v[191:192], 1.0
	v_fma_f64 v[191:192], v[191:192], v[193:194], v[191:192]
	v_fma_f64 v[193:194], -v[189:190], v[191:192], 1.0
	v_fma_f64 v[191:192], v[191:192], v[193:194], v[191:192]
	v_mul_f64 v[193:194], v[195:196], v[191:192]
	v_fma_f64 v[189:190], -v[189:190], v[193:194], v[195:196]
	v_div_fmas_f64 v[189:190], v[189:190], v[191:192], v[193:194]
	v_div_fixup_f64 v[189:190], v[189:190], v[187:188], v[185:186]
	v_fma_f64 v[185:186], v[185:186], v[189:190], v[187:188]
	v_div_scale_f64 v[187:188], null, v[185:186], v[185:186], 1.0
	v_rcp_f64_e32 v[191:192], v[187:188]
	v_fma_f64 v[193:194], -v[187:188], v[191:192], 1.0
	v_fma_f64 v[191:192], v[191:192], v[193:194], v[191:192]
	v_fma_f64 v[193:194], -v[187:188], v[191:192], 1.0
	v_fma_f64 v[191:192], v[191:192], v[193:194], v[191:192]
	v_div_scale_f64 v[193:194], vcc_lo, 1.0, v[185:186], 1.0
	v_mul_f64 v[195:196], v[193:194], v[191:192]
	v_fma_f64 v[187:188], -v[187:188], v[195:196], v[193:194]
	v_div_fmas_f64 v[187:188], v[187:188], v[191:192], v[195:196]
	v_div_fixup_f64 v[191:192], v[187:188], v[185:186], 1.0
                                        ; implicit-def: $vgpr185_vgpr186
	v_mul_f64 v[189:190], v[189:190], v[191:192]
	v_xor_b32_e32 v192, 0x80000000, v192
.LBB87_365:
	s_andn2_saveexec_b32 s1, s1
	s_cbranch_execz .LBB87_367
; %bb.366:
	v_div_scale_f64 v[189:190], null, v[185:186], v[185:186], v[187:188]
	v_div_scale_f64 v[195:196], vcc_lo, v[187:188], v[185:186], v[187:188]
	v_rcp_f64_e32 v[191:192], v[189:190]
	v_fma_f64 v[193:194], -v[189:190], v[191:192], 1.0
	v_fma_f64 v[191:192], v[191:192], v[193:194], v[191:192]
	v_fma_f64 v[193:194], -v[189:190], v[191:192], 1.0
	v_fma_f64 v[191:192], v[191:192], v[193:194], v[191:192]
	v_mul_f64 v[193:194], v[195:196], v[191:192]
	v_fma_f64 v[189:190], -v[189:190], v[193:194], v[195:196]
	v_div_fmas_f64 v[189:190], v[189:190], v[191:192], v[193:194]
	v_div_fixup_f64 v[191:192], v[189:190], v[185:186], v[187:188]
	v_fma_f64 v[185:186], v[187:188], v[191:192], v[185:186]
	v_div_scale_f64 v[187:188], null, v[185:186], v[185:186], 1.0
	v_rcp_f64_e32 v[189:190], v[187:188]
	v_fma_f64 v[193:194], -v[187:188], v[189:190], 1.0
	v_fma_f64 v[189:190], v[189:190], v[193:194], v[189:190]
	v_fma_f64 v[193:194], -v[187:188], v[189:190], 1.0
	v_fma_f64 v[189:190], v[189:190], v[193:194], v[189:190]
	v_div_scale_f64 v[193:194], vcc_lo, 1.0, v[185:186], 1.0
	v_mul_f64 v[195:196], v[193:194], v[189:190]
	v_fma_f64 v[187:188], -v[187:188], v[195:196], v[193:194]
	v_div_fmas_f64 v[187:188], v[187:188], v[189:190], v[195:196]
	v_div_fixup_f64 v[189:190], v[187:188], v[185:186], 1.0
	v_mul_f64 v[191:192], v[191:192], -v[189:190]
.LBB87_367:
	s_or_b32 exec_lo, exec_lo, s1
	ds_write2_b64 v255, v[189:190], v[191:192] offset1:1
.LBB87_368:
	s_or_b32 exec_lo, exec_lo, s2
	s_waitcnt lgkmcnt(0)
	s_barrier
	buffer_gl0_inv
	ds_read2_b64 v[185:188], v255 offset1:1
	s_mov_b32 s1, exec_lo
	v_cmpx_lt_u32_e32 40, v0
	s_cbranch_execz .LBB87_370
; %bb.369:
	s_waitcnt lgkmcnt(0)
	v_mul_f64 v[189:190], v[185:186], v[15:16]
	v_mul_f64 v[15:16], v[187:188], v[15:16]
	v_fma_f64 v[193:194], v[187:188], v[13:14], v[189:190]
	ds_read2_b64 v[189:192], v253 offset0:82 offset1:83
	v_fma_f64 v[13:14], v[185:186], v[13:14], -v[15:16]
	s_waitcnt lgkmcnt(0)
	v_mul_f64 v[15:16], v[191:192], v[193:194]
	v_fma_f64 v[15:16], v[189:190], v[13:14], -v[15:16]
	v_mul_f64 v[189:190], v[189:190], v[193:194]
	v_add_f64 v[9:10], v[9:10], -v[15:16]
	v_fma_f64 v[189:190], v[191:192], v[13:14], v[189:190]
	v_add_f64 v[11:12], v[11:12], -v[189:190]
	ds_read2_b64 v[189:192], v253 offset0:84 offset1:85
	s_waitcnt lgkmcnt(0)
	v_mul_f64 v[15:16], v[191:192], v[193:194]
	v_fma_f64 v[15:16], v[189:190], v[13:14], -v[15:16]
	v_mul_f64 v[189:190], v[189:190], v[193:194]
	v_add_f64 v[5:6], v[5:6], -v[15:16]
	v_fma_f64 v[189:190], v[191:192], v[13:14], v[189:190]
	v_add_f64 v[7:8], v[7:8], -v[189:190]
	ds_read2_b64 v[189:192], v253 offset0:86 offset1:87
	s_waitcnt lgkmcnt(0)
	v_mul_f64 v[15:16], v[191:192], v[193:194]
	v_fma_f64 v[15:16], v[189:190], v[13:14], -v[15:16]
	v_mul_f64 v[189:190], v[189:190], v[193:194]
	v_add_f64 v[1:2], v[1:2], -v[15:16]
	v_fma_f64 v[189:190], v[191:192], v[13:14], v[189:190]
	v_mov_b32_e32 v15, v193
	v_mov_b32_e32 v16, v194
	v_add_f64 v[3:4], v[3:4], -v[189:190]
.LBB87_370:
	s_or_b32 exec_lo, exec_lo, s1
	s_mov_b32 s2, exec_lo
	s_waitcnt lgkmcnt(0)
	s_barrier
	buffer_gl0_inv
	v_cmpx_eq_u32_e32 41, v0
	s_cbranch_execz .LBB87_377
; %bb.371:
	ds_write2_b64 v255, v[9:10], v[11:12] offset1:1
	ds_write2_b64 v253, v[5:6], v[7:8] offset0:84 offset1:85
	ds_write2_b64 v253, v[1:2], v[3:4] offset0:86 offset1:87
	ds_read2_b64 v[189:192], v255 offset1:1
	s_waitcnt lgkmcnt(0)
	v_cmp_neq_f64_e32 vcc_lo, 0, v[189:190]
	v_cmp_neq_f64_e64 s1, 0, v[191:192]
	s_or_b32 s1, vcc_lo, s1
	s_and_b32 exec_lo, exec_lo, s1
	s_cbranch_execz .LBB87_377
; %bb.372:
	v_cmp_ngt_f64_e64 s1, |v[189:190]|, |v[191:192]|
                                        ; implicit-def: $vgpr193_vgpr194
	s_and_saveexec_b32 s3, s1
	s_xor_b32 s1, exec_lo, s3
                                        ; implicit-def: $vgpr195_vgpr196
	s_cbranch_execz .LBB87_374
; %bb.373:
	v_div_scale_f64 v[193:194], null, v[191:192], v[191:192], v[189:190]
	v_div_scale_f64 v[199:200], vcc_lo, v[189:190], v[191:192], v[189:190]
	v_rcp_f64_e32 v[195:196], v[193:194]
	v_fma_f64 v[197:198], -v[193:194], v[195:196], 1.0
	v_fma_f64 v[195:196], v[195:196], v[197:198], v[195:196]
	v_fma_f64 v[197:198], -v[193:194], v[195:196], 1.0
	v_fma_f64 v[195:196], v[195:196], v[197:198], v[195:196]
	v_mul_f64 v[197:198], v[199:200], v[195:196]
	v_fma_f64 v[193:194], -v[193:194], v[197:198], v[199:200]
	v_div_fmas_f64 v[193:194], v[193:194], v[195:196], v[197:198]
	v_div_fixup_f64 v[193:194], v[193:194], v[191:192], v[189:190]
	v_fma_f64 v[189:190], v[189:190], v[193:194], v[191:192]
	v_div_scale_f64 v[191:192], null, v[189:190], v[189:190], 1.0
	v_rcp_f64_e32 v[195:196], v[191:192]
	v_fma_f64 v[197:198], -v[191:192], v[195:196], 1.0
	v_fma_f64 v[195:196], v[195:196], v[197:198], v[195:196]
	v_fma_f64 v[197:198], -v[191:192], v[195:196], 1.0
	v_fma_f64 v[195:196], v[195:196], v[197:198], v[195:196]
	v_div_scale_f64 v[197:198], vcc_lo, 1.0, v[189:190], 1.0
	v_mul_f64 v[199:200], v[197:198], v[195:196]
	v_fma_f64 v[191:192], -v[191:192], v[199:200], v[197:198]
	v_div_fmas_f64 v[191:192], v[191:192], v[195:196], v[199:200]
	v_div_fixup_f64 v[195:196], v[191:192], v[189:190], 1.0
                                        ; implicit-def: $vgpr189_vgpr190
	v_mul_f64 v[193:194], v[193:194], v[195:196]
	v_xor_b32_e32 v196, 0x80000000, v196
.LBB87_374:
	s_andn2_saveexec_b32 s1, s1
	s_cbranch_execz .LBB87_376
; %bb.375:
	v_div_scale_f64 v[193:194], null, v[189:190], v[189:190], v[191:192]
	v_div_scale_f64 v[199:200], vcc_lo, v[191:192], v[189:190], v[191:192]
	v_rcp_f64_e32 v[195:196], v[193:194]
	v_fma_f64 v[197:198], -v[193:194], v[195:196], 1.0
	v_fma_f64 v[195:196], v[195:196], v[197:198], v[195:196]
	v_fma_f64 v[197:198], -v[193:194], v[195:196], 1.0
	v_fma_f64 v[195:196], v[195:196], v[197:198], v[195:196]
	v_mul_f64 v[197:198], v[199:200], v[195:196]
	v_fma_f64 v[193:194], -v[193:194], v[197:198], v[199:200]
	v_div_fmas_f64 v[193:194], v[193:194], v[195:196], v[197:198]
	v_div_fixup_f64 v[195:196], v[193:194], v[189:190], v[191:192]
	v_fma_f64 v[189:190], v[191:192], v[195:196], v[189:190]
	v_div_scale_f64 v[191:192], null, v[189:190], v[189:190], 1.0
	v_rcp_f64_e32 v[193:194], v[191:192]
	v_fma_f64 v[197:198], -v[191:192], v[193:194], 1.0
	v_fma_f64 v[193:194], v[193:194], v[197:198], v[193:194]
	v_fma_f64 v[197:198], -v[191:192], v[193:194], 1.0
	v_fma_f64 v[193:194], v[193:194], v[197:198], v[193:194]
	v_div_scale_f64 v[197:198], vcc_lo, 1.0, v[189:190], 1.0
	v_mul_f64 v[199:200], v[197:198], v[193:194]
	v_fma_f64 v[191:192], -v[191:192], v[199:200], v[197:198]
	v_div_fmas_f64 v[191:192], v[191:192], v[193:194], v[199:200]
	v_div_fixup_f64 v[193:194], v[191:192], v[189:190], 1.0
	v_mul_f64 v[195:196], v[195:196], -v[193:194]
.LBB87_376:
	s_or_b32 exec_lo, exec_lo, s1
	ds_write2_b64 v255, v[193:194], v[195:196] offset1:1
.LBB87_377:
	s_or_b32 exec_lo, exec_lo, s2
	s_waitcnt lgkmcnt(0)
	s_barrier
	buffer_gl0_inv
	ds_read2_b64 v[189:192], v255 offset1:1
	s_mov_b32 s1, exec_lo
	v_cmpx_lt_u32_e32 41, v0
	s_cbranch_execz .LBB87_379
; %bb.378:
	s_waitcnt lgkmcnt(0)
	v_mul_f64 v[193:194], v[189:190], v[11:12]
	v_mul_f64 v[11:12], v[191:192], v[11:12]
	v_fma_f64 v[197:198], v[191:192], v[9:10], v[193:194]
	ds_read2_b64 v[193:196], v253 offset0:84 offset1:85
	v_fma_f64 v[9:10], v[189:190], v[9:10], -v[11:12]
	s_waitcnt lgkmcnt(0)
	v_mul_f64 v[11:12], v[195:196], v[197:198]
	v_fma_f64 v[11:12], v[193:194], v[9:10], -v[11:12]
	v_mul_f64 v[193:194], v[193:194], v[197:198]
	v_add_f64 v[5:6], v[5:6], -v[11:12]
	v_fma_f64 v[193:194], v[195:196], v[9:10], v[193:194]
	v_add_f64 v[7:8], v[7:8], -v[193:194]
	ds_read2_b64 v[193:196], v253 offset0:86 offset1:87
	s_waitcnt lgkmcnt(0)
	v_mul_f64 v[11:12], v[195:196], v[197:198]
	v_fma_f64 v[11:12], v[193:194], v[9:10], -v[11:12]
	v_mul_f64 v[193:194], v[193:194], v[197:198]
	v_add_f64 v[1:2], v[1:2], -v[11:12]
	v_fma_f64 v[193:194], v[195:196], v[9:10], v[193:194]
	v_mov_b32_e32 v11, v197
	v_mov_b32_e32 v12, v198
	v_add_f64 v[3:4], v[3:4], -v[193:194]
.LBB87_379:
	s_or_b32 exec_lo, exec_lo, s1
	s_mov_b32 s2, exec_lo
	s_waitcnt lgkmcnt(0)
	s_barrier
	buffer_gl0_inv
	v_cmpx_eq_u32_e32 42, v0
	s_cbranch_execz .LBB87_386
; %bb.380:
	ds_write2_b64 v255, v[5:6], v[7:8] offset1:1
	ds_write2_b64 v253, v[1:2], v[3:4] offset0:86 offset1:87
	ds_read2_b64 v[193:196], v255 offset1:1
	s_waitcnt lgkmcnt(0)
	v_cmp_neq_f64_e32 vcc_lo, 0, v[193:194]
	v_cmp_neq_f64_e64 s1, 0, v[195:196]
	s_or_b32 s1, vcc_lo, s1
	s_and_b32 exec_lo, exec_lo, s1
	s_cbranch_execz .LBB87_386
; %bb.381:
	v_cmp_ngt_f64_e64 s1, |v[193:194]|, |v[195:196]|
                                        ; implicit-def: $vgpr197_vgpr198
	s_and_saveexec_b32 s3, s1
	s_xor_b32 s1, exec_lo, s3
                                        ; implicit-def: $vgpr199_vgpr200
	s_cbranch_execz .LBB87_383
; %bb.382:
	v_div_scale_f64 v[197:198], null, v[195:196], v[195:196], v[193:194]
	v_div_scale_f64 v[203:204], vcc_lo, v[193:194], v[195:196], v[193:194]
	v_rcp_f64_e32 v[199:200], v[197:198]
	v_fma_f64 v[201:202], -v[197:198], v[199:200], 1.0
	v_fma_f64 v[199:200], v[199:200], v[201:202], v[199:200]
	v_fma_f64 v[201:202], -v[197:198], v[199:200], 1.0
	v_fma_f64 v[199:200], v[199:200], v[201:202], v[199:200]
	v_mul_f64 v[201:202], v[203:204], v[199:200]
	v_fma_f64 v[197:198], -v[197:198], v[201:202], v[203:204]
	v_div_fmas_f64 v[197:198], v[197:198], v[199:200], v[201:202]
	v_div_fixup_f64 v[197:198], v[197:198], v[195:196], v[193:194]
	v_fma_f64 v[193:194], v[193:194], v[197:198], v[195:196]
	v_div_scale_f64 v[195:196], null, v[193:194], v[193:194], 1.0
	v_rcp_f64_e32 v[199:200], v[195:196]
	v_fma_f64 v[201:202], -v[195:196], v[199:200], 1.0
	v_fma_f64 v[199:200], v[199:200], v[201:202], v[199:200]
	v_fma_f64 v[201:202], -v[195:196], v[199:200], 1.0
	v_fma_f64 v[199:200], v[199:200], v[201:202], v[199:200]
	v_div_scale_f64 v[201:202], vcc_lo, 1.0, v[193:194], 1.0
	v_mul_f64 v[203:204], v[201:202], v[199:200]
	v_fma_f64 v[195:196], -v[195:196], v[203:204], v[201:202]
	v_div_fmas_f64 v[195:196], v[195:196], v[199:200], v[203:204]
	v_div_fixup_f64 v[199:200], v[195:196], v[193:194], 1.0
                                        ; implicit-def: $vgpr193_vgpr194
	v_mul_f64 v[197:198], v[197:198], v[199:200]
	v_xor_b32_e32 v200, 0x80000000, v200
.LBB87_383:
	s_andn2_saveexec_b32 s1, s1
	s_cbranch_execz .LBB87_385
; %bb.384:
	v_div_scale_f64 v[197:198], null, v[193:194], v[193:194], v[195:196]
	v_div_scale_f64 v[203:204], vcc_lo, v[195:196], v[193:194], v[195:196]
	v_rcp_f64_e32 v[199:200], v[197:198]
	v_fma_f64 v[201:202], -v[197:198], v[199:200], 1.0
	v_fma_f64 v[199:200], v[199:200], v[201:202], v[199:200]
	v_fma_f64 v[201:202], -v[197:198], v[199:200], 1.0
	v_fma_f64 v[199:200], v[199:200], v[201:202], v[199:200]
	v_mul_f64 v[201:202], v[203:204], v[199:200]
	v_fma_f64 v[197:198], -v[197:198], v[201:202], v[203:204]
	v_div_fmas_f64 v[197:198], v[197:198], v[199:200], v[201:202]
	v_div_fixup_f64 v[199:200], v[197:198], v[193:194], v[195:196]
	v_fma_f64 v[193:194], v[195:196], v[199:200], v[193:194]
	v_div_scale_f64 v[195:196], null, v[193:194], v[193:194], 1.0
	v_rcp_f64_e32 v[197:198], v[195:196]
	v_fma_f64 v[201:202], -v[195:196], v[197:198], 1.0
	v_fma_f64 v[197:198], v[197:198], v[201:202], v[197:198]
	v_fma_f64 v[201:202], -v[195:196], v[197:198], 1.0
	v_fma_f64 v[197:198], v[197:198], v[201:202], v[197:198]
	v_div_scale_f64 v[201:202], vcc_lo, 1.0, v[193:194], 1.0
	v_mul_f64 v[203:204], v[201:202], v[197:198]
	v_fma_f64 v[195:196], -v[195:196], v[203:204], v[201:202]
	v_div_fmas_f64 v[195:196], v[195:196], v[197:198], v[203:204]
	v_div_fixup_f64 v[197:198], v[195:196], v[193:194], 1.0
	v_mul_f64 v[199:200], v[199:200], -v[197:198]
.LBB87_385:
	s_or_b32 exec_lo, exec_lo, s1
	ds_write2_b64 v255, v[197:198], v[199:200] offset1:1
.LBB87_386:
	s_or_b32 exec_lo, exec_lo, s2
	s_waitcnt lgkmcnt(0)
	s_barrier
	buffer_gl0_inv
	ds_read2_b64 v[193:196], v255 offset1:1
	s_mov_b32 s1, exec_lo
	v_cmpx_lt_u32_e32 42, v0
	s_cbranch_execz .LBB87_388
; %bb.387:
	s_waitcnt lgkmcnt(0)
	v_mul_f64 v[197:198], v[193:194], v[7:8]
	v_mul_f64 v[7:8], v[195:196], v[7:8]
	v_fma_f64 v[201:202], v[195:196], v[5:6], v[197:198]
	ds_read2_b64 v[197:200], v253 offset0:86 offset1:87
	v_fma_f64 v[5:6], v[193:194], v[5:6], -v[7:8]
	s_waitcnt lgkmcnt(0)
	v_mul_f64 v[7:8], v[199:200], v[201:202]
	v_fma_f64 v[7:8], v[197:198], v[5:6], -v[7:8]
	v_mul_f64 v[197:198], v[197:198], v[201:202]
	v_add_f64 v[1:2], v[1:2], -v[7:8]
	v_fma_f64 v[197:198], v[199:200], v[5:6], v[197:198]
	v_mov_b32_e32 v7, v201
	v_mov_b32_e32 v8, v202
	v_add_f64 v[3:4], v[3:4], -v[197:198]
.LBB87_388:
	s_or_b32 exec_lo, exec_lo, s1
	s_mov_b32 s2, exec_lo
	s_waitcnt lgkmcnt(0)
	s_barrier
	buffer_gl0_inv
	v_cmpx_eq_u32_e32 43, v0
	s_cbranch_execz .LBB87_395
; %bb.389:
	v_cmp_neq_f64_e32 vcc_lo, 0, v[1:2]
	v_cmp_neq_f64_e64 s1, 0, v[3:4]
	ds_write2_b64 v255, v[1:2], v[3:4] offset1:1
	s_or_b32 s1, vcc_lo, s1
	s_and_b32 exec_lo, exec_lo, s1
	s_cbranch_execz .LBB87_395
; %bb.390:
	v_cmp_ngt_f64_e64 s1, |v[1:2]|, |v[3:4]|
                                        ; implicit-def: $vgpr197_vgpr198
	s_and_saveexec_b32 s3, s1
	s_xor_b32 s1, exec_lo, s3
                                        ; implicit-def: $vgpr199_vgpr200
	s_cbranch_execz .LBB87_392
; %bb.391:
	v_div_scale_f64 v[197:198], null, v[3:4], v[3:4], v[1:2]
	v_div_scale_f64 v[203:204], vcc_lo, v[1:2], v[3:4], v[1:2]
	v_mov_b32_e32 v177, v205
	v_mov_b32_e32 v178, v206
	v_mov_b32_e32 v179, v207
	v_mov_b32_e32 v180, v208
	v_mov_b32_e32 v184, v12
	v_mov_b32_e32 v183, v11
	v_mov_b32_e32 v182, v10
	v_mov_b32_e32 v181, v9
	v_mov_b32_e32 v9, v13
	v_mov_b32_e32 v10, v14
	v_mov_b32_e32 v11, v15
	v_mov_b32_e32 v12, v16
	v_mov_b32_e32 v13, v17
	v_mov_b32_e32 v14, v18
	v_mov_b32_e32 v15, v19
	v_mov_b32_e32 v16, v20
	v_mov_b32_e32 v17, v21
	v_mov_b32_e32 v18, v22
	v_rcp_f64_e32 v[199:200], v[197:198]
	v_mov_b32_e32 v19, v23
	v_mov_b32_e32 v20, v24
	;; [unrolled: 1-line block ×23, first 2 shown]
	v_fma_f64 v[201:202], -v[197:198], v[199:200], 1.0
	v_mov_b32_e32 v38, v238
	v_mov_b32_e32 v39, v239
	;; [unrolled: 1-line block ×21, first 2 shown]
	v_fma_f64 v[199:200], v[199:200], v[201:202], v[199:200]
	v_mov_b32_e32 v147, v231
	v_mov_b32_e32 v148, v232
	v_mov_b32_e32 v232, v176
	v_mov_b32_e32 v231, v175
	v_mov_b32_e32 v230, v174
	v_mov_b32_e32 v229, v173
	v_mov_b32_e32 v174, v172
	v_mov_b32_e32 v173, v171
	v_mov_b32_e32 v172, v170
	v_mov_b32_e32 v171, v169
	v_mov_b32_e32 v88, v84
	v_mov_b32_e32 v87, v83
	v_mov_b32_e32 v86, v82
	v_mov_b32_e32 v85, v81
	v_mov_b32_e32 v84, v80
	v_mov_b32_e32 v83, v79
	v_mov_b32_e32 v82, v78
	v_mov_b32_e32 v81, v77
	v_mov_b32_e32 v80, v76
	v_mov_b32_e32 v53, v57
	v_mov_b32_e32 v169, v171
	v_fma_f64 v[201:202], -v[197:198], v[199:200], 1.0
	v_mov_b32_e32 v79, v75
	v_mov_b32_e32 v78, v74
	v_mov_b32_e32 v77, v73
	v_mov_b32_e32 v76, v72
	v_mov_b32_e32 v54, v58
	v_mov_b32_e32 v55, v59
	v_mov_b32_e32 v56, v60
	v_mov_b32_e32 v57, v137
	v_mov_b32_e32 v170, v172
	v_mov_b32_e32 v171, v173
	v_mov_b32_e32 v172, v174
	v_mov_b32_e32 v173, v229
	v_mov_b32_e32 v75, v71
	v_mov_b32_e32 v74, v70
	v_mov_b32_e32 v73, v69
	v_mov_b32_e32 v72, v68
	v_mov_b32_e32 v58, v138
	v_mov_b32_e32 v59, v139
	v_mov_b32_e32 v60, v140
	v_mov_b32_e32 v137, v141
	v_mov_b32_e32 v174, v230
	v_fma_f64 v[199:200], v[199:200], v[201:202], v[199:200]
	v_mov_b32_e32 v175, v231
	v_mov_b32_e32 v176, v232
	;; [unrolled: 1-line block ×21, first 2 shown]
	v_mul_f64 v[201:202], v[203:204], v[199:200]
	v_mov_b32_e32 v144, v228
	v_mov_b32_e32 v228, v212
	;; [unrolled: 1-line block ×21, first 2 shown]
	v_fma_f64 v[197:198], -v[197:198], v[201:202], v[203:204]
	v_mov_b32_e32 v41, v237
	v_mov_b32_e32 v211, v151
	;; [unrolled: 1-line block ×21, first 2 shown]
	v_div_fmas_f64 v[197:198], v[197:198], v[199:200], v[201:202]
	v_mov_b32_e32 v35, v31
	v_mov_b32_e32 v34, v30
	;; [unrolled: 1-line block ×21, first 2 shown]
	v_div_fixup_f64 v[197:198], v[197:198], v[3:4], v[1:2]
	v_mov_b32_e32 v211, v227
	v_mov_b32_e32 v212, v228
	v_mov_b32_e32 v228, v144
	v_mov_b32_e32 v27, v23
	v_mov_b32_e32 v26, v22
	v_mov_b32_e32 v25, v21
	v_mov_b32_e32 v24, v20
	v_mov_b32_e32 v66, v70
	v_mov_b32_e32 v67, v71
	v_mov_b32_e32 v68, v72
	v_mov_b32_e32 v69, v73
	v_mov_b32_e32 v227, v143
	v_mov_b32_e32 v226, v142
	v_mov_b32_e32 v225, v141
	v_mov_b32_e32 v23, v19
	v_mov_b32_e32 v22, v18
	v_mov_b32_e32 v21, v17
	v_mov_b32_e32 v20, v16
	v_mov_b32_e32 v144, v140
	v_mov_b32_e32 v70, v74
	v_mov_b32_e32 v71, v75
	v_fma_f64 v[199:200], v[1:2], v[197:198], v[3:4]
	v_mov_b32_e32 v72, v76
	v_mov_b32_e32 v73, v77
	;; [unrolled: 1-line block ×21, first 2 shown]
	v_div_scale_f64 v[201:202], null, v[199:200], v[199:200], 1.0
	v_mov_b32_e32 v60, v56
	v_mov_b32_e32 v78, v82
	;; [unrolled: 1-line block ×14, first 2 shown]
	v_rcp_f64_e32 v[203:204], v[201:202]
	v_fma_f64 v[253:254], -v[201:202], v[203:204], 1.0
	v_fma_f64 v[203:204], v[203:204], v[253:254], v[203:204]
	v_fma_f64 v[253:254], -v[201:202], v[203:204], 1.0
	v_fma_f64 v[203:204], v[203:204], v[253:254], v[203:204]
	v_div_scale_f64 v[253:254], vcc_lo, 1.0, v[199:200], 1.0
	v_mul_f64 v[205:206], v[253:254], v[203:204]
	v_fma_f64 v[201:202], -v[201:202], v[205:206], v[253:254]
	v_div_fmas_f64 v[201:202], v[201:202], v[203:204], v[205:206]
	v_mov_b32_e32 v208, v180
	v_mov_b32_e32 v207, v179
	;; [unrolled: 1-line block ×4, first 2 shown]
	v_div_fixup_f64 v[199:200], v[201:202], v[199:200], 1.0
	v_mul_f64 v[197:198], v[197:198], v[199:200]
	v_xor_b32_e32 v200, 0x80000000, v200
.LBB87_392:
	s_andn2_saveexec_b32 s1, s1
	s_cbranch_execz .LBB87_394
; %bb.393:
	v_div_scale_f64 v[197:198], null, v[1:2], v[1:2], v[3:4]
	v_div_scale_f64 v[203:204], vcc_lo, v[3:4], v[1:2], v[3:4]
	v_mov_b32_e32 v177, v205
	v_mov_b32_e32 v178, v206
	;; [unrolled: 1-line block ×18, first 2 shown]
	v_rcp_f64_e32 v[199:200], v[197:198]
	v_mov_b32_e32 v19, v23
	v_mov_b32_e32 v20, v24
	;; [unrolled: 1-line block ×23, first 2 shown]
	v_fma_f64 v[201:202], -v[197:198], v[199:200], 1.0
	v_mov_b32_e32 v38, v238
	v_mov_b32_e32 v39, v239
	;; [unrolled: 1-line block ×21, first 2 shown]
	v_fma_f64 v[199:200], v[199:200], v[201:202], v[199:200]
	v_mov_b32_e32 v147, v231
	v_mov_b32_e32 v148, v232
	;; [unrolled: 1-line block ×21, first 2 shown]
	v_fma_f64 v[201:202], -v[197:198], v[199:200], 1.0
	v_mov_b32_e32 v79, v75
	v_mov_b32_e32 v78, v74
	;; [unrolled: 1-line block ×21, first 2 shown]
	v_fma_f64 v[199:200], v[199:200], v[201:202], v[199:200]
	v_mov_b32_e32 v175, v231
	v_mov_b32_e32 v176, v232
	v_mov_b32_e32 v232, v148
	v_mov_b32_e32 v71, v67
	v_mov_b32_e32 v70, v66
	v_mov_b32_e32 v69, v65
	v_mov_b32_e32 v68, v52
	v_mov_b32_e32 v138, v142
	v_mov_b32_e32 v139, v143
	v_mov_b32_e32 v140, v144
	v_mov_b32_e32 v141, v225
	v_mov_b32_e32 v231, v147
	v_mov_b32_e32 v230, v146
	v_mov_b32_e32 v229, v145
	v_mov_b32_e32 v148, v48
	v_mov_b32_e32 v67, v51
	v_mov_b32_e32 v66, v50
	v_mov_b32_e32 v65, v49
	v_mov_b32_e32 v49, v241
	v_mov_b32_e32 v142, v226
	v_mov_b32_e32 v143, v227
	v_mul_f64 v[201:202], v[203:204], v[199:200]
	v_mov_b32_e32 v144, v228
	v_mov_b32_e32 v228, v212
	;; [unrolled: 1-line block ×21, first 2 shown]
	v_fma_f64 v[197:198], -v[197:198], v[201:202], v[203:204]
	v_mov_b32_e32 v41, v237
	v_mov_b32_e32 v211, v151
	;; [unrolled: 1-line block ×21, first 2 shown]
	v_div_fmas_f64 v[197:198], v[197:198], v[199:200], v[201:202]
	v_mov_b32_e32 v35, v31
	v_mov_b32_e32 v34, v30
	;; [unrolled: 1-line block ×21, first 2 shown]
	v_div_fixup_f64 v[199:200], v[197:198], v[1:2], v[3:4]
	v_mov_b32_e32 v211, v227
	v_mov_b32_e32 v212, v228
	;; [unrolled: 1-line block ×21, first 2 shown]
	v_fma_f64 v[197:198], v[3:4], v[199:200], v[1:2]
	v_mov_b32_e32 v72, v76
	v_mov_b32_e32 v73, v77
	;; [unrolled: 1-line block ×21, first 2 shown]
	v_div_scale_f64 v[201:202], null, v[197:198], v[197:198], 1.0
	v_mov_b32_e32 v60, v56
	v_mov_b32_e32 v78, v82
	;; [unrolled: 1-line block ×14, first 2 shown]
	v_rcp_f64_e32 v[203:204], v[201:202]
	v_fma_f64 v[205:206], -v[201:202], v[203:204], 1.0
	v_fma_f64 v[203:204], v[203:204], v[205:206], v[203:204]
	v_fma_f64 v[205:206], -v[201:202], v[203:204], 1.0
	v_fma_f64 v[203:204], v[203:204], v[205:206], v[203:204]
	v_div_scale_f64 v[205:206], vcc_lo, 1.0, v[197:198], 1.0
	v_mul_f64 v[207:208], v[205:206], v[203:204]
	v_fma_f64 v[201:202], -v[201:202], v[207:208], v[205:206]
	v_div_fmas_f64 v[201:202], v[201:202], v[203:204], v[207:208]
	v_mov_b32_e32 v208, v180
	v_mov_b32_e32 v207, v179
	;; [unrolled: 1-line block ×4, first 2 shown]
	v_div_fixup_f64 v[197:198], v[201:202], v[197:198], 1.0
	v_mul_f64 v[199:200], v[199:200], -v[197:198]
.LBB87_394:
	s_or_b32 exec_lo, exec_lo, s1
	ds_write2_b64 v255, v[197:198], v[199:200] offset1:1
.LBB87_395:
	s_or_b32 exec_lo, exec_lo, s2
	s_waitcnt lgkmcnt(0)
	s_barrier
	buffer_gl0_inv
	ds_read2_b64 v[197:200], v255 offset1:1
	s_mov_b32 s1, exec_lo
	v_cmpx_lt_u32_e32 43, v0
	s_cbranch_execz .LBB87_397
; %bb.396:
	s_waitcnt lgkmcnt(0)
	v_mul_f64 v[201:202], v[199:200], v[3:4]
	v_mul_f64 v[3:4], v[197:198], v[3:4]
	v_fma_f64 v[201:202], v[197:198], v[1:2], -v[201:202]
	v_fma_f64 v[3:4], v[199:200], v[1:2], v[3:4]
	v_mov_b32_e32 v1, v201
	v_mov_b32_e32 v2, v202
.LBB87_397:
	s_or_b32 exec_lo, exec_lo, s1
	s_waitcnt lgkmcnt(0)
	s_barrier
	buffer_gl0_inv
	s_and_saveexec_b32 s6, s0
	s_cbranch_execz .LBB87_400
; %bb.398:
	v_mov_b32_e32 v184, v64
	v_mov_b32_e32 v183, v63
	;; [unrolled: 1-line block ×25, first 2 shown]
	s_clause 0x3
	buffer_load_dword v169, off, s[16:19], 0 offset:688
	buffer_load_dword v170, off, s[16:19], 0 offset:692
	buffer_load_dword v171, off, s[16:19], 0 offset:696
	buffer_load_dword v172, off, s[16:19], 0 offset:700
	buffer_store_dword v37, off, s[16:19], 0 offset:888 ; 4-byte Folded Spill
	buffer_store_dword v38, off, s[16:19], 0 offset:892 ; 4-byte Folded Spill
	;; [unrolled: 1-line block ×4, first 2 shown]
	v_mov_b32_e32 v110, v114
	v_mov_b32_e32 v111, v115
	;; [unrolled: 1-line block ×12, first 2 shown]
	s_clause 0x3
	buffer_load_dword v237, off, s[16:19], 0 offset:672
	buffer_load_dword v238, off, s[16:19], 0 offset:676
	;; [unrolled: 1-line block ×4, first 2 shown]
	buffer_store_dword v41, off, s[16:19], 0 offset:872 ; 4-byte Folded Spill
	buffer_store_dword v42, off, s[16:19], 0 offset:876 ; 4-byte Folded Spill
	;; [unrolled: 1-line block ×4, first 2 shown]
	v_mov_b32_e32 v118, v122
	v_mov_b32_e32 v119, v123
	;; [unrolled: 1-line block ×17, first 2 shown]
	s_clause 0x3
	buffer_load_dword v233, off, s[16:19], 0 offset:624
	buffer_load_dword v234, off, s[16:19], 0 offset:628
	;; [unrolled: 1-line block ×4, first 2 shown]
	buffer_store_dword v241, off, s[16:19], 0 offset:840 ; 4-byte Folded Spill
	buffer_store_dword v242, off, s[16:19], 0 offset:844 ; 4-byte Folded Spill
	;; [unrolled: 1-line block ×8, first 2 shown]
	v_mov_b32_e32 v126, v130
	v_mov_b32_e32 v127, v131
	;; [unrolled: 1-line block ×11, first 2 shown]
	s_clause 0x3
	buffer_load_dword v133, off, s[16:19], 0 offset:704
	buffer_load_dword v134, off, s[16:19], 0 offset:708
	;; [unrolled: 1-line block ×4, first 2 shown]
	buffer_store_dword v33, off, s[16:19], 0 offset:904 ; 4-byte Folded Spill
	buffer_store_dword v34, off, s[16:19], 0 offset:908 ; 4-byte Folded Spill
	;; [unrolled: 1-line block ×4, first 2 shown]
	v_mov_b32_e32 v46, v146
	v_mov_b32_e32 v47, v147
	;; [unrolled: 1-line block ×29, first 2 shown]
	s_clause 0x3
	buffer_load_dword v229, off, s[16:19], 0 offset:600
	buffer_load_dword v230, off, s[16:19], 0 offset:604
	;; [unrolled: 1-line block ×4, first 2 shown]
	v_mov_b32_e32 v211, v159
	v_mov_b32_e32 v210, v158
	;; [unrolled: 1-line block ×3, first 2 shown]
	s_clause 0x3
	buffer_load_dword v157, off, s[16:19], 0 offset:656
	buffer_load_dword v158, off, s[16:19], 0 offset:660
	;; [unrolled: 1-line block ×4, first 2 shown]
	v_mov_b32_e32 v162, v166
	v_mov_b32_e32 v163, v167
	;; [unrolled: 1-line block ×3, first 2 shown]
	s_clause 0x7
	buffer_load_dword v165, off, s[16:19], 0 offset:640
	buffer_load_dword v166, off, s[16:19], 0 offset:644
	;; [unrolled: 1-line block ×8, first 2 shown]
	v_mov_b32_e32 v57, v137
	v_mov_b32_e32 v58, v138
	v_mov_b32_e32 v59, v139
	v_mov_b32_e32 v60, v140
	v_mov_b32_e32 v137, v141
	v_mov_b32_e32 v138, v142
	v_mov_b32_e32 v139, v143
	v_mov_b32_e32 v140, v144
	v_mov_b32_e32 v141, v149
	v_mov_b32_e32 v142, v150
	v_mov_b32_e32 v143, v151
	v_mov_b32_e32 v144, v152
	v_mov_b32_e32 v149, v153
	v_mov_b32_e32 v150, v154
	v_mov_b32_e32 v151, v155
	v_mov_b32_e32 v152, v156
	s_clause 0x3
	buffer_load_dword v153, off, s[16:19], 0 offset:424
	buffer_load_dword v154, off, s[16:19], 0 offset:428
	;; [unrolled: 1-line block ×4, first 2 shown]
	s_waitcnt vmcnt(10)
	v_cmp_neq_f64_e64 s1, 0, v[165:166]
	v_cmp_eq_f64_e64 s3, 0, v[157:158]
	s_waitcnt vmcnt(8)
	v_cmp_neq_f64_e64 s2, 0, v[167:168]
	v_cmp_eq_f64_e64 s4, 0, v[159:160]
	s_waitcnt vmcnt(6)
	v_cmp_eq_f64_e32 vcc_lo, 0, v[205:206]
	v_mov_b32_e32 v168, v164
	s_waitcnt vmcnt(4)
	v_cmp_eq_f64_e64 s0, 0, v[207:208]
	v_mov_b32_e32 v167, v163
	v_mov_b32_e32 v166, v162
	;; [unrolled: 1-line block ×14, first 2 shown]
	s_waitcnt vmcnt(2)
	v_cmp_eq_f64_e64 s5, 0, v[153:154]
	v_mov_b32_e32 v205, v53
	s_or_b32 s1, s1, s2
	s_and_b32 s3, s3, s4
	s_and_b32 s0, vcc_lo, s0
	s_waitcnt vmcnt(0)
	v_cmp_eq_f64_e32 vcc_lo, 0, v[155:156]
	s_clause 0x3
	buffer_load_dword v153, off, s[16:19], 0 offset:440
	buffer_load_dword v154, off, s[16:19], 0 offset:444
	buffer_load_dword v155, off, s[16:19], 0 offset:448
	buffer_load_dword v156, off, s[16:19], 0 offset:452
	v_cndmask_b32_e64 v0, 0, 1, s0
	s_or_b32 s0, s1, s0
	v_cndmask_b32_e64 v0, 2, v0, s0
	v_cmp_eq_u32_e64 s0, 0, v0
	s_and_b32 s0, s3, s0
	v_cndmask_b32_e64 v0, v0, 3, s0
	s_and_b32 s5, s5, vcc_lo
	v_cmp_eq_u32_e64 s0, 0, v0
	s_and_b32 s0, s5, s0
	v_cmp_eq_f64_e64 s5, 0, v[151:152]
	v_cndmask_b32_e64 v0, v0, 4, s0
	v_cmp_eq_f64_e64 s0, 0, v[149:150]
	v_mov_b32_e32 v152, v144
	v_mov_b32_e32 v151, v143
	;; [unrolled: 1-line block ×3, first 2 shown]
	v_cmp_eq_u32_e32 vcc_lo, 0, v0
	v_mov_b32_e32 v149, v141
	v_mov_b32_e32 v144, v140
	;; [unrolled: 1-line block ×5, first 2 shown]
	s_and_b32 s0, s0, s5
	v_cmp_eq_f64_e64 s5, 0, v[223:224]
	s_waitcnt vmcnt(2)
	v_cmp_eq_f64_e64 s1, 0, v[153:154]
	s_waitcnt vmcnt(0)
	v_cmp_eq_f64_e64 s2, 0, v[155:156]
	s_clause 0x3
	buffer_load_dword v153, off, s[16:19], 0 offset:456
	buffer_load_dword v154, off, s[16:19], 0 offset:460
	;; [unrolled: 1-line block ×4, first 2 shown]
	s_and_b32 s1, s1, s2
	v_cmp_eq_f64_e64 s2, 0, v[215:216]
	s_and_b32 s1, s1, vcc_lo
	v_cndmask_b32_e64 v0, v0, 5, s1
	v_cmp_eq_f64_e64 s1, 0, v[213:214]
	v_cmp_eq_u32_e32 vcc_lo, 0, v0
	s_and_b32 s1, s1, s2
	v_cmp_eq_f64_e64 s2, 0, v[231:232]
	s_waitcnt vmcnt(2)
	v_cmp_eq_f64_e64 s3, 0, v[153:154]
	s_waitcnt vmcnt(0)
	v_cmp_eq_f64_e64 s4, 0, v[155:156]
	s_and_b32 s3, s3, s4
	v_cmp_eq_f64_e64 s4, 0, v[219:220]
	s_and_b32 s3, s3, vcc_lo
	v_cndmask_b32_e64 v0, v0, 6, s3
	v_cmp_eq_f64_e64 s3, 0, v[217:218]
	v_cmp_eq_u32_e32 vcc_lo, 0, v0
	s_and_b32 s0, s0, vcc_lo
	v_cndmask_b32_e64 v0, v0, 7, s0
	v_cmp_eq_f64_e64 s0, 0, v[221:222]
	v_cmp_eq_u32_e32 vcc_lo, 0, v0
	s_and_b32 s1, s1, vcc_lo
	s_and_b32 s3, s3, s4
	v_cndmask_b32_e64 v0, v0, 8, s1
	v_cmp_eq_f64_e64 s1, 0, v[229:230]
	v_cmp_eq_f64_e64 s4, 0, v[235:236]
	v_mov_b32_e32 v229, v245
	v_mov_b32_e32 v230, v246
	v_cmp_eq_u32_e32 vcc_lo, 0, v0
	v_mov_b32_e32 v231, v247
	v_mov_b32_e32 v232, v248
	s_and_b32 s3, s3, vcc_lo
	s_and_b32 s0, s0, s5
	v_cndmask_b32_e64 v0, v0, 9, s3
	v_cmp_eq_f64_e64 s3, 0, v[233:234]
	v_cmp_eq_f64_e64 s5, 0, v[239:240]
	v_cmp_eq_u32_e32 vcc_lo, 0, v0
	s_and_b32 s0, s0, vcc_lo
	s_and_b32 s1, s1, s2
	v_cndmask_b32_e64 v0, v0, 10, s0
	v_cmp_eq_f64_e64 s0, 0, v[237:238]
	v_cmp_eq_f64_e64 s2, 0, v[171:172]
	v_cmp_eq_u32_e32 vcc_lo, 0, v0
	s_and_b32 s1, s1, vcc_lo
	s_and_b32 s3, s3, s4
	v_cndmask_b32_e64 v0, v0, 11, s1
	v_cmp_eq_f64_e64 s1, 0, v[169:170]
	s_clause 0x1
	buffer_load_dword v169, off, s[16:19], 0 offset:832
	buffer_load_dword v170, off, s[16:19], 0 offset:836
	v_cmp_eq_f64_e64 s4, 0, v[203:204]
	v_cmp_eq_u32_e32 vcc_lo, 0, v0
	s_and_b32 s3, s3, vcc_lo
	s_and_b32 s0, s0, s5
	v_cndmask_b32_e64 v0, v0, 12, s3
	v_cmp_eq_f64_e64 s3, 0, v[201:202]
	v_cmp_eq_u32_e32 vcc_lo, 0, v0
	s_and_b32 s0, s0, vcc_lo
	s_and_b32 s1, s1, s2
	v_cndmask_b32_e64 v0, v0, 13, s0
	v_cmp_eq_f64_e32 vcc_lo, 0, v[173:174]
	v_cmp_eq_f64_e64 s0, 0, v[175:176]
	v_cmp_eq_f64_e64 s2, 0, v[147:148]
	v_cmp_eq_u32_e64 s5, 0, v0
	s_and_b32 s1, s1, s5
	s_and_b32 s5, s3, s4
	v_cndmask_b32_e64 v0, v0, 14, s1
	v_cmp_eq_f64_e64 s1, 0, v[145:146]
	v_cmp_eq_u32_e64 s3, 0, v0
	s_and_b32 s3, s5, s3
	v_cmp_eq_f64_e64 s5, 0, v[135:136]
	v_cndmask_b32_e64 v0, v0, 15, s3
	s_and_b32 s0, vcc_lo, s0
	v_cmp_eq_u32_e64 s3, 0, v0
	s_and_b32 s0, s0, s3
	s_and_b32 s1, s1, s2
	v_cndmask_b32_e64 v0, v0, 16, s0
	v_cmp_eq_f64_e64 s0, 0, v[249:250]
	v_cmp_eq_f64_e64 s3, 0, v[251:252]
	;; [unrolled: 1-line block ×3, first 2 shown]
	v_cmp_eq_u32_e32 vcc_lo, 0, v0
	s_and_b32 s1, s1, vcc_lo
	v_cndmask_b32_e64 v0, v0, 17, s1
	v_cmp_eq_f64_e64 s1, 0, v[57:58]
	v_cmp_eq_u32_e32 vcc_lo, 0, v0
	s_and_b32 s0, s0, s3
	v_cmp_eq_f64_e64 s3, 0, v[43:44]
	s_and_b32 s1, s1, s2
	v_cmp_eq_f64_e64 s2, 0, v[39:40]
	s_waitcnt vmcnt(0)
	v_lshlrev_b64 v[201:202], 2, v[169:170]
	v_add_co_u32 v253, s4, s10, v201
	v_add_co_ci_u32_e64 v254, null, s11, v202, s4
	v_cmp_eq_f64_e64 s4, 0, v[133:134]
	v_mov_b32_e32 v136, v132
	v_mov_b32_e32 v135, v131
	global_load_dword v201, v[253:254], off
	s_clause 0x7
	buffer_load_dword v57, off, s[16:19], 0 offset:856
	buffer_load_dword v58, off, s[16:19], 0 offset:860
	;; [unrolled: 1-line block ×8, first 2 shown]
	v_mov_b32_e32 v134, v130
	v_mov_b32_e32 v133, v129
	;; [unrolled: 1-line block ×17, first 2 shown]
	s_and_b32 s4, s4, s5
	v_cmp_eq_f64_e64 s5, 0, v[47:48]
	s_and_b32 s4, s4, vcc_lo
	v_mov_b32_e32 v117, v113
	v_cndmask_b32_e64 v0, v0, 18, s4
	v_cmp_eq_f64_e64 s4, 0, v[45:46]
	v_mov_b32_e32 v45, v49
	v_mov_b32_e32 v46, v50
	;; [unrolled: 1-line block ×3, first 2 shown]
	v_cmp_eq_u32_e32 vcc_lo, 0, v0
	v_mov_b32_e32 v48, v52
	v_mov_b32_e32 v116, v112
	;; [unrolled: 1-line block ×4, first 2 shown]
	s_and_b32 s0, s0, vcc_lo
	v_mov_b32_e32 v113, v109
	v_cndmask_b32_e64 v0, v0, 19, s0
	v_cmp_eq_f64_e64 s0, 0, v[41:42]
	s_clause 0x3
	buffer_load_dword v41, off, s[16:19], 0 offset:872
	buffer_load_dword v42, off, s[16:19], 0 offset:876
	;; [unrolled: 1-line block ×4, first 2 shown]
	v_mov_b32_e32 v112, v108
	v_mov_b32_e32 v111, v107
	v_cmp_eq_u32_e32 vcc_lo, 0, v0
	v_mov_b32_e32 v110, v106
	v_mov_b32_e32 v109, v105
	;; [unrolled: 1-line block ×4, first 2 shown]
	s_and_b32 s1, s1, vcc_lo
	s_and_b32 s4, s4, s5
	v_cndmask_b32_e64 v0, v0, 20, s1
	v_cmp_eq_f64_e64 s1, 0, v[37:38]
	s_clause 0x3
	buffer_load_dword v37, off, s[16:19], 0 offset:888
	buffer_load_dword v38, off, s[16:19], 0 offset:892
	;; [unrolled: 1-line block ×4, first 2 shown]
	v_cmp_eq_f64_e64 s5, 0, v[35:36]
	v_mov_b32_e32 v106, v102
	v_cmp_eq_u32_e32 vcc_lo, 0, v0
	v_mov_b32_e32 v105, v101
	v_mov_b32_e32 v104, v100
	;; [unrolled: 1-line block ×4, first 2 shown]
	s_and_b32 s4, s4, vcc_lo
	s_and_b32 s0, s0, s3
	v_cndmask_b32_e64 v0, v0, 21, s4
	v_cmp_eq_f64_e64 s4, 0, v[33:34]
	s_clause 0x7
	buffer_load_dword v33, off, s[16:19], 0 offset:904
	buffer_load_dword v34, off, s[16:19], 0 offset:908
	;; [unrolled: 1-line block ×8, first 2 shown]
	v_mov_b32_e32 v101, v97
	v_cmp_eq_u32_e32 vcc_lo, 0, v0
	v_mov_b32_e32 v100, v64
	v_mov_b32_e32 v99, v63
	;; [unrolled: 1-line block ×4, first 2 shown]
	s_and_b32 s0, s0, vcc_lo
	s_and_b32 s1, s1, s2
	v_cndmask_b32_e64 v0, v0, 22, s0
	v_cmp_eq_u32_e32 vcc_lo, 0, v0
	s_and_b32 s1, s1, vcc_lo
	s_and_b32 s4, s4, s5
	v_cndmask_b32_e64 v0, v0, 23, s1
	v_cmp_eq_u32_e32 vcc_lo, 0, v0
	s_and_b32 s4, s4, vcc_lo
	v_cndmask_b32_e64 v0, v0, 24, s4
	v_cmp_eq_u32_e32 vcc_lo, 0, v0
	s_waitcnt vmcnt(2)
	v_cmp_eq_f64_e64 s0, 0, v[49:50]
	s_waitcnt vmcnt(0)
	v_cmp_eq_f64_e64 s3, 0, v[51:52]
	s_clause 0x3
	buffer_load_dword v49, off, s[16:19], 0 offset:736
	buffer_load_dword v50, off, s[16:19], 0 offset:740
	buffer_load_dword v51, off, s[16:19], 0 offset:744
	buffer_load_dword v52, off, s[16:19], 0 offset:748
	s_and_b32 s0, s0, s3
	s_and_b32 s0, s0, vcc_lo
	v_cndmask_b32_e64 v0, v0, 25, s0
	v_cmp_eq_u32_e32 vcc_lo, 0, v0
	s_waitcnt vmcnt(2)
	v_cmp_eq_f64_e64 s1, 0, v[49:50]
	s_waitcnt vmcnt(0)
	v_cmp_eq_f64_e64 s2, 0, v[51:52]
	s_clause 0x3
	buffer_load_dword v49, off, s[16:19], 0 offset:752
	buffer_load_dword v50, off, s[16:19], 0 offset:756
	buffer_load_dword v51, off, s[16:19], 0 offset:760
	buffer_load_dword v52, off, s[16:19], 0 offset:764
	s_and_b32 s1, s1, s2
	s_and_b32 s1, s1, vcc_lo
	v_cndmask_b32_e64 v0, v0, 26, s1
	v_cmp_eq_u32_e32 vcc_lo, 0, v0
	s_waitcnt vmcnt(2)
	v_cmp_eq_f64_e64 s4, 0, v[49:50]
	s_waitcnt vmcnt(0)
	v_cmp_eq_f64_e64 s5, 0, v[51:52]
	s_clause 0x3
	buffer_load_dword v49, off, s[16:19], 0 offset:768
	buffer_load_dword v50, off, s[16:19], 0 offset:772
	buffer_load_dword v51, off, s[16:19], 0 offset:776
	buffer_load_dword v52, off, s[16:19], 0 offset:780
	s_and_b32 s4, s4, s5
	s_and_b32 s4, s4, vcc_lo
	v_cndmask_b32_e64 v0, v0, 27, s4
	v_cmp_eq_u32_e32 vcc_lo, 0, v0
	s_waitcnt vmcnt(2)
	v_cmp_eq_f64_e64 s0, 0, v[49:50]
	s_waitcnt vmcnt(0)
	v_cmp_eq_f64_e64 s3, 0, v[51:52]
	s_clause 0x3
	buffer_load_dword v49, off, s[16:19], 0 offset:784
	buffer_load_dword v50, off, s[16:19], 0 offset:788
	buffer_load_dword v51, off, s[16:19], 0 offset:792
	buffer_load_dword v52, off, s[16:19], 0 offset:796
	s_and_b32 s0, s0, s3
	s_and_b32 s0, s0, vcc_lo
	v_cndmask_b32_e64 v0, v0, 28, s0
	v_cmp_eq_u32_e32 vcc_lo, 0, v0
	s_waitcnt vmcnt(2)
	v_cmp_eq_f64_e64 s1, 0, v[49:50]
	s_waitcnt vmcnt(0)
	v_cmp_eq_f64_e64 s2, 0, v[51:52]
	s_clause 0x3
	buffer_load_dword v49, off, s[16:19], 0 offset:800
	buffer_load_dword v50, off, s[16:19], 0 offset:804
	buffer_load_dword v51, off, s[16:19], 0 offset:808
	buffer_load_dword v52, off, s[16:19], 0 offset:812
	s_and_b32 s1, s1, s2
	v_cmp_eq_f64_e64 s2, 0, v[183:184]
	s_and_b32 s1, s1, vcc_lo
	v_cndmask_b32_e64 v0, v0, 29, s1
	v_cmp_eq_f64_e64 s1, 0, v[181:182]
	v_cmp_eq_u32_e32 vcc_lo, 0, v0
	s_and_b32 s1, s1, s2
	v_cmp_eq_f64_e64 s2, 0, v[71:72]
	s_waitcnt vmcnt(2)
	v_cmp_eq_f64_e64 s4, 0, v[49:50]
	s_waitcnt vmcnt(0)
	v_cmp_eq_f64_e64 s5, 0, v[51:52]
	s_clause 0x3
	buffer_load_dword v49, off, s[16:19], 0 offset:816
	buffer_load_dword v50, off, s[16:19], 0 offset:820
	;; [unrolled: 1-line block ×4, first 2 shown]
	s_and_b32 s4, s4, s5
	v_cmp_eq_f64_e64 s5, 0, v[179:180]
	s_and_b32 s4, s4, vcc_lo
	v_cndmask_b32_e64 v0, v0, 30, s4
	v_cmp_eq_f64_e64 s4, 0, v[177:178]
	v_cmp_eq_u32_e32 vcc_lo, 0, v0
	s_and_b32 s4, s4, s5
	v_cmp_eq_f64_e64 s5, 0, v[75:76]
	s_waitcnt vmcnt(2)
	v_cmp_eq_f64_e64 s0, 0, v[49:50]
	s_waitcnt vmcnt(0)
	v_cmp_eq_f64_e64 s3, 0, v[51:52]
	s_and_b32 s0, s0, s3
	v_cmp_eq_f64_e64 s3, 0, v[67:68]
	s_and_b32 s0, s0, vcc_lo
	v_cndmask_b32_e64 v0, v0, 31, s0
	v_cmp_eq_f64_e64 s0, 0, v[65:66]
	v_cmp_eq_u32_e32 vcc_lo, 0, v0
	s_and_b32 s1, s1, vcc_lo
	v_cndmask_b32_e64 v0, v0, 32, s1
	v_cmp_eq_f64_e64 s1, 0, v[69:70]
	v_cmp_eq_u32_e32 vcc_lo, 0, v0
	s_and_b32 s4, s4, vcc_lo
	s_and_b32 s0, s0, s3
	v_cndmask_b32_e64 v0, v0, 33, s4
	v_cmp_eq_f64_e64 s4, 0, v[73:74]
	v_cmp_eq_f64_e64 s3, 0, v[79:80]
	v_cmp_eq_u32_e32 vcc_lo, 0, v0
	s_and_b32 s0, s0, vcc_lo
	s_and_b32 s1, s1, s2
	v_cndmask_b32_e64 v0, v0, 34, s0
	v_cmp_eq_f64_e64 s0, 0, v[77:78]
	v_cmp_eq_f64_e64 s2, 0, v[83:84]
	v_cmp_eq_u32_e32 vcc_lo, 0, v0
	s_and_b32 s1, s1, vcc_lo
	s_and_b32 s4, s4, s5
	v_cndmask_b32_e64 v0, v0, 35, s1
	v_cmp_eq_f64_e64 s1, 0, v[81:82]
	v_cmp_eq_f64_e64 s5, 0, v[91:92]
	v_cmp_eq_u32_e32 vcc_lo, 0, v0
	s_and_b32 s4, s4, vcc_lo
	s_and_b32 s0, s0, s3
	v_cndmask_b32_e64 v0, v0, 36, s4
	v_cmp_eq_f64_e64 s4, 0, v[89:90]
	v_cmp_eq_f64_e64 s3, 0, v[95:96]
	v_cmp_eq_u32_e32 vcc_lo, 0, v0
	s_and_b32 s0, s0, vcc_lo
	s_and_b32 s1, s1, s2
	v_cndmask_b32_e64 v0, v0, 37, s0
	v_cmp_eq_f64_e64 s0, 0, v[93:94]
	v_cmp_eq_f64_e64 s2, 0, v[187:188]
	v_cmp_eq_u32_e32 vcc_lo, 0, v0
	s_and_b32 s1, s1, vcc_lo
	s_and_b32 s4, s4, s5
	v_cndmask_b32_e64 v0, v0, 38, s1
	v_cmp_eq_f64_e64 s1, 0, v[185:186]
	v_cmp_eq_f64_e64 s5, 0, v[191:192]
	v_cmp_eq_u32_e32 vcc_lo, 0, v0
	s_and_b32 s4, s4, vcc_lo
	s_and_b32 s0, s0, s3
	v_cndmask_b32_e64 v0, v0, 39, s4
	v_cmp_eq_f64_e64 s4, 0, v[189:190]
	v_cmp_eq_f64_e64 s3, 0, v[195:196]
	v_cmp_eq_u32_e32 vcc_lo, 0, v0
	s_and_b32 s0, s0, vcc_lo
	s_and_b32 s1, s1, s2
	v_cndmask_b32_e64 v0, v0, 40, s0
	v_cmp_eq_f64_e64 s0, 0, v[193:194]
	v_cmp_eq_f64_e64 s2, 0, v[199:200]
	v_cmp_eq_u32_e32 vcc_lo, 0, v0
	s_and_b32 s1, s1, vcc_lo
	s_and_b32 s4, s4, s5
	v_cndmask_b32_e64 v0, v0, 41, s1
	v_cmp_eq_f64_e64 s1, 0, v[197:198]
	v_cmp_eq_u32_e32 vcc_lo, 0, v0
	s_and_b32 s4, s4, vcc_lo
	s_and_b32 s0, s0, s3
	v_cndmask_b32_e64 v0, v0, 42, s4
	v_cmp_eq_u32_e32 vcc_lo, 0, v0
	s_and_b32 s0, s0, vcc_lo
	v_cndmask_b32_e64 v0, v0, 43, s0
	s_and_b32 s0, s1, s2
	v_cmp_eq_u32_e32 vcc_lo, 0, v0
	s_and_b32 s0, s0, vcc_lo
	v_cmp_eq_u32_e32 vcc_lo, 0, v201
	v_cndmask_b32_e64 v0, v0, 44, s0
	v_cmp_ne_u32_e64 s0, 0, v0
	s_and_b32 s0, vcc_lo, s0
	s_and_b32 exec_lo, exec_lo, s0
	s_cbranch_execz .LBB87_400
; %bb.399:
	v_add_nc_u32_e32 v0, s13, v0
	global_store_dword v[253:254], v0, off
.LBB87_400:
	s_or_b32 exec_lo, exec_lo, s6
	s_clause 0x5
	buffer_load_dword v169, off, s[16:19], 0 offset:360
	buffer_load_dword v170, off, s[16:19], 0 offset:364
	;; [unrolled: 1-line block ×6, first 2 shown]
	s_waitcnt vmcnt(0)
	global_store_dwordx4 v[169:170], v[177:180], off
	s_clause 0x5
	buffer_load_dword v169, off, s[16:19], 0 offset:368
	buffer_load_dword v170, off, s[16:19], 0 offset:372
	;; [unrolled: 1-line block ×6, first 2 shown]
	s_waitcnt vmcnt(0)
	global_store_dwordx4 v[169:170], v[177:180], off
	s_clause 0x1
	buffer_load_dword v153, off, s[16:19], 0 offset:416
	buffer_load_dword v154, off, s[16:19], 0 offset:420
	s_waitcnt vmcnt(0)
	global_store_dwordx4 v[153:154], v[165:168], off
	s_clause 0x1
	buffer_load_dword v165, off, s[16:19], 0 offset:400
	buffer_load_dword v166, off, s[16:19], 0 offset:404
	s_waitcnt vmcnt(0)
	global_store_dwordx4 v[165:166], v[161:164], off
	s_clause 0x1
	buffer_load_dword v161, off, s[16:19], 0 offset:392
	buffer_load_dword v162, off, s[16:19], 0 offset:396
	s_waitcnt vmcnt(0)
	global_store_dwordx4 v[161:162], v[157:160], off
	s_clause 0x5
	buffer_load_dword v153, off, s[16:19], 0 offset:408
	buffer_load_dword v154, off, s[16:19], 0 offset:412
	buffer_load_dword v155, off, s[16:19], 0 offset:144
	buffer_load_dword v156, off, s[16:19], 0 offset:148
	;; [unrolled: 1-line block ×4, first 2 shown]
	s_waitcnt vmcnt(0)
	global_store_dwordx4 v[153:154], v[155:158], off
	s_clause 0x1
	buffer_load_dword v153, off, s[16:19], 0 offset:480
	buffer_load_dword v154, off, s[16:19], 0 offset:484
	s_waitcnt vmcnt(0)
	global_store_dwordx4 v[153:154], v[149:152], off
	s_clause 0x1
	buffer_load_dword v149, off, s[16:19], 0 offset:472
	buffer_load_dword v150, off, s[16:19], 0 offset:476
	;; [unrolled: 5-line block ×15, first 2 shown]
	buffer_load_dword v49, off, s[16:19], 0 offset:128
	buffer_load_dword v50, off, s[16:19], 0 offset:132
	buffer_load_dword v51, off, s[16:19], 0 offset:136
	buffer_load_dword v52, off, s[16:19], 0 offset:140
	s_waitcnt vmcnt(0)
	global_store_dwordx4 v[97:98], v[49:52], off
	s_clause 0x5
	buffer_load_dword v93, off, s[16:19], 0 offset:592
	buffer_load_dword v94, off, s[16:19], 0 offset:596
	buffer_load_dword v49, off, s[16:19], 0 offset:112
	buffer_load_dword v50, off, s[16:19], 0 offset:116
	buffer_load_dword v51, off, s[16:19], 0 offset:120
	buffer_load_dword v52, off, s[16:19], 0 offset:124
	s_waitcnt vmcnt(0)
	global_store_dwordx4 v[93:94], v[49:52], off
	s_clause 0x5
	buffer_load_dword v89, off, s[16:19], 0 offset:616
	buffer_load_dword v90, off, s[16:19], 0 offset:620
	;; [unrolled: 9-line block ×8, first 2 shown]
	buffer_load_dword v49, off, s[16:19], 0
	buffer_load_dword v50, off, s[16:19], 0 offset:4
	buffer_load_dword v51, off, s[16:19], 0 offset:8
	;; [unrolled: 1-line block ×3, first 2 shown]
	s_waitcnt vmcnt(0)
	global_store_dwordx4 v[65:66], v[49:52], off
	s_clause 0x1
	buffer_load_dword v61, off, s[16:19], 0 offset:240
	buffer_load_dword v62, off, s[16:19], 0 offset:244
	s_waitcnt vmcnt(0)
	global_store_dwordx4 v[61:62], v[57:60], off
	s_clause 0x1
	buffer_load_dword v57, off, s[16:19], 0 offset:248
	buffer_load_dword v58, off, s[16:19], 0 offset:252
	;; [unrolled: 5-line block ×15, first 2 shown]
	s_waitcnt vmcnt(0)
	global_store_dwordx4 v[5:6], v[1:4], off
.LBB87_401:
	s_endpgm
	.section	.rodata,"a",@progbits
	.p2align	6, 0x0
	.amdhsa_kernel _ZN9rocsolver6v33100L23getf2_npvt_small_kernelILi44E19rocblas_complex_numIdEiiPS3_EEvT1_T3_lS5_lPT2_S5_S5_
		.amdhsa_group_segment_fixed_size 0
		.amdhsa_private_segment_fixed_size 924
		.amdhsa_kernarg_size 312
		.amdhsa_user_sgpr_count 6
		.amdhsa_user_sgpr_private_segment_buffer 1
		.amdhsa_user_sgpr_dispatch_ptr 0
		.amdhsa_user_sgpr_queue_ptr 0
		.amdhsa_user_sgpr_kernarg_segment_ptr 1
		.amdhsa_user_sgpr_dispatch_id 0
		.amdhsa_user_sgpr_flat_scratch_init 0
		.amdhsa_user_sgpr_private_segment_size 0
		.amdhsa_wavefront_size32 1
		.amdhsa_uses_dynamic_stack 0
		.amdhsa_system_sgpr_private_segment_wavefront_offset 1
		.amdhsa_system_sgpr_workgroup_id_x 1
		.amdhsa_system_sgpr_workgroup_id_y 1
		.amdhsa_system_sgpr_workgroup_id_z 0
		.amdhsa_system_sgpr_workgroup_info 0
		.amdhsa_system_vgpr_workitem_id 1
		.amdhsa_next_free_vgpr 256
		.amdhsa_next_free_sgpr 20
		.amdhsa_reserve_vcc 1
		.amdhsa_reserve_flat_scratch 0
		.amdhsa_float_round_mode_32 0
		.amdhsa_float_round_mode_16_64 0
		.amdhsa_float_denorm_mode_32 3
		.amdhsa_float_denorm_mode_16_64 3
		.amdhsa_dx10_clamp 1
		.amdhsa_ieee_mode 1
		.amdhsa_fp16_overflow 0
		.amdhsa_workgroup_processor_mode 1
		.amdhsa_memory_ordered 1
		.amdhsa_forward_progress 1
		.amdhsa_shared_vgpr_count 0
		.amdhsa_exception_fp_ieee_invalid_op 0
		.amdhsa_exception_fp_denorm_src 0
		.amdhsa_exception_fp_ieee_div_zero 0
		.amdhsa_exception_fp_ieee_overflow 0
		.amdhsa_exception_fp_ieee_underflow 0
		.amdhsa_exception_fp_ieee_inexact 0
		.amdhsa_exception_int_div_zero 0
	.end_amdhsa_kernel
	.section	.text._ZN9rocsolver6v33100L23getf2_npvt_small_kernelILi44E19rocblas_complex_numIdEiiPS3_EEvT1_T3_lS5_lPT2_S5_S5_,"axG",@progbits,_ZN9rocsolver6v33100L23getf2_npvt_small_kernelILi44E19rocblas_complex_numIdEiiPS3_EEvT1_T3_lS5_lPT2_S5_S5_,comdat
.Lfunc_end87:
	.size	_ZN9rocsolver6v33100L23getf2_npvt_small_kernelILi44E19rocblas_complex_numIdEiiPS3_EEvT1_T3_lS5_lPT2_S5_S5_, .Lfunc_end87-_ZN9rocsolver6v33100L23getf2_npvt_small_kernelILi44E19rocblas_complex_numIdEiiPS3_EEvT1_T3_lS5_lPT2_S5_S5_
                                        ; -- End function
	.set _ZN9rocsolver6v33100L23getf2_npvt_small_kernelILi44E19rocblas_complex_numIdEiiPS3_EEvT1_T3_lS5_lPT2_S5_S5_.num_vgpr, 256
	.set _ZN9rocsolver6v33100L23getf2_npvt_small_kernelILi44E19rocblas_complex_numIdEiiPS3_EEvT1_T3_lS5_lPT2_S5_S5_.num_agpr, 0
	.set _ZN9rocsolver6v33100L23getf2_npvt_small_kernelILi44E19rocblas_complex_numIdEiiPS3_EEvT1_T3_lS5_lPT2_S5_S5_.numbered_sgpr, 20
	.set _ZN9rocsolver6v33100L23getf2_npvt_small_kernelILi44E19rocblas_complex_numIdEiiPS3_EEvT1_T3_lS5_lPT2_S5_S5_.num_named_barrier, 0
	.set _ZN9rocsolver6v33100L23getf2_npvt_small_kernelILi44E19rocblas_complex_numIdEiiPS3_EEvT1_T3_lS5_lPT2_S5_S5_.private_seg_size, 924
	.set _ZN9rocsolver6v33100L23getf2_npvt_small_kernelILi44E19rocblas_complex_numIdEiiPS3_EEvT1_T3_lS5_lPT2_S5_S5_.uses_vcc, 1
	.set _ZN9rocsolver6v33100L23getf2_npvt_small_kernelILi44E19rocblas_complex_numIdEiiPS3_EEvT1_T3_lS5_lPT2_S5_S5_.uses_flat_scratch, 0
	.set _ZN9rocsolver6v33100L23getf2_npvt_small_kernelILi44E19rocblas_complex_numIdEiiPS3_EEvT1_T3_lS5_lPT2_S5_S5_.has_dyn_sized_stack, 0
	.set _ZN9rocsolver6v33100L23getf2_npvt_small_kernelILi44E19rocblas_complex_numIdEiiPS3_EEvT1_T3_lS5_lPT2_S5_S5_.has_recursion, 0
	.set _ZN9rocsolver6v33100L23getf2_npvt_small_kernelILi44E19rocblas_complex_numIdEiiPS3_EEvT1_T3_lS5_lPT2_S5_S5_.has_indirect_call, 0
	.section	.AMDGPU.csdata,"",@progbits
; Kernel info:
; codeLenInByte = 128448
; TotalNumSgprs: 22
; NumVgprs: 256
; ScratchSize: 924
; MemoryBound: 1
; FloatMode: 240
; IeeeMode: 1
; LDSByteSize: 0 bytes/workgroup (compile time only)
; SGPRBlocks: 0
; VGPRBlocks: 31
; NumSGPRsForWavesPerEU: 22
; NumVGPRsForWavesPerEU: 256
; Occupancy: 4
; WaveLimiterHint : 0
; COMPUTE_PGM_RSRC2:SCRATCH_EN: 1
; COMPUTE_PGM_RSRC2:USER_SGPR: 6
; COMPUTE_PGM_RSRC2:TRAP_HANDLER: 0
; COMPUTE_PGM_RSRC2:TGID_X_EN: 1
; COMPUTE_PGM_RSRC2:TGID_Y_EN: 1
; COMPUTE_PGM_RSRC2:TGID_Z_EN: 0
; COMPUTE_PGM_RSRC2:TIDIG_COMP_CNT: 1
	.section	.text._ZN9rocsolver6v33100L18getf2_small_kernelILi45E19rocblas_complex_numIdEiiPS3_EEvT1_T3_lS5_lPS5_llPT2_S5_S5_S7_l,"axG",@progbits,_ZN9rocsolver6v33100L18getf2_small_kernelILi45E19rocblas_complex_numIdEiiPS3_EEvT1_T3_lS5_lPS5_llPT2_S5_S5_S7_l,comdat
	.globl	_ZN9rocsolver6v33100L18getf2_small_kernelILi45E19rocblas_complex_numIdEiiPS3_EEvT1_T3_lS5_lPS5_llPT2_S5_S5_S7_l ; -- Begin function _ZN9rocsolver6v33100L18getf2_small_kernelILi45E19rocblas_complex_numIdEiiPS3_EEvT1_T3_lS5_lPS5_llPT2_S5_S5_S7_l
	.p2align	8
	.type	_ZN9rocsolver6v33100L18getf2_small_kernelILi45E19rocblas_complex_numIdEiiPS3_EEvT1_T3_lS5_lPS5_llPT2_S5_S5_S7_l,@function
_ZN9rocsolver6v33100L18getf2_small_kernelILi45E19rocblas_complex_numIdEiiPS3_EEvT1_T3_lS5_lPS5_llPT2_S5_S5_S7_l: ; @_ZN9rocsolver6v33100L18getf2_small_kernelILi45E19rocblas_complex_numIdEiiPS3_EEvT1_T3_lS5_lPS5_llPT2_S5_S5_S7_l
; %bb.0:
	s_clause 0x1
	s_load_dword s0, s[4:5], 0x6c
	s_load_dwordx2 s[16:17], s[4:5], 0x48
	s_waitcnt lgkmcnt(0)
	s_lshr_b32 s0, s0, 16
	v_mad_u64_u32 v[186:187], null, s7, s0, v[1:2]
	s_mov_b32 s0, exec_lo
	v_cmpx_gt_i32_e64 s16, v186
	s_cbranch_execz .LBB88_948
; %bb.1:
	s_load_dwordx4 s[0:3], s[4:5], 0x50
	v_mov_b32_e32 v188, 0
	v_ashrrev_i32_e32 v187, 31, v186
	v_mov_b32_e32 v189, 0
	s_waitcnt lgkmcnt(0)
	s_cmp_eq_u64 s[0:1], 0
	s_cselect_b32 s16, -1, 0
	s_and_b32 vcc_lo, exec_lo, s16
	s_cbranch_vccnz .LBB88_3
; %bb.2:
	v_mul_lo_u32 v4, s3, v186
	v_mul_lo_u32 v5, s2, v187
	v_mad_u64_u32 v[2:3], null, s2, v186, 0
	v_add3_u32 v3, v3, v5, v4
	v_lshlrev_b64 v[2:3], 2, v[2:3]
	v_add_co_u32 v188, vcc_lo, s0, v2
	v_add_co_ci_u32_e64 v189, null, s1, v3, vcc_lo
.LBB88_3:
	s_clause 0x2
	s_load_dwordx8 s[8:15], s[4:5], 0x20
	s_load_dword s6, s[4:5], 0x18
	s_load_dwordx4 s[0:3], s[4:5], 0x8
	v_lshlrev_b32_e32 v190, 4, v0
	s_waitcnt lgkmcnt(0)
	v_mul_lo_u32 v3, s9, v186
	v_mul_lo_u32 v7, s8, v187
	v_mad_u64_u32 v[4:5], null, s8, v186, 0
	v_add3_u32 v2, s6, s6, v0
	s_lshl_b64 s[8:9], s[2:3], 4
	s_ashr_i32 s7, s6, 31
	s_lshl_b64 s[2:3], s[6:7], 4
	v_add_nc_u32_e32 v6, s6, v2
	v_add3_u32 v5, v5, v7, v3
	v_ashrrev_i32_e32 v3, 31, v2
	v_add_nc_u32_e32 v8, s6, v6
	v_lshlrev_b64 v[4:5], 4, v[4:5]
	v_ashrrev_i32_e32 v7, 31, v6
	v_lshlrev_b64 v[2:3], 4, v[2:3]
	v_ashrrev_i32_e32 v9, 31, v8
	v_add_nc_u32_e32 v10, s6, v8
	v_add_co_u32 v12, vcc_lo, s0, v4
	v_add_co_ci_u32_e64 v13, null, s1, v5, vcc_lo
	v_lshlrev_b64 v[4:5], 4, v[8:9]
	v_add_nc_u32_e32 v8, s6, v10
	v_add_co_u32 v193, vcc_lo, v12, s8
	v_ashrrev_i32_e32 v11, 31, v10
	v_add_co_ci_u32_e64 v194, null, s9, v13, vcc_lo
	v_add_nc_u32_e32 v12, s6, v8
	v_lshlrev_b64 v[6:7], 4, v[6:7]
	v_add_co_u32 v14, vcc_lo, v193, v190
	v_ashrrev_i32_e32 v9, 31, v8
	v_add_nc_u32_e32 v16, s6, v12
	v_lshlrev_b64 v[10:11], 4, v[10:11]
	v_add_co_ci_u32_e64 v15, null, 0, v194, vcc_lo
	v_add_co_u32 v2, vcc_lo, v193, v2
	v_ashrrev_i32_e32 v13, 31, v12
	v_add_co_ci_u32_e64 v3, null, v194, v3, vcc_lo
	v_add_co_u32 v6, vcc_lo, v193, v6
	v_add_nc_u32_e32 v18, s6, v16
	v_add_co_ci_u32_e64 v7, null, v194, v7, vcc_lo
	v_lshlrev_b64 v[8:9], 4, v[8:9]
	v_add_co_u32 v4, vcc_lo, v193, v4
	v_add_co_ci_u32_e64 v5, null, v194, v5, vcc_lo
	v_add_co_u32 v10, vcc_lo, v193, v10
	v_lshlrev_b64 v[12:13], 4, v[12:13]
	v_add_co_ci_u32_e64 v11, null, v194, v11, vcc_lo
	v_ashrrev_i32_e32 v17, 31, v16
	v_add_co_u32 v20, vcc_lo, v14, s2
	s_clause 0x1
	global_load_dwordx4 v[170:173], v[2:3], off
	global_load_dwordx4 v[162:165], v[6:7], off
	v_add_nc_u32_e32 v6, s6, v18
	v_add_co_ci_u32_e64 v21, null, s3, v15, vcc_lo
	v_add_co_u32 v2, vcc_lo, v193, v8
	v_ashrrev_i32_e32 v19, 31, v18
	v_add_co_ci_u32_e64 v3, null, v194, v9, vcc_lo
	v_add_co_u32 v8, vcc_lo, v193, v12
	s_clause 0x1
	global_load_dwordx4 v[166:169], v[4:5], off
	global_load_dwordx4 v[150:153], v[10:11], off
	v_lshlrev_b64 v[4:5], 4, v[16:17]
	v_ashrrev_i32_e32 v7, 31, v6
	v_add_nc_u32_e32 v12, s6, v6
	v_add_co_ci_u32_e64 v9, null, v194, v13, vcc_lo
	v_lshlrev_b64 v[10:11], 4, v[18:19]
	s_clause 0x3
	global_load_dwordx4 v[174:177], v[14:15], off
	global_load_dwordx4 v[178:181], v[20:21], off
	;; [unrolled: 1-line block ×4, first 2 shown]
	v_lshlrev_b64 v[2:3], 4, v[6:7]
	v_ashrrev_i32_e32 v13, 31, v12
	v_add_nc_u32_e32 v6, s6, v12
	v_add_co_u32 v4, vcc_lo, v193, v4
	v_add_co_ci_u32_e64 v5, null, v194, v5, vcc_lo
	v_add_co_u32 v8, vcc_lo, v193, v10
	v_add_co_ci_u32_e64 v9, null, v194, v11, vcc_lo
	v_lshlrev_b64 v[10:11], 4, v[12:13]
	v_ashrrev_i32_e32 v7, 31, v6
	v_add_nc_u32_e32 v12, s6, v6
	s_clause 0x1
	global_load_dwordx4 v[146:149], v[4:5], off
	global_load_dwordx4 v[142:145], v[8:9], off
	v_add_co_u32 v2, vcc_lo, v193, v2
	v_lshlrev_b64 v[4:5], 4, v[6:7]
	v_ashrrev_i32_e32 v13, 31, v12
	v_add_nc_u32_e32 v6, s6, v12
	v_add_co_ci_u32_e64 v3, null, v194, v3, vcc_lo
	v_add_co_u32 v8, vcc_lo, v193, v10
	v_add_co_ci_u32_e64 v9, null, v194, v11, vcc_lo
	v_lshlrev_b64 v[10:11], 4, v[12:13]
	v_ashrrev_i32_e32 v7, 31, v6
	v_add_nc_u32_e32 v12, s6, v6
	s_clause 0x1
	global_load_dwordx4 v[134:137], v[2:3], off
	global_load_dwordx4 v[130:133], v[8:9], off
	v_add_co_u32 v4, vcc_lo, v193, v4
	v_lshlrev_b64 v[2:3], 4, v[6:7]
	v_ashrrev_i32_e32 v13, 31, v12
	v_add_nc_u32_e32 v6, s6, v12
	;; [unrolled: 13-line block ×15, first 2 shown]
	v_add_co_ci_u32_e64 v3, null, v194, v3, vcc_lo
	v_add_co_u32 v8, vcc_lo, v193, v10
	v_add_co_ci_u32_e64 v9, null, v194, v11, vcc_lo
	v_lshlrev_b64 v[10:11], 4, v[12:13]
	v_ashrrev_i32_e32 v7, 31, v6
	v_add_nc_u32_e32 v12, s6, v6
	s_clause 0x1
	global_load_dwordx4 v[26:29], v[2:3], off
	global_load_dwordx4 v[22:25], v[8:9], off
	v_add_co_u32 v4, vcc_lo, v193, v4
	v_lshlrev_b64 v[2:3], 4, v[6:7]
	v_add_nc_u32_e32 v6, s6, v12
	v_ashrrev_i32_e32 v13, 31, v12
	v_add_co_ci_u32_e64 v5, null, v194, v5, vcc_lo
	v_add_co_u32 v8, vcc_lo, v193, v10
	v_ashrrev_i32_e32 v7, 31, v6
	v_add_co_ci_u32_e64 v9, null, v194, v11, vcc_lo
	v_lshlrev_b64 v[10:11], 4, v[12:13]
	v_add_co_u32 v2, vcc_lo, v193, v2
	v_lshlrev_b64 v[6:7], 4, v[6:7]
	v_add_co_ci_u32_e64 v3, null, v194, v3, vcc_lo
	v_add_co_u32 v182, vcc_lo, v193, v10
	v_add_co_ci_u32_e64 v183, null, v194, v11, vcc_lo
	v_add_co_u32 v184, vcc_lo, v193, v6
	v_add_co_ci_u32_e64 v185, null, v194, v7, vcc_lo
	s_clause 0x4
	global_load_dwordx4 v[18:21], v[4:5], off
	global_load_dwordx4 v[14:17], v[8:9], off
	;; [unrolled: 1-line block ×5, first 2 shown]
	s_clause 0x1
	s_load_dword s1, s[4:5], 0x0
	s_load_dwordx2 s[4:5], s[4:5], 0x40
	s_waitcnt lgkmcnt(0)
	s_max_i32 s0, s1, 45
	s_cmp_lt_i32 s1, 2
	v_mul_lo_u32 v191, s0, v1
	v_lshl_add_u32 v1, v191, 4, 0
	v_lshlrev_b32_e32 v192, 4, v191
	v_add_nc_u32_e32 v182, v1, v190
	v_mov_b32_e32 v190, 0
	s_waitcnt vmcnt(40)
	ds_write2_b64 v182, v[174:175], v[176:177] offset1:1
	s_waitcnt vmcnt(0) lgkmcnt(0)
	s_barrier
	buffer_gl0_inv
	ds_read2_b64 v[182:185], v1 offset1:1
	s_cbranch_scc1 .LBB88_6
; %bb.4:
	v_add3_u32 v191, v192, 0, 16
	v_mov_b32_e32 v190, 0
	s_mov_b32 s7, 1
	s_inst_prefetch 0x1
	.p2align	6
.LBB88_5:                               ; =>This Inner Loop Header: Depth=1
	s_waitcnt lgkmcnt(0)
	v_cmp_gt_f64_e32 vcc_lo, 0, v[184:185]
	v_cmp_gt_f64_e64 s0, 0, v[182:183]
	ds_read2_b64 v[195:198], v191 offset1:1
	v_xor_b32_e32 v200, 0x80000000, v183
	v_xor_b32_e32 v202, 0x80000000, v185
	v_mov_b32_e32 v199, v182
	v_mov_b32_e32 v201, v184
	v_add_nc_u32_e32 v191, 16, v191
	s_waitcnt lgkmcnt(0)
	v_xor_b32_e32 v204, 0x80000000, v198
	v_cndmask_b32_e64 v200, v183, v200, s0
	v_cndmask_b32_e32 v202, v185, v202, vcc_lo
	v_cmp_gt_f64_e32 vcc_lo, 0, v[197:198]
	v_cmp_gt_f64_e64 s0, 0, v[195:196]
	v_mov_b32_e32 v203, v197
	v_add_f64 v[199:200], v[199:200], v[201:202]
	v_xor_b32_e32 v202, 0x80000000, v196
	v_mov_b32_e32 v201, v195
	v_cndmask_b32_e32 v204, v198, v204, vcc_lo
	v_cndmask_b32_e64 v202, v196, v202, s0
	v_add_f64 v[201:202], v[201:202], v[203:204]
	v_cmp_lt_f64_e32 vcc_lo, v[199:200], v[201:202]
	v_cndmask_b32_e32 v183, v183, v196, vcc_lo
	v_cndmask_b32_e32 v182, v182, v195, vcc_lo
	v_cndmask_b32_e32 v185, v185, v198, vcc_lo
	v_cndmask_b32_e32 v184, v184, v197, vcc_lo
	v_cndmask_b32_e64 v190, v190, s7, vcc_lo
	s_add_i32 s7, s7, 1
	s_cmp_eq_u32 s1, s7
	s_cbranch_scc0 .LBB88_5
.LBB88_6:
	s_inst_prefetch 0x2
	s_waitcnt lgkmcnt(0)
	v_cmp_neq_f64_e32 vcc_lo, 0, v[182:183]
	v_cmp_neq_f64_e64 s0, 0, v[184:185]
	v_mov_b32_e32 v195, 1
	v_mov_b32_e32 v197, 1
	s_or_b32 s7, vcc_lo, s0
	s_and_saveexec_b32 s0, s7
	s_cbranch_execz .LBB88_12
; %bb.7:
	v_cmp_ngt_f64_e64 s7, |v[182:183]|, |v[184:185]|
	s_and_saveexec_b32 s8, s7
	s_xor_b32 s7, exec_lo, s8
	s_cbranch_execz .LBB88_9
; %bb.8:
	v_div_scale_f64 v[195:196], null, v[184:185], v[184:185], v[182:183]
	v_div_scale_f64 v[201:202], vcc_lo, v[182:183], v[184:185], v[182:183]
	v_rcp_f64_e32 v[197:198], v[195:196]
	v_fma_f64 v[199:200], -v[195:196], v[197:198], 1.0
	v_fma_f64 v[197:198], v[197:198], v[199:200], v[197:198]
	v_fma_f64 v[199:200], -v[195:196], v[197:198], 1.0
	v_fma_f64 v[197:198], v[197:198], v[199:200], v[197:198]
	v_mul_f64 v[199:200], v[201:202], v[197:198]
	v_fma_f64 v[195:196], -v[195:196], v[199:200], v[201:202]
	v_div_fmas_f64 v[195:196], v[195:196], v[197:198], v[199:200]
	v_div_fixup_f64 v[195:196], v[195:196], v[184:185], v[182:183]
	v_fma_f64 v[182:183], v[182:183], v[195:196], v[184:185]
	v_div_scale_f64 v[184:185], null, v[182:183], v[182:183], 1.0
	v_rcp_f64_e32 v[197:198], v[184:185]
	v_fma_f64 v[199:200], -v[184:185], v[197:198], 1.0
	v_fma_f64 v[197:198], v[197:198], v[199:200], v[197:198]
	v_fma_f64 v[199:200], -v[184:185], v[197:198], 1.0
	v_fma_f64 v[197:198], v[197:198], v[199:200], v[197:198]
	v_div_scale_f64 v[199:200], vcc_lo, 1.0, v[182:183], 1.0
	v_mul_f64 v[201:202], v[199:200], v[197:198]
	v_fma_f64 v[184:185], -v[184:185], v[201:202], v[199:200]
	v_div_fmas_f64 v[184:185], v[184:185], v[197:198], v[201:202]
	v_div_fixup_f64 v[184:185], v[184:185], v[182:183], 1.0
	v_mul_f64 v[182:183], v[195:196], v[184:185]
	v_xor_b32_e32 v185, 0x80000000, v185
.LBB88_9:
	s_andn2_saveexec_b32 s7, s7
	s_cbranch_execz .LBB88_11
; %bb.10:
	v_div_scale_f64 v[195:196], null, v[182:183], v[182:183], v[184:185]
	v_div_scale_f64 v[201:202], vcc_lo, v[184:185], v[182:183], v[184:185]
	v_rcp_f64_e32 v[197:198], v[195:196]
	v_fma_f64 v[199:200], -v[195:196], v[197:198], 1.0
	v_fma_f64 v[197:198], v[197:198], v[199:200], v[197:198]
	v_fma_f64 v[199:200], -v[195:196], v[197:198], 1.0
	v_fma_f64 v[197:198], v[197:198], v[199:200], v[197:198]
	v_mul_f64 v[199:200], v[201:202], v[197:198]
	v_fma_f64 v[195:196], -v[195:196], v[199:200], v[201:202]
	v_div_fmas_f64 v[195:196], v[195:196], v[197:198], v[199:200]
	v_div_fixup_f64 v[195:196], v[195:196], v[182:183], v[184:185]
	v_fma_f64 v[182:183], v[184:185], v[195:196], v[182:183]
	v_div_scale_f64 v[184:185], null, v[182:183], v[182:183], 1.0
	v_rcp_f64_e32 v[197:198], v[184:185]
	v_fma_f64 v[199:200], -v[184:185], v[197:198], 1.0
	v_fma_f64 v[197:198], v[197:198], v[199:200], v[197:198]
	v_fma_f64 v[199:200], -v[184:185], v[197:198], 1.0
	v_fma_f64 v[197:198], v[197:198], v[199:200], v[197:198]
	v_div_scale_f64 v[199:200], vcc_lo, 1.0, v[182:183], 1.0
	v_mul_f64 v[201:202], v[199:200], v[197:198]
	v_fma_f64 v[184:185], -v[184:185], v[201:202], v[199:200]
	v_div_fmas_f64 v[184:185], v[184:185], v[197:198], v[201:202]
	v_div_fixup_f64 v[182:183], v[184:185], v[182:183], 1.0
	v_mul_f64 v[184:185], v[195:196], -v[182:183]
.LBB88_11:
	s_or_b32 exec_lo, exec_lo, s7
	v_mov_b32_e32 v197, 0
	v_mov_b32_e32 v195, 2
.LBB88_12:
	s_or_b32 exec_lo, exec_lo, s0
	s_mov_b32 s0, exec_lo
	v_cmpx_ne_u32_e64 v0, v190
	s_xor_b32 s0, exec_lo, s0
	s_cbranch_execz .LBB88_18
; %bb.13:
	s_mov_b32 s7, exec_lo
	v_cmpx_eq_u32_e32 0, v0
	s_cbranch_execz .LBB88_17
; %bb.14:
	v_cmp_ne_u32_e32 vcc_lo, 0, v190
	s_xor_b32 s8, s16, -1
	s_and_b32 s9, s8, vcc_lo
	s_and_saveexec_b32 s8, s9
	s_cbranch_execz .LBB88_16
; %bb.15:
	v_ashrrev_i32_e32 v191, 31, v190
	v_lshlrev_b64 v[198:199], 2, v[190:191]
	v_add_co_u32 v198, vcc_lo, v188, v198
	v_add_co_ci_u32_e64 v199, null, v189, v199, vcc_lo
	s_clause 0x1
	global_load_dword v0, v[198:199], off
	global_load_dword v191, v[188:189], off
	s_waitcnt vmcnt(1)
	global_store_dword v[188:189], v0, off
	s_waitcnt vmcnt(0)
	global_store_dword v[198:199], v191, off
.LBB88_16:
	s_or_b32 exec_lo, exec_lo, s8
	v_mov_b32_e32 v0, v190
.LBB88_17:
	s_or_b32 exec_lo, exec_lo, s7
.LBB88_18:
	s_or_saveexec_b32 s0, s0
	v_mov_b32_e32 v196, v0
	s_xor_b32 exec_lo, exec_lo, s0
	s_cbranch_execz .LBB88_20
; %bb.19:
	v_mov_b32_e32 v196, 0
	ds_write2_b64 v1, v[178:179], v[180:181] offset0:2 offset1:3
	ds_write2_b64 v1, v[170:171], v[172:173] offset0:4 offset1:5
	;; [unrolled: 1-line block ×44, first 2 shown]
.LBB88_20:
	s_or_b32 exec_lo, exec_lo, s0
	s_mov_b32 s0, exec_lo
	s_waitcnt lgkmcnt(0)
	s_waitcnt_vscnt null, 0x0
	s_barrier
	buffer_gl0_inv
	v_cmpx_lt_i32_e32 0, v196
	s_cbranch_execz .LBB88_22
; %bb.21:
	v_mul_f64 v[190:191], v[184:185], v[176:177]
	v_mul_f64 v[176:177], v[182:183], v[176:177]
	v_fma_f64 v[190:191], v[182:183], v[174:175], -v[190:191]
	v_fma_f64 v[176:177], v[184:185], v[174:175], v[176:177]
	ds_read2_b64 v[182:185], v1 offset0:2 offset1:3
	s_waitcnt lgkmcnt(0)
	v_mul_f64 v[174:175], v[184:185], v[176:177]
	v_fma_f64 v[174:175], v[182:183], v[190:191], -v[174:175]
	v_mul_f64 v[182:183], v[182:183], v[176:177]
	v_add_f64 v[178:179], v[178:179], -v[174:175]
	v_fma_f64 v[182:183], v[184:185], v[190:191], v[182:183]
	v_add_f64 v[180:181], v[180:181], -v[182:183]
	ds_read2_b64 v[182:185], v1 offset0:4 offset1:5
	s_waitcnt lgkmcnt(0)
	v_mul_f64 v[174:175], v[184:185], v[176:177]
	v_fma_f64 v[174:175], v[182:183], v[190:191], -v[174:175]
	v_mul_f64 v[182:183], v[182:183], v[176:177]
	v_add_f64 v[170:171], v[170:171], -v[174:175]
	v_fma_f64 v[182:183], v[184:185], v[190:191], v[182:183]
	v_add_f64 v[172:173], v[172:173], -v[182:183]
	;; [unrolled: 8-line block ×43, first 2 shown]
	ds_read2_b64 v[182:185], v1 offset0:88 offset1:89
	s_waitcnt lgkmcnt(0)
	v_mul_f64 v[174:175], v[184:185], v[176:177]
	v_fma_f64 v[174:175], v[182:183], v[190:191], -v[174:175]
	v_mul_f64 v[182:183], v[182:183], v[176:177]
	v_add_f64 v[2:3], v[2:3], -v[174:175]
	v_fma_f64 v[182:183], v[184:185], v[190:191], v[182:183]
	v_mov_b32_e32 v174, v190
	v_mov_b32_e32 v175, v191
	v_add_f64 v[4:5], v[4:5], -v[182:183]
.LBB88_22:
	s_or_b32 exec_lo, exec_lo, s0
	v_lshl_add_u32 v182, v196, 4, v1
	s_barrier
	buffer_gl0_inv
	v_mov_b32_e32 v190, 1
	ds_write2_b64 v182, v[178:179], v[180:181] offset1:1
	s_waitcnt lgkmcnt(0)
	s_barrier
	buffer_gl0_inv
	ds_read2_b64 v[182:185], v1 offset0:2 offset1:3
	s_cmp_lt_i32 s1, 3
	s_cbranch_scc1 .LBB88_25
; %bb.23:
	v_add3_u32 v191, v192, 0, 32
	v_mov_b32_e32 v190, 1
	s_mov_b32 s7, 2
	s_inst_prefetch 0x1
	.p2align	6
.LBB88_24:                              ; =>This Inner Loop Header: Depth=1
	s_waitcnt lgkmcnt(0)
	v_cmp_gt_f64_e32 vcc_lo, 0, v[184:185]
	v_cmp_gt_f64_e64 s0, 0, v[182:183]
	ds_read2_b64 v[198:201], v191 offset1:1
	v_xor_b32_e32 v203, 0x80000000, v183
	v_xor_b32_e32 v205, 0x80000000, v185
	v_mov_b32_e32 v202, v182
	v_mov_b32_e32 v204, v184
	v_add_nc_u32_e32 v191, 16, v191
	s_waitcnt lgkmcnt(0)
	v_xor_b32_e32 v207, 0x80000000, v201
	v_cndmask_b32_e64 v203, v183, v203, s0
	v_cndmask_b32_e32 v205, v185, v205, vcc_lo
	v_cmp_gt_f64_e32 vcc_lo, 0, v[200:201]
	v_cmp_gt_f64_e64 s0, 0, v[198:199]
	v_mov_b32_e32 v206, v200
	v_add_f64 v[202:203], v[202:203], v[204:205]
	v_xor_b32_e32 v205, 0x80000000, v199
	v_mov_b32_e32 v204, v198
	v_cndmask_b32_e32 v207, v201, v207, vcc_lo
	v_cndmask_b32_e64 v205, v199, v205, s0
	v_add_f64 v[204:205], v[204:205], v[206:207]
	v_cmp_lt_f64_e32 vcc_lo, v[202:203], v[204:205]
	v_cndmask_b32_e32 v183, v183, v199, vcc_lo
	v_cndmask_b32_e32 v182, v182, v198, vcc_lo
	;; [unrolled: 1-line block ×4, first 2 shown]
	v_cndmask_b32_e64 v190, v190, s7, vcc_lo
	s_add_i32 s7, s7, 1
	s_cmp_lg_u32 s1, s7
	s_cbranch_scc1 .LBB88_24
.LBB88_25:
	s_inst_prefetch 0x2
	s_waitcnt lgkmcnt(0)
	v_cmp_neq_f64_e32 vcc_lo, 0, v[182:183]
	v_cmp_neq_f64_e64 s0, 0, v[184:185]
	s_or_b32 s7, vcc_lo, s0
	s_and_saveexec_b32 s0, s7
	s_cbranch_execz .LBB88_31
; %bb.26:
	v_cmp_ngt_f64_e64 s7, |v[182:183]|, |v[184:185]|
	s_and_saveexec_b32 s8, s7
	s_xor_b32 s7, exec_lo, s8
	s_cbranch_execz .LBB88_28
; %bb.27:
	v_div_scale_f64 v[198:199], null, v[184:185], v[184:185], v[182:183]
	v_div_scale_f64 v[204:205], vcc_lo, v[182:183], v[184:185], v[182:183]
	v_rcp_f64_e32 v[200:201], v[198:199]
	v_fma_f64 v[202:203], -v[198:199], v[200:201], 1.0
	v_fma_f64 v[200:201], v[200:201], v[202:203], v[200:201]
	v_fma_f64 v[202:203], -v[198:199], v[200:201], 1.0
	v_fma_f64 v[200:201], v[200:201], v[202:203], v[200:201]
	v_mul_f64 v[202:203], v[204:205], v[200:201]
	v_fma_f64 v[198:199], -v[198:199], v[202:203], v[204:205]
	v_div_fmas_f64 v[198:199], v[198:199], v[200:201], v[202:203]
	v_div_fixup_f64 v[198:199], v[198:199], v[184:185], v[182:183]
	v_fma_f64 v[182:183], v[182:183], v[198:199], v[184:185]
	v_div_scale_f64 v[184:185], null, v[182:183], v[182:183], 1.0
	v_rcp_f64_e32 v[200:201], v[184:185]
	v_fma_f64 v[202:203], -v[184:185], v[200:201], 1.0
	v_fma_f64 v[200:201], v[200:201], v[202:203], v[200:201]
	v_fma_f64 v[202:203], -v[184:185], v[200:201], 1.0
	v_fma_f64 v[200:201], v[200:201], v[202:203], v[200:201]
	v_div_scale_f64 v[202:203], vcc_lo, 1.0, v[182:183], 1.0
	v_mul_f64 v[204:205], v[202:203], v[200:201]
	v_fma_f64 v[184:185], -v[184:185], v[204:205], v[202:203]
	v_div_fmas_f64 v[184:185], v[184:185], v[200:201], v[204:205]
	v_div_fixup_f64 v[184:185], v[184:185], v[182:183], 1.0
	v_mul_f64 v[182:183], v[198:199], v[184:185]
	v_xor_b32_e32 v185, 0x80000000, v185
.LBB88_28:
	s_andn2_saveexec_b32 s7, s7
	s_cbranch_execz .LBB88_30
; %bb.29:
	v_div_scale_f64 v[198:199], null, v[182:183], v[182:183], v[184:185]
	v_div_scale_f64 v[204:205], vcc_lo, v[184:185], v[182:183], v[184:185]
	v_rcp_f64_e32 v[200:201], v[198:199]
	v_fma_f64 v[202:203], -v[198:199], v[200:201], 1.0
	v_fma_f64 v[200:201], v[200:201], v[202:203], v[200:201]
	v_fma_f64 v[202:203], -v[198:199], v[200:201], 1.0
	v_fma_f64 v[200:201], v[200:201], v[202:203], v[200:201]
	v_mul_f64 v[202:203], v[204:205], v[200:201]
	v_fma_f64 v[198:199], -v[198:199], v[202:203], v[204:205]
	v_div_fmas_f64 v[198:199], v[198:199], v[200:201], v[202:203]
	v_div_fixup_f64 v[198:199], v[198:199], v[182:183], v[184:185]
	v_fma_f64 v[182:183], v[184:185], v[198:199], v[182:183]
	v_div_scale_f64 v[184:185], null, v[182:183], v[182:183], 1.0
	v_rcp_f64_e32 v[200:201], v[184:185]
	v_fma_f64 v[202:203], -v[184:185], v[200:201], 1.0
	v_fma_f64 v[200:201], v[200:201], v[202:203], v[200:201]
	v_fma_f64 v[202:203], -v[184:185], v[200:201], 1.0
	v_fma_f64 v[200:201], v[200:201], v[202:203], v[200:201]
	v_div_scale_f64 v[202:203], vcc_lo, 1.0, v[182:183], 1.0
	v_mul_f64 v[204:205], v[202:203], v[200:201]
	v_fma_f64 v[184:185], -v[184:185], v[204:205], v[202:203]
	v_div_fmas_f64 v[184:185], v[184:185], v[200:201], v[204:205]
	v_div_fixup_f64 v[182:183], v[184:185], v[182:183], 1.0
	v_mul_f64 v[184:185], v[198:199], -v[182:183]
.LBB88_30:
	s_or_b32 exec_lo, exec_lo, s7
	v_mov_b32_e32 v195, v197
.LBB88_31:
	s_or_b32 exec_lo, exec_lo, s0
	s_mov_b32 s0, exec_lo
	v_cmpx_ne_u32_e64 v196, v190
	s_xor_b32 s0, exec_lo, s0
	s_cbranch_execz .LBB88_37
; %bb.32:
	s_mov_b32 s7, exec_lo
	v_cmpx_eq_u32_e32 1, v196
	s_cbranch_execz .LBB88_36
; %bb.33:
	v_cmp_ne_u32_e32 vcc_lo, 1, v190
	s_xor_b32 s8, s16, -1
	s_and_b32 s9, s8, vcc_lo
	s_and_saveexec_b32 s8, s9
	s_cbranch_execz .LBB88_35
; %bb.34:
	v_ashrrev_i32_e32 v191, 31, v190
	v_lshlrev_b64 v[196:197], 2, v[190:191]
	v_add_co_u32 v196, vcc_lo, v188, v196
	v_add_co_ci_u32_e64 v197, null, v189, v197, vcc_lo
	s_clause 0x1
	global_load_dword v0, v[196:197], off
	global_load_dword v191, v[188:189], off offset:4
	s_waitcnt vmcnt(1)
	global_store_dword v[188:189], v0, off offset:4
	s_waitcnt vmcnt(0)
	global_store_dword v[196:197], v191, off
.LBB88_35:
	s_or_b32 exec_lo, exec_lo, s8
	v_mov_b32_e32 v196, v190
	v_mov_b32_e32 v0, v190
.LBB88_36:
	s_or_b32 exec_lo, exec_lo, s7
.LBB88_37:
	s_andn2_saveexec_b32 s0, s0
	s_cbranch_execz .LBB88_39
; %bb.38:
	v_mov_b32_e32 v196, 1
	ds_write2_b64 v1, v[170:171], v[172:173] offset0:4 offset1:5
	ds_write2_b64 v1, v[162:163], v[164:165] offset0:6 offset1:7
	;; [unrolled: 1-line block ×43, first 2 shown]
.LBB88_39:
	s_or_b32 exec_lo, exec_lo, s0
	s_mov_b32 s0, exec_lo
	s_waitcnt lgkmcnt(0)
	s_waitcnt_vscnt null, 0x0
	s_barrier
	buffer_gl0_inv
	v_cmpx_lt_i32_e32 1, v196
	s_cbranch_execz .LBB88_41
; %bb.40:
	v_mul_f64 v[190:191], v[184:185], v[180:181]
	v_mul_f64 v[180:181], v[182:183], v[180:181]
	v_fma_f64 v[190:191], v[182:183], v[178:179], -v[190:191]
	v_fma_f64 v[180:181], v[184:185], v[178:179], v[180:181]
	ds_read2_b64 v[182:185], v1 offset0:4 offset1:5
	s_waitcnt lgkmcnt(0)
	v_mul_f64 v[178:179], v[184:185], v[180:181]
	v_fma_f64 v[178:179], v[182:183], v[190:191], -v[178:179]
	v_mul_f64 v[182:183], v[182:183], v[180:181]
	v_add_f64 v[170:171], v[170:171], -v[178:179]
	v_fma_f64 v[182:183], v[184:185], v[190:191], v[182:183]
	v_add_f64 v[172:173], v[172:173], -v[182:183]
	ds_read2_b64 v[182:185], v1 offset0:6 offset1:7
	s_waitcnt lgkmcnt(0)
	v_mul_f64 v[178:179], v[184:185], v[180:181]
	v_fma_f64 v[178:179], v[182:183], v[190:191], -v[178:179]
	v_mul_f64 v[182:183], v[182:183], v[180:181]
	v_add_f64 v[162:163], v[162:163], -v[178:179]
	v_fma_f64 v[182:183], v[184:185], v[190:191], v[182:183]
	v_add_f64 v[164:165], v[164:165], -v[182:183]
	;; [unrolled: 8-line block ×42, first 2 shown]
	ds_read2_b64 v[182:185], v1 offset0:88 offset1:89
	s_waitcnt lgkmcnt(0)
	v_mul_f64 v[178:179], v[184:185], v[180:181]
	v_fma_f64 v[178:179], v[182:183], v[190:191], -v[178:179]
	v_mul_f64 v[182:183], v[182:183], v[180:181]
	v_add_f64 v[2:3], v[2:3], -v[178:179]
	v_fma_f64 v[182:183], v[184:185], v[190:191], v[182:183]
	v_mov_b32_e32 v178, v190
	v_mov_b32_e32 v179, v191
	v_add_f64 v[4:5], v[4:5], -v[182:183]
.LBB88_41:
	s_or_b32 exec_lo, exec_lo, s0
	v_lshl_add_u32 v182, v196, 4, v1
	s_barrier
	buffer_gl0_inv
	v_mov_b32_e32 v190, 2
	ds_write2_b64 v182, v[170:171], v[172:173] offset1:1
	s_waitcnt lgkmcnt(0)
	s_barrier
	buffer_gl0_inv
	ds_read2_b64 v[182:185], v1 offset0:4 offset1:5
	s_cmp_lt_i32 s1, 4
	s_cbranch_scc1 .LBB88_44
; %bb.42:
	v_add3_u32 v191, v192, 0, 48
	v_mov_b32_e32 v190, 2
	s_mov_b32 s7, 3
	s_inst_prefetch 0x1
	.p2align	6
.LBB88_43:                              ; =>This Inner Loop Header: Depth=1
	s_waitcnt lgkmcnt(0)
	v_cmp_gt_f64_e32 vcc_lo, 0, v[184:185]
	v_cmp_gt_f64_e64 s0, 0, v[182:183]
	ds_read2_b64 v[197:200], v191 offset1:1
	v_xor_b32_e32 v202, 0x80000000, v183
	v_xor_b32_e32 v204, 0x80000000, v185
	v_mov_b32_e32 v201, v182
	v_mov_b32_e32 v203, v184
	v_add_nc_u32_e32 v191, 16, v191
	s_waitcnt lgkmcnt(0)
	v_xor_b32_e32 v206, 0x80000000, v200
	v_cndmask_b32_e64 v202, v183, v202, s0
	v_cndmask_b32_e32 v204, v185, v204, vcc_lo
	v_cmp_gt_f64_e32 vcc_lo, 0, v[199:200]
	v_cmp_gt_f64_e64 s0, 0, v[197:198]
	v_mov_b32_e32 v205, v199
	v_add_f64 v[201:202], v[201:202], v[203:204]
	v_xor_b32_e32 v204, 0x80000000, v198
	v_mov_b32_e32 v203, v197
	v_cndmask_b32_e32 v206, v200, v206, vcc_lo
	v_cndmask_b32_e64 v204, v198, v204, s0
	v_add_f64 v[203:204], v[203:204], v[205:206]
	v_cmp_lt_f64_e32 vcc_lo, v[201:202], v[203:204]
	v_cndmask_b32_e32 v183, v183, v198, vcc_lo
	v_cndmask_b32_e32 v182, v182, v197, vcc_lo
	;; [unrolled: 1-line block ×4, first 2 shown]
	v_cndmask_b32_e64 v190, v190, s7, vcc_lo
	s_add_i32 s7, s7, 1
	s_cmp_lg_u32 s1, s7
	s_cbranch_scc1 .LBB88_43
.LBB88_44:
	s_inst_prefetch 0x2
	s_waitcnt lgkmcnt(0)
	v_cmp_eq_f64_e32 vcc_lo, 0, v[182:183]
	v_cmp_eq_f64_e64 s0, 0, v[184:185]
	s_and_b32 s0, vcc_lo, s0
	s_and_saveexec_b32 s7, s0
	s_xor_b32 s0, exec_lo, s7
; %bb.45:
	v_cmp_ne_u32_e32 vcc_lo, 0, v195
	v_cndmask_b32_e32 v195, 3, v195, vcc_lo
; %bb.46:
	s_andn2_saveexec_b32 s0, s0
	s_cbranch_execz .LBB88_52
; %bb.47:
	v_cmp_ngt_f64_e64 s7, |v[182:183]|, |v[184:185]|
	s_and_saveexec_b32 s8, s7
	s_xor_b32 s7, exec_lo, s8
	s_cbranch_execz .LBB88_49
; %bb.48:
	v_div_scale_f64 v[197:198], null, v[184:185], v[184:185], v[182:183]
	v_div_scale_f64 v[203:204], vcc_lo, v[182:183], v[184:185], v[182:183]
	v_rcp_f64_e32 v[199:200], v[197:198]
	v_fma_f64 v[201:202], -v[197:198], v[199:200], 1.0
	v_fma_f64 v[199:200], v[199:200], v[201:202], v[199:200]
	v_fma_f64 v[201:202], -v[197:198], v[199:200], 1.0
	v_fma_f64 v[199:200], v[199:200], v[201:202], v[199:200]
	v_mul_f64 v[201:202], v[203:204], v[199:200]
	v_fma_f64 v[197:198], -v[197:198], v[201:202], v[203:204]
	v_div_fmas_f64 v[197:198], v[197:198], v[199:200], v[201:202]
	v_div_fixup_f64 v[197:198], v[197:198], v[184:185], v[182:183]
	v_fma_f64 v[182:183], v[182:183], v[197:198], v[184:185]
	v_div_scale_f64 v[184:185], null, v[182:183], v[182:183], 1.0
	v_rcp_f64_e32 v[199:200], v[184:185]
	v_fma_f64 v[201:202], -v[184:185], v[199:200], 1.0
	v_fma_f64 v[199:200], v[199:200], v[201:202], v[199:200]
	v_fma_f64 v[201:202], -v[184:185], v[199:200], 1.0
	v_fma_f64 v[199:200], v[199:200], v[201:202], v[199:200]
	v_div_scale_f64 v[201:202], vcc_lo, 1.0, v[182:183], 1.0
	v_mul_f64 v[203:204], v[201:202], v[199:200]
	v_fma_f64 v[184:185], -v[184:185], v[203:204], v[201:202]
	v_div_fmas_f64 v[184:185], v[184:185], v[199:200], v[203:204]
	v_div_fixup_f64 v[184:185], v[184:185], v[182:183], 1.0
	v_mul_f64 v[182:183], v[197:198], v[184:185]
	v_xor_b32_e32 v185, 0x80000000, v185
.LBB88_49:
	s_andn2_saveexec_b32 s7, s7
	s_cbranch_execz .LBB88_51
; %bb.50:
	v_div_scale_f64 v[197:198], null, v[182:183], v[182:183], v[184:185]
	v_div_scale_f64 v[203:204], vcc_lo, v[184:185], v[182:183], v[184:185]
	v_rcp_f64_e32 v[199:200], v[197:198]
	v_fma_f64 v[201:202], -v[197:198], v[199:200], 1.0
	v_fma_f64 v[199:200], v[199:200], v[201:202], v[199:200]
	v_fma_f64 v[201:202], -v[197:198], v[199:200], 1.0
	v_fma_f64 v[199:200], v[199:200], v[201:202], v[199:200]
	v_mul_f64 v[201:202], v[203:204], v[199:200]
	v_fma_f64 v[197:198], -v[197:198], v[201:202], v[203:204]
	v_div_fmas_f64 v[197:198], v[197:198], v[199:200], v[201:202]
	v_div_fixup_f64 v[197:198], v[197:198], v[182:183], v[184:185]
	v_fma_f64 v[182:183], v[184:185], v[197:198], v[182:183]
	v_div_scale_f64 v[184:185], null, v[182:183], v[182:183], 1.0
	v_rcp_f64_e32 v[199:200], v[184:185]
	v_fma_f64 v[201:202], -v[184:185], v[199:200], 1.0
	v_fma_f64 v[199:200], v[199:200], v[201:202], v[199:200]
	v_fma_f64 v[201:202], -v[184:185], v[199:200], 1.0
	v_fma_f64 v[199:200], v[199:200], v[201:202], v[199:200]
	v_div_scale_f64 v[201:202], vcc_lo, 1.0, v[182:183], 1.0
	v_mul_f64 v[203:204], v[201:202], v[199:200]
	v_fma_f64 v[184:185], -v[184:185], v[203:204], v[201:202]
	v_div_fmas_f64 v[184:185], v[184:185], v[199:200], v[203:204]
	v_div_fixup_f64 v[182:183], v[184:185], v[182:183], 1.0
	v_mul_f64 v[184:185], v[197:198], -v[182:183]
.LBB88_51:
	s_or_b32 exec_lo, exec_lo, s7
.LBB88_52:
	s_or_b32 exec_lo, exec_lo, s0
	s_mov_b32 s0, exec_lo
	v_cmpx_ne_u32_e64 v196, v190
	s_xor_b32 s0, exec_lo, s0
	s_cbranch_execz .LBB88_58
; %bb.53:
	s_mov_b32 s7, exec_lo
	v_cmpx_eq_u32_e32 2, v196
	s_cbranch_execz .LBB88_57
; %bb.54:
	v_cmp_ne_u32_e32 vcc_lo, 2, v190
	s_xor_b32 s8, s16, -1
	s_and_b32 s9, s8, vcc_lo
	s_and_saveexec_b32 s8, s9
	s_cbranch_execz .LBB88_56
; %bb.55:
	v_ashrrev_i32_e32 v191, 31, v190
	v_lshlrev_b64 v[196:197], 2, v[190:191]
	v_add_co_u32 v196, vcc_lo, v188, v196
	v_add_co_ci_u32_e64 v197, null, v189, v197, vcc_lo
	s_clause 0x1
	global_load_dword v0, v[196:197], off
	global_load_dword v191, v[188:189], off offset:8
	s_waitcnt vmcnt(1)
	global_store_dword v[188:189], v0, off offset:8
	s_waitcnt vmcnt(0)
	global_store_dword v[196:197], v191, off
.LBB88_56:
	s_or_b32 exec_lo, exec_lo, s8
	v_mov_b32_e32 v196, v190
	v_mov_b32_e32 v0, v190
.LBB88_57:
	s_or_b32 exec_lo, exec_lo, s7
.LBB88_58:
	s_andn2_saveexec_b32 s0, s0
	s_cbranch_execz .LBB88_60
; %bb.59:
	v_mov_b32_e32 v196, 2
	ds_write2_b64 v1, v[162:163], v[164:165] offset0:6 offset1:7
	ds_write2_b64 v1, v[166:167], v[168:169] offset0:8 offset1:9
	;; [unrolled: 1-line block ×42, first 2 shown]
.LBB88_60:
	s_or_b32 exec_lo, exec_lo, s0
	s_mov_b32 s0, exec_lo
	s_waitcnt lgkmcnt(0)
	s_waitcnt_vscnt null, 0x0
	s_barrier
	buffer_gl0_inv
	v_cmpx_lt_i32_e32 2, v196
	s_cbranch_execz .LBB88_62
; %bb.61:
	v_mul_f64 v[190:191], v[184:185], v[172:173]
	v_mul_f64 v[172:173], v[182:183], v[172:173]
	v_fma_f64 v[190:191], v[182:183], v[170:171], -v[190:191]
	v_fma_f64 v[172:173], v[184:185], v[170:171], v[172:173]
	ds_read2_b64 v[182:185], v1 offset0:6 offset1:7
	s_waitcnt lgkmcnt(0)
	v_mul_f64 v[170:171], v[184:185], v[172:173]
	v_fma_f64 v[170:171], v[182:183], v[190:191], -v[170:171]
	v_mul_f64 v[182:183], v[182:183], v[172:173]
	v_add_f64 v[162:163], v[162:163], -v[170:171]
	v_fma_f64 v[182:183], v[184:185], v[190:191], v[182:183]
	v_add_f64 v[164:165], v[164:165], -v[182:183]
	ds_read2_b64 v[182:185], v1 offset0:8 offset1:9
	s_waitcnt lgkmcnt(0)
	v_mul_f64 v[170:171], v[184:185], v[172:173]
	v_fma_f64 v[170:171], v[182:183], v[190:191], -v[170:171]
	v_mul_f64 v[182:183], v[182:183], v[172:173]
	v_add_f64 v[166:167], v[166:167], -v[170:171]
	v_fma_f64 v[182:183], v[184:185], v[190:191], v[182:183]
	v_add_f64 v[168:169], v[168:169], -v[182:183]
	;; [unrolled: 8-line block ×41, first 2 shown]
	ds_read2_b64 v[182:185], v1 offset0:88 offset1:89
	s_waitcnt lgkmcnt(0)
	v_mul_f64 v[170:171], v[184:185], v[172:173]
	v_fma_f64 v[170:171], v[182:183], v[190:191], -v[170:171]
	v_mul_f64 v[182:183], v[182:183], v[172:173]
	v_add_f64 v[2:3], v[2:3], -v[170:171]
	v_fma_f64 v[182:183], v[184:185], v[190:191], v[182:183]
	v_mov_b32_e32 v170, v190
	v_mov_b32_e32 v171, v191
	v_add_f64 v[4:5], v[4:5], -v[182:183]
.LBB88_62:
	s_or_b32 exec_lo, exec_lo, s0
	v_lshl_add_u32 v182, v196, 4, v1
	s_barrier
	buffer_gl0_inv
	v_mov_b32_e32 v190, 3
	ds_write2_b64 v182, v[162:163], v[164:165] offset1:1
	s_waitcnt lgkmcnt(0)
	s_barrier
	buffer_gl0_inv
	ds_read2_b64 v[182:185], v1 offset0:6 offset1:7
	s_cmp_lt_i32 s1, 5
	s_mov_b32 s7, 4
	s_cbranch_scc1 .LBB88_65
; %bb.63:
	v_add3_u32 v191, v192, 0, 64
	v_mov_b32_e32 v190, 3
	s_inst_prefetch 0x1
	.p2align	6
.LBB88_64:                              ; =>This Inner Loop Header: Depth=1
	s_waitcnt lgkmcnt(0)
	v_cmp_gt_f64_e32 vcc_lo, 0, v[184:185]
	v_cmp_gt_f64_e64 s0, 0, v[182:183]
	ds_read2_b64 v[197:200], v191 offset1:1
	v_xor_b32_e32 v202, 0x80000000, v183
	v_xor_b32_e32 v204, 0x80000000, v185
	v_mov_b32_e32 v201, v182
	v_mov_b32_e32 v203, v184
	v_add_nc_u32_e32 v191, 16, v191
	s_waitcnt lgkmcnt(0)
	v_xor_b32_e32 v206, 0x80000000, v200
	v_cndmask_b32_e64 v202, v183, v202, s0
	v_cndmask_b32_e32 v204, v185, v204, vcc_lo
	v_cmp_gt_f64_e32 vcc_lo, 0, v[199:200]
	v_cmp_gt_f64_e64 s0, 0, v[197:198]
	v_mov_b32_e32 v205, v199
	v_add_f64 v[201:202], v[201:202], v[203:204]
	v_xor_b32_e32 v204, 0x80000000, v198
	v_mov_b32_e32 v203, v197
	v_cndmask_b32_e32 v206, v200, v206, vcc_lo
	v_cndmask_b32_e64 v204, v198, v204, s0
	v_add_f64 v[203:204], v[203:204], v[205:206]
	v_cmp_lt_f64_e32 vcc_lo, v[201:202], v[203:204]
	v_cndmask_b32_e32 v183, v183, v198, vcc_lo
	v_cndmask_b32_e32 v182, v182, v197, vcc_lo
	;; [unrolled: 1-line block ×4, first 2 shown]
	v_cndmask_b32_e64 v190, v190, s7, vcc_lo
	s_add_i32 s7, s7, 1
	s_cmp_lg_u32 s1, s7
	s_cbranch_scc1 .LBB88_64
.LBB88_65:
	s_inst_prefetch 0x2
	s_waitcnt lgkmcnt(0)
	v_cmp_eq_f64_e32 vcc_lo, 0, v[182:183]
	v_cmp_eq_f64_e64 s0, 0, v[184:185]
	s_and_b32 s0, vcc_lo, s0
	s_and_saveexec_b32 s7, s0
	s_xor_b32 s0, exec_lo, s7
; %bb.66:
	v_cmp_ne_u32_e32 vcc_lo, 0, v195
	v_cndmask_b32_e32 v195, 4, v195, vcc_lo
; %bb.67:
	s_andn2_saveexec_b32 s0, s0
	s_cbranch_execz .LBB88_73
; %bb.68:
	v_cmp_ngt_f64_e64 s7, |v[182:183]|, |v[184:185]|
	s_and_saveexec_b32 s8, s7
	s_xor_b32 s7, exec_lo, s8
	s_cbranch_execz .LBB88_70
; %bb.69:
	v_div_scale_f64 v[197:198], null, v[184:185], v[184:185], v[182:183]
	v_div_scale_f64 v[203:204], vcc_lo, v[182:183], v[184:185], v[182:183]
	v_rcp_f64_e32 v[199:200], v[197:198]
	v_fma_f64 v[201:202], -v[197:198], v[199:200], 1.0
	v_fma_f64 v[199:200], v[199:200], v[201:202], v[199:200]
	v_fma_f64 v[201:202], -v[197:198], v[199:200], 1.0
	v_fma_f64 v[199:200], v[199:200], v[201:202], v[199:200]
	v_mul_f64 v[201:202], v[203:204], v[199:200]
	v_fma_f64 v[197:198], -v[197:198], v[201:202], v[203:204]
	v_div_fmas_f64 v[197:198], v[197:198], v[199:200], v[201:202]
	v_div_fixup_f64 v[197:198], v[197:198], v[184:185], v[182:183]
	v_fma_f64 v[182:183], v[182:183], v[197:198], v[184:185]
	v_div_scale_f64 v[184:185], null, v[182:183], v[182:183], 1.0
	v_rcp_f64_e32 v[199:200], v[184:185]
	v_fma_f64 v[201:202], -v[184:185], v[199:200], 1.0
	v_fma_f64 v[199:200], v[199:200], v[201:202], v[199:200]
	v_fma_f64 v[201:202], -v[184:185], v[199:200], 1.0
	v_fma_f64 v[199:200], v[199:200], v[201:202], v[199:200]
	v_div_scale_f64 v[201:202], vcc_lo, 1.0, v[182:183], 1.0
	v_mul_f64 v[203:204], v[201:202], v[199:200]
	v_fma_f64 v[184:185], -v[184:185], v[203:204], v[201:202]
	v_div_fmas_f64 v[184:185], v[184:185], v[199:200], v[203:204]
	v_div_fixup_f64 v[184:185], v[184:185], v[182:183], 1.0
	v_mul_f64 v[182:183], v[197:198], v[184:185]
	v_xor_b32_e32 v185, 0x80000000, v185
.LBB88_70:
	s_andn2_saveexec_b32 s7, s7
	s_cbranch_execz .LBB88_72
; %bb.71:
	v_div_scale_f64 v[197:198], null, v[182:183], v[182:183], v[184:185]
	v_div_scale_f64 v[203:204], vcc_lo, v[184:185], v[182:183], v[184:185]
	v_rcp_f64_e32 v[199:200], v[197:198]
	v_fma_f64 v[201:202], -v[197:198], v[199:200], 1.0
	v_fma_f64 v[199:200], v[199:200], v[201:202], v[199:200]
	v_fma_f64 v[201:202], -v[197:198], v[199:200], 1.0
	v_fma_f64 v[199:200], v[199:200], v[201:202], v[199:200]
	v_mul_f64 v[201:202], v[203:204], v[199:200]
	v_fma_f64 v[197:198], -v[197:198], v[201:202], v[203:204]
	v_div_fmas_f64 v[197:198], v[197:198], v[199:200], v[201:202]
	v_div_fixup_f64 v[197:198], v[197:198], v[182:183], v[184:185]
	v_fma_f64 v[182:183], v[184:185], v[197:198], v[182:183]
	v_div_scale_f64 v[184:185], null, v[182:183], v[182:183], 1.0
	v_rcp_f64_e32 v[199:200], v[184:185]
	v_fma_f64 v[201:202], -v[184:185], v[199:200], 1.0
	v_fma_f64 v[199:200], v[199:200], v[201:202], v[199:200]
	v_fma_f64 v[201:202], -v[184:185], v[199:200], 1.0
	v_fma_f64 v[199:200], v[199:200], v[201:202], v[199:200]
	v_div_scale_f64 v[201:202], vcc_lo, 1.0, v[182:183], 1.0
	v_mul_f64 v[203:204], v[201:202], v[199:200]
	v_fma_f64 v[184:185], -v[184:185], v[203:204], v[201:202]
	v_div_fmas_f64 v[184:185], v[184:185], v[199:200], v[203:204]
	v_div_fixup_f64 v[182:183], v[184:185], v[182:183], 1.0
	v_mul_f64 v[184:185], v[197:198], -v[182:183]
.LBB88_72:
	s_or_b32 exec_lo, exec_lo, s7
.LBB88_73:
	s_or_b32 exec_lo, exec_lo, s0
	s_mov_b32 s0, exec_lo
	v_cmpx_ne_u32_e64 v196, v190
	s_xor_b32 s0, exec_lo, s0
	s_cbranch_execz .LBB88_79
; %bb.74:
	s_mov_b32 s7, exec_lo
	v_cmpx_eq_u32_e32 3, v196
	s_cbranch_execz .LBB88_78
; %bb.75:
	v_cmp_ne_u32_e32 vcc_lo, 3, v190
	s_xor_b32 s8, s16, -1
	s_and_b32 s9, s8, vcc_lo
	s_and_saveexec_b32 s8, s9
	s_cbranch_execz .LBB88_77
; %bb.76:
	v_ashrrev_i32_e32 v191, 31, v190
	v_lshlrev_b64 v[196:197], 2, v[190:191]
	v_add_co_u32 v196, vcc_lo, v188, v196
	v_add_co_ci_u32_e64 v197, null, v189, v197, vcc_lo
	s_clause 0x1
	global_load_dword v0, v[196:197], off
	global_load_dword v191, v[188:189], off offset:12
	s_waitcnt vmcnt(1)
	global_store_dword v[188:189], v0, off offset:12
	s_waitcnt vmcnt(0)
	global_store_dword v[196:197], v191, off
.LBB88_77:
	s_or_b32 exec_lo, exec_lo, s8
	v_mov_b32_e32 v196, v190
	v_mov_b32_e32 v0, v190
.LBB88_78:
	s_or_b32 exec_lo, exec_lo, s7
.LBB88_79:
	s_andn2_saveexec_b32 s0, s0
	s_cbranch_execz .LBB88_81
; %bb.80:
	v_mov_b32_e32 v196, 3
	ds_write2_b64 v1, v[166:167], v[168:169] offset0:8 offset1:9
	ds_write2_b64 v1, v[150:151], v[152:153] offset0:10 offset1:11
	;; [unrolled: 1-line block ×41, first 2 shown]
.LBB88_81:
	s_or_b32 exec_lo, exec_lo, s0
	s_mov_b32 s0, exec_lo
	s_waitcnt lgkmcnt(0)
	s_waitcnt_vscnt null, 0x0
	s_barrier
	buffer_gl0_inv
	v_cmpx_lt_i32_e32 3, v196
	s_cbranch_execz .LBB88_83
; %bb.82:
	v_mul_f64 v[190:191], v[184:185], v[164:165]
	v_mul_f64 v[164:165], v[182:183], v[164:165]
	v_fma_f64 v[190:191], v[182:183], v[162:163], -v[190:191]
	v_fma_f64 v[164:165], v[184:185], v[162:163], v[164:165]
	ds_read2_b64 v[182:185], v1 offset0:8 offset1:9
	s_waitcnt lgkmcnt(0)
	v_mul_f64 v[162:163], v[184:185], v[164:165]
	v_fma_f64 v[162:163], v[182:183], v[190:191], -v[162:163]
	v_mul_f64 v[182:183], v[182:183], v[164:165]
	v_add_f64 v[166:167], v[166:167], -v[162:163]
	v_fma_f64 v[182:183], v[184:185], v[190:191], v[182:183]
	v_add_f64 v[168:169], v[168:169], -v[182:183]
	ds_read2_b64 v[182:185], v1 offset0:10 offset1:11
	s_waitcnt lgkmcnt(0)
	v_mul_f64 v[162:163], v[184:185], v[164:165]
	v_fma_f64 v[162:163], v[182:183], v[190:191], -v[162:163]
	v_mul_f64 v[182:183], v[182:183], v[164:165]
	v_add_f64 v[150:151], v[150:151], -v[162:163]
	v_fma_f64 v[182:183], v[184:185], v[190:191], v[182:183]
	v_add_f64 v[152:153], v[152:153], -v[182:183]
	;; [unrolled: 8-line block ×40, first 2 shown]
	ds_read2_b64 v[182:185], v1 offset0:88 offset1:89
	s_waitcnt lgkmcnt(0)
	v_mul_f64 v[162:163], v[184:185], v[164:165]
	v_fma_f64 v[162:163], v[182:183], v[190:191], -v[162:163]
	v_mul_f64 v[182:183], v[182:183], v[164:165]
	v_add_f64 v[2:3], v[2:3], -v[162:163]
	v_fma_f64 v[182:183], v[184:185], v[190:191], v[182:183]
	v_mov_b32_e32 v162, v190
	v_mov_b32_e32 v163, v191
	v_add_f64 v[4:5], v[4:5], -v[182:183]
.LBB88_83:
	s_or_b32 exec_lo, exec_lo, s0
	v_lshl_add_u32 v182, v196, 4, v1
	s_barrier
	buffer_gl0_inv
	v_mov_b32_e32 v190, 4
	ds_write2_b64 v182, v[166:167], v[168:169] offset1:1
	s_waitcnt lgkmcnt(0)
	s_barrier
	buffer_gl0_inv
	ds_read2_b64 v[182:185], v1 offset0:8 offset1:9
	s_cmp_lt_i32 s1, 6
	s_cbranch_scc1 .LBB88_86
; %bb.84:
	v_mov_b32_e32 v190, 4
	v_add3_u32 v191, v192, 0, 0x50
	s_mov_b32 s7, 5
	s_inst_prefetch 0x1
	.p2align	6
.LBB88_85:                              ; =>This Inner Loop Header: Depth=1
	s_waitcnt lgkmcnt(0)
	v_cmp_gt_f64_e32 vcc_lo, 0, v[184:185]
	v_cmp_gt_f64_e64 s0, 0, v[182:183]
	ds_read2_b64 v[197:200], v191 offset1:1
	v_xor_b32_e32 v202, 0x80000000, v183
	v_xor_b32_e32 v204, 0x80000000, v185
	v_mov_b32_e32 v201, v182
	v_mov_b32_e32 v203, v184
	v_add_nc_u32_e32 v191, 16, v191
	s_waitcnt lgkmcnt(0)
	v_xor_b32_e32 v206, 0x80000000, v200
	v_cndmask_b32_e64 v202, v183, v202, s0
	v_cndmask_b32_e32 v204, v185, v204, vcc_lo
	v_cmp_gt_f64_e32 vcc_lo, 0, v[199:200]
	v_cmp_gt_f64_e64 s0, 0, v[197:198]
	v_mov_b32_e32 v205, v199
	v_add_f64 v[201:202], v[201:202], v[203:204]
	v_xor_b32_e32 v204, 0x80000000, v198
	v_mov_b32_e32 v203, v197
	v_cndmask_b32_e32 v206, v200, v206, vcc_lo
	v_cndmask_b32_e64 v204, v198, v204, s0
	v_add_f64 v[203:204], v[203:204], v[205:206]
	v_cmp_lt_f64_e32 vcc_lo, v[201:202], v[203:204]
	v_cndmask_b32_e32 v183, v183, v198, vcc_lo
	v_cndmask_b32_e32 v182, v182, v197, vcc_lo
	;; [unrolled: 1-line block ×4, first 2 shown]
	v_cndmask_b32_e64 v190, v190, s7, vcc_lo
	s_add_i32 s7, s7, 1
	s_cmp_lg_u32 s1, s7
	s_cbranch_scc1 .LBB88_85
.LBB88_86:
	s_inst_prefetch 0x2
	s_waitcnt lgkmcnt(0)
	v_cmp_eq_f64_e32 vcc_lo, 0, v[182:183]
	v_cmp_eq_f64_e64 s0, 0, v[184:185]
	s_and_b32 s0, vcc_lo, s0
	s_and_saveexec_b32 s7, s0
	s_xor_b32 s0, exec_lo, s7
; %bb.87:
	v_cmp_ne_u32_e32 vcc_lo, 0, v195
	v_cndmask_b32_e32 v195, 5, v195, vcc_lo
; %bb.88:
	s_andn2_saveexec_b32 s0, s0
	s_cbranch_execz .LBB88_94
; %bb.89:
	v_cmp_ngt_f64_e64 s7, |v[182:183]|, |v[184:185]|
	s_and_saveexec_b32 s8, s7
	s_xor_b32 s7, exec_lo, s8
	s_cbranch_execz .LBB88_91
; %bb.90:
	v_div_scale_f64 v[197:198], null, v[184:185], v[184:185], v[182:183]
	v_div_scale_f64 v[203:204], vcc_lo, v[182:183], v[184:185], v[182:183]
	v_rcp_f64_e32 v[199:200], v[197:198]
	v_fma_f64 v[201:202], -v[197:198], v[199:200], 1.0
	v_fma_f64 v[199:200], v[199:200], v[201:202], v[199:200]
	v_fma_f64 v[201:202], -v[197:198], v[199:200], 1.0
	v_fma_f64 v[199:200], v[199:200], v[201:202], v[199:200]
	v_mul_f64 v[201:202], v[203:204], v[199:200]
	v_fma_f64 v[197:198], -v[197:198], v[201:202], v[203:204]
	v_div_fmas_f64 v[197:198], v[197:198], v[199:200], v[201:202]
	v_div_fixup_f64 v[197:198], v[197:198], v[184:185], v[182:183]
	v_fma_f64 v[182:183], v[182:183], v[197:198], v[184:185]
	v_div_scale_f64 v[184:185], null, v[182:183], v[182:183], 1.0
	v_rcp_f64_e32 v[199:200], v[184:185]
	v_fma_f64 v[201:202], -v[184:185], v[199:200], 1.0
	v_fma_f64 v[199:200], v[199:200], v[201:202], v[199:200]
	v_fma_f64 v[201:202], -v[184:185], v[199:200], 1.0
	v_fma_f64 v[199:200], v[199:200], v[201:202], v[199:200]
	v_div_scale_f64 v[201:202], vcc_lo, 1.0, v[182:183], 1.0
	v_mul_f64 v[203:204], v[201:202], v[199:200]
	v_fma_f64 v[184:185], -v[184:185], v[203:204], v[201:202]
	v_div_fmas_f64 v[184:185], v[184:185], v[199:200], v[203:204]
	v_div_fixup_f64 v[184:185], v[184:185], v[182:183], 1.0
	v_mul_f64 v[182:183], v[197:198], v[184:185]
	v_xor_b32_e32 v185, 0x80000000, v185
.LBB88_91:
	s_andn2_saveexec_b32 s7, s7
	s_cbranch_execz .LBB88_93
; %bb.92:
	v_div_scale_f64 v[197:198], null, v[182:183], v[182:183], v[184:185]
	v_div_scale_f64 v[203:204], vcc_lo, v[184:185], v[182:183], v[184:185]
	v_rcp_f64_e32 v[199:200], v[197:198]
	v_fma_f64 v[201:202], -v[197:198], v[199:200], 1.0
	v_fma_f64 v[199:200], v[199:200], v[201:202], v[199:200]
	v_fma_f64 v[201:202], -v[197:198], v[199:200], 1.0
	v_fma_f64 v[199:200], v[199:200], v[201:202], v[199:200]
	v_mul_f64 v[201:202], v[203:204], v[199:200]
	v_fma_f64 v[197:198], -v[197:198], v[201:202], v[203:204]
	v_div_fmas_f64 v[197:198], v[197:198], v[199:200], v[201:202]
	v_div_fixup_f64 v[197:198], v[197:198], v[182:183], v[184:185]
	v_fma_f64 v[182:183], v[184:185], v[197:198], v[182:183]
	v_div_scale_f64 v[184:185], null, v[182:183], v[182:183], 1.0
	v_rcp_f64_e32 v[199:200], v[184:185]
	v_fma_f64 v[201:202], -v[184:185], v[199:200], 1.0
	v_fma_f64 v[199:200], v[199:200], v[201:202], v[199:200]
	v_fma_f64 v[201:202], -v[184:185], v[199:200], 1.0
	v_fma_f64 v[199:200], v[199:200], v[201:202], v[199:200]
	v_div_scale_f64 v[201:202], vcc_lo, 1.0, v[182:183], 1.0
	v_mul_f64 v[203:204], v[201:202], v[199:200]
	v_fma_f64 v[184:185], -v[184:185], v[203:204], v[201:202]
	v_div_fmas_f64 v[184:185], v[184:185], v[199:200], v[203:204]
	v_div_fixup_f64 v[182:183], v[184:185], v[182:183], 1.0
	v_mul_f64 v[184:185], v[197:198], -v[182:183]
.LBB88_93:
	s_or_b32 exec_lo, exec_lo, s7
.LBB88_94:
	s_or_b32 exec_lo, exec_lo, s0
	s_mov_b32 s0, exec_lo
	v_cmpx_ne_u32_e64 v196, v190
	s_xor_b32 s0, exec_lo, s0
	s_cbranch_execz .LBB88_100
; %bb.95:
	s_mov_b32 s7, exec_lo
	v_cmpx_eq_u32_e32 4, v196
	s_cbranch_execz .LBB88_99
; %bb.96:
	v_cmp_ne_u32_e32 vcc_lo, 4, v190
	s_xor_b32 s8, s16, -1
	s_and_b32 s9, s8, vcc_lo
	s_and_saveexec_b32 s8, s9
	s_cbranch_execz .LBB88_98
; %bb.97:
	v_ashrrev_i32_e32 v191, 31, v190
	v_lshlrev_b64 v[196:197], 2, v[190:191]
	v_add_co_u32 v196, vcc_lo, v188, v196
	v_add_co_ci_u32_e64 v197, null, v189, v197, vcc_lo
	s_clause 0x1
	global_load_dword v0, v[196:197], off
	global_load_dword v191, v[188:189], off offset:16
	s_waitcnt vmcnt(1)
	global_store_dword v[188:189], v0, off offset:16
	s_waitcnt vmcnt(0)
	global_store_dword v[196:197], v191, off
.LBB88_98:
	s_or_b32 exec_lo, exec_lo, s8
	v_mov_b32_e32 v196, v190
	v_mov_b32_e32 v0, v190
.LBB88_99:
	s_or_b32 exec_lo, exec_lo, s7
.LBB88_100:
	s_andn2_saveexec_b32 s0, s0
	s_cbranch_execz .LBB88_102
; %bb.101:
	v_mov_b32_e32 v196, 4
	ds_write2_b64 v1, v[150:151], v[152:153] offset0:10 offset1:11
	ds_write2_b64 v1, v[158:159], v[160:161] offset0:12 offset1:13
	;; [unrolled: 1-line block ×40, first 2 shown]
.LBB88_102:
	s_or_b32 exec_lo, exec_lo, s0
	s_mov_b32 s0, exec_lo
	s_waitcnt lgkmcnt(0)
	s_waitcnt_vscnt null, 0x0
	s_barrier
	buffer_gl0_inv
	v_cmpx_lt_i32_e32 4, v196
	s_cbranch_execz .LBB88_104
; %bb.103:
	v_mul_f64 v[190:191], v[184:185], v[168:169]
	v_mul_f64 v[168:169], v[182:183], v[168:169]
	v_fma_f64 v[190:191], v[182:183], v[166:167], -v[190:191]
	v_fma_f64 v[168:169], v[184:185], v[166:167], v[168:169]
	ds_read2_b64 v[182:185], v1 offset0:10 offset1:11
	s_waitcnt lgkmcnt(0)
	v_mul_f64 v[166:167], v[184:185], v[168:169]
	v_fma_f64 v[166:167], v[182:183], v[190:191], -v[166:167]
	v_mul_f64 v[182:183], v[182:183], v[168:169]
	v_add_f64 v[150:151], v[150:151], -v[166:167]
	v_fma_f64 v[182:183], v[184:185], v[190:191], v[182:183]
	v_add_f64 v[152:153], v[152:153], -v[182:183]
	ds_read2_b64 v[182:185], v1 offset0:12 offset1:13
	s_waitcnt lgkmcnt(0)
	v_mul_f64 v[166:167], v[184:185], v[168:169]
	v_fma_f64 v[166:167], v[182:183], v[190:191], -v[166:167]
	v_mul_f64 v[182:183], v[182:183], v[168:169]
	v_add_f64 v[158:159], v[158:159], -v[166:167]
	v_fma_f64 v[182:183], v[184:185], v[190:191], v[182:183]
	v_add_f64 v[160:161], v[160:161], -v[182:183]
	;; [unrolled: 8-line block ×39, first 2 shown]
	ds_read2_b64 v[182:185], v1 offset0:88 offset1:89
	s_waitcnt lgkmcnt(0)
	v_mul_f64 v[166:167], v[184:185], v[168:169]
	v_fma_f64 v[166:167], v[182:183], v[190:191], -v[166:167]
	v_mul_f64 v[182:183], v[182:183], v[168:169]
	v_add_f64 v[2:3], v[2:3], -v[166:167]
	v_fma_f64 v[182:183], v[184:185], v[190:191], v[182:183]
	v_mov_b32_e32 v166, v190
	v_mov_b32_e32 v167, v191
	v_add_f64 v[4:5], v[4:5], -v[182:183]
.LBB88_104:
	s_or_b32 exec_lo, exec_lo, s0
	v_lshl_add_u32 v182, v196, 4, v1
	s_barrier
	buffer_gl0_inv
	v_mov_b32_e32 v190, 5
	ds_write2_b64 v182, v[150:151], v[152:153] offset1:1
	s_waitcnt lgkmcnt(0)
	s_barrier
	buffer_gl0_inv
	ds_read2_b64 v[182:185], v1 offset0:10 offset1:11
	s_cmp_lt_i32 s1, 7
	s_cbranch_scc1 .LBB88_107
; %bb.105:
	v_add3_u32 v191, v192, 0, 0x60
	v_mov_b32_e32 v190, 5
	s_mov_b32 s7, 6
	s_inst_prefetch 0x1
	.p2align	6
.LBB88_106:                             ; =>This Inner Loop Header: Depth=1
	s_waitcnt lgkmcnt(0)
	v_cmp_gt_f64_e32 vcc_lo, 0, v[184:185]
	v_cmp_gt_f64_e64 s0, 0, v[182:183]
	ds_read2_b64 v[197:200], v191 offset1:1
	v_xor_b32_e32 v202, 0x80000000, v183
	v_xor_b32_e32 v204, 0x80000000, v185
	v_mov_b32_e32 v201, v182
	v_mov_b32_e32 v203, v184
	v_add_nc_u32_e32 v191, 16, v191
	s_waitcnt lgkmcnt(0)
	v_xor_b32_e32 v206, 0x80000000, v200
	v_cndmask_b32_e64 v202, v183, v202, s0
	v_cndmask_b32_e32 v204, v185, v204, vcc_lo
	v_cmp_gt_f64_e32 vcc_lo, 0, v[199:200]
	v_cmp_gt_f64_e64 s0, 0, v[197:198]
	v_mov_b32_e32 v205, v199
	v_add_f64 v[201:202], v[201:202], v[203:204]
	v_xor_b32_e32 v204, 0x80000000, v198
	v_mov_b32_e32 v203, v197
	v_cndmask_b32_e32 v206, v200, v206, vcc_lo
	v_cndmask_b32_e64 v204, v198, v204, s0
	v_add_f64 v[203:204], v[203:204], v[205:206]
	v_cmp_lt_f64_e32 vcc_lo, v[201:202], v[203:204]
	v_cndmask_b32_e32 v183, v183, v198, vcc_lo
	v_cndmask_b32_e32 v182, v182, v197, vcc_lo
	;; [unrolled: 1-line block ×4, first 2 shown]
	v_cndmask_b32_e64 v190, v190, s7, vcc_lo
	s_add_i32 s7, s7, 1
	s_cmp_lg_u32 s1, s7
	s_cbranch_scc1 .LBB88_106
.LBB88_107:
	s_inst_prefetch 0x2
	s_waitcnt lgkmcnt(0)
	v_cmp_eq_f64_e32 vcc_lo, 0, v[182:183]
	v_cmp_eq_f64_e64 s0, 0, v[184:185]
	s_and_b32 s0, vcc_lo, s0
	s_and_saveexec_b32 s7, s0
	s_xor_b32 s0, exec_lo, s7
; %bb.108:
	v_cmp_ne_u32_e32 vcc_lo, 0, v195
	v_cndmask_b32_e32 v195, 6, v195, vcc_lo
; %bb.109:
	s_andn2_saveexec_b32 s0, s0
	s_cbranch_execz .LBB88_115
; %bb.110:
	v_cmp_ngt_f64_e64 s7, |v[182:183]|, |v[184:185]|
	s_and_saveexec_b32 s8, s7
	s_xor_b32 s7, exec_lo, s8
	s_cbranch_execz .LBB88_112
; %bb.111:
	v_div_scale_f64 v[197:198], null, v[184:185], v[184:185], v[182:183]
	v_div_scale_f64 v[203:204], vcc_lo, v[182:183], v[184:185], v[182:183]
	v_rcp_f64_e32 v[199:200], v[197:198]
	v_fma_f64 v[201:202], -v[197:198], v[199:200], 1.0
	v_fma_f64 v[199:200], v[199:200], v[201:202], v[199:200]
	v_fma_f64 v[201:202], -v[197:198], v[199:200], 1.0
	v_fma_f64 v[199:200], v[199:200], v[201:202], v[199:200]
	v_mul_f64 v[201:202], v[203:204], v[199:200]
	v_fma_f64 v[197:198], -v[197:198], v[201:202], v[203:204]
	v_div_fmas_f64 v[197:198], v[197:198], v[199:200], v[201:202]
	v_div_fixup_f64 v[197:198], v[197:198], v[184:185], v[182:183]
	v_fma_f64 v[182:183], v[182:183], v[197:198], v[184:185]
	v_div_scale_f64 v[184:185], null, v[182:183], v[182:183], 1.0
	v_rcp_f64_e32 v[199:200], v[184:185]
	v_fma_f64 v[201:202], -v[184:185], v[199:200], 1.0
	v_fma_f64 v[199:200], v[199:200], v[201:202], v[199:200]
	v_fma_f64 v[201:202], -v[184:185], v[199:200], 1.0
	v_fma_f64 v[199:200], v[199:200], v[201:202], v[199:200]
	v_div_scale_f64 v[201:202], vcc_lo, 1.0, v[182:183], 1.0
	v_mul_f64 v[203:204], v[201:202], v[199:200]
	v_fma_f64 v[184:185], -v[184:185], v[203:204], v[201:202]
	v_div_fmas_f64 v[184:185], v[184:185], v[199:200], v[203:204]
	v_div_fixup_f64 v[184:185], v[184:185], v[182:183], 1.0
	v_mul_f64 v[182:183], v[197:198], v[184:185]
	v_xor_b32_e32 v185, 0x80000000, v185
.LBB88_112:
	s_andn2_saveexec_b32 s7, s7
	s_cbranch_execz .LBB88_114
; %bb.113:
	v_div_scale_f64 v[197:198], null, v[182:183], v[182:183], v[184:185]
	v_div_scale_f64 v[203:204], vcc_lo, v[184:185], v[182:183], v[184:185]
	v_rcp_f64_e32 v[199:200], v[197:198]
	v_fma_f64 v[201:202], -v[197:198], v[199:200], 1.0
	v_fma_f64 v[199:200], v[199:200], v[201:202], v[199:200]
	v_fma_f64 v[201:202], -v[197:198], v[199:200], 1.0
	v_fma_f64 v[199:200], v[199:200], v[201:202], v[199:200]
	v_mul_f64 v[201:202], v[203:204], v[199:200]
	v_fma_f64 v[197:198], -v[197:198], v[201:202], v[203:204]
	v_div_fmas_f64 v[197:198], v[197:198], v[199:200], v[201:202]
	v_div_fixup_f64 v[197:198], v[197:198], v[182:183], v[184:185]
	v_fma_f64 v[182:183], v[184:185], v[197:198], v[182:183]
	v_div_scale_f64 v[184:185], null, v[182:183], v[182:183], 1.0
	v_rcp_f64_e32 v[199:200], v[184:185]
	v_fma_f64 v[201:202], -v[184:185], v[199:200], 1.0
	v_fma_f64 v[199:200], v[199:200], v[201:202], v[199:200]
	v_fma_f64 v[201:202], -v[184:185], v[199:200], 1.0
	v_fma_f64 v[199:200], v[199:200], v[201:202], v[199:200]
	v_div_scale_f64 v[201:202], vcc_lo, 1.0, v[182:183], 1.0
	v_mul_f64 v[203:204], v[201:202], v[199:200]
	v_fma_f64 v[184:185], -v[184:185], v[203:204], v[201:202]
	v_div_fmas_f64 v[184:185], v[184:185], v[199:200], v[203:204]
	v_div_fixup_f64 v[182:183], v[184:185], v[182:183], 1.0
	v_mul_f64 v[184:185], v[197:198], -v[182:183]
.LBB88_114:
	s_or_b32 exec_lo, exec_lo, s7
.LBB88_115:
	s_or_b32 exec_lo, exec_lo, s0
	s_mov_b32 s0, exec_lo
	v_cmpx_ne_u32_e64 v196, v190
	s_xor_b32 s0, exec_lo, s0
	s_cbranch_execz .LBB88_121
; %bb.116:
	s_mov_b32 s7, exec_lo
	v_cmpx_eq_u32_e32 5, v196
	s_cbranch_execz .LBB88_120
; %bb.117:
	v_cmp_ne_u32_e32 vcc_lo, 5, v190
	s_xor_b32 s8, s16, -1
	s_and_b32 s9, s8, vcc_lo
	s_and_saveexec_b32 s8, s9
	s_cbranch_execz .LBB88_119
; %bb.118:
	v_ashrrev_i32_e32 v191, 31, v190
	v_lshlrev_b64 v[196:197], 2, v[190:191]
	v_add_co_u32 v196, vcc_lo, v188, v196
	v_add_co_ci_u32_e64 v197, null, v189, v197, vcc_lo
	s_clause 0x1
	global_load_dword v0, v[196:197], off
	global_load_dword v191, v[188:189], off offset:20
	s_waitcnt vmcnt(1)
	global_store_dword v[188:189], v0, off offset:20
	s_waitcnt vmcnt(0)
	global_store_dword v[196:197], v191, off
.LBB88_119:
	s_or_b32 exec_lo, exec_lo, s8
	v_mov_b32_e32 v196, v190
	v_mov_b32_e32 v0, v190
.LBB88_120:
	s_or_b32 exec_lo, exec_lo, s7
.LBB88_121:
	s_andn2_saveexec_b32 s0, s0
	s_cbranch_execz .LBB88_123
; %bb.122:
	v_mov_b32_e32 v196, 5
	ds_write2_b64 v1, v[158:159], v[160:161] offset0:12 offset1:13
	ds_write2_b64 v1, v[154:155], v[156:157] offset0:14 offset1:15
	;; [unrolled: 1-line block ×39, first 2 shown]
.LBB88_123:
	s_or_b32 exec_lo, exec_lo, s0
	s_mov_b32 s0, exec_lo
	s_waitcnt lgkmcnt(0)
	s_waitcnt_vscnt null, 0x0
	s_barrier
	buffer_gl0_inv
	v_cmpx_lt_i32_e32 5, v196
	s_cbranch_execz .LBB88_125
; %bb.124:
	v_mul_f64 v[190:191], v[184:185], v[152:153]
	v_mul_f64 v[152:153], v[182:183], v[152:153]
	v_fma_f64 v[190:191], v[182:183], v[150:151], -v[190:191]
	v_fma_f64 v[152:153], v[184:185], v[150:151], v[152:153]
	ds_read2_b64 v[182:185], v1 offset0:12 offset1:13
	s_waitcnt lgkmcnt(0)
	v_mul_f64 v[150:151], v[184:185], v[152:153]
	v_fma_f64 v[150:151], v[182:183], v[190:191], -v[150:151]
	v_mul_f64 v[182:183], v[182:183], v[152:153]
	v_add_f64 v[158:159], v[158:159], -v[150:151]
	v_fma_f64 v[182:183], v[184:185], v[190:191], v[182:183]
	v_add_f64 v[160:161], v[160:161], -v[182:183]
	ds_read2_b64 v[182:185], v1 offset0:14 offset1:15
	s_waitcnt lgkmcnt(0)
	v_mul_f64 v[150:151], v[184:185], v[152:153]
	v_fma_f64 v[150:151], v[182:183], v[190:191], -v[150:151]
	v_mul_f64 v[182:183], v[182:183], v[152:153]
	v_add_f64 v[154:155], v[154:155], -v[150:151]
	v_fma_f64 v[182:183], v[184:185], v[190:191], v[182:183]
	v_add_f64 v[156:157], v[156:157], -v[182:183]
	;; [unrolled: 8-line block ×38, first 2 shown]
	ds_read2_b64 v[182:185], v1 offset0:88 offset1:89
	s_waitcnt lgkmcnt(0)
	v_mul_f64 v[150:151], v[184:185], v[152:153]
	v_fma_f64 v[150:151], v[182:183], v[190:191], -v[150:151]
	v_mul_f64 v[182:183], v[182:183], v[152:153]
	v_add_f64 v[2:3], v[2:3], -v[150:151]
	v_fma_f64 v[182:183], v[184:185], v[190:191], v[182:183]
	v_mov_b32_e32 v150, v190
	v_mov_b32_e32 v151, v191
	v_add_f64 v[4:5], v[4:5], -v[182:183]
.LBB88_125:
	s_or_b32 exec_lo, exec_lo, s0
	v_lshl_add_u32 v182, v196, 4, v1
	s_barrier
	buffer_gl0_inv
	v_mov_b32_e32 v190, 6
	ds_write2_b64 v182, v[158:159], v[160:161] offset1:1
	s_waitcnt lgkmcnt(0)
	s_barrier
	buffer_gl0_inv
	ds_read2_b64 v[182:185], v1 offset0:12 offset1:13
	s_cmp_lt_i32 s1, 8
	s_cbranch_scc1 .LBB88_128
; %bb.126:
	v_add3_u32 v191, v192, 0, 0x70
	v_mov_b32_e32 v190, 6
	s_mov_b32 s7, 7
	s_inst_prefetch 0x1
	.p2align	6
.LBB88_127:                             ; =>This Inner Loop Header: Depth=1
	s_waitcnt lgkmcnt(0)
	v_cmp_gt_f64_e32 vcc_lo, 0, v[184:185]
	v_cmp_gt_f64_e64 s0, 0, v[182:183]
	ds_read2_b64 v[197:200], v191 offset1:1
	v_xor_b32_e32 v202, 0x80000000, v183
	v_xor_b32_e32 v204, 0x80000000, v185
	v_mov_b32_e32 v201, v182
	v_mov_b32_e32 v203, v184
	v_add_nc_u32_e32 v191, 16, v191
	s_waitcnt lgkmcnt(0)
	v_xor_b32_e32 v206, 0x80000000, v200
	v_cndmask_b32_e64 v202, v183, v202, s0
	v_cndmask_b32_e32 v204, v185, v204, vcc_lo
	v_cmp_gt_f64_e32 vcc_lo, 0, v[199:200]
	v_cmp_gt_f64_e64 s0, 0, v[197:198]
	v_mov_b32_e32 v205, v199
	v_add_f64 v[201:202], v[201:202], v[203:204]
	v_xor_b32_e32 v204, 0x80000000, v198
	v_mov_b32_e32 v203, v197
	v_cndmask_b32_e32 v206, v200, v206, vcc_lo
	v_cndmask_b32_e64 v204, v198, v204, s0
	v_add_f64 v[203:204], v[203:204], v[205:206]
	v_cmp_lt_f64_e32 vcc_lo, v[201:202], v[203:204]
	v_cndmask_b32_e32 v183, v183, v198, vcc_lo
	v_cndmask_b32_e32 v182, v182, v197, vcc_lo
	v_cndmask_b32_e32 v185, v185, v200, vcc_lo
	v_cndmask_b32_e32 v184, v184, v199, vcc_lo
	v_cndmask_b32_e64 v190, v190, s7, vcc_lo
	s_add_i32 s7, s7, 1
	s_cmp_lg_u32 s1, s7
	s_cbranch_scc1 .LBB88_127
.LBB88_128:
	s_inst_prefetch 0x2
	s_waitcnt lgkmcnt(0)
	v_cmp_eq_f64_e32 vcc_lo, 0, v[182:183]
	v_cmp_eq_f64_e64 s0, 0, v[184:185]
	s_and_b32 s0, vcc_lo, s0
	s_and_saveexec_b32 s7, s0
	s_xor_b32 s0, exec_lo, s7
; %bb.129:
	v_cmp_ne_u32_e32 vcc_lo, 0, v195
	v_cndmask_b32_e32 v195, 7, v195, vcc_lo
; %bb.130:
	s_andn2_saveexec_b32 s0, s0
	s_cbranch_execz .LBB88_136
; %bb.131:
	v_cmp_ngt_f64_e64 s7, |v[182:183]|, |v[184:185]|
	s_and_saveexec_b32 s8, s7
	s_xor_b32 s7, exec_lo, s8
	s_cbranch_execz .LBB88_133
; %bb.132:
	v_div_scale_f64 v[197:198], null, v[184:185], v[184:185], v[182:183]
	v_div_scale_f64 v[203:204], vcc_lo, v[182:183], v[184:185], v[182:183]
	v_rcp_f64_e32 v[199:200], v[197:198]
	v_fma_f64 v[201:202], -v[197:198], v[199:200], 1.0
	v_fma_f64 v[199:200], v[199:200], v[201:202], v[199:200]
	v_fma_f64 v[201:202], -v[197:198], v[199:200], 1.0
	v_fma_f64 v[199:200], v[199:200], v[201:202], v[199:200]
	v_mul_f64 v[201:202], v[203:204], v[199:200]
	v_fma_f64 v[197:198], -v[197:198], v[201:202], v[203:204]
	v_div_fmas_f64 v[197:198], v[197:198], v[199:200], v[201:202]
	v_div_fixup_f64 v[197:198], v[197:198], v[184:185], v[182:183]
	v_fma_f64 v[182:183], v[182:183], v[197:198], v[184:185]
	v_div_scale_f64 v[184:185], null, v[182:183], v[182:183], 1.0
	v_rcp_f64_e32 v[199:200], v[184:185]
	v_fma_f64 v[201:202], -v[184:185], v[199:200], 1.0
	v_fma_f64 v[199:200], v[199:200], v[201:202], v[199:200]
	v_fma_f64 v[201:202], -v[184:185], v[199:200], 1.0
	v_fma_f64 v[199:200], v[199:200], v[201:202], v[199:200]
	v_div_scale_f64 v[201:202], vcc_lo, 1.0, v[182:183], 1.0
	v_mul_f64 v[203:204], v[201:202], v[199:200]
	v_fma_f64 v[184:185], -v[184:185], v[203:204], v[201:202]
	v_div_fmas_f64 v[184:185], v[184:185], v[199:200], v[203:204]
	v_div_fixup_f64 v[184:185], v[184:185], v[182:183], 1.0
	v_mul_f64 v[182:183], v[197:198], v[184:185]
	v_xor_b32_e32 v185, 0x80000000, v185
.LBB88_133:
	s_andn2_saveexec_b32 s7, s7
	s_cbranch_execz .LBB88_135
; %bb.134:
	v_div_scale_f64 v[197:198], null, v[182:183], v[182:183], v[184:185]
	v_div_scale_f64 v[203:204], vcc_lo, v[184:185], v[182:183], v[184:185]
	v_rcp_f64_e32 v[199:200], v[197:198]
	v_fma_f64 v[201:202], -v[197:198], v[199:200], 1.0
	v_fma_f64 v[199:200], v[199:200], v[201:202], v[199:200]
	v_fma_f64 v[201:202], -v[197:198], v[199:200], 1.0
	v_fma_f64 v[199:200], v[199:200], v[201:202], v[199:200]
	v_mul_f64 v[201:202], v[203:204], v[199:200]
	v_fma_f64 v[197:198], -v[197:198], v[201:202], v[203:204]
	v_div_fmas_f64 v[197:198], v[197:198], v[199:200], v[201:202]
	v_div_fixup_f64 v[197:198], v[197:198], v[182:183], v[184:185]
	v_fma_f64 v[182:183], v[184:185], v[197:198], v[182:183]
	v_div_scale_f64 v[184:185], null, v[182:183], v[182:183], 1.0
	v_rcp_f64_e32 v[199:200], v[184:185]
	v_fma_f64 v[201:202], -v[184:185], v[199:200], 1.0
	v_fma_f64 v[199:200], v[199:200], v[201:202], v[199:200]
	v_fma_f64 v[201:202], -v[184:185], v[199:200], 1.0
	v_fma_f64 v[199:200], v[199:200], v[201:202], v[199:200]
	v_div_scale_f64 v[201:202], vcc_lo, 1.0, v[182:183], 1.0
	v_mul_f64 v[203:204], v[201:202], v[199:200]
	v_fma_f64 v[184:185], -v[184:185], v[203:204], v[201:202]
	v_div_fmas_f64 v[184:185], v[184:185], v[199:200], v[203:204]
	v_div_fixup_f64 v[182:183], v[184:185], v[182:183], 1.0
	v_mul_f64 v[184:185], v[197:198], -v[182:183]
.LBB88_135:
	s_or_b32 exec_lo, exec_lo, s7
.LBB88_136:
	s_or_b32 exec_lo, exec_lo, s0
	s_mov_b32 s0, exec_lo
	v_cmpx_ne_u32_e64 v196, v190
	s_xor_b32 s0, exec_lo, s0
	s_cbranch_execz .LBB88_142
; %bb.137:
	s_mov_b32 s7, exec_lo
	v_cmpx_eq_u32_e32 6, v196
	s_cbranch_execz .LBB88_141
; %bb.138:
	v_cmp_ne_u32_e32 vcc_lo, 6, v190
	s_xor_b32 s8, s16, -1
	s_and_b32 s9, s8, vcc_lo
	s_and_saveexec_b32 s8, s9
	s_cbranch_execz .LBB88_140
; %bb.139:
	v_ashrrev_i32_e32 v191, 31, v190
	v_lshlrev_b64 v[196:197], 2, v[190:191]
	v_add_co_u32 v196, vcc_lo, v188, v196
	v_add_co_ci_u32_e64 v197, null, v189, v197, vcc_lo
	s_clause 0x1
	global_load_dword v0, v[196:197], off
	global_load_dword v191, v[188:189], off offset:24
	s_waitcnt vmcnt(1)
	global_store_dword v[188:189], v0, off offset:24
	s_waitcnt vmcnt(0)
	global_store_dword v[196:197], v191, off
.LBB88_140:
	s_or_b32 exec_lo, exec_lo, s8
	v_mov_b32_e32 v196, v190
	v_mov_b32_e32 v0, v190
.LBB88_141:
	s_or_b32 exec_lo, exec_lo, s7
.LBB88_142:
	s_andn2_saveexec_b32 s0, s0
	s_cbranch_execz .LBB88_144
; %bb.143:
	v_mov_b32_e32 v196, 6
	ds_write2_b64 v1, v[154:155], v[156:157] offset0:14 offset1:15
	ds_write2_b64 v1, v[146:147], v[148:149] offset0:16 offset1:17
	;; [unrolled: 1-line block ×38, first 2 shown]
.LBB88_144:
	s_or_b32 exec_lo, exec_lo, s0
	s_mov_b32 s0, exec_lo
	s_waitcnt lgkmcnt(0)
	s_waitcnt_vscnt null, 0x0
	s_barrier
	buffer_gl0_inv
	v_cmpx_lt_i32_e32 6, v196
	s_cbranch_execz .LBB88_146
; %bb.145:
	v_mul_f64 v[190:191], v[184:185], v[160:161]
	v_mul_f64 v[160:161], v[182:183], v[160:161]
	v_fma_f64 v[190:191], v[182:183], v[158:159], -v[190:191]
	v_fma_f64 v[160:161], v[184:185], v[158:159], v[160:161]
	ds_read2_b64 v[182:185], v1 offset0:14 offset1:15
	s_waitcnt lgkmcnt(0)
	v_mul_f64 v[158:159], v[184:185], v[160:161]
	v_fma_f64 v[158:159], v[182:183], v[190:191], -v[158:159]
	v_mul_f64 v[182:183], v[182:183], v[160:161]
	v_add_f64 v[154:155], v[154:155], -v[158:159]
	v_fma_f64 v[182:183], v[184:185], v[190:191], v[182:183]
	v_add_f64 v[156:157], v[156:157], -v[182:183]
	ds_read2_b64 v[182:185], v1 offset0:16 offset1:17
	s_waitcnt lgkmcnt(0)
	v_mul_f64 v[158:159], v[184:185], v[160:161]
	v_fma_f64 v[158:159], v[182:183], v[190:191], -v[158:159]
	v_mul_f64 v[182:183], v[182:183], v[160:161]
	v_add_f64 v[146:147], v[146:147], -v[158:159]
	v_fma_f64 v[182:183], v[184:185], v[190:191], v[182:183]
	v_add_f64 v[148:149], v[148:149], -v[182:183]
	;; [unrolled: 8-line block ×37, first 2 shown]
	ds_read2_b64 v[182:185], v1 offset0:88 offset1:89
	s_waitcnt lgkmcnt(0)
	v_mul_f64 v[158:159], v[184:185], v[160:161]
	v_fma_f64 v[158:159], v[182:183], v[190:191], -v[158:159]
	v_mul_f64 v[182:183], v[182:183], v[160:161]
	v_add_f64 v[2:3], v[2:3], -v[158:159]
	v_fma_f64 v[182:183], v[184:185], v[190:191], v[182:183]
	v_mov_b32_e32 v158, v190
	v_mov_b32_e32 v159, v191
	v_add_f64 v[4:5], v[4:5], -v[182:183]
.LBB88_146:
	s_or_b32 exec_lo, exec_lo, s0
	v_lshl_add_u32 v182, v196, 4, v1
	s_barrier
	buffer_gl0_inv
	v_mov_b32_e32 v190, 7
	ds_write2_b64 v182, v[154:155], v[156:157] offset1:1
	s_waitcnt lgkmcnt(0)
	s_barrier
	buffer_gl0_inv
	ds_read2_b64 v[182:185], v1 offset0:14 offset1:15
	s_cmp_lt_i32 s1, 9
	s_cbranch_scc1 .LBB88_149
; %bb.147:
	v_add3_u32 v191, v192, 0, 0x80
	v_mov_b32_e32 v190, 7
	s_mov_b32 s7, 8
	s_inst_prefetch 0x1
	.p2align	6
.LBB88_148:                             ; =>This Inner Loop Header: Depth=1
	s_waitcnt lgkmcnt(0)
	v_cmp_gt_f64_e32 vcc_lo, 0, v[184:185]
	v_cmp_gt_f64_e64 s0, 0, v[182:183]
	ds_read2_b64 v[197:200], v191 offset1:1
	v_xor_b32_e32 v202, 0x80000000, v183
	v_xor_b32_e32 v204, 0x80000000, v185
	v_mov_b32_e32 v201, v182
	v_mov_b32_e32 v203, v184
	v_add_nc_u32_e32 v191, 16, v191
	s_waitcnt lgkmcnt(0)
	v_xor_b32_e32 v206, 0x80000000, v200
	v_cndmask_b32_e64 v202, v183, v202, s0
	v_cndmask_b32_e32 v204, v185, v204, vcc_lo
	v_cmp_gt_f64_e32 vcc_lo, 0, v[199:200]
	v_cmp_gt_f64_e64 s0, 0, v[197:198]
	v_mov_b32_e32 v205, v199
	v_add_f64 v[201:202], v[201:202], v[203:204]
	v_xor_b32_e32 v204, 0x80000000, v198
	v_mov_b32_e32 v203, v197
	v_cndmask_b32_e32 v206, v200, v206, vcc_lo
	v_cndmask_b32_e64 v204, v198, v204, s0
	v_add_f64 v[203:204], v[203:204], v[205:206]
	v_cmp_lt_f64_e32 vcc_lo, v[201:202], v[203:204]
	v_cndmask_b32_e32 v183, v183, v198, vcc_lo
	v_cndmask_b32_e32 v182, v182, v197, vcc_lo
	;; [unrolled: 1-line block ×4, first 2 shown]
	v_cndmask_b32_e64 v190, v190, s7, vcc_lo
	s_add_i32 s7, s7, 1
	s_cmp_lg_u32 s1, s7
	s_cbranch_scc1 .LBB88_148
.LBB88_149:
	s_inst_prefetch 0x2
	s_waitcnt lgkmcnt(0)
	v_cmp_eq_f64_e32 vcc_lo, 0, v[182:183]
	v_cmp_eq_f64_e64 s0, 0, v[184:185]
	s_and_b32 s0, vcc_lo, s0
	s_and_saveexec_b32 s7, s0
	s_xor_b32 s0, exec_lo, s7
; %bb.150:
	v_cmp_ne_u32_e32 vcc_lo, 0, v195
	v_cndmask_b32_e32 v195, 8, v195, vcc_lo
; %bb.151:
	s_andn2_saveexec_b32 s0, s0
	s_cbranch_execz .LBB88_157
; %bb.152:
	v_cmp_ngt_f64_e64 s7, |v[182:183]|, |v[184:185]|
	s_and_saveexec_b32 s8, s7
	s_xor_b32 s7, exec_lo, s8
	s_cbranch_execz .LBB88_154
; %bb.153:
	v_div_scale_f64 v[197:198], null, v[184:185], v[184:185], v[182:183]
	v_div_scale_f64 v[203:204], vcc_lo, v[182:183], v[184:185], v[182:183]
	v_rcp_f64_e32 v[199:200], v[197:198]
	v_fma_f64 v[201:202], -v[197:198], v[199:200], 1.0
	v_fma_f64 v[199:200], v[199:200], v[201:202], v[199:200]
	v_fma_f64 v[201:202], -v[197:198], v[199:200], 1.0
	v_fma_f64 v[199:200], v[199:200], v[201:202], v[199:200]
	v_mul_f64 v[201:202], v[203:204], v[199:200]
	v_fma_f64 v[197:198], -v[197:198], v[201:202], v[203:204]
	v_div_fmas_f64 v[197:198], v[197:198], v[199:200], v[201:202]
	v_div_fixup_f64 v[197:198], v[197:198], v[184:185], v[182:183]
	v_fma_f64 v[182:183], v[182:183], v[197:198], v[184:185]
	v_div_scale_f64 v[184:185], null, v[182:183], v[182:183], 1.0
	v_rcp_f64_e32 v[199:200], v[184:185]
	v_fma_f64 v[201:202], -v[184:185], v[199:200], 1.0
	v_fma_f64 v[199:200], v[199:200], v[201:202], v[199:200]
	v_fma_f64 v[201:202], -v[184:185], v[199:200], 1.0
	v_fma_f64 v[199:200], v[199:200], v[201:202], v[199:200]
	v_div_scale_f64 v[201:202], vcc_lo, 1.0, v[182:183], 1.0
	v_mul_f64 v[203:204], v[201:202], v[199:200]
	v_fma_f64 v[184:185], -v[184:185], v[203:204], v[201:202]
	v_div_fmas_f64 v[184:185], v[184:185], v[199:200], v[203:204]
	v_div_fixup_f64 v[184:185], v[184:185], v[182:183], 1.0
	v_mul_f64 v[182:183], v[197:198], v[184:185]
	v_xor_b32_e32 v185, 0x80000000, v185
.LBB88_154:
	s_andn2_saveexec_b32 s7, s7
	s_cbranch_execz .LBB88_156
; %bb.155:
	v_div_scale_f64 v[197:198], null, v[182:183], v[182:183], v[184:185]
	v_div_scale_f64 v[203:204], vcc_lo, v[184:185], v[182:183], v[184:185]
	v_rcp_f64_e32 v[199:200], v[197:198]
	v_fma_f64 v[201:202], -v[197:198], v[199:200], 1.0
	v_fma_f64 v[199:200], v[199:200], v[201:202], v[199:200]
	v_fma_f64 v[201:202], -v[197:198], v[199:200], 1.0
	v_fma_f64 v[199:200], v[199:200], v[201:202], v[199:200]
	v_mul_f64 v[201:202], v[203:204], v[199:200]
	v_fma_f64 v[197:198], -v[197:198], v[201:202], v[203:204]
	v_div_fmas_f64 v[197:198], v[197:198], v[199:200], v[201:202]
	v_div_fixup_f64 v[197:198], v[197:198], v[182:183], v[184:185]
	v_fma_f64 v[182:183], v[184:185], v[197:198], v[182:183]
	v_div_scale_f64 v[184:185], null, v[182:183], v[182:183], 1.0
	v_rcp_f64_e32 v[199:200], v[184:185]
	v_fma_f64 v[201:202], -v[184:185], v[199:200], 1.0
	v_fma_f64 v[199:200], v[199:200], v[201:202], v[199:200]
	v_fma_f64 v[201:202], -v[184:185], v[199:200], 1.0
	v_fma_f64 v[199:200], v[199:200], v[201:202], v[199:200]
	v_div_scale_f64 v[201:202], vcc_lo, 1.0, v[182:183], 1.0
	v_mul_f64 v[203:204], v[201:202], v[199:200]
	v_fma_f64 v[184:185], -v[184:185], v[203:204], v[201:202]
	v_div_fmas_f64 v[184:185], v[184:185], v[199:200], v[203:204]
	v_div_fixup_f64 v[182:183], v[184:185], v[182:183], 1.0
	v_mul_f64 v[184:185], v[197:198], -v[182:183]
.LBB88_156:
	s_or_b32 exec_lo, exec_lo, s7
.LBB88_157:
	s_or_b32 exec_lo, exec_lo, s0
	s_mov_b32 s0, exec_lo
	v_cmpx_ne_u32_e64 v196, v190
	s_xor_b32 s0, exec_lo, s0
	s_cbranch_execz .LBB88_163
; %bb.158:
	s_mov_b32 s7, exec_lo
	v_cmpx_eq_u32_e32 7, v196
	s_cbranch_execz .LBB88_162
; %bb.159:
	v_cmp_ne_u32_e32 vcc_lo, 7, v190
	s_xor_b32 s8, s16, -1
	s_and_b32 s9, s8, vcc_lo
	s_and_saveexec_b32 s8, s9
	s_cbranch_execz .LBB88_161
; %bb.160:
	v_ashrrev_i32_e32 v191, 31, v190
	v_lshlrev_b64 v[196:197], 2, v[190:191]
	v_add_co_u32 v196, vcc_lo, v188, v196
	v_add_co_ci_u32_e64 v197, null, v189, v197, vcc_lo
	s_clause 0x1
	global_load_dword v0, v[196:197], off
	global_load_dword v191, v[188:189], off offset:28
	s_waitcnt vmcnt(1)
	global_store_dword v[188:189], v0, off offset:28
	s_waitcnt vmcnt(0)
	global_store_dword v[196:197], v191, off
.LBB88_161:
	s_or_b32 exec_lo, exec_lo, s8
	v_mov_b32_e32 v196, v190
	v_mov_b32_e32 v0, v190
.LBB88_162:
	s_or_b32 exec_lo, exec_lo, s7
.LBB88_163:
	s_andn2_saveexec_b32 s0, s0
	s_cbranch_execz .LBB88_165
; %bb.164:
	v_mov_b32_e32 v196, 7
	ds_write2_b64 v1, v[146:147], v[148:149] offset0:16 offset1:17
	ds_write2_b64 v1, v[142:143], v[144:145] offset0:18 offset1:19
	;; [unrolled: 1-line block ×37, first 2 shown]
.LBB88_165:
	s_or_b32 exec_lo, exec_lo, s0
	s_mov_b32 s0, exec_lo
	s_waitcnt lgkmcnt(0)
	s_waitcnt_vscnt null, 0x0
	s_barrier
	buffer_gl0_inv
	v_cmpx_lt_i32_e32 7, v196
	s_cbranch_execz .LBB88_167
; %bb.166:
	v_mul_f64 v[190:191], v[184:185], v[156:157]
	v_mul_f64 v[156:157], v[182:183], v[156:157]
	v_fma_f64 v[190:191], v[182:183], v[154:155], -v[190:191]
	v_fma_f64 v[156:157], v[184:185], v[154:155], v[156:157]
	ds_read2_b64 v[182:185], v1 offset0:16 offset1:17
	s_waitcnt lgkmcnt(0)
	v_mul_f64 v[154:155], v[184:185], v[156:157]
	v_fma_f64 v[154:155], v[182:183], v[190:191], -v[154:155]
	v_mul_f64 v[182:183], v[182:183], v[156:157]
	v_add_f64 v[146:147], v[146:147], -v[154:155]
	v_fma_f64 v[182:183], v[184:185], v[190:191], v[182:183]
	v_add_f64 v[148:149], v[148:149], -v[182:183]
	ds_read2_b64 v[182:185], v1 offset0:18 offset1:19
	s_waitcnt lgkmcnt(0)
	v_mul_f64 v[154:155], v[184:185], v[156:157]
	v_fma_f64 v[154:155], v[182:183], v[190:191], -v[154:155]
	v_mul_f64 v[182:183], v[182:183], v[156:157]
	v_add_f64 v[142:143], v[142:143], -v[154:155]
	v_fma_f64 v[182:183], v[184:185], v[190:191], v[182:183]
	v_add_f64 v[144:145], v[144:145], -v[182:183]
	;; [unrolled: 8-line block ×36, first 2 shown]
	ds_read2_b64 v[182:185], v1 offset0:88 offset1:89
	s_waitcnt lgkmcnt(0)
	v_mul_f64 v[154:155], v[184:185], v[156:157]
	v_fma_f64 v[154:155], v[182:183], v[190:191], -v[154:155]
	v_mul_f64 v[182:183], v[182:183], v[156:157]
	v_add_f64 v[2:3], v[2:3], -v[154:155]
	v_fma_f64 v[182:183], v[184:185], v[190:191], v[182:183]
	v_mov_b32_e32 v154, v190
	v_mov_b32_e32 v155, v191
	v_add_f64 v[4:5], v[4:5], -v[182:183]
.LBB88_167:
	s_or_b32 exec_lo, exec_lo, s0
	v_lshl_add_u32 v182, v196, 4, v1
	s_barrier
	buffer_gl0_inv
	v_mov_b32_e32 v190, 8
	ds_write2_b64 v182, v[146:147], v[148:149] offset1:1
	s_waitcnt lgkmcnt(0)
	s_barrier
	buffer_gl0_inv
	ds_read2_b64 v[182:185], v1 offset0:16 offset1:17
	s_cmp_lt_i32 s1, 10
	s_cbranch_scc1 .LBB88_170
; %bb.168:
	v_add3_u32 v191, v192, 0, 0x90
	v_mov_b32_e32 v190, 8
	s_mov_b32 s7, 9
	s_inst_prefetch 0x1
	.p2align	6
.LBB88_169:                             ; =>This Inner Loop Header: Depth=1
	s_waitcnt lgkmcnt(0)
	v_cmp_gt_f64_e32 vcc_lo, 0, v[184:185]
	v_cmp_gt_f64_e64 s0, 0, v[182:183]
	ds_read2_b64 v[197:200], v191 offset1:1
	v_xor_b32_e32 v202, 0x80000000, v183
	v_xor_b32_e32 v204, 0x80000000, v185
	v_mov_b32_e32 v201, v182
	v_mov_b32_e32 v203, v184
	v_add_nc_u32_e32 v191, 16, v191
	s_waitcnt lgkmcnt(0)
	v_xor_b32_e32 v206, 0x80000000, v200
	v_cndmask_b32_e64 v202, v183, v202, s0
	v_cndmask_b32_e32 v204, v185, v204, vcc_lo
	v_cmp_gt_f64_e32 vcc_lo, 0, v[199:200]
	v_cmp_gt_f64_e64 s0, 0, v[197:198]
	v_mov_b32_e32 v205, v199
	v_add_f64 v[201:202], v[201:202], v[203:204]
	v_xor_b32_e32 v204, 0x80000000, v198
	v_mov_b32_e32 v203, v197
	v_cndmask_b32_e32 v206, v200, v206, vcc_lo
	v_cndmask_b32_e64 v204, v198, v204, s0
	v_add_f64 v[203:204], v[203:204], v[205:206]
	v_cmp_lt_f64_e32 vcc_lo, v[201:202], v[203:204]
	v_cndmask_b32_e32 v183, v183, v198, vcc_lo
	v_cndmask_b32_e32 v182, v182, v197, vcc_lo
	;; [unrolled: 1-line block ×4, first 2 shown]
	v_cndmask_b32_e64 v190, v190, s7, vcc_lo
	s_add_i32 s7, s7, 1
	s_cmp_lg_u32 s1, s7
	s_cbranch_scc1 .LBB88_169
.LBB88_170:
	s_inst_prefetch 0x2
	s_waitcnt lgkmcnt(0)
	v_cmp_eq_f64_e32 vcc_lo, 0, v[182:183]
	v_cmp_eq_f64_e64 s0, 0, v[184:185]
	s_and_b32 s0, vcc_lo, s0
	s_and_saveexec_b32 s7, s0
	s_xor_b32 s0, exec_lo, s7
; %bb.171:
	v_cmp_ne_u32_e32 vcc_lo, 0, v195
	v_cndmask_b32_e32 v195, 9, v195, vcc_lo
; %bb.172:
	s_andn2_saveexec_b32 s0, s0
	s_cbranch_execz .LBB88_178
; %bb.173:
	v_cmp_ngt_f64_e64 s7, |v[182:183]|, |v[184:185]|
	s_and_saveexec_b32 s8, s7
	s_xor_b32 s7, exec_lo, s8
	s_cbranch_execz .LBB88_175
; %bb.174:
	v_div_scale_f64 v[197:198], null, v[184:185], v[184:185], v[182:183]
	v_div_scale_f64 v[203:204], vcc_lo, v[182:183], v[184:185], v[182:183]
	v_rcp_f64_e32 v[199:200], v[197:198]
	v_fma_f64 v[201:202], -v[197:198], v[199:200], 1.0
	v_fma_f64 v[199:200], v[199:200], v[201:202], v[199:200]
	v_fma_f64 v[201:202], -v[197:198], v[199:200], 1.0
	v_fma_f64 v[199:200], v[199:200], v[201:202], v[199:200]
	v_mul_f64 v[201:202], v[203:204], v[199:200]
	v_fma_f64 v[197:198], -v[197:198], v[201:202], v[203:204]
	v_div_fmas_f64 v[197:198], v[197:198], v[199:200], v[201:202]
	v_div_fixup_f64 v[197:198], v[197:198], v[184:185], v[182:183]
	v_fma_f64 v[182:183], v[182:183], v[197:198], v[184:185]
	v_div_scale_f64 v[184:185], null, v[182:183], v[182:183], 1.0
	v_rcp_f64_e32 v[199:200], v[184:185]
	v_fma_f64 v[201:202], -v[184:185], v[199:200], 1.0
	v_fma_f64 v[199:200], v[199:200], v[201:202], v[199:200]
	v_fma_f64 v[201:202], -v[184:185], v[199:200], 1.0
	v_fma_f64 v[199:200], v[199:200], v[201:202], v[199:200]
	v_div_scale_f64 v[201:202], vcc_lo, 1.0, v[182:183], 1.0
	v_mul_f64 v[203:204], v[201:202], v[199:200]
	v_fma_f64 v[184:185], -v[184:185], v[203:204], v[201:202]
	v_div_fmas_f64 v[184:185], v[184:185], v[199:200], v[203:204]
	v_div_fixup_f64 v[184:185], v[184:185], v[182:183], 1.0
	v_mul_f64 v[182:183], v[197:198], v[184:185]
	v_xor_b32_e32 v185, 0x80000000, v185
.LBB88_175:
	s_andn2_saveexec_b32 s7, s7
	s_cbranch_execz .LBB88_177
; %bb.176:
	v_div_scale_f64 v[197:198], null, v[182:183], v[182:183], v[184:185]
	v_div_scale_f64 v[203:204], vcc_lo, v[184:185], v[182:183], v[184:185]
	v_rcp_f64_e32 v[199:200], v[197:198]
	v_fma_f64 v[201:202], -v[197:198], v[199:200], 1.0
	v_fma_f64 v[199:200], v[199:200], v[201:202], v[199:200]
	v_fma_f64 v[201:202], -v[197:198], v[199:200], 1.0
	v_fma_f64 v[199:200], v[199:200], v[201:202], v[199:200]
	v_mul_f64 v[201:202], v[203:204], v[199:200]
	v_fma_f64 v[197:198], -v[197:198], v[201:202], v[203:204]
	v_div_fmas_f64 v[197:198], v[197:198], v[199:200], v[201:202]
	v_div_fixup_f64 v[197:198], v[197:198], v[182:183], v[184:185]
	v_fma_f64 v[182:183], v[184:185], v[197:198], v[182:183]
	v_div_scale_f64 v[184:185], null, v[182:183], v[182:183], 1.0
	v_rcp_f64_e32 v[199:200], v[184:185]
	v_fma_f64 v[201:202], -v[184:185], v[199:200], 1.0
	v_fma_f64 v[199:200], v[199:200], v[201:202], v[199:200]
	v_fma_f64 v[201:202], -v[184:185], v[199:200], 1.0
	v_fma_f64 v[199:200], v[199:200], v[201:202], v[199:200]
	v_div_scale_f64 v[201:202], vcc_lo, 1.0, v[182:183], 1.0
	v_mul_f64 v[203:204], v[201:202], v[199:200]
	v_fma_f64 v[184:185], -v[184:185], v[203:204], v[201:202]
	v_div_fmas_f64 v[184:185], v[184:185], v[199:200], v[203:204]
	v_div_fixup_f64 v[182:183], v[184:185], v[182:183], 1.0
	v_mul_f64 v[184:185], v[197:198], -v[182:183]
.LBB88_177:
	s_or_b32 exec_lo, exec_lo, s7
.LBB88_178:
	s_or_b32 exec_lo, exec_lo, s0
	s_mov_b32 s0, exec_lo
	v_cmpx_ne_u32_e64 v196, v190
	s_xor_b32 s0, exec_lo, s0
	s_cbranch_execz .LBB88_184
; %bb.179:
	s_mov_b32 s7, exec_lo
	v_cmpx_eq_u32_e32 8, v196
	s_cbranch_execz .LBB88_183
; %bb.180:
	v_cmp_ne_u32_e32 vcc_lo, 8, v190
	s_xor_b32 s8, s16, -1
	s_and_b32 s9, s8, vcc_lo
	s_and_saveexec_b32 s8, s9
	s_cbranch_execz .LBB88_182
; %bb.181:
	v_ashrrev_i32_e32 v191, 31, v190
	v_lshlrev_b64 v[196:197], 2, v[190:191]
	v_add_co_u32 v196, vcc_lo, v188, v196
	v_add_co_ci_u32_e64 v197, null, v189, v197, vcc_lo
	s_clause 0x1
	global_load_dword v0, v[196:197], off
	global_load_dword v191, v[188:189], off offset:32
	s_waitcnt vmcnt(1)
	global_store_dword v[188:189], v0, off offset:32
	s_waitcnt vmcnt(0)
	global_store_dword v[196:197], v191, off
.LBB88_182:
	s_or_b32 exec_lo, exec_lo, s8
	v_mov_b32_e32 v196, v190
	v_mov_b32_e32 v0, v190
.LBB88_183:
	s_or_b32 exec_lo, exec_lo, s7
.LBB88_184:
	s_andn2_saveexec_b32 s0, s0
	s_cbranch_execz .LBB88_186
; %bb.185:
	v_mov_b32_e32 v196, 8
	ds_write2_b64 v1, v[142:143], v[144:145] offset0:18 offset1:19
	ds_write2_b64 v1, v[134:135], v[136:137] offset0:20 offset1:21
	ds_write2_b64 v1, v[130:131], v[132:133] offset0:22 offset1:23
	ds_write2_b64 v1, v[138:139], v[140:141] offset0:24 offset1:25
	ds_write2_b64 v1, v[122:123], v[124:125] offset0:26 offset1:27
	ds_write2_b64 v1, v[126:127], v[128:129] offset0:28 offset1:29
	ds_write2_b64 v1, v[110:111], v[112:113] offset0:30 offset1:31
	ds_write2_b64 v1, v[118:119], v[120:121] offset0:32 offset1:33
	ds_write2_b64 v1, v[114:115], v[116:117] offset0:34 offset1:35
	ds_write2_b64 v1, v[106:107], v[108:109] offset0:36 offset1:37
	ds_write2_b64 v1, v[102:103], v[104:105] offset0:38 offset1:39
	ds_write2_b64 v1, v[94:95], v[96:97] offset0:40 offset1:41
	ds_write2_b64 v1, v[90:91], v[92:93] offset0:42 offset1:43
	ds_write2_b64 v1, v[98:99], v[100:101] offset0:44 offset1:45
	ds_write2_b64 v1, v[82:83], v[84:85] offset0:46 offset1:47
	ds_write2_b64 v1, v[86:87], v[88:89] offset0:48 offset1:49
	ds_write2_b64 v1, v[70:71], v[72:73] offset0:50 offset1:51
	ds_write2_b64 v1, v[78:79], v[80:81] offset0:52 offset1:53
	ds_write2_b64 v1, v[74:75], v[76:77] offset0:54 offset1:55
	ds_write2_b64 v1, v[66:67], v[68:69] offset0:56 offset1:57
	ds_write2_b64 v1, v[62:63], v[64:65] offset0:58 offset1:59
	ds_write2_b64 v1, v[54:55], v[56:57] offset0:60 offset1:61
	ds_write2_b64 v1, v[50:51], v[52:53] offset0:62 offset1:63
	ds_write2_b64 v1, v[58:59], v[60:61] offset0:64 offset1:65
	ds_write2_b64 v1, v[42:43], v[44:45] offset0:66 offset1:67
	ds_write2_b64 v1, v[46:47], v[48:49] offset0:68 offset1:69
	ds_write2_b64 v1, v[30:31], v[32:33] offset0:70 offset1:71
	ds_write2_b64 v1, v[38:39], v[40:41] offset0:72 offset1:73
	ds_write2_b64 v1, v[34:35], v[36:37] offset0:74 offset1:75
	ds_write2_b64 v1, v[26:27], v[28:29] offset0:76 offset1:77
	ds_write2_b64 v1, v[22:23], v[24:25] offset0:78 offset1:79
	ds_write2_b64 v1, v[18:19], v[20:21] offset0:80 offset1:81
	ds_write2_b64 v1, v[14:15], v[16:17] offset0:82 offset1:83
	ds_write2_b64 v1, v[10:11], v[12:13] offset0:84 offset1:85
	ds_write2_b64 v1, v[6:7], v[8:9] offset0:86 offset1:87
	ds_write2_b64 v1, v[2:3], v[4:5] offset0:88 offset1:89
.LBB88_186:
	s_or_b32 exec_lo, exec_lo, s0
	s_mov_b32 s0, exec_lo
	s_waitcnt lgkmcnt(0)
	s_waitcnt_vscnt null, 0x0
	s_barrier
	buffer_gl0_inv
	v_cmpx_lt_i32_e32 8, v196
	s_cbranch_execz .LBB88_188
; %bb.187:
	v_mul_f64 v[190:191], v[184:185], v[148:149]
	v_mul_f64 v[148:149], v[182:183], v[148:149]
	v_fma_f64 v[190:191], v[182:183], v[146:147], -v[190:191]
	v_fma_f64 v[148:149], v[184:185], v[146:147], v[148:149]
	ds_read2_b64 v[182:185], v1 offset0:18 offset1:19
	s_waitcnt lgkmcnt(0)
	v_mul_f64 v[146:147], v[184:185], v[148:149]
	v_fma_f64 v[146:147], v[182:183], v[190:191], -v[146:147]
	v_mul_f64 v[182:183], v[182:183], v[148:149]
	v_add_f64 v[142:143], v[142:143], -v[146:147]
	v_fma_f64 v[182:183], v[184:185], v[190:191], v[182:183]
	v_add_f64 v[144:145], v[144:145], -v[182:183]
	ds_read2_b64 v[182:185], v1 offset0:20 offset1:21
	s_waitcnt lgkmcnt(0)
	v_mul_f64 v[146:147], v[184:185], v[148:149]
	v_fma_f64 v[146:147], v[182:183], v[190:191], -v[146:147]
	v_mul_f64 v[182:183], v[182:183], v[148:149]
	v_add_f64 v[134:135], v[134:135], -v[146:147]
	v_fma_f64 v[182:183], v[184:185], v[190:191], v[182:183]
	v_add_f64 v[136:137], v[136:137], -v[182:183]
	;; [unrolled: 8-line block ×35, first 2 shown]
	ds_read2_b64 v[182:185], v1 offset0:88 offset1:89
	s_waitcnt lgkmcnt(0)
	v_mul_f64 v[146:147], v[184:185], v[148:149]
	v_fma_f64 v[146:147], v[182:183], v[190:191], -v[146:147]
	v_mul_f64 v[182:183], v[182:183], v[148:149]
	v_add_f64 v[2:3], v[2:3], -v[146:147]
	v_fma_f64 v[182:183], v[184:185], v[190:191], v[182:183]
	v_mov_b32_e32 v146, v190
	v_mov_b32_e32 v147, v191
	v_add_f64 v[4:5], v[4:5], -v[182:183]
.LBB88_188:
	s_or_b32 exec_lo, exec_lo, s0
	v_lshl_add_u32 v182, v196, 4, v1
	s_barrier
	buffer_gl0_inv
	v_mov_b32_e32 v190, 9
	ds_write2_b64 v182, v[142:143], v[144:145] offset1:1
	s_waitcnt lgkmcnt(0)
	s_barrier
	buffer_gl0_inv
	ds_read2_b64 v[182:185], v1 offset0:18 offset1:19
	s_cmp_lt_i32 s1, 11
	s_cbranch_scc1 .LBB88_191
; %bb.189:
	v_add3_u32 v191, v192, 0, 0xa0
	v_mov_b32_e32 v190, 9
	s_mov_b32 s7, 10
	s_inst_prefetch 0x1
	.p2align	6
.LBB88_190:                             ; =>This Inner Loop Header: Depth=1
	s_waitcnt lgkmcnt(0)
	v_cmp_gt_f64_e32 vcc_lo, 0, v[184:185]
	v_cmp_gt_f64_e64 s0, 0, v[182:183]
	ds_read2_b64 v[197:200], v191 offset1:1
	v_xor_b32_e32 v202, 0x80000000, v183
	v_xor_b32_e32 v204, 0x80000000, v185
	v_mov_b32_e32 v201, v182
	v_mov_b32_e32 v203, v184
	v_add_nc_u32_e32 v191, 16, v191
	s_waitcnt lgkmcnt(0)
	v_xor_b32_e32 v206, 0x80000000, v200
	v_cndmask_b32_e64 v202, v183, v202, s0
	v_cndmask_b32_e32 v204, v185, v204, vcc_lo
	v_cmp_gt_f64_e32 vcc_lo, 0, v[199:200]
	v_cmp_gt_f64_e64 s0, 0, v[197:198]
	v_mov_b32_e32 v205, v199
	v_add_f64 v[201:202], v[201:202], v[203:204]
	v_xor_b32_e32 v204, 0x80000000, v198
	v_mov_b32_e32 v203, v197
	v_cndmask_b32_e32 v206, v200, v206, vcc_lo
	v_cndmask_b32_e64 v204, v198, v204, s0
	v_add_f64 v[203:204], v[203:204], v[205:206]
	v_cmp_lt_f64_e32 vcc_lo, v[201:202], v[203:204]
	v_cndmask_b32_e32 v183, v183, v198, vcc_lo
	v_cndmask_b32_e32 v182, v182, v197, vcc_lo
	;; [unrolled: 1-line block ×4, first 2 shown]
	v_cndmask_b32_e64 v190, v190, s7, vcc_lo
	s_add_i32 s7, s7, 1
	s_cmp_lg_u32 s1, s7
	s_cbranch_scc1 .LBB88_190
.LBB88_191:
	s_inst_prefetch 0x2
	s_waitcnt lgkmcnt(0)
	v_cmp_eq_f64_e32 vcc_lo, 0, v[182:183]
	v_cmp_eq_f64_e64 s0, 0, v[184:185]
	s_and_b32 s0, vcc_lo, s0
	s_and_saveexec_b32 s7, s0
	s_xor_b32 s0, exec_lo, s7
; %bb.192:
	v_cmp_ne_u32_e32 vcc_lo, 0, v195
	v_cndmask_b32_e32 v195, 10, v195, vcc_lo
; %bb.193:
	s_andn2_saveexec_b32 s0, s0
	s_cbranch_execz .LBB88_199
; %bb.194:
	v_cmp_ngt_f64_e64 s7, |v[182:183]|, |v[184:185]|
	s_and_saveexec_b32 s8, s7
	s_xor_b32 s7, exec_lo, s8
	s_cbranch_execz .LBB88_196
; %bb.195:
	v_div_scale_f64 v[197:198], null, v[184:185], v[184:185], v[182:183]
	v_div_scale_f64 v[203:204], vcc_lo, v[182:183], v[184:185], v[182:183]
	v_rcp_f64_e32 v[199:200], v[197:198]
	v_fma_f64 v[201:202], -v[197:198], v[199:200], 1.0
	v_fma_f64 v[199:200], v[199:200], v[201:202], v[199:200]
	v_fma_f64 v[201:202], -v[197:198], v[199:200], 1.0
	v_fma_f64 v[199:200], v[199:200], v[201:202], v[199:200]
	v_mul_f64 v[201:202], v[203:204], v[199:200]
	v_fma_f64 v[197:198], -v[197:198], v[201:202], v[203:204]
	v_div_fmas_f64 v[197:198], v[197:198], v[199:200], v[201:202]
	v_div_fixup_f64 v[197:198], v[197:198], v[184:185], v[182:183]
	v_fma_f64 v[182:183], v[182:183], v[197:198], v[184:185]
	v_div_scale_f64 v[184:185], null, v[182:183], v[182:183], 1.0
	v_rcp_f64_e32 v[199:200], v[184:185]
	v_fma_f64 v[201:202], -v[184:185], v[199:200], 1.0
	v_fma_f64 v[199:200], v[199:200], v[201:202], v[199:200]
	v_fma_f64 v[201:202], -v[184:185], v[199:200], 1.0
	v_fma_f64 v[199:200], v[199:200], v[201:202], v[199:200]
	v_div_scale_f64 v[201:202], vcc_lo, 1.0, v[182:183], 1.0
	v_mul_f64 v[203:204], v[201:202], v[199:200]
	v_fma_f64 v[184:185], -v[184:185], v[203:204], v[201:202]
	v_div_fmas_f64 v[184:185], v[184:185], v[199:200], v[203:204]
	v_div_fixup_f64 v[184:185], v[184:185], v[182:183], 1.0
	v_mul_f64 v[182:183], v[197:198], v[184:185]
	v_xor_b32_e32 v185, 0x80000000, v185
.LBB88_196:
	s_andn2_saveexec_b32 s7, s7
	s_cbranch_execz .LBB88_198
; %bb.197:
	v_div_scale_f64 v[197:198], null, v[182:183], v[182:183], v[184:185]
	v_div_scale_f64 v[203:204], vcc_lo, v[184:185], v[182:183], v[184:185]
	v_rcp_f64_e32 v[199:200], v[197:198]
	v_fma_f64 v[201:202], -v[197:198], v[199:200], 1.0
	v_fma_f64 v[199:200], v[199:200], v[201:202], v[199:200]
	v_fma_f64 v[201:202], -v[197:198], v[199:200], 1.0
	v_fma_f64 v[199:200], v[199:200], v[201:202], v[199:200]
	v_mul_f64 v[201:202], v[203:204], v[199:200]
	v_fma_f64 v[197:198], -v[197:198], v[201:202], v[203:204]
	v_div_fmas_f64 v[197:198], v[197:198], v[199:200], v[201:202]
	v_div_fixup_f64 v[197:198], v[197:198], v[182:183], v[184:185]
	v_fma_f64 v[182:183], v[184:185], v[197:198], v[182:183]
	v_div_scale_f64 v[184:185], null, v[182:183], v[182:183], 1.0
	v_rcp_f64_e32 v[199:200], v[184:185]
	v_fma_f64 v[201:202], -v[184:185], v[199:200], 1.0
	v_fma_f64 v[199:200], v[199:200], v[201:202], v[199:200]
	v_fma_f64 v[201:202], -v[184:185], v[199:200], 1.0
	v_fma_f64 v[199:200], v[199:200], v[201:202], v[199:200]
	v_div_scale_f64 v[201:202], vcc_lo, 1.0, v[182:183], 1.0
	v_mul_f64 v[203:204], v[201:202], v[199:200]
	v_fma_f64 v[184:185], -v[184:185], v[203:204], v[201:202]
	v_div_fmas_f64 v[184:185], v[184:185], v[199:200], v[203:204]
	v_div_fixup_f64 v[182:183], v[184:185], v[182:183], 1.0
	v_mul_f64 v[184:185], v[197:198], -v[182:183]
.LBB88_198:
	s_or_b32 exec_lo, exec_lo, s7
.LBB88_199:
	s_or_b32 exec_lo, exec_lo, s0
	s_mov_b32 s0, exec_lo
	v_cmpx_ne_u32_e64 v196, v190
	s_xor_b32 s0, exec_lo, s0
	s_cbranch_execz .LBB88_205
; %bb.200:
	s_mov_b32 s7, exec_lo
	v_cmpx_eq_u32_e32 9, v196
	s_cbranch_execz .LBB88_204
; %bb.201:
	v_cmp_ne_u32_e32 vcc_lo, 9, v190
	s_xor_b32 s8, s16, -1
	s_and_b32 s9, s8, vcc_lo
	s_and_saveexec_b32 s8, s9
	s_cbranch_execz .LBB88_203
; %bb.202:
	v_ashrrev_i32_e32 v191, 31, v190
	v_lshlrev_b64 v[196:197], 2, v[190:191]
	v_add_co_u32 v196, vcc_lo, v188, v196
	v_add_co_ci_u32_e64 v197, null, v189, v197, vcc_lo
	s_clause 0x1
	global_load_dword v0, v[196:197], off
	global_load_dword v191, v[188:189], off offset:36
	s_waitcnt vmcnt(1)
	global_store_dword v[188:189], v0, off offset:36
	s_waitcnt vmcnt(0)
	global_store_dword v[196:197], v191, off
.LBB88_203:
	s_or_b32 exec_lo, exec_lo, s8
	v_mov_b32_e32 v196, v190
	v_mov_b32_e32 v0, v190
.LBB88_204:
	s_or_b32 exec_lo, exec_lo, s7
.LBB88_205:
	s_andn2_saveexec_b32 s0, s0
	s_cbranch_execz .LBB88_207
; %bb.206:
	v_mov_b32_e32 v196, 9
	ds_write2_b64 v1, v[134:135], v[136:137] offset0:20 offset1:21
	ds_write2_b64 v1, v[130:131], v[132:133] offset0:22 offset1:23
	;; [unrolled: 1-line block ×35, first 2 shown]
.LBB88_207:
	s_or_b32 exec_lo, exec_lo, s0
	s_mov_b32 s0, exec_lo
	s_waitcnt lgkmcnt(0)
	s_waitcnt_vscnt null, 0x0
	s_barrier
	buffer_gl0_inv
	v_cmpx_lt_i32_e32 9, v196
	s_cbranch_execz .LBB88_209
; %bb.208:
	v_mul_f64 v[190:191], v[184:185], v[144:145]
	v_mul_f64 v[144:145], v[182:183], v[144:145]
	v_fma_f64 v[190:191], v[182:183], v[142:143], -v[190:191]
	v_fma_f64 v[144:145], v[184:185], v[142:143], v[144:145]
	ds_read2_b64 v[182:185], v1 offset0:20 offset1:21
	s_waitcnt lgkmcnt(0)
	v_mul_f64 v[142:143], v[184:185], v[144:145]
	v_fma_f64 v[142:143], v[182:183], v[190:191], -v[142:143]
	v_mul_f64 v[182:183], v[182:183], v[144:145]
	v_add_f64 v[134:135], v[134:135], -v[142:143]
	v_fma_f64 v[182:183], v[184:185], v[190:191], v[182:183]
	v_add_f64 v[136:137], v[136:137], -v[182:183]
	ds_read2_b64 v[182:185], v1 offset0:22 offset1:23
	s_waitcnt lgkmcnt(0)
	v_mul_f64 v[142:143], v[184:185], v[144:145]
	v_fma_f64 v[142:143], v[182:183], v[190:191], -v[142:143]
	v_mul_f64 v[182:183], v[182:183], v[144:145]
	v_add_f64 v[130:131], v[130:131], -v[142:143]
	v_fma_f64 v[182:183], v[184:185], v[190:191], v[182:183]
	v_add_f64 v[132:133], v[132:133], -v[182:183]
	;; [unrolled: 8-line block ×34, first 2 shown]
	ds_read2_b64 v[182:185], v1 offset0:88 offset1:89
	s_waitcnt lgkmcnt(0)
	v_mul_f64 v[142:143], v[184:185], v[144:145]
	v_fma_f64 v[142:143], v[182:183], v[190:191], -v[142:143]
	v_mul_f64 v[182:183], v[182:183], v[144:145]
	v_add_f64 v[2:3], v[2:3], -v[142:143]
	v_fma_f64 v[182:183], v[184:185], v[190:191], v[182:183]
	v_mov_b32_e32 v142, v190
	v_mov_b32_e32 v143, v191
	v_add_f64 v[4:5], v[4:5], -v[182:183]
.LBB88_209:
	s_or_b32 exec_lo, exec_lo, s0
	v_lshl_add_u32 v182, v196, 4, v1
	s_barrier
	buffer_gl0_inv
	v_mov_b32_e32 v190, 10
	ds_write2_b64 v182, v[134:135], v[136:137] offset1:1
	s_waitcnt lgkmcnt(0)
	s_barrier
	buffer_gl0_inv
	ds_read2_b64 v[182:185], v1 offset0:20 offset1:21
	s_cmp_lt_i32 s1, 12
	s_cbranch_scc1 .LBB88_212
; %bb.210:
	v_add3_u32 v191, v192, 0, 0xb0
	v_mov_b32_e32 v190, 10
	s_mov_b32 s7, 11
	s_inst_prefetch 0x1
	.p2align	6
.LBB88_211:                             ; =>This Inner Loop Header: Depth=1
	s_waitcnt lgkmcnt(0)
	v_cmp_gt_f64_e32 vcc_lo, 0, v[184:185]
	v_cmp_gt_f64_e64 s0, 0, v[182:183]
	ds_read2_b64 v[197:200], v191 offset1:1
	v_xor_b32_e32 v202, 0x80000000, v183
	v_xor_b32_e32 v204, 0x80000000, v185
	v_mov_b32_e32 v201, v182
	v_mov_b32_e32 v203, v184
	v_add_nc_u32_e32 v191, 16, v191
	s_waitcnt lgkmcnt(0)
	v_xor_b32_e32 v206, 0x80000000, v200
	v_cndmask_b32_e64 v202, v183, v202, s0
	v_cndmask_b32_e32 v204, v185, v204, vcc_lo
	v_cmp_gt_f64_e32 vcc_lo, 0, v[199:200]
	v_cmp_gt_f64_e64 s0, 0, v[197:198]
	v_mov_b32_e32 v205, v199
	v_add_f64 v[201:202], v[201:202], v[203:204]
	v_xor_b32_e32 v204, 0x80000000, v198
	v_mov_b32_e32 v203, v197
	v_cndmask_b32_e32 v206, v200, v206, vcc_lo
	v_cndmask_b32_e64 v204, v198, v204, s0
	v_add_f64 v[203:204], v[203:204], v[205:206]
	v_cmp_lt_f64_e32 vcc_lo, v[201:202], v[203:204]
	v_cndmask_b32_e32 v183, v183, v198, vcc_lo
	v_cndmask_b32_e32 v182, v182, v197, vcc_lo
	;; [unrolled: 1-line block ×4, first 2 shown]
	v_cndmask_b32_e64 v190, v190, s7, vcc_lo
	s_add_i32 s7, s7, 1
	s_cmp_lg_u32 s1, s7
	s_cbranch_scc1 .LBB88_211
.LBB88_212:
	s_inst_prefetch 0x2
	s_waitcnt lgkmcnt(0)
	v_cmp_eq_f64_e32 vcc_lo, 0, v[182:183]
	v_cmp_eq_f64_e64 s0, 0, v[184:185]
	s_and_b32 s0, vcc_lo, s0
	s_and_saveexec_b32 s7, s0
	s_xor_b32 s0, exec_lo, s7
; %bb.213:
	v_cmp_ne_u32_e32 vcc_lo, 0, v195
	v_cndmask_b32_e32 v195, 11, v195, vcc_lo
; %bb.214:
	s_andn2_saveexec_b32 s0, s0
	s_cbranch_execz .LBB88_220
; %bb.215:
	v_cmp_ngt_f64_e64 s7, |v[182:183]|, |v[184:185]|
	s_and_saveexec_b32 s8, s7
	s_xor_b32 s7, exec_lo, s8
	s_cbranch_execz .LBB88_217
; %bb.216:
	v_div_scale_f64 v[197:198], null, v[184:185], v[184:185], v[182:183]
	v_div_scale_f64 v[203:204], vcc_lo, v[182:183], v[184:185], v[182:183]
	v_rcp_f64_e32 v[199:200], v[197:198]
	v_fma_f64 v[201:202], -v[197:198], v[199:200], 1.0
	v_fma_f64 v[199:200], v[199:200], v[201:202], v[199:200]
	v_fma_f64 v[201:202], -v[197:198], v[199:200], 1.0
	v_fma_f64 v[199:200], v[199:200], v[201:202], v[199:200]
	v_mul_f64 v[201:202], v[203:204], v[199:200]
	v_fma_f64 v[197:198], -v[197:198], v[201:202], v[203:204]
	v_div_fmas_f64 v[197:198], v[197:198], v[199:200], v[201:202]
	v_div_fixup_f64 v[197:198], v[197:198], v[184:185], v[182:183]
	v_fma_f64 v[182:183], v[182:183], v[197:198], v[184:185]
	v_div_scale_f64 v[184:185], null, v[182:183], v[182:183], 1.0
	v_rcp_f64_e32 v[199:200], v[184:185]
	v_fma_f64 v[201:202], -v[184:185], v[199:200], 1.0
	v_fma_f64 v[199:200], v[199:200], v[201:202], v[199:200]
	v_fma_f64 v[201:202], -v[184:185], v[199:200], 1.0
	v_fma_f64 v[199:200], v[199:200], v[201:202], v[199:200]
	v_div_scale_f64 v[201:202], vcc_lo, 1.0, v[182:183], 1.0
	v_mul_f64 v[203:204], v[201:202], v[199:200]
	v_fma_f64 v[184:185], -v[184:185], v[203:204], v[201:202]
	v_div_fmas_f64 v[184:185], v[184:185], v[199:200], v[203:204]
	v_div_fixup_f64 v[184:185], v[184:185], v[182:183], 1.0
	v_mul_f64 v[182:183], v[197:198], v[184:185]
	v_xor_b32_e32 v185, 0x80000000, v185
.LBB88_217:
	s_andn2_saveexec_b32 s7, s7
	s_cbranch_execz .LBB88_219
; %bb.218:
	v_div_scale_f64 v[197:198], null, v[182:183], v[182:183], v[184:185]
	v_div_scale_f64 v[203:204], vcc_lo, v[184:185], v[182:183], v[184:185]
	v_rcp_f64_e32 v[199:200], v[197:198]
	v_fma_f64 v[201:202], -v[197:198], v[199:200], 1.0
	v_fma_f64 v[199:200], v[199:200], v[201:202], v[199:200]
	v_fma_f64 v[201:202], -v[197:198], v[199:200], 1.0
	v_fma_f64 v[199:200], v[199:200], v[201:202], v[199:200]
	v_mul_f64 v[201:202], v[203:204], v[199:200]
	v_fma_f64 v[197:198], -v[197:198], v[201:202], v[203:204]
	v_div_fmas_f64 v[197:198], v[197:198], v[199:200], v[201:202]
	v_div_fixup_f64 v[197:198], v[197:198], v[182:183], v[184:185]
	v_fma_f64 v[182:183], v[184:185], v[197:198], v[182:183]
	v_div_scale_f64 v[184:185], null, v[182:183], v[182:183], 1.0
	v_rcp_f64_e32 v[199:200], v[184:185]
	v_fma_f64 v[201:202], -v[184:185], v[199:200], 1.0
	v_fma_f64 v[199:200], v[199:200], v[201:202], v[199:200]
	v_fma_f64 v[201:202], -v[184:185], v[199:200], 1.0
	v_fma_f64 v[199:200], v[199:200], v[201:202], v[199:200]
	v_div_scale_f64 v[201:202], vcc_lo, 1.0, v[182:183], 1.0
	v_mul_f64 v[203:204], v[201:202], v[199:200]
	v_fma_f64 v[184:185], -v[184:185], v[203:204], v[201:202]
	v_div_fmas_f64 v[184:185], v[184:185], v[199:200], v[203:204]
	v_div_fixup_f64 v[182:183], v[184:185], v[182:183], 1.0
	v_mul_f64 v[184:185], v[197:198], -v[182:183]
.LBB88_219:
	s_or_b32 exec_lo, exec_lo, s7
.LBB88_220:
	s_or_b32 exec_lo, exec_lo, s0
	s_mov_b32 s0, exec_lo
	v_cmpx_ne_u32_e64 v196, v190
	s_xor_b32 s0, exec_lo, s0
	s_cbranch_execz .LBB88_226
; %bb.221:
	s_mov_b32 s7, exec_lo
	v_cmpx_eq_u32_e32 10, v196
	s_cbranch_execz .LBB88_225
; %bb.222:
	v_cmp_ne_u32_e32 vcc_lo, 10, v190
	s_xor_b32 s8, s16, -1
	s_and_b32 s9, s8, vcc_lo
	s_and_saveexec_b32 s8, s9
	s_cbranch_execz .LBB88_224
; %bb.223:
	v_ashrrev_i32_e32 v191, 31, v190
	v_lshlrev_b64 v[196:197], 2, v[190:191]
	v_add_co_u32 v196, vcc_lo, v188, v196
	v_add_co_ci_u32_e64 v197, null, v189, v197, vcc_lo
	s_clause 0x1
	global_load_dword v0, v[196:197], off
	global_load_dword v191, v[188:189], off offset:40
	s_waitcnt vmcnt(1)
	global_store_dword v[188:189], v0, off offset:40
	s_waitcnt vmcnt(0)
	global_store_dword v[196:197], v191, off
.LBB88_224:
	s_or_b32 exec_lo, exec_lo, s8
	v_mov_b32_e32 v196, v190
	v_mov_b32_e32 v0, v190
.LBB88_225:
	s_or_b32 exec_lo, exec_lo, s7
.LBB88_226:
	s_andn2_saveexec_b32 s0, s0
	s_cbranch_execz .LBB88_228
; %bb.227:
	v_mov_b32_e32 v196, 10
	ds_write2_b64 v1, v[130:131], v[132:133] offset0:22 offset1:23
	ds_write2_b64 v1, v[138:139], v[140:141] offset0:24 offset1:25
	;; [unrolled: 1-line block ×34, first 2 shown]
.LBB88_228:
	s_or_b32 exec_lo, exec_lo, s0
	s_mov_b32 s0, exec_lo
	s_waitcnt lgkmcnt(0)
	s_waitcnt_vscnt null, 0x0
	s_barrier
	buffer_gl0_inv
	v_cmpx_lt_i32_e32 10, v196
	s_cbranch_execz .LBB88_230
; %bb.229:
	v_mul_f64 v[190:191], v[184:185], v[136:137]
	v_mul_f64 v[136:137], v[182:183], v[136:137]
	v_fma_f64 v[190:191], v[182:183], v[134:135], -v[190:191]
	v_fma_f64 v[136:137], v[184:185], v[134:135], v[136:137]
	ds_read2_b64 v[182:185], v1 offset0:22 offset1:23
	s_waitcnt lgkmcnt(0)
	v_mul_f64 v[134:135], v[184:185], v[136:137]
	v_fma_f64 v[134:135], v[182:183], v[190:191], -v[134:135]
	v_mul_f64 v[182:183], v[182:183], v[136:137]
	v_add_f64 v[130:131], v[130:131], -v[134:135]
	v_fma_f64 v[182:183], v[184:185], v[190:191], v[182:183]
	v_add_f64 v[132:133], v[132:133], -v[182:183]
	ds_read2_b64 v[182:185], v1 offset0:24 offset1:25
	s_waitcnt lgkmcnt(0)
	v_mul_f64 v[134:135], v[184:185], v[136:137]
	v_fma_f64 v[134:135], v[182:183], v[190:191], -v[134:135]
	v_mul_f64 v[182:183], v[182:183], v[136:137]
	v_add_f64 v[138:139], v[138:139], -v[134:135]
	v_fma_f64 v[182:183], v[184:185], v[190:191], v[182:183]
	v_add_f64 v[140:141], v[140:141], -v[182:183]
	;; [unrolled: 8-line block ×33, first 2 shown]
	ds_read2_b64 v[182:185], v1 offset0:88 offset1:89
	s_waitcnt lgkmcnt(0)
	v_mul_f64 v[134:135], v[184:185], v[136:137]
	v_fma_f64 v[134:135], v[182:183], v[190:191], -v[134:135]
	v_mul_f64 v[182:183], v[182:183], v[136:137]
	v_add_f64 v[2:3], v[2:3], -v[134:135]
	v_fma_f64 v[182:183], v[184:185], v[190:191], v[182:183]
	v_mov_b32_e32 v134, v190
	v_mov_b32_e32 v135, v191
	v_add_f64 v[4:5], v[4:5], -v[182:183]
.LBB88_230:
	s_or_b32 exec_lo, exec_lo, s0
	v_lshl_add_u32 v182, v196, 4, v1
	s_barrier
	buffer_gl0_inv
	v_mov_b32_e32 v190, 11
	ds_write2_b64 v182, v[130:131], v[132:133] offset1:1
	s_waitcnt lgkmcnt(0)
	s_barrier
	buffer_gl0_inv
	ds_read2_b64 v[182:185], v1 offset0:22 offset1:23
	s_cmp_lt_i32 s1, 13
	s_cbranch_scc1 .LBB88_233
; %bb.231:
	v_add3_u32 v191, v192, 0, 0xc0
	v_mov_b32_e32 v190, 11
	s_mov_b32 s7, 12
	s_inst_prefetch 0x1
	.p2align	6
.LBB88_232:                             ; =>This Inner Loop Header: Depth=1
	s_waitcnt lgkmcnt(0)
	v_cmp_gt_f64_e32 vcc_lo, 0, v[184:185]
	v_cmp_gt_f64_e64 s0, 0, v[182:183]
	ds_read2_b64 v[197:200], v191 offset1:1
	v_xor_b32_e32 v202, 0x80000000, v183
	v_xor_b32_e32 v204, 0x80000000, v185
	v_mov_b32_e32 v201, v182
	v_mov_b32_e32 v203, v184
	v_add_nc_u32_e32 v191, 16, v191
	s_waitcnt lgkmcnt(0)
	v_xor_b32_e32 v206, 0x80000000, v200
	v_cndmask_b32_e64 v202, v183, v202, s0
	v_cndmask_b32_e32 v204, v185, v204, vcc_lo
	v_cmp_gt_f64_e32 vcc_lo, 0, v[199:200]
	v_cmp_gt_f64_e64 s0, 0, v[197:198]
	v_mov_b32_e32 v205, v199
	v_add_f64 v[201:202], v[201:202], v[203:204]
	v_xor_b32_e32 v204, 0x80000000, v198
	v_mov_b32_e32 v203, v197
	v_cndmask_b32_e32 v206, v200, v206, vcc_lo
	v_cndmask_b32_e64 v204, v198, v204, s0
	v_add_f64 v[203:204], v[203:204], v[205:206]
	v_cmp_lt_f64_e32 vcc_lo, v[201:202], v[203:204]
	v_cndmask_b32_e32 v183, v183, v198, vcc_lo
	v_cndmask_b32_e32 v182, v182, v197, vcc_lo
	;; [unrolled: 1-line block ×4, first 2 shown]
	v_cndmask_b32_e64 v190, v190, s7, vcc_lo
	s_add_i32 s7, s7, 1
	s_cmp_lg_u32 s1, s7
	s_cbranch_scc1 .LBB88_232
.LBB88_233:
	s_inst_prefetch 0x2
	s_waitcnt lgkmcnt(0)
	v_cmp_eq_f64_e32 vcc_lo, 0, v[182:183]
	v_cmp_eq_f64_e64 s0, 0, v[184:185]
	s_and_b32 s0, vcc_lo, s0
	s_and_saveexec_b32 s7, s0
	s_xor_b32 s0, exec_lo, s7
; %bb.234:
	v_cmp_ne_u32_e32 vcc_lo, 0, v195
	v_cndmask_b32_e32 v195, 12, v195, vcc_lo
; %bb.235:
	s_andn2_saveexec_b32 s0, s0
	s_cbranch_execz .LBB88_241
; %bb.236:
	v_cmp_ngt_f64_e64 s7, |v[182:183]|, |v[184:185]|
	s_and_saveexec_b32 s8, s7
	s_xor_b32 s7, exec_lo, s8
	s_cbranch_execz .LBB88_238
; %bb.237:
	v_div_scale_f64 v[197:198], null, v[184:185], v[184:185], v[182:183]
	v_div_scale_f64 v[203:204], vcc_lo, v[182:183], v[184:185], v[182:183]
	v_rcp_f64_e32 v[199:200], v[197:198]
	v_fma_f64 v[201:202], -v[197:198], v[199:200], 1.0
	v_fma_f64 v[199:200], v[199:200], v[201:202], v[199:200]
	v_fma_f64 v[201:202], -v[197:198], v[199:200], 1.0
	v_fma_f64 v[199:200], v[199:200], v[201:202], v[199:200]
	v_mul_f64 v[201:202], v[203:204], v[199:200]
	v_fma_f64 v[197:198], -v[197:198], v[201:202], v[203:204]
	v_div_fmas_f64 v[197:198], v[197:198], v[199:200], v[201:202]
	v_div_fixup_f64 v[197:198], v[197:198], v[184:185], v[182:183]
	v_fma_f64 v[182:183], v[182:183], v[197:198], v[184:185]
	v_div_scale_f64 v[184:185], null, v[182:183], v[182:183], 1.0
	v_rcp_f64_e32 v[199:200], v[184:185]
	v_fma_f64 v[201:202], -v[184:185], v[199:200], 1.0
	v_fma_f64 v[199:200], v[199:200], v[201:202], v[199:200]
	v_fma_f64 v[201:202], -v[184:185], v[199:200], 1.0
	v_fma_f64 v[199:200], v[199:200], v[201:202], v[199:200]
	v_div_scale_f64 v[201:202], vcc_lo, 1.0, v[182:183], 1.0
	v_mul_f64 v[203:204], v[201:202], v[199:200]
	v_fma_f64 v[184:185], -v[184:185], v[203:204], v[201:202]
	v_div_fmas_f64 v[184:185], v[184:185], v[199:200], v[203:204]
	v_div_fixup_f64 v[184:185], v[184:185], v[182:183], 1.0
	v_mul_f64 v[182:183], v[197:198], v[184:185]
	v_xor_b32_e32 v185, 0x80000000, v185
.LBB88_238:
	s_andn2_saveexec_b32 s7, s7
	s_cbranch_execz .LBB88_240
; %bb.239:
	v_div_scale_f64 v[197:198], null, v[182:183], v[182:183], v[184:185]
	v_div_scale_f64 v[203:204], vcc_lo, v[184:185], v[182:183], v[184:185]
	v_rcp_f64_e32 v[199:200], v[197:198]
	v_fma_f64 v[201:202], -v[197:198], v[199:200], 1.0
	v_fma_f64 v[199:200], v[199:200], v[201:202], v[199:200]
	v_fma_f64 v[201:202], -v[197:198], v[199:200], 1.0
	v_fma_f64 v[199:200], v[199:200], v[201:202], v[199:200]
	v_mul_f64 v[201:202], v[203:204], v[199:200]
	v_fma_f64 v[197:198], -v[197:198], v[201:202], v[203:204]
	v_div_fmas_f64 v[197:198], v[197:198], v[199:200], v[201:202]
	v_div_fixup_f64 v[197:198], v[197:198], v[182:183], v[184:185]
	v_fma_f64 v[182:183], v[184:185], v[197:198], v[182:183]
	v_div_scale_f64 v[184:185], null, v[182:183], v[182:183], 1.0
	v_rcp_f64_e32 v[199:200], v[184:185]
	v_fma_f64 v[201:202], -v[184:185], v[199:200], 1.0
	v_fma_f64 v[199:200], v[199:200], v[201:202], v[199:200]
	v_fma_f64 v[201:202], -v[184:185], v[199:200], 1.0
	v_fma_f64 v[199:200], v[199:200], v[201:202], v[199:200]
	v_div_scale_f64 v[201:202], vcc_lo, 1.0, v[182:183], 1.0
	v_mul_f64 v[203:204], v[201:202], v[199:200]
	v_fma_f64 v[184:185], -v[184:185], v[203:204], v[201:202]
	v_div_fmas_f64 v[184:185], v[184:185], v[199:200], v[203:204]
	v_div_fixup_f64 v[182:183], v[184:185], v[182:183], 1.0
	v_mul_f64 v[184:185], v[197:198], -v[182:183]
.LBB88_240:
	s_or_b32 exec_lo, exec_lo, s7
.LBB88_241:
	s_or_b32 exec_lo, exec_lo, s0
	s_mov_b32 s0, exec_lo
	v_cmpx_ne_u32_e64 v196, v190
	s_xor_b32 s0, exec_lo, s0
	s_cbranch_execz .LBB88_247
; %bb.242:
	s_mov_b32 s7, exec_lo
	v_cmpx_eq_u32_e32 11, v196
	s_cbranch_execz .LBB88_246
; %bb.243:
	v_cmp_ne_u32_e32 vcc_lo, 11, v190
	s_xor_b32 s8, s16, -1
	s_and_b32 s9, s8, vcc_lo
	s_and_saveexec_b32 s8, s9
	s_cbranch_execz .LBB88_245
; %bb.244:
	v_ashrrev_i32_e32 v191, 31, v190
	v_lshlrev_b64 v[196:197], 2, v[190:191]
	v_add_co_u32 v196, vcc_lo, v188, v196
	v_add_co_ci_u32_e64 v197, null, v189, v197, vcc_lo
	s_clause 0x1
	global_load_dword v0, v[196:197], off
	global_load_dword v191, v[188:189], off offset:44
	s_waitcnt vmcnt(1)
	global_store_dword v[188:189], v0, off offset:44
	s_waitcnt vmcnt(0)
	global_store_dword v[196:197], v191, off
.LBB88_245:
	s_or_b32 exec_lo, exec_lo, s8
	v_mov_b32_e32 v196, v190
	v_mov_b32_e32 v0, v190
.LBB88_246:
	s_or_b32 exec_lo, exec_lo, s7
.LBB88_247:
	s_andn2_saveexec_b32 s0, s0
	s_cbranch_execz .LBB88_249
; %bb.248:
	v_mov_b32_e32 v196, 11
	ds_write2_b64 v1, v[138:139], v[140:141] offset0:24 offset1:25
	ds_write2_b64 v1, v[122:123], v[124:125] offset0:26 offset1:27
	;; [unrolled: 1-line block ×33, first 2 shown]
.LBB88_249:
	s_or_b32 exec_lo, exec_lo, s0
	s_mov_b32 s0, exec_lo
	s_waitcnt lgkmcnt(0)
	s_waitcnt_vscnt null, 0x0
	s_barrier
	buffer_gl0_inv
	v_cmpx_lt_i32_e32 11, v196
	s_cbranch_execz .LBB88_251
; %bb.250:
	v_mul_f64 v[190:191], v[184:185], v[132:133]
	v_mul_f64 v[132:133], v[182:183], v[132:133]
	v_fma_f64 v[190:191], v[182:183], v[130:131], -v[190:191]
	v_fma_f64 v[132:133], v[184:185], v[130:131], v[132:133]
	ds_read2_b64 v[182:185], v1 offset0:24 offset1:25
	s_waitcnt lgkmcnt(0)
	v_mul_f64 v[130:131], v[184:185], v[132:133]
	v_fma_f64 v[130:131], v[182:183], v[190:191], -v[130:131]
	v_mul_f64 v[182:183], v[182:183], v[132:133]
	v_add_f64 v[138:139], v[138:139], -v[130:131]
	v_fma_f64 v[182:183], v[184:185], v[190:191], v[182:183]
	v_add_f64 v[140:141], v[140:141], -v[182:183]
	ds_read2_b64 v[182:185], v1 offset0:26 offset1:27
	s_waitcnt lgkmcnt(0)
	v_mul_f64 v[130:131], v[184:185], v[132:133]
	v_fma_f64 v[130:131], v[182:183], v[190:191], -v[130:131]
	v_mul_f64 v[182:183], v[182:183], v[132:133]
	v_add_f64 v[122:123], v[122:123], -v[130:131]
	v_fma_f64 v[182:183], v[184:185], v[190:191], v[182:183]
	v_add_f64 v[124:125], v[124:125], -v[182:183]
	;; [unrolled: 8-line block ×32, first 2 shown]
	ds_read2_b64 v[182:185], v1 offset0:88 offset1:89
	s_waitcnt lgkmcnt(0)
	v_mul_f64 v[130:131], v[184:185], v[132:133]
	v_fma_f64 v[130:131], v[182:183], v[190:191], -v[130:131]
	v_mul_f64 v[182:183], v[182:183], v[132:133]
	v_add_f64 v[2:3], v[2:3], -v[130:131]
	v_fma_f64 v[182:183], v[184:185], v[190:191], v[182:183]
	v_mov_b32_e32 v130, v190
	v_mov_b32_e32 v131, v191
	v_add_f64 v[4:5], v[4:5], -v[182:183]
.LBB88_251:
	s_or_b32 exec_lo, exec_lo, s0
	v_lshl_add_u32 v182, v196, 4, v1
	s_barrier
	buffer_gl0_inv
	v_mov_b32_e32 v190, 12
	ds_write2_b64 v182, v[138:139], v[140:141] offset1:1
	s_waitcnt lgkmcnt(0)
	s_barrier
	buffer_gl0_inv
	ds_read2_b64 v[182:185], v1 offset0:24 offset1:25
	s_cmp_lt_i32 s1, 14
	s_cbranch_scc1 .LBB88_254
; %bb.252:
	v_add3_u32 v191, v192, 0, 0xd0
	v_mov_b32_e32 v190, 12
	s_mov_b32 s7, 13
	s_inst_prefetch 0x1
	.p2align	6
.LBB88_253:                             ; =>This Inner Loop Header: Depth=1
	s_waitcnt lgkmcnt(0)
	v_cmp_gt_f64_e32 vcc_lo, 0, v[184:185]
	v_cmp_gt_f64_e64 s0, 0, v[182:183]
	ds_read2_b64 v[197:200], v191 offset1:1
	v_xor_b32_e32 v202, 0x80000000, v183
	v_xor_b32_e32 v204, 0x80000000, v185
	v_mov_b32_e32 v201, v182
	v_mov_b32_e32 v203, v184
	v_add_nc_u32_e32 v191, 16, v191
	s_waitcnt lgkmcnt(0)
	v_xor_b32_e32 v206, 0x80000000, v200
	v_cndmask_b32_e64 v202, v183, v202, s0
	v_cndmask_b32_e32 v204, v185, v204, vcc_lo
	v_cmp_gt_f64_e32 vcc_lo, 0, v[199:200]
	v_cmp_gt_f64_e64 s0, 0, v[197:198]
	v_mov_b32_e32 v205, v199
	v_add_f64 v[201:202], v[201:202], v[203:204]
	v_xor_b32_e32 v204, 0x80000000, v198
	v_mov_b32_e32 v203, v197
	v_cndmask_b32_e32 v206, v200, v206, vcc_lo
	v_cndmask_b32_e64 v204, v198, v204, s0
	v_add_f64 v[203:204], v[203:204], v[205:206]
	v_cmp_lt_f64_e32 vcc_lo, v[201:202], v[203:204]
	v_cndmask_b32_e32 v183, v183, v198, vcc_lo
	v_cndmask_b32_e32 v182, v182, v197, vcc_lo
	;; [unrolled: 1-line block ×4, first 2 shown]
	v_cndmask_b32_e64 v190, v190, s7, vcc_lo
	s_add_i32 s7, s7, 1
	s_cmp_lg_u32 s1, s7
	s_cbranch_scc1 .LBB88_253
.LBB88_254:
	s_inst_prefetch 0x2
	s_waitcnt lgkmcnt(0)
	v_cmp_eq_f64_e32 vcc_lo, 0, v[182:183]
	v_cmp_eq_f64_e64 s0, 0, v[184:185]
	s_and_b32 s0, vcc_lo, s0
	s_and_saveexec_b32 s7, s0
	s_xor_b32 s0, exec_lo, s7
; %bb.255:
	v_cmp_ne_u32_e32 vcc_lo, 0, v195
	v_cndmask_b32_e32 v195, 13, v195, vcc_lo
; %bb.256:
	s_andn2_saveexec_b32 s0, s0
	s_cbranch_execz .LBB88_262
; %bb.257:
	v_cmp_ngt_f64_e64 s7, |v[182:183]|, |v[184:185]|
	s_and_saveexec_b32 s8, s7
	s_xor_b32 s7, exec_lo, s8
	s_cbranch_execz .LBB88_259
; %bb.258:
	v_div_scale_f64 v[197:198], null, v[184:185], v[184:185], v[182:183]
	v_div_scale_f64 v[203:204], vcc_lo, v[182:183], v[184:185], v[182:183]
	v_rcp_f64_e32 v[199:200], v[197:198]
	v_fma_f64 v[201:202], -v[197:198], v[199:200], 1.0
	v_fma_f64 v[199:200], v[199:200], v[201:202], v[199:200]
	v_fma_f64 v[201:202], -v[197:198], v[199:200], 1.0
	v_fma_f64 v[199:200], v[199:200], v[201:202], v[199:200]
	v_mul_f64 v[201:202], v[203:204], v[199:200]
	v_fma_f64 v[197:198], -v[197:198], v[201:202], v[203:204]
	v_div_fmas_f64 v[197:198], v[197:198], v[199:200], v[201:202]
	v_div_fixup_f64 v[197:198], v[197:198], v[184:185], v[182:183]
	v_fma_f64 v[182:183], v[182:183], v[197:198], v[184:185]
	v_div_scale_f64 v[184:185], null, v[182:183], v[182:183], 1.0
	v_rcp_f64_e32 v[199:200], v[184:185]
	v_fma_f64 v[201:202], -v[184:185], v[199:200], 1.0
	v_fma_f64 v[199:200], v[199:200], v[201:202], v[199:200]
	v_fma_f64 v[201:202], -v[184:185], v[199:200], 1.0
	v_fma_f64 v[199:200], v[199:200], v[201:202], v[199:200]
	v_div_scale_f64 v[201:202], vcc_lo, 1.0, v[182:183], 1.0
	v_mul_f64 v[203:204], v[201:202], v[199:200]
	v_fma_f64 v[184:185], -v[184:185], v[203:204], v[201:202]
	v_div_fmas_f64 v[184:185], v[184:185], v[199:200], v[203:204]
	v_div_fixup_f64 v[184:185], v[184:185], v[182:183], 1.0
	v_mul_f64 v[182:183], v[197:198], v[184:185]
	v_xor_b32_e32 v185, 0x80000000, v185
.LBB88_259:
	s_andn2_saveexec_b32 s7, s7
	s_cbranch_execz .LBB88_261
; %bb.260:
	v_div_scale_f64 v[197:198], null, v[182:183], v[182:183], v[184:185]
	v_div_scale_f64 v[203:204], vcc_lo, v[184:185], v[182:183], v[184:185]
	v_rcp_f64_e32 v[199:200], v[197:198]
	v_fma_f64 v[201:202], -v[197:198], v[199:200], 1.0
	v_fma_f64 v[199:200], v[199:200], v[201:202], v[199:200]
	v_fma_f64 v[201:202], -v[197:198], v[199:200], 1.0
	v_fma_f64 v[199:200], v[199:200], v[201:202], v[199:200]
	v_mul_f64 v[201:202], v[203:204], v[199:200]
	v_fma_f64 v[197:198], -v[197:198], v[201:202], v[203:204]
	v_div_fmas_f64 v[197:198], v[197:198], v[199:200], v[201:202]
	v_div_fixup_f64 v[197:198], v[197:198], v[182:183], v[184:185]
	v_fma_f64 v[182:183], v[184:185], v[197:198], v[182:183]
	v_div_scale_f64 v[184:185], null, v[182:183], v[182:183], 1.0
	v_rcp_f64_e32 v[199:200], v[184:185]
	v_fma_f64 v[201:202], -v[184:185], v[199:200], 1.0
	v_fma_f64 v[199:200], v[199:200], v[201:202], v[199:200]
	v_fma_f64 v[201:202], -v[184:185], v[199:200], 1.0
	v_fma_f64 v[199:200], v[199:200], v[201:202], v[199:200]
	v_div_scale_f64 v[201:202], vcc_lo, 1.0, v[182:183], 1.0
	v_mul_f64 v[203:204], v[201:202], v[199:200]
	v_fma_f64 v[184:185], -v[184:185], v[203:204], v[201:202]
	v_div_fmas_f64 v[184:185], v[184:185], v[199:200], v[203:204]
	v_div_fixup_f64 v[182:183], v[184:185], v[182:183], 1.0
	v_mul_f64 v[184:185], v[197:198], -v[182:183]
.LBB88_261:
	s_or_b32 exec_lo, exec_lo, s7
.LBB88_262:
	s_or_b32 exec_lo, exec_lo, s0
	s_mov_b32 s0, exec_lo
	v_cmpx_ne_u32_e64 v196, v190
	s_xor_b32 s0, exec_lo, s0
	s_cbranch_execz .LBB88_268
; %bb.263:
	s_mov_b32 s7, exec_lo
	v_cmpx_eq_u32_e32 12, v196
	s_cbranch_execz .LBB88_267
; %bb.264:
	v_cmp_ne_u32_e32 vcc_lo, 12, v190
	s_xor_b32 s8, s16, -1
	s_and_b32 s9, s8, vcc_lo
	s_and_saveexec_b32 s8, s9
	s_cbranch_execz .LBB88_266
; %bb.265:
	v_ashrrev_i32_e32 v191, 31, v190
	v_lshlrev_b64 v[196:197], 2, v[190:191]
	v_add_co_u32 v196, vcc_lo, v188, v196
	v_add_co_ci_u32_e64 v197, null, v189, v197, vcc_lo
	s_clause 0x1
	global_load_dword v0, v[196:197], off
	global_load_dword v191, v[188:189], off offset:48
	s_waitcnt vmcnt(1)
	global_store_dword v[188:189], v0, off offset:48
	s_waitcnt vmcnt(0)
	global_store_dword v[196:197], v191, off
.LBB88_266:
	s_or_b32 exec_lo, exec_lo, s8
	v_mov_b32_e32 v196, v190
	v_mov_b32_e32 v0, v190
.LBB88_267:
	s_or_b32 exec_lo, exec_lo, s7
.LBB88_268:
	s_andn2_saveexec_b32 s0, s0
	s_cbranch_execz .LBB88_270
; %bb.269:
	v_mov_b32_e32 v196, 12
	ds_write2_b64 v1, v[122:123], v[124:125] offset0:26 offset1:27
	ds_write2_b64 v1, v[126:127], v[128:129] offset0:28 offset1:29
	;; [unrolled: 1-line block ×32, first 2 shown]
.LBB88_270:
	s_or_b32 exec_lo, exec_lo, s0
	s_mov_b32 s0, exec_lo
	s_waitcnt lgkmcnt(0)
	s_waitcnt_vscnt null, 0x0
	s_barrier
	buffer_gl0_inv
	v_cmpx_lt_i32_e32 12, v196
	s_cbranch_execz .LBB88_272
; %bb.271:
	v_mul_f64 v[190:191], v[184:185], v[140:141]
	v_mul_f64 v[140:141], v[182:183], v[140:141]
	v_fma_f64 v[190:191], v[182:183], v[138:139], -v[190:191]
	v_fma_f64 v[140:141], v[184:185], v[138:139], v[140:141]
	ds_read2_b64 v[182:185], v1 offset0:26 offset1:27
	s_waitcnt lgkmcnt(0)
	v_mul_f64 v[138:139], v[184:185], v[140:141]
	v_fma_f64 v[138:139], v[182:183], v[190:191], -v[138:139]
	v_mul_f64 v[182:183], v[182:183], v[140:141]
	v_add_f64 v[122:123], v[122:123], -v[138:139]
	v_fma_f64 v[182:183], v[184:185], v[190:191], v[182:183]
	v_add_f64 v[124:125], v[124:125], -v[182:183]
	ds_read2_b64 v[182:185], v1 offset0:28 offset1:29
	s_waitcnt lgkmcnt(0)
	v_mul_f64 v[138:139], v[184:185], v[140:141]
	v_fma_f64 v[138:139], v[182:183], v[190:191], -v[138:139]
	v_mul_f64 v[182:183], v[182:183], v[140:141]
	v_add_f64 v[126:127], v[126:127], -v[138:139]
	v_fma_f64 v[182:183], v[184:185], v[190:191], v[182:183]
	v_add_f64 v[128:129], v[128:129], -v[182:183]
	;; [unrolled: 8-line block ×31, first 2 shown]
	ds_read2_b64 v[182:185], v1 offset0:88 offset1:89
	s_waitcnt lgkmcnt(0)
	v_mul_f64 v[138:139], v[184:185], v[140:141]
	v_fma_f64 v[138:139], v[182:183], v[190:191], -v[138:139]
	v_mul_f64 v[182:183], v[182:183], v[140:141]
	v_add_f64 v[2:3], v[2:3], -v[138:139]
	v_fma_f64 v[182:183], v[184:185], v[190:191], v[182:183]
	v_mov_b32_e32 v138, v190
	v_mov_b32_e32 v139, v191
	v_add_f64 v[4:5], v[4:5], -v[182:183]
.LBB88_272:
	s_or_b32 exec_lo, exec_lo, s0
	v_lshl_add_u32 v182, v196, 4, v1
	s_barrier
	buffer_gl0_inv
	v_mov_b32_e32 v190, 13
	ds_write2_b64 v182, v[122:123], v[124:125] offset1:1
	s_waitcnt lgkmcnt(0)
	s_barrier
	buffer_gl0_inv
	ds_read2_b64 v[182:185], v1 offset0:26 offset1:27
	s_cmp_lt_i32 s1, 15
	s_cbranch_scc1 .LBB88_275
; %bb.273:
	v_add3_u32 v191, v192, 0, 0xe0
	v_mov_b32_e32 v190, 13
	s_mov_b32 s7, 14
	s_inst_prefetch 0x1
	.p2align	6
.LBB88_274:                             ; =>This Inner Loop Header: Depth=1
	s_waitcnt lgkmcnt(0)
	v_cmp_gt_f64_e32 vcc_lo, 0, v[184:185]
	v_cmp_gt_f64_e64 s0, 0, v[182:183]
	ds_read2_b64 v[197:200], v191 offset1:1
	v_xor_b32_e32 v202, 0x80000000, v183
	v_xor_b32_e32 v204, 0x80000000, v185
	v_mov_b32_e32 v201, v182
	v_mov_b32_e32 v203, v184
	v_add_nc_u32_e32 v191, 16, v191
	s_waitcnt lgkmcnt(0)
	v_xor_b32_e32 v206, 0x80000000, v200
	v_cndmask_b32_e64 v202, v183, v202, s0
	v_cndmask_b32_e32 v204, v185, v204, vcc_lo
	v_cmp_gt_f64_e32 vcc_lo, 0, v[199:200]
	v_cmp_gt_f64_e64 s0, 0, v[197:198]
	v_mov_b32_e32 v205, v199
	v_add_f64 v[201:202], v[201:202], v[203:204]
	v_xor_b32_e32 v204, 0x80000000, v198
	v_mov_b32_e32 v203, v197
	v_cndmask_b32_e32 v206, v200, v206, vcc_lo
	v_cndmask_b32_e64 v204, v198, v204, s0
	v_add_f64 v[203:204], v[203:204], v[205:206]
	v_cmp_lt_f64_e32 vcc_lo, v[201:202], v[203:204]
	v_cndmask_b32_e32 v183, v183, v198, vcc_lo
	v_cndmask_b32_e32 v182, v182, v197, vcc_lo
	;; [unrolled: 1-line block ×4, first 2 shown]
	v_cndmask_b32_e64 v190, v190, s7, vcc_lo
	s_add_i32 s7, s7, 1
	s_cmp_lg_u32 s1, s7
	s_cbranch_scc1 .LBB88_274
.LBB88_275:
	s_inst_prefetch 0x2
	s_waitcnt lgkmcnt(0)
	v_cmp_eq_f64_e32 vcc_lo, 0, v[182:183]
	v_cmp_eq_f64_e64 s0, 0, v[184:185]
	s_and_b32 s0, vcc_lo, s0
	s_and_saveexec_b32 s7, s0
	s_xor_b32 s0, exec_lo, s7
; %bb.276:
	v_cmp_ne_u32_e32 vcc_lo, 0, v195
	v_cndmask_b32_e32 v195, 14, v195, vcc_lo
; %bb.277:
	s_andn2_saveexec_b32 s0, s0
	s_cbranch_execz .LBB88_283
; %bb.278:
	v_cmp_ngt_f64_e64 s7, |v[182:183]|, |v[184:185]|
	s_and_saveexec_b32 s8, s7
	s_xor_b32 s7, exec_lo, s8
	s_cbranch_execz .LBB88_280
; %bb.279:
	v_div_scale_f64 v[197:198], null, v[184:185], v[184:185], v[182:183]
	v_div_scale_f64 v[203:204], vcc_lo, v[182:183], v[184:185], v[182:183]
	v_rcp_f64_e32 v[199:200], v[197:198]
	v_fma_f64 v[201:202], -v[197:198], v[199:200], 1.0
	v_fma_f64 v[199:200], v[199:200], v[201:202], v[199:200]
	v_fma_f64 v[201:202], -v[197:198], v[199:200], 1.0
	v_fma_f64 v[199:200], v[199:200], v[201:202], v[199:200]
	v_mul_f64 v[201:202], v[203:204], v[199:200]
	v_fma_f64 v[197:198], -v[197:198], v[201:202], v[203:204]
	v_div_fmas_f64 v[197:198], v[197:198], v[199:200], v[201:202]
	v_div_fixup_f64 v[197:198], v[197:198], v[184:185], v[182:183]
	v_fma_f64 v[182:183], v[182:183], v[197:198], v[184:185]
	v_div_scale_f64 v[184:185], null, v[182:183], v[182:183], 1.0
	v_rcp_f64_e32 v[199:200], v[184:185]
	v_fma_f64 v[201:202], -v[184:185], v[199:200], 1.0
	v_fma_f64 v[199:200], v[199:200], v[201:202], v[199:200]
	v_fma_f64 v[201:202], -v[184:185], v[199:200], 1.0
	v_fma_f64 v[199:200], v[199:200], v[201:202], v[199:200]
	v_div_scale_f64 v[201:202], vcc_lo, 1.0, v[182:183], 1.0
	v_mul_f64 v[203:204], v[201:202], v[199:200]
	v_fma_f64 v[184:185], -v[184:185], v[203:204], v[201:202]
	v_div_fmas_f64 v[184:185], v[184:185], v[199:200], v[203:204]
	v_div_fixup_f64 v[184:185], v[184:185], v[182:183], 1.0
	v_mul_f64 v[182:183], v[197:198], v[184:185]
	v_xor_b32_e32 v185, 0x80000000, v185
.LBB88_280:
	s_andn2_saveexec_b32 s7, s7
	s_cbranch_execz .LBB88_282
; %bb.281:
	v_div_scale_f64 v[197:198], null, v[182:183], v[182:183], v[184:185]
	v_div_scale_f64 v[203:204], vcc_lo, v[184:185], v[182:183], v[184:185]
	v_rcp_f64_e32 v[199:200], v[197:198]
	v_fma_f64 v[201:202], -v[197:198], v[199:200], 1.0
	v_fma_f64 v[199:200], v[199:200], v[201:202], v[199:200]
	v_fma_f64 v[201:202], -v[197:198], v[199:200], 1.0
	v_fma_f64 v[199:200], v[199:200], v[201:202], v[199:200]
	v_mul_f64 v[201:202], v[203:204], v[199:200]
	v_fma_f64 v[197:198], -v[197:198], v[201:202], v[203:204]
	v_div_fmas_f64 v[197:198], v[197:198], v[199:200], v[201:202]
	v_div_fixup_f64 v[197:198], v[197:198], v[182:183], v[184:185]
	v_fma_f64 v[182:183], v[184:185], v[197:198], v[182:183]
	v_div_scale_f64 v[184:185], null, v[182:183], v[182:183], 1.0
	v_rcp_f64_e32 v[199:200], v[184:185]
	v_fma_f64 v[201:202], -v[184:185], v[199:200], 1.0
	v_fma_f64 v[199:200], v[199:200], v[201:202], v[199:200]
	v_fma_f64 v[201:202], -v[184:185], v[199:200], 1.0
	v_fma_f64 v[199:200], v[199:200], v[201:202], v[199:200]
	v_div_scale_f64 v[201:202], vcc_lo, 1.0, v[182:183], 1.0
	v_mul_f64 v[203:204], v[201:202], v[199:200]
	v_fma_f64 v[184:185], -v[184:185], v[203:204], v[201:202]
	v_div_fmas_f64 v[184:185], v[184:185], v[199:200], v[203:204]
	v_div_fixup_f64 v[182:183], v[184:185], v[182:183], 1.0
	v_mul_f64 v[184:185], v[197:198], -v[182:183]
.LBB88_282:
	s_or_b32 exec_lo, exec_lo, s7
.LBB88_283:
	s_or_b32 exec_lo, exec_lo, s0
	s_mov_b32 s0, exec_lo
	v_cmpx_ne_u32_e64 v196, v190
	s_xor_b32 s0, exec_lo, s0
	s_cbranch_execz .LBB88_289
; %bb.284:
	s_mov_b32 s7, exec_lo
	v_cmpx_eq_u32_e32 13, v196
	s_cbranch_execz .LBB88_288
; %bb.285:
	v_cmp_ne_u32_e32 vcc_lo, 13, v190
	s_xor_b32 s8, s16, -1
	s_and_b32 s9, s8, vcc_lo
	s_and_saveexec_b32 s8, s9
	s_cbranch_execz .LBB88_287
; %bb.286:
	v_ashrrev_i32_e32 v191, 31, v190
	v_lshlrev_b64 v[196:197], 2, v[190:191]
	v_add_co_u32 v196, vcc_lo, v188, v196
	v_add_co_ci_u32_e64 v197, null, v189, v197, vcc_lo
	s_clause 0x1
	global_load_dword v0, v[196:197], off
	global_load_dword v191, v[188:189], off offset:52
	s_waitcnt vmcnt(1)
	global_store_dword v[188:189], v0, off offset:52
	s_waitcnt vmcnt(0)
	global_store_dword v[196:197], v191, off
.LBB88_287:
	s_or_b32 exec_lo, exec_lo, s8
	v_mov_b32_e32 v196, v190
	v_mov_b32_e32 v0, v190
.LBB88_288:
	s_or_b32 exec_lo, exec_lo, s7
.LBB88_289:
	s_andn2_saveexec_b32 s0, s0
	s_cbranch_execz .LBB88_291
; %bb.290:
	v_mov_b32_e32 v196, 13
	ds_write2_b64 v1, v[126:127], v[128:129] offset0:28 offset1:29
	ds_write2_b64 v1, v[110:111], v[112:113] offset0:30 offset1:31
	;; [unrolled: 1-line block ×31, first 2 shown]
.LBB88_291:
	s_or_b32 exec_lo, exec_lo, s0
	s_mov_b32 s0, exec_lo
	s_waitcnt lgkmcnt(0)
	s_waitcnt_vscnt null, 0x0
	s_barrier
	buffer_gl0_inv
	v_cmpx_lt_i32_e32 13, v196
	s_cbranch_execz .LBB88_293
; %bb.292:
	v_mul_f64 v[190:191], v[184:185], v[124:125]
	v_mul_f64 v[124:125], v[182:183], v[124:125]
	v_fma_f64 v[190:191], v[182:183], v[122:123], -v[190:191]
	v_fma_f64 v[124:125], v[184:185], v[122:123], v[124:125]
	ds_read2_b64 v[182:185], v1 offset0:28 offset1:29
	s_waitcnt lgkmcnt(0)
	v_mul_f64 v[122:123], v[184:185], v[124:125]
	v_fma_f64 v[122:123], v[182:183], v[190:191], -v[122:123]
	v_mul_f64 v[182:183], v[182:183], v[124:125]
	v_add_f64 v[126:127], v[126:127], -v[122:123]
	v_fma_f64 v[182:183], v[184:185], v[190:191], v[182:183]
	v_add_f64 v[128:129], v[128:129], -v[182:183]
	ds_read2_b64 v[182:185], v1 offset0:30 offset1:31
	s_waitcnt lgkmcnt(0)
	v_mul_f64 v[122:123], v[184:185], v[124:125]
	v_fma_f64 v[122:123], v[182:183], v[190:191], -v[122:123]
	v_mul_f64 v[182:183], v[182:183], v[124:125]
	v_add_f64 v[110:111], v[110:111], -v[122:123]
	v_fma_f64 v[182:183], v[184:185], v[190:191], v[182:183]
	v_add_f64 v[112:113], v[112:113], -v[182:183]
	;; [unrolled: 8-line block ×30, first 2 shown]
	ds_read2_b64 v[182:185], v1 offset0:88 offset1:89
	s_waitcnt lgkmcnt(0)
	v_mul_f64 v[122:123], v[184:185], v[124:125]
	v_fma_f64 v[122:123], v[182:183], v[190:191], -v[122:123]
	v_mul_f64 v[182:183], v[182:183], v[124:125]
	v_add_f64 v[2:3], v[2:3], -v[122:123]
	v_fma_f64 v[182:183], v[184:185], v[190:191], v[182:183]
	v_mov_b32_e32 v122, v190
	v_mov_b32_e32 v123, v191
	v_add_f64 v[4:5], v[4:5], -v[182:183]
.LBB88_293:
	s_or_b32 exec_lo, exec_lo, s0
	v_lshl_add_u32 v182, v196, 4, v1
	s_barrier
	buffer_gl0_inv
	v_mov_b32_e32 v190, 14
	ds_write2_b64 v182, v[126:127], v[128:129] offset1:1
	s_waitcnt lgkmcnt(0)
	s_barrier
	buffer_gl0_inv
	ds_read2_b64 v[182:185], v1 offset0:28 offset1:29
	s_cmp_lt_i32 s1, 16
	s_cbranch_scc1 .LBB88_296
; %bb.294:
	v_add3_u32 v191, v192, 0, 0xf0
	v_mov_b32_e32 v190, 14
	s_mov_b32 s7, 15
	s_inst_prefetch 0x1
	.p2align	6
.LBB88_295:                             ; =>This Inner Loop Header: Depth=1
	s_waitcnt lgkmcnt(0)
	v_cmp_gt_f64_e32 vcc_lo, 0, v[184:185]
	v_cmp_gt_f64_e64 s0, 0, v[182:183]
	ds_read2_b64 v[197:200], v191 offset1:1
	v_xor_b32_e32 v202, 0x80000000, v183
	v_xor_b32_e32 v204, 0x80000000, v185
	v_mov_b32_e32 v201, v182
	v_mov_b32_e32 v203, v184
	v_add_nc_u32_e32 v191, 16, v191
	s_waitcnt lgkmcnt(0)
	v_xor_b32_e32 v206, 0x80000000, v200
	v_cndmask_b32_e64 v202, v183, v202, s0
	v_cndmask_b32_e32 v204, v185, v204, vcc_lo
	v_cmp_gt_f64_e32 vcc_lo, 0, v[199:200]
	v_cmp_gt_f64_e64 s0, 0, v[197:198]
	v_mov_b32_e32 v205, v199
	v_add_f64 v[201:202], v[201:202], v[203:204]
	v_xor_b32_e32 v204, 0x80000000, v198
	v_mov_b32_e32 v203, v197
	v_cndmask_b32_e32 v206, v200, v206, vcc_lo
	v_cndmask_b32_e64 v204, v198, v204, s0
	v_add_f64 v[203:204], v[203:204], v[205:206]
	v_cmp_lt_f64_e32 vcc_lo, v[201:202], v[203:204]
	v_cndmask_b32_e32 v183, v183, v198, vcc_lo
	v_cndmask_b32_e32 v182, v182, v197, vcc_lo
	;; [unrolled: 1-line block ×4, first 2 shown]
	v_cndmask_b32_e64 v190, v190, s7, vcc_lo
	s_add_i32 s7, s7, 1
	s_cmp_lg_u32 s1, s7
	s_cbranch_scc1 .LBB88_295
.LBB88_296:
	s_inst_prefetch 0x2
	s_waitcnt lgkmcnt(0)
	v_cmp_eq_f64_e32 vcc_lo, 0, v[182:183]
	v_cmp_eq_f64_e64 s0, 0, v[184:185]
	s_and_b32 s0, vcc_lo, s0
	s_and_saveexec_b32 s7, s0
	s_xor_b32 s0, exec_lo, s7
; %bb.297:
	v_cmp_ne_u32_e32 vcc_lo, 0, v195
	v_cndmask_b32_e32 v195, 15, v195, vcc_lo
; %bb.298:
	s_andn2_saveexec_b32 s0, s0
	s_cbranch_execz .LBB88_304
; %bb.299:
	v_cmp_ngt_f64_e64 s7, |v[182:183]|, |v[184:185]|
	s_and_saveexec_b32 s8, s7
	s_xor_b32 s7, exec_lo, s8
	s_cbranch_execz .LBB88_301
; %bb.300:
	v_div_scale_f64 v[197:198], null, v[184:185], v[184:185], v[182:183]
	v_div_scale_f64 v[203:204], vcc_lo, v[182:183], v[184:185], v[182:183]
	v_rcp_f64_e32 v[199:200], v[197:198]
	v_fma_f64 v[201:202], -v[197:198], v[199:200], 1.0
	v_fma_f64 v[199:200], v[199:200], v[201:202], v[199:200]
	v_fma_f64 v[201:202], -v[197:198], v[199:200], 1.0
	v_fma_f64 v[199:200], v[199:200], v[201:202], v[199:200]
	v_mul_f64 v[201:202], v[203:204], v[199:200]
	v_fma_f64 v[197:198], -v[197:198], v[201:202], v[203:204]
	v_div_fmas_f64 v[197:198], v[197:198], v[199:200], v[201:202]
	v_div_fixup_f64 v[197:198], v[197:198], v[184:185], v[182:183]
	v_fma_f64 v[182:183], v[182:183], v[197:198], v[184:185]
	v_div_scale_f64 v[184:185], null, v[182:183], v[182:183], 1.0
	v_rcp_f64_e32 v[199:200], v[184:185]
	v_fma_f64 v[201:202], -v[184:185], v[199:200], 1.0
	v_fma_f64 v[199:200], v[199:200], v[201:202], v[199:200]
	v_fma_f64 v[201:202], -v[184:185], v[199:200], 1.0
	v_fma_f64 v[199:200], v[199:200], v[201:202], v[199:200]
	v_div_scale_f64 v[201:202], vcc_lo, 1.0, v[182:183], 1.0
	v_mul_f64 v[203:204], v[201:202], v[199:200]
	v_fma_f64 v[184:185], -v[184:185], v[203:204], v[201:202]
	v_div_fmas_f64 v[184:185], v[184:185], v[199:200], v[203:204]
	v_div_fixup_f64 v[184:185], v[184:185], v[182:183], 1.0
	v_mul_f64 v[182:183], v[197:198], v[184:185]
	v_xor_b32_e32 v185, 0x80000000, v185
.LBB88_301:
	s_andn2_saveexec_b32 s7, s7
	s_cbranch_execz .LBB88_303
; %bb.302:
	v_div_scale_f64 v[197:198], null, v[182:183], v[182:183], v[184:185]
	v_div_scale_f64 v[203:204], vcc_lo, v[184:185], v[182:183], v[184:185]
	v_rcp_f64_e32 v[199:200], v[197:198]
	v_fma_f64 v[201:202], -v[197:198], v[199:200], 1.0
	v_fma_f64 v[199:200], v[199:200], v[201:202], v[199:200]
	v_fma_f64 v[201:202], -v[197:198], v[199:200], 1.0
	v_fma_f64 v[199:200], v[199:200], v[201:202], v[199:200]
	v_mul_f64 v[201:202], v[203:204], v[199:200]
	v_fma_f64 v[197:198], -v[197:198], v[201:202], v[203:204]
	v_div_fmas_f64 v[197:198], v[197:198], v[199:200], v[201:202]
	v_div_fixup_f64 v[197:198], v[197:198], v[182:183], v[184:185]
	v_fma_f64 v[182:183], v[184:185], v[197:198], v[182:183]
	v_div_scale_f64 v[184:185], null, v[182:183], v[182:183], 1.0
	v_rcp_f64_e32 v[199:200], v[184:185]
	v_fma_f64 v[201:202], -v[184:185], v[199:200], 1.0
	v_fma_f64 v[199:200], v[199:200], v[201:202], v[199:200]
	v_fma_f64 v[201:202], -v[184:185], v[199:200], 1.0
	v_fma_f64 v[199:200], v[199:200], v[201:202], v[199:200]
	v_div_scale_f64 v[201:202], vcc_lo, 1.0, v[182:183], 1.0
	v_mul_f64 v[203:204], v[201:202], v[199:200]
	v_fma_f64 v[184:185], -v[184:185], v[203:204], v[201:202]
	v_div_fmas_f64 v[184:185], v[184:185], v[199:200], v[203:204]
	v_div_fixup_f64 v[182:183], v[184:185], v[182:183], 1.0
	v_mul_f64 v[184:185], v[197:198], -v[182:183]
.LBB88_303:
	s_or_b32 exec_lo, exec_lo, s7
.LBB88_304:
	s_or_b32 exec_lo, exec_lo, s0
	s_mov_b32 s0, exec_lo
	v_cmpx_ne_u32_e64 v196, v190
	s_xor_b32 s0, exec_lo, s0
	s_cbranch_execz .LBB88_310
; %bb.305:
	s_mov_b32 s7, exec_lo
	v_cmpx_eq_u32_e32 14, v196
	s_cbranch_execz .LBB88_309
; %bb.306:
	v_cmp_ne_u32_e32 vcc_lo, 14, v190
	s_xor_b32 s8, s16, -1
	s_and_b32 s9, s8, vcc_lo
	s_and_saveexec_b32 s8, s9
	s_cbranch_execz .LBB88_308
; %bb.307:
	v_ashrrev_i32_e32 v191, 31, v190
	v_lshlrev_b64 v[196:197], 2, v[190:191]
	v_add_co_u32 v196, vcc_lo, v188, v196
	v_add_co_ci_u32_e64 v197, null, v189, v197, vcc_lo
	s_clause 0x1
	global_load_dword v0, v[196:197], off
	global_load_dword v191, v[188:189], off offset:56
	s_waitcnt vmcnt(1)
	global_store_dword v[188:189], v0, off offset:56
	s_waitcnt vmcnt(0)
	global_store_dword v[196:197], v191, off
.LBB88_308:
	s_or_b32 exec_lo, exec_lo, s8
	v_mov_b32_e32 v196, v190
	v_mov_b32_e32 v0, v190
.LBB88_309:
	s_or_b32 exec_lo, exec_lo, s7
.LBB88_310:
	s_andn2_saveexec_b32 s0, s0
	s_cbranch_execz .LBB88_312
; %bb.311:
	v_mov_b32_e32 v196, 14
	ds_write2_b64 v1, v[110:111], v[112:113] offset0:30 offset1:31
	ds_write2_b64 v1, v[118:119], v[120:121] offset0:32 offset1:33
	;; [unrolled: 1-line block ×30, first 2 shown]
.LBB88_312:
	s_or_b32 exec_lo, exec_lo, s0
	s_mov_b32 s0, exec_lo
	s_waitcnt lgkmcnt(0)
	s_waitcnt_vscnt null, 0x0
	s_barrier
	buffer_gl0_inv
	v_cmpx_lt_i32_e32 14, v196
	s_cbranch_execz .LBB88_314
; %bb.313:
	v_mul_f64 v[190:191], v[184:185], v[128:129]
	v_mul_f64 v[128:129], v[182:183], v[128:129]
	v_fma_f64 v[190:191], v[182:183], v[126:127], -v[190:191]
	v_fma_f64 v[128:129], v[184:185], v[126:127], v[128:129]
	ds_read2_b64 v[182:185], v1 offset0:30 offset1:31
	s_waitcnt lgkmcnt(0)
	v_mul_f64 v[126:127], v[184:185], v[128:129]
	v_fma_f64 v[126:127], v[182:183], v[190:191], -v[126:127]
	v_mul_f64 v[182:183], v[182:183], v[128:129]
	v_add_f64 v[110:111], v[110:111], -v[126:127]
	v_fma_f64 v[182:183], v[184:185], v[190:191], v[182:183]
	v_add_f64 v[112:113], v[112:113], -v[182:183]
	ds_read2_b64 v[182:185], v1 offset0:32 offset1:33
	s_waitcnt lgkmcnt(0)
	v_mul_f64 v[126:127], v[184:185], v[128:129]
	v_fma_f64 v[126:127], v[182:183], v[190:191], -v[126:127]
	v_mul_f64 v[182:183], v[182:183], v[128:129]
	v_add_f64 v[118:119], v[118:119], -v[126:127]
	v_fma_f64 v[182:183], v[184:185], v[190:191], v[182:183]
	v_add_f64 v[120:121], v[120:121], -v[182:183]
	;; [unrolled: 8-line block ×29, first 2 shown]
	ds_read2_b64 v[182:185], v1 offset0:88 offset1:89
	s_waitcnt lgkmcnt(0)
	v_mul_f64 v[126:127], v[184:185], v[128:129]
	v_fma_f64 v[126:127], v[182:183], v[190:191], -v[126:127]
	v_mul_f64 v[182:183], v[182:183], v[128:129]
	v_add_f64 v[2:3], v[2:3], -v[126:127]
	v_fma_f64 v[182:183], v[184:185], v[190:191], v[182:183]
	v_mov_b32_e32 v126, v190
	v_mov_b32_e32 v127, v191
	v_add_f64 v[4:5], v[4:5], -v[182:183]
.LBB88_314:
	s_or_b32 exec_lo, exec_lo, s0
	v_lshl_add_u32 v182, v196, 4, v1
	s_barrier
	buffer_gl0_inv
	v_mov_b32_e32 v190, 15
	ds_write2_b64 v182, v[110:111], v[112:113] offset1:1
	s_waitcnt lgkmcnt(0)
	s_barrier
	buffer_gl0_inv
	ds_read2_b64 v[182:185], v1 offset0:30 offset1:31
	s_cmp_lt_i32 s1, 17
	s_cbranch_scc1 .LBB88_317
; %bb.315:
	v_add3_u32 v191, v192, 0, 0x100
	v_mov_b32_e32 v190, 15
	s_mov_b32 s7, 16
	s_inst_prefetch 0x1
	.p2align	6
.LBB88_316:                             ; =>This Inner Loop Header: Depth=1
	s_waitcnt lgkmcnt(0)
	v_cmp_gt_f64_e32 vcc_lo, 0, v[184:185]
	v_cmp_gt_f64_e64 s0, 0, v[182:183]
	ds_read2_b64 v[197:200], v191 offset1:1
	v_xor_b32_e32 v202, 0x80000000, v183
	v_xor_b32_e32 v204, 0x80000000, v185
	v_mov_b32_e32 v201, v182
	v_mov_b32_e32 v203, v184
	v_add_nc_u32_e32 v191, 16, v191
	s_waitcnt lgkmcnt(0)
	v_xor_b32_e32 v206, 0x80000000, v200
	v_cndmask_b32_e64 v202, v183, v202, s0
	v_cndmask_b32_e32 v204, v185, v204, vcc_lo
	v_cmp_gt_f64_e32 vcc_lo, 0, v[199:200]
	v_cmp_gt_f64_e64 s0, 0, v[197:198]
	v_mov_b32_e32 v205, v199
	v_add_f64 v[201:202], v[201:202], v[203:204]
	v_xor_b32_e32 v204, 0x80000000, v198
	v_mov_b32_e32 v203, v197
	v_cndmask_b32_e32 v206, v200, v206, vcc_lo
	v_cndmask_b32_e64 v204, v198, v204, s0
	v_add_f64 v[203:204], v[203:204], v[205:206]
	v_cmp_lt_f64_e32 vcc_lo, v[201:202], v[203:204]
	v_cndmask_b32_e32 v183, v183, v198, vcc_lo
	v_cndmask_b32_e32 v182, v182, v197, vcc_lo
	;; [unrolled: 1-line block ×4, first 2 shown]
	v_cndmask_b32_e64 v190, v190, s7, vcc_lo
	s_add_i32 s7, s7, 1
	s_cmp_lg_u32 s1, s7
	s_cbranch_scc1 .LBB88_316
.LBB88_317:
	s_inst_prefetch 0x2
	s_waitcnt lgkmcnt(0)
	v_cmp_eq_f64_e32 vcc_lo, 0, v[182:183]
	v_cmp_eq_f64_e64 s0, 0, v[184:185]
	s_and_b32 s0, vcc_lo, s0
	s_and_saveexec_b32 s7, s0
	s_xor_b32 s0, exec_lo, s7
; %bb.318:
	v_cmp_ne_u32_e32 vcc_lo, 0, v195
	v_cndmask_b32_e32 v195, 16, v195, vcc_lo
; %bb.319:
	s_andn2_saveexec_b32 s0, s0
	s_cbranch_execz .LBB88_325
; %bb.320:
	v_cmp_ngt_f64_e64 s7, |v[182:183]|, |v[184:185]|
	s_and_saveexec_b32 s8, s7
	s_xor_b32 s7, exec_lo, s8
	s_cbranch_execz .LBB88_322
; %bb.321:
	v_div_scale_f64 v[197:198], null, v[184:185], v[184:185], v[182:183]
	v_div_scale_f64 v[203:204], vcc_lo, v[182:183], v[184:185], v[182:183]
	v_rcp_f64_e32 v[199:200], v[197:198]
	v_fma_f64 v[201:202], -v[197:198], v[199:200], 1.0
	v_fma_f64 v[199:200], v[199:200], v[201:202], v[199:200]
	v_fma_f64 v[201:202], -v[197:198], v[199:200], 1.0
	v_fma_f64 v[199:200], v[199:200], v[201:202], v[199:200]
	v_mul_f64 v[201:202], v[203:204], v[199:200]
	v_fma_f64 v[197:198], -v[197:198], v[201:202], v[203:204]
	v_div_fmas_f64 v[197:198], v[197:198], v[199:200], v[201:202]
	v_div_fixup_f64 v[197:198], v[197:198], v[184:185], v[182:183]
	v_fma_f64 v[182:183], v[182:183], v[197:198], v[184:185]
	v_div_scale_f64 v[184:185], null, v[182:183], v[182:183], 1.0
	v_rcp_f64_e32 v[199:200], v[184:185]
	v_fma_f64 v[201:202], -v[184:185], v[199:200], 1.0
	v_fma_f64 v[199:200], v[199:200], v[201:202], v[199:200]
	v_fma_f64 v[201:202], -v[184:185], v[199:200], 1.0
	v_fma_f64 v[199:200], v[199:200], v[201:202], v[199:200]
	v_div_scale_f64 v[201:202], vcc_lo, 1.0, v[182:183], 1.0
	v_mul_f64 v[203:204], v[201:202], v[199:200]
	v_fma_f64 v[184:185], -v[184:185], v[203:204], v[201:202]
	v_div_fmas_f64 v[184:185], v[184:185], v[199:200], v[203:204]
	v_div_fixup_f64 v[184:185], v[184:185], v[182:183], 1.0
	v_mul_f64 v[182:183], v[197:198], v[184:185]
	v_xor_b32_e32 v185, 0x80000000, v185
.LBB88_322:
	s_andn2_saveexec_b32 s7, s7
	s_cbranch_execz .LBB88_324
; %bb.323:
	v_div_scale_f64 v[197:198], null, v[182:183], v[182:183], v[184:185]
	v_div_scale_f64 v[203:204], vcc_lo, v[184:185], v[182:183], v[184:185]
	v_rcp_f64_e32 v[199:200], v[197:198]
	v_fma_f64 v[201:202], -v[197:198], v[199:200], 1.0
	v_fma_f64 v[199:200], v[199:200], v[201:202], v[199:200]
	v_fma_f64 v[201:202], -v[197:198], v[199:200], 1.0
	v_fma_f64 v[199:200], v[199:200], v[201:202], v[199:200]
	v_mul_f64 v[201:202], v[203:204], v[199:200]
	v_fma_f64 v[197:198], -v[197:198], v[201:202], v[203:204]
	v_div_fmas_f64 v[197:198], v[197:198], v[199:200], v[201:202]
	v_div_fixup_f64 v[197:198], v[197:198], v[182:183], v[184:185]
	v_fma_f64 v[182:183], v[184:185], v[197:198], v[182:183]
	v_div_scale_f64 v[184:185], null, v[182:183], v[182:183], 1.0
	v_rcp_f64_e32 v[199:200], v[184:185]
	v_fma_f64 v[201:202], -v[184:185], v[199:200], 1.0
	v_fma_f64 v[199:200], v[199:200], v[201:202], v[199:200]
	v_fma_f64 v[201:202], -v[184:185], v[199:200], 1.0
	v_fma_f64 v[199:200], v[199:200], v[201:202], v[199:200]
	v_div_scale_f64 v[201:202], vcc_lo, 1.0, v[182:183], 1.0
	v_mul_f64 v[203:204], v[201:202], v[199:200]
	v_fma_f64 v[184:185], -v[184:185], v[203:204], v[201:202]
	v_div_fmas_f64 v[184:185], v[184:185], v[199:200], v[203:204]
	v_div_fixup_f64 v[182:183], v[184:185], v[182:183], 1.0
	v_mul_f64 v[184:185], v[197:198], -v[182:183]
.LBB88_324:
	s_or_b32 exec_lo, exec_lo, s7
.LBB88_325:
	s_or_b32 exec_lo, exec_lo, s0
	s_mov_b32 s0, exec_lo
	v_cmpx_ne_u32_e64 v196, v190
	s_xor_b32 s0, exec_lo, s0
	s_cbranch_execz .LBB88_331
; %bb.326:
	s_mov_b32 s7, exec_lo
	v_cmpx_eq_u32_e32 15, v196
	s_cbranch_execz .LBB88_330
; %bb.327:
	v_cmp_ne_u32_e32 vcc_lo, 15, v190
	s_xor_b32 s8, s16, -1
	s_and_b32 s9, s8, vcc_lo
	s_and_saveexec_b32 s8, s9
	s_cbranch_execz .LBB88_329
; %bb.328:
	v_ashrrev_i32_e32 v191, 31, v190
	v_lshlrev_b64 v[196:197], 2, v[190:191]
	v_add_co_u32 v196, vcc_lo, v188, v196
	v_add_co_ci_u32_e64 v197, null, v189, v197, vcc_lo
	s_clause 0x1
	global_load_dword v0, v[196:197], off
	global_load_dword v191, v[188:189], off offset:60
	s_waitcnt vmcnt(1)
	global_store_dword v[188:189], v0, off offset:60
	s_waitcnt vmcnt(0)
	global_store_dword v[196:197], v191, off
.LBB88_329:
	s_or_b32 exec_lo, exec_lo, s8
	v_mov_b32_e32 v196, v190
	v_mov_b32_e32 v0, v190
.LBB88_330:
	s_or_b32 exec_lo, exec_lo, s7
.LBB88_331:
	s_andn2_saveexec_b32 s0, s0
	s_cbranch_execz .LBB88_333
; %bb.332:
	v_mov_b32_e32 v196, 15
	ds_write2_b64 v1, v[118:119], v[120:121] offset0:32 offset1:33
	ds_write2_b64 v1, v[114:115], v[116:117] offset0:34 offset1:35
	;; [unrolled: 1-line block ×29, first 2 shown]
.LBB88_333:
	s_or_b32 exec_lo, exec_lo, s0
	s_mov_b32 s0, exec_lo
	s_waitcnt lgkmcnt(0)
	s_waitcnt_vscnt null, 0x0
	s_barrier
	buffer_gl0_inv
	v_cmpx_lt_i32_e32 15, v196
	s_cbranch_execz .LBB88_335
; %bb.334:
	v_mul_f64 v[190:191], v[184:185], v[112:113]
	v_mul_f64 v[112:113], v[182:183], v[112:113]
	v_fma_f64 v[190:191], v[182:183], v[110:111], -v[190:191]
	v_fma_f64 v[112:113], v[184:185], v[110:111], v[112:113]
	ds_read2_b64 v[182:185], v1 offset0:32 offset1:33
	s_waitcnt lgkmcnt(0)
	v_mul_f64 v[110:111], v[184:185], v[112:113]
	v_fma_f64 v[110:111], v[182:183], v[190:191], -v[110:111]
	v_mul_f64 v[182:183], v[182:183], v[112:113]
	v_add_f64 v[118:119], v[118:119], -v[110:111]
	v_fma_f64 v[182:183], v[184:185], v[190:191], v[182:183]
	v_add_f64 v[120:121], v[120:121], -v[182:183]
	ds_read2_b64 v[182:185], v1 offset0:34 offset1:35
	s_waitcnt lgkmcnt(0)
	v_mul_f64 v[110:111], v[184:185], v[112:113]
	v_fma_f64 v[110:111], v[182:183], v[190:191], -v[110:111]
	v_mul_f64 v[182:183], v[182:183], v[112:113]
	v_add_f64 v[114:115], v[114:115], -v[110:111]
	v_fma_f64 v[182:183], v[184:185], v[190:191], v[182:183]
	v_add_f64 v[116:117], v[116:117], -v[182:183]
	;; [unrolled: 8-line block ×28, first 2 shown]
	ds_read2_b64 v[182:185], v1 offset0:88 offset1:89
	s_waitcnt lgkmcnt(0)
	v_mul_f64 v[110:111], v[184:185], v[112:113]
	v_fma_f64 v[110:111], v[182:183], v[190:191], -v[110:111]
	v_mul_f64 v[182:183], v[182:183], v[112:113]
	v_add_f64 v[2:3], v[2:3], -v[110:111]
	v_fma_f64 v[182:183], v[184:185], v[190:191], v[182:183]
	v_mov_b32_e32 v110, v190
	v_mov_b32_e32 v111, v191
	v_add_f64 v[4:5], v[4:5], -v[182:183]
.LBB88_335:
	s_or_b32 exec_lo, exec_lo, s0
	v_lshl_add_u32 v182, v196, 4, v1
	s_barrier
	buffer_gl0_inv
	v_mov_b32_e32 v190, 16
	ds_write2_b64 v182, v[118:119], v[120:121] offset1:1
	s_waitcnt lgkmcnt(0)
	s_barrier
	buffer_gl0_inv
	ds_read2_b64 v[182:185], v1 offset0:32 offset1:33
	s_cmp_lt_i32 s1, 18
	s_cbranch_scc1 .LBB88_338
; %bb.336:
	v_add3_u32 v191, v192, 0, 0x110
	v_mov_b32_e32 v190, 16
	s_mov_b32 s7, 17
	s_inst_prefetch 0x1
	.p2align	6
.LBB88_337:                             ; =>This Inner Loop Header: Depth=1
	s_waitcnt lgkmcnt(0)
	v_cmp_gt_f64_e32 vcc_lo, 0, v[184:185]
	v_cmp_gt_f64_e64 s0, 0, v[182:183]
	ds_read2_b64 v[197:200], v191 offset1:1
	v_xor_b32_e32 v202, 0x80000000, v183
	v_xor_b32_e32 v204, 0x80000000, v185
	v_mov_b32_e32 v201, v182
	v_mov_b32_e32 v203, v184
	v_add_nc_u32_e32 v191, 16, v191
	s_waitcnt lgkmcnt(0)
	v_xor_b32_e32 v206, 0x80000000, v200
	v_cndmask_b32_e64 v202, v183, v202, s0
	v_cndmask_b32_e32 v204, v185, v204, vcc_lo
	v_cmp_gt_f64_e32 vcc_lo, 0, v[199:200]
	v_cmp_gt_f64_e64 s0, 0, v[197:198]
	v_mov_b32_e32 v205, v199
	v_add_f64 v[201:202], v[201:202], v[203:204]
	v_xor_b32_e32 v204, 0x80000000, v198
	v_mov_b32_e32 v203, v197
	v_cndmask_b32_e32 v206, v200, v206, vcc_lo
	v_cndmask_b32_e64 v204, v198, v204, s0
	v_add_f64 v[203:204], v[203:204], v[205:206]
	v_cmp_lt_f64_e32 vcc_lo, v[201:202], v[203:204]
	v_cndmask_b32_e32 v183, v183, v198, vcc_lo
	v_cndmask_b32_e32 v182, v182, v197, vcc_lo
	;; [unrolled: 1-line block ×4, first 2 shown]
	v_cndmask_b32_e64 v190, v190, s7, vcc_lo
	s_add_i32 s7, s7, 1
	s_cmp_lg_u32 s1, s7
	s_cbranch_scc1 .LBB88_337
.LBB88_338:
	s_inst_prefetch 0x2
	s_waitcnt lgkmcnt(0)
	v_cmp_eq_f64_e32 vcc_lo, 0, v[182:183]
	v_cmp_eq_f64_e64 s0, 0, v[184:185]
	s_and_b32 s0, vcc_lo, s0
	s_and_saveexec_b32 s7, s0
	s_xor_b32 s0, exec_lo, s7
; %bb.339:
	v_cmp_ne_u32_e32 vcc_lo, 0, v195
	v_cndmask_b32_e32 v195, 17, v195, vcc_lo
; %bb.340:
	s_andn2_saveexec_b32 s0, s0
	s_cbranch_execz .LBB88_346
; %bb.341:
	v_cmp_ngt_f64_e64 s7, |v[182:183]|, |v[184:185]|
	s_and_saveexec_b32 s8, s7
	s_xor_b32 s7, exec_lo, s8
	s_cbranch_execz .LBB88_343
; %bb.342:
	v_div_scale_f64 v[197:198], null, v[184:185], v[184:185], v[182:183]
	v_div_scale_f64 v[203:204], vcc_lo, v[182:183], v[184:185], v[182:183]
	v_rcp_f64_e32 v[199:200], v[197:198]
	v_fma_f64 v[201:202], -v[197:198], v[199:200], 1.0
	v_fma_f64 v[199:200], v[199:200], v[201:202], v[199:200]
	v_fma_f64 v[201:202], -v[197:198], v[199:200], 1.0
	v_fma_f64 v[199:200], v[199:200], v[201:202], v[199:200]
	v_mul_f64 v[201:202], v[203:204], v[199:200]
	v_fma_f64 v[197:198], -v[197:198], v[201:202], v[203:204]
	v_div_fmas_f64 v[197:198], v[197:198], v[199:200], v[201:202]
	v_div_fixup_f64 v[197:198], v[197:198], v[184:185], v[182:183]
	v_fma_f64 v[182:183], v[182:183], v[197:198], v[184:185]
	v_div_scale_f64 v[184:185], null, v[182:183], v[182:183], 1.0
	v_rcp_f64_e32 v[199:200], v[184:185]
	v_fma_f64 v[201:202], -v[184:185], v[199:200], 1.0
	v_fma_f64 v[199:200], v[199:200], v[201:202], v[199:200]
	v_fma_f64 v[201:202], -v[184:185], v[199:200], 1.0
	v_fma_f64 v[199:200], v[199:200], v[201:202], v[199:200]
	v_div_scale_f64 v[201:202], vcc_lo, 1.0, v[182:183], 1.0
	v_mul_f64 v[203:204], v[201:202], v[199:200]
	v_fma_f64 v[184:185], -v[184:185], v[203:204], v[201:202]
	v_div_fmas_f64 v[184:185], v[184:185], v[199:200], v[203:204]
	v_div_fixup_f64 v[184:185], v[184:185], v[182:183], 1.0
	v_mul_f64 v[182:183], v[197:198], v[184:185]
	v_xor_b32_e32 v185, 0x80000000, v185
.LBB88_343:
	s_andn2_saveexec_b32 s7, s7
	s_cbranch_execz .LBB88_345
; %bb.344:
	v_div_scale_f64 v[197:198], null, v[182:183], v[182:183], v[184:185]
	v_div_scale_f64 v[203:204], vcc_lo, v[184:185], v[182:183], v[184:185]
	v_rcp_f64_e32 v[199:200], v[197:198]
	v_fma_f64 v[201:202], -v[197:198], v[199:200], 1.0
	v_fma_f64 v[199:200], v[199:200], v[201:202], v[199:200]
	v_fma_f64 v[201:202], -v[197:198], v[199:200], 1.0
	v_fma_f64 v[199:200], v[199:200], v[201:202], v[199:200]
	v_mul_f64 v[201:202], v[203:204], v[199:200]
	v_fma_f64 v[197:198], -v[197:198], v[201:202], v[203:204]
	v_div_fmas_f64 v[197:198], v[197:198], v[199:200], v[201:202]
	v_div_fixup_f64 v[197:198], v[197:198], v[182:183], v[184:185]
	v_fma_f64 v[182:183], v[184:185], v[197:198], v[182:183]
	v_div_scale_f64 v[184:185], null, v[182:183], v[182:183], 1.0
	v_rcp_f64_e32 v[199:200], v[184:185]
	v_fma_f64 v[201:202], -v[184:185], v[199:200], 1.0
	v_fma_f64 v[199:200], v[199:200], v[201:202], v[199:200]
	v_fma_f64 v[201:202], -v[184:185], v[199:200], 1.0
	v_fma_f64 v[199:200], v[199:200], v[201:202], v[199:200]
	v_div_scale_f64 v[201:202], vcc_lo, 1.0, v[182:183], 1.0
	v_mul_f64 v[203:204], v[201:202], v[199:200]
	v_fma_f64 v[184:185], -v[184:185], v[203:204], v[201:202]
	v_div_fmas_f64 v[184:185], v[184:185], v[199:200], v[203:204]
	v_div_fixup_f64 v[182:183], v[184:185], v[182:183], 1.0
	v_mul_f64 v[184:185], v[197:198], -v[182:183]
.LBB88_345:
	s_or_b32 exec_lo, exec_lo, s7
.LBB88_346:
	s_or_b32 exec_lo, exec_lo, s0
	s_mov_b32 s0, exec_lo
	v_cmpx_ne_u32_e64 v196, v190
	s_xor_b32 s0, exec_lo, s0
	s_cbranch_execz .LBB88_352
; %bb.347:
	s_mov_b32 s7, exec_lo
	v_cmpx_eq_u32_e32 16, v196
	s_cbranch_execz .LBB88_351
; %bb.348:
	v_cmp_ne_u32_e32 vcc_lo, 16, v190
	s_xor_b32 s8, s16, -1
	s_and_b32 s9, s8, vcc_lo
	s_and_saveexec_b32 s8, s9
	s_cbranch_execz .LBB88_350
; %bb.349:
	v_ashrrev_i32_e32 v191, 31, v190
	v_lshlrev_b64 v[196:197], 2, v[190:191]
	v_add_co_u32 v196, vcc_lo, v188, v196
	v_add_co_ci_u32_e64 v197, null, v189, v197, vcc_lo
	s_clause 0x1
	global_load_dword v0, v[196:197], off
	global_load_dword v191, v[188:189], off offset:64
	s_waitcnt vmcnt(1)
	global_store_dword v[188:189], v0, off offset:64
	s_waitcnt vmcnt(0)
	global_store_dword v[196:197], v191, off
.LBB88_350:
	s_or_b32 exec_lo, exec_lo, s8
	v_mov_b32_e32 v196, v190
	v_mov_b32_e32 v0, v190
.LBB88_351:
	s_or_b32 exec_lo, exec_lo, s7
.LBB88_352:
	s_andn2_saveexec_b32 s0, s0
	s_cbranch_execz .LBB88_354
; %bb.353:
	v_mov_b32_e32 v196, 16
	ds_write2_b64 v1, v[114:115], v[116:117] offset0:34 offset1:35
	ds_write2_b64 v1, v[106:107], v[108:109] offset0:36 offset1:37
	;; [unrolled: 1-line block ×28, first 2 shown]
.LBB88_354:
	s_or_b32 exec_lo, exec_lo, s0
	s_mov_b32 s0, exec_lo
	s_waitcnt lgkmcnt(0)
	s_waitcnt_vscnt null, 0x0
	s_barrier
	buffer_gl0_inv
	v_cmpx_lt_i32_e32 16, v196
	s_cbranch_execz .LBB88_356
; %bb.355:
	v_mul_f64 v[190:191], v[184:185], v[120:121]
	v_mul_f64 v[120:121], v[182:183], v[120:121]
	v_fma_f64 v[190:191], v[182:183], v[118:119], -v[190:191]
	v_fma_f64 v[120:121], v[184:185], v[118:119], v[120:121]
	ds_read2_b64 v[182:185], v1 offset0:34 offset1:35
	s_waitcnt lgkmcnt(0)
	v_mul_f64 v[118:119], v[184:185], v[120:121]
	v_fma_f64 v[118:119], v[182:183], v[190:191], -v[118:119]
	v_mul_f64 v[182:183], v[182:183], v[120:121]
	v_add_f64 v[114:115], v[114:115], -v[118:119]
	v_fma_f64 v[182:183], v[184:185], v[190:191], v[182:183]
	v_add_f64 v[116:117], v[116:117], -v[182:183]
	ds_read2_b64 v[182:185], v1 offset0:36 offset1:37
	s_waitcnt lgkmcnt(0)
	v_mul_f64 v[118:119], v[184:185], v[120:121]
	v_fma_f64 v[118:119], v[182:183], v[190:191], -v[118:119]
	v_mul_f64 v[182:183], v[182:183], v[120:121]
	v_add_f64 v[106:107], v[106:107], -v[118:119]
	v_fma_f64 v[182:183], v[184:185], v[190:191], v[182:183]
	v_add_f64 v[108:109], v[108:109], -v[182:183]
	ds_read2_b64 v[182:185], v1 offset0:38 offset1:39
	s_waitcnt lgkmcnt(0)
	v_mul_f64 v[118:119], v[184:185], v[120:121]
	v_fma_f64 v[118:119], v[182:183], v[190:191], -v[118:119]
	v_mul_f64 v[182:183], v[182:183], v[120:121]
	v_add_f64 v[102:103], v[102:103], -v[118:119]
	v_fma_f64 v[182:183], v[184:185], v[190:191], v[182:183]
	v_add_f64 v[104:105], v[104:105], -v[182:183]
	ds_read2_b64 v[182:185], v1 offset0:40 offset1:41
	s_waitcnt lgkmcnt(0)
	v_mul_f64 v[118:119], v[184:185], v[120:121]
	v_fma_f64 v[118:119], v[182:183], v[190:191], -v[118:119]
	v_mul_f64 v[182:183], v[182:183], v[120:121]
	v_add_f64 v[94:95], v[94:95], -v[118:119]
	v_fma_f64 v[182:183], v[184:185], v[190:191], v[182:183]
	v_add_f64 v[96:97], v[96:97], -v[182:183]
	ds_read2_b64 v[182:185], v1 offset0:42 offset1:43
	s_waitcnt lgkmcnt(0)
	v_mul_f64 v[118:119], v[184:185], v[120:121]
	v_fma_f64 v[118:119], v[182:183], v[190:191], -v[118:119]
	v_mul_f64 v[182:183], v[182:183], v[120:121]
	v_add_f64 v[90:91], v[90:91], -v[118:119]
	v_fma_f64 v[182:183], v[184:185], v[190:191], v[182:183]
	v_add_f64 v[92:93], v[92:93], -v[182:183]
	ds_read2_b64 v[182:185], v1 offset0:44 offset1:45
	s_waitcnt lgkmcnt(0)
	v_mul_f64 v[118:119], v[184:185], v[120:121]
	v_fma_f64 v[118:119], v[182:183], v[190:191], -v[118:119]
	v_mul_f64 v[182:183], v[182:183], v[120:121]
	v_add_f64 v[98:99], v[98:99], -v[118:119]
	v_fma_f64 v[182:183], v[184:185], v[190:191], v[182:183]
	v_add_f64 v[100:101], v[100:101], -v[182:183]
	ds_read2_b64 v[182:185], v1 offset0:46 offset1:47
	s_waitcnt lgkmcnt(0)
	v_mul_f64 v[118:119], v[184:185], v[120:121]
	v_fma_f64 v[118:119], v[182:183], v[190:191], -v[118:119]
	v_mul_f64 v[182:183], v[182:183], v[120:121]
	v_add_f64 v[82:83], v[82:83], -v[118:119]
	v_fma_f64 v[182:183], v[184:185], v[190:191], v[182:183]
	v_add_f64 v[84:85], v[84:85], -v[182:183]
	ds_read2_b64 v[182:185], v1 offset0:48 offset1:49
	s_waitcnt lgkmcnt(0)
	v_mul_f64 v[118:119], v[184:185], v[120:121]
	v_fma_f64 v[118:119], v[182:183], v[190:191], -v[118:119]
	v_mul_f64 v[182:183], v[182:183], v[120:121]
	v_add_f64 v[86:87], v[86:87], -v[118:119]
	v_fma_f64 v[182:183], v[184:185], v[190:191], v[182:183]
	v_add_f64 v[88:89], v[88:89], -v[182:183]
	ds_read2_b64 v[182:185], v1 offset0:50 offset1:51
	s_waitcnt lgkmcnt(0)
	v_mul_f64 v[118:119], v[184:185], v[120:121]
	v_fma_f64 v[118:119], v[182:183], v[190:191], -v[118:119]
	v_mul_f64 v[182:183], v[182:183], v[120:121]
	v_add_f64 v[70:71], v[70:71], -v[118:119]
	v_fma_f64 v[182:183], v[184:185], v[190:191], v[182:183]
	v_add_f64 v[72:73], v[72:73], -v[182:183]
	ds_read2_b64 v[182:185], v1 offset0:52 offset1:53
	s_waitcnt lgkmcnt(0)
	v_mul_f64 v[118:119], v[184:185], v[120:121]
	v_fma_f64 v[118:119], v[182:183], v[190:191], -v[118:119]
	v_mul_f64 v[182:183], v[182:183], v[120:121]
	v_add_f64 v[78:79], v[78:79], -v[118:119]
	v_fma_f64 v[182:183], v[184:185], v[190:191], v[182:183]
	v_add_f64 v[80:81], v[80:81], -v[182:183]
	ds_read2_b64 v[182:185], v1 offset0:54 offset1:55
	s_waitcnt lgkmcnt(0)
	v_mul_f64 v[118:119], v[184:185], v[120:121]
	v_fma_f64 v[118:119], v[182:183], v[190:191], -v[118:119]
	v_mul_f64 v[182:183], v[182:183], v[120:121]
	v_add_f64 v[74:75], v[74:75], -v[118:119]
	v_fma_f64 v[182:183], v[184:185], v[190:191], v[182:183]
	v_add_f64 v[76:77], v[76:77], -v[182:183]
	ds_read2_b64 v[182:185], v1 offset0:56 offset1:57
	s_waitcnt lgkmcnt(0)
	v_mul_f64 v[118:119], v[184:185], v[120:121]
	v_fma_f64 v[118:119], v[182:183], v[190:191], -v[118:119]
	v_mul_f64 v[182:183], v[182:183], v[120:121]
	v_add_f64 v[66:67], v[66:67], -v[118:119]
	v_fma_f64 v[182:183], v[184:185], v[190:191], v[182:183]
	v_add_f64 v[68:69], v[68:69], -v[182:183]
	ds_read2_b64 v[182:185], v1 offset0:58 offset1:59
	s_waitcnt lgkmcnt(0)
	v_mul_f64 v[118:119], v[184:185], v[120:121]
	v_fma_f64 v[118:119], v[182:183], v[190:191], -v[118:119]
	v_mul_f64 v[182:183], v[182:183], v[120:121]
	v_add_f64 v[62:63], v[62:63], -v[118:119]
	v_fma_f64 v[182:183], v[184:185], v[190:191], v[182:183]
	v_add_f64 v[64:65], v[64:65], -v[182:183]
	ds_read2_b64 v[182:185], v1 offset0:60 offset1:61
	s_waitcnt lgkmcnt(0)
	v_mul_f64 v[118:119], v[184:185], v[120:121]
	v_fma_f64 v[118:119], v[182:183], v[190:191], -v[118:119]
	v_mul_f64 v[182:183], v[182:183], v[120:121]
	v_add_f64 v[54:55], v[54:55], -v[118:119]
	v_fma_f64 v[182:183], v[184:185], v[190:191], v[182:183]
	v_add_f64 v[56:57], v[56:57], -v[182:183]
	ds_read2_b64 v[182:185], v1 offset0:62 offset1:63
	s_waitcnt lgkmcnt(0)
	v_mul_f64 v[118:119], v[184:185], v[120:121]
	v_fma_f64 v[118:119], v[182:183], v[190:191], -v[118:119]
	v_mul_f64 v[182:183], v[182:183], v[120:121]
	v_add_f64 v[50:51], v[50:51], -v[118:119]
	v_fma_f64 v[182:183], v[184:185], v[190:191], v[182:183]
	v_add_f64 v[52:53], v[52:53], -v[182:183]
	ds_read2_b64 v[182:185], v1 offset0:64 offset1:65
	s_waitcnt lgkmcnt(0)
	v_mul_f64 v[118:119], v[184:185], v[120:121]
	v_fma_f64 v[118:119], v[182:183], v[190:191], -v[118:119]
	v_mul_f64 v[182:183], v[182:183], v[120:121]
	v_add_f64 v[58:59], v[58:59], -v[118:119]
	v_fma_f64 v[182:183], v[184:185], v[190:191], v[182:183]
	v_add_f64 v[60:61], v[60:61], -v[182:183]
	ds_read2_b64 v[182:185], v1 offset0:66 offset1:67
	s_waitcnt lgkmcnt(0)
	v_mul_f64 v[118:119], v[184:185], v[120:121]
	v_fma_f64 v[118:119], v[182:183], v[190:191], -v[118:119]
	v_mul_f64 v[182:183], v[182:183], v[120:121]
	v_add_f64 v[42:43], v[42:43], -v[118:119]
	v_fma_f64 v[182:183], v[184:185], v[190:191], v[182:183]
	v_add_f64 v[44:45], v[44:45], -v[182:183]
	ds_read2_b64 v[182:185], v1 offset0:68 offset1:69
	s_waitcnt lgkmcnt(0)
	v_mul_f64 v[118:119], v[184:185], v[120:121]
	v_fma_f64 v[118:119], v[182:183], v[190:191], -v[118:119]
	v_mul_f64 v[182:183], v[182:183], v[120:121]
	v_add_f64 v[46:47], v[46:47], -v[118:119]
	v_fma_f64 v[182:183], v[184:185], v[190:191], v[182:183]
	v_add_f64 v[48:49], v[48:49], -v[182:183]
	ds_read2_b64 v[182:185], v1 offset0:70 offset1:71
	s_waitcnt lgkmcnt(0)
	v_mul_f64 v[118:119], v[184:185], v[120:121]
	v_fma_f64 v[118:119], v[182:183], v[190:191], -v[118:119]
	v_mul_f64 v[182:183], v[182:183], v[120:121]
	v_add_f64 v[30:31], v[30:31], -v[118:119]
	v_fma_f64 v[182:183], v[184:185], v[190:191], v[182:183]
	v_add_f64 v[32:33], v[32:33], -v[182:183]
	ds_read2_b64 v[182:185], v1 offset0:72 offset1:73
	s_waitcnt lgkmcnt(0)
	v_mul_f64 v[118:119], v[184:185], v[120:121]
	v_fma_f64 v[118:119], v[182:183], v[190:191], -v[118:119]
	v_mul_f64 v[182:183], v[182:183], v[120:121]
	v_add_f64 v[38:39], v[38:39], -v[118:119]
	v_fma_f64 v[182:183], v[184:185], v[190:191], v[182:183]
	v_add_f64 v[40:41], v[40:41], -v[182:183]
	ds_read2_b64 v[182:185], v1 offset0:74 offset1:75
	s_waitcnt lgkmcnt(0)
	v_mul_f64 v[118:119], v[184:185], v[120:121]
	v_fma_f64 v[118:119], v[182:183], v[190:191], -v[118:119]
	v_mul_f64 v[182:183], v[182:183], v[120:121]
	v_add_f64 v[34:35], v[34:35], -v[118:119]
	v_fma_f64 v[182:183], v[184:185], v[190:191], v[182:183]
	v_add_f64 v[36:37], v[36:37], -v[182:183]
	ds_read2_b64 v[182:185], v1 offset0:76 offset1:77
	s_waitcnt lgkmcnt(0)
	v_mul_f64 v[118:119], v[184:185], v[120:121]
	v_fma_f64 v[118:119], v[182:183], v[190:191], -v[118:119]
	v_mul_f64 v[182:183], v[182:183], v[120:121]
	v_add_f64 v[26:27], v[26:27], -v[118:119]
	v_fma_f64 v[182:183], v[184:185], v[190:191], v[182:183]
	v_add_f64 v[28:29], v[28:29], -v[182:183]
	ds_read2_b64 v[182:185], v1 offset0:78 offset1:79
	s_waitcnt lgkmcnt(0)
	v_mul_f64 v[118:119], v[184:185], v[120:121]
	v_fma_f64 v[118:119], v[182:183], v[190:191], -v[118:119]
	v_mul_f64 v[182:183], v[182:183], v[120:121]
	v_add_f64 v[22:23], v[22:23], -v[118:119]
	v_fma_f64 v[182:183], v[184:185], v[190:191], v[182:183]
	v_add_f64 v[24:25], v[24:25], -v[182:183]
	ds_read2_b64 v[182:185], v1 offset0:80 offset1:81
	s_waitcnt lgkmcnt(0)
	v_mul_f64 v[118:119], v[184:185], v[120:121]
	v_fma_f64 v[118:119], v[182:183], v[190:191], -v[118:119]
	v_mul_f64 v[182:183], v[182:183], v[120:121]
	v_add_f64 v[18:19], v[18:19], -v[118:119]
	v_fma_f64 v[182:183], v[184:185], v[190:191], v[182:183]
	v_add_f64 v[20:21], v[20:21], -v[182:183]
	ds_read2_b64 v[182:185], v1 offset0:82 offset1:83
	s_waitcnt lgkmcnt(0)
	v_mul_f64 v[118:119], v[184:185], v[120:121]
	v_fma_f64 v[118:119], v[182:183], v[190:191], -v[118:119]
	v_mul_f64 v[182:183], v[182:183], v[120:121]
	v_add_f64 v[14:15], v[14:15], -v[118:119]
	v_fma_f64 v[182:183], v[184:185], v[190:191], v[182:183]
	v_add_f64 v[16:17], v[16:17], -v[182:183]
	ds_read2_b64 v[182:185], v1 offset0:84 offset1:85
	s_waitcnt lgkmcnt(0)
	v_mul_f64 v[118:119], v[184:185], v[120:121]
	v_fma_f64 v[118:119], v[182:183], v[190:191], -v[118:119]
	v_mul_f64 v[182:183], v[182:183], v[120:121]
	v_add_f64 v[10:11], v[10:11], -v[118:119]
	v_fma_f64 v[182:183], v[184:185], v[190:191], v[182:183]
	v_add_f64 v[12:13], v[12:13], -v[182:183]
	ds_read2_b64 v[182:185], v1 offset0:86 offset1:87
	s_waitcnt lgkmcnt(0)
	v_mul_f64 v[118:119], v[184:185], v[120:121]
	v_fma_f64 v[118:119], v[182:183], v[190:191], -v[118:119]
	v_mul_f64 v[182:183], v[182:183], v[120:121]
	v_add_f64 v[6:7], v[6:7], -v[118:119]
	v_fma_f64 v[182:183], v[184:185], v[190:191], v[182:183]
	v_add_f64 v[8:9], v[8:9], -v[182:183]
	ds_read2_b64 v[182:185], v1 offset0:88 offset1:89
	s_waitcnt lgkmcnt(0)
	v_mul_f64 v[118:119], v[184:185], v[120:121]
	v_fma_f64 v[118:119], v[182:183], v[190:191], -v[118:119]
	v_mul_f64 v[182:183], v[182:183], v[120:121]
	v_add_f64 v[2:3], v[2:3], -v[118:119]
	v_fma_f64 v[182:183], v[184:185], v[190:191], v[182:183]
	v_mov_b32_e32 v118, v190
	v_mov_b32_e32 v119, v191
	v_add_f64 v[4:5], v[4:5], -v[182:183]
.LBB88_356:
	s_or_b32 exec_lo, exec_lo, s0
	v_lshl_add_u32 v182, v196, 4, v1
	s_barrier
	buffer_gl0_inv
	v_mov_b32_e32 v190, 17
	ds_write2_b64 v182, v[114:115], v[116:117] offset1:1
	s_waitcnt lgkmcnt(0)
	s_barrier
	buffer_gl0_inv
	ds_read2_b64 v[182:185], v1 offset0:34 offset1:35
	s_cmp_lt_i32 s1, 19
	s_cbranch_scc1 .LBB88_359
; %bb.357:
	v_add3_u32 v191, v192, 0, 0x120
	v_mov_b32_e32 v190, 17
	s_mov_b32 s7, 18
	s_inst_prefetch 0x1
	.p2align	6
.LBB88_358:                             ; =>This Inner Loop Header: Depth=1
	s_waitcnt lgkmcnt(0)
	v_cmp_gt_f64_e32 vcc_lo, 0, v[184:185]
	v_cmp_gt_f64_e64 s0, 0, v[182:183]
	ds_read2_b64 v[197:200], v191 offset1:1
	v_xor_b32_e32 v202, 0x80000000, v183
	v_xor_b32_e32 v204, 0x80000000, v185
	v_mov_b32_e32 v201, v182
	v_mov_b32_e32 v203, v184
	v_add_nc_u32_e32 v191, 16, v191
	s_waitcnt lgkmcnt(0)
	v_xor_b32_e32 v206, 0x80000000, v200
	v_cndmask_b32_e64 v202, v183, v202, s0
	v_cndmask_b32_e32 v204, v185, v204, vcc_lo
	v_cmp_gt_f64_e32 vcc_lo, 0, v[199:200]
	v_cmp_gt_f64_e64 s0, 0, v[197:198]
	v_mov_b32_e32 v205, v199
	v_add_f64 v[201:202], v[201:202], v[203:204]
	v_xor_b32_e32 v204, 0x80000000, v198
	v_mov_b32_e32 v203, v197
	v_cndmask_b32_e32 v206, v200, v206, vcc_lo
	v_cndmask_b32_e64 v204, v198, v204, s0
	v_add_f64 v[203:204], v[203:204], v[205:206]
	v_cmp_lt_f64_e32 vcc_lo, v[201:202], v[203:204]
	v_cndmask_b32_e32 v183, v183, v198, vcc_lo
	v_cndmask_b32_e32 v182, v182, v197, vcc_lo
	;; [unrolled: 1-line block ×4, first 2 shown]
	v_cndmask_b32_e64 v190, v190, s7, vcc_lo
	s_add_i32 s7, s7, 1
	s_cmp_lg_u32 s1, s7
	s_cbranch_scc1 .LBB88_358
.LBB88_359:
	s_inst_prefetch 0x2
	s_waitcnt lgkmcnt(0)
	v_cmp_eq_f64_e32 vcc_lo, 0, v[182:183]
	v_cmp_eq_f64_e64 s0, 0, v[184:185]
	s_and_b32 s0, vcc_lo, s0
	s_and_saveexec_b32 s7, s0
	s_xor_b32 s0, exec_lo, s7
; %bb.360:
	v_cmp_ne_u32_e32 vcc_lo, 0, v195
	v_cndmask_b32_e32 v195, 18, v195, vcc_lo
; %bb.361:
	s_andn2_saveexec_b32 s0, s0
	s_cbranch_execz .LBB88_367
; %bb.362:
	v_cmp_ngt_f64_e64 s7, |v[182:183]|, |v[184:185]|
	s_and_saveexec_b32 s8, s7
	s_xor_b32 s7, exec_lo, s8
	s_cbranch_execz .LBB88_364
; %bb.363:
	v_div_scale_f64 v[197:198], null, v[184:185], v[184:185], v[182:183]
	v_div_scale_f64 v[203:204], vcc_lo, v[182:183], v[184:185], v[182:183]
	v_rcp_f64_e32 v[199:200], v[197:198]
	v_fma_f64 v[201:202], -v[197:198], v[199:200], 1.0
	v_fma_f64 v[199:200], v[199:200], v[201:202], v[199:200]
	v_fma_f64 v[201:202], -v[197:198], v[199:200], 1.0
	v_fma_f64 v[199:200], v[199:200], v[201:202], v[199:200]
	v_mul_f64 v[201:202], v[203:204], v[199:200]
	v_fma_f64 v[197:198], -v[197:198], v[201:202], v[203:204]
	v_div_fmas_f64 v[197:198], v[197:198], v[199:200], v[201:202]
	v_div_fixup_f64 v[197:198], v[197:198], v[184:185], v[182:183]
	v_fma_f64 v[182:183], v[182:183], v[197:198], v[184:185]
	v_div_scale_f64 v[184:185], null, v[182:183], v[182:183], 1.0
	v_rcp_f64_e32 v[199:200], v[184:185]
	v_fma_f64 v[201:202], -v[184:185], v[199:200], 1.0
	v_fma_f64 v[199:200], v[199:200], v[201:202], v[199:200]
	v_fma_f64 v[201:202], -v[184:185], v[199:200], 1.0
	v_fma_f64 v[199:200], v[199:200], v[201:202], v[199:200]
	v_div_scale_f64 v[201:202], vcc_lo, 1.0, v[182:183], 1.0
	v_mul_f64 v[203:204], v[201:202], v[199:200]
	v_fma_f64 v[184:185], -v[184:185], v[203:204], v[201:202]
	v_div_fmas_f64 v[184:185], v[184:185], v[199:200], v[203:204]
	v_div_fixup_f64 v[184:185], v[184:185], v[182:183], 1.0
	v_mul_f64 v[182:183], v[197:198], v[184:185]
	v_xor_b32_e32 v185, 0x80000000, v185
.LBB88_364:
	s_andn2_saveexec_b32 s7, s7
	s_cbranch_execz .LBB88_366
; %bb.365:
	v_div_scale_f64 v[197:198], null, v[182:183], v[182:183], v[184:185]
	v_div_scale_f64 v[203:204], vcc_lo, v[184:185], v[182:183], v[184:185]
	v_rcp_f64_e32 v[199:200], v[197:198]
	v_fma_f64 v[201:202], -v[197:198], v[199:200], 1.0
	v_fma_f64 v[199:200], v[199:200], v[201:202], v[199:200]
	v_fma_f64 v[201:202], -v[197:198], v[199:200], 1.0
	v_fma_f64 v[199:200], v[199:200], v[201:202], v[199:200]
	v_mul_f64 v[201:202], v[203:204], v[199:200]
	v_fma_f64 v[197:198], -v[197:198], v[201:202], v[203:204]
	v_div_fmas_f64 v[197:198], v[197:198], v[199:200], v[201:202]
	v_div_fixup_f64 v[197:198], v[197:198], v[182:183], v[184:185]
	v_fma_f64 v[182:183], v[184:185], v[197:198], v[182:183]
	v_div_scale_f64 v[184:185], null, v[182:183], v[182:183], 1.0
	v_rcp_f64_e32 v[199:200], v[184:185]
	v_fma_f64 v[201:202], -v[184:185], v[199:200], 1.0
	v_fma_f64 v[199:200], v[199:200], v[201:202], v[199:200]
	v_fma_f64 v[201:202], -v[184:185], v[199:200], 1.0
	v_fma_f64 v[199:200], v[199:200], v[201:202], v[199:200]
	v_div_scale_f64 v[201:202], vcc_lo, 1.0, v[182:183], 1.0
	v_mul_f64 v[203:204], v[201:202], v[199:200]
	v_fma_f64 v[184:185], -v[184:185], v[203:204], v[201:202]
	v_div_fmas_f64 v[184:185], v[184:185], v[199:200], v[203:204]
	v_div_fixup_f64 v[182:183], v[184:185], v[182:183], 1.0
	v_mul_f64 v[184:185], v[197:198], -v[182:183]
.LBB88_366:
	s_or_b32 exec_lo, exec_lo, s7
.LBB88_367:
	s_or_b32 exec_lo, exec_lo, s0
	s_mov_b32 s0, exec_lo
	v_cmpx_ne_u32_e64 v196, v190
	s_xor_b32 s0, exec_lo, s0
	s_cbranch_execz .LBB88_373
; %bb.368:
	s_mov_b32 s7, exec_lo
	v_cmpx_eq_u32_e32 17, v196
	s_cbranch_execz .LBB88_372
; %bb.369:
	v_cmp_ne_u32_e32 vcc_lo, 17, v190
	s_xor_b32 s8, s16, -1
	s_and_b32 s9, s8, vcc_lo
	s_and_saveexec_b32 s8, s9
	s_cbranch_execz .LBB88_371
; %bb.370:
	v_ashrrev_i32_e32 v191, 31, v190
	v_lshlrev_b64 v[196:197], 2, v[190:191]
	v_add_co_u32 v196, vcc_lo, v188, v196
	v_add_co_ci_u32_e64 v197, null, v189, v197, vcc_lo
	s_clause 0x1
	global_load_dword v0, v[196:197], off
	global_load_dword v191, v[188:189], off offset:68
	s_waitcnt vmcnt(1)
	global_store_dword v[188:189], v0, off offset:68
	s_waitcnt vmcnt(0)
	global_store_dword v[196:197], v191, off
.LBB88_371:
	s_or_b32 exec_lo, exec_lo, s8
	v_mov_b32_e32 v196, v190
	v_mov_b32_e32 v0, v190
.LBB88_372:
	s_or_b32 exec_lo, exec_lo, s7
.LBB88_373:
	s_andn2_saveexec_b32 s0, s0
	s_cbranch_execz .LBB88_375
; %bb.374:
	v_mov_b32_e32 v196, 17
	ds_write2_b64 v1, v[106:107], v[108:109] offset0:36 offset1:37
	ds_write2_b64 v1, v[102:103], v[104:105] offset0:38 offset1:39
	;; [unrolled: 1-line block ×27, first 2 shown]
.LBB88_375:
	s_or_b32 exec_lo, exec_lo, s0
	s_mov_b32 s0, exec_lo
	s_waitcnt lgkmcnt(0)
	s_waitcnt_vscnt null, 0x0
	s_barrier
	buffer_gl0_inv
	v_cmpx_lt_i32_e32 17, v196
	s_cbranch_execz .LBB88_377
; %bb.376:
	v_mul_f64 v[190:191], v[184:185], v[116:117]
	v_mul_f64 v[116:117], v[182:183], v[116:117]
	v_fma_f64 v[190:191], v[182:183], v[114:115], -v[190:191]
	v_fma_f64 v[116:117], v[184:185], v[114:115], v[116:117]
	ds_read2_b64 v[182:185], v1 offset0:36 offset1:37
	s_waitcnt lgkmcnt(0)
	v_mul_f64 v[114:115], v[184:185], v[116:117]
	v_fma_f64 v[114:115], v[182:183], v[190:191], -v[114:115]
	v_mul_f64 v[182:183], v[182:183], v[116:117]
	v_add_f64 v[106:107], v[106:107], -v[114:115]
	v_fma_f64 v[182:183], v[184:185], v[190:191], v[182:183]
	v_add_f64 v[108:109], v[108:109], -v[182:183]
	ds_read2_b64 v[182:185], v1 offset0:38 offset1:39
	s_waitcnt lgkmcnt(0)
	v_mul_f64 v[114:115], v[184:185], v[116:117]
	v_fma_f64 v[114:115], v[182:183], v[190:191], -v[114:115]
	v_mul_f64 v[182:183], v[182:183], v[116:117]
	v_add_f64 v[102:103], v[102:103], -v[114:115]
	v_fma_f64 v[182:183], v[184:185], v[190:191], v[182:183]
	v_add_f64 v[104:105], v[104:105], -v[182:183]
	ds_read2_b64 v[182:185], v1 offset0:40 offset1:41
	s_waitcnt lgkmcnt(0)
	v_mul_f64 v[114:115], v[184:185], v[116:117]
	v_fma_f64 v[114:115], v[182:183], v[190:191], -v[114:115]
	v_mul_f64 v[182:183], v[182:183], v[116:117]
	v_add_f64 v[94:95], v[94:95], -v[114:115]
	v_fma_f64 v[182:183], v[184:185], v[190:191], v[182:183]
	v_add_f64 v[96:97], v[96:97], -v[182:183]
	ds_read2_b64 v[182:185], v1 offset0:42 offset1:43
	s_waitcnt lgkmcnt(0)
	v_mul_f64 v[114:115], v[184:185], v[116:117]
	v_fma_f64 v[114:115], v[182:183], v[190:191], -v[114:115]
	v_mul_f64 v[182:183], v[182:183], v[116:117]
	v_add_f64 v[90:91], v[90:91], -v[114:115]
	v_fma_f64 v[182:183], v[184:185], v[190:191], v[182:183]
	v_add_f64 v[92:93], v[92:93], -v[182:183]
	ds_read2_b64 v[182:185], v1 offset0:44 offset1:45
	s_waitcnt lgkmcnt(0)
	v_mul_f64 v[114:115], v[184:185], v[116:117]
	v_fma_f64 v[114:115], v[182:183], v[190:191], -v[114:115]
	v_mul_f64 v[182:183], v[182:183], v[116:117]
	v_add_f64 v[98:99], v[98:99], -v[114:115]
	v_fma_f64 v[182:183], v[184:185], v[190:191], v[182:183]
	v_add_f64 v[100:101], v[100:101], -v[182:183]
	ds_read2_b64 v[182:185], v1 offset0:46 offset1:47
	s_waitcnt lgkmcnt(0)
	v_mul_f64 v[114:115], v[184:185], v[116:117]
	v_fma_f64 v[114:115], v[182:183], v[190:191], -v[114:115]
	v_mul_f64 v[182:183], v[182:183], v[116:117]
	v_add_f64 v[82:83], v[82:83], -v[114:115]
	v_fma_f64 v[182:183], v[184:185], v[190:191], v[182:183]
	v_add_f64 v[84:85], v[84:85], -v[182:183]
	ds_read2_b64 v[182:185], v1 offset0:48 offset1:49
	s_waitcnt lgkmcnt(0)
	v_mul_f64 v[114:115], v[184:185], v[116:117]
	v_fma_f64 v[114:115], v[182:183], v[190:191], -v[114:115]
	v_mul_f64 v[182:183], v[182:183], v[116:117]
	v_add_f64 v[86:87], v[86:87], -v[114:115]
	v_fma_f64 v[182:183], v[184:185], v[190:191], v[182:183]
	v_add_f64 v[88:89], v[88:89], -v[182:183]
	ds_read2_b64 v[182:185], v1 offset0:50 offset1:51
	s_waitcnt lgkmcnt(0)
	v_mul_f64 v[114:115], v[184:185], v[116:117]
	v_fma_f64 v[114:115], v[182:183], v[190:191], -v[114:115]
	v_mul_f64 v[182:183], v[182:183], v[116:117]
	v_add_f64 v[70:71], v[70:71], -v[114:115]
	v_fma_f64 v[182:183], v[184:185], v[190:191], v[182:183]
	v_add_f64 v[72:73], v[72:73], -v[182:183]
	ds_read2_b64 v[182:185], v1 offset0:52 offset1:53
	s_waitcnt lgkmcnt(0)
	v_mul_f64 v[114:115], v[184:185], v[116:117]
	v_fma_f64 v[114:115], v[182:183], v[190:191], -v[114:115]
	v_mul_f64 v[182:183], v[182:183], v[116:117]
	v_add_f64 v[78:79], v[78:79], -v[114:115]
	v_fma_f64 v[182:183], v[184:185], v[190:191], v[182:183]
	v_add_f64 v[80:81], v[80:81], -v[182:183]
	ds_read2_b64 v[182:185], v1 offset0:54 offset1:55
	s_waitcnt lgkmcnt(0)
	v_mul_f64 v[114:115], v[184:185], v[116:117]
	v_fma_f64 v[114:115], v[182:183], v[190:191], -v[114:115]
	v_mul_f64 v[182:183], v[182:183], v[116:117]
	v_add_f64 v[74:75], v[74:75], -v[114:115]
	v_fma_f64 v[182:183], v[184:185], v[190:191], v[182:183]
	v_add_f64 v[76:77], v[76:77], -v[182:183]
	ds_read2_b64 v[182:185], v1 offset0:56 offset1:57
	s_waitcnt lgkmcnt(0)
	v_mul_f64 v[114:115], v[184:185], v[116:117]
	v_fma_f64 v[114:115], v[182:183], v[190:191], -v[114:115]
	v_mul_f64 v[182:183], v[182:183], v[116:117]
	v_add_f64 v[66:67], v[66:67], -v[114:115]
	v_fma_f64 v[182:183], v[184:185], v[190:191], v[182:183]
	v_add_f64 v[68:69], v[68:69], -v[182:183]
	ds_read2_b64 v[182:185], v1 offset0:58 offset1:59
	s_waitcnt lgkmcnt(0)
	v_mul_f64 v[114:115], v[184:185], v[116:117]
	v_fma_f64 v[114:115], v[182:183], v[190:191], -v[114:115]
	v_mul_f64 v[182:183], v[182:183], v[116:117]
	v_add_f64 v[62:63], v[62:63], -v[114:115]
	v_fma_f64 v[182:183], v[184:185], v[190:191], v[182:183]
	v_add_f64 v[64:65], v[64:65], -v[182:183]
	ds_read2_b64 v[182:185], v1 offset0:60 offset1:61
	s_waitcnt lgkmcnt(0)
	v_mul_f64 v[114:115], v[184:185], v[116:117]
	v_fma_f64 v[114:115], v[182:183], v[190:191], -v[114:115]
	v_mul_f64 v[182:183], v[182:183], v[116:117]
	v_add_f64 v[54:55], v[54:55], -v[114:115]
	v_fma_f64 v[182:183], v[184:185], v[190:191], v[182:183]
	v_add_f64 v[56:57], v[56:57], -v[182:183]
	ds_read2_b64 v[182:185], v1 offset0:62 offset1:63
	s_waitcnt lgkmcnt(0)
	v_mul_f64 v[114:115], v[184:185], v[116:117]
	v_fma_f64 v[114:115], v[182:183], v[190:191], -v[114:115]
	v_mul_f64 v[182:183], v[182:183], v[116:117]
	v_add_f64 v[50:51], v[50:51], -v[114:115]
	v_fma_f64 v[182:183], v[184:185], v[190:191], v[182:183]
	v_add_f64 v[52:53], v[52:53], -v[182:183]
	ds_read2_b64 v[182:185], v1 offset0:64 offset1:65
	s_waitcnt lgkmcnt(0)
	v_mul_f64 v[114:115], v[184:185], v[116:117]
	v_fma_f64 v[114:115], v[182:183], v[190:191], -v[114:115]
	v_mul_f64 v[182:183], v[182:183], v[116:117]
	v_add_f64 v[58:59], v[58:59], -v[114:115]
	v_fma_f64 v[182:183], v[184:185], v[190:191], v[182:183]
	v_add_f64 v[60:61], v[60:61], -v[182:183]
	ds_read2_b64 v[182:185], v1 offset0:66 offset1:67
	s_waitcnt lgkmcnt(0)
	v_mul_f64 v[114:115], v[184:185], v[116:117]
	v_fma_f64 v[114:115], v[182:183], v[190:191], -v[114:115]
	v_mul_f64 v[182:183], v[182:183], v[116:117]
	v_add_f64 v[42:43], v[42:43], -v[114:115]
	v_fma_f64 v[182:183], v[184:185], v[190:191], v[182:183]
	v_add_f64 v[44:45], v[44:45], -v[182:183]
	ds_read2_b64 v[182:185], v1 offset0:68 offset1:69
	s_waitcnt lgkmcnt(0)
	v_mul_f64 v[114:115], v[184:185], v[116:117]
	v_fma_f64 v[114:115], v[182:183], v[190:191], -v[114:115]
	v_mul_f64 v[182:183], v[182:183], v[116:117]
	v_add_f64 v[46:47], v[46:47], -v[114:115]
	v_fma_f64 v[182:183], v[184:185], v[190:191], v[182:183]
	v_add_f64 v[48:49], v[48:49], -v[182:183]
	ds_read2_b64 v[182:185], v1 offset0:70 offset1:71
	s_waitcnt lgkmcnt(0)
	v_mul_f64 v[114:115], v[184:185], v[116:117]
	v_fma_f64 v[114:115], v[182:183], v[190:191], -v[114:115]
	v_mul_f64 v[182:183], v[182:183], v[116:117]
	v_add_f64 v[30:31], v[30:31], -v[114:115]
	v_fma_f64 v[182:183], v[184:185], v[190:191], v[182:183]
	v_add_f64 v[32:33], v[32:33], -v[182:183]
	ds_read2_b64 v[182:185], v1 offset0:72 offset1:73
	s_waitcnt lgkmcnt(0)
	v_mul_f64 v[114:115], v[184:185], v[116:117]
	v_fma_f64 v[114:115], v[182:183], v[190:191], -v[114:115]
	v_mul_f64 v[182:183], v[182:183], v[116:117]
	v_add_f64 v[38:39], v[38:39], -v[114:115]
	v_fma_f64 v[182:183], v[184:185], v[190:191], v[182:183]
	v_add_f64 v[40:41], v[40:41], -v[182:183]
	ds_read2_b64 v[182:185], v1 offset0:74 offset1:75
	s_waitcnt lgkmcnt(0)
	v_mul_f64 v[114:115], v[184:185], v[116:117]
	v_fma_f64 v[114:115], v[182:183], v[190:191], -v[114:115]
	v_mul_f64 v[182:183], v[182:183], v[116:117]
	v_add_f64 v[34:35], v[34:35], -v[114:115]
	v_fma_f64 v[182:183], v[184:185], v[190:191], v[182:183]
	v_add_f64 v[36:37], v[36:37], -v[182:183]
	ds_read2_b64 v[182:185], v1 offset0:76 offset1:77
	s_waitcnt lgkmcnt(0)
	v_mul_f64 v[114:115], v[184:185], v[116:117]
	v_fma_f64 v[114:115], v[182:183], v[190:191], -v[114:115]
	v_mul_f64 v[182:183], v[182:183], v[116:117]
	v_add_f64 v[26:27], v[26:27], -v[114:115]
	v_fma_f64 v[182:183], v[184:185], v[190:191], v[182:183]
	v_add_f64 v[28:29], v[28:29], -v[182:183]
	ds_read2_b64 v[182:185], v1 offset0:78 offset1:79
	s_waitcnt lgkmcnt(0)
	v_mul_f64 v[114:115], v[184:185], v[116:117]
	v_fma_f64 v[114:115], v[182:183], v[190:191], -v[114:115]
	v_mul_f64 v[182:183], v[182:183], v[116:117]
	v_add_f64 v[22:23], v[22:23], -v[114:115]
	v_fma_f64 v[182:183], v[184:185], v[190:191], v[182:183]
	v_add_f64 v[24:25], v[24:25], -v[182:183]
	ds_read2_b64 v[182:185], v1 offset0:80 offset1:81
	s_waitcnt lgkmcnt(0)
	v_mul_f64 v[114:115], v[184:185], v[116:117]
	v_fma_f64 v[114:115], v[182:183], v[190:191], -v[114:115]
	v_mul_f64 v[182:183], v[182:183], v[116:117]
	v_add_f64 v[18:19], v[18:19], -v[114:115]
	v_fma_f64 v[182:183], v[184:185], v[190:191], v[182:183]
	v_add_f64 v[20:21], v[20:21], -v[182:183]
	ds_read2_b64 v[182:185], v1 offset0:82 offset1:83
	s_waitcnt lgkmcnt(0)
	v_mul_f64 v[114:115], v[184:185], v[116:117]
	v_fma_f64 v[114:115], v[182:183], v[190:191], -v[114:115]
	v_mul_f64 v[182:183], v[182:183], v[116:117]
	v_add_f64 v[14:15], v[14:15], -v[114:115]
	v_fma_f64 v[182:183], v[184:185], v[190:191], v[182:183]
	v_add_f64 v[16:17], v[16:17], -v[182:183]
	ds_read2_b64 v[182:185], v1 offset0:84 offset1:85
	s_waitcnt lgkmcnt(0)
	v_mul_f64 v[114:115], v[184:185], v[116:117]
	v_fma_f64 v[114:115], v[182:183], v[190:191], -v[114:115]
	v_mul_f64 v[182:183], v[182:183], v[116:117]
	v_add_f64 v[10:11], v[10:11], -v[114:115]
	v_fma_f64 v[182:183], v[184:185], v[190:191], v[182:183]
	v_add_f64 v[12:13], v[12:13], -v[182:183]
	ds_read2_b64 v[182:185], v1 offset0:86 offset1:87
	s_waitcnt lgkmcnt(0)
	v_mul_f64 v[114:115], v[184:185], v[116:117]
	v_fma_f64 v[114:115], v[182:183], v[190:191], -v[114:115]
	v_mul_f64 v[182:183], v[182:183], v[116:117]
	v_add_f64 v[6:7], v[6:7], -v[114:115]
	v_fma_f64 v[182:183], v[184:185], v[190:191], v[182:183]
	v_add_f64 v[8:9], v[8:9], -v[182:183]
	ds_read2_b64 v[182:185], v1 offset0:88 offset1:89
	s_waitcnt lgkmcnt(0)
	v_mul_f64 v[114:115], v[184:185], v[116:117]
	v_fma_f64 v[114:115], v[182:183], v[190:191], -v[114:115]
	v_mul_f64 v[182:183], v[182:183], v[116:117]
	v_add_f64 v[2:3], v[2:3], -v[114:115]
	v_fma_f64 v[182:183], v[184:185], v[190:191], v[182:183]
	v_mov_b32_e32 v114, v190
	v_mov_b32_e32 v115, v191
	v_add_f64 v[4:5], v[4:5], -v[182:183]
.LBB88_377:
	s_or_b32 exec_lo, exec_lo, s0
	v_lshl_add_u32 v182, v196, 4, v1
	s_barrier
	buffer_gl0_inv
	v_mov_b32_e32 v190, 18
	ds_write2_b64 v182, v[106:107], v[108:109] offset1:1
	s_waitcnt lgkmcnt(0)
	s_barrier
	buffer_gl0_inv
	ds_read2_b64 v[182:185], v1 offset0:36 offset1:37
	s_cmp_lt_i32 s1, 20
	s_cbranch_scc1 .LBB88_380
; %bb.378:
	v_add3_u32 v191, v192, 0, 0x130
	v_mov_b32_e32 v190, 18
	s_mov_b32 s7, 19
	s_inst_prefetch 0x1
	.p2align	6
.LBB88_379:                             ; =>This Inner Loop Header: Depth=1
	s_waitcnt lgkmcnt(0)
	v_cmp_gt_f64_e32 vcc_lo, 0, v[184:185]
	v_cmp_gt_f64_e64 s0, 0, v[182:183]
	ds_read2_b64 v[197:200], v191 offset1:1
	v_xor_b32_e32 v202, 0x80000000, v183
	v_xor_b32_e32 v204, 0x80000000, v185
	v_mov_b32_e32 v201, v182
	v_mov_b32_e32 v203, v184
	v_add_nc_u32_e32 v191, 16, v191
	s_waitcnt lgkmcnt(0)
	v_xor_b32_e32 v206, 0x80000000, v200
	v_cndmask_b32_e64 v202, v183, v202, s0
	v_cndmask_b32_e32 v204, v185, v204, vcc_lo
	v_cmp_gt_f64_e32 vcc_lo, 0, v[199:200]
	v_cmp_gt_f64_e64 s0, 0, v[197:198]
	v_mov_b32_e32 v205, v199
	v_add_f64 v[201:202], v[201:202], v[203:204]
	v_xor_b32_e32 v204, 0x80000000, v198
	v_mov_b32_e32 v203, v197
	v_cndmask_b32_e32 v206, v200, v206, vcc_lo
	v_cndmask_b32_e64 v204, v198, v204, s0
	v_add_f64 v[203:204], v[203:204], v[205:206]
	v_cmp_lt_f64_e32 vcc_lo, v[201:202], v[203:204]
	v_cndmask_b32_e32 v183, v183, v198, vcc_lo
	v_cndmask_b32_e32 v182, v182, v197, vcc_lo
	;; [unrolled: 1-line block ×4, first 2 shown]
	v_cndmask_b32_e64 v190, v190, s7, vcc_lo
	s_add_i32 s7, s7, 1
	s_cmp_lg_u32 s1, s7
	s_cbranch_scc1 .LBB88_379
.LBB88_380:
	s_inst_prefetch 0x2
	s_waitcnt lgkmcnt(0)
	v_cmp_eq_f64_e32 vcc_lo, 0, v[182:183]
	v_cmp_eq_f64_e64 s0, 0, v[184:185]
	s_and_b32 s0, vcc_lo, s0
	s_and_saveexec_b32 s7, s0
	s_xor_b32 s0, exec_lo, s7
; %bb.381:
	v_cmp_ne_u32_e32 vcc_lo, 0, v195
	v_cndmask_b32_e32 v195, 19, v195, vcc_lo
; %bb.382:
	s_andn2_saveexec_b32 s0, s0
	s_cbranch_execz .LBB88_388
; %bb.383:
	v_cmp_ngt_f64_e64 s7, |v[182:183]|, |v[184:185]|
	s_and_saveexec_b32 s8, s7
	s_xor_b32 s7, exec_lo, s8
	s_cbranch_execz .LBB88_385
; %bb.384:
	v_div_scale_f64 v[197:198], null, v[184:185], v[184:185], v[182:183]
	v_div_scale_f64 v[203:204], vcc_lo, v[182:183], v[184:185], v[182:183]
	v_rcp_f64_e32 v[199:200], v[197:198]
	v_fma_f64 v[201:202], -v[197:198], v[199:200], 1.0
	v_fma_f64 v[199:200], v[199:200], v[201:202], v[199:200]
	v_fma_f64 v[201:202], -v[197:198], v[199:200], 1.0
	v_fma_f64 v[199:200], v[199:200], v[201:202], v[199:200]
	v_mul_f64 v[201:202], v[203:204], v[199:200]
	v_fma_f64 v[197:198], -v[197:198], v[201:202], v[203:204]
	v_div_fmas_f64 v[197:198], v[197:198], v[199:200], v[201:202]
	v_div_fixup_f64 v[197:198], v[197:198], v[184:185], v[182:183]
	v_fma_f64 v[182:183], v[182:183], v[197:198], v[184:185]
	v_div_scale_f64 v[184:185], null, v[182:183], v[182:183], 1.0
	v_rcp_f64_e32 v[199:200], v[184:185]
	v_fma_f64 v[201:202], -v[184:185], v[199:200], 1.0
	v_fma_f64 v[199:200], v[199:200], v[201:202], v[199:200]
	v_fma_f64 v[201:202], -v[184:185], v[199:200], 1.0
	v_fma_f64 v[199:200], v[199:200], v[201:202], v[199:200]
	v_div_scale_f64 v[201:202], vcc_lo, 1.0, v[182:183], 1.0
	v_mul_f64 v[203:204], v[201:202], v[199:200]
	v_fma_f64 v[184:185], -v[184:185], v[203:204], v[201:202]
	v_div_fmas_f64 v[184:185], v[184:185], v[199:200], v[203:204]
	v_div_fixup_f64 v[184:185], v[184:185], v[182:183], 1.0
	v_mul_f64 v[182:183], v[197:198], v[184:185]
	v_xor_b32_e32 v185, 0x80000000, v185
.LBB88_385:
	s_andn2_saveexec_b32 s7, s7
	s_cbranch_execz .LBB88_387
; %bb.386:
	v_div_scale_f64 v[197:198], null, v[182:183], v[182:183], v[184:185]
	v_div_scale_f64 v[203:204], vcc_lo, v[184:185], v[182:183], v[184:185]
	v_rcp_f64_e32 v[199:200], v[197:198]
	v_fma_f64 v[201:202], -v[197:198], v[199:200], 1.0
	v_fma_f64 v[199:200], v[199:200], v[201:202], v[199:200]
	v_fma_f64 v[201:202], -v[197:198], v[199:200], 1.0
	v_fma_f64 v[199:200], v[199:200], v[201:202], v[199:200]
	v_mul_f64 v[201:202], v[203:204], v[199:200]
	v_fma_f64 v[197:198], -v[197:198], v[201:202], v[203:204]
	v_div_fmas_f64 v[197:198], v[197:198], v[199:200], v[201:202]
	v_div_fixup_f64 v[197:198], v[197:198], v[182:183], v[184:185]
	v_fma_f64 v[182:183], v[184:185], v[197:198], v[182:183]
	v_div_scale_f64 v[184:185], null, v[182:183], v[182:183], 1.0
	v_rcp_f64_e32 v[199:200], v[184:185]
	v_fma_f64 v[201:202], -v[184:185], v[199:200], 1.0
	v_fma_f64 v[199:200], v[199:200], v[201:202], v[199:200]
	v_fma_f64 v[201:202], -v[184:185], v[199:200], 1.0
	v_fma_f64 v[199:200], v[199:200], v[201:202], v[199:200]
	v_div_scale_f64 v[201:202], vcc_lo, 1.0, v[182:183], 1.0
	v_mul_f64 v[203:204], v[201:202], v[199:200]
	v_fma_f64 v[184:185], -v[184:185], v[203:204], v[201:202]
	v_div_fmas_f64 v[184:185], v[184:185], v[199:200], v[203:204]
	v_div_fixup_f64 v[182:183], v[184:185], v[182:183], 1.0
	v_mul_f64 v[184:185], v[197:198], -v[182:183]
.LBB88_387:
	s_or_b32 exec_lo, exec_lo, s7
.LBB88_388:
	s_or_b32 exec_lo, exec_lo, s0
	s_mov_b32 s0, exec_lo
	v_cmpx_ne_u32_e64 v196, v190
	s_xor_b32 s0, exec_lo, s0
	s_cbranch_execz .LBB88_394
; %bb.389:
	s_mov_b32 s7, exec_lo
	v_cmpx_eq_u32_e32 18, v196
	s_cbranch_execz .LBB88_393
; %bb.390:
	v_cmp_ne_u32_e32 vcc_lo, 18, v190
	s_xor_b32 s8, s16, -1
	s_and_b32 s9, s8, vcc_lo
	s_and_saveexec_b32 s8, s9
	s_cbranch_execz .LBB88_392
; %bb.391:
	v_ashrrev_i32_e32 v191, 31, v190
	v_lshlrev_b64 v[196:197], 2, v[190:191]
	v_add_co_u32 v196, vcc_lo, v188, v196
	v_add_co_ci_u32_e64 v197, null, v189, v197, vcc_lo
	s_clause 0x1
	global_load_dword v0, v[196:197], off
	global_load_dword v191, v[188:189], off offset:72
	s_waitcnt vmcnt(1)
	global_store_dword v[188:189], v0, off offset:72
	s_waitcnt vmcnt(0)
	global_store_dword v[196:197], v191, off
.LBB88_392:
	s_or_b32 exec_lo, exec_lo, s8
	v_mov_b32_e32 v196, v190
	v_mov_b32_e32 v0, v190
.LBB88_393:
	s_or_b32 exec_lo, exec_lo, s7
.LBB88_394:
	s_andn2_saveexec_b32 s0, s0
	s_cbranch_execz .LBB88_396
; %bb.395:
	v_mov_b32_e32 v196, 18
	ds_write2_b64 v1, v[102:103], v[104:105] offset0:38 offset1:39
	ds_write2_b64 v1, v[94:95], v[96:97] offset0:40 offset1:41
	;; [unrolled: 1-line block ×26, first 2 shown]
.LBB88_396:
	s_or_b32 exec_lo, exec_lo, s0
	s_mov_b32 s0, exec_lo
	s_waitcnt lgkmcnt(0)
	s_waitcnt_vscnt null, 0x0
	s_barrier
	buffer_gl0_inv
	v_cmpx_lt_i32_e32 18, v196
	s_cbranch_execz .LBB88_398
; %bb.397:
	v_mul_f64 v[190:191], v[184:185], v[108:109]
	v_mul_f64 v[108:109], v[182:183], v[108:109]
	v_fma_f64 v[190:191], v[182:183], v[106:107], -v[190:191]
	v_fma_f64 v[108:109], v[184:185], v[106:107], v[108:109]
	ds_read2_b64 v[182:185], v1 offset0:38 offset1:39
	s_waitcnt lgkmcnt(0)
	v_mul_f64 v[106:107], v[184:185], v[108:109]
	v_fma_f64 v[106:107], v[182:183], v[190:191], -v[106:107]
	v_mul_f64 v[182:183], v[182:183], v[108:109]
	v_add_f64 v[102:103], v[102:103], -v[106:107]
	v_fma_f64 v[182:183], v[184:185], v[190:191], v[182:183]
	v_add_f64 v[104:105], v[104:105], -v[182:183]
	ds_read2_b64 v[182:185], v1 offset0:40 offset1:41
	s_waitcnt lgkmcnt(0)
	v_mul_f64 v[106:107], v[184:185], v[108:109]
	v_fma_f64 v[106:107], v[182:183], v[190:191], -v[106:107]
	v_mul_f64 v[182:183], v[182:183], v[108:109]
	v_add_f64 v[94:95], v[94:95], -v[106:107]
	v_fma_f64 v[182:183], v[184:185], v[190:191], v[182:183]
	v_add_f64 v[96:97], v[96:97], -v[182:183]
	;; [unrolled: 8-line block ×25, first 2 shown]
	ds_read2_b64 v[182:185], v1 offset0:88 offset1:89
	s_waitcnt lgkmcnt(0)
	v_mul_f64 v[106:107], v[184:185], v[108:109]
	v_fma_f64 v[106:107], v[182:183], v[190:191], -v[106:107]
	v_mul_f64 v[182:183], v[182:183], v[108:109]
	v_add_f64 v[2:3], v[2:3], -v[106:107]
	v_fma_f64 v[182:183], v[184:185], v[190:191], v[182:183]
	v_mov_b32_e32 v106, v190
	v_mov_b32_e32 v107, v191
	v_add_f64 v[4:5], v[4:5], -v[182:183]
.LBB88_398:
	s_or_b32 exec_lo, exec_lo, s0
	v_lshl_add_u32 v182, v196, 4, v1
	s_barrier
	buffer_gl0_inv
	v_mov_b32_e32 v190, 19
	ds_write2_b64 v182, v[102:103], v[104:105] offset1:1
	s_waitcnt lgkmcnt(0)
	s_barrier
	buffer_gl0_inv
	ds_read2_b64 v[182:185], v1 offset0:38 offset1:39
	s_cmp_lt_i32 s1, 21
	s_cbranch_scc1 .LBB88_401
; %bb.399:
	v_add3_u32 v191, v192, 0, 0x140
	v_mov_b32_e32 v190, 19
	s_mov_b32 s7, 20
	s_inst_prefetch 0x1
	.p2align	6
.LBB88_400:                             ; =>This Inner Loop Header: Depth=1
	s_waitcnt lgkmcnt(0)
	v_cmp_gt_f64_e32 vcc_lo, 0, v[184:185]
	v_cmp_gt_f64_e64 s0, 0, v[182:183]
	ds_read2_b64 v[197:200], v191 offset1:1
	v_xor_b32_e32 v202, 0x80000000, v183
	v_xor_b32_e32 v204, 0x80000000, v185
	v_mov_b32_e32 v201, v182
	v_mov_b32_e32 v203, v184
	v_add_nc_u32_e32 v191, 16, v191
	s_waitcnt lgkmcnt(0)
	v_xor_b32_e32 v206, 0x80000000, v200
	v_cndmask_b32_e64 v202, v183, v202, s0
	v_cndmask_b32_e32 v204, v185, v204, vcc_lo
	v_cmp_gt_f64_e32 vcc_lo, 0, v[199:200]
	v_cmp_gt_f64_e64 s0, 0, v[197:198]
	v_mov_b32_e32 v205, v199
	v_add_f64 v[201:202], v[201:202], v[203:204]
	v_xor_b32_e32 v204, 0x80000000, v198
	v_mov_b32_e32 v203, v197
	v_cndmask_b32_e32 v206, v200, v206, vcc_lo
	v_cndmask_b32_e64 v204, v198, v204, s0
	v_add_f64 v[203:204], v[203:204], v[205:206]
	v_cmp_lt_f64_e32 vcc_lo, v[201:202], v[203:204]
	v_cndmask_b32_e32 v183, v183, v198, vcc_lo
	v_cndmask_b32_e32 v182, v182, v197, vcc_lo
	;; [unrolled: 1-line block ×4, first 2 shown]
	v_cndmask_b32_e64 v190, v190, s7, vcc_lo
	s_add_i32 s7, s7, 1
	s_cmp_lg_u32 s1, s7
	s_cbranch_scc1 .LBB88_400
.LBB88_401:
	s_inst_prefetch 0x2
	s_waitcnt lgkmcnt(0)
	v_cmp_eq_f64_e32 vcc_lo, 0, v[182:183]
	v_cmp_eq_f64_e64 s0, 0, v[184:185]
	s_and_b32 s0, vcc_lo, s0
	s_and_saveexec_b32 s7, s0
	s_xor_b32 s0, exec_lo, s7
; %bb.402:
	v_cmp_ne_u32_e32 vcc_lo, 0, v195
	v_cndmask_b32_e32 v195, 20, v195, vcc_lo
; %bb.403:
	s_andn2_saveexec_b32 s0, s0
	s_cbranch_execz .LBB88_409
; %bb.404:
	v_cmp_ngt_f64_e64 s7, |v[182:183]|, |v[184:185]|
	s_and_saveexec_b32 s8, s7
	s_xor_b32 s7, exec_lo, s8
	s_cbranch_execz .LBB88_406
; %bb.405:
	v_div_scale_f64 v[197:198], null, v[184:185], v[184:185], v[182:183]
	v_div_scale_f64 v[203:204], vcc_lo, v[182:183], v[184:185], v[182:183]
	v_rcp_f64_e32 v[199:200], v[197:198]
	v_fma_f64 v[201:202], -v[197:198], v[199:200], 1.0
	v_fma_f64 v[199:200], v[199:200], v[201:202], v[199:200]
	v_fma_f64 v[201:202], -v[197:198], v[199:200], 1.0
	v_fma_f64 v[199:200], v[199:200], v[201:202], v[199:200]
	v_mul_f64 v[201:202], v[203:204], v[199:200]
	v_fma_f64 v[197:198], -v[197:198], v[201:202], v[203:204]
	v_div_fmas_f64 v[197:198], v[197:198], v[199:200], v[201:202]
	v_div_fixup_f64 v[197:198], v[197:198], v[184:185], v[182:183]
	v_fma_f64 v[182:183], v[182:183], v[197:198], v[184:185]
	v_div_scale_f64 v[184:185], null, v[182:183], v[182:183], 1.0
	v_rcp_f64_e32 v[199:200], v[184:185]
	v_fma_f64 v[201:202], -v[184:185], v[199:200], 1.0
	v_fma_f64 v[199:200], v[199:200], v[201:202], v[199:200]
	v_fma_f64 v[201:202], -v[184:185], v[199:200], 1.0
	v_fma_f64 v[199:200], v[199:200], v[201:202], v[199:200]
	v_div_scale_f64 v[201:202], vcc_lo, 1.0, v[182:183], 1.0
	v_mul_f64 v[203:204], v[201:202], v[199:200]
	v_fma_f64 v[184:185], -v[184:185], v[203:204], v[201:202]
	v_div_fmas_f64 v[184:185], v[184:185], v[199:200], v[203:204]
	v_div_fixup_f64 v[184:185], v[184:185], v[182:183], 1.0
	v_mul_f64 v[182:183], v[197:198], v[184:185]
	v_xor_b32_e32 v185, 0x80000000, v185
.LBB88_406:
	s_andn2_saveexec_b32 s7, s7
	s_cbranch_execz .LBB88_408
; %bb.407:
	v_div_scale_f64 v[197:198], null, v[182:183], v[182:183], v[184:185]
	v_div_scale_f64 v[203:204], vcc_lo, v[184:185], v[182:183], v[184:185]
	v_rcp_f64_e32 v[199:200], v[197:198]
	v_fma_f64 v[201:202], -v[197:198], v[199:200], 1.0
	v_fma_f64 v[199:200], v[199:200], v[201:202], v[199:200]
	v_fma_f64 v[201:202], -v[197:198], v[199:200], 1.0
	v_fma_f64 v[199:200], v[199:200], v[201:202], v[199:200]
	v_mul_f64 v[201:202], v[203:204], v[199:200]
	v_fma_f64 v[197:198], -v[197:198], v[201:202], v[203:204]
	v_div_fmas_f64 v[197:198], v[197:198], v[199:200], v[201:202]
	v_div_fixup_f64 v[197:198], v[197:198], v[182:183], v[184:185]
	v_fma_f64 v[182:183], v[184:185], v[197:198], v[182:183]
	v_div_scale_f64 v[184:185], null, v[182:183], v[182:183], 1.0
	v_rcp_f64_e32 v[199:200], v[184:185]
	v_fma_f64 v[201:202], -v[184:185], v[199:200], 1.0
	v_fma_f64 v[199:200], v[199:200], v[201:202], v[199:200]
	v_fma_f64 v[201:202], -v[184:185], v[199:200], 1.0
	v_fma_f64 v[199:200], v[199:200], v[201:202], v[199:200]
	v_div_scale_f64 v[201:202], vcc_lo, 1.0, v[182:183], 1.0
	v_mul_f64 v[203:204], v[201:202], v[199:200]
	v_fma_f64 v[184:185], -v[184:185], v[203:204], v[201:202]
	v_div_fmas_f64 v[184:185], v[184:185], v[199:200], v[203:204]
	v_div_fixup_f64 v[182:183], v[184:185], v[182:183], 1.0
	v_mul_f64 v[184:185], v[197:198], -v[182:183]
.LBB88_408:
	s_or_b32 exec_lo, exec_lo, s7
.LBB88_409:
	s_or_b32 exec_lo, exec_lo, s0
	s_mov_b32 s0, exec_lo
	v_cmpx_ne_u32_e64 v196, v190
	s_xor_b32 s0, exec_lo, s0
	s_cbranch_execz .LBB88_415
; %bb.410:
	s_mov_b32 s7, exec_lo
	v_cmpx_eq_u32_e32 19, v196
	s_cbranch_execz .LBB88_414
; %bb.411:
	v_cmp_ne_u32_e32 vcc_lo, 19, v190
	s_xor_b32 s8, s16, -1
	s_and_b32 s9, s8, vcc_lo
	s_and_saveexec_b32 s8, s9
	s_cbranch_execz .LBB88_413
; %bb.412:
	v_ashrrev_i32_e32 v191, 31, v190
	v_lshlrev_b64 v[196:197], 2, v[190:191]
	v_add_co_u32 v196, vcc_lo, v188, v196
	v_add_co_ci_u32_e64 v197, null, v189, v197, vcc_lo
	s_clause 0x1
	global_load_dword v0, v[196:197], off
	global_load_dword v191, v[188:189], off offset:76
	s_waitcnt vmcnt(1)
	global_store_dword v[188:189], v0, off offset:76
	s_waitcnt vmcnt(0)
	global_store_dword v[196:197], v191, off
.LBB88_413:
	s_or_b32 exec_lo, exec_lo, s8
	v_mov_b32_e32 v196, v190
	v_mov_b32_e32 v0, v190
.LBB88_414:
	s_or_b32 exec_lo, exec_lo, s7
.LBB88_415:
	s_andn2_saveexec_b32 s0, s0
	s_cbranch_execz .LBB88_417
; %bb.416:
	v_mov_b32_e32 v196, 19
	ds_write2_b64 v1, v[94:95], v[96:97] offset0:40 offset1:41
	ds_write2_b64 v1, v[90:91], v[92:93] offset0:42 offset1:43
	;; [unrolled: 1-line block ×25, first 2 shown]
.LBB88_417:
	s_or_b32 exec_lo, exec_lo, s0
	s_mov_b32 s0, exec_lo
	s_waitcnt lgkmcnt(0)
	s_waitcnt_vscnt null, 0x0
	s_barrier
	buffer_gl0_inv
	v_cmpx_lt_i32_e32 19, v196
	s_cbranch_execz .LBB88_419
; %bb.418:
	v_mul_f64 v[190:191], v[184:185], v[104:105]
	v_mul_f64 v[104:105], v[182:183], v[104:105]
	v_fma_f64 v[190:191], v[182:183], v[102:103], -v[190:191]
	v_fma_f64 v[104:105], v[184:185], v[102:103], v[104:105]
	ds_read2_b64 v[182:185], v1 offset0:40 offset1:41
	s_waitcnt lgkmcnt(0)
	v_mul_f64 v[102:103], v[184:185], v[104:105]
	v_fma_f64 v[102:103], v[182:183], v[190:191], -v[102:103]
	v_mul_f64 v[182:183], v[182:183], v[104:105]
	v_add_f64 v[94:95], v[94:95], -v[102:103]
	v_fma_f64 v[182:183], v[184:185], v[190:191], v[182:183]
	v_add_f64 v[96:97], v[96:97], -v[182:183]
	ds_read2_b64 v[182:185], v1 offset0:42 offset1:43
	s_waitcnt lgkmcnt(0)
	v_mul_f64 v[102:103], v[184:185], v[104:105]
	v_fma_f64 v[102:103], v[182:183], v[190:191], -v[102:103]
	v_mul_f64 v[182:183], v[182:183], v[104:105]
	v_add_f64 v[90:91], v[90:91], -v[102:103]
	v_fma_f64 v[182:183], v[184:185], v[190:191], v[182:183]
	v_add_f64 v[92:93], v[92:93], -v[182:183]
	;; [unrolled: 8-line block ×24, first 2 shown]
	ds_read2_b64 v[182:185], v1 offset0:88 offset1:89
	s_waitcnt lgkmcnt(0)
	v_mul_f64 v[102:103], v[184:185], v[104:105]
	v_fma_f64 v[102:103], v[182:183], v[190:191], -v[102:103]
	v_mul_f64 v[182:183], v[182:183], v[104:105]
	v_add_f64 v[2:3], v[2:3], -v[102:103]
	v_fma_f64 v[182:183], v[184:185], v[190:191], v[182:183]
	v_mov_b32_e32 v102, v190
	v_mov_b32_e32 v103, v191
	v_add_f64 v[4:5], v[4:5], -v[182:183]
.LBB88_419:
	s_or_b32 exec_lo, exec_lo, s0
	v_lshl_add_u32 v182, v196, 4, v1
	s_barrier
	buffer_gl0_inv
	v_mov_b32_e32 v190, 20
	ds_write2_b64 v182, v[94:95], v[96:97] offset1:1
	s_waitcnt lgkmcnt(0)
	s_barrier
	buffer_gl0_inv
	ds_read2_b64 v[182:185], v1 offset0:40 offset1:41
	s_cmp_lt_i32 s1, 22
	s_cbranch_scc1 .LBB88_422
; %bb.420:
	v_add3_u32 v191, v192, 0, 0x150
	v_mov_b32_e32 v190, 20
	s_mov_b32 s7, 21
	s_inst_prefetch 0x1
	.p2align	6
.LBB88_421:                             ; =>This Inner Loop Header: Depth=1
	s_waitcnt lgkmcnt(0)
	v_cmp_gt_f64_e32 vcc_lo, 0, v[184:185]
	v_cmp_gt_f64_e64 s0, 0, v[182:183]
	ds_read2_b64 v[197:200], v191 offset1:1
	v_xor_b32_e32 v202, 0x80000000, v183
	v_xor_b32_e32 v204, 0x80000000, v185
	v_mov_b32_e32 v201, v182
	v_mov_b32_e32 v203, v184
	v_add_nc_u32_e32 v191, 16, v191
	s_waitcnt lgkmcnt(0)
	v_xor_b32_e32 v206, 0x80000000, v200
	v_cndmask_b32_e64 v202, v183, v202, s0
	v_cndmask_b32_e32 v204, v185, v204, vcc_lo
	v_cmp_gt_f64_e32 vcc_lo, 0, v[199:200]
	v_cmp_gt_f64_e64 s0, 0, v[197:198]
	v_mov_b32_e32 v205, v199
	v_add_f64 v[201:202], v[201:202], v[203:204]
	v_xor_b32_e32 v204, 0x80000000, v198
	v_mov_b32_e32 v203, v197
	v_cndmask_b32_e32 v206, v200, v206, vcc_lo
	v_cndmask_b32_e64 v204, v198, v204, s0
	v_add_f64 v[203:204], v[203:204], v[205:206]
	v_cmp_lt_f64_e32 vcc_lo, v[201:202], v[203:204]
	v_cndmask_b32_e32 v183, v183, v198, vcc_lo
	v_cndmask_b32_e32 v182, v182, v197, vcc_lo
	;; [unrolled: 1-line block ×4, first 2 shown]
	v_cndmask_b32_e64 v190, v190, s7, vcc_lo
	s_add_i32 s7, s7, 1
	s_cmp_lg_u32 s1, s7
	s_cbranch_scc1 .LBB88_421
.LBB88_422:
	s_inst_prefetch 0x2
	s_waitcnt lgkmcnt(0)
	v_cmp_eq_f64_e32 vcc_lo, 0, v[182:183]
	v_cmp_eq_f64_e64 s0, 0, v[184:185]
	s_and_b32 s0, vcc_lo, s0
	s_and_saveexec_b32 s7, s0
	s_xor_b32 s0, exec_lo, s7
; %bb.423:
	v_cmp_ne_u32_e32 vcc_lo, 0, v195
	v_cndmask_b32_e32 v195, 21, v195, vcc_lo
; %bb.424:
	s_andn2_saveexec_b32 s0, s0
	s_cbranch_execz .LBB88_430
; %bb.425:
	v_cmp_ngt_f64_e64 s7, |v[182:183]|, |v[184:185]|
	s_and_saveexec_b32 s8, s7
	s_xor_b32 s7, exec_lo, s8
	s_cbranch_execz .LBB88_427
; %bb.426:
	v_div_scale_f64 v[197:198], null, v[184:185], v[184:185], v[182:183]
	v_div_scale_f64 v[203:204], vcc_lo, v[182:183], v[184:185], v[182:183]
	v_rcp_f64_e32 v[199:200], v[197:198]
	v_fma_f64 v[201:202], -v[197:198], v[199:200], 1.0
	v_fma_f64 v[199:200], v[199:200], v[201:202], v[199:200]
	v_fma_f64 v[201:202], -v[197:198], v[199:200], 1.0
	v_fma_f64 v[199:200], v[199:200], v[201:202], v[199:200]
	v_mul_f64 v[201:202], v[203:204], v[199:200]
	v_fma_f64 v[197:198], -v[197:198], v[201:202], v[203:204]
	v_div_fmas_f64 v[197:198], v[197:198], v[199:200], v[201:202]
	v_div_fixup_f64 v[197:198], v[197:198], v[184:185], v[182:183]
	v_fma_f64 v[182:183], v[182:183], v[197:198], v[184:185]
	v_div_scale_f64 v[184:185], null, v[182:183], v[182:183], 1.0
	v_rcp_f64_e32 v[199:200], v[184:185]
	v_fma_f64 v[201:202], -v[184:185], v[199:200], 1.0
	v_fma_f64 v[199:200], v[199:200], v[201:202], v[199:200]
	v_fma_f64 v[201:202], -v[184:185], v[199:200], 1.0
	v_fma_f64 v[199:200], v[199:200], v[201:202], v[199:200]
	v_div_scale_f64 v[201:202], vcc_lo, 1.0, v[182:183], 1.0
	v_mul_f64 v[203:204], v[201:202], v[199:200]
	v_fma_f64 v[184:185], -v[184:185], v[203:204], v[201:202]
	v_div_fmas_f64 v[184:185], v[184:185], v[199:200], v[203:204]
	v_div_fixup_f64 v[184:185], v[184:185], v[182:183], 1.0
	v_mul_f64 v[182:183], v[197:198], v[184:185]
	v_xor_b32_e32 v185, 0x80000000, v185
.LBB88_427:
	s_andn2_saveexec_b32 s7, s7
	s_cbranch_execz .LBB88_429
; %bb.428:
	v_div_scale_f64 v[197:198], null, v[182:183], v[182:183], v[184:185]
	v_div_scale_f64 v[203:204], vcc_lo, v[184:185], v[182:183], v[184:185]
	v_rcp_f64_e32 v[199:200], v[197:198]
	v_fma_f64 v[201:202], -v[197:198], v[199:200], 1.0
	v_fma_f64 v[199:200], v[199:200], v[201:202], v[199:200]
	v_fma_f64 v[201:202], -v[197:198], v[199:200], 1.0
	v_fma_f64 v[199:200], v[199:200], v[201:202], v[199:200]
	v_mul_f64 v[201:202], v[203:204], v[199:200]
	v_fma_f64 v[197:198], -v[197:198], v[201:202], v[203:204]
	v_div_fmas_f64 v[197:198], v[197:198], v[199:200], v[201:202]
	v_div_fixup_f64 v[197:198], v[197:198], v[182:183], v[184:185]
	v_fma_f64 v[182:183], v[184:185], v[197:198], v[182:183]
	v_div_scale_f64 v[184:185], null, v[182:183], v[182:183], 1.0
	v_rcp_f64_e32 v[199:200], v[184:185]
	v_fma_f64 v[201:202], -v[184:185], v[199:200], 1.0
	v_fma_f64 v[199:200], v[199:200], v[201:202], v[199:200]
	v_fma_f64 v[201:202], -v[184:185], v[199:200], 1.0
	v_fma_f64 v[199:200], v[199:200], v[201:202], v[199:200]
	v_div_scale_f64 v[201:202], vcc_lo, 1.0, v[182:183], 1.0
	v_mul_f64 v[203:204], v[201:202], v[199:200]
	v_fma_f64 v[184:185], -v[184:185], v[203:204], v[201:202]
	v_div_fmas_f64 v[184:185], v[184:185], v[199:200], v[203:204]
	v_div_fixup_f64 v[182:183], v[184:185], v[182:183], 1.0
	v_mul_f64 v[184:185], v[197:198], -v[182:183]
.LBB88_429:
	s_or_b32 exec_lo, exec_lo, s7
.LBB88_430:
	s_or_b32 exec_lo, exec_lo, s0
	s_mov_b32 s0, exec_lo
	v_cmpx_ne_u32_e64 v196, v190
	s_xor_b32 s0, exec_lo, s0
	s_cbranch_execz .LBB88_436
; %bb.431:
	s_mov_b32 s7, exec_lo
	v_cmpx_eq_u32_e32 20, v196
	s_cbranch_execz .LBB88_435
; %bb.432:
	v_cmp_ne_u32_e32 vcc_lo, 20, v190
	s_xor_b32 s8, s16, -1
	s_and_b32 s9, s8, vcc_lo
	s_and_saveexec_b32 s8, s9
	s_cbranch_execz .LBB88_434
; %bb.433:
	v_ashrrev_i32_e32 v191, 31, v190
	v_lshlrev_b64 v[196:197], 2, v[190:191]
	v_add_co_u32 v196, vcc_lo, v188, v196
	v_add_co_ci_u32_e64 v197, null, v189, v197, vcc_lo
	s_clause 0x1
	global_load_dword v0, v[196:197], off
	global_load_dword v191, v[188:189], off offset:80
	s_waitcnt vmcnt(1)
	global_store_dword v[188:189], v0, off offset:80
	s_waitcnt vmcnt(0)
	global_store_dword v[196:197], v191, off
.LBB88_434:
	s_or_b32 exec_lo, exec_lo, s8
	v_mov_b32_e32 v196, v190
	v_mov_b32_e32 v0, v190
.LBB88_435:
	s_or_b32 exec_lo, exec_lo, s7
.LBB88_436:
	s_andn2_saveexec_b32 s0, s0
	s_cbranch_execz .LBB88_438
; %bb.437:
	v_mov_b32_e32 v196, 20
	ds_write2_b64 v1, v[90:91], v[92:93] offset0:42 offset1:43
	ds_write2_b64 v1, v[98:99], v[100:101] offset0:44 offset1:45
	;; [unrolled: 1-line block ×24, first 2 shown]
.LBB88_438:
	s_or_b32 exec_lo, exec_lo, s0
	s_mov_b32 s0, exec_lo
	s_waitcnt lgkmcnt(0)
	s_waitcnt_vscnt null, 0x0
	s_barrier
	buffer_gl0_inv
	v_cmpx_lt_i32_e32 20, v196
	s_cbranch_execz .LBB88_440
; %bb.439:
	v_mul_f64 v[190:191], v[184:185], v[96:97]
	v_mul_f64 v[96:97], v[182:183], v[96:97]
	v_fma_f64 v[190:191], v[182:183], v[94:95], -v[190:191]
	v_fma_f64 v[96:97], v[184:185], v[94:95], v[96:97]
	ds_read2_b64 v[182:185], v1 offset0:42 offset1:43
	s_waitcnt lgkmcnt(0)
	v_mul_f64 v[94:95], v[184:185], v[96:97]
	v_fma_f64 v[94:95], v[182:183], v[190:191], -v[94:95]
	v_mul_f64 v[182:183], v[182:183], v[96:97]
	v_add_f64 v[90:91], v[90:91], -v[94:95]
	v_fma_f64 v[182:183], v[184:185], v[190:191], v[182:183]
	v_add_f64 v[92:93], v[92:93], -v[182:183]
	ds_read2_b64 v[182:185], v1 offset0:44 offset1:45
	s_waitcnt lgkmcnt(0)
	v_mul_f64 v[94:95], v[184:185], v[96:97]
	v_fma_f64 v[94:95], v[182:183], v[190:191], -v[94:95]
	v_mul_f64 v[182:183], v[182:183], v[96:97]
	v_add_f64 v[98:99], v[98:99], -v[94:95]
	v_fma_f64 v[182:183], v[184:185], v[190:191], v[182:183]
	v_add_f64 v[100:101], v[100:101], -v[182:183]
	;; [unrolled: 8-line block ×23, first 2 shown]
	ds_read2_b64 v[182:185], v1 offset0:88 offset1:89
	s_waitcnt lgkmcnt(0)
	v_mul_f64 v[94:95], v[184:185], v[96:97]
	v_fma_f64 v[94:95], v[182:183], v[190:191], -v[94:95]
	v_mul_f64 v[182:183], v[182:183], v[96:97]
	v_add_f64 v[2:3], v[2:3], -v[94:95]
	v_fma_f64 v[182:183], v[184:185], v[190:191], v[182:183]
	v_mov_b32_e32 v94, v190
	v_mov_b32_e32 v95, v191
	v_add_f64 v[4:5], v[4:5], -v[182:183]
.LBB88_440:
	s_or_b32 exec_lo, exec_lo, s0
	v_lshl_add_u32 v182, v196, 4, v1
	s_barrier
	buffer_gl0_inv
	v_mov_b32_e32 v190, 21
	ds_write2_b64 v182, v[90:91], v[92:93] offset1:1
	s_waitcnt lgkmcnt(0)
	s_barrier
	buffer_gl0_inv
	ds_read2_b64 v[182:185], v1 offset0:42 offset1:43
	s_cmp_lt_i32 s1, 23
	s_cbranch_scc1 .LBB88_443
; %bb.441:
	v_add3_u32 v191, v192, 0, 0x160
	v_mov_b32_e32 v190, 21
	s_mov_b32 s7, 22
	s_inst_prefetch 0x1
	.p2align	6
.LBB88_442:                             ; =>This Inner Loop Header: Depth=1
	s_waitcnt lgkmcnt(0)
	v_cmp_gt_f64_e32 vcc_lo, 0, v[184:185]
	v_cmp_gt_f64_e64 s0, 0, v[182:183]
	ds_read2_b64 v[197:200], v191 offset1:1
	v_xor_b32_e32 v202, 0x80000000, v183
	v_xor_b32_e32 v204, 0x80000000, v185
	v_mov_b32_e32 v201, v182
	v_mov_b32_e32 v203, v184
	v_add_nc_u32_e32 v191, 16, v191
	s_waitcnt lgkmcnt(0)
	v_xor_b32_e32 v206, 0x80000000, v200
	v_cndmask_b32_e64 v202, v183, v202, s0
	v_cndmask_b32_e32 v204, v185, v204, vcc_lo
	v_cmp_gt_f64_e32 vcc_lo, 0, v[199:200]
	v_cmp_gt_f64_e64 s0, 0, v[197:198]
	v_mov_b32_e32 v205, v199
	v_add_f64 v[201:202], v[201:202], v[203:204]
	v_xor_b32_e32 v204, 0x80000000, v198
	v_mov_b32_e32 v203, v197
	v_cndmask_b32_e32 v206, v200, v206, vcc_lo
	v_cndmask_b32_e64 v204, v198, v204, s0
	v_add_f64 v[203:204], v[203:204], v[205:206]
	v_cmp_lt_f64_e32 vcc_lo, v[201:202], v[203:204]
	v_cndmask_b32_e32 v183, v183, v198, vcc_lo
	v_cndmask_b32_e32 v182, v182, v197, vcc_lo
	;; [unrolled: 1-line block ×4, first 2 shown]
	v_cndmask_b32_e64 v190, v190, s7, vcc_lo
	s_add_i32 s7, s7, 1
	s_cmp_lg_u32 s1, s7
	s_cbranch_scc1 .LBB88_442
.LBB88_443:
	s_inst_prefetch 0x2
	s_waitcnt lgkmcnt(0)
	v_cmp_eq_f64_e32 vcc_lo, 0, v[182:183]
	v_cmp_eq_f64_e64 s0, 0, v[184:185]
	s_and_b32 s0, vcc_lo, s0
	s_and_saveexec_b32 s7, s0
	s_xor_b32 s0, exec_lo, s7
; %bb.444:
	v_cmp_ne_u32_e32 vcc_lo, 0, v195
	v_cndmask_b32_e32 v195, 22, v195, vcc_lo
; %bb.445:
	s_andn2_saveexec_b32 s0, s0
	s_cbranch_execz .LBB88_451
; %bb.446:
	v_cmp_ngt_f64_e64 s7, |v[182:183]|, |v[184:185]|
	s_and_saveexec_b32 s8, s7
	s_xor_b32 s7, exec_lo, s8
	s_cbranch_execz .LBB88_448
; %bb.447:
	v_div_scale_f64 v[197:198], null, v[184:185], v[184:185], v[182:183]
	v_div_scale_f64 v[203:204], vcc_lo, v[182:183], v[184:185], v[182:183]
	v_rcp_f64_e32 v[199:200], v[197:198]
	v_fma_f64 v[201:202], -v[197:198], v[199:200], 1.0
	v_fma_f64 v[199:200], v[199:200], v[201:202], v[199:200]
	v_fma_f64 v[201:202], -v[197:198], v[199:200], 1.0
	v_fma_f64 v[199:200], v[199:200], v[201:202], v[199:200]
	v_mul_f64 v[201:202], v[203:204], v[199:200]
	v_fma_f64 v[197:198], -v[197:198], v[201:202], v[203:204]
	v_div_fmas_f64 v[197:198], v[197:198], v[199:200], v[201:202]
	v_div_fixup_f64 v[197:198], v[197:198], v[184:185], v[182:183]
	v_fma_f64 v[182:183], v[182:183], v[197:198], v[184:185]
	v_div_scale_f64 v[184:185], null, v[182:183], v[182:183], 1.0
	v_rcp_f64_e32 v[199:200], v[184:185]
	v_fma_f64 v[201:202], -v[184:185], v[199:200], 1.0
	v_fma_f64 v[199:200], v[199:200], v[201:202], v[199:200]
	v_fma_f64 v[201:202], -v[184:185], v[199:200], 1.0
	v_fma_f64 v[199:200], v[199:200], v[201:202], v[199:200]
	v_div_scale_f64 v[201:202], vcc_lo, 1.0, v[182:183], 1.0
	v_mul_f64 v[203:204], v[201:202], v[199:200]
	v_fma_f64 v[184:185], -v[184:185], v[203:204], v[201:202]
	v_div_fmas_f64 v[184:185], v[184:185], v[199:200], v[203:204]
	v_div_fixup_f64 v[184:185], v[184:185], v[182:183], 1.0
	v_mul_f64 v[182:183], v[197:198], v[184:185]
	v_xor_b32_e32 v185, 0x80000000, v185
.LBB88_448:
	s_andn2_saveexec_b32 s7, s7
	s_cbranch_execz .LBB88_450
; %bb.449:
	v_div_scale_f64 v[197:198], null, v[182:183], v[182:183], v[184:185]
	v_div_scale_f64 v[203:204], vcc_lo, v[184:185], v[182:183], v[184:185]
	v_rcp_f64_e32 v[199:200], v[197:198]
	v_fma_f64 v[201:202], -v[197:198], v[199:200], 1.0
	v_fma_f64 v[199:200], v[199:200], v[201:202], v[199:200]
	v_fma_f64 v[201:202], -v[197:198], v[199:200], 1.0
	v_fma_f64 v[199:200], v[199:200], v[201:202], v[199:200]
	v_mul_f64 v[201:202], v[203:204], v[199:200]
	v_fma_f64 v[197:198], -v[197:198], v[201:202], v[203:204]
	v_div_fmas_f64 v[197:198], v[197:198], v[199:200], v[201:202]
	v_div_fixup_f64 v[197:198], v[197:198], v[182:183], v[184:185]
	v_fma_f64 v[182:183], v[184:185], v[197:198], v[182:183]
	v_div_scale_f64 v[184:185], null, v[182:183], v[182:183], 1.0
	v_rcp_f64_e32 v[199:200], v[184:185]
	v_fma_f64 v[201:202], -v[184:185], v[199:200], 1.0
	v_fma_f64 v[199:200], v[199:200], v[201:202], v[199:200]
	v_fma_f64 v[201:202], -v[184:185], v[199:200], 1.0
	v_fma_f64 v[199:200], v[199:200], v[201:202], v[199:200]
	v_div_scale_f64 v[201:202], vcc_lo, 1.0, v[182:183], 1.0
	v_mul_f64 v[203:204], v[201:202], v[199:200]
	v_fma_f64 v[184:185], -v[184:185], v[203:204], v[201:202]
	v_div_fmas_f64 v[184:185], v[184:185], v[199:200], v[203:204]
	v_div_fixup_f64 v[182:183], v[184:185], v[182:183], 1.0
	v_mul_f64 v[184:185], v[197:198], -v[182:183]
.LBB88_450:
	s_or_b32 exec_lo, exec_lo, s7
.LBB88_451:
	s_or_b32 exec_lo, exec_lo, s0
	s_mov_b32 s0, exec_lo
	v_cmpx_ne_u32_e64 v196, v190
	s_xor_b32 s0, exec_lo, s0
	s_cbranch_execz .LBB88_457
; %bb.452:
	s_mov_b32 s7, exec_lo
	v_cmpx_eq_u32_e32 21, v196
	s_cbranch_execz .LBB88_456
; %bb.453:
	v_cmp_ne_u32_e32 vcc_lo, 21, v190
	s_xor_b32 s8, s16, -1
	s_and_b32 s9, s8, vcc_lo
	s_and_saveexec_b32 s8, s9
	s_cbranch_execz .LBB88_455
; %bb.454:
	v_ashrrev_i32_e32 v191, 31, v190
	v_lshlrev_b64 v[196:197], 2, v[190:191]
	v_add_co_u32 v196, vcc_lo, v188, v196
	v_add_co_ci_u32_e64 v197, null, v189, v197, vcc_lo
	s_clause 0x1
	global_load_dword v0, v[196:197], off
	global_load_dword v191, v[188:189], off offset:84
	s_waitcnt vmcnt(1)
	global_store_dword v[188:189], v0, off offset:84
	s_waitcnt vmcnt(0)
	global_store_dword v[196:197], v191, off
.LBB88_455:
	s_or_b32 exec_lo, exec_lo, s8
	v_mov_b32_e32 v196, v190
	v_mov_b32_e32 v0, v190
.LBB88_456:
	s_or_b32 exec_lo, exec_lo, s7
.LBB88_457:
	s_andn2_saveexec_b32 s0, s0
	s_cbranch_execz .LBB88_459
; %bb.458:
	v_mov_b32_e32 v196, 21
	ds_write2_b64 v1, v[98:99], v[100:101] offset0:44 offset1:45
	ds_write2_b64 v1, v[82:83], v[84:85] offset0:46 offset1:47
	;; [unrolled: 1-line block ×23, first 2 shown]
.LBB88_459:
	s_or_b32 exec_lo, exec_lo, s0
	s_mov_b32 s0, exec_lo
	s_waitcnt lgkmcnt(0)
	s_waitcnt_vscnt null, 0x0
	s_barrier
	buffer_gl0_inv
	v_cmpx_lt_i32_e32 21, v196
	s_cbranch_execz .LBB88_461
; %bb.460:
	v_mul_f64 v[190:191], v[184:185], v[92:93]
	v_mul_f64 v[92:93], v[182:183], v[92:93]
	v_fma_f64 v[190:191], v[182:183], v[90:91], -v[190:191]
	v_fma_f64 v[92:93], v[184:185], v[90:91], v[92:93]
	ds_read2_b64 v[182:185], v1 offset0:44 offset1:45
	s_waitcnt lgkmcnt(0)
	v_mul_f64 v[90:91], v[184:185], v[92:93]
	v_fma_f64 v[90:91], v[182:183], v[190:191], -v[90:91]
	v_mul_f64 v[182:183], v[182:183], v[92:93]
	v_add_f64 v[98:99], v[98:99], -v[90:91]
	v_fma_f64 v[182:183], v[184:185], v[190:191], v[182:183]
	v_add_f64 v[100:101], v[100:101], -v[182:183]
	ds_read2_b64 v[182:185], v1 offset0:46 offset1:47
	s_waitcnt lgkmcnt(0)
	v_mul_f64 v[90:91], v[184:185], v[92:93]
	v_fma_f64 v[90:91], v[182:183], v[190:191], -v[90:91]
	v_mul_f64 v[182:183], v[182:183], v[92:93]
	v_add_f64 v[82:83], v[82:83], -v[90:91]
	v_fma_f64 v[182:183], v[184:185], v[190:191], v[182:183]
	v_add_f64 v[84:85], v[84:85], -v[182:183]
	;; [unrolled: 8-line block ×22, first 2 shown]
	ds_read2_b64 v[182:185], v1 offset0:88 offset1:89
	s_waitcnt lgkmcnt(0)
	v_mul_f64 v[90:91], v[184:185], v[92:93]
	v_fma_f64 v[90:91], v[182:183], v[190:191], -v[90:91]
	v_mul_f64 v[182:183], v[182:183], v[92:93]
	v_add_f64 v[2:3], v[2:3], -v[90:91]
	v_fma_f64 v[182:183], v[184:185], v[190:191], v[182:183]
	v_mov_b32_e32 v90, v190
	v_mov_b32_e32 v91, v191
	v_add_f64 v[4:5], v[4:5], -v[182:183]
.LBB88_461:
	s_or_b32 exec_lo, exec_lo, s0
	v_lshl_add_u32 v182, v196, 4, v1
	s_barrier
	buffer_gl0_inv
	v_mov_b32_e32 v190, 22
	ds_write2_b64 v182, v[98:99], v[100:101] offset1:1
	s_waitcnt lgkmcnt(0)
	s_barrier
	buffer_gl0_inv
	ds_read2_b64 v[182:185], v1 offset0:44 offset1:45
	s_cmp_lt_i32 s1, 24
	s_cbranch_scc1 .LBB88_464
; %bb.462:
	v_add3_u32 v191, v192, 0, 0x170
	v_mov_b32_e32 v190, 22
	s_mov_b32 s7, 23
	s_inst_prefetch 0x1
	.p2align	6
.LBB88_463:                             ; =>This Inner Loop Header: Depth=1
	s_waitcnt lgkmcnt(0)
	v_cmp_gt_f64_e32 vcc_lo, 0, v[184:185]
	v_cmp_gt_f64_e64 s0, 0, v[182:183]
	ds_read2_b64 v[197:200], v191 offset1:1
	v_xor_b32_e32 v202, 0x80000000, v183
	v_xor_b32_e32 v204, 0x80000000, v185
	v_mov_b32_e32 v201, v182
	v_mov_b32_e32 v203, v184
	v_add_nc_u32_e32 v191, 16, v191
	s_waitcnt lgkmcnt(0)
	v_xor_b32_e32 v206, 0x80000000, v200
	v_cndmask_b32_e64 v202, v183, v202, s0
	v_cndmask_b32_e32 v204, v185, v204, vcc_lo
	v_cmp_gt_f64_e32 vcc_lo, 0, v[199:200]
	v_cmp_gt_f64_e64 s0, 0, v[197:198]
	v_mov_b32_e32 v205, v199
	v_add_f64 v[201:202], v[201:202], v[203:204]
	v_xor_b32_e32 v204, 0x80000000, v198
	v_mov_b32_e32 v203, v197
	v_cndmask_b32_e32 v206, v200, v206, vcc_lo
	v_cndmask_b32_e64 v204, v198, v204, s0
	v_add_f64 v[203:204], v[203:204], v[205:206]
	v_cmp_lt_f64_e32 vcc_lo, v[201:202], v[203:204]
	v_cndmask_b32_e32 v183, v183, v198, vcc_lo
	v_cndmask_b32_e32 v182, v182, v197, vcc_lo
	v_cndmask_b32_e32 v185, v185, v200, vcc_lo
	v_cndmask_b32_e32 v184, v184, v199, vcc_lo
	v_cndmask_b32_e64 v190, v190, s7, vcc_lo
	s_add_i32 s7, s7, 1
	s_cmp_lg_u32 s1, s7
	s_cbranch_scc1 .LBB88_463
.LBB88_464:
	s_inst_prefetch 0x2
	s_waitcnt lgkmcnt(0)
	v_cmp_eq_f64_e32 vcc_lo, 0, v[182:183]
	v_cmp_eq_f64_e64 s0, 0, v[184:185]
	s_and_b32 s0, vcc_lo, s0
	s_and_saveexec_b32 s7, s0
	s_xor_b32 s0, exec_lo, s7
; %bb.465:
	v_cmp_ne_u32_e32 vcc_lo, 0, v195
	v_cndmask_b32_e32 v195, 23, v195, vcc_lo
; %bb.466:
	s_andn2_saveexec_b32 s0, s0
	s_cbranch_execz .LBB88_472
; %bb.467:
	v_cmp_ngt_f64_e64 s7, |v[182:183]|, |v[184:185]|
	s_and_saveexec_b32 s8, s7
	s_xor_b32 s7, exec_lo, s8
	s_cbranch_execz .LBB88_469
; %bb.468:
	v_div_scale_f64 v[197:198], null, v[184:185], v[184:185], v[182:183]
	v_div_scale_f64 v[203:204], vcc_lo, v[182:183], v[184:185], v[182:183]
	v_rcp_f64_e32 v[199:200], v[197:198]
	v_fma_f64 v[201:202], -v[197:198], v[199:200], 1.0
	v_fma_f64 v[199:200], v[199:200], v[201:202], v[199:200]
	v_fma_f64 v[201:202], -v[197:198], v[199:200], 1.0
	v_fma_f64 v[199:200], v[199:200], v[201:202], v[199:200]
	v_mul_f64 v[201:202], v[203:204], v[199:200]
	v_fma_f64 v[197:198], -v[197:198], v[201:202], v[203:204]
	v_div_fmas_f64 v[197:198], v[197:198], v[199:200], v[201:202]
	v_div_fixup_f64 v[197:198], v[197:198], v[184:185], v[182:183]
	v_fma_f64 v[182:183], v[182:183], v[197:198], v[184:185]
	v_div_scale_f64 v[184:185], null, v[182:183], v[182:183], 1.0
	v_rcp_f64_e32 v[199:200], v[184:185]
	v_fma_f64 v[201:202], -v[184:185], v[199:200], 1.0
	v_fma_f64 v[199:200], v[199:200], v[201:202], v[199:200]
	v_fma_f64 v[201:202], -v[184:185], v[199:200], 1.0
	v_fma_f64 v[199:200], v[199:200], v[201:202], v[199:200]
	v_div_scale_f64 v[201:202], vcc_lo, 1.0, v[182:183], 1.0
	v_mul_f64 v[203:204], v[201:202], v[199:200]
	v_fma_f64 v[184:185], -v[184:185], v[203:204], v[201:202]
	v_div_fmas_f64 v[184:185], v[184:185], v[199:200], v[203:204]
	v_div_fixup_f64 v[184:185], v[184:185], v[182:183], 1.0
	v_mul_f64 v[182:183], v[197:198], v[184:185]
	v_xor_b32_e32 v185, 0x80000000, v185
.LBB88_469:
	s_andn2_saveexec_b32 s7, s7
	s_cbranch_execz .LBB88_471
; %bb.470:
	v_div_scale_f64 v[197:198], null, v[182:183], v[182:183], v[184:185]
	v_div_scale_f64 v[203:204], vcc_lo, v[184:185], v[182:183], v[184:185]
	v_rcp_f64_e32 v[199:200], v[197:198]
	v_fma_f64 v[201:202], -v[197:198], v[199:200], 1.0
	v_fma_f64 v[199:200], v[199:200], v[201:202], v[199:200]
	v_fma_f64 v[201:202], -v[197:198], v[199:200], 1.0
	v_fma_f64 v[199:200], v[199:200], v[201:202], v[199:200]
	v_mul_f64 v[201:202], v[203:204], v[199:200]
	v_fma_f64 v[197:198], -v[197:198], v[201:202], v[203:204]
	v_div_fmas_f64 v[197:198], v[197:198], v[199:200], v[201:202]
	v_div_fixup_f64 v[197:198], v[197:198], v[182:183], v[184:185]
	v_fma_f64 v[182:183], v[184:185], v[197:198], v[182:183]
	v_div_scale_f64 v[184:185], null, v[182:183], v[182:183], 1.0
	v_rcp_f64_e32 v[199:200], v[184:185]
	v_fma_f64 v[201:202], -v[184:185], v[199:200], 1.0
	v_fma_f64 v[199:200], v[199:200], v[201:202], v[199:200]
	v_fma_f64 v[201:202], -v[184:185], v[199:200], 1.0
	v_fma_f64 v[199:200], v[199:200], v[201:202], v[199:200]
	v_div_scale_f64 v[201:202], vcc_lo, 1.0, v[182:183], 1.0
	v_mul_f64 v[203:204], v[201:202], v[199:200]
	v_fma_f64 v[184:185], -v[184:185], v[203:204], v[201:202]
	v_div_fmas_f64 v[184:185], v[184:185], v[199:200], v[203:204]
	v_div_fixup_f64 v[182:183], v[184:185], v[182:183], 1.0
	v_mul_f64 v[184:185], v[197:198], -v[182:183]
.LBB88_471:
	s_or_b32 exec_lo, exec_lo, s7
.LBB88_472:
	s_or_b32 exec_lo, exec_lo, s0
	s_mov_b32 s0, exec_lo
	v_cmpx_ne_u32_e64 v196, v190
	s_xor_b32 s0, exec_lo, s0
	s_cbranch_execz .LBB88_478
; %bb.473:
	s_mov_b32 s7, exec_lo
	v_cmpx_eq_u32_e32 22, v196
	s_cbranch_execz .LBB88_477
; %bb.474:
	v_cmp_ne_u32_e32 vcc_lo, 22, v190
	s_xor_b32 s8, s16, -1
	s_and_b32 s9, s8, vcc_lo
	s_and_saveexec_b32 s8, s9
	s_cbranch_execz .LBB88_476
; %bb.475:
	v_ashrrev_i32_e32 v191, 31, v190
	v_lshlrev_b64 v[196:197], 2, v[190:191]
	v_add_co_u32 v196, vcc_lo, v188, v196
	v_add_co_ci_u32_e64 v197, null, v189, v197, vcc_lo
	s_clause 0x1
	global_load_dword v0, v[196:197], off
	global_load_dword v191, v[188:189], off offset:88
	s_waitcnt vmcnt(1)
	global_store_dword v[188:189], v0, off offset:88
	s_waitcnt vmcnt(0)
	global_store_dword v[196:197], v191, off
.LBB88_476:
	s_or_b32 exec_lo, exec_lo, s8
	v_mov_b32_e32 v196, v190
	v_mov_b32_e32 v0, v190
.LBB88_477:
	s_or_b32 exec_lo, exec_lo, s7
.LBB88_478:
	s_andn2_saveexec_b32 s0, s0
	s_cbranch_execz .LBB88_480
; %bb.479:
	v_mov_b32_e32 v196, 22
	ds_write2_b64 v1, v[82:83], v[84:85] offset0:46 offset1:47
	ds_write2_b64 v1, v[86:87], v[88:89] offset0:48 offset1:49
	;; [unrolled: 1-line block ×22, first 2 shown]
.LBB88_480:
	s_or_b32 exec_lo, exec_lo, s0
	s_mov_b32 s0, exec_lo
	s_waitcnt lgkmcnt(0)
	s_waitcnt_vscnt null, 0x0
	s_barrier
	buffer_gl0_inv
	v_cmpx_lt_i32_e32 22, v196
	s_cbranch_execz .LBB88_482
; %bb.481:
	v_mul_f64 v[190:191], v[184:185], v[100:101]
	v_mul_f64 v[100:101], v[182:183], v[100:101]
	v_fma_f64 v[190:191], v[182:183], v[98:99], -v[190:191]
	v_fma_f64 v[100:101], v[184:185], v[98:99], v[100:101]
	ds_read2_b64 v[182:185], v1 offset0:46 offset1:47
	s_waitcnt lgkmcnt(0)
	v_mul_f64 v[98:99], v[184:185], v[100:101]
	v_fma_f64 v[98:99], v[182:183], v[190:191], -v[98:99]
	v_mul_f64 v[182:183], v[182:183], v[100:101]
	v_add_f64 v[82:83], v[82:83], -v[98:99]
	v_fma_f64 v[182:183], v[184:185], v[190:191], v[182:183]
	v_add_f64 v[84:85], v[84:85], -v[182:183]
	ds_read2_b64 v[182:185], v1 offset0:48 offset1:49
	s_waitcnt lgkmcnt(0)
	v_mul_f64 v[98:99], v[184:185], v[100:101]
	v_fma_f64 v[98:99], v[182:183], v[190:191], -v[98:99]
	v_mul_f64 v[182:183], v[182:183], v[100:101]
	v_add_f64 v[86:87], v[86:87], -v[98:99]
	v_fma_f64 v[182:183], v[184:185], v[190:191], v[182:183]
	v_add_f64 v[88:89], v[88:89], -v[182:183]
	;; [unrolled: 8-line block ×21, first 2 shown]
	ds_read2_b64 v[182:185], v1 offset0:88 offset1:89
	s_waitcnt lgkmcnt(0)
	v_mul_f64 v[98:99], v[184:185], v[100:101]
	v_fma_f64 v[98:99], v[182:183], v[190:191], -v[98:99]
	v_mul_f64 v[182:183], v[182:183], v[100:101]
	v_add_f64 v[2:3], v[2:3], -v[98:99]
	v_fma_f64 v[182:183], v[184:185], v[190:191], v[182:183]
	v_mov_b32_e32 v98, v190
	v_mov_b32_e32 v99, v191
	v_add_f64 v[4:5], v[4:5], -v[182:183]
.LBB88_482:
	s_or_b32 exec_lo, exec_lo, s0
	v_lshl_add_u32 v182, v196, 4, v1
	s_barrier
	buffer_gl0_inv
	v_mov_b32_e32 v190, 23
	ds_write2_b64 v182, v[82:83], v[84:85] offset1:1
	s_waitcnt lgkmcnt(0)
	s_barrier
	buffer_gl0_inv
	ds_read2_b64 v[182:185], v1 offset0:46 offset1:47
	s_cmp_lt_i32 s1, 25
	s_cbranch_scc1 .LBB88_485
; %bb.483:
	v_add3_u32 v191, v192, 0, 0x180
	v_mov_b32_e32 v190, 23
	s_mov_b32 s7, 24
	s_inst_prefetch 0x1
	.p2align	6
.LBB88_484:                             ; =>This Inner Loop Header: Depth=1
	s_waitcnt lgkmcnt(0)
	v_cmp_gt_f64_e32 vcc_lo, 0, v[184:185]
	v_cmp_gt_f64_e64 s0, 0, v[182:183]
	ds_read2_b64 v[197:200], v191 offset1:1
	v_xor_b32_e32 v202, 0x80000000, v183
	v_xor_b32_e32 v204, 0x80000000, v185
	v_mov_b32_e32 v201, v182
	v_mov_b32_e32 v203, v184
	v_add_nc_u32_e32 v191, 16, v191
	s_waitcnt lgkmcnt(0)
	v_xor_b32_e32 v206, 0x80000000, v200
	v_cndmask_b32_e64 v202, v183, v202, s0
	v_cndmask_b32_e32 v204, v185, v204, vcc_lo
	v_cmp_gt_f64_e32 vcc_lo, 0, v[199:200]
	v_cmp_gt_f64_e64 s0, 0, v[197:198]
	v_mov_b32_e32 v205, v199
	v_add_f64 v[201:202], v[201:202], v[203:204]
	v_xor_b32_e32 v204, 0x80000000, v198
	v_mov_b32_e32 v203, v197
	v_cndmask_b32_e32 v206, v200, v206, vcc_lo
	v_cndmask_b32_e64 v204, v198, v204, s0
	v_add_f64 v[203:204], v[203:204], v[205:206]
	v_cmp_lt_f64_e32 vcc_lo, v[201:202], v[203:204]
	v_cndmask_b32_e32 v183, v183, v198, vcc_lo
	v_cndmask_b32_e32 v182, v182, v197, vcc_lo
	;; [unrolled: 1-line block ×4, first 2 shown]
	v_cndmask_b32_e64 v190, v190, s7, vcc_lo
	s_add_i32 s7, s7, 1
	s_cmp_lg_u32 s1, s7
	s_cbranch_scc1 .LBB88_484
.LBB88_485:
	s_inst_prefetch 0x2
	s_waitcnt lgkmcnt(0)
	v_cmp_eq_f64_e32 vcc_lo, 0, v[182:183]
	v_cmp_eq_f64_e64 s0, 0, v[184:185]
	s_and_b32 s0, vcc_lo, s0
	s_and_saveexec_b32 s7, s0
	s_xor_b32 s0, exec_lo, s7
; %bb.486:
	v_cmp_ne_u32_e32 vcc_lo, 0, v195
	v_cndmask_b32_e32 v195, 24, v195, vcc_lo
; %bb.487:
	s_andn2_saveexec_b32 s0, s0
	s_cbranch_execz .LBB88_493
; %bb.488:
	v_cmp_ngt_f64_e64 s7, |v[182:183]|, |v[184:185]|
	s_and_saveexec_b32 s8, s7
	s_xor_b32 s7, exec_lo, s8
	s_cbranch_execz .LBB88_490
; %bb.489:
	v_div_scale_f64 v[197:198], null, v[184:185], v[184:185], v[182:183]
	v_div_scale_f64 v[203:204], vcc_lo, v[182:183], v[184:185], v[182:183]
	v_rcp_f64_e32 v[199:200], v[197:198]
	v_fma_f64 v[201:202], -v[197:198], v[199:200], 1.0
	v_fma_f64 v[199:200], v[199:200], v[201:202], v[199:200]
	v_fma_f64 v[201:202], -v[197:198], v[199:200], 1.0
	v_fma_f64 v[199:200], v[199:200], v[201:202], v[199:200]
	v_mul_f64 v[201:202], v[203:204], v[199:200]
	v_fma_f64 v[197:198], -v[197:198], v[201:202], v[203:204]
	v_div_fmas_f64 v[197:198], v[197:198], v[199:200], v[201:202]
	v_div_fixup_f64 v[197:198], v[197:198], v[184:185], v[182:183]
	v_fma_f64 v[182:183], v[182:183], v[197:198], v[184:185]
	v_div_scale_f64 v[184:185], null, v[182:183], v[182:183], 1.0
	v_rcp_f64_e32 v[199:200], v[184:185]
	v_fma_f64 v[201:202], -v[184:185], v[199:200], 1.0
	v_fma_f64 v[199:200], v[199:200], v[201:202], v[199:200]
	v_fma_f64 v[201:202], -v[184:185], v[199:200], 1.0
	v_fma_f64 v[199:200], v[199:200], v[201:202], v[199:200]
	v_div_scale_f64 v[201:202], vcc_lo, 1.0, v[182:183], 1.0
	v_mul_f64 v[203:204], v[201:202], v[199:200]
	v_fma_f64 v[184:185], -v[184:185], v[203:204], v[201:202]
	v_div_fmas_f64 v[184:185], v[184:185], v[199:200], v[203:204]
	v_div_fixup_f64 v[184:185], v[184:185], v[182:183], 1.0
	v_mul_f64 v[182:183], v[197:198], v[184:185]
	v_xor_b32_e32 v185, 0x80000000, v185
.LBB88_490:
	s_andn2_saveexec_b32 s7, s7
	s_cbranch_execz .LBB88_492
; %bb.491:
	v_div_scale_f64 v[197:198], null, v[182:183], v[182:183], v[184:185]
	v_div_scale_f64 v[203:204], vcc_lo, v[184:185], v[182:183], v[184:185]
	v_rcp_f64_e32 v[199:200], v[197:198]
	v_fma_f64 v[201:202], -v[197:198], v[199:200], 1.0
	v_fma_f64 v[199:200], v[199:200], v[201:202], v[199:200]
	v_fma_f64 v[201:202], -v[197:198], v[199:200], 1.0
	v_fma_f64 v[199:200], v[199:200], v[201:202], v[199:200]
	v_mul_f64 v[201:202], v[203:204], v[199:200]
	v_fma_f64 v[197:198], -v[197:198], v[201:202], v[203:204]
	v_div_fmas_f64 v[197:198], v[197:198], v[199:200], v[201:202]
	v_div_fixup_f64 v[197:198], v[197:198], v[182:183], v[184:185]
	v_fma_f64 v[182:183], v[184:185], v[197:198], v[182:183]
	v_div_scale_f64 v[184:185], null, v[182:183], v[182:183], 1.0
	v_rcp_f64_e32 v[199:200], v[184:185]
	v_fma_f64 v[201:202], -v[184:185], v[199:200], 1.0
	v_fma_f64 v[199:200], v[199:200], v[201:202], v[199:200]
	v_fma_f64 v[201:202], -v[184:185], v[199:200], 1.0
	v_fma_f64 v[199:200], v[199:200], v[201:202], v[199:200]
	v_div_scale_f64 v[201:202], vcc_lo, 1.0, v[182:183], 1.0
	v_mul_f64 v[203:204], v[201:202], v[199:200]
	v_fma_f64 v[184:185], -v[184:185], v[203:204], v[201:202]
	v_div_fmas_f64 v[184:185], v[184:185], v[199:200], v[203:204]
	v_div_fixup_f64 v[182:183], v[184:185], v[182:183], 1.0
	v_mul_f64 v[184:185], v[197:198], -v[182:183]
.LBB88_492:
	s_or_b32 exec_lo, exec_lo, s7
.LBB88_493:
	s_or_b32 exec_lo, exec_lo, s0
	s_mov_b32 s0, exec_lo
	v_cmpx_ne_u32_e64 v196, v190
	s_xor_b32 s0, exec_lo, s0
	s_cbranch_execz .LBB88_499
; %bb.494:
	s_mov_b32 s7, exec_lo
	v_cmpx_eq_u32_e32 23, v196
	s_cbranch_execz .LBB88_498
; %bb.495:
	v_cmp_ne_u32_e32 vcc_lo, 23, v190
	s_xor_b32 s8, s16, -1
	s_and_b32 s9, s8, vcc_lo
	s_and_saveexec_b32 s8, s9
	s_cbranch_execz .LBB88_497
; %bb.496:
	v_ashrrev_i32_e32 v191, 31, v190
	v_lshlrev_b64 v[196:197], 2, v[190:191]
	v_add_co_u32 v196, vcc_lo, v188, v196
	v_add_co_ci_u32_e64 v197, null, v189, v197, vcc_lo
	s_clause 0x1
	global_load_dword v0, v[196:197], off
	global_load_dword v191, v[188:189], off offset:92
	s_waitcnt vmcnt(1)
	global_store_dword v[188:189], v0, off offset:92
	s_waitcnt vmcnt(0)
	global_store_dword v[196:197], v191, off
.LBB88_497:
	s_or_b32 exec_lo, exec_lo, s8
	v_mov_b32_e32 v196, v190
	v_mov_b32_e32 v0, v190
.LBB88_498:
	s_or_b32 exec_lo, exec_lo, s7
.LBB88_499:
	s_andn2_saveexec_b32 s0, s0
	s_cbranch_execz .LBB88_501
; %bb.500:
	v_mov_b32_e32 v196, 23
	ds_write2_b64 v1, v[86:87], v[88:89] offset0:48 offset1:49
	ds_write2_b64 v1, v[70:71], v[72:73] offset0:50 offset1:51
	;; [unrolled: 1-line block ×21, first 2 shown]
.LBB88_501:
	s_or_b32 exec_lo, exec_lo, s0
	s_mov_b32 s0, exec_lo
	s_waitcnt lgkmcnt(0)
	s_waitcnt_vscnt null, 0x0
	s_barrier
	buffer_gl0_inv
	v_cmpx_lt_i32_e32 23, v196
	s_cbranch_execz .LBB88_503
; %bb.502:
	v_mul_f64 v[190:191], v[184:185], v[84:85]
	v_mul_f64 v[84:85], v[182:183], v[84:85]
	v_fma_f64 v[190:191], v[182:183], v[82:83], -v[190:191]
	v_fma_f64 v[84:85], v[184:185], v[82:83], v[84:85]
	ds_read2_b64 v[182:185], v1 offset0:48 offset1:49
	s_waitcnt lgkmcnt(0)
	v_mul_f64 v[82:83], v[184:185], v[84:85]
	v_fma_f64 v[82:83], v[182:183], v[190:191], -v[82:83]
	v_mul_f64 v[182:183], v[182:183], v[84:85]
	v_add_f64 v[86:87], v[86:87], -v[82:83]
	v_fma_f64 v[182:183], v[184:185], v[190:191], v[182:183]
	v_add_f64 v[88:89], v[88:89], -v[182:183]
	ds_read2_b64 v[182:185], v1 offset0:50 offset1:51
	s_waitcnt lgkmcnt(0)
	v_mul_f64 v[82:83], v[184:185], v[84:85]
	v_fma_f64 v[82:83], v[182:183], v[190:191], -v[82:83]
	v_mul_f64 v[182:183], v[182:183], v[84:85]
	v_add_f64 v[70:71], v[70:71], -v[82:83]
	v_fma_f64 v[182:183], v[184:185], v[190:191], v[182:183]
	v_add_f64 v[72:73], v[72:73], -v[182:183]
	ds_read2_b64 v[182:185], v1 offset0:52 offset1:53
	s_waitcnt lgkmcnt(0)
	v_mul_f64 v[82:83], v[184:185], v[84:85]
	v_fma_f64 v[82:83], v[182:183], v[190:191], -v[82:83]
	v_mul_f64 v[182:183], v[182:183], v[84:85]
	v_add_f64 v[78:79], v[78:79], -v[82:83]
	v_fma_f64 v[182:183], v[184:185], v[190:191], v[182:183]
	v_add_f64 v[80:81], v[80:81], -v[182:183]
	ds_read2_b64 v[182:185], v1 offset0:54 offset1:55
	s_waitcnt lgkmcnt(0)
	v_mul_f64 v[82:83], v[184:185], v[84:85]
	v_fma_f64 v[82:83], v[182:183], v[190:191], -v[82:83]
	v_mul_f64 v[182:183], v[182:183], v[84:85]
	v_add_f64 v[74:75], v[74:75], -v[82:83]
	v_fma_f64 v[182:183], v[184:185], v[190:191], v[182:183]
	v_add_f64 v[76:77], v[76:77], -v[182:183]
	ds_read2_b64 v[182:185], v1 offset0:56 offset1:57
	s_waitcnt lgkmcnt(0)
	v_mul_f64 v[82:83], v[184:185], v[84:85]
	v_fma_f64 v[82:83], v[182:183], v[190:191], -v[82:83]
	v_mul_f64 v[182:183], v[182:183], v[84:85]
	v_add_f64 v[66:67], v[66:67], -v[82:83]
	v_fma_f64 v[182:183], v[184:185], v[190:191], v[182:183]
	v_add_f64 v[68:69], v[68:69], -v[182:183]
	ds_read2_b64 v[182:185], v1 offset0:58 offset1:59
	s_waitcnt lgkmcnt(0)
	v_mul_f64 v[82:83], v[184:185], v[84:85]
	v_fma_f64 v[82:83], v[182:183], v[190:191], -v[82:83]
	v_mul_f64 v[182:183], v[182:183], v[84:85]
	v_add_f64 v[62:63], v[62:63], -v[82:83]
	v_fma_f64 v[182:183], v[184:185], v[190:191], v[182:183]
	v_add_f64 v[64:65], v[64:65], -v[182:183]
	ds_read2_b64 v[182:185], v1 offset0:60 offset1:61
	s_waitcnt lgkmcnt(0)
	v_mul_f64 v[82:83], v[184:185], v[84:85]
	v_fma_f64 v[82:83], v[182:183], v[190:191], -v[82:83]
	v_mul_f64 v[182:183], v[182:183], v[84:85]
	v_add_f64 v[54:55], v[54:55], -v[82:83]
	v_fma_f64 v[182:183], v[184:185], v[190:191], v[182:183]
	v_add_f64 v[56:57], v[56:57], -v[182:183]
	ds_read2_b64 v[182:185], v1 offset0:62 offset1:63
	s_waitcnt lgkmcnt(0)
	v_mul_f64 v[82:83], v[184:185], v[84:85]
	v_fma_f64 v[82:83], v[182:183], v[190:191], -v[82:83]
	v_mul_f64 v[182:183], v[182:183], v[84:85]
	v_add_f64 v[50:51], v[50:51], -v[82:83]
	v_fma_f64 v[182:183], v[184:185], v[190:191], v[182:183]
	v_add_f64 v[52:53], v[52:53], -v[182:183]
	ds_read2_b64 v[182:185], v1 offset0:64 offset1:65
	s_waitcnt lgkmcnt(0)
	v_mul_f64 v[82:83], v[184:185], v[84:85]
	v_fma_f64 v[82:83], v[182:183], v[190:191], -v[82:83]
	v_mul_f64 v[182:183], v[182:183], v[84:85]
	v_add_f64 v[58:59], v[58:59], -v[82:83]
	v_fma_f64 v[182:183], v[184:185], v[190:191], v[182:183]
	v_add_f64 v[60:61], v[60:61], -v[182:183]
	ds_read2_b64 v[182:185], v1 offset0:66 offset1:67
	s_waitcnt lgkmcnt(0)
	v_mul_f64 v[82:83], v[184:185], v[84:85]
	v_fma_f64 v[82:83], v[182:183], v[190:191], -v[82:83]
	v_mul_f64 v[182:183], v[182:183], v[84:85]
	v_add_f64 v[42:43], v[42:43], -v[82:83]
	v_fma_f64 v[182:183], v[184:185], v[190:191], v[182:183]
	v_add_f64 v[44:45], v[44:45], -v[182:183]
	ds_read2_b64 v[182:185], v1 offset0:68 offset1:69
	s_waitcnt lgkmcnt(0)
	v_mul_f64 v[82:83], v[184:185], v[84:85]
	v_fma_f64 v[82:83], v[182:183], v[190:191], -v[82:83]
	v_mul_f64 v[182:183], v[182:183], v[84:85]
	v_add_f64 v[46:47], v[46:47], -v[82:83]
	v_fma_f64 v[182:183], v[184:185], v[190:191], v[182:183]
	v_add_f64 v[48:49], v[48:49], -v[182:183]
	ds_read2_b64 v[182:185], v1 offset0:70 offset1:71
	s_waitcnt lgkmcnt(0)
	v_mul_f64 v[82:83], v[184:185], v[84:85]
	v_fma_f64 v[82:83], v[182:183], v[190:191], -v[82:83]
	v_mul_f64 v[182:183], v[182:183], v[84:85]
	v_add_f64 v[30:31], v[30:31], -v[82:83]
	v_fma_f64 v[182:183], v[184:185], v[190:191], v[182:183]
	v_add_f64 v[32:33], v[32:33], -v[182:183]
	ds_read2_b64 v[182:185], v1 offset0:72 offset1:73
	s_waitcnt lgkmcnt(0)
	v_mul_f64 v[82:83], v[184:185], v[84:85]
	v_fma_f64 v[82:83], v[182:183], v[190:191], -v[82:83]
	v_mul_f64 v[182:183], v[182:183], v[84:85]
	v_add_f64 v[38:39], v[38:39], -v[82:83]
	v_fma_f64 v[182:183], v[184:185], v[190:191], v[182:183]
	v_add_f64 v[40:41], v[40:41], -v[182:183]
	ds_read2_b64 v[182:185], v1 offset0:74 offset1:75
	s_waitcnt lgkmcnt(0)
	v_mul_f64 v[82:83], v[184:185], v[84:85]
	v_fma_f64 v[82:83], v[182:183], v[190:191], -v[82:83]
	v_mul_f64 v[182:183], v[182:183], v[84:85]
	v_add_f64 v[34:35], v[34:35], -v[82:83]
	v_fma_f64 v[182:183], v[184:185], v[190:191], v[182:183]
	v_add_f64 v[36:37], v[36:37], -v[182:183]
	ds_read2_b64 v[182:185], v1 offset0:76 offset1:77
	s_waitcnt lgkmcnt(0)
	v_mul_f64 v[82:83], v[184:185], v[84:85]
	v_fma_f64 v[82:83], v[182:183], v[190:191], -v[82:83]
	v_mul_f64 v[182:183], v[182:183], v[84:85]
	v_add_f64 v[26:27], v[26:27], -v[82:83]
	v_fma_f64 v[182:183], v[184:185], v[190:191], v[182:183]
	v_add_f64 v[28:29], v[28:29], -v[182:183]
	ds_read2_b64 v[182:185], v1 offset0:78 offset1:79
	s_waitcnt lgkmcnt(0)
	v_mul_f64 v[82:83], v[184:185], v[84:85]
	v_fma_f64 v[82:83], v[182:183], v[190:191], -v[82:83]
	v_mul_f64 v[182:183], v[182:183], v[84:85]
	v_add_f64 v[22:23], v[22:23], -v[82:83]
	v_fma_f64 v[182:183], v[184:185], v[190:191], v[182:183]
	v_add_f64 v[24:25], v[24:25], -v[182:183]
	ds_read2_b64 v[182:185], v1 offset0:80 offset1:81
	s_waitcnt lgkmcnt(0)
	v_mul_f64 v[82:83], v[184:185], v[84:85]
	v_fma_f64 v[82:83], v[182:183], v[190:191], -v[82:83]
	v_mul_f64 v[182:183], v[182:183], v[84:85]
	v_add_f64 v[18:19], v[18:19], -v[82:83]
	v_fma_f64 v[182:183], v[184:185], v[190:191], v[182:183]
	v_add_f64 v[20:21], v[20:21], -v[182:183]
	ds_read2_b64 v[182:185], v1 offset0:82 offset1:83
	s_waitcnt lgkmcnt(0)
	v_mul_f64 v[82:83], v[184:185], v[84:85]
	v_fma_f64 v[82:83], v[182:183], v[190:191], -v[82:83]
	v_mul_f64 v[182:183], v[182:183], v[84:85]
	v_add_f64 v[14:15], v[14:15], -v[82:83]
	v_fma_f64 v[182:183], v[184:185], v[190:191], v[182:183]
	v_add_f64 v[16:17], v[16:17], -v[182:183]
	ds_read2_b64 v[182:185], v1 offset0:84 offset1:85
	s_waitcnt lgkmcnt(0)
	v_mul_f64 v[82:83], v[184:185], v[84:85]
	v_fma_f64 v[82:83], v[182:183], v[190:191], -v[82:83]
	v_mul_f64 v[182:183], v[182:183], v[84:85]
	v_add_f64 v[10:11], v[10:11], -v[82:83]
	v_fma_f64 v[182:183], v[184:185], v[190:191], v[182:183]
	v_add_f64 v[12:13], v[12:13], -v[182:183]
	ds_read2_b64 v[182:185], v1 offset0:86 offset1:87
	s_waitcnt lgkmcnt(0)
	v_mul_f64 v[82:83], v[184:185], v[84:85]
	v_fma_f64 v[82:83], v[182:183], v[190:191], -v[82:83]
	v_mul_f64 v[182:183], v[182:183], v[84:85]
	v_add_f64 v[6:7], v[6:7], -v[82:83]
	v_fma_f64 v[182:183], v[184:185], v[190:191], v[182:183]
	v_add_f64 v[8:9], v[8:9], -v[182:183]
	ds_read2_b64 v[182:185], v1 offset0:88 offset1:89
	s_waitcnt lgkmcnt(0)
	v_mul_f64 v[82:83], v[184:185], v[84:85]
	v_fma_f64 v[82:83], v[182:183], v[190:191], -v[82:83]
	v_mul_f64 v[182:183], v[182:183], v[84:85]
	v_add_f64 v[2:3], v[2:3], -v[82:83]
	v_fma_f64 v[182:183], v[184:185], v[190:191], v[182:183]
	v_mov_b32_e32 v82, v190
	v_mov_b32_e32 v83, v191
	v_add_f64 v[4:5], v[4:5], -v[182:183]
.LBB88_503:
	s_or_b32 exec_lo, exec_lo, s0
	v_lshl_add_u32 v182, v196, 4, v1
	s_barrier
	buffer_gl0_inv
	v_mov_b32_e32 v190, 24
	ds_write2_b64 v182, v[86:87], v[88:89] offset1:1
	s_waitcnt lgkmcnt(0)
	s_barrier
	buffer_gl0_inv
	ds_read2_b64 v[182:185], v1 offset0:48 offset1:49
	s_cmp_lt_i32 s1, 26
	s_cbranch_scc1 .LBB88_506
; %bb.504:
	v_add3_u32 v191, v192, 0, 0x190
	v_mov_b32_e32 v190, 24
	s_mov_b32 s7, 25
	s_inst_prefetch 0x1
	.p2align	6
.LBB88_505:                             ; =>This Inner Loop Header: Depth=1
	s_waitcnt lgkmcnt(0)
	v_cmp_gt_f64_e32 vcc_lo, 0, v[184:185]
	v_cmp_gt_f64_e64 s0, 0, v[182:183]
	ds_read2_b64 v[197:200], v191 offset1:1
	v_xor_b32_e32 v202, 0x80000000, v183
	v_xor_b32_e32 v204, 0x80000000, v185
	v_mov_b32_e32 v201, v182
	v_mov_b32_e32 v203, v184
	v_add_nc_u32_e32 v191, 16, v191
	s_waitcnt lgkmcnt(0)
	v_xor_b32_e32 v206, 0x80000000, v200
	v_cndmask_b32_e64 v202, v183, v202, s0
	v_cndmask_b32_e32 v204, v185, v204, vcc_lo
	v_cmp_gt_f64_e32 vcc_lo, 0, v[199:200]
	v_cmp_gt_f64_e64 s0, 0, v[197:198]
	v_mov_b32_e32 v205, v199
	v_add_f64 v[201:202], v[201:202], v[203:204]
	v_xor_b32_e32 v204, 0x80000000, v198
	v_mov_b32_e32 v203, v197
	v_cndmask_b32_e32 v206, v200, v206, vcc_lo
	v_cndmask_b32_e64 v204, v198, v204, s0
	v_add_f64 v[203:204], v[203:204], v[205:206]
	v_cmp_lt_f64_e32 vcc_lo, v[201:202], v[203:204]
	v_cndmask_b32_e32 v183, v183, v198, vcc_lo
	v_cndmask_b32_e32 v182, v182, v197, vcc_lo
	;; [unrolled: 1-line block ×4, first 2 shown]
	v_cndmask_b32_e64 v190, v190, s7, vcc_lo
	s_add_i32 s7, s7, 1
	s_cmp_lg_u32 s1, s7
	s_cbranch_scc1 .LBB88_505
.LBB88_506:
	s_inst_prefetch 0x2
	s_waitcnt lgkmcnt(0)
	v_cmp_eq_f64_e32 vcc_lo, 0, v[182:183]
	v_cmp_eq_f64_e64 s0, 0, v[184:185]
	s_and_b32 s0, vcc_lo, s0
	s_and_saveexec_b32 s7, s0
	s_xor_b32 s0, exec_lo, s7
; %bb.507:
	v_cmp_ne_u32_e32 vcc_lo, 0, v195
	v_cndmask_b32_e32 v195, 25, v195, vcc_lo
; %bb.508:
	s_andn2_saveexec_b32 s0, s0
	s_cbranch_execz .LBB88_514
; %bb.509:
	v_cmp_ngt_f64_e64 s7, |v[182:183]|, |v[184:185]|
	s_and_saveexec_b32 s8, s7
	s_xor_b32 s7, exec_lo, s8
	s_cbranch_execz .LBB88_511
; %bb.510:
	v_div_scale_f64 v[197:198], null, v[184:185], v[184:185], v[182:183]
	v_div_scale_f64 v[203:204], vcc_lo, v[182:183], v[184:185], v[182:183]
	v_rcp_f64_e32 v[199:200], v[197:198]
	v_fma_f64 v[201:202], -v[197:198], v[199:200], 1.0
	v_fma_f64 v[199:200], v[199:200], v[201:202], v[199:200]
	v_fma_f64 v[201:202], -v[197:198], v[199:200], 1.0
	v_fma_f64 v[199:200], v[199:200], v[201:202], v[199:200]
	v_mul_f64 v[201:202], v[203:204], v[199:200]
	v_fma_f64 v[197:198], -v[197:198], v[201:202], v[203:204]
	v_div_fmas_f64 v[197:198], v[197:198], v[199:200], v[201:202]
	v_div_fixup_f64 v[197:198], v[197:198], v[184:185], v[182:183]
	v_fma_f64 v[182:183], v[182:183], v[197:198], v[184:185]
	v_div_scale_f64 v[184:185], null, v[182:183], v[182:183], 1.0
	v_rcp_f64_e32 v[199:200], v[184:185]
	v_fma_f64 v[201:202], -v[184:185], v[199:200], 1.0
	v_fma_f64 v[199:200], v[199:200], v[201:202], v[199:200]
	v_fma_f64 v[201:202], -v[184:185], v[199:200], 1.0
	v_fma_f64 v[199:200], v[199:200], v[201:202], v[199:200]
	v_div_scale_f64 v[201:202], vcc_lo, 1.0, v[182:183], 1.0
	v_mul_f64 v[203:204], v[201:202], v[199:200]
	v_fma_f64 v[184:185], -v[184:185], v[203:204], v[201:202]
	v_div_fmas_f64 v[184:185], v[184:185], v[199:200], v[203:204]
	v_div_fixup_f64 v[184:185], v[184:185], v[182:183], 1.0
	v_mul_f64 v[182:183], v[197:198], v[184:185]
	v_xor_b32_e32 v185, 0x80000000, v185
.LBB88_511:
	s_andn2_saveexec_b32 s7, s7
	s_cbranch_execz .LBB88_513
; %bb.512:
	v_div_scale_f64 v[197:198], null, v[182:183], v[182:183], v[184:185]
	v_div_scale_f64 v[203:204], vcc_lo, v[184:185], v[182:183], v[184:185]
	v_rcp_f64_e32 v[199:200], v[197:198]
	v_fma_f64 v[201:202], -v[197:198], v[199:200], 1.0
	v_fma_f64 v[199:200], v[199:200], v[201:202], v[199:200]
	v_fma_f64 v[201:202], -v[197:198], v[199:200], 1.0
	v_fma_f64 v[199:200], v[199:200], v[201:202], v[199:200]
	v_mul_f64 v[201:202], v[203:204], v[199:200]
	v_fma_f64 v[197:198], -v[197:198], v[201:202], v[203:204]
	v_div_fmas_f64 v[197:198], v[197:198], v[199:200], v[201:202]
	v_div_fixup_f64 v[197:198], v[197:198], v[182:183], v[184:185]
	v_fma_f64 v[182:183], v[184:185], v[197:198], v[182:183]
	v_div_scale_f64 v[184:185], null, v[182:183], v[182:183], 1.0
	v_rcp_f64_e32 v[199:200], v[184:185]
	v_fma_f64 v[201:202], -v[184:185], v[199:200], 1.0
	v_fma_f64 v[199:200], v[199:200], v[201:202], v[199:200]
	v_fma_f64 v[201:202], -v[184:185], v[199:200], 1.0
	v_fma_f64 v[199:200], v[199:200], v[201:202], v[199:200]
	v_div_scale_f64 v[201:202], vcc_lo, 1.0, v[182:183], 1.0
	v_mul_f64 v[203:204], v[201:202], v[199:200]
	v_fma_f64 v[184:185], -v[184:185], v[203:204], v[201:202]
	v_div_fmas_f64 v[184:185], v[184:185], v[199:200], v[203:204]
	v_div_fixup_f64 v[182:183], v[184:185], v[182:183], 1.0
	v_mul_f64 v[184:185], v[197:198], -v[182:183]
.LBB88_513:
	s_or_b32 exec_lo, exec_lo, s7
.LBB88_514:
	s_or_b32 exec_lo, exec_lo, s0
	s_mov_b32 s0, exec_lo
	v_cmpx_ne_u32_e64 v196, v190
	s_xor_b32 s0, exec_lo, s0
	s_cbranch_execz .LBB88_520
; %bb.515:
	s_mov_b32 s7, exec_lo
	v_cmpx_eq_u32_e32 24, v196
	s_cbranch_execz .LBB88_519
; %bb.516:
	v_cmp_ne_u32_e32 vcc_lo, 24, v190
	s_xor_b32 s8, s16, -1
	s_and_b32 s9, s8, vcc_lo
	s_and_saveexec_b32 s8, s9
	s_cbranch_execz .LBB88_518
; %bb.517:
	v_ashrrev_i32_e32 v191, 31, v190
	v_lshlrev_b64 v[196:197], 2, v[190:191]
	v_add_co_u32 v196, vcc_lo, v188, v196
	v_add_co_ci_u32_e64 v197, null, v189, v197, vcc_lo
	s_clause 0x1
	global_load_dword v0, v[196:197], off
	global_load_dword v191, v[188:189], off offset:96
	s_waitcnt vmcnt(1)
	global_store_dword v[188:189], v0, off offset:96
	s_waitcnt vmcnt(0)
	global_store_dword v[196:197], v191, off
.LBB88_518:
	s_or_b32 exec_lo, exec_lo, s8
	v_mov_b32_e32 v196, v190
	v_mov_b32_e32 v0, v190
.LBB88_519:
	s_or_b32 exec_lo, exec_lo, s7
.LBB88_520:
	s_andn2_saveexec_b32 s0, s0
	s_cbranch_execz .LBB88_522
; %bb.521:
	v_mov_b32_e32 v196, 24
	ds_write2_b64 v1, v[70:71], v[72:73] offset0:50 offset1:51
	ds_write2_b64 v1, v[78:79], v[80:81] offset0:52 offset1:53
	ds_write2_b64 v1, v[74:75], v[76:77] offset0:54 offset1:55
	ds_write2_b64 v1, v[66:67], v[68:69] offset0:56 offset1:57
	ds_write2_b64 v1, v[62:63], v[64:65] offset0:58 offset1:59
	ds_write2_b64 v1, v[54:55], v[56:57] offset0:60 offset1:61
	ds_write2_b64 v1, v[50:51], v[52:53] offset0:62 offset1:63
	ds_write2_b64 v1, v[58:59], v[60:61] offset0:64 offset1:65
	ds_write2_b64 v1, v[42:43], v[44:45] offset0:66 offset1:67
	ds_write2_b64 v1, v[46:47], v[48:49] offset0:68 offset1:69
	ds_write2_b64 v1, v[30:31], v[32:33] offset0:70 offset1:71
	ds_write2_b64 v1, v[38:39], v[40:41] offset0:72 offset1:73
	ds_write2_b64 v1, v[34:35], v[36:37] offset0:74 offset1:75
	ds_write2_b64 v1, v[26:27], v[28:29] offset0:76 offset1:77
	ds_write2_b64 v1, v[22:23], v[24:25] offset0:78 offset1:79
	ds_write2_b64 v1, v[18:19], v[20:21] offset0:80 offset1:81
	ds_write2_b64 v1, v[14:15], v[16:17] offset0:82 offset1:83
	ds_write2_b64 v1, v[10:11], v[12:13] offset0:84 offset1:85
	ds_write2_b64 v1, v[6:7], v[8:9] offset0:86 offset1:87
	ds_write2_b64 v1, v[2:3], v[4:5] offset0:88 offset1:89
.LBB88_522:
	s_or_b32 exec_lo, exec_lo, s0
	s_mov_b32 s0, exec_lo
	s_waitcnt lgkmcnt(0)
	s_waitcnt_vscnt null, 0x0
	s_barrier
	buffer_gl0_inv
	v_cmpx_lt_i32_e32 24, v196
	s_cbranch_execz .LBB88_524
; %bb.523:
	v_mul_f64 v[190:191], v[184:185], v[88:89]
	v_mul_f64 v[88:89], v[182:183], v[88:89]
	v_fma_f64 v[190:191], v[182:183], v[86:87], -v[190:191]
	v_fma_f64 v[88:89], v[184:185], v[86:87], v[88:89]
	ds_read2_b64 v[182:185], v1 offset0:50 offset1:51
	s_waitcnt lgkmcnt(0)
	v_mul_f64 v[86:87], v[184:185], v[88:89]
	v_fma_f64 v[86:87], v[182:183], v[190:191], -v[86:87]
	v_mul_f64 v[182:183], v[182:183], v[88:89]
	v_add_f64 v[70:71], v[70:71], -v[86:87]
	v_fma_f64 v[182:183], v[184:185], v[190:191], v[182:183]
	v_add_f64 v[72:73], v[72:73], -v[182:183]
	ds_read2_b64 v[182:185], v1 offset0:52 offset1:53
	s_waitcnt lgkmcnt(0)
	v_mul_f64 v[86:87], v[184:185], v[88:89]
	v_fma_f64 v[86:87], v[182:183], v[190:191], -v[86:87]
	v_mul_f64 v[182:183], v[182:183], v[88:89]
	v_add_f64 v[78:79], v[78:79], -v[86:87]
	v_fma_f64 v[182:183], v[184:185], v[190:191], v[182:183]
	v_add_f64 v[80:81], v[80:81], -v[182:183]
	;; [unrolled: 8-line block ×19, first 2 shown]
	ds_read2_b64 v[182:185], v1 offset0:88 offset1:89
	s_waitcnt lgkmcnt(0)
	v_mul_f64 v[86:87], v[184:185], v[88:89]
	v_fma_f64 v[86:87], v[182:183], v[190:191], -v[86:87]
	v_mul_f64 v[182:183], v[182:183], v[88:89]
	v_add_f64 v[2:3], v[2:3], -v[86:87]
	v_fma_f64 v[182:183], v[184:185], v[190:191], v[182:183]
	v_mov_b32_e32 v86, v190
	v_mov_b32_e32 v87, v191
	v_add_f64 v[4:5], v[4:5], -v[182:183]
.LBB88_524:
	s_or_b32 exec_lo, exec_lo, s0
	v_lshl_add_u32 v182, v196, 4, v1
	s_barrier
	buffer_gl0_inv
	v_mov_b32_e32 v190, 25
	ds_write2_b64 v182, v[70:71], v[72:73] offset1:1
	s_waitcnt lgkmcnt(0)
	s_barrier
	buffer_gl0_inv
	ds_read2_b64 v[182:185], v1 offset0:50 offset1:51
	s_cmp_lt_i32 s1, 27
	s_cbranch_scc1 .LBB88_527
; %bb.525:
	v_add3_u32 v191, v192, 0, 0x1a0
	v_mov_b32_e32 v190, 25
	s_mov_b32 s7, 26
	s_inst_prefetch 0x1
	.p2align	6
.LBB88_526:                             ; =>This Inner Loop Header: Depth=1
	s_waitcnt lgkmcnt(0)
	v_cmp_gt_f64_e32 vcc_lo, 0, v[184:185]
	v_cmp_gt_f64_e64 s0, 0, v[182:183]
	ds_read2_b64 v[197:200], v191 offset1:1
	v_xor_b32_e32 v202, 0x80000000, v183
	v_xor_b32_e32 v204, 0x80000000, v185
	v_mov_b32_e32 v201, v182
	v_mov_b32_e32 v203, v184
	v_add_nc_u32_e32 v191, 16, v191
	s_waitcnt lgkmcnt(0)
	v_xor_b32_e32 v206, 0x80000000, v200
	v_cndmask_b32_e64 v202, v183, v202, s0
	v_cndmask_b32_e32 v204, v185, v204, vcc_lo
	v_cmp_gt_f64_e32 vcc_lo, 0, v[199:200]
	v_cmp_gt_f64_e64 s0, 0, v[197:198]
	v_mov_b32_e32 v205, v199
	v_add_f64 v[201:202], v[201:202], v[203:204]
	v_xor_b32_e32 v204, 0x80000000, v198
	v_mov_b32_e32 v203, v197
	v_cndmask_b32_e32 v206, v200, v206, vcc_lo
	v_cndmask_b32_e64 v204, v198, v204, s0
	v_add_f64 v[203:204], v[203:204], v[205:206]
	v_cmp_lt_f64_e32 vcc_lo, v[201:202], v[203:204]
	v_cndmask_b32_e32 v183, v183, v198, vcc_lo
	v_cndmask_b32_e32 v182, v182, v197, vcc_lo
	;; [unrolled: 1-line block ×4, first 2 shown]
	v_cndmask_b32_e64 v190, v190, s7, vcc_lo
	s_add_i32 s7, s7, 1
	s_cmp_lg_u32 s1, s7
	s_cbranch_scc1 .LBB88_526
.LBB88_527:
	s_inst_prefetch 0x2
	s_waitcnt lgkmcnt(0)
	v_cmp_eq_f64_e32 vcc_lo, 0, v[182:183]
	v_cmp_eq_f64_e64 s0, 0, v[184:185]
	s_and_b32 s0, vcc_lo, s0
	s_and_saveexec_b32 s7, s0
	s_xor_b32 s0, exec_lo, s7
; %bb.528:
	v_cmp_ne_u32_e32 vcc_lo, 0, v195
	v_cndmask_b32_e32 v195, 26, v195, vcc_lo
; %bb.529:
	s_andn2_saveexec_b32 s0, s0
	s_cbranch_execz .LBB88_535
; %bb.530:
	v_cmp_ngt_f64_e64 s7, |v[182:183]|, |v[184:185]|
	s_and_saveexec_b32 s8, s7
	s_xor_b32 s7, exec_lo, s8
	s_cbranch_execz .LBB88_532
; %bb.531:
	v_div_scale_f64 v[197:198], null, v[184:185], v[184:185], v[182:183]
	v_div_scale_f64 v[203:204], vcc_lo, v[182:183], v[184:185], v[182:183]
	v_rcp_f64_e32 v[199:200], v[197:198]
	v_fma_f64 v[201:202], -v[197:198], v[199:200], 1.0
	v_fma_f64 v[199:200], v[199:200], v[201:202], v[199:200]
	v_fma_f64 v[201:202], -v[197:198], v[199:200], 1.0
	v_fma_f64 v[199:200], v[199:200], v[201:202], v[199:200]
	v_mul_f64 v[201:202], v[203:204], v[199:200]
	v_fma_f64 v[197:198], -v[197:198], v[201:202], v[203:204]
	v_div_fmas_f64 v[197:198], v[197:198], v[199:200], v[201:202]
	v_div_fixup_f64 v[197:198], v[197:198], v[184:185], v[182:183]
	v_fma_f64 v[182:183], v[182:183], v[197:198], v[184:185]
	v_div_scale_f64 v[184:185], null, v[182:183], v[182:183], 1.0
	v_rcp_f64_e32 v[199:200], v[184:185]
	v_fma_f64 v[201:202], -v[184:185], v[199:200], 1.0
	v_fma_f64 v[199:200], v[199:200], v[201:202], v[199:200]
	v_fma_f64 v[201:202], -v[184:185], v[199:200], 1.0
	v_fma_f64 v[199:200], v[199:200], v[201:202], v[199:200]
	v_div_scale_f64 v[201:202], vcc_lo, 1.0, v[182:183], 1.0
	v_mul_f64 v[203:204], v[201:202], v[199:200]
	v_fma_f64 v[184:185], -v[184:185], v[203:204], v[201:202]
	v_div_fmas_f64 v[184:185], v[184:185], v[199:200], v[203:204]
	v_div_fixup_f64 v[184:185], v[184:185], v[182:183], 1.0
	v_mul_f64 v[182:183], v[197:198], v[184:185]
	v_xor_b32_e32 v185, 0x80000000, v185
.LBB88_532:
	s_andn2_saveexec_b32 s7, s7
	s_cbranch_execz .LBB88_534
; %bb.533:
	v_div_scale_f64 v[197:198], null, v[182:183], v[182:183], v[184:185]
	v_div_scale_f64 v[203:204], vcc_lo, v[184:185], v[182:183], v[184:185]
	v_rcp_f64_e32 v[199:200], v[197:198]
	v_fma_f64 v[201:202], -v[197:198], v[199:200], 1.0
	v_fma_f64 v[199:200], v[199:200], v[201:202], v[199:200]
	v_fma_f64 v[201:202], -v[197:198], v[199:200], 1.0
	v_fma_f64 v[199:200], v[199:200], v[201:202], v[199:200]
	v_mul_f64 v[201:202], v[203:204], v[199:200]
	v_fma_f64 v[197:198], -v[197:198], v[201:202], v[203:204]
	v_div_fmas_f64 v[197:198], v[197:198], v[199:200], v[201:202]
	v_div_fixup_f64 v[197:198], v[197:198], v[182:183], v[184:185]
	v_fma_f64 v[182:183], v[184:185], v[197:198], v[182:183]
	v_div_scale_f64 v[184:185], null, v[182:183], v[182:183], 1.0
	v_rcp_f64_e32 v[199:200], v[184:185]
	v_fma_f64 v[201:202], -v[184:185], v[199:200], 1.0
	v_fma_f64 v[199:200], v[199:200], v[201:202], v[199:200]
	v_fma_f64 v[201:202], -v[184:185], v[199:200], 1.0
	v_fma_f64 v[199:200], v[199:200], v[201:202], v[199:200]
	v_div_scale_f64 v[201:202], vcc_lo, 1.0, v[182:183], 1.0
	v_mul_f64 v[203:204], v[201:202], v[199:200]
	v_fma_f64 v[184:185], -v[184:185], v[203:204], v[201:202]
	v_div_fmas_f64 v[184:185], v[184:185], v[199:200], v[203:204]
	v_div_fixup_f64 v[182:183], v[184:185], v[182:183], 1.0
	v_mul_f64 v[184:185], v[197:198], -v[182:183]
.LBB88_534:
	s_or_b32 exec_lo, exec_lo, s7
.LBB88_535:
	s_or_b32 exec_lo, exec_lo, s0
	s_mov_b32 s0, exec_lo
	v_cmpx_ne_u32_e64 v196, v190
	s_xor_b32 s0, exec_lo, s0
	s_cbranch_execz .LBB88_541
; %bb.536:
	s_mov_b32 s7, exec_lo
	v_cmpx_eq_u32_e32 25, v196
	s_cbranch_execz .LBB88_540
; %bb.537:
	v_cmp_ne_u32_e32 vcc_lo, 25, v190
	s_xor_b32 s8, s16, -1
	s_and_b32 s9, s8, vcc_lo
	s_and_saveexec_b32 s8, s9
	s_cbranch_execz .LBB88_539
; %bb.538:
	v_ashrrev_i32_e32 v191, 31, v190
	v_lshlrev_b64 v[196:197], 2, v[190:191]
	v_add_co_u32 v196, vcc_lo, v188, v196
	v_add_co_ci_u32_e64 v197, null, v189, v197, vcc_lo
	s_clause 0x1
	global_load_dword v0, v[196:197], off
	global_load_dword v191, v[188:189], off offset:100
	s_waitcnt vmcnt(1)
	global_store_dword v[188:189], v0, off offset:100
	s_waitcnt vmcnt(0)
	global_store_dword v[196:197], v191, off
.LBB88_539:
	s_or_b32 exec_lo, exec_lo, s8
	v_mov_b32_e32 v196, v190
	v_mov_b32_e32 v0, v190
.LBB88_540:
	s_or_b32 exec_lo, exec_lo, s7
.LBB88_541:
	s_andn2_saveexec_b32 s0, s0
	s_cbranch_execz .LBB88_543
; %bb.542:
	v_mov_b32_e32 v196, 25
	ds_write2_b64 v1, v[78:79], v[80:81] offset0:52 offset1:53
	ds_write2_b64 v1, v[74:75], v[76:77] offset0:54 offset1:55
	;; [unrolled: 1-line block ×19, first 2 shown]
.LBB88_543:
	s_or_b32 exec_lo, exec_lo, s0
	s_mov_b32 s0, exec_lo
	s_waitcnt lgkmcnt(0)
	s_waitcnt_vscnt null, 0x0
	s_barrier
	buffer_gl0_inv
	v_cmpx_lt_i32_e32 25, v196
	s_cbranch_execz .LBB88_545
; %bb.544:
	v_mul_f64 v[190:191], v[184:185], v[72:73]
	v_mul_f64 v[72:73], v[182:183], v[72:73]
	v_fma_f64 v[190:191], v[182:183], v[70:71], -v[190:191]
	v_fma_f64 v[72:73], v[184:185], v[70:71], v[72:73]
	ds_read2_b64 v[182:185], v1 offset0:52 offset1:53
	s_waitcnt lgkmcnt(0)
	v_mul_f64 v[70:71], v[184:185], v[72:73]
	v_fma_f64 v[70:71], v[182:183], v[190:191], -v[70:71]
	v_mul_f64 v[182:183], v[182:183], v[72:73]
	v_add_f64 v[78:79], v[78:79], -v[70:71]
	v_fma_f64 v[182:183], v[184:185], v[190:191], v[182:183]
	v_add_f64 v[80:81], v[80:81], -v[182:183]
	ds_read2_b64 v[182:185], v1 offset0:54 offset1:55
	s_waitcnt lgkmcnt(0)
	v_mul_f64 v[70:71], v[184:185], v[72:73]
	v_fma_f64 v[70:71], v[182:183], v[190:191], -v[70:71]
	v_mul_f64 v[182:183], v[182:183], v[72:73]
	v_add_f64 v[74:75], v[74:75], -v[70:71]
	v_fma_f64 v[182:183], v[184:185], v[190:191], v[182:183]
	v_add_f64 v[76:77], v[76:77], -v[182:183]
	;; [unrolled: 8-line block ×18, first 2 shown]
	ds_read2_b64 v[182:185], v1 offset0:88 offset1:89
	s_waitcnt lgkmcnt(0)
	v_mul_f64 v[70:71], v[184:185], v[72:73]
	v_fma_f64 v[70:71], v[182:183], v[190:191], -v[70:71]
	v_mul_f64 v[182:183], v[182:183], v[72:73]
	v_add_f64 v[2:3], v[2:3], -v[70:71]
	v_fma_f64 v[182:183], v[184:185], v[190:191], v[182:183]
	v_mov_b32_e32 v70, v190
	v_mov_b32_e32 v71, v191
	v_add_f64 v[4:5], v[4:5], -v[182:183]
.LBB88_545:
	s_or_b32 exec_lo, exec_lo, s0
	v_lshl_add_u32 v182, v196, 4, v1
	s_barrier
	buffer_gl0_inv
	v_mov_b32_e32 v190, 26
	ds_write2_b64 v182, v[78:79], v[80:81] offset1:1
	s_waitcnt lgkmcnt(0)
	s_barrier
	buffer_gl0_inv
	ds_read2_b64 v[182:185], v1 offset0:52 offset1:53
	s_cmp_lt_i32 s1, 28
	s_cbranch_scc1 .LBB88_548
; %bb.546:
	v_add3_u32 v191, v192, 0, 0x1b0
	v_mov_b32_e32 v190, 26
	s_mov_b32 s7, 27
	s_inst_prefetch 0x1
	.p2align	6
.LBB88_547:                             ; =>This Inner Loop Header: Depth=1
	s_waitcnt lgkmcnt(0)
	v_cmp_gt_f64_e32 vcc_lo, 0, v[184:185]
	v_cmp_gt_f64_e64 s0, 0, v[182:183]
	ds_read2_b64 v[197:200], v191 offset1:1
	v_xor_b32_e32 v202, 0x80000000, v183
	v_xor_b32_e32 v204, 0x80000000, v185
	v_mov_b32_e32 v201, v182
	v_mov_b32_e32 v203, v184
	v_add_nc_u32_e32 v191, 16, v191
	s_waitcnt lgkmcnt(0)
	v_xor_b32_e32 v206, 0x80000000, v200
	v_cndmask_b32_e64 v202, v183, v202, s0
	v_cndmask_b32_e32 v204, v185, v204, vcc_lo
	v_cmp_gt_f64_e32 vcc_lo, 0, v[199:200]
	v_cmp_gt_f64_e64 s0, 0, v[197:198]
	v_mov_b32_e32 v205, v199
	v_add_f64 v[201:202], v[201:202], v[203:204]
	v_xor_b32_e32 v204, 0x80000000, v198
	v_mov_b32_e32 v203, v197
	v_cndmask_b32_e32 v206, v200, v206, vcc_lo
	v_cndmask_b32_e64 v204, v198, v204, s0
	v_add_f64 v[203:204], v[203:204], v[205:206]
	v_cmp_lt_f64_e32 vcc_lo, v[201:202], v[203:204]
	v_cndmask_b32_e32 v183, v183, v198, vcc_lo
	v_cndmask_b32_e32 v182, v182, v197, vcc_lo
	;; [unrolled: 1-line block ×4, first 2 shown]
	v_cndmask_b32_e64 v190, v190, s7, vcc_lo
	s_add_i32 s7, s7, 1
	s_cmp_lg_u32 s1, s7
	s_cbranch_scc1 .LBB88_547
.LBB88_548:
	s_inst_prefetch 0x2
	s_waitcnt lgkmcnt(0)
	v_cmp_eq_f64_e32 vcc_lo, 0, v[182:183]
	v_cmp_eq_f64_e64 s0, 0, v[184:185]
	s_and_b32 s0, vcc_lo, s0
	s_and_saveexec_b32 s7, s0
	s_xor_b32 s0, exec_lo, s7
; %bb.549:
	v_cmp_ne_u32_e32 vcc_lo, 0, v195
	v_cndmask_b32_e32 v195, 27, v195, vcc_lo
; %bb.550:
	s_andn2_saveexec_b32 s0, s0
	s_cbranch_execz .LBB88_556
; %bb.551:
	v_cmp_ngt_f64_e64 s7, |v[182:183]|, |v[184:185]|
	s_and_saveexec_b32 s8, s7
	s_xor_b32 s7, exec_lo, s8
	s_cbranch_execz .LBB88_553
; %bb.552:
	v_div_scale_f64 v[197:198], null, v[184:185], v[184:185], v[182:183]
	v_div_scale_f64 v[203:204], vcc_lo, v[182:183], v[184:185], v[182:183]
	v_rcp_f64_e32 v[199:200], v[197:198]
	v_fma_f64 v[201:202], -v[197:198], v[199:200], 1.0
	v_fma_f64 v[199:200], v[199:200], v[201:202], v[199:200]
	v_fma_f64 v[201:202], -v[197:198], v[199:200], 1.0
	v_fma_f64 v[199:200], v[199:200], v[201:202], v[199:200]
	v_mul_f64 v[201:202], v[203:204], v[199:200]
	v_fma_f64 v[197:198], -v[197:198], v[201:202], v[203:204]
	v_div_fmas_f64 v[197:198], v[197:198], v[199:200], v[201:202]
	v_div_fixup_f64 v[197:198], v[197:198], v[184:185], v[182:183]
	v_fma_f64 v[182:183], v[182:183], v[197:198], v[184:185]
	v_div_scale_f64 v[184:185], null, v[182:183], v[182:183], 1.0
	v_rcp_f64_e32 v[199:200], v[184:185]
	v_fma_f64 v[201:202], -v[184:185], v[199:200], 1.0
	v_fma_f64 v[199:200], v[199:200], v[201:202], v[199:200]
	v_fma_f64 v[201:202], -v[184:185], v[199:200], 1.0
	v_fma_f64 v[199:200], v[199:200], v[201:202], v[199:200]
	v_div_scale_f64 v[201:202], vcc_lo, 1.0, v[182:183], 1.0
	v_mul_f64 v[203:204], v[201:202], v[199:200]
	v_fma_f64 v[184:185], -v[184:185], v[203:204], v[201:202]
	v_div_fmas_f64 v[184:185], v[184:185], v[199:200], v[203:204]
	v_div_fixup_f64 v[184:185], v[184:185], v[182:183], 1.0
	v_mul_f64 v[182:183], v[197:198], v[184:185]
	v_xor_b32_e32 v185, 0x80000000, v185
.LBB88_553:
	s_andn2_saveexec_b32 s7, s7
	s_cbranch_execz .LBB88_555
; %bb.554:
	v_div_scale_f64 v[197:198], null, v[182:183], v[182:183], v[184:185]
	v_div_scale_f64 v[203:204], vcc_lo, v[184:185], v[182:183], v[184:185]
	v_rcp_f64_e32 v[199:200], v[197:198]
	v_fma_f64 v[201:202], -v[197:198], v[199:200], 1.0
	v_fma_f64 v[199:200], v[199:200], v[201:202], v[199:200]
	v_fma_f64 v[201:202], -v[197:198], v[199:200], 1.0
	v_fma_f64 v[199:200], v[199:200], v[201:202], v[199:200]
	v_mul_f64 v[201:202], v[203:204], v[199:200]
	v_fma_f64 v[197:198], -v[197:198], v[201:202], v[203:204]
	v_div_fmas_f64 v[197:198], v[197:198], v[199:200], v[201:202]
	v_div_fixup_f64 v[197:198], v[197:198], v[182:183], v[184:185]
	v_fma_f64 v[182:183], v[184:185], v[197:198], v[182:183]
	v_div_scale_f64 v[184:185], null, v[182:183], v[182:183], 1.0
	v_rcp_f64_e32 v[199:200], v[184:185]
	v_fma_f64 v[201:202], -v[184:185], v[199:200], 1.0
	v_fma_f64 v[199:200], v[199:200], v[201:202], v[199:200]
	v_fma_f64 v[201:202], -v[184:185], v[199:200], 1.0
	v_fma_f64 v[199:200], v[199:200], v[201:202], v[199:200]
	v_div_scale_f64 v[201:202], vcc_lo, 1.0, v[182:183], 1.0
	v_mul_f64 v[203:204], v[201:202], v[199:200]
	v_fma_f64 v[184:185], -v[184:185], v[203:204], v[201:202]
	v_div_fmas_f64 v[184:185], v[184:185], v[199:200], v[203:204]
	v_div_fixup_f64 v[182:183], v[184:185], v[182:183], 1.0
	v_mul_f64 v[184:185], v[197:198], -v[182:183]
.LBB88_555:
	s_or_b32 exec_lo, exec_lo, s7
.LBB88_556:
	s_or_b32 exec_lo, exec_lo, s0
	s_mov_b32 s0, exec_lo
	v_cmpx_ne_u32_e64 v196, v190
	s_xor_b32 s0, exec_lo, s0
	s_cbranch_execz .LBB88_562
; %bb.557:
	s_mov_b32 s7, exec_lo
	v_cmpx_eq_u32_e32 26, v196
	s_cbranch_execz .LBB88_561
; %bb.558:
	v_cmp_ne_u32_e32 vcc_lo, 26, v190
	s_xor_b32 s8, s16, -1
	s_and_b32 s9, s8, vcc_lo
	s_and_saveexec_b32 s8, s9
	s_cbranch_execz .LBB88_560
; %bb.559:
	v_ashrrev_i32_e32 v191, 31, v190
	v_lshlrev_b64 v[196:197], 2, v[190:191]
	v_add_co_u32 v196, vcc_lo, v188, v196
	v_add_co_ci_u32_e64 v197, null, v189, v197, vcc_lo
	s_clause 0x1
	global_load_dword v0, v[196:197], off
	global_load_dword v191, v[188:189], off offset:104
	s_waitcnt vmcnt(1)
	global_store_dword v[188:189], v0, off offset:104
	s_waitcnt vmcnt(0)
	global_store_dword v[196:197], v191, off
.LBB88_560:
	s_or_b32 exec_lo, exec_lo, s8
	v_mov_b32_e32 v196, v190
	v_mov_b32_e32 v0, v190
.LBB88_561:
	s_or_b32 exec_lo, exec_lo, s7
.LBB88_562:
	s_andn2_saveexec_b32 s0, s0
	s_cbranch_execz .LBB88_564
; %bb.563:
	v_mov_b32_e32 v196, 26
	ds_write2_b64 v1, v[74:75], v[76:77] offset0:54 offset1:55
	ds_write2_b64 v1, v[66:67], v[68:69] offset0:56 offset1:57
	;; [unrolled: 1-line block ×18, first 2 shown]
.LBB88_564:
	s_or_b32 exec_lo, exec_lo, s0
	s_mov_b32 s0, exec_lo
	s_waitcnt lgkmcnt(0)
	s_waitcnt_vscnt null, 0x0
	s_barrier
	buffer_gl0_inv
	v_cmpx_lt_i32_e32 26, v196
	s_cbranch_execz .LBB88_566
; %bb.565:
	v_mul_f64 v[190:191], v[184:185], v[80:81]
	v_mul_f64 v[80:81], v[182:183], v[80:81]
	v_fma_f64 v[190:191], v[182:183], v[78:79], -v[190:191]
	v_fma_f64 v[80:81], v[184:185], v[78:79], v[80:81]
	ds_read2_b64 v[182:185], v1 offset0:54 offset1:55
	s_waitcnt lgkmcnt(0)
	v_mul_f64 v[78:79], v[184:185], v[80:81]
	v_fma_f64 v[78:79], v[182:183], v[190:191], -v[78:79]
	v_mul_f64 v[182:183], v[182:183], v[80:81]
	v_add_f64 v[74:75], v[74:75], -v[78:79]
	v_fma_f64 v[182:183], v[184:185], v[190:191], v[182:183]
	v_add_f64 v[76:77], v[76:77], -v[182:183]
	ds_read2_b64 v[182:185], v1 offset0:56 offset1:57
	s_waitcnt lgkmcnt(0)
	v_mul_f64 v[78:79], v[184:185], v[80:81]
	v_fma_f64 v[78:79], v[182:183], v[190:191], -v[78:79]
	v_mul_f64 v[182:183], v[182:183], v[80:81]
	v_add_f64 v[66:67], v[66:67], -v[78:79]
	v_fma_f64 v[182:183], v[184:185], v[190:191], v[182:183]
	v_add_f64 v[68:69], v[68:69], -v[182:183]
	;; [unrolled: 8-line block ×17, first 2 shown]
	ds_read2_b64 v[182:185], v1 offset0:88 offset1:89
	s_waitcnt lgkmcnt(0)
	v_mul_f64 v[78:79], v[184:185], v[80:81]
	v_fma_f64 v[78:79], v[182:183], v[190:191], -v[78:79]
	v_mul_f64 v[182:183], v[182:183], v[80:81]
	v_add_f64 v[2:3], v[2:3], -v[78:79]
	v_fma_f64 v[182:183], v[184:185], v[190:191], v[182:183]
	v_mov_b32_e32 v78, v190
	v_mov_b32_e32 v79, v191
	v_add_f64 v[4:5], v[4:5], -v[182:183]
.LBB88_566:
	s_or_b32 exec_lo, exec_lo, s0
	v_lshl_add_u32 v182, v196, 4, v1
	s_barrier
	buffer_gl0_inv
	v_mov_b32_e32 v190, 27
	ds_write2_b64 v182, v[74:75], v[76:77] offset1:1
	s_waitcnt lgkmcnt(0)
	s_barrier
	buffer_gl0_inv
	ds_read2_b64 v[182:185], v1 offset0:54 offset1:55
	s_cmp_lt_i32 s1, 29
	s_cbranch_scc1 .LBB88_569
; %bb.567:
	v_add3_u32 v191, v192, 0, 0x1c0
	v_mov_b32_e32 v190, 27
	s_mov_b32 s7, 28
	s_inst_prefetch 0x1
	.p2align	6
.LBB88_568:                             ; =>This Inner Loop Header: Depth=1
	s_waitcnt lgkmcnt(0)
	v_cmp_gt_f64_e32 vcc_lo, 0, v[184:185]
	v_cmp_gt_f64_e64 s0, 0, v[182:183]
	ds_read2_b64 v[197:200], v191 offset1:1
	v_xor_b32_e32 v202, 0x80000000, v183
	v_xor_b32_e32 v204, 0x80000000, v185
	v_mov_b32_e32 v201, v182
	v_mov_b32_e32 v203, v184
	v_add_nc_u32_e32 v191, 16, v191
	s_waitcnt lgkmcnt(0)
	v_xor_b32_e32 v206, 0x80000000, v200
	v_cndmask_b32_e64 v202, v183, v202, s0
	v_cndmask_b32_e32 v204, v185, v204, vcc_lo
	v_cmp_gt_f64_e32 vcc_lo, 0, v[199:200]
	v_cmp_gt_f64_e64 s0, 0, v[197:198]
	v_mov_b32_e32 v205, v199
	v_add_f64 v[201:202], v[201:202], v[203:204]
	v_xor_b32_e32 v204, 0x80000000, v198
	v_mov_b32_e32 v203, v197
	v_cndmask_b32_e32 v206, v200, v206, vcc_lo
	v_cndmask_b32_e64 v204, v198, v204, s0
	v_add_f64 v[203:204], v[203:204], v[205:206]
	v_cmp_lt_f64_e32 vcc_lo, v[201:202], v[203:204]
	v_cndmask_b32_e32 v183, v183, v198, vcc_lo
	v_cndmask_b32_e32 v182, v182, v197, vcc_lo
	;; [unrolled: 1-line block ×4, first 2 shown]
	v_cndmask_b32_e64 v190, v190, s7, vcc_lo
	s_add_i32 s7, s7, 1
	s_cmp_lg_u32 s1, s7
	s_cbranch_scc1 .LBB88_568
.LBB88_569:
	s_inst_prefetch 0x2
	s_waitcnt lgkmcnt(0)
	v_cmp_eq_f64_e32 vcc_lo, 0, v[182:183]
	v_cmp_eq_f64_e64 s0, 0, v[184:185]
	s_and_b32 s0, vcc_lo, s0
	s_and_saveexec_b32 s7, s0
	s_xor_b32 s0, exec_lo, s7
; %bb.570:
	v_cmp_ne_u32_e32 vcc_lo, 0, v195
	v_cndmask_b32_e32 v195, 28, v195, vcc_lo
; %bb.571:
	s_andn2_saveexec_b32 s0, s0
	s_cbranch_execz .LBB88_577
; %bb.572:
	v_cmp_ngt_f64_e64 s7, |v[182:183]|, |v[184:185]|
	s_and_saveexec_b32 s8, s7
	s_xor_b32 s7, exec_lo, s8
	s_cbranch_execz .LBB88_574
; %bb.573:
	v_div_scale_f64 v[197:198], null, v[184:185], v[184:185], v[182:183]
	v_div_scale_f64 v[203:204], vcc_lo, v[182:183], v[184:185], v[182:183]
	v_rcp_f64_e32 v[199:200], v[197:198]
	v_fma_f64 v[201:202], -v[197:198], v[199:200], 1.0
	v_fma_f64 v[199:200], v[199:200], v[201:202], v[199:200]
	v_fma_f64 v[201:202], -v[197:198], v[199:200], 1.0
	v_fma_f64 v[199:200], v[199:200], v[201:202], v[199:200]
	v_mul_f64 v[201:202], v[203:204], v[199:200]
	v_fma_f64 v[197:198], -v[197:198], v[201:202], v[203:204]
	v_div_fmas_f64 v[197:198], v[197:198], v[199:200], v[201:202]
	v_div_fixup_f64 v[197:198], v[197:198], v[184:185], v[182:183]
	v_fma_f64 v[182:183], v[182:183], v[197:198], v[184:185]
	v_div_scale_f64 v[184:185], null, v[182:183], v[182:183], 1.0
	v_rcp_f64_e32 v[199:200], v[184:185]
	v_fma_f64 v[201:202], -v[184:185], v[199:200], 1.0
	v_fma_f64 v[199:200], v[199:200], v[201:202], v[199:200]
	v_fma_f64 v[201:202], -v[184:185], v[199:200], 1.0
	v_fma_f64 v[199:200], v[199:200], v[201:202], v[199:200]
	v_div_scale_f64 v[201:202], vcc_lo, 1.0, v[182:183], 1.0
	v_mul_f64 v[203:204], v[201:202], v[199:200]
	v_fma_f64 v[184:185], -v[184:185], v[203:204], v[201:202]
	v_div_fmas_f64 v[184:185], v[184:185], v[199:200], v[203:204]
	v_div_fixup_f64 v[184:185], v[184:185], v[182:183], 1.0
	v_mul_f64 v[182:183], v[197:198], v[184:185]
	v_xor_b32_e32 v185, 0x80000000, v185
.LBB88_574:
	s_andn2_saveexec_b32 s7, s7
	s_cbranch_execz .LBB88_576
; %bb.575:
	v_div_scale_f64 v[197:198], null, v[182:183], v[182:183], v[184:185]
	v_div_scale_f64 v[203:204], vcc_lo, v[184:185], v[182:183], v[184:185]
	v_rcp_f64_e32 v[199:200], v[197:198]
	v_fma_f64 v[201:202], -v[197:198], v[199:200], 1.0
	v_fma_f64 v[199:200], v[199:200], v[201:202], v[199:200]
	v_fma_f64 v[201:202], -v[197:198], v[199:200], 1.0
	v_fma_f64 v[199:200], v[199:200], v[201:202], v[199:200]
	v_mul_f64 v[201:202], v[203:204], v[199:200]
	v_fma_f64 v[197:198], -v[197:198], v[201:202], v[203:204]
	v_div_fmas_f64 v[197:198], v[197:198], v[199:200], v[201:202]
	v_div_fixup_f64 v[197:198], v[197:198], v[182:183], v[184:185]
	v_fma_f64 v[182:183], v[184:185], v[197:198], v[182:183]
	v_div_scale_f64 v[184:185], null, v[182:183], v[182:183], 1.0
	v_rcp_f64_e32 v[199:200], v[184:185]
	v_fma_f64 v[201:202], -v[184:185], v[199:200], 1.0
	v_fma_f64 v[199:200], v[199:200], v[201:202], v[199:200]
	v_fma_f64 v[201:202], -v[184:185], v[199:200], 1.0
	v_fma_f64 v[199:200], v[199:200], v[201:202], v[199:200]
	v_div_scale_f64 v[201:202], vcc_lo, 1.0, v[182:183], 1.0
	v_mul_f64 v[203:204], v[201:202], v[199:200]
	v_fma_f64 v[184:185], -v[184:185], v[203:204], v[201:202]
	v_div_fmas_f64 v[184:185], v[184:185], v[199:200], v[203:204]
	v_div_fixup_f64 v[182:183], v[184:185], v[182:183], 1.0
	v_mul_f64 v[184:185], v[197:198], -v[182:183]
.LBB88_576:
	s_or_b32 exec_lo, exec_lo, s7
.LBB88_577:
	s_or_b32 exec_lo, exec_lo, s0
	s_mov_b32 s0, exec_lo
	v_cmpx_ne_u32_e64 v196, v190
	s_xor_b32 s0, exec_lo, s0
	s_cbranch_execz .LBB88_583
; %bb.578:
	s_mov_b32 s7, exec_lo
	v_cmpx_eq_u32_e32 27, v196
	s_cbranch_execz .LBB88_582
; %bb.579:
	v_cmp_ne_u32_e32 vcc_lo, 27, v190
	s_xor_b32 s8, s16, -1
	s_and_b32 s9, s8, vcc_lo
	s_and_saveexec_b32 s8, s9
	s_cbranch_execz .LBB88_581
; %bb.580:
	v_ashrrev_i32_e32 v191, 31, v190
	v_lshlrev_b64 v[196:197], 2, v[190:191]
	v_add_co_u32 v196, vcc_lo, v188, v196
	v_add_co_ci_u32_e64 v197, null, v189, v197, vcc_lo
	s_clause 0x1
	global_load_dword v0, v[196:197], off
	global_load_dword v191, v[188:189], off offset:108
	s_waitcnt vmcnt(1)
	global_store_dword v[188:189], v0, off offset:108
	s_waitcnt vmcnt(0)
	global_store_dword v[196:197], v191, off
.LBB88_581:
	s_or_b32 exec_lo, exec_lo, s8
	v_mov_b32_e32 v196, v190
	v_mov_b32_e32 v0, v190
.LBB88_582:
	s_or_b32 exec_lo, exec_lo, s7
.LBB88_583:
	s_andn2_saveexec_b32 s0, s0
	s_cbranch_execz .LBB88_585
; %bb.584:
	v_mov_b32_e32 v196, 27
	ds_write2_b64 v1, v[66:67], v[68:69] offset0:56 offset1:57
	ds_write2_b64 v1, v[62:63], v[64:65] offset0:58 offset1:59
	;; [unrolled: 1-line block ×17, first 2 shown]
.LBB88_585:
	s_or_b32 exec_lo, exec_lo, s0
	s_mov_b32 s0, exec_lo
	s_waitcnt lgkmcnt(0)
	s_waitcnt_vscnt null, 0x0
	s_barrier
	buffer_gl0_inv
	v_cmpx_lt_i32_e32 27, v196
	s_cbranch_execz .LBB88_587
; %bb.586:
	v_mul_f64 v[190:191], v[184:185], v[76:77]
	v_mul_f64 v[76:77], v[182:183], v[76:77]
	v_fma_f64 v[190:191], v[182:183], v[74:75], -v[190:191]
	v_fma_f64 v[76:77], v[184:185], v[74:75], v[76:77]
	ds_read2_b64 v[182:185], v1 offset0:56 offset1:57
	s_waitcnt lgkmcnt(0)
	v_mul_f64 v[74:75], v[184:185], v[76:77]
	v_fma_f64 v[74:75], v[182:183], v[190:191], -v[74:75]
	v_mul_f64 v[182:183], v[182:183], v[76:77]
	v_add_f64 v[66:67], v[66:67], -v[74:75]
	v_fma_f64 v[182:183], v[184:185], v[190:191], v[182:183]
	v_add_f64 v[68:69], v[68:69], -v[182:183]
	ds_read2_b64 v[182:185], v1 offset0:58 offset1:59
	s_waitcnt lgkmcnt(0)
	v_mul_f64 v[74:75], v[184:185], v[76:77]
	v_fma_f64 v[74:75], v[182:183], v[190:191], -v[74:75]
	v_mul_f64 v[182:183], v[182:183], v[76:77]
	v_add_f64 v[62:63], v[62:63], -v[74:75]
	v_fma_f64 v[182:183], v[184:185], v[190:191], v[182:183]
	v_add_f64 v[64:65], v[64:65], -v[182:183]
	;; [unrolled: 8-line block ×16, first 2 shown]
	ds_read2_b64 v[182:185], v1 offset0:88 offset1:89
	s_waitcnt lgkmcnt(0)
	v_mul_f64 v[74:75], v[184:185], v[76:77]
	v_fma_f64 v[74:75], v[182:183], v[190:191], -v[74:75]
	v_mul_f64 v[182:183], v[182:183], v[76:77]
	v_add_f64 v[2:3], v[2:3], -v[74:75]
	v_fma_f64 v[182:183], v[184:185], v[190:191], v[182:183]
	v_mov_b32_e32 v74, v190
	v_mov_b32_e32 v75, v191
	v_add_f64 v[4:5], v[4:5], -v[182:183]
.LBB88_587:
	s_or_b32 exec_lo, exec_lo, s0
	v_lshl_add_u32 v182, v196, 4, v1
	s_barrier
	buffer_gl0_inv
	v_mov_b32_e32 v190, 28
	ds_write2_b64 v182, v[66:67], v[68:69] offset1:1
	s_waitcnt lgkmcnt(0)
	s_barrier
	buffer_gl0_inv
	ds_read2_b64 v[182:185], v1 offset0:56 offset1:57
	s_cmp_lt_i32 s1, 30
	s_cbranch_scc1 .LBB88_590
; %bb.588:
	v_add3_u32 v191, v192, 0, 0x1d0
	v_mov_b32_e32 v190, 28
	s_mov_b32 s7, 29
	s_inst_prefetch 0x1
	.p2align	6
.LBB88_589:                             ; =>This Inner Loop Header: Depth=1
	s_waitcnt lgkmcnt(0)
	v_cmp_gt_f64_e32 vcc_lo, 0, v[184:185]
	v_cmp_gt_f64_e64 s0, 0, v[182:183]
	ds_read2_b64 v[197:200], v191 offset1:1
	v_xor_b32_e32 v202, 0x80000000, v183
	v_xor_b32_e32 v204, 0x80000000, v185
	v_mov_b32_e32 v201, v182
	v_mov_b32_e32 v203, v184
	v_add_nc_u32_e32 v191, 16, v191
	s_waitcnt lgkmcnt(0)
	v_xor_b32_e32 v206, 0x80000000, v200
	v_cndmask_b32_e64 v202, v183, v202, s0
	v_cndmask_b32_e32 v204, v185, v204, vcc_lo
	v_cmp_gt_f64_e32 vcc_lo, 0, v[199:200]
	v_cmp_gt_f64_e64 s0, 0, v[197:198]
	v_mov_b32_e32 v205, v199
	v_add_f64 v[201:202], v[201:202], v[203:204]
	v_xor_b32_e32 v204, 0x80000000, v198
	v_mov_b32_e32 v203, v197
	v_cndmask_b32_e32 v206, v200, v206, vcc_lo
	v_cndmask_b32_e64 v204, v198, v204, s0
	v_add_f64 v[203:204], v[203:204], v[205:206]
	v_cmp_lt_f64_e32 vcc_lo, v[201:202], v[203:204]
	v_cndmask_b32_e32 v183, v183, v198, vcc_lo
	v_cndmask_b32_e32 v182, v182, v197, vcc_lo
	;; [unrolled: 1-line block ×4, first 2 shown]
	v_cndmask_b32_e64 v190, v190, s7, vcc_lo
	s_add_i32 s7, s7, 1
	s_cmp_lg_u32 s1, s7
	s_cbranch_scc1 .LBB88_589
.LBB88_590:
	s_inst_prefetch 0x2
	s_waitcnt lgkmcnt(0)
	v_cmp_eq_f64_e32 vcc_lo, 0, v[182:183]
	v_cmp_eq_f64_e64 s0, 0, v[184:185]
	s_and_b32 s0, vcc_lo, s0
	s_and_saveexec_b32 s7, s0
	s_xor_b32 s0, exec_lo, s7
; %bb.591:
	v_cmp_ne_u32_e32 vcc_lo, 0, v195
	v_cndmask_b32_e32 v195, 29, v195, vcc_lo
; %bb.592:
	s_andn2_saveexec_b32 s0, s0
	s_cbranch_execz .LBB88_598
; %bb.593:
	v_cmp_ngt_f64_e64 s7, |v[182:183]|, |v[184:185]|
	s_and_saveexec_b32 s8, s7
	s_xor_b32 s7, exec_lo, s8
	s_cbranch_execz .LBB88_595
; %bb.594:
	v_div_scale_f64 v[197:198], null, v[184:185], v[184:185], v[182:183]
	v_div_scale_f64 v[203:204], vcc_lo, v[182:183], v[184:185], v[182:183]
	v_rcp_f64_e32 v[199:200], v[197:198]
	v_fma_f64 v[201:202], -v[197:198], v[199:200], 1.0
	v_fma_f64 v[199:200], v[199:200], v[201:202], v[199:200]
	v_fma_f64 v[201:202], -v[197:198], v[199:200], 1.0
	v_fma_f64 v[199:200], v[199:200], v[201:202], v[199:200]
	v_mul_f64 v[201:202], v[203:204], v[199:200]
	v_fma_f64 v[197:198], -v[197:198], v[201:202], v[203:204]
	v_div_fmas_f64 v[197:198], v[197:198], v[199:200], v[201:202]
	v_div_fixup_f64 v[197:198], v[197:198], v[184:185], v[182:183]
	v_fma_f64 v[182:183], v[182:183], v[197:198], v[184:185]
	v_div_scale_f64 v[184:185], null, v[182:183], v[182:183], 1.0
	v_rcp_f64_e32 v[199:200], v[184:185]
	v_fma_f64 v[201:202], -v[184:185], v[199:200], 1.0
	v_fma_f64 v[199:200], v[199:200], v[201:202], v[199:200]
	v_fma_f64 v[201:202], -v[184:185], v[199:200], 1.0
	v_fma_f64 v[199:200], v[199:200], v[201:202], v[199:200]
	v_div_scale_f64 v[201:202], vcc_lo, 1.0, v[182:183], 1.0
	v_mul_f64 v[203:204], v[201:202], v[199:200]
	v_fma_f64 v[184:185], -v[184:185], v[203:204], v[201:202]
	v_div_fmas_f64 v[184:185], v[184:185], v[199:200], v[203:204]
	v_div_fixup_f64 v[184:185], v[184:185], v[182:183], 1.0
	v_mul_f64 v[182:183], v[197:198], v[184:185]
	v_xor_b32_e32 v185, 0x80000000, v185
.LBB88_595:
	s_andn2_saveexec_b32 s7, s7
	s_cbranch_execz .LBB88_597
; %bb.596:
	v_div_scale_f64 v[197:198], null, v[182:183], v[182:183], v[184:185]
	v_div_scale_f64 v[203:204], vcc_lo, v[184:185], v[182:183], v[184:185]
	v_rcp_f64_e32 v[199:200], v[197:198]
	v_fma_f64 v[201:202], -v[197:198], v[199:200], 1.0
	v_fma_f64 v[199:200], v[199:200], v[201:202], v[199:200]
	v_fma_f64 v[201:202], -v[197:198], v[199:200], 1.0
	v_fma_f64 v[199:200], v[199:200], v[201:202], v[199:200]
	v_mul_f64 v[201:202], v[203:204], v[199:200]
	v_fma_f64 v[197:198], -v[197:198], v[201:202], v[203:204]
	v_div_fmas_f64 v[197:198], v[197:198], v[199:200], v[201:202]
	v_div_fixup_f64 v[197:198], v[197:198], v[182:183], v[184:185]
	v_fma_f64 v[182:183], v[184:185], v[197:198], v[182:183]
	v_div_scale_f64 v[184:185], null, v[182:183], v[182:183], 1.0
	v_rcp_f64_e32 v[199:200], v[184:185]
	v_fma_f64 v[201:202], -v[184:185], v[199:200], 1.0
	v_fma_f64 v[199:200], v[199:200], v[201:202], v[199:200]
	v_fma_f64 v[201:202], -v[184:185], v[199:200], 1.0
	v_fma_f64 v[199:200], v[199:200], v[201:202], v[199:200]
	v_div_scale_f64 v[201:202], vcc_lo, 1.0, v[182:183], 1.0
	v_mul_f64 v[203:204], v[201:202], v[199:200]
	v_fma_f64 v[184:185], -v[184:185], v[203:204], v[201:202]
	v_div_fmas_f64 v[184:185], v[184:185], v[199:200], v[203:204]
	v_div_fixup_f64 v[182:183], v[184:185], v[182:183], 1.0
	v_mul_f64 v[184:185], v[197:198], -v[182:183]
.LBB88_597:
	s_or_b32 exec_lo, exec_lo, s7
.LBB88_598:
	s_or_b32 exec_lo, exec_lo, s0
	s_mov_b32 s0, exec_lo
	v_cmpx_ne_u32_e64 v196, v190
	s_xor_b32 s0, exec_lo, s0
	s_cbranch_execz .LBB88_604
; %bb.599:
	s_mov_b32 s7, exec_lo
	v_cmpx_eq_u32_e32 28, v196
	s_cbranch_execz .LBB88_603
; %bb.600:
	v_cmp_ne_u32_e32 vcc_lo, 28, v190
	s_xor_b32 s8, s16, -1
	s_and_b32 s9, s8, vcc_lo
	s_and_saveexec_b32 s8, s9
	s_cbranch_execz .LBB88_602
; %bb.601:
	v_ashrrev_i32_e32 v191, 31, v190
	v_lshlrev_b64 v[196:197], 2, v[190:191]
	v_add_co_u32 v196, vcc_lo, v188, v196
	v_add_co_ci_u32_e64 v197, null, v189, v197, vcc_lo
	s_clause 0x1
	global_load_dword v0, v[196:197], off
	global_load_dword v191, v[188:189], off offset:112
	s_waitcnt vmcnt(1)
	global_store_dword v[188:189], v0, off offset:112
	s_waitcnt vmcnt(0)
	global_store_dword v[196:197], v191, off
.LBB88_602:
	s_or_b32 exec_lo, exec_lo, s8
	v_mov_b32_e32 v196, v190
	v_mov_b32_e32 v0, v190
.LBB88_603:
	s_or_b32 exec_lo, exec_lo, s7
.LBB88_604:
	s_andn2_saveexec_b32 s0, s0
	s_cbranch_execz .LBB88_606
; %bb.605:
	v_mov_b32_e32 v196, 28
	ds_write2_b64 v1, v[62:63], v[64:65] offset0:58 offset1:59
	ds_write2_b64 v1, v[54:55], v[56:57] offset0:60 offset1:61
	;; [unrolled: 1-line block ×16, first 2 shown]
.LBB88_606:
	s_or_b32 exec_lo, exec_lo, s0
	s_mov_b32 s0, exec_lo
	s_waitcnt lgkmcnt(0)
	s_waitcnt_vscnt null, 0x0
	s_barrier
	buffer_gl0_inv
	v_cmpx_lt_i32_e32 28, v196
	s_cbranch_execz .LBB88_608
; %bb.607:
	v_mul_f64 v[190:191], v[182:183], v[68:69]
	v_mul_f64 v[68:69], v[184:185], v[68:69]
	v_fma_f64 v[190:191], v[184:185], v[66:67], v[190:191]
	v_fma_f64 v[66:67], v[182:183], v[66:67], -v[68:69]
	ds_read2_b64 v[182:185], v1 offset0:58 offset1:59
	s_waitcnt lgkmcnt(0)
	v_mul_f64 v[68:69], v[184:185], v[190:191]
	v_fma_f64 v[68:69], v[182:183], v[66:67], -v[68:69]
	v_mul_f64 v[182:183], v[182:183], v[190:191]
	v_add_f64 v[62:63], v[62:63], -v[68:69]
	v_fma_f64 v[182:183], v[184:185], v[66:67], v[182:183]
	v_add_f64 v[64:65], v[64:65], -v[182:183]
	ds_read2_b64 v[182:185], v1 offset0:60 offset1:61
	s_waitcnt lgkmcnt(0)
	v_mul_f64 v[68:69], v[184:185], v[190:191]
	v_fma_f64 v[68:69], v[182:183], v[66:67], -v[68:69]
	v_mul_f64 v[182:183], v[182:183], v[190:191]
	v_add_f64 v[54:55], v[54:55], -v[68:69]
	v_fma_f64 v[182:183], v[184:185], v[66:67], v[182:183]
	v_add_f64 v[56:57], v[56:57], -v[182:183]
	;; [unrolled: 8-line block ×15, first 2 shown]
	ds_read2_b64 v[182:185], v1 offset0:88 offset1:89
	s_waitcnt lgkmcnt(0)
	v_mul_f64 v[68:69], v[184:185], v[190:191]
	v_fma_f64 v[68:69], v[182:183], v[66:67], -v[68:69]
	v_mul_f64 v[182:183], v[182:183], v[190:191]
	v_add_f64 v[2:3], v[2:3], -v[68:69]
	v_fma_f64 v[182:183], v[184:185], v[66:67], v[182:183]
	v_mov_b32_e32 v68, v190
	v_mov_b32_e32 v69, v191
	v_add_f64 v[4:5], v[4:5], -v[182:183]
.LBB88_608:
	s_or_b32 exec_lo, exec_lo, s0
	v_lshl_add_u32 v182, v196, 4, v1
	s_barrier
	buffer_gl0_inv
	v_mov_b32_e32 v190, 29
	ds_write2_b64 v182, v[62:63], v[64:65] offset1:1
	s_waitcnt lgkmcnt(0)
	s_barrier
	buffer_gl0_inv
	ds_read2_b64 v[182:185], v1 offset0:58 offset1:59
	s_cmp_lt_i32 s1, 31
	s_cbranch_scc1 .LBB88_611
; %bb.609:
	v_add3_u32 v191, v192, 0, 0x1e0
	v_mov_b32_e32 v190, 29
	s_mov_b32 s7, 30
	s_inst_prefetch 0x1
	.p2align	6
.LBB88_610:                             ; =>This Inner Loop Header: Depth=1
	s_waitcnt lgkmcnt(0)
	v_cmp_gt_f64_e32 vcc_lo, 0, v[184:185]
	v_cmp_gt_f64_e64 s0, 0, v[182:183]
	ds_read2_b64 v[197:200], v191 offset1:1
	v_xor_b32_e32 v202, 0x80000000, v183
	v_xor_b32_e32 v204, 0x80000000, v185
	v_mov_b32_e32 v201, v182
	v_mov_b32_e32 v203, v184
	v_add_nc_u32_e32 v191, 16, v191
	s_waitcnt lgkmcnt(0)
	v_xor_b32_e32 v206, 0x80000000, v200
	v_cndmask_b32_e64 v202, v183, v202, s0
	v_cndmask_b32_e32 v204, v185, v204, vcc_lo
	v_cmp_gt_f64_e32 vcc_lo, 0, v[199:200]
	v_cmp_gt_f64_e64 s0, 0, v[197:198]
	v_mov_b32_e32 v205, v199
	v_add_f64 v[201:202], v[201:202], v[203:204]
	v_xor_b32_e32 v204, 0x80000000, v198
	v_mov_b32_e32 v203, v197
	v_cndmask_b32_e32 v206, v200, v206, vcc_lo
	v_cndmask_b32_e64 v204, v198, v204, s0
	v_add_f64 v[203:204], v[203:204], v[205:206]
	v_cmp_lt_f64_e32 vcc_lo, v[201:202], v[203:204]
	v_cndmask_b32_e32 v183, v183, v198, vcc_lo
	v_cndmask_b32_e32 v182, v182, v197, vcc_lo
	;; [unrolled: 1-line block ×4, first 2 shown]
	v_cndmask_b32_e64 v190, v190, s7, vcc_lo
	s_add_i32 s7, s7, 1
	s_cmp_lg_u32 s1, s7
	s_cbranch_scc1 .LBB88_610
.LBB88_611:
	s_inst_prefetch 0x2
	s_waitcnt lgkmcnt(0)
	v_cmp_eq_f64_e32 vcc_lo, 0, v[182:183]
	v_cmp_eq_f64_e64 s0, 0, v[184:185]
	s_and_b32 s0, vcc_lo, s0
	s_and_saveexec_b32 s7, s0
	s_xor_b32 s0, exec_lo, s7
; %bb.612:
	v_cmp_ne_u32_e32 vcc_lo, 0, v195
	v_cndmask_b32_e32 v195, 30, v195, vcc_lo
; %bb.613:
	s_andn2_saveexec_b32 s0, s0
	s_cbranch_execz .LBB88_619
; %bb.614:
	v_cmp_ngt_f64_e64 s7, |v[182:183]|, |v[184:185]|
	s_and_saveexec_b32 s8, s7
	s_xor_b32 s7, exec_lo, s8
	s_cbranch_execz .LBB88_616
; %bb.615:
	v_div_scale_f64 v[197:198], null, v[184:185], v[184:185], v[182:183]
	v_div_scale_f64 v[203:204], vcc_lo, v[182:183], v[184:185], v[182:183]
	v_rcp_f64_e32 v[199:200], v[197:198]
	v_fma_f64 v[201:202], -v[197:198], v[199:200], 1.0
	v_fma_f64 v[199:200], v[199:200], v[201:202], v[199:200]
	v_fma_f64 v[201:202], -v[197:198], v[199:200], 1.0
	v_fma_f64 v[199:200], v[199:200], v[201:202], v[199:200]
	v_mul_f64 v[201:202], v[203:204], v[199:200]
	v_fma_f64 v[197:198], -v[197:198], v[201:202], v[203:204]
	v_div_fmas_f64 v[197:198], v[197:198], v[199:200], v[201:202]
	v_div_fixup_f64 v[197:198], v[197:198], v[184:185], v[182:183]
	v_fma_f64 v[182:183], v[182:183], v[197:198], v[184:185]
	v_div_scale_f64 v[184:185], null, v[182:183], v[182:183], 1.0
	v_rcp_f64_e32 v[199:200], v[184:185]
	v_fma_f64 v[201:202], -v[184:185], v[199:200], 1.0
	v_fma_f64 v[199:200], v[199:200], v[201:202], v[199:200]
	v_fma_f64 v[201:202], -v[184:185], v[199:200], 1.0
	v_fma_f64 v[199:200], v[199:200], v[201:202], v[199:200]
	v_div_scale_f64 v[201:202], vcc_lo, 1.0, v[182:183], 1.0
	v_mul_f64 v[203:204], v[201:202], v[199:200]
	v_fma_f64 v[184:185], -v[184:185], v[203:204], v[201:202]
	v_div_fmas_f64 v[184:185], v[184:185], v[199:200], v[203:204]
	v_div_fixup_f64 v[184:185], v[184:185], v[182:183], 1.0
	v_mul_f64 v[182:183], v[197:198], v[184:185]
	v_xor_b32_e32 v185, 0x80000000, v185
.LBB88_616:
	s_andn2_saveexec_b32 s7, s7
	s_cbranch_execz .LBB88_618
; %bb.617:
	v_div_scale_f64 v[197:198], null, v[182:183], v[182:183], v[184:185]
	v_div_scale_f64 v[203:204], vcc_lo, v[184:185], v[182:183], v[184:185]
	v_rcp_f64_e32 v[199:200], v[197:198]
	v_fma_f64 v[201:202], -v[197:198], v[199:200], 1.0
	v_fma_f64 v[199:200], v[199:200], v[201:202], v[199:200]
	v_fma_f64 v[201:202], -v[197:198], v[199:200], 1.0
	v_fma_f64 v[199:200], v[199:200], v[201:202], v[199:200]
	v_mul_f64 v[201:202], v[203:204], v[199:200]
	v_fma_f64 v[197:198], -v[197:198], v[201:202], v[203:204]
	v_div_fmas_f64 v[197:198], v[197:198], v[199:200], v[201:202]
	v_div_fixup_f64 v[197:198], v[197:198], v[182:183], v[184:185]
	v_fma_f64 v[182:183], v[184:185], v[197:198], v[182:183]
	v_div_scale_f64 v[184:185], null, v[182:183], v[182:183], 1.0
	v_rcp_f64_e32 v[199:200], v[184:185]
	v_fma_f64 v[201:202], -v[184:185], v[199:200], 1.0
	v_fma_f64 v[199:200], v[199:200], v[201:202], v[199:200]
	v_fma_f64 v[201:202], -v[184:185], v[199:200], 1.0
	v_fma_f64 v[199:200], v[199:200], v[201:202], v[199:200]
	v_div_scale_f64 v[201:202], vcc_lo, 1.0, v[182:183], 1.0
	v_mul_f64 v[203:204], v[201:202], v[199:200]
	v_fma_f64 v[184:185], -v[184:185], v[203:204], v[201:202]
	v_div_fmas_f64 v[184:185], v[184:185], v[199:200], v[203:204]
	v_div_fixup_f64 v[182:183], v[184:185], v[182:183], 1.0
	v_mul_f64 v[184:185], v[197:198], -v[182:183]
.LBB88_618:
	s_or_b32 exec_lo, exec_lo, s7
.LBB88_619:
	s_or_b32 exec_lo, exec_lo, s0
	s_mov_b32 s0, exec_lo
	v_cmpx_ne_u32_e64 v196, v190
	s_xor_b32 s0, exec_lo, s0
	s_cbranch_execz .LBB88_625
; %bb.620:
	s_mov_b32 s7, exec_lo
	v_cmpx_eq_u32_e32 29, v196
	s_cbranch_execz .LBB88_624
; %bb.621:
	v_cmp_ne_u32_e32 vcc_lo, 29, v190
	s_xor_b32 s8, s16, -1
	s_and_b32 s9, s8, vcc_lo
	s_and_saveexec_b32 s8, s9
	s_cbranch_execz .LBB88_623
; %bb.622:
	v_ashrrev_i32_e32 v191, 31, v190
	v_lshlrev_b64 v[196:197], 2, v[190:191]
	v_add_co_u32 v196, vcc_lo, v188, v196
	v_add_co_ci_u32_e64 v197, null, v189, v197, vcc_lo
	s_clause 0x1
	global_load_dword v0, v[196:197], off
	global_load_dword v191, v[188:189], off offset:116
	s_waitcnt vmcnt(1)
	global_store_dword v[188:189], v0, off offset:116
	s_waitcnt vmcnt(0)
	global_store_dword v[196:197], v191, off
.LBB88_623:
	s_or_b32 exec_lo, exec_lo, s8
	v_mov_b32_e32 v196, v190
	v_mov_b32_e32 v0, v190
.LBB88_624:
	s_or_b32 exec_lo, exec_lo, s7
.LBB88_625:
	s_andn2_saveexec_b32 s0, s0
	s_cbranch_execz .LBB88_627
; %bb.626:
	v_mov_b32_e32 v196, 29
	ds_write2_b64 v1, v[54:55], v[56:57] offset0:60 offset1:61
	ds_write2_b64 v1, v[50:51], v[52:53] offset0:62 offset1:63
	;; [unrolled: 1-line block ×15, first 2 shown]
.LBB88_627:
	s_or_b32 exec_lo, exec_lo, s0
	s_mov_b32 s0, exec_lo
	s_waitcnt lgkmcnt(0)
	s_waitcnt_vscnt null, 0x0
	s_barrier
	buffer_gl0_inv
	v_cmpx_lt_i32_e32 29, v196
	s_cbranch_execz .LBB88_629
; %bb.628:
	v_mul_f64 v[190:191], v[182:183], v[64:65]
	v_mul_f64 v[64:65], v[184:185], v[64:65]
	v_fma_f64 v[190:191], v[184:185], v[62:63], v[190:191]
	v_fma_f64 v[62:63], v[182:183], v[62:63], -v[64:65]
	ds_read2_b64 v[182:185], v1 offset0:60 offset1:61
	s_waitcnt lgkmcnt(0)
	v_mul_f64 v[64:65], v[184:185], v[190:191]
	v_fma_f64 v[64:65], v[182:183], v[62:63], -v[64:65]
	v_mul_f64 v[182:183], v[182:183], v[190:191]
	v_add_f64 v[54:55], v[54:55], -v[64:65]
	v_fma_f64 v[182:183], v[184:185], v[62:63], v[182:183]
	v_add_f64 v[56:57], v[56:57], -v[182:183]
	ds_read2_b64 v[182:185], v1 offset0:62 offset1:63
	s_waitcnt lgkmcnt(0)
	v_mul_f64 v[64:65], v[184:185], v[190:191]
	v_fma_f64 v[64:65], v[182:183], v[62:63], -v[64:65]
	v_mul_f64 v[182:183], v[182:183], v[190:191]
	v_add_f64 v[50:51], v[50:51], -v[64:65]
	v_fma_f64 v[182:183], v[184:185], v[62:63], v[182:183]
	v_add_f64 v[52:53], v[52:53], -v[182:183]
	ds_read2_b64 v[182:185], v1 offset0:64 offset1:65
	s_waitcnt lgkmcnt(0)
	v_mul_f64 v[64:65], v[184:185], v[190:191]
	v_fma_f64 v[64:65], v[182:183], v[62:63], -v[64:65]
	v_mul_f64 v[182:183], v[182:183], v[190:191]
	v_add_f64 v[58:59], v[58:59], -v[64:65]
	v_fma_f64 v[182:183], v[184:185], v[62:63], v[182:183]
	v_add_f64 v[60:61], v[60:61], -v[182:183]
	ds_read2_b64 v[182:185], v1 offset0:66 offset1:67
	s_waitcnt lgkmcnt(0)
	v_mul_f64 v[64:65], v[184:185], v[190:191]
	v_fma_f64 v[64:65], v[182:183], v[62:63], -v[64:65]
	v_mul_f64 v[182:183], v[182:183], v[190:191]
	v_add_f64 v[42:43], v[42:43], -v[64:65]
	v_fma_f64 v[182:183], v[184:185], v[62:63], v[182:183]
	v_add_f64 v[44:45], v[44:45], -v[182:183]
	ds_read2_b64 v[182:185], v1 offset0:68 offset1:69
	s_waitcnt lgkmcnt(0)
	v_mul_f64 v[64:65], v[184:185], v[190:191]
	v_fma_f64 v[64:65], v[182:183], v[62:63], -v[64:65]
	v_mul_f64 v[182:183], v[182:183], v[190:191]
	v_add_f64 v[46:47], v[46:47], -v[64:65]
	v_fma_f64 v[182:183], v[184:185], v[62:63], v[182:183]
	v_add_f64 v[48:49], v[48:49], -v[182:183]
	ds_read2_b64 v[182:185], v1 offset0:70 offset1:71
	s_waitcnt lgkmcnt(0)
	v_mul_f64 v[64:65], v[184:185], v[190:191]
	v_fma_f64 v[64:65], v[182:183], v[62:63], -v[64:65]
	v_mul_f64 v[182:183], v[182:183], v[190:191]
	v_add_f64 v[30:31], v[30:31], -v[64:65]
	v_fma_f64 v[182:183], v[184:185], v[62:63], v[182:183]
	v_add_f64 v[32:33], v[32:33], -v[182:183]
	ds_read2_b64 v[182:185], v1 offset0:72 offset1:73
	s_waitcnt lgkmcnt(0)
	v_mul_f64 v[64:65], v[184:185], v[190:191]
	v_fma_f64 v[64:65], v[182:183], v[62:63], -v[64:65]
	v_mul_f64 v[182:183], v[182:183], v[190:191]
	v_add_f64 v[38:39], v[38:39], -v[64:65]
	v_fma_f64 v[182:183], v[184:185], v[62:63], v[182:183]
	v_add_f64 v[40:41], v[40:41], -v[182:183]
	ds_read2_b64 v[182:185], v1 offset0:74 offset1:75
	s_waitcnt lgkmcnt(0)
	v_mul_f64 v[64:65], v[184:185], v[190:191]
	v_fma_f64 v[64:65], v[182:183], v[62:63], -v[64:65]
	v_mul_f64 v[182:183], v[182:183], v[190:191]
	v_add_f64 v[34:35], v[34:35], -v[64:65]
	v_fma_f64 v[182:183], v[184:185], v[62:63], v[182:183]
	v_add_f64 v[36:37], v[36:37], -v[182:183]
	ds_read2_b64 v[182:185], v1 offset0:76 offset1:77
	s_waitcnt lgkmcnt(0)
	v_mul_f64 v[64:65], v[184:185], v[190:191]
	v_fma_f64 v[64:65], v[182:183], v[62:63], -v[64:65]
	v_mul_f64 v[182:183], v[182:183], v[190:191]
	v_add_f64 v[26:27], v[26:27], -v[64:65]
	v_fma_f64 v[182:183], v[184:185], v[62:63], v[182:183]
	v_add_f64 v[28:29], v[28:29], -v[182:183]
	ds_read2_b64 v[182:185], v1 offset0:78 offset1:79
	s_waitcnt lgkmcnt(0)
	v_mul_f64 v[64:65], v[184:185], v[190:191]
	v_fma_f64 v[64:65], v[182:183], v[62:63], -v[64:65]
	v_mul_f64 v[182:183], v[182:183], v[190:191]
	v_add_f64 v[22:23], v[22:23], -v[64:65]
	v_fma_f64 v[182:183], v[184:185], v[62:63], v[182:183]
	v_add_f64 v[24:25], v[24:25], -v[182:183]
	ds_read2_b64 v[182:185], v1 offset0:80 offset1:81
	s_waitcnt lgkmcnt(0)
	v_mul_f64 v[64:65], v[184:185], v[190:191]
	v_fma_f64 v[64:65], v[182:183], v[62:63], -v[64:65]
	v_mul_f64 v[182:183], v[182:183], v[190:191]
	v_add_f64 v[18:19], v[18:19], -v[64:65]
	v_fma_f64 v[182:183], v[184:185], v[62:63], v[182:183]
	v_add_f64 v[20:21], v[20:21], -v[182:183]
	ds_read2_b64 v[182:185], v1 offset0:82 offset1:83
	s_waitcnt lgkmcnt(0)
	v_mul_f64 v[64:65], v[184:185], v[190:191]
	v_fma_f64 v[64:65], v[182:183], v[62:63], -v[64:65]
	v_mul_f64 v[182:183], v[182:183], v[190:191]
	v_add_f64 v[14:15], v[14:15], -v[64:65]
	v_fma_f64 v[182:183], v[184:185], v[62:63], v[182:183]
	v_add_f64 v[16:17], v[16:17], -v[182:183]
	ds_read2_b64 v[182:185], v1 offset0:84 offset1:85
	s_waitcnt lgkmcnt(0)
	v_mul_f64 v[64:65], v[184:185], v[190:191]
	v_fma_f64 v[64:65], v[182:183], v[62:63], -v[64:65]
	v_mul_f64 v[182:183], v[182:183], v[190:191]
	v_add_f64 v[10:11], v[10:11], -v[64:65]
	v_fma_f64 v[182:183], v[184:185], v[62:63], v[182:183]
	v_add_f64 v[12:13], v[12:13], -v[182:183]
	ds_read2_b64 v[182:185], v1 offset0:86 offset1:87
	s_waitcnt lgkmcnt(0)
	v_mul_f64 v[64:65], v[184:185], v[190:191]
	v_fma_f64 v[64:65], v[182:183], v[62:63], -v[64:65]
	v_mul_f64 v[182:183], v[182:183], v[190:191]
	v_add_f64 v[6:7], v[6:7], -v[64:65]
	v_fma_f64 v[182:183], v[184:185], v[62:63], v[182:183]
	v_add_f64 v[8:9], v[8:9], -v[182:183]
	ds_read2_b64 v[182:185], v1 offset0:88 offset1:89
	s_waitcnt lgkmcnt(0)
	v_mul_f64 v[64:65], v[184:185], v[190:191]
	v_fma_f64 v[64:65], v[182:183], v[62:63], -v[64:65]
	v_mul_f64 v[182:183], v[182:183], v[190:191]
	v_add_f64 v[2:3], v[2:3], -v[64:65]
	v_fma_f64 v[182:183], v[184:185], v[62:63], v[182:183]
	v_mov_b32_e32 v64, v190
	v_mov_b32_e32 v65, v191
	v_add_f64 v[4:5], v[4:5], -v[182:183]
.LBB88_629:
	s_or_b32 exec_lo, exec_lo, s0
	v_lshl_add_u32 v182, v196, 4, v1
	s_barrier
	buffer_gl0_inv
	v_mov_b32_e32 v190, 30
	ds_write2_b64 v182, v[54:55], v[56:57] offset1:1
	s_waitcnt lgkmcnt(0)
	s_barrier
	buffer_gl0_inv
	ds_read2_b64 v[182:185], v1 offset0:60 offset1:61
	s_cmp_lt_i32 s1, 32
	s_cbranch_scc1 .LBB88_632
; %bb.630:
	v_add3_u32 v191, v192, 0, 0x1f0
	v_mov_b32_e32 v190, 30
	s_mov_b32 s7, 31
	s_inst_prefetch 0x1
	.p2align	6
.LBB88_631:                             ; =>This Inner Loop Header: Depth=1
	s_waitcnt lgkmcnt(0)
	v_cmp_gt_f64_e32 vcc_lo, 0, v[184:185]
	v_cmp_gt_f64_e64 s0, 0, v[182:183]
	ds_read2_b64 v[197:200], v191 offset1:1
	v_xor_b32_e32 v202, 0x80000000, v183
	v_xor_b32_e32 v204, 0x80000000, v185
	v_mov_b32_e32 v201, v182
	v_mov_b32_e32 v203, v184
	v_add_nc_u32_e32 v191, 16, v191
	s_waitcnt lgkmcnt(0)
	v_xor_b32_e32 v206, 0x80000000, v200
	v_cndmask_b32_e64 v202, v183, v202, s0
	v_cndmask_b32_e32 v204, v185, v204, vcc_lo
	v_cmp_gt_f64_e32 vcc_lo, 0, v[199:200]
	v_cmp_gt_f64_e64 s0, 0, v[197:198]
	v_mov_b32_e32 v205, v199
	v_add_f64 v[201:202], v[201:202], v[203:204]
	v_xor_b32_e32 v204, 0x80000000, v198
	v_mov_b32_e32 v203, v197
	v_cndmask_b32_e32 v206, v200, v206, vcc_lo
	v_cndmask_b32_e64 v204, v198, v204, s0
	v_add_f64 v[203:204], v[203:204], v[205:206]
	v_cmp_lt_f64_e32 vcc_lo, v[201:202], v[203:204]
	v_cndmask_b32_e32 v183, v183, v198, vcc_lo
	v_cndmask_b32_e32 v182, v182, v197, vcc_lo
	v_cndmask_b32_e32 v185, v185, v200, vcc_lo
	v_cndmask_b32_e32 v184, v184, v199, vcc_lo
	v_cndmask_b32_e64 v190, v190, s7, vcc_lo
	s_add_i32 s7, s7, 1
	s_cmp_lg_u32 s1, s7
	s_cbranch_scc1 .LBB88_631
.LBB88_632:
	s_inst_prefetch 0x2
	s_waitcnt lgkmcnt(0)
	v_cmp_eq_f64_e32 vcc_lo, 0, v[182:183]
	v_cmp_eq_f64_e64 s0, 0, v[184:185]
	s_and_b32 s0, vcc_lo, s0
	s_and_saveexec_b32 s7, s0
	s_xor_b32 s0, exec_lo, s7
; %bb.633:
	v_cmp_ne_u32_e32 vcc_lo, 0, v195
	v_cndmask_b32_e32 v195, 31, v195, vcc_lo
; %bb.634:
	s_andn2_saveexec_b32 s0, s0
	s_cbranch_execz .LBB88_640
; %bb.635:
	v_cmp_ngt_f64_e64 s7, |v[182:183]|, |v[184:185]|
	s_and_saveexec_b32 s8, s7
	s_xor_b32 s7, exec_lo, s8
	s_cbranch_execz .LBB88_637
; %bb.636:
	v_div_scale_f64 v[197:198], null, v[184:185], v[184:185], v[182:183]
	v_div_scale_f64 v[203:204], vcc_lo, v[182:183], v[184:185], v[182:183]
	v_rcp_f64_e32 v[199:200], v[197:198]
	v_fma_f64 v[201:202], -v[197:198], v[199:200], 1.0
	v_fma_f64 v[199:200], v[199:200], v[201:202], v[199:200]
	v_fma_f64 v[201:202], -v[197:198], v[199:200], 1.0
	v_fma_f64 v[199:200], v[199:200], v[201:202], v[199:200]
	v_mul_f64 v[201:202], v[203:204], v[199:200]
	v_fma_f64 v[197:198], -v[197:198], v[201:202], v[203:204]
	v_div_fmas_f64 v[197:198], v[197:198], v[199:200], v[201:202]
	v_div_fixup_f64 v[197:198], v[197:198], v[184:185], v[182:183]
	v_fma_f64 v[182:183], v[182:183], v[197:198], v[184:185]
	v_div_scale_f64 v[184:185], null, v[182:183], v[182:183], 1.0
	v_rcp_f64_e32 v[199:200], v[184:185]
	v_fma_f64 v[201:202], -v[184:185], v[199:200], 1.0
	v_fma_f64 v[199:200], v[199:200], v[201:202], v[199:200]
	v_fma_f64 v[201:202], -v[184:185], v[199:200], 1.0
	v_fma_f64 v[199:200], v[199:200], v[201:202], v[199:200]
	v_div_scale_f64 v[201:202], vcc_lo, 1.0, v[182:183], 1.0
	v_mul_f64 v[203:204], v[201:202], v[199:200]
	v_fma_f64 v[184:185], -v[184:185], v[203:204], v[201:202]
	v_div_fmas_f64 v[184:185], v[184:185], v[199:200], v[203:204]
	v_div_fixup_f64 v[184:185], v[184:185], v[182:183], 1.0
	v_mul_f64 v[182:183], v[197:198], v[184:185]
	v_xor_b32_e32 v185, 0x80000000, v185
.LBB88_637:
	s_andn2_saveexec_b32 s7, s7
	s_cbranch_execz .LBB88_639
; %bb.638:
	v_div_scale_f64 v[197:198], null, v[182:183], v[182:183], v[184:185]
	v_div_scale_f64 v[203:204], vcc_lo, v[184:185], v[182:183], v[184:185]
	v_rcp_f64_e32 v[199:200], v[197:198]
	v_fma_f64 v[201:202], -v[197:198], v[199:200], 1.0
	v_fma_f64 v[199:200], v[199:200], v[201:202], v[199:200]
	v_fma_f64 v[201:202], -v[197:198], v[199:200], 1.0
	v_fma_f64 v[199:200], v[199:200], v[201:202], v[199:200]
	v_mul_f64 v[201:202], v[203:204], v[199:200]
	v_fma_f64 v[197:198], -v[197:198], v[201:202], v[203:204]
	v_div_fmas_f64 v[197:198], v[197:198], v[199:200], v[201:202]
	v_div_fixup_f64 v[197:198], v[197:198], v[182:183], v[184:185]
	v_fma_f64 v[182:183], v[184:185], v[197:198], v[182:183]
	v_div_scale_f64 v[184:185], null, v[182:183], v[182:183], 1.0
	v_rcp_f64_e32 v[199:200], v[184:185]
	v_fma_f64 v[201:202], -v[184:185], v[199:200], 1.0
	v_fma_f64 v[199:200], v[199:200], v[201:202], v[199:200]
	v_fma_f64 v[201:202], -v[184:185], v[199:200], 1.0
	v_fma_f64 v[199:200], v[199:200], v[201:202], v[199:200]
	v_div_scale_f64 v[201:202], vcc_lo, 1.0, v[182:183], 1.0
	v_mul_f64 v[203:204], v[201:202], v[199:200]
	v_fma_f64 v[184:185], -v[184:185], v[203:204], v[201:202]
	v_div_fmas_f64 v[184:185], v[184:185], v[199:200], v[203:204]
	v_div_fixup_f64 v[182:183], v[184:185], v[182:183], 1.0
	v_mul_f64 v[184:185], v[197:198], -v[182:183]
.LBB88_639:
	s_or_b32 exec_lo, exec_lo, s7
.LBB88_640:
	s_or_b32 exec_lo, exec_lo, s0
	s_mov_b32 s0, exec_lo
	v_cmpx_ne_u32_e64 v196, v190
	s_xor_b32 s0, exec_lo, s0
	s_cbranch_execz .LBB88_646
; %bb.641:
	s_mov_b32 s7, exec_lo
	v_cmpx_eq_u32_e32 30, v196
	s_cbranch_execz .LBB88_645
; %bb.642:
	v_cmp_ne_u32_e32 vcc_lo, 30, v190
	s_xor_b32 s8, s16, -1
	s_and_b32 s9, s8, vcc_lo
	s_and_saveexec_b32 s8, s9
	s_cbranch_execz .LBB88_644
; %bb.643:
	v_ashrrev_i32_e32 v191, 31, v190
	v_lshlrev_b64 v[196:197], 2, v[190:191]
	v_add_co_u32 v196, vcc_lo, v188, v196
	v_add_co_ci_u32_e64 v197, null, v189, v197, vcc_lo
	s_clause 0x1
	global_load_dword v0, v[196:197], off
	global_load_dword v191, v[188:189], off offset:120
	s_waitcnt vmcnt(1)
	global_store_dword v[188:189], v0, off offset:120
	s_waitcnt vmcnt(0)
	global_store_dword v[196:197], v191, off
.LBB88_644:
	s_or_b32 exec_lo, exec_lo, s8
	v_mov_b32_e32 v196, v190
	v_mov_b32_e32 v0, v190
.LBB88_645:
	s_or_b32 exec_lo, exec_lo, s7
.LBB88_646:
	s_andn2_saveexec_b32 s0, s0
	s_cbranch_execz .LBB88_648
; %bb.647:
	v_mov_b32_e32 v196, 30
	ds_write2_b64 v1, v[50:51], v[52:53] offset0:62 offset1:63
	ds_write2_b64 v1, v[58:59], v[60:61] offset0:64 offset1:65
	;; [unrolled: 1-line block ×14, first 2 shown]
.LBB88_648:
	s_or_b32 exec_lo, exec_lo, s0
	s_mov_b32 s0, exec_lo
	s_waitcnt lgkmcnt(0)
	s_waitcnt_vscnt null, 0x0
	s_barrier
	buffer_gl0_inv
	v_cmpx_lt_i32_e32 30, v196
	s_cbranch_execz .LBB88_650
; %bb.649:
	v_mul_f64 v[190:191], v[182:183], v[56:57]
	v_mul_f64 v[56:57], v[184:185], v[56:57]
	v_fma_f64 v[190:191], v[184:185], v[54:55], v[190:191]
	v_fma_f64 v[54:55], v[182:183], v[54:55], -v[56:57]
	ds_read2_b64 v[182:185], v1 offset0:62 offset1:63
	s_waitcnt lgkmcnt(0)
	v_mul_f64 v[56:57], v[184:185], v[190:191]
	v_fma_f64 v[56:57], v[182:183], v[54:55], -v[56:57]
	v_mul_f64 v[182:183], v[182:183], v[190:191]
	v_add_f64 v[50:51], v[50:51], -v[56:57]
	v_fma_f64 v[182:183], v[184:185], v[54:55], v[182:183]
	v_add_f64 v[52:53], v[52:53], -v[182:183]
	ds_read2_b64 v[182:185], v1 offset0:64 offset1:65
	s_waitcnt lgkmcnt(0)
	v_mul_f64 v[56:57], v[184:185], v[190:191]
	v_fma_f64 v[56:57], v[182:183], v[54:55], -v[56:57]
	v_mul_f64 v[182:183], v[182:183], v[190:191]
	v_add_f64 v[58:59], v[58:59], -v[56:57]
	v_fma_f64 v[182:183], v[184:185], v[54:55], v[182:183]
	v_add_f64 v[60:61], v[60:61], -v[182:183]
	;; [unrolled: 8-line block ×13, first 2 shown]
	ds_read2_b64 v[182:185], v1 offset0:88 offset1:89
	s_waitcnt lgkmcnt(0)
	v_mul_f64 v[56:57], v[184:185], v[190:191]
	v_fma_f64 v[56:57], v[182:183], v[54:55], -v[56:57]
	v_mul_f64 v[182:183], v[182:183], v[190:191]
	v_add_f64 v[2:3], v[2:3], -v[56:57]
	v_fma_f64 v[182:183], v[184:185], v[54:55], v[182:183]
	v_mov_b32_e32 v56, v190
	v_mov_b32_e32 v57, v191
	v_add_f64 v[4:5], v[4:5], -v[182:183]
.LBB88_650:
	s_or_b32 exec_lo, exec_lo, s0
	v_lshl_add_u32 v182, v196, 4, v1
	s_barrier
	buffer_gl0_inv
	v_mov_b32_e32 v190, 31
	ds_write2_b64 v182, v[50:51], v[52:53] offset1:1
	s_waitcnt lgkmcnt(0)
	s_barrier
	buffer_gl0_inv
	ds_read2_b64 v[182:185], v1 offset0:62 offset1:63
	s_cmp_lt_i32 s1, 33
	s_cbranch_scc1 .LBB88_653
; %bb.651:
	v_add3_u32 v191, v192, 0, 0x200
	v_mov_b32_e32 v190, 31
	s_mov_b32 s7, 32
	s_inst_prefetch 0x1
	.p2align	6
.LBB88_652:                             ; =>This Inner Loop Header: Depth=1
	s_waitcnt lgkmcnt(0)
	v_cmp_gt_f64_e32 vcc_lo, 0, v[184:185]
	v_cmp_gt_f64_e64 s0, 0, v[182:183]
	ds_read2_b64 v[197:200], v191 offset1:1
	v_xor_b32_e32 v202, 0x80000000, v183
	v_xor_b32_e32 v204, 0x80000000, v185
	v_mov_b32_e32 v201, v182
	v_mov_b32_e32 v203, v184
	v_add_nc_u32_e32 v191, 16, v191
	s_waitcnt lgkmcnt(0)
	v_xor_b32_e32 v206, 0x80000000, v200
	v_cndmask_b32_e64 v202, v183, v202, s0
	v_cndmask_b32_e32 v204, v185, v204, vcc_lo
	v_cmp_gt_f64_e32 vcc_lo, 0, v[199:200]
	v_cmp_gt_f64_e64 s0, 0, v[197:198]
	v_mov_b32_e32 v205, v199
	v_add_f64 v[201:202], v[201:202], v[203:204]
	v_xor_b32_e32 v204, 0x80000000, v198
	v_mov_b32_e32 v203, v197
	v_cndmask_b32_e32 v206, v200, v206, vcc_lo
	v_cndmask_b32_e64 v204, v198, v204, s0
	v_add_f64 v[203:204], v[203:204], v[205:206]
	v_cmp_lt_f64_e32 vcc_lo, v[201:202], v[203:204]
	v_cndmask_b32_e32 v183, v183, v198, vcc_lo
	v_cndmask_b32_e32 v182, v182, v197, vcc_lo
	;; [unrolled: 1-line block ×4, first 2 shown]
	v_cndmask_b32_e64 v190, v190, s7, vcc_lo
	s_add_i32 s7, s7, 1
	s_cmp_lg_u32 s1, s7
	s_cbranch_scc1 .LBB88_652
.LBB88_653:
	s_inst_prefetch 0x2
	s_waitcnt lgkmcnt(0)
	v_cmp_eq_f64_e32 vcc_lo, 0, v[182:183]
	v_cmp_eq_f64_e64 s0, 0, v[184:185]
	s_and_b32 s0, vcc_lo, s0
	s_and_saveexec_b32 s7, s0
	s_xor_b32 s0, exec_lo, s7
; %bb.654:
	v_cmp_ne_u32_e32 vcc_lo, 0, v195
	v_cndmask_b32_e32 v195, 32, v195, vcc_lo
; %bb.655:
	s_andn2_saveexec_b32 s0, s0
	s_cbranch_execz .LBB88_661
; %bb.656:
	v_cmp_ngt_f64_e64 s7, |v[182:183]|, |v[184:185]|
	s_and_saveexec_b32 s8, s7
	s_xor_b32 s7, exec_lo, s8
	s_cbranch_execz .LBB88_658
; %bb.657:
	v_div_scale_f64 v[197:198], null, v[184:185], v[184:185], v[182:183]
	v_div_scale_f64 v[203:204], vcc_lo, v[182:183], v[184:185], v[182:183]
	v_rcp_f64_e32 v[199:200], v[197:198]
	v_fma_f64 v[201:202], -v[197:198], v[199:200], 1.0
	v_fma_f64 v[199:200], v[199:200], v[201:202], v[199:200]
	v_fma_f64 v[201:202], -v[197:198], v[199:200], 1.0
	v_fma_f64 v[199:200], v[199:200], v[201:202], v[199:200]
	v_mul_f64 v[201:202], v[203:204], v[199:200]
	v_fma_f64 v[197:198], -v[197:198], v[201:202], v[203:204]
	v_div_fmas_f64 v[197:198], v[197:198], v[199:200], v[201:202]
	v_div_fixup_f64 v[197:198], v[197:198], v[184:185], v[182:183]
	v_fma_f64 v[182:183], v[182:183], v[197:198], v[184:185]
	v_div_scale_f64 v[184:185], null, v[182:183], v[182:183], 1.0
	v_rcp_f64_e32 v[199:200], v[184:185]
	v_fma_f64 v[201:202], -v[184:185], v[199:200], 1.0
	v_fma_f64 v[199:200], v[199:200], v[201:202], v[199:200]
	v_fma_f64 v[201:202], -v[184:185], v[199:200], 1.0
	v_fma_f64 v[199:200], v[199:200], v[201:202], v[199:200]
	v_div_scale_f64 v[201:202], vcc_lo, 1.0, v[182:183], 1.0
	v_mul_f64 v[203:204], v[201:202], v[199:200]
	v_fma_f64 v[184:185], -v[184:185], v[203:204], v[201:202]
	v_div_fmas_f64 v[184:185], v[184:185], v[199:200], v[203:204]
	v_div_fixup_f64 v[184:185], v[184:185], v[182:183], 1.0
	v_mul_f64 v[182:183], v[197:198], v[184:185]
	v_xor_b32_e32 v185, 0x80000000, v185
.LBB88_658:
	s_andn2_saveexec_b32 s7, s7
	s_cbranch_execz .LBB88_660
; %bb.659:
	v_div_scale_f64 v[197:198], null, v[182:183], v[182:183], v[184:185]
	v_div_scale_f64 v[203:204], vcc_lo, v[184:185], v[182:183], v[184:185]
	v_rcp_f64_e32 v[199:200], v[197:198]
	v_fma_f64 v[201:202], -v[197:198], v[199:200], 1.0
	v_fma_f64 v[199:200], v[199:200], v[201:202], v[199:200]
	v_fma_f64 v[201:202], -v[197:198], v[199:200], 1.0
	v_fma_f64 v[199:200], v[199:200], v[201:202], v[199:200]
	v_mul_f64 v[201:202], v[203:204], v[199:200]
	v_fma_f64 v[197:198], -v[197:198], v[201:202], v[203:204]
	v_div_fmas_f64 v[197:198], v[197:198], v[199:200], v[201:202]
	v_div_fixup_f64 v[197:198], v[197:198], v[182:183], v[184:185]
	v_fma_f64 v[182:183], v[184:185], v[197:198], v[182:183]
	v_div_scale_f64 v[184:185], null, v[182:183], v[182:183], 1.0
	v_rcp_f64_e32 v[199:200], v[184:185]
	v_fma_f64 v[201:202], -v[184:185], v[199:200], 1.0
	v_fma_f64 v[199:200], v[199:200], v[201:202], v[199:200]
	v_fma_f64 v[201:202], -v[184:185], v[199:200], 1.0
	v_fma_f64 v[199:200], v[199:200], v[201:202], v[199:200]
	v_div_scale_f64 v[201:202], vcc_lo, 1.0, v[182:183], 1.0
	v_mul_f64 v[203:204], v[201:202], v[199:200]
	v_fma_f64 v[184:185], -v[184:185], v[203:204], v[201:202]
	v_div_fmas_f64 v[184:185], v[184:185], v[199:200], v[203:204]
	v_div_fixup_f64 v[182:183], v[184:185], v[182:183], 1.0
	v_mul_f64 v[184:185], v[197:198], -v[182:183]
.LBB88_660:
	s_or_b32 exec_lo, exec_lo, s7
.LBB88_661:
	s_or_b32 exec_lo, exec_lo, s0
	s_mov_b32 s0, exec_lo
	v_cmpx_ne_u32_e64 v196, v190
	s_xor_b32 s0, exec_lo, s0
	s_cbranch_execz .LBB88_667
; %bb.662:
	s_mov_b32 s7, exec_lo
	v_cmpx_eq_u32_e32 31, v196
	s_cbranch_execz .LBB88_666
; %bb.663:
	v_cmp_ne_u32_e32 vcc_lo, 31, v190
	s_xor_b32 s8, s16, -1
	s_and_b32 s9, s8, vcc_lo
	s_and_saveexec_b32 s8, s9
	s_cbranch_execz .LBB88_665
; %bb.664:
	v_ashrrev_i32_e32 v191, 31, v190
	v_lshlrev_b64 v[196:197], 2, v[190:191]
	v_add_co_u32 v196, vcc_lo, v188, v196
	v_add_co_ci_u32_e64 v197, null, v189, v197, vcc_lo
	s_clause 0x1
	global_load_dword v0, v[196:197], off
	global_load_dword v191, v[188:189], off offset:124
	s_waitcnt vmcnt(1)
	global_store_dword v[188:189], v0, off offset:124
	s_waitcnt vmcnt(0)
	global_store_dword v[196:197], v191, off
.LBB88_665:
	s_or_b32 exec_lo, exec_lo, s8
	v_mov_b32_e32 v196, v190
	v_mov_b32_e32 v0, v190
.LBB88_666:
	s_or_b32 exec_lo, exec_lo, s7
.LBB88_667:
	s_andn2_saveexec_b32 s0, s0
	s_cbranch_execz .LBB88_669
; %bb.668:
	v_mov_b32_e32 v196, 31
	ds_write2_b64 v1, v[58:59], v[60:61] offset0:64 offset1:65
	ds_write2_b64 v1, v[42:43], v[44:45] offset0:66 offset1:67
	;; [unrolled: 1-line block ×13, first 2 shown]
.LBB88_669:
	s_or_b32 exec_lo, exec_lo, s0
	s_mov_b32 s0, exec_lo
	s_waitcnt lgkmcnt(0)
	s_waitcnt_vscnt null, 0x0
	s_barrier
	buffer_gl0_inv
	v_cmpx_lt_i32_e32 31, v196
	s_cbranch_execz .LBB88_671
; %bb.670:
	v_mul_f64 v[190:191], v[182:183], v[52:53]
	v_mul_f64 v[52:53], v[184:185], v[52:53]
	v_fma_f64 v[190:191], v[184:185], v[50:51], v[190:191]
	v_fma_f64 v[50:51], v[182:183], v[50:51], -v[52:53]
	ds_read2_b64 v[182:185], v1 offset0:64 offset1:65
	s_waitcnt lgkmcnt(0)
	v_mul_f64 v[52:53], v[184:185], v[190:191]
	v_fma_f64 v[52:53], v[182:183], v[50:51], -v[52:53]
	v_mul_f64 v[182:183], v[182:183], v[190:191]
	v_add_f64 v[58:59], v[58:59], -v[52:53]
	v_fma_f64 v[182:183], v[184:185], v[50:51], v[182:183]
	v_add_f64 v[60:61], v[60:61], -v[182:183]
	ds_read2_b64 v[182:185], v1 offset0:66 offset1:67
	s_waitcnt lgkmcnt(0)
	v_mul_f64 v[52:53], v[184:185], v[190:191]
	v_fma_f64 v[52:53], v[182:183], v[50:51], -v[52:53]
	v_mul_f64 v[182:183], v[182:183], v[190:191]
	v_add_f64 v[42:43], v[42:43], -v[52:53]
	v_fma_f64 v[182:183], v[184:185], v[50:51], v[182:183]
	v_add_f64 v[44:45], v[44:45], -v[182:183]
	;; [unrolled: 8-line block ×12, first 2 shown]
	ds_read2_b64 v[182:185], v1 offset0:88 offset1:89
	s_waitcnt lgkmcnt(0)
	v_mul_f64 v[52:53], v[184:185], v[190:191]
	v_fma_f64 v[52:53], v[182:183], v[50:51], -v[52:53]
	v_mul_f64 v[182:183], v[182:183], v[190:191]
	v_add_f64 v[2:3], v[2:3], -v[52:53]
	v_fma_f64 v[182:183], v[184:185], v[50:51], v[182:183]
	v_mov_b32_e32 v52, v190
	v_mov_b32_e32 v53, v191
	v_add_f64 v[4:5], v[4:5], -v[182:183]
.LBB88_671:
	s_or_b32 exec_lo, exec_lo, s0
	v_lshl_add_u32 v182, v196, 4, v1
	s_barrier
	buffer_gl0_inv
	v_mov_b32_e32 v190, 32
	ds_write2_b64 v182, v[58:59], v[60:61] offset1:1
	s_waitcnt lgkmcnt(0)
	s_barrier
	buffer_gl0_inv
	ds_read2_b64 v[182:185], v1 offset0:64 offset1:65
	s_cmp_lt_i32 s1, 34
	s_cbranch_scc1 .LBB88_674
; %bb.672:
	v_add3_u32 v191, v192, 0, 0x210
	v_mov_b32_e32 v190, 32
	s_mov_b32 s7, 33
	s_inst_prefetch 0x1
	.p2align	6
.LBB88_673:                             ; =>This Inner Loop Header: Depth=1
	s_waitcnt lgkmcnt(0)
	v_cmp_gt_f64_e32 vcc_lo, 0, v[184:185]
	v_cmp_gt_f64_e64 s0, 0, v[182:183]
	ds_read2_b64 v[197:200], v191 offset1:1
	v_xor_b32_e32 v202, 0x80000000, v183
	v_xor_b32_e32 v204, 0x80000000, v185
	v_mov_b32_e32 v201, v182
	v_mov_b32_e32 v203, v184
	v_add_nc_u32_e32 v191, 16, v191
	s_waitcnt lgkmcnt(0)
	v_xor_b32_e32 v206, 0x80000000, v200
	v_cndmask_b32_e64 v202, v183, v202, s0
	v_cndmask_b32_e32 v204, v185, v204, vcc_lo
	v_cmp_gt_f64_e32 vcc_lo, 0, v[199:200]
	v_cmp_gt_f64_e64 s0, 0, v[197:198]
	v_mov_b32_e32 v205, v199
	v_add_f64 v[201:202], v[201:202], v[203:204]
	v_xor_b32_e32 v204, 0x80000000, v198
	v_mov_b32_e32 v203, v197
	v_cndmask_b32_e32 v206, v200, v206, vcc_lo
	v_cndmask_b32_e64 v204, v198, v204, s0
	v_add_f64 v[203:204], v[203:204], v[205:206]
	v_cmp_lt_f64_e32 vcc_lo, v[201:202], v[203:204]
	v_cndmask_b32_e32 v183, v183, v198, vcc_lo
	v_cndmask_b32_e32 v182, v182, v197, vcc_lo
	;; [unrolled: 1-line block ×4, first 2 shown]
	v_cndmask_b32_e64 v190, v190, s7, vcc_lo
	s_add_i32 s7, s7, 1
	s_cmp_lg_u32 s1, s7
	s_cbranch_scc1 .LBB88_673
.LBB88_674:
	s_inst_prefetch 0x2
	s_waitcnt lgkmcnt(0)
	v_cmp_eq_f64_e32 vcc_lo, 0, v[182:183]
	v_cmp_eq_f64_e64 s0, 0, v[184:185]
	s_and_b32 s0, vcc_lo, s0
	s_and_saveexec_b32 s7, s0
	s_xor_b32 s0, exec_lo, s7
; %bb.675:
	v_cmp_ne_u32_e32 vcc_lo, 0, v195
	v_cndmask_b32_e32 v195, 33, v195, vcc_lo
; %bb.676:
	s_andn2_saveexec_b32 s0, s0
	s_cbranch_execz .LBB88_682
; %bb.677:
	v_cmp_ngt_f64_e64 s7, |v[182:183]|, |v[184:185]|
	s_and_saveexec_b32 s8, s7
	s_xor_b32 s7, exec_lo, s8
	s_cbranch_execz .LBB88_679
; %bb.678:
	v_div_scale_f64 v[197:198], null, v[184:185], v[184:185], v[182:183]
	v_div_scale_f64 v[203:204], vcc_lo, v[182:183], v[184:185], v[182:183]
	v_rcp_f64_e32 v[199:200], v[197:198]
	v_fma_f64 v[201:202], -v[197:198], v[199:200], 1.0
	v_fma_f64 v[199:200], v[199:200], v[201:202], v[199:200]
	v_fma_f64 v[201:202], -v[197:198], v[199:200], 1.0
	v_fma_f64 v[199:200], v[199:200], v[201:202], v[199:200]
	v_mul_f64 v[201:202], v[203:204], v[199:200]
	v_fma_f64 v[197:198], -v[197:198], v[201:202], v[203:204]
	v_div_fmas_f64 v[197:198], v[197:198], v[199:200], v[201:202]
	v_div_fixup_f64 v[197:198], v[197:198], v[184:185], v[182:183]
	v_fma_f64 v[182:183], v[182:183], v[197:198], v[184:185]
	v_div_scale_f64 v[184:185], null, v[182:183], v[182:183], 1.0
	v_rcp_f64_e32 v[199:200], v[184:185]
	v_fma_f64 v[201:202], -v[184:185], v[199:200], 1.0
	v_fma_f64 v[199:200], v[199:200], v[201:202], v[199:200]
	v_fma_f64 v[201:202], -v[184:185], v[199:200], 1.0
	v_fma_f64 v[199:200], v[199:200], v[201:202], v[199:200]
	v_div_scale_f64 v[201:202], vcc_lo, 1.0, v[182:183], 1.0
	v_mul_f64 v[203:204], v[201:202], v[199:200]
	v_fma_f64 v[184:185], -v[184:185], v[203:204], v[201:202]
	v_div_fmas_f64 v[184:185], v[184:185], v[199:200], v[203:204]
	v_div_fixup_f64 v[184:185], v[184:185], v[182:183], 1.0
	v_mul_f64 v[182:183], v[197:198], v[184:185]
	v_xor_b32_e32 v185, 0x80000000, v185
.LBB88_679:
	s_andn2_saveexec_b32 s7, s7
	s_cbranch_execz .LBB88_681
; %bb.680:
	v_div_scale_f64 v[197:198], null, v[182:183], v[182:183], v[184:185]
	v_div_scale_f64 v[203:204], vcc_lo, v[184:185], v[182:183], v[184:185]
	v_rcp_f64_e32 v[199:200], v[197:198]
	v_fma_f64 v[201:202], -v[197:198], v[199:200], 1.0
	v_fma_f64 v[199:200], v[199:200], v[201:202], v[199:200]
	v_fma_f64 v[201:202], -v[197:198], v[199:200], 1.0
	v_fma_f64 v[199:200], v[199:200], v[201:202], v[199:200]
	v_mul_f64 v[201:202], v[203:204], v[199:200]
	v_fma_f64 v[197:198], -v[197:198], v[201:202], v[203:204]
	v_div_fmas_f64 v[197:198], v[197:198], v[199:200], v[201:202]
	v_div_fixup_f64 v[197:198], v[197:198], v[182:183], v[184:185]
	v_fma_f64 v[182:183], v[184:185], v[197:198], v[182:183]
	v_div_scale_f64 v[184:185], null, v[182:183], v[182:183], 1.0
	v_rcp_f64_e32 v[199:200], v[184:185]
	v_fma_f64 v[201:202], -v[184:185], v[199:200], 1.0
	v_fma_f64 v[199:200], v[199:200], v[201:202], v[199:200]
	v_fma_f64 v[201:202], -v[184:185], v[199:200], 1.0
	v_fma_f64 v[199:200], v[199:200], v[201:202], v[199:200]
	v_div_scale_f64 v[201:202], vcc_lo, 1.0, v[182:183], 1.0
	v_mul_f64 v[203:204], v[201:202], v[199:200]
	v_fma_f64 v[184:185], -v[184:185], v[203:204], v[201:202]
	v_div_fmas_f64 v[184:185], v[184:185], v[199:200], v[203:204]
	v_div_fixup_f64 v[182:183], v[184:185], v[182:183], 1.0
	v_mul_f64 v[184:185], v[197:198], -v[182:183]
.LBB88_681:
	s_or_b32 exec_lo, exec_lo, s7
.LBB88_682:
	s_or_b32 exec_lo, exec_lo, s0
	s_mov_b32 s0, exec_lo
	v_cmpx_ne_u32_e64 v196, v190
	s_xor_b32 s0, exec_lo, s0
	s_cbranch_execz .LBB88_688
; %bb.683:
	s_mov_b32 s7, exec_lo
	v_cmpx_eq_u32_e32 32, v196
	s_cbranch_execz .LBB88_687
; %bb.684:
	v_cmp_ne_u32_e32 vcc_lo, 32, v190
	s_xor_b32 s8, s16, -1
	s_and_b32 s9, s8, vcc_lo
	s_and_saveexec_b32 s8, s9
	s_cbranch_execz .LBB88_686
; %bb.685:
	v_ashrrev_i32_e32 v191, 31, v190
	v_lshlrev_b64 v[196:197], 2, v[190:191]
	v_add_co_u32 v196, vcc_lo, v188, v196
	v_add_co_ci_u32_e64 v197, null, v189, v197, vcc_lo
	s_clause 0x1
	global_load_dword v0, v[196:197], off
	global_load_dword v191, v[188:189], off offset:128
	s_waitcnt vmcnt(1)
	global_store_dword v[188:189], v0, off offset:128
	s_waitcnt vmcnt(0)
	global_store_dword v[196:197], v191, off
.LBB88_686:
	s_or_b32 exec_lo, exec_lo, s8
	v_mov_b32_e32 v196, v190
	v_mov_b32_e32 v0, v190
.LBB88_687:
	s_or_b32 exec_lo, exec_lo, s7
.LBB88_688:
	s_andn2_saveexec_b32 s0, s0
	s_cbranch_execz .LBB88_690
; %bb.689:
	v_mov_b32_e32 v196, 32
	ds_write2_b64 v1, v[42:43], v[44:45] offset0:66 offset1:67
	ds_write2_b64 v1, v[46:47], v[48:49] offset0:68 offset1:69
	;; [unrolled: 1-line block ×12, first 2 shown]
.LBB88_690:
	s_or_b32 exec_lo, exec_lo, s0
	s_mov_b32 s0, exec_lo
	s_waitcnt lgkmcnt(0)
	s_waitcnt_vscnt null, 0x0
	s_barrier
	buffer_gl0_inv
	v_cmpx_lt_i32_e32 32, v196
	s_cbranch_execz .LBB88_692
; %bb.691:
	v_mul_f64 v[190:191], v[182:183], v[60:61]
	v_mul_f64 v[60:61], v[184:185], v[60:61]
	v_fma_f64 v[190:191], v[184:185], v[58:59], v[190:191]
	v_fma_f64 v[58:59], v[182:183], v[58:59], -v[60:61]
	ds_read2_b64 v[182:185], v1 offset0:66 offset1:67
	s_waitcnt lgkmcnt(0)
	v_mul_f64 v[60:61], v[184:185], v[190:191]
	v_fma_f64 v[60:61], v[182:183], v[58:59], -v[60:61]
	v_mul_f64 v[182:183], v[182:183], v[190:191]
	v_add_f64 v[42:43], v[42:43], -v[60:61]
	v_fma_f64 v[182:183], v[184:185], v[58:59], v[182:183]
	v_add_f64 v[44:45], v[44:45], -v[182:183]
	ds_read2_b64 v[182:185], v1 offset0:68 offset1:69
	s_waitcnt lgkmcnt(0)
	v_mul_f64 v[60:61], v[184:185], v[190:191]
	v_fma_f64 v[60:61], v[182:183], v[58:59], -v[60:61]
	v_mul_f64 v[182:183], v[182:183], v[190:191]
	v_add_f64 v[46:47], v[46:47], -v[60:61]
	v_fma_f64 v[182:183], v[184:185], v[58:59], v[182:183]
	v_add_f64 v[48:49], v[48:49], -v[182:183]
	;; [unrolled: 8-line block ×11, first 2 shown]
	ds_read2_b64 v[182:185], v1 offset0:88 offset1:89
	s_waitcnt lgkmcnt(0)
	v_mul_f64 v[60:61], v[184:185], v[190:191]
	v_fma_f64 v[60:61], v[182:183], v[58:59], -v[60:61]
	v_mul_f64 v[182:183], v[182:183], v[190:191]
	v_add_f64 v[2:3], v[2:3], -v[60:61]
	v_fma_f64 v[182:183], v[184:185], v[58:59], v[182:183]
	v_mov_b32_e32 v60, v190
	v_mov_b32_e32 v61, v191
	v_add_f64 v[4:5], v[4:5], -v[182:183]
.LBB88_692:
	s_or_b32 exec_lo, exec_lo, s0
	v_lshl_add_u32 v182, v196, 4, v1
	s_barrier
	buffer_gl0_inv
	v_mov_b32_e32 v190, 33
	ds_write2_b64 v182, v[42:43], v[44:45] offset1:1
	s_waitcnt lgkmcnt(0)
	s_barrier
	buffer_gl0_inv
	ds_read2_b64 v[182:185], v1 offset0:66 offset1:67
	s_cmp_lt_i32 s1, 35
	s_cbranch_scc1 .LBB88_695
; %bb.693:
	v_add3_u32 v191, v192, 0, 0x220
	v_mov_b32_e32 v190, 33
	s_mov_b32 s7, 34
	s_inst_prefetch 0x1
	.p2align	6
.LBB88_694:                             ; =>This Inner Loop Header: Depth=1
	s_waitcnt lgkmcnt(0)
	v_cmp_gt_f64_e32 vcc_lo, 0, v[184:185]
	v_cmp_gt_f64_e64 s0, 0, v[182:183]
	ds_read2_b64 v[197:200], v191 offset1:1
	v_xor_b32_e32 v202, 0x80000000, v183
	v_xor_b32_e32 v204, 0x80000000, v185
	v_mov_b32_e32 v201, v182
	v_mov_b32_e32 v203, v184
	v_add_nc_u32_e32 v191, 16, v191
	s_waitcnt lgkmcnt(0)
	v_xor_b32_e32 v206, 0x80000000, v200
	v_cndmask_b32_e64 v202, v183, v202, s0
	v_cndmask_b32_e32 v204, v185, v204, vcc_lo
	v_cmp_gt_f64_e32 vcc_lo, 0, v[199:200]
	v_cmp_gt_f64_e64 s0, 0, v[197:198]
	v_mov_b32_e32 v205, v199
	v_add_f64 v[201:202], v[201:202], v[203:204]
	v_xor_b32_e32 v204, 0x80000000, v198
	v_mov_b32_e32 v203, v197
	v_cndmask_b32_e32 v206, v200, v206, vcc_lo
	v_cndmask_b32_e64 v204, v198, v204, s0
	v_add_f64 v[203:204], v[203:204], v[205:206]
	v_cmp_lt_f64_e32 vcc_lo, v[201:202], v[203:204]
	v_cndmask_b32_e32 v183, v183, v198, vcc_lo
	v_cndmask_b32_e32 v182, v182, v197, vcc_lo
	;; [unrolled: 1-line block ×4, first 2 shown]
	v_cndmask_b32_e64 v190, v190, s7, vcc_lo
	s_add_i32 s7, s7, 1
	s_cmp_lg_u32 s1, s7
	s_cbranch_scc1 .LBB88_694
.LBB88_695:
	s_inst_prefetch 0x2
	s_waitcnt lgkmcnt(0)
	v_cmp_eq_f64_e32 vcc_lo, 0, v[182:183]
	v_cmp_eq_f64_e64 s0, 0, v[184:185]
	s_and_b32 s0, vcc_lo, s0
	s_and_saveexec_b32 s7, s0
	s_xor_b32 s0, exec_lo, s7
; %bb.696:
	v_cmp_ne_u32_e32 vcc_lo, 0, v195
	v_cndmask_b32_e32 v195, 34, v195, vcc_lo
; %bb.697:
	s_andn2_saveexec_b32 s0, s0
	s_cbranch_execz .LBB88_703
; %bb.698:
	v_cmp_ngt_f64_e64 s7, |v[182:183]|, |v[184:185]|
	s_and_saveexec_b32 s8, s7
	s_xor_b32 s7, exec_lo, s8
	s_cbranch_execz .LBB88_700
; %bb.699:
	v_div_scale_f64 v[197:198], null, v[184:185], v[184:185], v[182:183]
	v_div_scale_f64 v[203:204], vcc_lo, v[182:183], v[184:185], v[182:183]
	v_rcp_f64_e32 v[199:200], v[197:198]
	v_fma_f64 v[201:202], -v[197:198], v[199:200], 1.0
	v_fma_f64 v[199:200], v[199:200], v[201:202], v[199:200]
	v_fma_f64 v[201:202], -v[197:198], v[199:200], 1.0
	v_fma_f64 v[199:200], v[199:200], v[201:202], v[199:200]
	v_mul_f64 v[201:202], v[203:204], v[199:200]
	v_fma_f64 v[197:198], -v[197:198], v[201:202], v[203:204]
	v_div_fmas_f64 v[197:198], v[197:198], v[199:200], v[201:202]
	v_div_fixup_f64 v[197:198], v[197:198], v[184:185], v[182:183]
	v_fma_f64 v[182:183], v[182:183], v[197:198], v[184:185]
	v_div_scale_f64 v[184:185], null, v[182:183], v[182:183], 1.0
	v_rcp_f64_e32 v[199:200], v[184:185]
	v_fma_f64 v[201:202], -v[184:185], v[199:200], 1.0
	v_fma_f64 v[199:200], v[199:200], v[201:202], v[199:200]
	v_fma_f64 v[201:202], -v[184:185], v[199:200], 1.0
	v_fma_f64 v[199:200], v[199:200], v[201:202], v[199:200]
	v_div_scale_f64 v[201:202], vcc_lo, 1.0, v[182:183], 1.0
	v_mul_f64 v[203:204], v[201:202], v[199:200]
	v_fma_f64 v[184:185], -v[184:185], v[203:204], v[201:202]
	v_div_fmas_f64 v[184:185], v[184:185], v[199:200], v[203:204]
	v_div_fixup_f64 v[184:185], v[184:185], v[182:183], 1.0
	v_mul_f64 v[182:183], v[197:198], v[184:185]
	v_xor_b32_e32 v185, 0x80000000, v185
.LBB88_700:
	s_andn2_saveexec_b32 s7, s7
	s_cbranch_execz .LBB88_702
; %bb.701:
	v_div_scale_f64 v[197:198], null, v[182:183], v[182:183], v[184:185]
	v_div_scale_f64 v[203:204], vcc_lo, v[184:185], v[182:183], v[184:185]
	v_rcp_f64_e32 v[199:200], v[197:198]
	v_fma_f64 v[201:202], -v[197:198], v[199:200], 1.0
	v_fma_f64 v[199:200], v[199:200], v[201:202], v[199:200]
	v_fma_f64 v[201:202], -v[197:198], v[199:200], 1.0
	v_fma_f64 v[199:200], v[199:200], v[201:202], v[199:200]
	v_mul_f64 v[201:202], v[203:204], v[199:200]
	v_fma_f64 v[197:198], -v[197:198], v[201:202], v[203:204]
	v_div_fmas_f64 v[197:198], v[197:198], v[199:200], v[201:202]
	v_div_fixup_f64 v[197:198], v[197:198], v[182:183], v[184:185]
	v_fma_f64 v[182:183], v[184:185], v[197:198], v[182:183]
	v_div_scale_f64 v[184:185], null, v[182:183], v[182:183], 1.0
	v_rcp_f64_e32 v[199:200], v[184:185]
	v_fma_f64 v[201:202], -v[184:185], v[199:200], 1.0
	v_fma_f64 v[199:200], v[199:200], v[201:202], v[199:200]
	v_fma_f64 v[201:202], -v[184:185], v[199:200], 1.0
	v_fma_f64 v[199:200], v[199:200], v[201:202], v[199:200]
	v_div_scale_f64 v[201:202], vcc_lo, 1.0, v[182:183], 1.0
	v_mul_f64 v[203:204], v[201:202], v[199:200]
	v_fma_f64 v[184:185], -v[184:185], v[203:204], v[201:202]
	v_div_fmas_f64 v[184:185], v[184:185], v[199:200], v[203:204]
	v_div_fixup_f64 v[182:183], v[184:185], v[182:183], 1.0
	v_mul_f64 v[184:185], v[197:198], -v[182:183]
.LBB88_702:
	s_or_b32 exec_lo, exec_lo, s7
.LBB88_703:
	s_or_b32 exec_lo, exec_lo, s0
	s_mov_b32 s0, exec_lo
	v_cmpx_ne_u32_e64 v196, v190
	s_xor_b32 s0, exec_lo, s0
	s_cbranch_execz .LBB88_709
; %bb.704:
	s_mov_b32 s7, exec_lo
	v_cmpx_eq_u32_e32 33, v196
	s_cbranch_execz .LBB88_708
; %bb.705:
	v_cmp_ne_u32_e32 vcc_lo, 33, v190
	s_xor_b32 s8, s16, -1
	s_and_b32 s9, s8, vcc_lo
	s_and_saveexec_b32 s8, s9
	s_cbranch_execz .LBB88_707
; %bb.706:
	v_ashrrev_i32_e32 v191, 31, v190
	v_lshlrev_b64 v[196:197], 2, v[190:191]
	v_add_co_u32 v196, vcc_lo, v188, v196
	v_add_co_ci_u32_e64 v197, null, v189, v197, vcc_lo
	s_clause 0x1
	global_load_dword v0, v[196:197], off
	global_load_dword v191, v[188:189], off offset:132
	s_waitcnt vmcnt(1)
	global_store_dword v[188:189], v0, off offset:132
	s_waitcnt vmcnt(0)
	global_store_dword v[196:197], v191, off
.LBB88_707:
	s_or_b32 exec_lo, exec_lo, s8
	v_mov_b32_e32 v196, v190
	v_mov_b32_e32 v0, v190
.LBB88_708:
	s_or_b32 exec_lo, exec_lo, s7
.LBB88_709:
	s_andn2_saveexec_b32 s0, s0
	s_cbranch_execz .LBB88_711
; %bb.710:
	v_mov_b32_e32 v196, 33
	ds_write2_b64 v1, v[46:47], v[48:49] offset0:68 offset1:69
	ds_write2_b64 v1, v[30:31], v[32:33] offset0:70 offset1:71
	;; [unrolled: 1-line block ×11, first 2 shown]
.LBB88_711:
	s_or_b32 exec_lo, exec_lo, s0
	s_mov_b32 s0, exec_lo
	s_waitcnt lgkmcnt(0)
	s_waitcnt_vscnt null, 0x0
	s_barrier
	buffer_gl0_inv
	v_cmpx_lt_i32_e32 33, v196
	s_cbranch_execz .LBB88_713
; %bb.712:
	v_mul_f64 v[190:191], v[182:183], v[44:45]
	v_mul_f64 v[44:45], v[184:185], v[44:45]
	v_fma_f64 v[190:191], v[184:185], v[42:43], v[190:191]
	v_fma_f64 v[42:43], v[182:183], v[42:43], -v[44:45]
	ds_read2_b64 v[182:185], v1 offset0:68 offset1:69
	s_waitcnt lgkmcnt(0)
	v_mul_f64 v[44:45], v[184:185], v[190:191]
	v_fma_f64 v[44:45], v[182:183], v[42:43], -v[44:45]
	v_mul_f64 v[182:183], v[182:183], v[190:191]
	v_add_f64 v[46:47], v[46:47], -v[44:45]
	v_fma_f64 v[182:183], v[184:185], v[42:43], v[182:183]
	v_add_f64 v[48:49], v[48:49], -v[182:183]
	ds_read2_b64 v[182:185], v1 offset0:70 offset1:71
	s_waitcnt lgkmcnt(0)
	v_mul_f64 v[44:45], v[184:185], v[190:191]
	v_fma_f64 v[44:45], v[182:183], v[42:43], -v[44:45]
	v_mul_f64 v[182:183], v[182:183], v[190:191]
	v_add_f64 v[30:31], v[30:31], -v[44:45]
	v_fma_f64 v[182:183], v[184:185], v[42:43], v[182:183]
	v_add_f64 v[32:33], v[32:33], -v[182:183]
	ds_read2_b64 v[182:185], v1 offset0:72 offset1:73
	s_waitcnt lgkmcnt(0)
	v_mul_f64 v[44:45], v[184:185], v[190:191]
	v_fma_f64 v[44:45], v[182:183], v[42:43], -v[44:45]
	v_mul_f64 v[182:183], v[182:183], v[190:191]
	v_add_f64 v[38:39], v[38:39], -v[44:45]
	v_fma_f64 v[182:183], v[184:185], v[42:43], v[182:183]
	v_add_f64 v[40:41], v[40:41], -v[182:183]
	ds_read2_b64 v[182:185], v1 offset0:74 offset1:75
	s_waitcnt lgkmcnt(0)
	v_mul_f64 v[44:45], v[184:185], v[190:191]
	v_fma_f64 v[44:45], v[182:183], v[42:43], -v[44:45]
	v_mul_f64 v[182:183], v[182:183], v[190:191]
	v_add_f64 v[34:35], v[34:35], -v[44:45]
	v_fma_f64 v[182:183], v[184:185], v[42:43], v[182:183]
	v_add_f64 v[36:37], v[36:37], -v[182:183]
	ds_read2_b64 v[182:185], v1 offset0:76 offset1:77
	s_waitcnt lgkmcnt(0)
	v_mul_f64 v[44:45], v[184:185], v[190:191]
	v_fma_f64 v[44:45], v[182:183], v[42:43], -v[44:45]
	v_mul_f64 v[182:183], v[182:183], v[190:191]
	v_add_f64 v[26:27], v[26:27], -v[44:45]
	v_fma_f64 v[182:183], v[184:185], v[42:43], v[182:183]
	v_add_f64 v[28:29], v[28:29], -v[182:183]
	ds_read2_b64 v[182:185], v1 offset0:78 offset1:79
	s_waitcnt lgkmcnt(0)
	v_mul_f64 v[44:45], v[184:185], v[190:191]
	v_fma_f64 v[44:45], v[182:183], v[42:43], -v[44:45]
	v_mul_f64 v[182:183], v[182:183], v[190:191]
	v_add_f64 v[22:23], v[22:23], -v[44:45]
	v_fma_f64 v[182:183], v[184:185], v[42:43], v[182:183]
	v_add_f64 v[24:25], v[24:25], -v[182:183]
	ds_read2_b64 v[182:185], v1 offset0:80 offset1:81
	s_waitcnt lgkmcnt(0)
	v_mul_f64 v[44:45], v[184:185], v[190:191]
	v_fma_f64 v[44:45], v[182:183], v[42:43], -v[44:45]
	v_mul_f64 v[182:183], v[182:183], v[190:191]
	v_add_f64 v[18:19], v[18:19], -v[44:45]
	v_fma_f64 v[182:183], v[184:185], v[42:43], v[182:183]
	v_add_f64 v[20:21], v[20:21], -v[182:183]
	ds_read2_b64 v[182:185], v1 offset0:82 offset1:83
	s_waitcnt lgkmcnt(0)
	v_mul_f64 v[44:45], v[184:185], v[190:191]
	v_fma_f64 v[44:45], v[182:183], v[42:43], -v[44:45]
	v_mul_f64 v[182:183], v[182:183], v[190:191]
	v_add_f64 v[14:15], v[14:15], -v[44:45]
	v_fma_f64 v[182:183], v[184:185], v[42:43], v[182:183]
	v_add_f64 v[16:17], v[16:17], -v[182:183]
	ds_read2_b64 v[182:185], v1 offset0:84 offset1:85
	s_waitcnt lgkmcnt(0)
	v_mul_f64 v[44:45], v[184:185], v[190:191]
	v_fma_f64 v[44:45], v[182:183], v[42:43], -v[44:45]
	v_mul_f64 v[182:183], v[182:183], v[190:191]
	v_add_f64 v[10:11], v[10:11], -v[44:45]
	v_fma_f64 v[182:183], v[184:185], v[42:43], v[182:183]
	v_add_f64 v[12:13], v[12:13], -v[182:183]
	ds_read2_b64 v[182:185], v1 offset0:86 offset1:87
	s_waitcnt lgkmcnt(0)
	v_mul_f64 v[44:45], v[184:185], v[190:191]
	v_fma_f64 v[44:45], v[182:183], v[42:43], -v[44:45]
	v_mul_f64 v[182:183], v[182:183], v[190:191]
	v_add_f64 v[6:7], v[6:7], -v[44:45]
	v_fma_f64 v[182:183], v[184:185], v[42:43], v[182:183]
	v_add_f64 v[8:9], v[8:9], -v[182:183]
	ds_read2_b64 v[182:185], v1 offset0:88 offset1:89
	s_waitcnt lgkmcnt(0)
	v_mul_f64 v[44:45], v[184:185], v[190:191]
	v_fma_f64 v[44:45], v[182:183], v[42:43], -v[44:45]
	v_mul_f64 v[182:183], v[182:183], v[190:191]
	v_add_f64 v[2:3], v[2:3], -v[44:45]
	v_fma_f64 v[182:183], v[184:185], v[42:43], v[182:183]
	v_mov_b32_e32 v44, v190
	v_mov_b32_e32 v45, v191
	v_add_f64 v[4:5], v[4:5], -v[182:183]
.LBB88_713:
	s_or_b32 exec_lo, exec_lo, s0
	v_lshl_add_u32 v182, v196, 4, v1
	s_barrier
	buffer_gl0_inv
	v_mov_b32_e32 v190, 34
	ds_write2_b64 v182, v[46:47], v[48:49] offset1:1
	s_waitcnt lgkmcnt(0)
	s_barrier
	buffer_gl0_inv
	ds_read2_b64 v[182:185], v1 offset0:68 offset1:69
	s_cmp_lt_i32 s1, 36
	s_cbranch_scc1 .LBB88_716
; %bb.714:
	v_add3_u32 v191, v192, 0, 0x230
	v_mov_b32_e32 v190, 34
	s_mov_b32 s7, 35
	s_inst_prefetch 0x1
	.p2align	6
.LBB88_715:                             ; =>This Inner Loop Header: Depth=1
	s_waitcnt lgkmcnt(0)
	v_cmp_gt_f64_e32 vcc_lo, 0, v[184:185]
	v_cmp_gt_f64_e64 s0, 0, v[182:183]
	ds_read2_b64 v[197:200], v191 offset1:1
	v_xor_b32_e32 v202, 0x80000000, v183
	v_xor_b32_e32 v204, 0x80000000, v185
	v_mov_b32_e32 v201, v182
	v_mov_b32_e32 v203, v184
	v_add_nc_u32_e32 v191, 16, v191
	s_waitcnt lgkmcnt(0)
	v_xor_b32_e32 v206, 0x80000000, v200
	v_cndmask_b32_e64 v202, v183, v202, s0
	v_cndmask_b32_e32 v204, v185, v204, vcc_lo
	v_cmp_gt_f64_e32 vcc_lo, 0, v[199:200]
	v_cmp_gt_f64_e64 s0, 0, v[197:198]
	v_mov_b32_e32 v205, v199
	v_add_f64 v[201:202], v[201:202], v[203:204]
	v_xor_b32_e32 v204, 0x80000000, v198
	v_mov_b32_e32 v203, v197
	v_cndmask_b32_e32 v206, v200, v206, vcc_lo
	v_cndmask_b32_e64 v204, v198, v204, s0
	v_add_f64 v[203:204], v[203:204], v[205:206]
	v_cmp_lt_f64_e32 vcc_lo, v[201:202], v[203:204]
	v_cndmask_b32_e32 v183, v183, v198, vcc_lo
	v_cndmask_b32_e32 v182, v182, v197, vcc_lo
	;; [unrolled: 1-line block ×4, first 2 shown]
	v_cndmask_b32_e64 v190, v190, s7, vcc_lo
	s_add_i32 s7, s7, 1
	s_cmp_lg_u32 s1, s7
	s_cbranch_scc1 .LBB88_715
.LBB88_716:
	s_inst_prefetch 0x2
	s_waitcnt lgkmcnt(0)
	v_cmp_eq_f64_e32 vcc_lo, 0, v[182:183]
	v_cmp_eq_f64_e64 s0, 0, v[184:185]
	s_and_b32 s0, vcc_lo, s0
	s_and_saveexec_b32 s7, s0
	s_xor_b32 s0, exec_lo, s7
; %bb.717:
	v_cmp_ne_u32_e32 vcc_lo, 0, v195
	v_cndmask_b32_e32 v195, 35, v195, vcc_lo
; %bb.718:
	s_andn2_saveexec_b32 s0, s0
	s_cbranch_execz .LBB88_724
; %bb.719:
	v_cmp_ngt_f64_e64 s7, |v[182:183]|, |v[184:185]|
	s_and_saveexec_b32 s8, s7
	s_xor_b32 s7, exec_lo, s8
	s_cbranch_execz .LBB88_721
; %bb.720:
	v_div_scale_f64 v[197:198], null, v[184:185], v[184:185], v[182:183]
	v_div_scale_f64 v[203:204], vcc_lo, v[182:183], v[184:185], v[182:183]
	v_rcp_f64_e32 v[199:200], v[197:198]
	v_fma_f64 v[201:202], -v[197:198], v[199:200], 1.0
	v_fma_f64 v[199:200], v[199:200], v[201:202], v[199:200]
	v_fma_f64 v[201:202], -v[197:198], v[199:200], 1.0
	v_fma_f64 v[199:200], v[199:200], v[201:202], v[199:200]
	v_mul_f64 v[201:202], v[203:204], v[199:200]
	v_fma_f64 v[197:198], -v[197:198], v[201:202], v[203:204]
	v_div_fmas_f64 v[197:198], v[197:198], v[199:200], v[201:202]
	v_div_fixup_f64 v[197:198], v[197:198], v[184:185], v[182:183]
	v_fma_f64 v[182:183], v[182:183], v[197:198], v[184:185]
	v_div_scale_f64 v[184:185], null, v[182:183], v[182:183], 1.0
	v_rcp_f64_e32 v[199:200], v[184:185]
	v_fma_f64 v[201:202], -v[184:185], v[199:200], 1.0
	v_fma_f64 v[199:200], v[199:200], v[201:202], v[199:200]
	v_fma_f64 v[201:202], -v[184:185], v[199:200], 1.0
	v_fma_f64 v[199:200], v[199:200], v[201:202], v[199:200]
	v_div_scale_f64 v[201:202], vcc_lo, 1.0, v[182:183], 1.0
	v_mul_f64 v[203:204], v[201:202], v[199:200]
	v_fma_f64 v[184:185], -v[184:185], v[203:204], v[201:202]
	v_div_fmas_f64 v[184:185], v[184:185], v[199:200], v[203:204]
	v_div_fixup_f64 v[184:185], v[184:185], v[182:183], 1.0
	v_mul_f64 v[182:183], v[197:198], v[184:185]
	v_xor_b32_e32 v185, 0x80000000, v185
.LBB88_721:
	s_andn2_saveexec_b32 s7, s7
	s_cbranch_execz .LBB88_723
; %bb.722:
	v_div_scale_f64 v[197:198], null, v[182:183], v[182:183], v[184:185]
	v_div_scale_f64 v[203:204], vcc_lo, v[184:185], v[182:183], v[184:185]
	v_rcp_f64_e32 v[199:200], v[197:198]
	v_fma_f64 v[201:202], -v[197:198], v[199:200], 1.0
	v_fma_f64 v[199:200], v[199:200], v[201:202], v[199:200]
	v_fma_f64 v[201:202], -v[197:198], v[199:200], 1.0
	v_fma_f64 v[199:200], v[199:200], v[201:202], v[199:200]
	v_mul_f64 v[201:202], v[203:204], v[199:200]
	v_fma_f64 v[197:198], -v[197:198], v[201:202], v[203:204]
	v_div_fmas_f64 v[197:198], v[197:198], v[199:200], v[201:202]
	v_div_fixup_f64 v[197:198], v[197:198], v[182:183], v[184:185]
	v_fma_f64 v[182:183], v[184:185], v[197:198], v[182:183]
	v_div_scale_f64 v[184:185], null, v[182:183], v[182:183], 1.0
	v_rcp_f64_e32 v[199:200], v[184:185]
	v_fma_f64 v[201:202], -v[184:185], v[199:200], 1.0
	v_fma_f64 v[199:200], v[199:200], v[201:202], v[199:200]
	v_fma_f64 v[201:202], -v[184:185], v[199:200], 1.0
	v_fma_f64 v[199:200], v[199:200], v[201:202], v[199:200]
	v_div_scale_f64 v[201:202], vcc_lo, 1.0, v[182:183], 1.0
	v_mul_f64 v[203:204], v[201:202], v[199:200]
	v_fma_f64 v[184:185], -v[184:185], v[203:204], v[201:202]
	v_div_fmas_f64 v[184:185], v[184:185], v[199:200], v[203:204]
	v_div_fixup_f64 v[182:183], v[184:185], v[182:183], 1.0
	v_mul_f64 v[184:185], v[197:198], -v[182:183]
.LBB88_723:
	s_or_b32 exec_lo, exec_lo, s7
.LBB88_724:
	s_or_b32 exec_lo, exec_lo, s0
	s_mov_b32 s0, exec_lo
	v_cmpx_ne_u32_e64 v196, v190
	s_xor_b32 s0, exec_lo, s0
	s_cbranch_execz .LBB88_730
; %bb.725:
	s_mov_b32 s7, exec_lo
	v_cmpx_eq_u32_e32 34, v196
	s_cbranch_execz .LBB88_729
; %bb.726:
	v_cmp_ne_u32_e32 vcc_lo, 34, v190
	s_xor_b32 s8, s16, -1
	s_and_b32 s9, s8, vcc_lo
	s_and_saveexec_b32 s8, s9
	s_cbranch_execz .LBB88_728
; %bb.727:
	v_ashrrev_i32_e32 v191, 31, v190
	v_lshlrev_b64 v[196:197], 2, v[190:191]
	v_add_co_u32 v196, vcc_lo, v188, v196
	v_add_co_ci_u32_e64 v197, null, v189, v197, vcc_lo
	s_clause 0x1
	global_load_dword v0, v[196:197], off
	global_load_dword v191, v[188:189], off offset:136
	s_waitcnt vmcnt(1)
	global_store_dword v[188:189], v0, off offset:136
	s_waitcnt vmcnt(0)
	global_store_dword v[196:197], v191, off
.LBB88_728:
	s_or_b32 exec_lo, exec_lo, s8
	v_mov_b32_e32 v196, v190
	v_mov_b32_e32 v0, v190
.LBB88_729:
	s_or_b32 exec_lo, exec_lo, s7
.LBB88_730:
	s_andn2_saveexec_b32 s0, s0
	s_cbranch_execz .LBB88_732
; %bb.731:
	v_mov_b32_e32 v196, 34
	ds_write2_b64 v1, v[30:31], v[32:33] offset0:70 offset1:71
	ds_write2_b64 v1, v[38:39], v[40:41] offset0:72 offset1:73
	;; [unrolled: 1-line block ×10, first 2 shown]
.LBB88_732:
	s_or_b32 exec_lo, exec_lo, s0
	s_mov_b32 s0, exec_lo
	s_waitcnt lgkmcnt(0)
	s_waitcnt_vscnt null, 0x0
	s_barrier
	buffer_gl0_inv
	v_cmpx_lt_i32_e32 34, v196
	s_cbranch_execz .LBB88_734
; %bb.733:
	v_mul_f64 v[190:191], v[182:183], v[48:49]
	v_mul_f64 v[48:49], v[184:185], v[48:49]
	v_fma_f64 v[190:191], v[184:185], v[46:47], v[190:191]
	v_fma_f64 v[46:47], v[182:183], v[46:47], -v[48:49]
	ds_read2_b64 v[182:185], v1 offset0:70 offset1:71
	s_waitcnt lgkmcnt(0)
	v_mul_f64 v[48:49], v[184:185], v[190:191]
	v_fma_f64 v[48:49], v[182:183], v[46:47], -v[48:49]
	v_mul_f64 v[182:183], v[182:183], v[190:191]
	v_add_f64 v[30:31], v[30:31], -v[48:49]
	v_fma_f64 v[182:183], v[184:185], v[46:47], v[182:183]
	v_add_f64 v[32:33], v[32:33], -v[182:183]
	ds_read2_b64 v[182:185], v1 offset0:72 offset1:73
	s_waitcnt lgkmcnt(0)
	v_mul_f64 v[48:49], v[184:185], v[190:191]
	v_fma_f64 v[48:49], v[182:183], v[46:47], -v[48:49]
	v_mul_f64 v[182:183], v[182:183], v[190:191]
	v_add_f64 v[38:39], v[38:39], -v[48:49]
	v_fma_f64 v[182:183], v[184:185], v[46:47], v[182:183]
	v_add_f64 v[40:41], v[40:41], -v[182:183]
	;; [unrolled: 8-line block ×9, first 2 shown]
	ds_read2_b64 v[182:185], v1 offset0:88 offset1:89
	s_waitcnt lgkmcnt(0)
	v_mul_f64 v[48:49], v[184:185], v[190:191]
	v_fma_f64 v[48:49], v[182:183], v[46:47], -v[48:49]
	v_mul_f64 v[182:183], v[182:183], v[190:191]
	v_add_f64 v[2:3], v[2:3], -v[48:49]
	v_fma_f64 v[182:183], v[184:185], v[46:47], v[182:183]
	v_mov_b32_e32 v48, v190
	v_mov_b32_e32 v49, v191
	v_add_f64 v[4:5], v[4:5], -v[182:183]
.LBB88_734:
	s_or_b32 exec_lo, exec_lo, s0
	v_lshl_add_u32 v182, v196, 4, v1
	s_barrier
	buffer_gl0_inv
	v_mov_b32_e32 v190, 35
	ds_write2_b64 v182, v[30:31], v[32:33] offset1:1
	s_waitcnt lgkmcnt(0)
	s_barrier
	buffer_gl0_inv
	ds_read2_b64 v[182:185], v1 offset0:70 offset1:71
	s_cmp_lt_i32 s1, 37
	s_cbranch_scc1 .LBB88_737
; %bb.735:
	v_add3_u32 v191, v192, 0, 0x240
	v_mov_b32_e32 v190, 35
	s_mov_b32 s7, 36
	s_inst_prefetch 0x1
	.p2align	6
.LBB88_736:                             ; =>This Inner Loop Header: Depth=1
	s_waitcnt lgkmcnt(0)
	v_cmp_gt_f64_e32 vcc_lo, 0, v[184:185]
	v_cmp_gt_f64_e64 s0, 0, v[182:183]
	ds_read2_b64 v[197:200], v191 offset1:1
	v_xor_b32_e32 v202, 0x80000000, v183
	v_xor_b32_e32 v204, 0x80000000, v185
	v_mov_b32_e32 v201, v182
	v_mov_b32_e32 v203, v184
	v_add_nc_u32_e32 v191, 16, v191
	s_waitcnt lgkmcnt(0)
	v_xor_b32_e32 v206, 0x80000000, v200
	v_cndmask_b32_e64 v202, v183, v202, s0
	v_cndmask_b32_e32 v204, v185, v204, vcc_lo
	v_cmp_gt_f64_e32 vcc_lo, 0, v[199:200]
	v_cmp_gt_f64_e64 s0, 0, v[197:198]
	v_mov_b32_e32 v205, v199
	v_add_f64 v[201:202], v[201:202], v[203:204]
	v_xor_b32_e32 v204, 0x80000000, v198
	v_mov_b32_e32 v203, v197
	v_cndmask_b32_e32 v206, v200, v206, vcc_lo
	v_cndmask_b32_e64 v204, v198, v204, s0
	v_add_f64 v[203:204], v[203:204], v[205:206]
	v_cmp_lt_f64_e32 vcc_lo, v[201:202], v[203:204]
	v_cndmask_b32_e32 v183, v183, v198, vcc_lo
	v_cndmask_b32_e32 v182, v182, v197, vcc_lo
	;; [unrolled: 1-line block ×4, first 2 shown]
	v_cndmask_b32_e64 v190, v190, s7, vcc_lo
	s_add_i32 s7, s7, 1
	s_cmp_lg_u32 s1, s7
	s_cbranch_scc1 .LBB88_736
.LBB88_737:
	s_inst_prefetch 0x2
	s_waitcnt lgkmcnt(0)
	v_cmp_eq_f64_e32 vcc_lo, 0, v[182:183]
	v_cmp_eq_f64_e64 s0, 0, v[184:185]
	s_and_b32 s0, vcc_lo, s0
	s_and_saveexec_b32 s7, s0
	s_xor_b32 s0, exec_lo, s7
; %bb.738:
	v_cmp_ne_u32_e32 vcc_lo, 0, v195
	v_cndmask_b32_e32 v195, 36, v195, vcc_lo
; %bb.739:
	s_andn2_saveexec_b32 s0, s0
	s_cbranch_execz .LBB88_745
; %bb.740:
	v_cmp_ngt_f64_e64 s7, |v[182:183]|, |v[184:185]|
	s_and_saveexec_b32 s8, s7
	s_xor_b32 s7, exec_lo, s8
	s_cbranch_execz .LBB88_742
; %bb.741:
	v_div_scale_f64 v[197:198], null, v[184:185], v[184:185], v[182:183]
	v_div_scale_f64 v[203:204], vcc_lo, v[182:183], v[184:185], v[182:183]
	v_rcp_f64_e32 v[199:200], v[197:198]
	v_fma_f64 v[201:202], -v[197:198], v[199:200], 1.0
	v_fma_f64 v[199:200], v[199:200], v[201:202], v[199:200]
	v_fma_f64 v[201:202], -v[197:198], v[199:200], 1.0
	v_fma_f64 v[199:200], v[199:200], v[201:202], v[199:200]
	v_mul_f64 v[201:202], v[203:204], v[199:200]
	v_fma_f64 v[197:198], -v[197:198], v[201:202], v[203:204]
	v_div_fmas_f64 v[197:198], v[197:198], v[199:200], v[201:202]
	v_div_fixup_f64 v[197:198], v[197:198], v[184:185], v[182:183]
	v_fma_f64 v[182:183], v[182:183], v[197:198], v[184:185]
	v_div_scale_f64 v[184:185], null, v[182:183], v[182:183], 1.0
	v_rcp_f64_e32 v[199:200], v[184:185]
	v_fma_f64 v[201:202], -v[184:185], v[199:200], 1.0
	v_fma_f64 v[199:200], v[199:200], v[201:202], v[199:200]
	v_fma_f64 v[201:202], -v[184:185], v[199:200], 1.0
	v_fma_f64 v[199:200], v[199:200], v[201:202], v[199:200]
	v_div_scale_f64 v[201:202], vcc_lo, 1.0, v[182:183], 1.0
	v_mul_f64 v[203:204], v[201:202], v[199:200]
	v_fma_f64 v[184:185], -v[184:185], v[203:204], v[201:202]
	v_div_fmas_f64 v[184:185], v[184:185], v[199:200], v[203:204]
	v_div_fixup_f64 v[184:185], v[184:185], v[182:183], 1.0
	v_mul_f64 v[182:183], v[197:198], v[184:185]
	v_xor_b32_e32 v185, 0x80000000, v185
.LBB88_742:
	s_andn2_saveexec_b32 s7, s7
	s_cbranch_execz .LBB88_744
; %bb.743:
	v_div_scale_f64 v[197:198], null, v[182:183], v[182:183], v[184:185]
	v_div_scale_f64 v[203:204], vcc_lo, v[184:185], v[182:183], v[184:185]
	v_rcp_f64_e32 v[199:200], v[197:198]
	v_fma_f64 v[201:202], -v[197:198], v[199:200], 1.0
	v_fma_f64 v[199:200], v[199:200], v[201:202], v[199:200]
	v_fma_f64 v[201:202], -v[197:198], v[199:200], 1.0
	v_fma_f64 v[199:200], v[199:200], v[201:202], v[199:200]
	v_mul_f64 v[201:202], v[203:204], v[199:200]
	v_fma_f64 v[197:198], -v[197:198], v[201:202], v[203:204]
	v_div_fmas_f64 v[197:198], v[197:198], v[199:200], v[201:202]
	v_div_fixup_f64 v[197:198], v[197:198], v[182:183], v[184:185]
	v_fma_f64 v[182:183], v[184:185], v[197:198], v[182:183]
	v_div_scale_f64 v[184:185], null, v[182:183], v[182:183], 1.0
	v_rcp_f64_e32 v[199:200], v[184:185]
	v_fma_f64 v[201:202], -v[184:185], v[199:200], 1.0
	v_fma_f64 v[199:200], v[199:200], v[201:202], v[199:200]
	v_fma_f64 v[201:202], -v[184:185], v[199:200], 1.0
	v_fma_f64 v[199:200], v[199:200], v[201:202], v[199:200]
	v_div_scale_f64 v[201:202], vcc_lo, 1.0, v[182:183], 1.0
	v_mul_f64 v[203:204], v[201:202], v[199:200]
	v_fma_f64 v[184:185], -v[184:185], v[203:204], v[201:202]
	v_div_fmas_f64 v[184:185], v[184:185], v[199:200], v[203:204]
	v_div_fixup_f64 v[182:183], v[184:185], v[182:183], 1.0
	v_mul_f64 v[184:185], v[197:198], -v[182:183]
.LBB88_744:
	s_or_b32 exec_lo, exec_lo, s7
.LBB88_745:
	s_or_b32 exec_lo, exec_lo, s0
	s_mov_b32 s0, exec_lo
	v_cmpx_ne_u32_e64 v196, v190
	s_xor_b32 s0, exec_lo, s0
	s_cbranch_execz .LBB88_751
; %bb.746:
	s_mov_b32 s7, exec_lo
	v_cmpx_eq_u32_e32 35, v196
	s_cbranch_execz .LBB88_750
; %bb.747:
	v_cmp_ne_u32_e32 vcc_lo, 35, v190
	s_xor_b32 s8, s16, -1
	s_and_b32 s9, s8, vcc_lo
	s_and_saveexec_b32 s8, s9
	s_cbranch_execz .LBB88_749
; %bb.748:
	v_ashrrev_i32_e32 v191, 31, v190
	v_lshlrev_b64 v[196:197], 2, v[190:191]
	v_add_co_u32 v196, vcc_lo, v188, v196
	v_add_co_ci_u32_e64 v197, null, v189, v197, vcc_lo
	s_clause 0x1
	global_load_dword v0, v[196:197], off
	global_load_dword v191, v[188:189], off offset:140
	s_waitcnt vmcnt(1)
	global_store_dword v[188:189], v0, off offset:140
	s_waitcnt vmcnt(0)
	global_store_dword v[196:197], v191, off
.LBB88_749:
	s_or_b32 exec_lo, exec_lo, s8
	v_mov_b32_e32 v196, v190
	v_mov_b32_e32 v0, v190
.LBB88_750:
	s_or_b32 exec_lo, exec_lo, s7
.LBB88_751:
	s_andn2_saveexec_b32 s0, s0
	s_cbranch_execz .LBB88_753
; %bb.752:
	v_mov_b32_e32 v196, 35
	ds_write2_b64 v1, v[38:39], v[40:41] offset0:72 offset1:73
	ds_write2_b64 v1, v[34:35], v[36:37] offset0:74 offset1:75
	;; [unrolled: 1-line block ×9, first 2 shown]
.LBB88_753:
	s_or_b32 exec_lo, exec_lo, s0
	s_mov_b32 s0, exec_lo
	s_waitcnt lgkmcnt(0)
	s_waitcnt_vscnt null, 0x0
	s_barrier
	buffer_gl0_inv
	v_cmpx_lt_i32_e32 35, v196
	s_cbranch_execz .LBB88_755
; %bb.754:
	v_mul_f64 v[190:191], v[182:183], v[32:33]
	v_mul_f64 v[32:33], v[184:185], v[32:33]
	v_fma_f64 v[190:191], v[184:185], v[30:31], v[190:191]
	v_fma_f64 v[30:31], v[182:183], v[30:31], -v[32:33]
	ds_read2_b64 v[182:185], v1 offset0:72 offset1:73
	s_waitcnt lgkmcnt(0)
	v_mul_f64 v[32:33], v[184:185], v[190:191]
	v_fma_f64 v[32:33], v[182:183], v[30:31], -v[32:33]
	v_mul_f64 v[182:183], v[182:183], v[190:191]
	v_add_f64 v[38:39], v[38:39], -v[32:33]
	v_fma_f64 v[182:183], v[184:185], v[30:31], v[182:183]
	v_add_f64 v[40:41], v[40:41], -v[182:183]
	ds_read2_b64 v[182:185], v1 offset0:74 offset1:75
	s_waitcnt lgkmcnt(0)
	v_mul_f64 v[32:33], v[184:185], v[190:191]
	v_fma_f64 v[32:33], v[182:183], v[30:31], -v[32:33]
	v_mul_f64 v[182:183], v[182:183], v[190:191]
	v_add_f64 v[34:35], v[34:35], -v[32:33]
	v_fma_f64 v[182:183], v[184:185], v[30:31], v[182:183]
	v_add_f64 v[36:37], v[36:37], -v[182:183]
	ds_read2_b64 v[182:185], v1 offset0:76 offset1:77
	s_waitcnt lgkmcnt(0)
	v_mul_f64 v[32:33], v[184:185], v[190:191]
	v_fma_f64 v[32:33], v[182:183], v[30:31], -v[32:33]
	v_mul_f64 v[182:183], v[182:183], v[190:191]
	v_add_f64 v[26:27], v[26:27], -v[32:33]
	v_fma_f64 v[182:183], v[184:185], v[30:31], v[182:183]
	v_add_f64 v[28:29], v[28:29], -v[182:183]
	ds_read2_b64 v[182:185], v1 offset0:78 offset1:79
	s_waitcnt lgkmcnt(0)
	v_mul_f64 v[32:33], v[184:185], v[190:191]
	v_fma_f64 v[32:33], v[182:183], v[30:31], -v[32:33]
	v_mul_f64 v[182:183], v[182:183], v[190:191]
	v_add_f64 v[22:23], v[22:23], -v[32:33]
	v_fma_f64 v[182:183], v[184:185], v[30:31], v[182:183]
	v_add_f64 v[24:25], v[24:25], -v[182:183]
	ds_read2_b64 v[182:185], v1 offset0:80 offset1:81
	s_waitcnt lgkmcnt(0)
	v_mul_f64 v[32:33], v[184:185], v[190:191]
	v_fma_f64 v[32:33], v[182:183], v[30:31], -v[32:33]
	v_mul_f64 v[182:183], v[182:183], v[190:191]
	v_add_f64 v[18:19], v[18:19], -v[32:33]
	v_fma_f64 v[182:183], v[184:185], v[30:31], v[182:183]
	v_add_f64 v[20:21], v[20:21], -v[182:183]
	ds_read2_b64 v[182:185], v1 offset0:82 offset1:83
	s_waitcnt lgkmcnt(0)
	v_mul_f64 v[32:33], v[184:185], v[190:191]
	v_fma_f64 v[32:33], v[182:183], v[30:31], -v[32:33]
	v_mul_f64 v[182:183], v[182:183], v[190:191]
	v_add_f64 v[14:15], v[14:15], -v[32:33]
	v_fma_f64 v[182:183], v[184:185], v[30:31], v[182:183]
	v_add_f64 v[16:17], v[16:17], -v[182:183]
	ds_read2_b64 v[182:185], v1 offset0:84 offset1:85
	s_waitcnt lgkmcnt(0)
	v_mul_f64 v[32:33], v[184:185], v[190:191]
	v_fma_f64 v[32:33], v[182:183], v[30:31], -v[32:33]
	v_mul_f64 v[182:183], v[182:183], v[190:191]
	v_add_f64 v[10:11], v[10:11], -v[32:33]
	v_fma_f64 v[182:183], v[184:185], v[30:31], v[182:183]
	v_add_f64 v[12:13], v[12:13], -v[182:183]
	ds_read2_b64 v[182:185], v1 offset0:86 offset1:87
	s_waitcnt lgkmcnt(0)
	v_mul_f64 v[32:33], v[184:185], v[190:191]
	v_fma_f64 v[32:33], v[182:183], v[30:31], -v[32:33]
	v_mul_f64 v[182:183], v[182:183], v[190:191]
	v_add_f64 v[6:7], v[6:7], -v[32:33]
	v_fma_f64 v[182:183], v[184:185], v[30:31], v[182:183]
	v_add_f64 v[8:9], v[8:9], -v[182:183]
	ds_read2_b64 v[182:185], v1 offset0:88 offset1:89
	s_waitcnt lgkmcnt(0)
	v_mul_f64 v[32:33], v[184:185], v[190:191]
	v_fma_f64 v[32:33], v[182:183], v[30:31], -v[32:33]
	v_mul_f64 v[182:183], v[182:183], v[190:191]
	v_add_f64 v[2:3], v[2:3], -v[32:33]
	v_fma_f64 v[182:183], v[184:185], v[30:31], v[182:183]
	v_mov_b32_e32 v32, v190
	v_mov_b32_e32 v33, v191
	v_add_f64 v[4:5], v[4:5], -v[182:183]
.LBB88_755:
	s_or_b32 exec_lo, exec_lo, s0
	v_lshl_add_u32 v182, v196, 4, v1
	s_barrier
	buffer_gl0_inv
	v_mov_b32_e32 v190, 36
	ds_write2_b64 v182, v[38:39], v[40:41] offset1:1
	s_waitcnt lgkmcnt(0)
	s_barrier
	buffer_gl0_inv
	ds_read2_b64 v[182:185], v1 offset0:72 offset1:73
	s_cmp_lt_i32 s1, 38
	s_cbranch_scc1 .LBB88_758
; %bb.756:
	v_add3_u32 v191, v192, 0, 0x250
	v_mov_b32_e32 v190, 36
	s_mov_b32 s7, 37
	s_inst_prefetch 0x1
	.p2align	6
.LBB88_757:                             ; =>This Inner Loop Header: Depth=1
	s_waitcnt lgkmcnt(0)
	v_cmp_gt_f64_e32 vcc_lo, 0, v[184:185]
	v_cmp_gt_f64_e64 s0, 0, v[182:183]
	ds_read2_b64 v[197:200], v191 offset1:1
	v_xor_b32_e32 v202, 0x80000000, v183
	v_xor_b32_e32 v204, 0x80000000, v185
	v_mov_b32_e32 v201, v182
	v_mov_b32_e32 v203, v184
	v_add_nc_u32_e32 v191, 16, v191
	s_waitcnt lgkmcnt(0)
	v_xor_b32_e32 v206, 0x80000000, v200
	v_cndmask_b32_e64 v202, v183, v202, s0
	v_cndmask_b32_e32 v204, v185, v204, vcc_lo
	v_cmp_gt_f64_e32 vcc_lo, 0, v[199:200]
	v_cmp_gt_f64_e64 s0, 0, v[197:198]
	v_mov_b32_e32 v205, v199
	v_add_f64 v[201:202], v[201:202], v[203:204]
	v_xor_b32_e32 v204, 0x80000000, v198
	v_mov_b32_e32 v203, v197
	v_cndmask_b32_e32 v206, v200, v206, vcc_lo
	v_cndmask_b32_e64 v204, v198, v204, s0
	v_add_f64 v[203:204], v[203:204], v[205:206]
	v_cmp_lt_f64_e32 vcc_lo, v[201:202], v[203:204]
	v_cndmask_b32_e32 v183, v183, v198, vcc_lo
	v_cndmask_b32_e32 v182, v182, v197, vcc_lo
	;; [unrolled: 1-line block ×4, first 2 shown]
	v_cndmask_b32_e64 v190, v190, s7, vcc_lo
	s_add_i32 s7, s7, 1
	s_cmp_lg_u32 s1, s7
	s_cbranch_scc1 .LBB88_757
.LBB88_758:
	s_inst_prefetch 0x2
	s_waitcnt lgkmcnt(0)
	v_cmp_eq_f64_e32 vcc_lo, 0, v[182:183]
	v_cmp_eq_f64_e64 s0, 0, v[184:185]
	s_and_b32 s0, vcc_lo, s0
	s_and_saveexec_b32 s7, s0
	s_xor_b32 s0, exec_lo, s7
; %bb.759:
	v_cmp_ne_u32_e32 vcc_lo, 0, v195
	v_cndmask_b32_e32 v195, 37, v195, vcc_lo
; %bb.760:
	s_andn2_saveexec_b32 s0, s0
	s_cbranch_execz .LBB88_766
; %bb.761:
	v_cmp_ngt_f64_e64 s7, |v[182:183]|, |v[184:185]|
	s_and_saveexec_b32 s8, s7
	s_xor_b32 s7, exec_lo, s8
	s_cbranch_execz .LBB88_763
; %bb.762:
	v_div_scale_f64 v[197:198], null, v[184:185], v[184:185], v[182:183]
	v_div_scale_f64 v[203:204], vcc_lo, v[182:183], v[184:185], v[182:183]
	v_rcp_f64_e32 v[199:200], v[197:198]
	v_fma_f64 v[201:202], -v[197:198], v[199:200], 1.0
	v_fma_f64 v[199:200], v[199:200], v[201:202], v[199:200]
	v_fma_f64 v[201:202], -v[197:198], v[199:200], 1.0
	v_fma_f64 v[199:200], v[199:200], v[201:202], v[199:200]
	v_mul_f64 v[201:202], v[203:204], v[199:200]
	v_fma_f64 v[197:198], -v[197:198], v[201:202], v[203:204]
	v_div_fmas_f64 v[197:198], v[197:198], v[199:200], v[201:202]
	v_div_fixup_f64 v[197:198], v[197:198], v[184:185], v[182:183]
	v_fma_f64 v[182:183], v[182:183], v[197:198], v[184:185]
	v_div_scale_f64 v[184:185], null, v[182:183], v[182:183], 1.0
	v_rcp_f64_e32 v[199:200], v[184:185]
	v_fma_f64 v[201:202], -v[184:185], v[199:200], 1.0
	v_fma_f64 v[199:200], v[199:200], v[201:202], v[199:200]
	v_fma_f64 v[201:202], -v[184:185], v[199:200], 1.0
	v_fma_f64 v[199:200], v[199:200], v[201:202], v[199:200]
	v_div_scale_f64 v[201:202], vcc_lo, 1.0, v[182:183], 1.0
	v_mul_f64 v[203:204], v[201:202], v[199:200]
	v_fma_f64 v[184:185], -v[184:185], v[203:204], v[201:202]
	v_div_fmas_f64 v[184:185], v[184:185], v[199:200], v[203:204]
	v_div_fixup_f64 v[184:185], v[184:185], v[182:183], 1.0
	v_mul_f64 v[182:183], v[197:198], v[184:185]
	v_xor_b32_e32 v185, 0x80000000, v185
.LBB88_763:
	s_andn2_saveexec_b32 s7, s7
	s_cbranch_execz .LBB88_765
; %bb.764:
	v_div_scale_f64 v[197:198], null, v[182:183], v[182:183], v[184:185]
	v_div_scale_f64 v[203:204], vcc_lo, v[184:185], v[182:183], v[184:185]
	v_rcp_f64_e32 v[199:200], v[197:198]
	v_fma_f64 v[201:202], -v[197:198], v[199:200], 1.0
	v_fma_f64 v[199:200], v[199:200], v[201:202], v[199:200]
	v_fma_f64 v[201:202], -v[197:198], v[199:200], 1.0
	v_fma_f64 v[199:200], v[199:200], v[201:202], v[199:200]
	v_mul_f64 v[201:202], v[203:204], v[199:200]
	v_fma_f64 v[197:198], -v[197:198], v[201:202], v[203:204]
	v_div_fmas_f64 v[197:198], v[197:198], v[199:200], v[201:202]
	v_div_fixup_f64 v[197:198], v[197:198], v[182:183], v[184:185]
	v_fma_f64 v[182:183], v[184:185], v[197:198], v[182:183]
	v_div_scale_f64 v[184:185], null, v[182:183], v[182:183], 1.0
	v_rcp_f64_e32 v[199:200], v[184:185]
	v_fma_f64 v[201:202], -v[184:185], v[199:200], 1.0
	v_fma_f64 v[199:200], v[199:200], v[201:202], v[199:200]
	v_fma_f64 v[201:202], -v[184:185], v[199:200], 1.0
	v_fma_f64 v[199:200], v[199:200], v[201:202], v[199:200]
	v_div_scale_f64 v[201:202], vcc_lo, 1.0, v[182:183], 1.0
	v_mul_f64 v[203:204], v[201:202], v[199:200]
	v_fma_f64 v[184:185], -v[184:185], v[203:204], v[201:202]
	v_div_fmas_f64 v[184:185], v[184:185], v[199:200], v[203:204]
	v_div_fixup_f64 v[182:183], v[184:185], v[182:183], 1.0
	v_mul_f64 v[184:185], v[197:198], -v[182:183]
.LBB88_765:
	s_or_b32 exec_lo, exec_lo, s7
.LBB88_766:
	s_or_b32 exec_lo, exec_lo, s0
	s_mov_b32 s0, exec_lo
	v_cmpx_ne_u32_e64 v196, v190
	s_xor_b32 s0, exec_lo, s0
	s_cbranch_execz .LBB88_772
; %bb.767:
	s_mov_b32 s7, exec_lo
	v_cmpx_eq_u32_e32 36, v196
	s_cbranch_execz .LBB88_771
; %bb.768:
	v_cmp_ne_u32_e32 vcc_lo, 36, v190
	s_xor_b32 s8, s16, -1
	s_and_b32 s9, s8, vcc_lo
	s_and_saveexec_b32 s8, s9
	s_cbranch_execz .LBB88_770
; %bb.769:
	v_ashrrev_i32_e32 v191, 31, v190
	v_lshlrev_b64 v[196:197], 2, v[190:191]
	v_add_co_u32 v196, vcc_lo, v188, v196
	v_add_co_ci_u32_e64 v197, null, v189, v197, vcc_lo
	s_clause 0x1
	global_load_dword v0, v[196:197], off
	global_load_dword v191, v[188:189], off offset:144
	s_waitcnt vmcnt(1)
	global_store_dword v[188:189], v0, off offset:144
	s_waitcnt vmcnt(0)
	global_store_dword v[196:197], v191, off
.LBB88_770:
	s_or_b32 exec_lo, exec_lo, s8
	v_mov_b32_e32 v196, v190
	v_mov_b32_e32 v0, v190
.LBB88_771:
	s_or_b32 exec_lo, exec_lo, s7
.LBB88_772:
	s_andn2_saveexec_b32 s0, s0
	s_cbranch_execz .LBB88_774
; %bb.773:
	v_mov_b32_e32 v196, 36
	ds_write2_b64 v1, v[34:35], v[36:37] offset0:74 offset1:75
	ds_write2_b64 v1, v[26:27], v[28:29] offset0:76 offset1:77
	;; [unrolled: 1-line block ×8, first 2 shown]
.LBB88_774:
	s_or_b32 exec_lo, exec_lo, s0
	s_mov_b32 s0, exec_lo
	s_waitcnt lgkmcnt(0)
	s_waitcnt_vscnt null, 0x0
	s_barrier
	buffer_gl0_inv
	v_cmpx_lt_i32_e32 36, v196
	s_cbranch_execz .LBB88_776
; %bb.775:
	v_mul_f64 v[190:191], v[182:183], v[40:41]
	v_mul_f64 v[40:41], v[184:185], v[40:41]
	v_fma_f64 v[190:191], v[184:185], v[38:39], v[190:191]
	v_fma_f64 v[38:39], v[182:183], v[38:39], -v[40:41]
	ds_read2_b64 v[182:185], v1 offset0:74 offset1:75
	s_waitcnt lgkmcnt(0)
	v_mul_f64 v[40:41], v[184:185], v[190:191]
	v_fma_f64 v[40:41], v[182:183], v[38:39], -v[40:41]
	v_mul_f64 v[182:183], v[182:183], v[190:191]
	v_add_f64 v[34:35], v[34:35], -v[40:41]
	v_fma_f64 v[182:183], v[184:185], v[38:39], v[182:183]
	v_add_f64 v[36:37], v[36:37], -v[182:183]
	ds_read2_b64 v[182:185], v1 offset0:76 offset1:77
	s_waitcnt lgkmcnt(0)
	v_mul_f64 v[40:41], v[184:185], v[190:191]
	v_fma_f64 v[40:41], v[182:183], v[38:39], -v[40:41]
	v_mul_f64 v[182:183], v[182:183], v[190:191]
	v_add_f64 v[26:27], v[26:27], -v[40:41]
	v_fma_f64 v[182:183], v[184:185], v[38:39], v[182:183]
	v_add_f64 v[28:29], v[28:29], -v[182:183]
	;; [unrolled: 8-line block ×7, first 2 shown]
	ds_read2_b64 v[182:185], v1 offset0:88 offset1:89
	s_waitcnt lgkmcnt(0)
	v_mul_f64 v[40:41], v[184:185], v[190:191]
	v_fma_f64 v[40:41], v[182:183], v[38:39], -v[40:41]
	v_mul_f64 v[182:183], v[182:183], v[190:191]
	v_add_f64 v[2:3], v[2:3], -v[40:41]
	v_fma_f64 v[182:183], v[184:185], v[38:39], v[182:183]
	v_mov_b32_e32 v40, v190
	v_mov_b32_e32 v41, v191
	v_add_f64 v[4:5], v[4:5], -v[182:183]
.LBB88_776:
	s_or_b32 exec_lo, exec_lo, s0
	v_lshl_add_u32 v182, v196, 4, v1
	s_barrier
	buffer_gl0_inv
	v_mov_b32_e32 v190, 37
	ds_write2_b64 v182, v[34:35], v[36:37] offset1:1
	s_waitcnt lgkmcnt(0)
	s_barrier
	buffer_gl0_inv
	ds_read2_b64 v[182:185], v1 offset0:74 offset1:75
	s_cmp_lt_i32 s1, 39
	s_cbranch_scc1 .LBB88_779
; %bb.777:
	v_add3_u32 v191, v192, 0, 0x260
	v_mov_b32_e32 v190, 37
	s_mov_b32 s7, 38
	s_inst_prefetch 0x1
	.p2align	6
.LBB88_778:                             ; =>This Inner Loop Header: Depth=1
	s_waitcnt lgkmcnt(0)
	v_cmp_gt_f64_e32 vcc_lo, 0, v[184:185]
	v_cmp_gt_f64_e64 s0, 0, v[182:183]
	ds_read2_b64 v[197:200], v191 offset1:1
	v_xor_b32_e32 v202, 0x80000000, v183
	v_xor_b32_e32 v204, 0x80000000, v185
	v_mov_b32_e32 v201, v182
	v_mov_b32_e32 v203, v184
	v_add_nc_u32_e32 v191, 16, v191
	s_waitcnt lgkmcnt(0)
	v_xor_b32_e32 v206, 0x80000000, v200
	v_cndmask_b32_e64 v202, v183, v202, s0
	v_cndmask_b32_e32 v204, v185, v204, vcc_lo
	v_cmp_gt_f64_e32 vcc_lo, 0, v[199:200]
	v_cmp_gt_f64_e64 s0, 0, v[197:198]
	v_mov_b32_e32 v205, v199
	v_add_f64 v[201:202], v[201:202], v[203:204]
	v_xor_b32_e32 v204, 0x80000000, v198
	v_mov_b32_e32 v203, v197
	v_cndmask_b32_e32 v206, v200, v206, vcc_lo
	v_cndmask_b32_e64 v204, v198, v204, s0
	v_add_f64 v[203:204], v[203:204], v[205:206]
	v_cmp_lt_f64_e32 vcc_lo, v[201:202], v[203:204]
	v_cndmask_b32_e32 v183, v183, v198, vcc_lo
	v_cndmask_b32_e32 v182, v182, v197, vcc_lo
	;; [unrolled: 1-line block ×4, first 2 shown]
	v_cndmask_b32_e64 v190, v190, s7, vcc_lo
	s_add_i32 s7, s7, 1
	s_cmp_lg_u32 s1, s7
	s_cbranch_scc1 .LBB88_778
.LBB88_779:
	s_inst_prefetch 0x2
	s_waitcnt lgkmcnt(0)
	v_cmp_eq_f64_e32 vcc_lo, 0, v[182:183]
	v_cmp_eq_f64_e64 s0, 0, v[184:185]
	s_and_b32 s0, vcc_lo, s0
	s_and_saveexec_b32 s7, s0
	s_xor_b32 s0, exec_lo, s7
; %bb.780:
	v_cmp_ne_u32_e32 vcc_lo, 0, v195
	v_cndmask_b32_e32 v195, 38, v195, vcc_lo
; %bb.781:
	s_andn2_saveexec_b32 s0, s0
	s_cbranch_execz .LBB88_787
; %bb.782:
	v_cmp_ngt_f64_e64 s7, |v[182:183]|, |v[184:185]|
	s_and_saveexec_b32 s8, s7
	s_xor_b32 s7, exec_lo, s8
	s_cbranch_execz .LBB88_784
; %bb.783:
	v_div_scale_f64 v[197:198], null, v[184:185], v[184:185], v[182:183]
	v_div_scale_f64 v[203:204], vcc_lo, v[182:183], v[184:185], v[182:183]
	v_rcp_f64_e32 v[199:200], v[197:198]
	v_fma_f64 v[201:202], -v[197:198], v[199:200], 1.0
	v_fma_f64 v[199:200], v[199:200], v[201:202], v[199:200]
	v_fma_f64 v[201:202], -v[197:198], v[199:200], 1.0
	v_fma_f64 v[199:200], v[199:200], v[201:202], v[199:200]
	v_mul_f64 v[201:202], v[203:204], v[199:200]
	v_fma_f64 v[197:198], -v[197:198], v[201:202], v[203:204]
	v_div_fmas_f64 v[197:198], v[197:198], v[199:200], v[201:202]
	v_div_fixup_f64 v[197:198], v[197:198], v[184:185], v[182:183]
	v_fma_f64 v[182:183], v[182:183], v[197:198], v[184:185]
	v_div_scale_f64 v[184:185], null, v[182:183], v[182:183], 1.0
	v_rcp_f64_e32 v[199:200], v[184:185]
	v_fma_f64 v[201:202], -v[184:185], v[199:200], 1.0
	v_fma_f64 v[199:200], v[199:200], v[201:202], v[199:200]
	v_fma_f64 v[201:202], -v[184:185], v[199:200], 1.0
	v_fma_f64 v[199:200], v[199:200], v[201:202], v[199:200]
	v_div_scale_f64 v[201:202], vcc_lo, 1.0, v[182:183], 1.0
	v_mul_f64 v[203:204], v[201:202], v[199:200]
	v_fma_f64 v[184:185], -v[184:185], v[203:204], v[201:202]
	v_div_fmas_f64 v[184:185], v[184:185], v[199:200], v[203:204]
	v_div_fixup_f64 v[184:185], v[184:185], v[182:183], 1.0
	v_mul_f64 v[182:183], v[197:198], v[184:185]
	v_xor_b32_e32 v185, 0x80000000, v185
.LBB88_784:
	s_andn2_saveexec_b32 s7, s7
	s_cbranch_execz .LBB88_786
; %bb.785:
	v_div_scale_f64 v[197:198], null, v[182:183], v[182:183], v[184:185]
	v_div_scale_f64 v[203:204], vcc_lo, v[184:185], v[182:183], v[184:185]
	v_rcp_f64_e32 v[199:200], v[197:198]
	v_fma_f64 v[201:202], -v[197:198], v[199:200], 1.0
	v_fma_f64 v[199:200], v[199:200], v[201:202], v[199:200]
	v_fma_f64 v[201:202], -v[197:198], v[199:200], 1.0
	v_fma_f64 v[199:200], v[199:200], v[201:202], v[199:200]
	v_mul_f64 v[201:202], v[203:204], v[199:200]
	v_fma_f64 v[197:198], -v[197:198], v[201:202], v[203:204]
	v_div_fmas_f64 v[197:198], v[197:198], v[199:200], v[201:202]
	v_div_fixup_f64 v[197:198], v[197:198], v[182:183], v[184:185]
	v_fma_f64 v[182:183], v[184:185], v[197:198], v[182:183]
	v_div_scale_f64 v[184:185], null, v[182:183], v[182:183], 1.0
	v_rcp_f64_e32 v[199:200], v[184:185]
	v_fma_f64 v[201:202], -v[184:185], v[199:200], 1.0
	v_fma_f64 v[199:200], v[199:200], v[201:202], v[199:200]
	v_fma_f64 v[201:202], -v[184:185], v[199:200], 1.0
	v_fma_f64 v[199:200], v[199:200], v[201:202], v[199:200]
	v_div_scale_f64 v[201:202], vcc_lo, 1.0, v[182:183], 1.0
	v_mul_f64 v[203:204], v[201:202], v[199:200]
	v_fma_f64 v[184:185], -v[184:185], v[203:204], v[201:202]
	v_div_fmas_f64 v[184:185], v[184:185], v[199:200], v[203:204]
	v_div_fixup_f64 v[182:183], v[184:185], v[182:183], 1.0
	v_mul_f64 v[184:185], v[197:198], -v[182:183]
.LBB88_786:
	s_or_b32 exec_lo, exec_lo, s7
.LBB88_787:
	s_or_b32 exec_lo, exec_lo, s0
	s_mov_b32 s0, exec_lo
	v_cmpx_ne_u32_e64 v196, v190
	s_xor_b32 s0, exec_lo, s0
	s_cbranch_execz .LBB88_793
; %bb.788:
	s_mov_b32 s7, exec_lo
	v_cmpx_eq_u32_e32 37, v196
	s_cbranch_execz .LBB88_792
; %bb.789:
	v_cmp_ne_u32_e32 vcc_lo, 37, v190
	s_xor_b32 s8, s16, -1
	s_and_b32 s9, s8, vcc_lo
	s_and_saveexec_b32 s8, s9
	s_cbranch_execz .LBB88_791
; %bb.790:
	v_ashrrev_i32_e32 v191, 31, v190
	v_lshlrev_b64 v[196:197], 2, v[190:191]
	v_add_co_u32 v196, vcc_lo, v188, v196
	v_add_co_ci_u32_e64 v197, null, v189, v197, vcc_lo
	s_clause 0x1
	global_load_dword v0, v[196:197], off
	global_load_dword v191, v[188:189], off offset:148
	s_waitcnt vmcnt(1)
	global_store_dword v[188:189], v0, off offset:148
	s_waitcnt vmcnt(0)
	global_store_dword v[196:197], v191, off
.LBB88_791:
	s_or_b32 exec_lo, exec_lo, s8
	v_mov_b32_e32 v196, v190
	v_mov_b32_e32 v0, v190
.LBB88_792:
	s_or_b32 exec_lo, exec_lo, s7
.LBB88_793:
	s_andn2_saveexec_b32 s0, s0
	s_cbranch_execz .LBB88_795
; %bb.794:
	v_mov_b32_e32 v196, 37
	ds_write2_b64 v1, v[26:27], v[28:29] offset0:76 offset1:77
	ds_write2_b64 v1, v[22:23], v[24:25] offset0:78 offset1:79
	;; [unrolled: 1-line block ×7, first 2 shown]
.LBB88_795:
	s_or_b32 exec_lo, exec_lo, s0
	s_mov_b32 s0, exec_lo
	s_waitcnt lgkmcnt(0)
	s_waitcnt_vscnt null, 0x0
	s_barrier
	buffer_gl0_inv
	v_cmpx_lt_i32_e32 37, v196
	s_cbranch_execz .LBB88_797
; %bb.796:
	v_mul_f64 v[190:191], v[182:183], v[36:37]
	v_mul_f64 v[36:37], v[184:185], v[36:37]
	ds_read2_b64 v[197:200], v1 offset0:76 offset1:77
	ds_read2_b64 v[201:204], v1 offset0:78 offset1:79
	;; [unrolled: 1-line block ×7, first 2 shown]
	v_fma_f64 v[184:185], v[184:185], v[34:35], v[190:191]
	v_fma_f64 v[34:35], v[182:183], v[34:35], -v[36:37]
	s_waitcnt lgkmcnt(6)
	v_mul_f64 v[36:37], v[199:200], v[184:185]
	v_mul_f64 v[182:183], v[197:198], v[184:185]
	s_waitcnt lgkmcnt(5)
	v_mul_f64 v[190:191], v[203:204], v[184:185]
	v_mul_f64 v[225:226], v[201:202], v[184:185]
	;; [unrolled: 3-line block ×7, first 2 shown]
	v_fma_f64 v[36:37], v[197:198], v[34:35], -v[36:37]
	v_fma_f64 v[182:183], v[199:200], v[34:35], v[182:183]
	v_fma_f64 v[190:191], v[201:202], v[34:35], -v[190:191]
	v_fma_f64 v[197:198], v[203:204], v[34:35], v[225:226]
	;; [unrolled: 2-line block ×7, first 2 shown]
	v_add_f64 v[26:27], v[26:27], -v[36:37]
	v_add_f64 v[28:29], v[28:29], -v[182:183]
	;; [unrolled: 1-line block ×14, first 2 shown]
	v_mov_b32_e32 v36, v184
	v_mov_b32_e32 v37, v185
.LBB88_797:
	s_or_b32 exec_lo, exec_lo, s0
	v_lshl_add_u32 v182, v196, 4, v1
	s_barrier
	buffer_gl0_inv
	v_mov_b32_e32 v190, 38
	ds_write2_b64 v182, v[26:27], v[28:29] offset1:1
	s_waitcnt lgkmcnt(0)
	s_barrier
	buffer_gl0_inv
	ds_read2_b64 v[182:185], v1 offset0:76 offset1:77
	s_cmp_lt_i32 s1, 40
	s_cbranch_scc1 .LBB88_800
; %bb.798:
	v_add3_u32 v191, v192, 0, 0x270
	v_mov_b32_e32 v190, 38
	s_mov_b32 s7, 39
	s_inst_prefetch 0x1
	.p2align	6
.LBB88_799:                             ; =>This Inner Loop Header: Depth=1
	s_waitcnt lgkmcnt(0)
	v_cmp_gt_f64_e32 vcc_lo, 0, v[184:185]
	v_cmp_gt_f64_e64 s0, 0, v[182:183]
	ds_read2_b64 v[197:200], v191 offset1:1
	v_xor_b32_e32 v202, 0x80000000, v183
	v_xor_b32_e32 v204, 0x80000000, v185
	v_mov_b32_e32 v201, v182
	v_mov_b32_e32 v203, v184
	v_add_nc_u32_e32 v191, 16, v191
	s_waitcnt lgkmcnt(0)
	v_xor_b32_e32 v206, 0x80000000, v200
	v_cndmask_b32_e64 v202, v183, v202, s0
	v_cndmask_b32_e32 v204, v185, v204, vcc_lo
	v_cmp_gt_f64_e32 vcc_lo, 0, v[199:200]
	v_cmp_gt_f64_e64 s0, 0, v[197:198]
	v_mov_b32_e32 v205, v199
	v_add_f64 v[201:202], v[201:202], v[203:204]
	v_xor_b32_e32 v204, 0x80000000, v198
	v_mov_b32_e32 v203, v197
	v_cndmask_b32_e32 v206, v200, v206, vcc_lo
	v_cndmask_b32_e64 v204, v198, v204, s0
	v_add_f64 v[203:204], v[203:204], v[205:206]
	v_cmp_lt_f64_e32 vcc_lo, v[201:202], v[203:204]
	v_cndmask_b32_e32 v183, v183, v198, vcc_lo
	v_cndmask_b32_e32 v182, v182, v197, vcc_lo
	;; [unrolled: 1-line block ×4, first 2 shown]
	v_cndmask_b32_e64 v190, v190, s7, vcc_lo
	s_add_i32 s7, s7, 1
	s_cmp_lg_u32 s1, s7
	s_cbranch_scc1 .LBB88_799
.LBB88_800:
	s_inst_prefetch 0x2
	s_waitcnt lgkmcnt(0)
	v_cmp_eq_f64_e32 vcc_lo, 0, v[182:183]
	v_cmp_eq_f64_e64 s0, 0, v[184:185]
	s_and_b32 s0, vcc_lo, s0
	s_and_saveexec_b32 s7, s0
	s_xor_b32 s0, exec_lo, s7
; %bb.801:
	v_cmp_ne_u32_e32 vcc_lo, 0, v195
	v_cndmask_b32_e32 v195, 39, v195, vcc_lo
; %bb.802:
	s_andn2_saveexec_b32 s0, s0
	s_cbranch_execz .LBB88_808
; %bb.803:
	v_cmp_ngt_f64_e64 s7, |v[182:183]|, |v[184:185]|
	s_and_saveexec_b32 s8, s7
	s_xor_b32 s7, exec_lo, s8
	s_cbranch_execz .LBB88_805
; %bb.804:
	v_div_scale_f64 v[197:198], null, v[184:185], v[184:185], v[182:183]
	v_div_scale_f64 v[203:204], vcc_lo, v[182:183], v[184:185], v[182:183]
	v_rcp_f64_e32 v[199:200], v[197:198]
	v_fma_f64 v[201:202], -v[197:198], v[199:200], 1.0
	v_fma_f64 v[199:200], v[199:200], v[201:202], v[199:200]
	v_fma_f64 v[201:202], -v[197:198], v[199:200], 1.0
	v_fma_f64 v[199:200], v[199:200], v[201:202], v[199:200]
	v_mul_f64 v[201:202], v[203:204], v[199:200]
	v_fma_f64 v[197:198], -v[197:198], v[201:202], v[203:204]
	v_div_fmas_f64 v[197:198], v[197:198], v[199:200], v[201:202]
	v_div_fixup_f64 v[197:198], v[197:198], v[184:185], v[182:183]
	v_fma_f64 v[182:183], v[182:183], v[197:198], v[184:185]
	v_div_scale_f64 v[184:185], null, v[182:183], v[182:183], 1.0
	v_rcp_f64_e32 v[199:200], v[184:185]
	v_fma_f64 v[201:202], -v[184:185], v[199:200], 1.0
	v_fma_f64 v[199:200], v[199:200], v[201:202], v[199:200]
	v_fma_f64 v[201:202], -v[184:185], v[199:200], 1.0
	v_fma_f64 v[199:200], v[199:200], v[201:202], v[199:200]
	v_div_scale_f64 v[201:202], vcc_lo, 1.0, v[182:183], 1.0
	v_mul_f64 v[203:204], v[201:202], v[199:200]
	v_fma_f64 v[184:185], -v[184:185], v[203:204], v[201:202]
	v_div_fmas_f64 v[184:185], v[184:185], v[199:200], v[203:204]
	v_div_fixup_f64 v[184:185], v[184:185], v[182:183], 1.0
	v_mul_f64 v[182:183], v[197:198], v[184:185]
	v_xor_b32_e32 v185, 0x80000000, v185
.LBB88_805:
	s_andn2_saveexec_b32 s7, s7
	s_cbranch_execz .LBB88_807
; %bb.806:
	v_div_scale_f64 v[197:198], null, v[182:183], v[182:183], v[184:185]
	v_div_scale_f64 v[203:204], vcc_lo, v[184:185], v[182:183], v[184:185]
	v_rcp_f64_e32 v[199:200], v[197:198]
	v_fma_f64 v[201:202], -v[197:198], v[199:200], 1.0
	v_fma_f64 v[199:200], v[199:200], v[201:202], v[199:200]
	v_fma_f64 v[201:202], -v[197:198], v[199:200], 1.0
	v_fma_f64 v[199:200], v[199:200], v[201:202], v[199:200]
	v_mul_f64 v[201:202], v[203:204], v[199:200]
	v_fma_f64 v[197:198], -v[197:198], v[201:202], v[203:204]
	v_div_fmas_f64 v[197:198], v[197:198], v[199:200], v[201:202]
	v_div_fixup_f64 v[197:198], v[197:198], v[182:183], v[184:185]
	v_fma_f64 v[182:183], v[184:185], v[197:198], v[182:183]
	v_div_scale_f64 v[184:185], null, v[182:183], v[182:183], 1.0
	v_rcp_f64_e32 v[199:200], v[184:185]
	v_fma_f64 v[201:202], -v[184:185], v[199:200], 1.0
	v_fma_f64 v[199:200], v[199:200], v[201:202], v[199:200]
	v_fma_f64 v[201:202], -v[184:185], v[199:200], 1.0
	v_fma_f64 v[199:200], v[199:200], v[201:202], v[199:200]
	v_div_scale_f64 v[201:202], vcc_lo, 1.0, v[182:183], 1.0
	v_mul_f64 v[203:204], v[201:202], v[199:200]
	v_fma_f64 v[184:185], -v[184:185], v[203:204], v[201:202]
	v_div_fmas_f64 v[184:185], v[184:185], v[199:200], v[203:204]
	v_div_fixup_f64 v[182:183], v[184:185], v[182:183], 1.0
	v_mul_f64 v[184:185], v[197:198], -v[182:183]
.LBB88_807:
	s_or_b32 exec_lo, exec_lo, s7
.LBB88_808:
	s_or_b32 exec_lo, exec_lo, s0
	s_mov_b32 s0, exec_lo
	v_cmpx_ne_u32_e64 v196, v190
	s_xor_b32 s0, exec_lo, s0
	s_cbranch_execz .LBB88_814
; %bb.809:
	s_mov_b32 s7, exec_lo
	v_cmpx_eq_u32_e32 38, v196
	s_cbranch_execz .LBB88_813
; %bb.810:
	v_cmp_ne_u32_e32 vcc_lo, 38, v190
	s_xor_b32 s8, s16, -1
	s_and_b32 s9, s8, vcc_lo
	s_and_saveexec_b32 s8, s9
	s_cbranch_execz .LBB88_812
; %bb.811:
	v_ashrrev_i32_e32 v191, 31, v190
	v_lshlrev_b64 v[196:197], 2, v[190:191]
	v_add_co_u32 v196, vcc_lo, v188, v196
	v_add_co_ci_u32_e64 v197, null, v189, v197, vcc_lo
	s_clause 0x1
	global_load_dword v0, v[196:197], off
	global_load_dword v191, v[188:189], off offset:152
	s_waitcnt vmcnt(1)
	global_store_dword v[188:189], v0, off offset:152
	s_waitcnt vmcnt(0)
	global_store_dword v[196:197], v191, off
.LBB88_812:
	s_or_b32 exec_lo, exec_lo, s8
	v_mov_b32_e32 v196, v190
	v_mov_b32_e32 v0, v190
.LBB88_813:
	s_or_b32 exec_lo, exec_lo, s7
.LBB88_814:
	s_andn2_saveexec_b32 s0, s0
	s_cbranch_execz .LBB88_816
; %bb.815:
	v_mov_b32_e32 v196, 38
	ds_write2_b64 v1, v[22:23], v[24:25] offset0:78 offset1:79
	ds_write2_b64 v1, v[18:19], v[20:21] offset0:80 offset1:81
	;; [unrolled: 1-line block ×6, first 2 shown]
.LBB88_816:
	s_or_b32 exec_lo, exec_lo, s0
	s_mov_b32 s0, exec_lo
	s_waitcnt lgkmcnt(0)
	s_waitcnt_vscnt null, 0x0
	s_barrier
	buffer_gl0_inv
	v_cmpx_lt_i32_e32 38, v196
	s_cbranch_execz .LBB88_818
; %bb.817:
	v_mul_f64 v[190:191], v[182:183], v[28:29]
	v_mul_f64 v[28:29], v[184:185], v[28:29]
	ds_read2_b64 v[197:200], v1 offset0:78 offset1:79
	ds_read2_b64 v[201:204], v1 offset0:80 offset1:81
	;; [unrolled: 1-line block ×6, first 2 shown]
	v_fma_f64 v[184:185], v[184:185], v[26:27], v[190:191]
	v_fma_f64 v[26:27], v[182:183], v[26:27], -v[28:29]
	s_waitcnt lgkmcnt(5)
	v_mul_f64 v[28:29], v[199:200], v[184:185]
	v_mul_f64 v[182:183], v[197:198], v[184:185]
	s_waitcnt lgkmcnt(4)
	v_mul_f64 v[190:191], v[203:204], v[184:185]
	v_mul_f64 v[221:222], v[201:202], v[184:185]
	;; [unrolled: 3-line block ×6, first 2 shown]
	v_fma_f64 v[28:29], v[197:198], v[26:27], -v[28:29]
	v_fma_f64 v[182:183], v[199:200], v[26:27], v[182:183]
	v_fma_f64 v[190:191], v[201:202], v[26:27], -v[190:191]
	v_fma_f64 v[197:198], v[203:204], v[26:27], v[221:222]
	;; [unrolled: 2-line block ×6, first 2 shown]
	v_add_f64 v[22:23], v[22:23], -v[28:29]
	v_add_f64 v[24:25], v[24:25], -v[182:183]
	;; [unrolled: 1-line block ×12, first 2 shown]
	v_mov_b32_e32 v28, v184
	v_mov_b32_e32 v29, v185
.LBB88_818:
	s_or_b32 exec_lo, exec_lo, s0
	v_lshl_add_u32 v182, v196, 4, v1
	s_barrier
	buffer_gl0_inv
	v_mov_b32_e32 v190, 39
	ds_write2_b64 v182, v[22:23], v[24:25] offset1:1
	s_waitcnt lgkmcnt(0)
	s_barrier
	buffer_gl0_inv
	ds_read2_b64 v[182:185], v1 offset0:78 offset1:79
	s_cmp_lt_i32 s1, 41
	s_cbranch_scc1 .LBB88_821
; %bb.819:
	v_add3_u32 v191, v192, 0, 0x280
	v_mov_b32_e32 v190, 39
	s_mov_b32 s7, 40
	s_inst_prefetch 0x1
	.p2align	6
.LBB88_820:                             ; =>This Inner Loop Header: Depth=1
	s_waitcnt lgkmcnt(0)
	v_cmp_gt_f64_e32 vcc_lo, 0, v[184:185]
	v_cmp_gt_f64_e64 s0, 0, v[182:183]
	ds_read2_b64 v[197:200], v191 offset1:1
	v_xor_b32_e32 v202, 0x80000000, v183
	v_xor_b32_e32 v204, 0x80000000, v185
	v_mov_b32_e32 v201, v182
	v_mov_b32_e32 v203, v184
	v_add_nc_u32_e32 v191, 16, v191
	s_waitcnt lgkmcnt(0)
	v_xor_b32_e32 v206, 0x80000000, v200
	v_cndmask_b32_e64 v202, v183, v202, s0
	v_cndmask_b32_e32 v204, v185, v204, vcc_lo
	v_cmp_gt_f64_e32 vcc_lo, 0, v[199:200]
	v_cmp_gt_f64_e64 s0, 0, v[197:198]
	v_mov_b32_e32 v205, v199
	v_add_f64 v[201:202], v[201:202], v[203:204]
	v_xor_b32_e32 v204, 0x80000000, v198
	v_mov_b32_e32 v203, v197
	v_cndmask_b32_e32 v206, v200, v206, vcc_lo
	v_cndmask_b32_e64 v204, v198, v204, s0
	v_add_f64 v[203:204], v[203:204], v[205:206]
	v_cmp_lt_f64_e32 vcc_lo, v[201:202], v[203:204]
	v_cndmask_b32_e32 v183, v183, v198, vcc_lo
	v_cndmask_b32_e32 v182, v182, v197, vcc_lo
	;; [unrolled: 1-line block ×4, first 2 shown]
	v_cndmask_b32_e64 v190, v190, s7, vcc_lo
	s_add_i32 s7, s7, 1
	s_cmp_lg_u32 s1, s7
	s_cbranch_scc1 .LBB88_820
.LBB88_821:
	s_inst_prefetch 0x2
	s_waitcnt lgkmcnt(0)
	v_cmp_eq_f64_e32 vcc_lo, 0, v[182:183]
	v_cmp_eq_f64_e64 s0, 0, v[184:185]
	s_and_b32 s0, vcc_lo, s0
	s_and_saveexec_b32 s7, s0
	s_xor_b32 s0, exec_lo, s7
; %bb.822:
	v_cmp_ne_u32_e32 vcc_lo, 0, v195
	v_cndmask_b32_e32 v195, 40, v195, vcc_lo
; %bb.823:
	s_andn2_saveexec_b32 s0, s0
	s_cbranch_execz .LBB88_829
; %bb.824:
	v_cmp_ngt_f64_e64 s7, |v[182:183]|, |v[184:185]|
	s_and_saveexec_b32 s8, s7
	s_xor_b32 s7, exec_lo, s8
	s_cbranch_execz .LBB88_826
; %bb.825:
	v_div_scale_f64 v[197:198], null, v[184:185], v[184:185], v[182:183]
	v_div_scale_f64 v[203:204], vcc_lo, v[182:183], v[184:185], v[182:183]
	v_rcp_f64_e32 v[199:200], v[197:198]
	v_fma_f64 v[201:202], -v[197:198], v[199:200], 1.0
	v_fma_f64 v[199:200], v[199:200], v[201:202], v[199:200]
	v_fma_f64 v[201:202], -v[197:198], v[199:200], 1.0
	v_fma_f64 v[199:200], v[199:200], v[201:202], v[199:200]
	v_mul_f64 v[201:202], v[203:204], v[199:200]
	v_fma_f64 v[197:198], -v[197:198], v[201:202], v[203:204]
	v_div_fmas_f64 v[197:198], v[197:198], v[199:200], v[201:202]
	v_div_fixup_f64 v[197:198], v[197:198], v[184:185], v[182:183]
	v_fma_f64 v[182:183], v[182:183], v[197:198], v[184:185]
	v_div_scale_f64 v[184:185], null, v[182:183], v[182:183], 1.0
	v_rcp_f64_e32 v[199:200], v[184:185]
	v_fma_f64 v[201:202], -v[184:185], v[199:200], 1.0
	v_fma_f64 v[199:200], v[199:200], v[201:202], v[199:200]
	v_fma_f64 v[201:202], -v[184:185], v[199:200], 1.0
	v_fma_f64 v[199:200], v[199:200], v[201:202], v[199:200]
	v_div_scale_f64 v[201:202], vcc_lo, 1.0, v[182:183], 1.0
	v_mul_f64 v[203:204], v[201:202], v[199:200]
	v_fma_f64 v[184:185], -v[184:185], v[203:204], v[201:202]
	v_div_fmas_f64 v[184:185], v[184:185], v[199:200], v[203:204]
	v_div_fixup_f64 v[184:185], v[184:185], v[182:183], 1.0
	v_mul_f64 v[182:183], v[197:198], v[184:185]
	v_xor_b32_e32 v185, 0x80000000, v185
.LBB88_826:
	s_andn2_saveexec_b32 s7, s7
	s_cbranch_execz .LBB88_828
; %bb.827:
	v_div_scale_f64 v[197:198], null, v[182:183], v[182:183], v[184:185]
	v_div_scale_f64 v[203:204], vcc_lo, v[184:185], v[182:183], v[184:185]
	v_rcp_f64_e32 v[199:200], v[197:198]
	v_fma_f64 v[201:202], -v[197:198], v[199:200], 1.0
	v_fma_f64 v[199:200], v[199:200], v[201:202], v[199:200]
	v_fma_f64 v[201:202], -v[197:198], v[199:200], 1.0
	v_fma_f64 v[199:200], v[199:200], v[201:202], v[199:200]
	v_mul_f64 v[201:202], v[203:204], v[199:200]
	v_fma_f64 v[197:198], -v[197:198], v[201:202], v[203:204]
	v_div_fmas_f64 v[197:198], v[197:198], v[199:200], v[201:202]
	v_div_fixup_f64 v[197:198], v[197:198], v[182:183], v[184:185]
	v_fma_f64 v[182:183], v[184:185], v[197:198], v[182:183]
	v_div_scale_f64 v[184:185], null, v[182:183], v[182:183], 1.0
	v_rcp_f64_e32 v[199:200], v[184:185]
	v_fma_f64 v[201:202], -v[184:185], v[199:200], 1.0
	v_fma_f64 v[199:200], v[199:200], v[201:202], v[199:200]
	v_fma_f64 v[201:202], -v[184:185], v[199:200], 1.0
	v_fma_f64 v[199:200], v[199:200], v[201:202], v[199:200]
	v_div_scale_f64 v[201:202], vcc_lo, 1.0, v[182:183], 1.0
	v_mul_f64 v[203:204], v[201:202], v[199:200]
	v_fma_f64 v[184:185], -v[184:185], v[203:204], v[201:202]
	v_div_fmas_f64 v[184:185], v[184:185], v[199:200], v[203:204]
	v_div_fixup_f64 v[182:183], v[184:185], v[182:183], 1.0
	v_mul_f64 v[184:185], v[197:198], -v[182:183]
.LBB88_828:
	s_or_b32 exec_lo, exec_lo, s7
.LBB88_829:
	s_or_b32 exec_lo, exec_lo, s0
	s_mov_b32 s0, exec_lo
	v_cmpx_ne_u32_e64 v196, v190
	s_xor_b32 s0, exec_lo, s0
	s_cbranch_execz .LBB88_835
; %bb.830:
	s_mov_b32 s7, exec_lo
	v_cmpx_eq_u32_e32 39, v196
	s_cbranch_execz .LBB88_834
; %bb.831:
	v_cmp_ne_u32_e32 vcc_lo, 39, v190
	s_xor_b32 s8, s16, -1
	s_and_b32 s9, s8, vcc_lo
	s_and_saveexec_b32 s8, s9
	s_cbranch_execz .LBB88_833
; %bb.832:
	v_ashrrev_i32_e32 v191, 31, v190
	v_lshlrev_b64 v[196:197], 2, v[190:191]
	v_add_co_u32 v196, vcc_lo, v188, v196
	v_add_co_ci_u32_e64 v197, null, v189, v197, vcc_lo
	s_clause 0x1
	global_load_dword v0, v[196:197], off
	global_load_dword v191, v[188:189], off offset:156
	s_waitcnt vmcnt(1)
	global_store_dword v[188:189], v0, off offset:156
	s_waitcnt vmcnt(0)
	global_store_dword v[196:197], v191, off
.LBB88_833:
	s_or_b32 exec_lo, exec_lo, s8
	v_mov_b32_e32 v196, v190
	v_mov_b32_e32 v0, v190
.LBB88_834:
	s_or_b32 exec_lo, exec_lo, s7
.LBB88_835:
	s_andn2_saveexec_b32 s0, s0
	s_cbranch_execz .LBB88_837
; %bb.836:
	v_mov_b32_e32 v196, 39
	ds_write2_b64 v1, v[18:19], v[20:21] offset0:80 offset1:81
	ds_write2_b64 v1, v[14:15], v[16:17] offset0:82 offset1:83
	;; [unrolled: 1-line block ×5, first 2 shown]
.LBB88_837:
	s_or_b32 exec_lo, exec_lo, s0
	s_mov_b32 s0, exec_lo
	s_waitcnt lgkmcnt(0)
	s_waitcnt_vscnt null, 0x0
	s_barrier
	buffer_gl0_inv
	v_cmpx_lt_i32_e32 39, v196
	s_cbranch_execz .LBB88_839
; %bb.838:
	v_mul_f64 v[190:191], v[182:183], v[24:25]
	v_mul_f64 v[24:25], v[184:185], v[24:25]
	ds_read2_b64 v[197:200], v1 offset0:80 offset1:81
	ds_read2_b64 v[201:204], v1 offset0:82 offset1:83
	;; [unrolled: 1-line block ×5, first 2 shown]
	v_fma_f64 v[184:185], v[184:185], v[22:23], v[190:191]
	v_fma_f64 v[22:23], v[182:183], v[22:23], -v[24:25]
	s_waitcnt lgkmcnt(4)
	v_mul_f64 v[24:25], v[199:200], v[184:185]
	v_mul_f64 v[182:183], v[197:198], v[184:185]
	s_waitcnt lgkmcnt(3)
	v_mul_f64 v[190:191], v[203:204], v[184:185]
	v_mul_f64 v[217:218], v[201:202], v[184:185]
	;; [unrolled: 3-line block ×5, first 2 shown]
	v_fma_f64 v[24:25], v[197:198], v[22:23], -v[24:25]
	v_fma_f64 v[182:183], v[199:200], v[22:23], v[182:183]
	v_fma_f64 v[190:191], v[201:202], v[22:23], -v[190:191]
	v_fma_f64 v[197:198], v[203:204], v[22:23], v[217:218]
	;; [unrolled: 2-line block ×5, first 2 shown]
	v_add_f64 v[18:19], v[18:19], -v[24:25]
	v_add_f64 v[20:21], v[20:21], -v[182:183]
	;; [unrolled: 1-line block ×10, first 2 shown]
	v_mov_b32_e32 v24, v184
	v_mov_b32_e32 v25, v185
.LBB88_839:
	s_or_b32 exec_lo, exec_lo, s0
	v_lshl_add_u32 v182, v196, 4, v1
	s_barrier
	buffer_gl0_inv
	v_mov_b32_e32 v190, 40
	ds_write2_b64 v182, v[18:19], v[20:21] offset1:1
	s_waitcnt lgkmcnt(0)
	s_barrier
	buffer_gl0_inv
	ds_read2_b64 v[182:185], v1 offset0:80 offset1:81
	s_cmp_lt_i32 s1, 42
	s_cbranch_scc1 .LBB88_842
; %bb.840:
	v_add3_u32 v191, v192, 0, 0x290
	v_mov_b32_e32 v190, 40
	s_mov_b32 s7, 41
	s_inst_prefetch 0x1
	.p2align	6
.LBB88_841:                             ; =>This Inner Loop Header: Depth=1
	s_waitcnt lgkmcnt(0)
	v_cmp_gt_f64_e32 vcc_lo, 0, v[184:185]
	v_cmp_gt_f64_e64 s0, 0, v[182:183]
	ds_read2_b64 v[197:200], v191 offset1:1
	v_xor_b32_e32 v202, 0x80000000, v183
	v_xor_b32_e32 v204, 0x80000000, v185
	v_mov_b32_e32 v201, v182
	v_mov_b32_e32 v203, v184
	v_add_nc_u32_e32 v191, 16, v191
	s_waitcnt lgkmcnt(0)
	v_xor_b32_e32 v206, 0x80000000, v200
	v_cndmask_b32_e64 v202, v183, v202, s0
	v_cndmask_b32_e32 v204, v185, v204, vcc_lo
	v_cmp_gt_f64_e32 vcc_lo, 0, v[199:200]
	v_cmp_gt_f64_e64 s0, 0, v[197:198]
	v_mov_b32_e32 v205, v199
	v_add_f64 v[201:202], v[201:202], v[203:204]
	v_xor_b32_e32 v204, 0x80000000, v198
	v_mov_b32_e32 v203, v197
	v_cndmask_b32_e32 v206, v200, v206, vcc_lo
	v_cndmask_b32_e64 v204, v198, v204, s0
	v_add_f64 v[203:204], v[203:204], v[205:206]
	v_cmp_lt_f64_e32 vcc_lo, v[201:202], v[203:204]
	v_cndmask_b32_e32 v183, v183, v198, vcc_lo
	v_cndmask_b32_e32 v182, v182, v197, vcc_lo
	;; [unrolled: 1-line block ×4, first 2 shown]
	v_cndmask_b32_e64 v190, v190, s7, vcc_lo
	s_add_i32 s7, s7, 1
	s_cmp_lg_u32 s1, s7
	s_cbranch_scc1 .LBB88_841
.LBB88_842:
	s_inst_prefetch 0x2
	s_waitcnt lgkmcnt(0)
	v_cmp_eq_f64_e32 vcc_lo, 0, v[182:183]
	v_cmp_eq_f64_e64 s0, 0, v[184:185]
	s_and_b32 s0, vcc_lo, s0
	s_and_saveexec_b32 s7, s0
	s_xor_b32 s0, exec_lo, s7
; %bb.843:
	v_cmp_ne_u32_e32 vcc_lo, 0, v195
	v_cndmask_b32_e32 v195, 41, v195, vcc_lo
; %bb.844:
	s_andn2_saveexec_b32 s0, s0
	s_cbranch_execz .LBB88_850
; %bb.845:
	v_cmp_ngt_f64_e64 s7, |v[182:183]|, |v[184:185]|
	s_and_saveexec_b32 s8, s7
	s_xor_b32 s7, exec_lo, s8
	s_cbranch_execz .LBB88_847
; %bb.846:
	v_div_scale_f64 v[197:198], null, v[184:185], v[184:185], v[182:183]
	v_div_scale_f64 v[203:204], vcc_lo, v[182:183], v[184:185], v[182:183]
	v_rcp_f64_e32 v[199:200], v[197:198]
	v_fma_f64 v[201:202], -v[197:198], v[199:200], 1.0
	v_fma_f64 v[199:200], v[199:200], v[201:202], v[199:200]
	v_fma_f64 v[201:202], -v[197:198], v[199:200], 1.0
	v_fma_f64 v[199:200], v[199:200], v[201:202], v[199:200]
	v_mul_f64 v[201:202], v[203:204], v[199:200]
	v_fma_f64 v[197:198], -v[197:198], v[201:202], v[203:204]
	v_div_fmas_f64 v[197:198], v[197:198], v[199:200], v[201:202]
	v_div_fixup_f64 v[197:198], v[197:198], v[184:185], v[182:183]
	v_fma_f64 v[182:183], v[182:183], v[197:198], v[184:185]
	v_div_scale_f64 v[184:185], null, v[182:183], v[182:183], 1.0
	v_rcp_f64_e32 v[199:200], v[184:185]
	v_fma_f64 v[201:202], -v[184:185], v[199:200], 1.0
	v_fma_f64 v[199:200], v[199:200], v[201:202], v[199:200]
	v_fma_f64 v[201:202], -v[184:185], v[199:200], 1.0
	v_fma_f64 v[199:200], v[199:200], v[201:202], v[199:200]
	v_div_scale_f64 v[201:202], vcc_lo, 1.0, v[182:183], 1.0
	v_mul_f64 v[203:204], v[201:202], v[199:200]
	v_fma_f64 v[184:185], -v[184:185], v[203:204], v[201:202]
	v_div_fmas_f64 v[184:185], v[184:185], v[199:200], v[203:204]
	v_div_fixup_f64 v[184:185], v[184:185], v[182:183], 1.0
	v_mul_f64 v[182:183], v[197:198], v[184:185]
	v_xor_b32_e32 v185, 0x80000000, v185
.LBB88_847:
	s_andn2_saveexec_b32 s7, s7
	s_cbranch_execz .LBB88_849
; %bb.848:
	v_div_scale_f64 v[197:198], null, v[182:183], v[182:183], v[184:185]
	v_div_scale_f64 v[203:204], vcc_lo, v[184:185], v[182:183], v[184:185]
	v_rcp_f64_e32 v[199:200], v[197:198]
	v_fma_f64 v[201:202], -v[197:198], v[199:200], 1.0
	v_fma_f64 v[199:200], v[199:200], v[201:202], v[199:200]
	v_fma_f64 v[201:202], -v[197:198], v[199:200], 1.0
	v_fma_f64 v[199:200], v[199:200], v[201:202], v[199:200]
	v_mul_f64 v[201:202], v[203:204], v[199:200]
	v_fma_f64 v[197:198], -v[197:198], v[201:202], v[203:204]
	v_div_fmas_f64 v[197:198], v[197:198], v[199:200], v[201:202]
	v_div_fixup_f64 v[197:198], v[197:198], v[182:183], v[184:185]
	v_fma_f64 v[182:183], v[184:185], v[197:198], v[182:183]
	v_div_scale_f64 v[184:185], null, v[182:183], v[182:183], 1.0
	v_rcp_f64_e32 v[199:200], v[184:185]
	v_fma_f64 v[201:202], -v[184:185], v[199:200], 1.0
	v_fma_f64 v[199:200], v[199:200], v[201:202], v[199:200]
	v_fma_f64 v[201:202], -v[184:185], v[199:200], 1.0
	v_fma_f64 v[199:200], v[199:200], v[201:202], v[199:200]
	v_div_scale_f64 v[201:202], vcc_lo, 1.0, v[182:183], 1.0
	v_mul_f64 v[203:204], v[201:202], v[199:200]
	v_fma_f64 v[184:185], -v[184:185], v[203:204], v[201:202]
	v_div_fmas_f64 v[184:185], v[184:185], v[199:200], v[203:204]
	v_div_fixup_f64 v[182:183], v[184:185], v[182:183], 1.0
	v_mul_f64 v[184:185], v[197:198], -v[182:183]
.LBB88_849:
	s_or_b32 exec_lo, exec_lo, s7
.LBB88_850:
	s_or_b32 exec_lo, exec_lo, s0
	s_mov_b32 s0, exec_lo
	v_cmpx_ne_u32_e64 v196, v190
	s_xor_b32 s0, exec_lo, s0
	s_cbranch_execz .LBB88_856
; %bb.851:
	s_mov_b32 s7, exec_lo
	v_cmpx_eq_u32_e32 40, v196
	s_cbranch_execz .LBB88_855
; %bb.852:
	v_cmp_ne_u32_e32 vcc_lo, 40, v190
	s_xor_b32 s8, s16, -1
	s_and_b32 s9, s8, vcc_lo
	s_and_saveexec_b32 s8, s9
	s_cbranch_execz .LBB88_854
; %bb.853:
	v_ashrrev_i32_e32 v191, 31, v190
	v_lshlrev_b64 v[196:197], 2, v[190:191]
	v_add_co_u32 v196, vcc_lo, v188, v196
	v_add_co_ci_u32_e64 v197, null, v189, v197, vcc_lo
	s_clause 0x1
	global_load_dword v0, v[196:197], off
	global_load_dword v191, v[188:189], off offset:160
	s_waitcnt vmcnt(1)
	global_store_dword v[188:189], v0, off offset:160
	s_waitcnt vmcnt(0)
	global_store_dword v[196:197], v191, off
.LBB88_854:
	s_or_b32 exec_lo, exec_lo, s8
	v_mov_b32_e32 v196, v190
	v_mov_b32_e32 v0, v190
.LBB88_855:
	s_or_b32 exec_lo, exec_lo, s7
.LBB88_856:
	s_andn2_saveexec_b32 s0, s0
	s_cbranch_execz .LBB88_858
; %bb.857:
	v_mov_b32_e32 v196, 40
	ds_write2_b64 v1, v[14:15], v[16:17] offset0:82 offset1:83
	ds_write2_b64 v1, v[10:11], v[12:13] offset0:84 offset1:85
	;; [unrolled: 1-line block ×4, first 2 shown]
.LBB88_858:
	s_or_b32 exec_lo, exec_lo, s0
	s_mov_b32 s0, exec_lo
	s_waitcnt lgkmcnt(0)
	s_waitcnt_vscnt null, 0x0
	s_barrier
	buffer_gl0_inv
	v_cmpx_lt_i32_e32 40, v196
	s_cbranch_execz .LBB88_860
; %bb.859:
	v_mul_f64 v[190:191], v[182:183], v[20:21]
	v_mul_f64 v[20:21], v[184:185], v[20:21]
	ds_read2_b64 v[197:200], v1 offset0:82 offset1:83
	ds_read2_b64 v[201:204], v1 offset0:84 offset1:85
	;; [unrolled: 1-line block ×4, first 2 shown]
	v_fma_f64 v[184:185], v[184:185], v[18:19], v[190:191]
	v_fma_f64 v[18:19], v[182:183], v[18:19], -v[20:21]
	s_waitcnt lgkmcnt(3)
	v_mul_f64 v[20:21], v[199:200], v[184:185]
	v_mul_f64 v[182:183], v[197:198], v[184:185]
	s_waitcnt lgkmcnt(2)
	v_mul_f64 v[190:191], v[203:204], v[184:185]
	v_mul_f64 v[213:214], v[201:202], v[184:185]
	;; [unrolled: 3-line block ×4, first 2 shown]
	v_fma_f64 v[20:21], v[197:198], v[18:19], -v[20:21]
	v_fma_f64 v[182:183], v[199:200], v[18:19], v[182:183]
	v_fma_f64 v[190:191], v[201:202], v[18:19], -v[190:191]
	v_fma_f64 v[197:198], v[203:204], v[18:19], v[213:214]
	;; [unrolled: 2-line block ×4, first 2 shown]
	v_add_f64 v[14:15], v[14:15], -v[20:21]
	v_add_f64 v[16:17], v[16:17], -v[182:183]
	v_add_f64 v[10:11], v[10:11], -v[190:191]
	v_add_f64 v[12:13], v[12:13], -v[197:198]
	v_add_f64 v[6:7], v[6:7], -v[199:200]
	v_add_f64 v[8:9], v[8:9], -v[201:202]
	v_add_f64 v[2:3], v[2:3], -v[203:204]
	v_add_f64 v[4:5], v[4:5], -v[205:206]
	v_mov_b32_e32 v20, v184
	v_mov_b32_e32 v21, v185
.LBB88_860:
	s_or_b32 exec_lo, exec_lo, s0
	v_lshl_add_u32 v182, v196, 4, v1
	s_barrier
	buffer_gl0_inv
	v_mov_b32_e32 v190, 41
	ds_write2_b64 v182, v[14:15], v[16:17] offset1:1
	s_waitcnt lgkmcnt(0)
	s_barrier
	buffer_gl0_inv
	ds_read2_b64 v[182:185], v1 offset0:82 offset1:83
	s_cmp_lt_i32 s1, 43
	s_cbranch_scc1 .LBB88_863
; %bb.861:
	v_add3_u32 v191, v192, 0, 0x2a0
	v_mov_b32_e32 v190, 41
	s_mov_b32 s7, 42
	s_inst_prefetch 0x1
	.p2align	6
.LBB88_862:                             ; =>This Inner Loop Header: Depth=1
	s_waitcnt lgkmcnt(0)
	v_cmp_gt_f64_e32 vcc_lo, 0, v[184:185]
	v_cmp_gt_f64_e64 s0, 0, v[182:183]
	ds_read2_b64 v[197:200], v191 offset1:1
	v_xor_b32_e32 v202, 0x80000000, v183
	v_xor_b32_e32 v204, 0x80000000, v185
	v_mov_b32_e32 v201, v182
	v_mov_b32_e32 v203, v184
	v_add_nc_u32_e32 v191, 16, v191
	s_waitcnt lgkmcnt(0)
	v_xor_b32_e32 v206, 0x80000000, v200
	v_cndmask_b32_e64 v202, v183, v202, s0
	v_cndmask_b32_e32 v204, v185, v204, vcc_lo
	v_cmp_gt_f64_e32 vcc_lo, 0, v[199:200]
	v_cmp_gt_f64_e64 s0, 0, v[197:198]
	v_mov_b32_e32 v205, v199
	v_add_f64 v[201:202], v[201:202], v[203:204]
	v_xor_b32_e32 v204, 0x80000000, v198
	v_mov_b32_e32 v203, v197
	v_cndmask_b32_e32 v206, v200, v206, vcc_lo
	v_cndmask_b32_e64 v204, v198, v204, s0
	v_add_f64 v[203:204], v[203:204], v[205:206]
	v_cmp_lt_f64_e32 vcc_lo, v[201:202], v[203:204]
	v_cndmask_b32_e32 v183, v183, v198, vcc_lo
	v_cndmask_b32_e32 v182, v182, v197, vcc_lo
	;; [unrolled: 1-line block ×4, first 2 shown]
	v_cndmask_b32_e64 v190, v190, s7, vcc_lo
	s_add_i32 s7, s7, 1
	s_cmp_lg_u32 s1, s7
	s_cbranch_scc1 .LBB88_862
.LBB88_863:
	s_inst_prefetch 0x2
	s_waitcnt lgkmcnt(0)
	v_cmp_eq_f64_e32 vcc_lo, 0, v[182:183]
	v_cmp_eq_f64_e64 s0, 0, v[184:185]
	s_and_b32 s0, vcc_lo, s0
	s_and_saveexec_b32 s7, s0
	s_xor_b32 s0, exec_lo, s7
; %bb.864:
	v_cmp_ne_u32_e32 vcc_lo, 0, v195
	v_cndmask_b32_e32 v195, 42, v195, vcc_lo
; %bb.865:
	s_andn2_saveexec_b32 s0, s0
	s_cbranch_execz .LBB88_871
; %bb.866:
	v_cmp_ngt_f64_e64 s7, |v[182:183]|, |v[184:185]|
	s_and_saveexec_b32 s8, s7
	s_xor_b32 s7, exec_lo, s8
	s_cbranch_execz .LBB88_868
; %bb.867:
	v_div_scale_f64 v[197:198], null, v[184:185], v[184:185], v[182:183]
	v_div_scale_f64 v[203:204], vcc_lo, v[182:183], v[184:185], v[182:183]
	v_rcp_f64_e32 v[199:200], v[197:198]
	v_fma_f64 v[201:202], -v[197:198], v[199:200], 1.0
	v_fma_f64 v[199:200], v[199:200], v[201:202], v[199:200]
	v_fma_f64 v[201:202], -v[197:198], v[199:200], 1.0
	v_fma_f64 v[199:200], v[199:200], v[201:202], v[199:200]
	v_mul_f64 v[201:202], v[203:204], v[199:200]
	v_fma_f64 v[197:198], -v[197:198], v[201:202], v[203:204]
	v_div_fmas_f64 v[197:198], v[197:198], v[199:200], v[201:202]
	v_div_fixup_f64 v[197:198], v[197:198], v[184:185], v[182:183]
	v_fma_f64 v[182:183], v[182:183], v[197:198], v[184:185]
	v_div_scale_f64 v[184:185], null, v[182:183], v[182:183], 1.0
	v_rcp_f64_e32 v[199:200], v[184:185]
	v_fma_f64 v[201:202], -v[184:185], v[199:200], 1.0
	v_fma_f64 v[199:200], v[199:200], v[201:202], v[199:200]
	v_fma_f64 v[201:202], -v[184:185], v[199:200], 1.0
	v_fma_f64 v[199:200], v[199:200], v[201:202], v[199:200]
	v_div_scale_f64 v[201:202], vcc_lo, 1.0, v[182:183], 1.0
	v_mul_f64 v[203:204], v[201:202], v[199:200]
	v_fma_f64 v[184:185], -v[184:185], v[203:204], v[201:202]
	v_div_fmas_f64 v[184:185], v[184:185], v[199:200], v[203:204]
	v_div_fixup_f64 v[184:185], v[184:185], v[182:183], 1.0
	v_mul_f64 v[182:183], v[197:198], v[184:185]
	v_xor_b32_e32 v185, 0x80000000, v185
.LBB88_868:
	s_andn2_saveexec_b32 s7, s7
	s_cbranch_execz .LBB88_870
; %bb.869:
	v_div_scale_f64 v[197:198], null, v[182:183], v[182:183], v[184:185]
	v_div_scale_f64 v[203:204], vcc_lo, v[184:185], v[182:183], v[184:185]
	v_rcp_f64_e32 v[199:200], v[197:198]
	v_fma_f64 v[201:202], -v[197:198], v[199:200], 1.0
	v_fma_f64 v[199:200], v[199:200], v[201:202], v[199:200]
	v_fma_f64 v[201:202], -v[197:198], v[199:200], 1.0
	v_fma_f64 v[199:200], v[199:200], v[201:202], v[199:200]
	v_mul_f64 v[201:202], v[203:204], v[199:200]
	v_fma_f64 v[197:198], -v[197:198], v[201:202], v[203:204]
	v_div_fmas_f64 v[197:198], v[197:198], v[199:200], v[201:202]
	v_div_fixup_f64 v[197:198], v[197:198], v[182:183], v[184:185]
	v_fma_f64 v[182:183], v[184:185], v[197:198], v[182:183]
	v_div_scale_f64 v[184:185], null, v[182:183], v[182:183], 1.0
	v_rcp_f64_e32 v[199:200], v[184:185]
	v_fma_f64 v[201:202], -v[184:185], v[199:200], 1.0
	v_fma_f64 v[199:200], v[199:200], v[201:202], v[199:200]
	v_fma_f64 v[201:202], -v[184:185], v[199:200], 1.0
	v_fma_f64 v[199:200], v[199:200], v[201:202], v[199:200]
	v_div_scale_f64 v[201:202], vcc_lo, 1.0, v[182:183], 1.0
	v_mul_f64 v[203:204], v[201:202], v[199:200]
	v_fma_f64 v[184:185], -v[184:185], v[203:204], v[201:202]
	v_div_fmas_f64 v[184:185], v[184:185], v[199:200], v[203:204]
	v_div_fixup_f64 v[182:183], v[184:185], v[182:183], 1.0
	v_mul_f64 v[184:185], v[197:198], -v[182:183]
.LBB88_870:
	s_or_b32 exec_lo, exec_lo, s7
.LBB88_871:
	s_or_b32 exec_lo, exec_lo, s0
	s_mov_b32 s0, exec_lo
	v_cmpx_ne_u32_e64 v196, v190
	s_xor_b32 s0, exec_lo, s0
	s_cbranch_execz .LBB88_877
; %bb.872:
	s_mov_b32 s7, exec_lo
	v_cmpx_eq_u32_e32 41, v196
	s_cbranch_execz .LBB88_876
; %bb.873:
	v_cmp_ne_u32_e32 vcc_lo, 41, v190
	s_xor_b32 s8, s16, -1
	s_and_b32 s9, s8, vcc_lo
	s_and_saveexec_b32 s8, s9
	s_cbranch_execz .LBB88_875
; %bb.874:
	v_ashrrev_i32_e32 v191, 31, v190
	v_lshlrev_b64 v[196:197], 2, v[190:191]
	v_add_co_u32 v196, vcc_lo, v188, v196
	v_add_co_ci_u32_e64 v197, null, v189, v197, vcc_lo
	s_clause 0x1
	global_load_dword v0, v[196:197], off
	global_load_dword v191, v[188:189], off offset:164
	s_waitcnt vmcnt(1)
	global_store_dword v[188:189], v0, off offset:164
	s_waitcnt vmcnt(0)
	global_store_dword v[196:197], v191, off
.LBB88_875:
	s_or_b32 exec_lo, exec_lo, s8
	v_mov_b32_e32 v196, v190
	v_mov_b32_e32 v0, v190
.LBB88_876:
	s_or_b32 exec_lo, exec_lo, s7
.LBB88_877:
	s_andn2_saveexec_b32 s0, s0
	s_cbranch_execz .LBB88_879
; %bb.878:
	v_mov_b32_e32 v196, 41
	ds_write2_b64 v1, v[10:11], v[12:13] offset0:84 offset1:85
	ds_write2_b64 v1, v[6:7], v[8:9] offset0:86 offset1:87
	;; [unrolled: 1-line block ×3, first 2 shown]
.LBB88_879:
	s_or_b32 exec_lo, exec_lo, s0
	s_mov_b32 s0, exec_lo
	s_waitcnt lgkmcnt(0)
	s_waitcnt_vscnt null, 0x0
	s_barrier
	buffer_gl0_inv
	v_cmpx_lt_i32_e32 41, v196
	s_cbranch_execz .LBB88_881
; %bb.880:
	v_mul_f64 v[190:191], v[182:183], v[16:17]
	v_mul_f64 v[16:17], v[184:185], v[16:17]
	ds_read2_b64 v[197:200], v1 offset0:84 offset1:85
	ds_read2_b64 v[201:204], v1 offset0:86 offset1:87
	;; [unrolled: 1-line block ×3, first 2 shown]
	v_fma_f64 v[184:185], v[184:185], v[14:15], v[190:191]
	v_fma_f64 v[14:15], v[182:183], v[14:15], -v[16:17]
	s_waitcnt lgkmcnt(2)
	v_mul_f64 v[16:17], v[199:200], v[184:185]
	v_mul_f64 v[182:183], v[197:198], v[184:185]
	s_waitcnt lgkmcnt(1)
	v_mul_f64 v[190:191], v[203:204], v[184:185]
	v_mul_f64 v[209:210], v[201:202], v[184:185]
	s_waitcnt lgkmcnt(0)
	v_mul_f64 v[211:212], v[207:208], v[184:185]
	v_mul_f64 v[213:214], v[205:206], v[184:185]
	v_fma_f64 v[16:17], v[197:198], v[14:15], -v[16:17]
	v_fma_f64 v[182:183], v[199:200], v[14:15], v[182:183]
	v_fma_f64 v[190:191], v[201:202], v[14:15], -v[190:191]
	v_fma_f64 v[197:198], v[203:204], v[14:15], v[209:210]
	;; [unrolled: 2-line block ×3, first 2 shown]
	v_add_f64 v[10:11], v[10:11], -v[16:17]
	v_add_f64 v[12:13], v[12:13], -v[182:183]
	;; [unrolled: 1-line block ×6, first 2 shown]
	v_mov_b32_e32 v16, v184
	v_mov_b32_e32 v17, v185
.LBB88_881:
	s_or_b32 exec_lo, exec_lo, s0
	v_lshl_add_u32 v182, v196, 4, v1
	s_barrier
	buffer_gl0_inv
	v_mov_b32_e32 v190, 42
	ds_write2_b64 v182, v[10:11], v[12:13] offset1:1
	s_waitcnt lgkmcnt(0)
	s_barrier
	buffer_gl0_inv
	ds_read2_b64 v[182:185], v1 offset0:84 offset1:85
	s_cmp_lt_i32 s1, 44
	s_cbranch_scc1 .LBB88_884
; %bb.882:
	v_add3_u32 v191, v192, 0, 0x2b0
	v_mov_b32_e32 v190, 42
	s_mov_b32 s7, 43
	s_inst_prefetch 0x1
	.p2align	6
.LBB88_883:                             ; =>This Inner Loop Header: Depth=1
	s_waitcnt lgkmcnt(0)
	v_cmp_gt_f64_e32 vcc_lo, 0, v[184:185]
	v_cmp_gt_f64_e64 s0, 0, v[182:183]
	ds_read2_b64 v[197:200], v191 offset1:1
	v_xor_b32_e32 v202, 0x80000000, v183
	v_xor_b32_e32 v204, 0x80000000, v185
	v_mov_b32_e32 v201, v182
	v_mov_b32_e32 v203, v184
	v_add_nc_u32_e32 v191, 16, v191
	s_waitcnt lgkmcnt(0)
	v_xor_b32_e32 v206, 0x80000000, v200
	v_cndmask_b32_e64 v202, v183, v202, s0
	v_cndmask_b32_e32 v204, v185, v204, vcc_lo
	v_cmp_gt_f64_e32 vcc_lo, 0, v[199:200]
	v_cmp_gt_f64_e64 s0, 0, v[197:198]
	v_mov_b32_e32 v205, v199
	v_add_f64 v[201:202], v[201:202], v[203:204]
	v_xor_b32_e32 v204, 0x80000000, v198
	v_mov_b32_e32 v203, v197
	v_cndmask_b32_e32 v206, v200, v206, vcc_lo
	v_cndmask_b32_e64 v204, v198, v204, s0
	v_add_f64 v[203:204], v[203:204], v[205:206]
	v_cmp_lt_f64_e32 vcc_lo, v[201:202], v[203:204]
	v_cndmask_b32_e32 v183, v183, v198, vcc_lo
	v_cndmask_b32_e32 v182, v182, v197, vcc_lo
	v_cndmask_b32_e32 v185, v185, v200, vcc_lo
	v_cndmask_b32_e32 v184, v184, v199, vcc_lo
	v_cndmask_b32_e64 v190, v190, s7, vcc_lo
	s_add_i32 s7, s7, 1
	s_cmp_lg_u32 s1, s7
	s_cbranch_scc1 .LBB88_883
.LBB88_884:
	s_inst_prefetch 0x2
	s_waitcnt lgkmcnt(0)
	v_cmp_eq_f64_e32 vcc_lo, 0, v[182:183]
	v_cmp_eq_f64_e64 s0, 0, v[184:185]
	s_and_b32 s0, vcc_lo, s0
	s_and_saveexec_b32 s7, s0
	s_xor_b32 s0, exec_lo, s7
; %bb.885:
	v_cmp_ne_u32_e32 vcc_lo, 0, v195
	v_cndmask_b32_e32 v195, 43, v195, vcc_lo
; %bb.886:
	s_andn2_saveexec_b32 s0, s0
	s_cbranch_execz .LBB88_892
; %bb.887:
	v_cmp_ngt_f64_e64 s7, |v[182:183]|, |v[184:185]|
	s_and_saveexec_b32 s8, s7
	s_xor_b32 s7, exec_lo, s8
	s_cbranch_execz .LBB88_889
; %bb.888:
	v_div_scale_f64 v[197:198], null, v[184:185], v[184:185], v[182:183]
	v_div_scale_f64 v[203:204], vcc_lo, v[182:183], v[184:185], v[182:183]
	v_rcp_f64_e32 v[199:200], v[197:198]
	v_fma_f64 v[201:202], -v[197:198], v[199:200], 1.0
	v_fma_f64 v[199:200], v[199:200], v[201:202], v[199:200]
	v_fma_f64 v[201:202], -v[197:198], v[199:200], 1.0
	v_fma_f64 v[199:200], v[199:200], v[201:202], v[199:200]
	v_mul_f64 v[201:202], v[203:204], v[199:200]
	v_fma_f64 v[197:198], -v[197:198], v[201:202], v[203:204]
	v_div_fmas_f64 v[197:198], v[197:198], v[199:200], v[201:202]
	v_div_fixup_f64 v[197:198], v[197:198], v[184:185], v[182:183]
	v_fma_f64 v[182:183], v[182:183], v[197:198], v[184:185]
	v_div_scale_f64 v[184:185], null, v[182:183], v[182:183], 1.0
	v_rcp_f64_e32 v[199:200], v[184:185]
	v_fma_f64 v[201:202], -v[184:185], v[199:200], 1.0
	v_fma_f64 v[199:200], v[199:200], v[201:202], v[199:200]
	v_fma_f64 v[201:202], -v[184:185], v[199:200], 1.0
	v_fma_f64 v[199:200], v[199:200], v[201:202], v[199:200]
	v_div_scale_f64 v[201:202], vcc_lo, 1.0, v[182:183], 1.0
	v_mul_f64 v[203:204], v[201:202], v[199:200]
	v_fma_f64 v[184:185], -v[184:185], v[203:204], v[201:202]
	v_div_fmas_f64 v[184:185], v[184:185], v[199:200], v[203:204]
	v_div_fixup_f64 v[184:185], v[184:185], v[182:183], 1.0
	v_mul_f64 v[182:183], v[197:198], v[184:185]
	v_xor_b32_e32 v185, 0x80000000, v185
.LBB88_889:
	s_andn2_saveexec_b32 s7, s7
	s_cbranch_execz .LBB88_891
; %bb.890:
	v_div_scale_f64 v[197:198], null, v[182:183], v[182:183], v[184:185]
	v_div_scale_f64 v[203:204], vcc_lo, v[184:185], v[182:183], v[184:185]
	v_rcp_f64_e32 v[199:200], v[197:198]
	v_fma_f64 v[201:202], -v[197:198], v[199:200], 1.0
	v_fma_f64 v[199:200], v[199:200], v[201:202], v[199:200]
	v_fma_f64 v[201:202], -v[197:198], v[199:200], 1.0
	v_fma_f64 v[199:200], v[199:200], v[201:202], v[199:200]
	v_mul_f64 v[201:202], v[203:204], v[199:200]
	v_fma_f64 v[197:198], -v[197:198], v[201:202], v[203:204]
	v_div_fmas_f64 v[197:198], v[197:198], v[199:200], v[201:202]
	v_div_fixup_f64 v[197:198], v[197:198], v[182:183], v[184:185]
	v_fma_f64 v[182:183], v[184:185], v[197:198], v[182:183]
	v_div_scale_f64 v[184:185], null, v[182:183], v[182:183], 1.0
	v_rcp_f64_e32 v[199:200], v[184:185]
	v_fma_f64 v[201:202], -v[184:185], v[199:200], 1.0
	v_fma_f64 v[199:200], v[199:200], v[201:202], v[199:200]
	v_fma_f64 v[201:202], -v[184:185], v[199:200], 1.0
	v_fma_f64 v[199:200], v[199:200], v[201:202], v[199:200]
	v_div_scale_f64 v[201:202], vcc_lo, 1.0, v[182:183], 1.0
	v_mul_f64 v[203:204], v[201:202], v[199:200]
	v_fma_f64 v[184:185], -v[184:185], v[203:204], v[201:202]
	v_div_fmas_f64 v[184:185], v[184:185], v[199:200], v[203:204]
	v_div_fixup_f64 v[182:183], v[184:185], v[182:183], 1.0
	v_mul_f64 v[184:185], v[197:198], -v[182:183]
.LBB88_891:
	s_or_b32 exec_lo, exec_lo, s7
.LBB88_892:
	s_or_b32 exec_lo, exec_lo, s0
	s_mov_b32 s0, exec_lo
	v_cmpx_ne_u32_e64 v196, v190
	s_xor_b32 s0, exec_lo, s0
	s_cbranch_execz .LBB88_898
; %bb.893:
	s_mov_b32 s7, exec_lo
	v_cmpx_eq_u32_e32 42, v196
	s_cbranch_execz .LBB88_897
; %bb.894:
	v_cmp_ne_u32_e32 vcc_lo, 42, v190
	s_xor_b32 s8, s16, -1
	s_and_b32 s9, s8, vcc_lo
	s_and_saveexec_b32 s8, s9
	s_cbranch_execz .LBB88_896
; %bb.895:
	v_ashrrev_i32_e32 v191, 31, v190
	v_lshlrev_b64 v[196:197], 2, v[190:191]
	v_add_co_u32 v196, vcc_lo, v188, v196
	v_add_co_ci_u32_e64 v197, null, v189, v197, vcc_lo
	s_clause 0x1
	global_load_dword v0, v[196:197], off
	global_load_dword v191, v[188:189], off offset:168
	s_waitcnt vmcnt(1)
	global_store_dword v[188:189], v0, off offset:168
	s_waitcnt vmcnt(0)
	global_store_dword v[196:197], v191, off
.LBB88_896:
	s_or_b32 exec_lo, exec_lo, s8
	v_mov_b32_e32 v196, v190
	v_mov_b32_e32 v0, v190
.LBB88_897:
	s_or_b32 exec_lo, exec_lo, s7
.LBB88_898:
	s_andn2_saveexec_b32 s0, s0
	s_cbranch_execz .LBB88_900
; %bb.899:
	v_mov_b32_e32 v196, 42
	ds_write2_b64 v1, v[6:7], v[8:9] offset0:86 offset1:87
	ds_write2_b64 v1, v[2:3], v[4:5] offset0:88 offset1:89
.LBB88_900:
	s_or_b32 exec_lo, exec_lo, s0
	s_mov_b32 s0, exec_lo
	s_waitcnt lgkmcnt(0)
	s_waitcnt_vscnt null, 0x0
	s_barrier
	buffer_gl0_inv
	v_cmpx_lt_i32_e32 42, v196
	s_cbranch_execz .LBB88_902
; %bb.901:
	v_mul_f64 v[190:191], v[182:183], v[12:13]
	v_mul_f64 v[12:13], v[184:185], v[12:13]
	ds_read2_b64 v[197:200], v1 offset0:86 offset1:87
	ds_read2_b64 v[201:204], v1 offset0:88 offset1:89
	v_fma_f64 v[184:185], v[184:185], v[10:11], v[190:191]
	v_fma_f64 v[10:11], v[182:183], v[10:11], -v[12:13]
	s_waitcnt lgkmcnt(1)
	v_mul_f64 v[12:13], v[199:200], v[184:185]
	v_mul_f64 v[182:183], v[197:198], v[184:185]
	s_waitcnt lgkmcnt(0)
	v_mul_f64 v[190:191], v[203:204], v[184:185]
	v_mul_f64 v[205:206], v[201:202], v[184:185]
	v_fma_f64 v[12:13], v[197:198], v[10:11], -v[12:13]
	v_fma_f64 v[182:183], v[199:200], v[10:11], v[182:183]
	v_fma_f64 v[190:191], v[201:202], v[10:11], -v[190:191]
	v_fma_f64 v[197:198], v[203:204], v[10:11], v[205:206]
	v_add_f64 v[6:7], v[6:7], -v[12:13]
	v_add_f64 v[8:9], v[8:9], -v[182:183]
	;; [unrolled: 1-line block ×4, first 2 shown]
	v_mov_b32_e32 v12, v184
	v_mov_b32_e32 v13, v185
.LBB88_902:
	s_or_b32 exec_lo, exec_lo, s0
	v_lshl_add_u32 v182, v196, 4, v1
	s_barrier
	buffer_gl0_inv
	v_mov_b32_e32 v190, 43
	ds_write2_b64 v182, v[6:7], v[8:9] offset1:1
	s_waitcnt lgkmcnt(0)
	s_barrier
	buffer_gl0_inv
	ds_read2_b64 v[182:185], v1 offset0:86 offset1:87
	s_cmp_lt_i32 s1, 45
	s_cbranch_scc1 .LBB88_905
; %bb.903:
	v_add3_u32 v191, v192, 0, 0x2c0
	v_mov_b32_e32 v190, 43
	s_mov_b32 s7, 44
	s_inst_prefetch 0x1
	.p2align	6
.LBB88_904:                             ; =>This Inner Loop Header: Depth=1
	s_waitcnt lgkmcnt(0)
	v_cmp_gt_f64_e32 vcc_lo, 0, v[184:185]
	v_cmp_gt_f64_e64 s0, 0, v[182:183]
	ds_read2_b64 v[197:200], v191 offset1:1
	v_xor_b32_e32 v202, 0x80000000, v183
	v_xor_b32_e32 v204, 0x80000000, v185
	v_mov_b32_e32 v201, v182
	v_mov_b32_e32 v203, v184
	v_add_nc_u32_e32 v191, 16, v191
	s_waitcnt lgkmcnt(0)
	v_xor_b32_e32 v206, 0x80000000, v200
	v_cndmask_b32_e64 v202, v183, v202, s0
	v_cndmask_b32_e32 v204, v185, v204, vcc_lo
	v_cmp_gt_f64_e32 vcc_lo, 0, v[199:200]
	v_cmp_gt_f64_e64 s0, 0, v[197:198]
	v_mov_b32_e32 v205, v199
	v_add_f64 v[201:202], v[201:202], v[203:204]
	v_xor_b32_e32 v204, 0x80000000, v198
	v_mov_b32_e32 v203, v197
	v_cndmask_b32_e32 v206, v200, v206, vcc_lo
	v_cndmask_b32_e64 v204, v198, v204, s0
	v_add_f64 v[203:204], v[203:204], v[205:206]
	v_cmp_lt_f64_e32 vcc_lo, v[201:202], v[203:204]
	v_cndmask_b32_e32 v183, v183, v198, vcc_lo
	v_cndmask_b32_e32 v182, v182, v197, vcc_lo
	;; [unrolled: 1-line block ×4, first 2 shown]
	v_cndmask_b32_e64 v190, v190, s7, vcc_lo
	s_add_i32 s7, s7, 1
	s_cmp_lg_u32 s1, s7
	s_cbranch_scc1 .LBB88_904
.LBB88_905:
	s_inst_prefetch 0x2
	s_waitcnt lgkmcnt(0)
	v_cmp_eq_f64_e32 vcc_lo, 0, v[182:183]
	v_cmp_eq_f64_e64 s0, 0, v[184:185]
	s_and_b32 s0, vcc_lo, s0
	s_and_saveexec_b32 s7, s0
	s_xor_b32 s0, exec_lo, s7
; %bb.906:
	v_cmp_ne_u32_e32 vcc_lo, 0, v195
	v_cndmask_b32_e32 v195, 44, v195, vcc_lo
; %bb.907:
	s_andn2_saveexec_b32 s0, s0
	s_cbranch_execz .LBB88_913
; %bb.908:
	v_cmp_ngt_f64_e64 s7, |v[182:183]|, |v[184:185]|
	s_and_saveexec_b32 s8, s7
	s_xor_b32 s7, exec_lo, s8
	s_cbranch_execz .LBB88_910
; %bb.909:
	v_div_scale_f64 v[197:198], null, v[184:185], v[184:185], v[182:183]
	v_div_scale_f64 v[203:204], vcc_lo, v[182:183], v[184:185], v[182:183]
	v_rcp_f64_e32 v[199:200], v[197:198]
	v_fma_f64 v[201:202], -v[197:198], v[199:200], 1.0
	v_fma_f64 v[199:200], v[199:200], v[201:202], v[199:200]
	v_fma_f64 v[201:202], -v[197:198], v[199:200], 1.0
	v_fma_f64 v[199:200], v[199:200], v[201:202], v[199:200]
	v_mul_f64 v[201:202], v[203:204], v[199:200]
	v_fma_f64 v[197:198], -v[197:198], v[201:202], v[203:204]
	v_div_fmas_f64 v[197:198], v[197:198], v[199:200], v[201:202]
	v_div_fixup_f64 v[197:198], v[197:198], v[184:185], v[182:183]
	v_fma_f64 v[182:183], v[182:183], v[197:198], v[184:185]
	v_div_scale_f64 v[184:185], null, v[182:183], v[182:183], 1.0
	v_rcp_f64_e32 v[199:200], v[184:185]
	v_fma_f64 v[201:202], -v[184:185], v[199:200], 1.0
	v_fma_f64 v[199:200], v[199:200], v[201:202], v[199:200]
	v_fma_f64 v[201:202], -v[184:185], v[199:200], 1.0
	v_fma_f64 v[199:200], v[199:200], v[201:202], v[199:200]
	v_div_scale_f64 v[201:202], vcc_lo, 1.0, v[182:183], 1.0
	v_mul_f64 v[203:204], v[201:202], v[199:200]
	v_fma_f64 v[184:185], -v[184:185], v[203:204], v[201:202]
	v_div_fmas_f64 v[184:185], v[184:185], v[199:200], v[203:204]
	v_div_fixup_f64 v[184:185], v[184:185], v[182:183], 1.0
	v_mul_f64 v[182:183], v[197:198], v[184:185]
	v_xor_b32_e32 v185, 0x80000000, v185
.LBB88_910:
	s_andn2_saveexec_b32 s7, s7
	s_cbranch_execz .LBB88_912
; %bb.911:
	v_div_scale_f64 v[197:198], null, v[182:183], v[182:183], v[184:185]
	v_div_scale_f64 v[203:204], vcc_lo, v[184:185], v[182:183], v[184:185]
	v_rcp_f64_e32 v[199:200], v[197:198]
	v_fma_f64 v[201:202], -v[197:198], v[199:200], 1.0
	v_fma_f64 v[199:200], v[199:200], v[201:202], v[199:200]
	v_fma_f64 v[201:202], -v[197:198], v[199:200], 1.0
	v_fma_f64 v[199:200], v[199:200], v[201:202], v[199:200]
	v_mul_f64 v[201:202], v[203:204], v[199:200]
	v_fma_f64 v[197:198], -v[197:198], v[201:202], v[203:204]
	v_div_fmas_f64 v[197:198], v[197:198], v[199:200], v[201:202]
	v_div_fixup_f64 v[197:198], v[197:198], v[182:183], v[184:185]
	v_fma_f64 v[182:183], v[184:185], v[197:198], v[182:183]
	v_div_scale_f64 v[184:185], null, v[182:183], v[182:183], 1.0
	v_rcp_f64_e32 v[199:200], v[184:185]
	v_fma_f64 v[201:202], -v[184:185], v[199:200], 1.0
	v_fma_f64 v[199:200], v[199:200], v[201:202], v[199:200]
	v_fma_f64 v[201:202], -v[184:185], v[199:200], 1.0
	v_fma_f64 v[199:200], v[199:200], v[201:202], v[199:200]
	v_div_scale_f64 v[201:202], vcc_lo, 1.0, v[182:183], 1.0
	v_mul_f64 v[203:204], v[201:202], v[199:200]
	v_fma_f64 v[184:185], -v[184:185], v[203:204], v[201:202]
	v_div_fmas_f64 v[184:185], v[184:185], v[199:200], v[203:204]
	v_div_fixup_f64 v[182:183], v[184:185], v[182:183], 1.0
	v_mul_f64 v[184:185], v[197:198], -v[182:183]
.LBB88_912:
	s_or_b32 exec_lo, exec_lo, s7
.LBB88_913:
	s_or_b32 exec_lo, exec_lo, s0
	s_mov_b32 s0, exec_lo
	v_cmpx_ne_u32_e64 v196, v190
	s_xor_b32 s0, exec_lo, s0
	s_cbranch_execz .LBB88_919
; %bb.914:
	s_mov_b32 s7, exec_lo
	v_cmpx_eq_u32_e32 43, v196
	s_cbranch_execz .LBB88_918
; %bb.915:
	v_cmp_ne_u32_e32 vcc_lo, 43, v190
	s_xor_b32 s8, s16, -1
	s_and_b32 s9, s8, vcc_lo
	s_and_saveexec_b32 s8, s9
	s_cbranch_execz .LBB88_917
; %bb.916:
	v_ashrrev_i32_e32 v191, 31, v190
	v_lshlrev_b64 v[196:197], 2, v[190:191]
	v_add_co_u32 v196, vcc_lo, v188, v196
	v_add_co_ci_u32_e64 v197, null, v189, v197, vcc_lo
	s_clause 0x1
	global_load_dword v0, v[196:197], off
	global_load_dword v191, v[188:189], off offset:172
	s_waitcnt vmcnt(1)
	global_store_dword v[188:189], v0, off offset:172
	s_waitcnt vmcnt(0)
	global_store_dword v[196:197], v191, off
.LBB88_917:
	s_or_b32 exec_lo, exec_lo, s8
	v_mov_b32_e32 v196, v190
	v_mov_b32_e32 v0, v190
.LBB88_918:
	s_or_b32 exec_lo, exec_lo, s7
.LBB88_919:
	s_andn2_saveexec_b32 s0, s0
; %bb.920:
	v_mov_b32_e32 v196, 43
	ds_write2_b64 v1, v[2:3], v[4:5] offset0:88 offset1:89
; %bb.921:
	s_or_b32 exec_lo, exec_lo, s0
	s_mov_b32 s0, exec_lo
	s_waitcnt lgkmcnt(0)
	s_waitcnt_vscnt null, 0x0
	s_barrier
	buffer_gl0_inv
	v_cmpx_lt_i32_e32 43, v196
	s_cbranch_execz .LBB88_923
; %bb.922:
	v_mul_f64 v[190:191], v[182:183], v[8:9]
	v_mul_f64 v[8:9], v[184:185], v[8:9]
	ds_read2_b64 v[197:200], v1 offset0:88 offset1:89
	v_fma_f64 v[184:185], v[184:185], v[6:7], v[190:191]
	v_fma_f64 v[6:7], v[182:183], v[6:7], -v[8:9]
	s_waitcnt lgkmcnt(0)
	v_mul_f64 v[8:9], v[199:200], v[184:185]
	v_mul_f64 v[182:183], v[197:198], v[184:185]
	v_fma_f64 v[8:9], v[197:198], v[6:7], -v[8:9]
	v_fma_f64 v[182:183], v[199:200], v[6:7], v[182:183]
	v_add_f64 v[2:3], v[2:3], -v[8:9]
	v_add_f64 v[4:5], v[4:5], -v[182:183]
	v_mov_b32_e32 v8, v184
	v_mov_b32_e32 v9, v185
.LBB88_923:
	s_or_b32 exec_lo, exec_lo, s0
	v_lshl_add_u32 v182, v196, 4, v1
	s_barrier
	buffer_gl0_inv
	v_mov_b32_e32 v190, 44
	ds_write2_b64 v182, v[2:3], v[4:5] offset1:1
	s_waitcnt lgkmcnt(0)
	s_barrier
	buffer_gl0_inv
	ds_read2_b64 v[182:185], v1 offset0:88 offset1:89
	s_cmp_lt_i32 s1, 46
	s_cbranch_scc1 .LBB88_926
; %bb.924:
	v_add3_u32 v1, v192, 0, 0x2d0
	v_mov_b32_e32 v190, 44
	s_mov_b32 s7, 45
	s_inst_prefetch 0x1
	.p2align	6
.LBB88_925:                             ; =>This Inner Loop Header: Depth=1
	s_waitcnt lgkmcnt(0)
	v_cmp_gt_f64_e32 vcc_lo, 0, v[184:185]
	v_cmp_gt_f64_e64 s0, 0, v[182:183]
	ds_read2_b64 v[197:200], v1 offset1:1
	v_xor_b32_e32 v192, 0x80000000, v183
	v_xor_b32_e32 v202, 0x80000000, v185
	v_mov_b32_e32 v191, v182
	v_mov_b32_e32 v201, v184
	v_add_nc_u32_e32 v1, 16, v1
	s_waitcnt lgkmcnt(0)
	v_xor_b32_e32 v204, 0x80000000, v200
	v_cndmask_b32_e64 v192, v183, v192, s0
	v_cndmask_b32_e32 v202, v185, v202, vcc_lo
	v_cmp_gt_f64_e32 vcc_lo, 0, v[199:200]
	v_cmp_gt_f64_e64 s0, 0, v[197:198]
	v_mov_b32_e32 v203, v199
	v_add_f64 v[191:192], v[191:192], v[201:202]
	v_xor_b32_e32 v202, 0x80000000, v198
	v_mov_b32_e32 v201, v197
	v_cndmask_b32_e32 v204, v200, v204, vcc_lo
	v_cndmask_b32_e64 v202, v198, v202, s0
	v_add_f64 v[201:202], v[201:202], v[203:204]
	v_cmp_lt_f64_e32 vcc_lo, v[191:192], v[201:202]
	v_cndmask_b32_e32 v183, v183, v198, vcc_lo
	v_cndmask_b32_e32 v182, v182, v197, vcc_lo
	v_cndmask_b32_e32 v185, v185, v200, vcc_lo
	v_cndmask_b32_e32 v184, v184, v199, vcc_lo
	v_cndmask_b32_e64 v190, v190, s7, vcc_lo
	s_add_i32 s7, s7, 1
	s_cmp_lg_u32 s1, s7
	s_cbranch_scc1 .LBB88_925
.LBB88_926:
	s_inst_prefetch 0x2
	s_waitcnt lgkmcnt(0)
	v_cmp_eq_f64_e32 vcc_lo, 0, v[182:183]
	v_cmp_eq_f64_e64 s0, 0, v[184:185]
	s_and_b32 s0, vcc_lo, s0
	s_and_saveexec_b32 s1, s0
	s_xor_b32 s0, exec_lo, s1
; %bb.927:
	v_cmp_ne_u32_e32 vcc_lo, 0, v195
	v_cndmask_b32_e32 v195, 45, v195, vcc_lo
; %bb.928:
	s_andn2_saveexec_b32 s0, s0
	s_cbranch_execz .LBB88_934
; %bb.929:
	v_cmp_ngt_f64_e64 s1, |v[182:183]|, |v[184:185]|
	s_and_saveexec_b32 s7, s1
	s_xor_b32 s1, exec_lo, s7
	s_cbranch_execz .LBB88_931
; %bb.930:
	v_div_scale_f64 v[191:192], null, v[184:185], v[184:185], v[182:183]
	v_div_scale_f64 v[201:202], vcc_lo, v[182:183], v[184:185], v[182:183]
	v_rcp_f64_e32 v[197:198], v[191:192]
	v_fma_f64 v[199:200], -v[191:192], v[197:198], 1.0
	v_fma_f64 v[197:198], v[197:198], v[199:200], v[197:198]
	v_fma_f64 v[199:200], -v[191:192], v[197:198], 1.0
	v_fma_f64 v[197:198], v[197:198], v[199:200], v[197:198]
	v_mul_f64 v[199:200], v[201:202], v[197:198]
	v_fma_f64 v[191:192], -v[191:192], v[199:200], v[201:202]
	v_div_fmas_f64 v[191:192], v[191:192], v[197:198], v[199:200]
	v_div_fixup_f64 v[191:192], v[191:192], v[184:185], v[182:183]
	v_fma_f64 v[182:183], v[182:183], v[191:192], v[184:185]
	v_div_scale_f64 v[184:185], null, v[182:183], v[182:183], 1.0
	v_rcp_f64_e32 v[197:198], v[184:185]
	v_fma_f64 v[199:200], -v[184:185], v[197:198], 1.0
	v_fma_f64 v[197:198], v[197:198], v[199:200], v[197:198]
	v_fma_f64 v[199:200], -v[184:185], v[197:198], 1.0
	v_fma_f64 v[197:198], v[197:198], v[199:200], v[197:198]
	v_div_scale_f64 v[199:200], vcc_lo, 1.0, v[182:183], 1.0
	v_mul_f64 v[201:202], v[199:200], v[197:198]
	v_fma_f64 v[184:185], -v[184:185], v[201:202], v[199:200]
	v_div_fmas_f64 v[184:185], v[184:185], v[197:198], v[201:202]
	v_div_fixup_f64 v[184:185], v[184:185], v[182:183], 1.0
	v_mul_f64 v[182:183], v[191:192], v[184:185]
	v_xor_b32_e32 v185, 0x80000000, v185
.LBB88_931:
	s_andn2_saveexec_b32 s1, s1
	s_cbranch_execz .LBB88_933
; %bb.932:
	v_div_scale_f64 v[191:192], null, v[182:183], v[182:183], v[184:185]
	v_div_scale_f64 v[201:202], vcc_lo, v[184:185], v[182:183], v[184:185]
	v_rcp_f64_e32 v[197:198], v[191:192]
	v_fma_f64 v[199:200], -v[191:192], v[197:198], 1.0
	v_fma_f64 v[197:198], v[197:198], v[199:200], v[197:198]
	v_fma_f64 v[199:200], -v[191:192], v[197:198], 1.0
	v_fma_f64 v[197:198], v[197:198], v[199:200], v[197:198]
	v_mul_f64 v[199:200], v[201:202], v[197:198]
	v_fma_f64 v[191:192], -v[191:192], v[199:200], v[201:202]
	v_div_fmas_f64 v[191:192], v[191:192], v[197:198], v[199:200]
	v_div_fixup_f64 v[191:192], v[191:192], v[182:183], v[184:185]
	v_fma_f64 v[182:183], v[184:185], v[191:192], v[182:183]
	v_div_scale_f64 v[184:185], null, v[182:183], v[182:183], 1.0
	v_rcp_f64_e32 v[197:198], v[184:185]
	v_fma_f64 v[199:200], -v[184:185], v[197:198], 1.0
	v_fma_f64 v[197:198], v[197:198], v[199:200], v[197:198]
	v_fma_f64 v[199:200], -v[184:185], v[197:198], 1.0
	v_fma_f64 v[197:198], v[197:198], v[199:200], v[197:198]
	v_div_scale_f64 v[199:200], vcc_lo, 1.0, v[182:183], 1.0
	v_mul_f64 v[201:202], v[199:200], v[197:198]
	v_fma_f64 v[184:185], -v[184:185], v[201:202], v[199:200]
	v_div_fmas_f64 v[184:185], v[184:185], v[197:198], v[201:202]
	v_div_fixup_f64 v[182:183], v[184:185], v[182:183], 1.0
	v_mul_f64 v[184:185], v[191:192], -v[182:183]
.LBB88_933:
	s_or_b32 exec_lo, exec_lo, s1
.LBB88_934:
	s_or_b32 exec_lo, exec_lo, s0
	v_mov_b32_e32 v191, 44
	s_mov_b32 s0, exec_lo
	v_cmpx_ne_u32_e64 v196, v190
	s_cbranch_execz .LBB88_940
; %bb.935:
	s_mov_b32 s1, exec_lo
	v_cmpx_eq_u32_e32 44, v196
	s_cbranch_execz .LBB88_939
; %bb.936:
	v_cmp_ne_u32_e32 vcc_lo, 44, v190
	s_xor_b32 s7, s16, -1
	s_and_b32 s8, s7, vcc_lo
	s_and_saveexec_b32 s7, s8
	s_cbranch_execz .LBB88_938
; %bb.937:
	v_ashrrev_i32_e32 v191, 31, v190
	v_lshlrev_b64 v[0:1], 2, v[190:191]
	v_add_co_u32 v0, vcc_lo, v188, v0
	v_add_co_ci_u32_e64 v1, null, v189, v1, vcc_lo
	s_clause 0x1
	global_load_dword v191, v[0:1], off
	global_load_dword v192, v[188:189], off offset:176
	s_waitcnt vmcnt(1)
	global_store_dword v[188:189], v191, off offset:176
	s_waitcnt vmcnt(0)
	global_store_dword v[0:1], v192, off
.LBB88_938:
	s_or_b32 exec_lo, exec_lo, s7
	v_mov_b32_e32 v196, v190
	v_mov_b32_e32 v0, v190
.LBB88_939:
	s_or_b32 exec_lo, exec_lo, s1
	v_mov_b32_e32 v191, v196
.LBB88_940:
	s_or_b32 exec_lo, exec_lo, s0
	s_mov_b32 s0, exec_lo
	s_waitcnt_vscnt null, 0x0
	s_barrier
	buffer_gl0_inv
	v_cmpx_lt_i32_e32 44, v191
	s_cbranch_execz .LBB88_942
; %bb.941:
	v_mul_f64 v[188:189], v[184:185], v[4:5]
	v_mul_f64 v[4:5], v[182:183], v[4:5]
	v_fma_f64 v[182:183], v[182:183], v[2:3], -v[188:189]
	v_fma_f64 v[4:5], v[184:185], v[2:3], v[4:5]
	v_mov_b32_e32 v2, v182
	v_mov_b32_e32 v3, v183
.LBB88_942:
	s_or_b32 exec_lo, exec_lo, s0
	v_ashrrev_i32_e32 v192, 31, v191
	s_mov_b32 s0, exec_lo
	s_barrier
	buffer_gl0_inv
	v_cmpx_gt_i32_e32 45, v191
	s_cbranch_execz .LBB88_944
; %bb.943:
	v_mul_lo_u32 v1, s15, v186
	v_mul_lo_u32 v184, s14, v187
	v_mad_u64_u32 v[182:183], null, s14, v186, 0
	s_lshl_b64 s[8:9], s[12:13], 2
	v_add3_u32 v0, v0, s17, 1
	v_add3_u32 v183, v183, v184, v1
	v_lshlrev_b64 v[182:183], 2, v[182:183]
	v_add_co_u32 v1, vcc_lo, s10, v182
	v_add_co_ci_u32_e64 v184, null, s11, v183, vcc_lo
	v_lshlrev_b64 v[182:183], 2, v[191:192]
	v_add_co_u32 v1, vcc_lo, v1, s8
	v_add_co_ci_u32_e64 v184, null, s9, v184, vcc_lo
	v_add_co_u32 v182, vcc_lo, v1, v182
	v_add_co_ci_u32_e64 v183, null, v184, v183, vcc_lo
	global_store_dword v[182:183], v0, off
.LBB88_944:
	s_or_b32 exec_lo, exec_lo, s0
	s_mov_b32 s1, exec_lo
	v_cmpx_eq_u32_e32 0, v191
	s_cbranch_execz .LBB88_947
; %bb.945:
	v_lshlrev_b64 v[0:1], 2, v[186:187]
	v_cmp_ne_u32_e64 s0, 0, v195
	v_add_co_u32 v0, vcc_lo, s4, v0
	v_add_co_ci_u32_e64 v1, null, s5, v1, vcc_lo
	global_load_dword v182, v[0:1], off
	s_waitcnt vmcnt(0)
	v_cmp_eq_u32_e32 vcc_lo, 0, v182
	s_and_b32 s0, vcc_lo, s0
	s_and_b32 exec_lo, exec_lo, s0
	s_cbranch_execz .LBB88_947
; %bb.946:
	v_add_nc_u32_e32 v182, s17, v195
	global_store_dword v[0:1], v182, off
.LBB88_947:
	s_or_b32 exec_lo, exec_lo, s1
	v_add3_u32 v0, s6, s6, v191
	v_lshlrev_b64 v[182:183], 4, v[191:192]
	v_ashrrev_i32_e32 v1, 31, v0
	v_add_nc_u32_e32 v184, s6, v0
	v_add_co_u32 v182, vcc_lo, v193, v182
	v_add_co_ci_u32_e64 v183, null, v194, v183, vcc_lo
	v_lshlrev_b64 v[0:1], 4, v[0:1]
	v_add_co_u32 v188, vcc_lo, v182, s2
	v_ashrrev_i32_e32 v185, 31, v184
	v_add_co_ci_u32_e64 v189, null, s3, v183, vcc_lo
	v_add_co_u32 v0, vcc_lo, v193, v0
	v_add_nc_u32_e32 v186, s6, v184
	v_add_co_ci_u32_e64 v1, null, v194, v1, vcc_lo
	global_store_dwordx4 v[182:183], v[174:177], off
	v_lshlrev_b64 v[174:175], 4, v[184:185]
	v_ashrrev_i32_e32 v187, 31, v186
	global_store_dwordx4 v[188:189], v[178:181], off
	global_store_dwordx4 v[0:1], v[170:173], off
	v_add_nc_u32_e32 v170, s6, v186
	v_lshlrev_b64 v[0:1], 4, v[186:187]
	v_add_co_u32 v172, vcc_lo, v193, v174
	v_add_nc_u32_e32 v174, s6, v170
	v_ashrrev_i32_e32 v171, 31, v170
	v_add_co_ci_u32_e64 v173, null, v194, v175, vcc_lo
	v_add_co_u32 v0, vcc_lo, v193, v0
	v_add_nc_u32_e32 v176, s6, v174
	v_add_co_ci_u32_e64 v1, null, v194, v1, vcc_lo
	v_ashrrev_i32_e32 v175, 31, v174
	v_lshlrev_b64 v[170:171], 4, v[170:171]
	v_ashrrev_i32_e32 v177, 31, v176
	global_store_dwordx4 v[172:173], v[162:165], off
	global_store_dwordx4 v[0:1], v[166:169], off
	v_add_nc_u32_e32 v166, s6, v176
	v_lshlrev_b64 v[0:1], 4, v[174:175]
	v_add_co_u32 v162, vcc_lo, v193, v170
	v_lshlrev_b64 v[164:165], 4, v[176:177]
	v_add_co_ci_u32_e64 v163, null, v194, v171, vcc_lo
	v_add_nc_u32_e32 v168, s6, v166
	v_add_co_u32 v0, vcc_lo, v193, v0
	v_add_co_ci_u32_e64 v1, null, v194, v1, vcc_lo
	v_ashrrev_i32_e32 v167, 31, v166
	v_add_co_u32 v164, vcc_lo, v193, v164
	global_store_dwordx4 v[162:163], v[150:153], off
	v_add_nc_u32_e32 v152, s6, v168
	v_add_co_ci_u32_e64 v165, null, v194, v165, vcc_lo
	v_ashrrev_i32_e32 v169, 31, v168
	v_lshlrev_b64 v[150:151], 4, v[166:167]
	global_store_dwordx4 v[0:1], v[158:161], off
	global_store_dwordx4 v[164:165], v[154:157], off
	v_add_nc_u32_e32 v154, s6, v152
	v_ashrrev_i32_e32 v153, 31, v152
	v_lshlrev_b64 v[0:1], 4, v[168:169]
	v_add_co_u32 v150, vcc_lo, v193, v150
	v_add_nc_u32_e32 v156, s6, v154
	v_add_co_ci_u32_e64 v151, null, v194, v151, vcc_lo
	v_add_co_u32 v0, vcc_lo, v193, v0
	v_ashrrev_i32_e32 v155, 31, v154
	v_add_co_ci_u32_e64 v1, null, v194, v1, vcc_lo
	v_ashrrev_i32_e32 v157, 31, v156
	v_lshlrev_b64 v[152:153], 4, v[152:153]
	global_store_dwordx4 v[150:151], v[146:149], off
	global_store_dwordx4 v[0:1], v[142:145], off
	v_lshlrev_b64 v[0:1], 4, v[154:155]
	v_add_nc_u32_e32 v146, s6, v156
	v_lshlrev_b64 v[144:145], 4, v[156:157]
	v_add_co_u32 v142, vcc_lo, v193, v152
	v_add_co_ci_u32_e64 v143, null, v194, v153, vcc_lo
	v_add_co_u32 v0, vcc_lo, v193, v0
	v_add_co_ci_u32_e64 v1, null, v194, v1, vcc_lo
	v_ashrrev_i32_e32 v147, 31, v146
	v_add_co_u32 v144, vcc_lo, v193, v144
	v_add_nc_u32_e32 v148, s6, v146
	v_add_co_ci_u32_e64 v145, null, v194, v145, vcc_lo
	global_store_dwordx4 v[142:143], v[134:137], off
	v_lshlrev_b64 v[134:135], 4, v[146:147]
	v_ashrrev_i32_e32 v149, 31, v148
	global_store_dwordx4 v[0:1], v[130:133], off
	global_store_dwordx4 v[144:145], v[138:141], off
	v_add_nc_u32_e32 v130, s6, v148
	v_lshlrev_b64 v[0:1], 4, v[148:149]
	v_add_co_u32 v132, vcc_lo, v193, v134
	v_add_nc_u32_e32 v134, s6, v130
	v_ashrrev_i32_e32 v131, 31, v130
	v_add_co_ci_u32_e64 v133, null, v194, v135, vcc_lo
	v_add_co_u32 v0, vcc_lo, v193, v0
	v_add_nc_u32_e32 v136, s6, v134
	v_add_co_ci_u32_e64 v1, null, v194, v1, vcc_lo
	v_ashrrev_i32_e32 v135, 31, v134
	v_lshlrev_b64 v[130:131], 4, v[130:131]
	v_ashrrev_i32_e32 v137, 31, v136
	global_store_dwordx4 v[132:133], v[122:125], off
	global_store_dwordx4 v[0:1], v[126:129], off
	v_add_nc_u32_e32 v126, s6, v136
	v_lshlrev_b64 v[0:1], 4, v[134:135]
	v_add_co_u32 v122, vcc_lo, v193, v130
	v_lshlrev_b64 v[124:125], 4, v[136:137]
	v_add_co_ci_u32_e64 v123, null, v194, v131, vcc_lo
	v_add_nc_u32_e32 v128, s6, v126
	v_add_co_u32 v0, vcc_lo, v193, v0
	v_add_co_ci_u32_e64 v1, null, v194, v1, vcc_lo
	v_ashrrev_i32_e32 v127, 31, v126
	v_add_co_u32 v124, vcc_lo, v193, v124
	global_store_dwordx4 v[122:123], v[110:113], off
	v_add_nc_u32_e32 v112, s6, v128
	v_add_co_ci_u32_e64 v125, null, v194, v125, vcc_lo
	v_ashrrev_i32_e32 v129, 31, v128
	v_lshlrev_b64 v[110:111], 4, v[126:127]
	global_store_dwordx4 v[0:1], v[118:121], off
	global_store_dwordx4 v[124:125], v[114:117], off
	v_add_nc_u32_e32 v114, s6, v112
	v_ashrrev_i32_e32 v113, 31, v112
	v_lshlrev_b64 v[0:1], 4, v[128:129]
	v_add_co_u32 v110, vcc_lo, v193, v110
	v_add_nc_u32_e32 v116, s6, v114
	v_add_co_ci_u32_e64 v111, null, v194, v111, vcc_lo
	v_add_co_u32 v0, vcc_lo, v193, v0
	v_ashrrev_i32_e32 v115, 31, v114
	v_add_co_ci_u32_e64 v1, null, v194, v1, vcc_lo
	v_ashrrev_i32_e32 v117, 31, v116
	v_lshlrev_b64 v[112:113], 4, v[112:113]
	global_store_dwordx4 v[110:111], v[106:109], off
	global_store_dwordx4 v[0:1], v[102:105], off
	v_lshlrev_b64 v[0:1], 4, v[114:115]
	v_add_nc_u32_e32 v106, s6, v116
	v_lshlrev_b64 v[104:105], 4, v[116:117]
	v_add_co_u32 v102, vcc_lo, v193, v112
	v_add_co_ci_u32_e64 v103, null, v194, v113, vcc_lo
	v_add_co_u32 v0, vcc_lo, v193, v0
	v_add_co_ci_u32_e64 v1, null, v194, v1, vcc_lo
	v_ashrrev_i32_e32 v107, 31, v106
	;; [unrolled: 60-line block ×3, first 2 shown]
	v_add_co_u32 v64, vcc_lo, v193, v64
	v_add_nc_u32_e32 v68, s6, v66
	v_add_co_ci_u32_e64 v65, null, v194, v65, vcc_lo
	global_store_dwordx4 v[62:63], v[54:57], off
	v_lshlrev_b64 v[54:55], 4, v[66:67]
	v_ashrrev_i32_e32 v69, 31, v68
	global_store_dwordx4 v[0:1], v[50:53], off
	global_store_dwordx4 v[64:65], v[58:61], off
	v_add_nc_u32_e32 v50, s6, v68
	v_lshlrev_b64 v[0:1], 4, v[68:69]
	v_add_co_u32 v52, vcc_lo, v193, v54
	v_add_nc_u32_e32 v54, s6, v50
	v_add_co_ci_u32_e64 v53, null, v194, v55, vcc_lo
	v_ashrrev_i32_e32 v51, 31, v50
	v_add_co_u32 v0, vcc_lo, v193, v0
	v_add_nc_u32_e32 v56, s6, v54
	v_add_co_ci_u32_e64 v1, null, v194, v1, vcc_lo
	v_ashrrev_i32_e32 v55, 31, v54
	v_lshlrev_b64 v[50:51], 4, v[50:51]
	v_ashrrev_i32_e32 v57, 31, v56
	global_store_dwordx4 v[52:53], v[42:45], off
	global_store_dwordx4 v[0:1], v[46:49], off
	v_add_nc_u32_e32 v46, s6, v56
	v_lshlrev_b64 v[0:1], 4, v[54:55]
	v_lshlrev_b64 v[44:45], 4, v[56:57]
	v_add_co_u32 v42, vcc_lo, v193, v50
	v_add_nc_u32_e32 v48, s6, v46
	v_add_co_ci_u32_e64 v43, null, v194, v51, vcc_lo
	v_add_co_u32 v0, vcc_lo, v193, v0
	v_ashrrev_i32_e32 v47, 31, v46
	v_add_co_ci_u32_e64 v1, null, v194, v1, vcc_lo
	v_add_co_u32 v44, vcc_lo, v193, v44
	v_ashrrev_i32_e32 v49, 31, v48
	v_add_co_ci_u32_e64 v45, null, v194, v45, vcc_lo
	global_store_dwordx4 v[42:43], v[30:33], off
	v_lshlrev_b64 v[30:31], 4, v[46:47]
	v_add_nc_u32_e32 v32, s6, v48
	global_store_dwordx4 v[0:1], v[38:41], off
	global_store_dwordx4 v[44:45], v[34:37], off
	v_lshlrev_b64 v[0:1], 4, v[48:49]
	v_add_nc_u32_e32 v34, s6, v32
	v_add_co_u32 v30, vcc_lo, v193, v30
	v_add_co_ci_u32_e64 v31, null, v194, v31, vcc_lo
	v_add_co_u32 v0, vcc_lo, v193, v0
	v_add_co_ci_u32_e64 v1, null, v194, v1, vcc_lo
	v_add_nc_u32_e32 v36, s6, v34
	v_ashrrev_i32_e32 v33, 31, v32
	global_store_dwordx4 v[30:31], v[26:29], off
	global_store_dwordx4 v[0:1], v[22:25], off
	v_ashrrev_i32_e32 v35, 31, v34
	v_add_nc_u32_e32 v22, s6, v36
	v_lshlrev_b64 v[26:27], 4, v[32:33]
	v_ashrrev_i32_e32 v37, 31, v36
	v_lshlrev_b64 v[0:1], 4, v[34:35]
	v_add_nc_u32_e32 v28, s6, v22
	v_ashrrev_i32_e32 v23, 31, v22
	v_add_co_u32 v24, vcc_lo, v193, v26
	v_add_co_ci_u32_e64 v25, null, v194, v27, vcc_lo
	v_ashrrev_i32_e32 v29, 31, v28
	v_lshlrev_b64 v[26:27], 4, v[36:37]
	v_lshlrev_b64 v[22:23], 4, v[22:23]
	v_add_co_u32 v0, vcc_lo, v193, v0
	v_lshlrev_b64 v[28:29], 4, v[28:29]
	v_add_co_ci_u32_e64 v1, null, v194, v1, vcc_lo
	v_add_co_u32 v26, vcc_lo, v193, v26
	v_add_co_ci_u32_e64 v27, null, v194, v27, vcc_lo
	v_add_co_u32 v22, vcc_lo, v193, v22
	;; [unrolled: 2-line block ×3, first 2 shown]
	v_add_co_ci_u32_e64 v29, null, v194, v29, vcc_lo
	global_store_dwordx4 v[24:25], v[18:21], off
	global_store_dwordx4 v[0:1], v[14:17], off
	;; [unrolled: 1-line block ×5, first 2 shown]
.LBB88_948:
	s_endpgm
	.section	.rodata,"a",@progbits
	.p2align	6, 0x0
	.amdhsa_kernel _ZN9rocsolver6v33100L18getf2_small_kernelILi45E19rocblas_complex_numIdEiiPS3_EEvT1_T3_lS5_lPS5_llPT2_S5_S5_S7_l
		.amdhsa_group_segment_fixed_size 0
		.amdhsa_private_segment_fixed_size 0
		.amdhsa_kernarg_size 352
		.amdhsa_user_sgpr_count 6
		.amdhsa_user_sgpr_private_segment_buffer 1
		.amdhsa_user_sgpr_dispatch_ptr 0
		.amdhsa_user_sgpr_queue_ptr 0
		.amdhsa_user_sgpr_kernarg_segment_ptr 1
		.amdhsa_user_sgpr_dispatch_id 0
		.amdhsa_user_sgpr_flat_scratch_init 0
		.amdhsa_user_sgpr_private_segment_size 0
		.amdhsa_wavefront_size32 1
		.amdhsa_uses_dynamic_stack 0
		.amdhsa_system_sgpr_private_segment_wavefront_offset 0
		.amdhsa_system_sgpr_workgroup_id_x 1
		.amdhsa_system_sgpr_workgroup_id_y 1
		.amdhsa_system_sgpr_workgroup_id_z 0
		.amdhsa_system_sgpr_workgroup_info 0
		.amdhsa_system_vgpr_workitem_id 1
		.amdhsa_next_free_vgpr 247
		.amdhsa_next_free_sgpr 18
		.amdhsa_reserve_vcc 1
		.amdhsa_reserve_flat_scratch 0
		.amdhsa_float_round_mode_32 0
		.amdhsa_float_round_mode_16_64 0
		.amdhsa_float_denorm_mode_32 3
		.amdhsa_float_denorm_mode_16_64 3
		.amdhsa_dx10_clamp 1
		.amdhsa_ieee_mode 1
		.amdhsa_fp16_overflow 0
		.amdhsa_workgroup_processor_mode 1
		.amdhsa_memory_ordered 1
		.amdhsa_forward_progress 1
		.amdhsa_shared_vgpr_count 0
		.amdhsa_exception_fp_ieee_invalid_op 0
		.amdhsa_exception_fp_denorm_src 0
		.amdhsa_exception_fp_ieee_div_zero 0
		.amdhsa_exception_fp_ieee_overflow 0
		.amdhsa_exception_fp_ieee_underflow 0
		.amdhsa_exception_fp_ieee_inexact 0
		.amdhsa_exception_int_div_zero 0
	.end_amdhsa_kernel
	.section	.text._ZN9rocsolver6v33100L18getf2_small_kernelILi45E19rocblas_complex_numIdEiiPS3_EEvT1_T3_lS5_lPS5_llPT2_S5_S5_S7_l,"axG",@progbits,_ZN9rocsolver6v33100L18getf2_small_kernelILi45E19rocblas_complex_numIdEiiPS3_EEvT1_T3_lS5_lPS5_llPT2_S5_S5_S7_l,comdat
.Lfunc_end88:
	.size	_ZN9rocsolver6v33100L18getf2_small_kernelILi45E19rocblas_complex_numIdEiiPS3_EEvT1_T3_lS5_lPS5_llPT2_S5_S5_S7_l, .Lfunc_end88-_ZN9rocsolver6v33100L18getf2_small_kernelILi45E19rocblas_complex_numIdEiiPS3_EEvT1_T3_lS5_lPS5_llPT2_S5_S5_S7_l
                                        ; -- End function
	.set _ZN9rocsolver6v33100L18getf2_small_kernelILi45E19rocblas_complex_numIdEiiPS3_EEvT1_T3_lS5_lPS5_llPT2_S5_S5_S7_l.num_vgpr, 247
	.set _ZN9rocsolver6v33100L18getf2_small_kernelILi45E19rocblas_complex_numIdEiiPS3_EEvT1_T3_lS5_lPS5_llPT2_S5_S5_S7_l.num_agpr, 0
	.set _ZN9rocsolver6v33100L18getf2_small_kernelILi45E19rocblas_complex_numIdEiiPS3_EEvT1_T3_lS5_lPS5_llPT2_S5_S5_S7_l.numbered_sgpr, 18
	.set _ZN9rocsolver6v33100L18getf2_small_kernelILi45E19rocblas_complex_numIdEiiPS3_EEvT1_T3_lS5_lPS5_llPT2_S5_S5_S7_l.num_named_barrier, 0
	.set _ZN9rocsolver6v33100L18getf2_small_kernelILi45E19rocblas_complex_numIdEiiPS3_EEvT1_T3_lS5_lPS5_llPT2_S5_S5_S7_l.private_seg_size, 0
	.set _ZN9rocsolver6v33100L18getf2_small_kernelILi45E19rocblas_complex_numIdEiiPS3_EEvT1_T3_lS5_lPS5_llPT2_S5_S5_S7_l.uses_vcc, 1
	.set _ZN9rocsolver6v33100L18getf2_small_kernelILi45E19rocblas_complex_numIdEiiPS3_EEvT1_T3_lS5_lPS5_llPT2_S5_S5_S7_l.uses_flat_scratch, 0
	.set _ZN9rocsolver6v33100L18getf2_small_kernelILi45E19rocblas_complex_numIdEiiPS3_EEvT1_T3_lS5_lPS5_llPT2_S5_S5_S7_l.has_dyn_sized_stack, 0
	.set _ZN9rocsolver6v33100L18getf2_small_kernelILi45E19rocblas_complex_numIdEiiPS3_EEvT1_T3_lS5_lPS5_llPT2_S5_S5_S7_l.has_recursion, 0
	.set _ZN9rocsolver6v33100L18getf2_small_kernelILi45E19rocblas_complex_numIdEiiPS3_EEvT1_T3_lS5_lPS5_llPT2_S5_S5_S7_l.has_indirect_call, 0
	.section	.AMDGPU.csdata,"",@progbits
; Kernel info:
; codeLenInByte = 115704
; TotalNumSgprs: 20
; NumVgprs: 247
; ScratchSize: 0
; MemoryBound: 0
; FloatMode: 240
; IeeeMode: 1
; LDSByteSize: 0 bytes/workgroup (compile time only)
; SGPRBlocks: 0
; VGPRBlocks: 30
; NumSGPRsForWavesPerEU: 20
; NumVGPRsForWavesPerEU: 247
; Occupancy: 4
; WaveLimiterHint : 0
; COMPUTE_PGM_RSRC2:SCRATCH_EN: 0
; COMPUTE_PGM_RSRC2:USER_SGPR: 6
; COMPUTE_PGM_RSRC2:TRAP_HANDLER: 0
; COMPUTE_PGM_RSRC2:TGID_X_EN: 1
; COMPUTE_PGM_RSRC2:TGID_Y_EN: 1
; COMPUTE_PGM_RSRC2:TGID_Z_EN: 0
; COMPUTE_PGM_RSRC2:TIDIG_COMP_CNT: 1
	.section	.text._ZN9rocsolver6v33100L23getf2_npvt_small_kernelILi45E19rocblas_complex_numIdEiiPS3_EEvT1_T3_lS5_lPT2_S5_S5_,"axG",@progbits,_ZN9rocsolver6v33100L23getf2_npvt_small_kernelILi45E19rocblas_complex_numIdEiiPS3_EEvT1_T3_lS5_lPT2_S5_S5_,comdat
	.globl	_ZN9rocsolver6v33100L23getf2_npvt_small_kernelILi45E19rocblas_complex_numIdEiiPS3_EEvT1_T3_lS5_lPT2_S5_S5_ ; -- Begin function _ZN9rocsolver6v33100L23getf2_npvt_small_kernelILi45E19rocblas_complex_numIdEiiPS3_EEvT1_T3_lS5_lPT2_S5_S5_
	.p2align	8
	.type	_ZN9rocsolver6v33100L23getf2_npvt_small_kernelILi45E19rocblas_complex_numIdEiiPS3_EEvT1_T3_lS5_lPT2_S5_S5_,@function
_ZN9rocsolver6v33100L23getf2_npvt_small_kernelILi45E19rocblas_complex_numIdEiiPS3_EEvT1_T3_lS5_lPT2_S5_S5_: ; @_ZN9rocsolver6v33100L23getf2_npvt_small_kernelILi45E19rocblas_complex_numIdEiiPS3_EEvT1_T3_lS5_lPT2_S5_S5_
; %bb.0:
	s_mov_b64 s[18:19], s[2:3]
	s_mov_b64 s[16:17], s[0:1]
	s_clause 0x1
	s_load_dword s0, s[4:5], 0x44
	s_load_dwordx2 s[12:13], s[4:5], 0x30
	s_add_u32 s16, s16, s8
	s_addc_u32 s17, s17, 0
	s_waitcnt lgkmcnt(0)
	s_lshr_b32 s14, s0, 16
	s_mov_b32 s0, exec_lo
	v_mad_u64_u32 v[2:3], null, s7, s14, v[1:2]
	v_cmpx_gt_i32_e64 s12, v2
	s_cbranch_execz .LBB89_410
; %bb.1:
	s_clause 0x2
	s_load_dwordx4 s[8:11], s[4:5], 0x20
	s_load_dword s6, s[4:5], 0x18
	s_load_dwordx4 s[0:3], s[4:5], 0x8
	v_ashrrev_i32_e32 v3, 31, v2
	v_mad_u32_u24 v253, 0x2d0, v1, 0
	v_lshlrev_b32_e32 v1, 4, v1
	s_mulk_i32 s14, 0x2d0
	v_add3_u32 v255, 0, s14, v1
	s_waitcnt lgkmcnt(0)
	v_mul_lo_u32 v5, s9, v2
	v_mul_lo_u32 v7, s8, v3
	buffer_store_dword v2, off, s[16:19], 0 offset:832 ; 4-byte Folded Spill
	buffer_store_dword v3, off, s[16:19], 0 offset:836 ; 4-byte Folded Spill
	v_add3_u32 v4, s6, s6, v0
	s_lshl_b64 s[2:3], s[2:3], 4
	s_ashr_i32 s7, s6, 31
	v_add_nc_u32_e32 v6, s6, v4
	v_add_nc_u32_e32 v8, s6, v6
	;; [unrolled: 1-line block ×3, first 2 shown]
	v_ashrrev_i32_e32 v9, 31, v8
	v_add_nc_u32_e32 v12, s6, v10
	v_ashrrev_i32_e32 v11, 31, v10
	v_lshlrev_b64 v[8:9], 4, v[8:9]
	v_add_nc_u32_e32 v14, s6, v12
	v_ashrrev_i32_e32 v13, 31, v12
	v_lshlrev_b64 v[10:11], 4, v[10:11]
	v_ashrrev_i32_e32 v15, 31, v14
	v_mad_u64_u32 v[2:3], null, s8, v2, 0
	v_add3_u32 v3, v3, v7, v5
	v_ashrrev_i32_e32 v5, 31, v4
	v_ashrrev_i32_e32 v7, 31, v6
	v_lshlrev_b64 v[2:3], 4, v[2:3]
	v_lshlrev_b64 v[4:5], 4, v[4:5]
	;; [unrolled: 1-line block ×3, first 2 shown]
	v_add_co_u32 v2, vcc_lo, s0, v2
	v_add_co_ci_u32_e64 v3, null, s1, v3, vcc_lo
	s_lshl_b64 s[0:1], s[6:7], 4
	v_add_co_u32 v2, vcc_lo, v2, s2
	v_add_co_ci_u32_e64 v3, null, s3, v3, vcc_lo
	v_add_co_u32 v48, vcc_lo, v2, v4
	v_add_co_ci_u32_e64 v49, null, v3, v5, vcc_lo
	v_add_co_u32 v44, vcc_lo, v2, v6
	v_add_nc_u32_e32 v6, s6, v14
	v_lshlrev_b64 v[4:5], 4, v[12:13]
	v_add_co_ci_u32_e64 v45, null, v3, v7, vcc_lo
	v_add_co_u32 v46, vcc_lo, v2, v8
	v_add_co_ci_u32_e64 v47, null, v3, v9, vcc_lo
	v_add_co_u32 v50, vcc_lo, v2, v10
	v_ashrrev_i32_e32 v7, 31, v6
	v_add_nc_u32_e32 v10, s6, v6
	v_lshlrev_b64 v[8:9], 4, v[14:15]
	v_add_co_ci_u32_e64 v51, null, v3, v11, vcc_lo
	v_add_co_u32 v231, vcc_lo, v2, v4
	v_add_co_ci_u32_e64 v232, null, v3, v5, vcc_lo
	v_lshlrev_b64 v[4:5], 4, v[6:7]
	v_ashrrev_i32_e32 v11, 31, v10
	v_add_nc_u32_e32 v6, s6, v10
	v_add_co_u32 v229, vcc_lo, v2, v8
	v_add_co_ci_u32_e64 v230, null, v3, v9, vcc_lo
	v_lshlrev_b64 v[8:9], 4, v[10:11]
	v_ashrrev_i32_e32 v7, 31, v6
	v_add_nc_u32_e32 v10, s6, v6
	;; [unrolled: 5-line block ×34, first 2 shown]
	v_add_co_u32 v187, vcc_lo, v2, v4
	v_add_co_ci_u32_e64 v188, null, v3, v5, vcc_lo
	v_lshlrev_b64 v[4:5], 4, v[6:7]
	v_add_nc_u32_e32 v6, s6, v10
	v_ashrrev_i32_e32 v11, 31, v10
	v_add_co_u32 v191, vcc_lo, v2, v8
	v_add_co_ci_u32_e64 v192, null, v3, v9, vcc_lo
	v_ashrrev_i32_e32 v7, 31, v6
	v_lshlrev_b64 v[8:9], 4, v[10:11]
	v_add_co_u32 v10, vcc_lo, v2, v4
	v_add_co_ci_u32_e64 v11, null, v3, v5, vcc_lo
	v_lshlrev_b64 v[4:5], 4, v[6:7]
	v_lshlrev_b32_e32 v6, 4, v0
	v_add_co_u32 v7, vcc_lo, v2, v8
	v_add_co_ci_u32_e64 v8, null, v3, v9, vcc_lo
	v_add_co_u32 v189, vcc_lo, v2, v4
	v_add_co_ci_u32_e64 v190, null, v3, v5, vcc_lo
	;; [unrolled: 2-line block ×4, first 2 shown]
	buffer_store_dword v2, off, s[16:19], 0 offset:224 ; 4-byte Folded Spill
	buffer_store_dword v3, off, s[16:19], 0 offset:228 ; 4-byte Folded Spill
	v_cmp_ne_u32_e64 s1, 0, v0
	v_cmp_eq_u32_e64 s0, 0, v0
	global_load_dwordx4 v[40:43], v[2:3], off
	s_waitcnt vmcnt(0)
	buffer_store_dword v40, off, s[16:19], 0 offset:16 ; 4-byte Folded Spill
	buffer_store_dword v41, off, s[16:19], 0 offset:20 ; 4-byte Folded Spill
	;; [unrolled: 1-line block ×6, first 2 shown]
	global_load_dwordx4 v[1:4], v[4:5], off
	s_waitcnt vmcnt(0)
	buffer_store_dword v1, off, s[16:19], 0 ; 4-byte Folded Spill
	buffer_store_dword v2, off, s[16:19], 0 offset:4 ; 4-byte Folded Spill
	buffer_store_dword v3, off, s[16:19], 0 offset:8 ; 4-byte Folded Spill
	;; [unrolled: 1-line block ×5, first 2 shown]
	global_load_dwordx4 v[169:172], v[48:49], off
	buffer_store_dword v44, off, s[16:19], 0 offset:264 ; 4-byte Folded Spill
	buffer_store_dword v45, off, s[16:19], 0 offset:268 ; 4-byte Folded Spill
	global_load_dwordx4 v[165:168], v[44:45], off
	buffer_store_dword v46, off, s[16:19], 0 offset:256 ; 4-byte Folded Spill
	buffer_store_dword v47, off, s[16:19], 0 offset:260 ; 4-byte Folded Spill
	;; [unrolled: 3-line block ×3, first 2 shown]
	s_clause 0xc
	global_load_dwordx4 v[157:160], v[50:51], off
	global_load_dwordx4 v[153:156], v[231:232], off
	;; [unrolled: 1-line block ×13, first 2 shown]
	buffer_store_dword v12, off, s[16:19], 0 offset:32 ; 4-byte Folded Spill
	buffer_store_dword v13, off, s[16:19], 0 offset:36 ; 4-byte Folded Spill
	s_clause 0x3
	global_load_dwordx4 v[105:108], v[12:13], off
	global_load_dwordx4 v[101:104], v[219:220], off
	;; [unrolled: 1-line block ×4, first 2 shown]
	buffer_store_dword v14, off, s[16:19], 0 offset:40 ; 4-byte Folded Spill
	buffer_store_dword v15, off, s[16:19], 0 offset:44 ; 4-byte Folded Spill
	global_load_dwordx4 v[89:92], v[14:15], off
	buffer_store_dword v16, off, s[16:19], 0 offset:48 ; 4-byte Folded Spill
	buffer_store_dword v17, off, s[16:19], 0 offset:52 ; 4-byte Folded Spill
	global_load_dwordx4 v[85:88], v[16:17], off
	;; [unrolled: 3-line block ×23, first 2 shown]
	s_and_saveexec_b32 s3, s0
	s_cbranch_execz .LBB89_8
; %bb.2:
	s_clause 0x3
	buffer_load_dword v181, off, s[16:19], 0 offset:16
	buffer_load_dword v182, off, s[16:19], 0 offset:20
	;; [unrolled: 1-line block ×4, first 2 shown]
	s_waitcnt vmcnt(0)
	ds_write2_b64 v255, v[181:182], v[183:184] offset1:1
	s_clause 0x3
	buffer_load_dword v181, off, s[16:19], 0
	buffer_load_dword v182, off, s[16:19], 0 offset:4
	buffer_load_dword v183, off, s[16:19], 0 offset:8
	;; [unrolled: 1-line block ×3, first 2 shown]
	s_waitcnt vmcnt(0)
	ds_write2_b64 v253, v[181:182], v[183:184] offset0:2 offset1:3
	ds_write2_b64 v253, v[169:170], v[171:172] offset0:4 offset1:5
	ds_write2_b64 v253, v[165:166], v[167:168] offset0:6 offset1:7
	ds_write2_b64 v253, v[225:226], v[227:228] offset0:8 offset1:9
	ds_write2_b64 v253, v[157:158], v[159:160] offset0:10 offset1:11
	ds_write2_b64 v253, v[153:154], v[155:156] offset0:12 offset1:13
	ds_write2_b64 v253, v[149:150], v[151:152] offset0:14 offset1:15
	ds_write2_b64 v253, v[145:146], v[147:148] offset0:16 offset1:17
	ds_write2_b64 v253, v[141:142], v[143:144] offset0:18 offset1:19
	ds_write2_b64 v253, v[137:138], v[139:140] offset0:20 offset1:21
	ds_write2_b64 v253, v[133:134], v[135:136] offset0:22 offset1:23
	ds_write2_b64 v253, v[129:130], v[131:132] offset0:24 offset1:25
	ds_write2_b64 v253, v[125:126], v[127:128] offset0:26 offset1:27
	ds_write2_b64 v253, v[121:122], v[123:124] offset0:28 offset1:29
	ds_write2_b64 v253, v[117:118], v[119:120] offset0:30 offset1:31
	ds_write2_b64 v253, v[113:114], v[115:116] offset0:32 offset1:33
	ds_write2_b64 v253, v[109:110], v[111:112] offset0:34 offset1:35
	ds_write2_b64 v253, v[105:106], v[107:108] offset0:36 offset1:37
	ds_write2_b64 v253, v[101:102], v[103:104] offset0:38 offset1:39
	ds_write2_b64 v253, v[97:98], v[99:100] offset0:40 offset1:41
	ds_write2_b64 v253, v[93:94], v[95:96] offset0:42 offset1:43
	ds_write2_b64 v253, v[89:90], v[91:92] offset0:44 offset1:45
	ds_write2_b64 v253, v[85:86], v[87:88] offset0:46 offset1:47
	ds_write2_b64 v253, v[81:82], v[83:84] offset0:48 offset1:49
	ds_write2_b64 v253, v[77:78], v[79:80] offset0:50 offset1:51
	ds_write2_b64 v253, v[73:74], v[75:76] offset0:52 offset1:53
	ds_write2_b64 v253, v[69:70], v[71:72] offset0:54 offset1:55
	ds_write2_b64 v253, v[65:66], v[67:68] offset0:56 offset1:57
	ds_write2_b64 v253, v[61:62], v[63:64] offset0:58 offset1:59
	ds_write2_b64 v253, v[57:58], v[59:60] offset0:60 offset1:61
	ds_write2_b64 v253, v[53:54], v[55:56] offset0:62 offset1:63
	ds_write2_b64 v253, v[49:50], v[51:52] offset0:64 offset1:65
	ds_write2_b64 v253, v[45:46], v[47:48] offset0:66 offset1:67
	ds_write2_b64 v253, v[41:42], v[43:44] offset0:68 offset1:69
	ds_write2_b64 v253, v[37:38], v[39:40] offset0:70 offset1:71
	ds_write2_b64 v253, v[33:34], v[35:36] offset0:72 offset1:73
	ds_write2_b64 v253, v[29:30], v[31:32] offset0:74 offset1:75
	ds_write2_b64 v253, v[25:26], v[27:28] offset0:76 offset1:77
	ds_write2_b64 v253, v[21:22], v[23:24] offset0:78 offset1:79
	ds_write2_b64 v253, v[17:18], v[19:20] offset0:80 offset1:81
	ds_write2_b64 v253, v[13:14], v[15:16] offset0:82 offset1:83
	ds_write2_b64 v253, v[9:10], v[11:12] offset0:84 offset1:85
	ds_write2_b64 v253, v[5:6], v[7:8] offset0:86 offset1:87
	ds_write2_b64 v253, v[1:2], v[3:4] offset0:88 offset1:89
	ds_read2_b64 v[181:184], v255 offset1:1
	s_waitcnt lgkmcnt(0)
	v_cmp_neq_f64_e32 vcc_lo, 0, v[181:182]
	v_cmp_neq_f64_e64 s2, 0, v[183:184]
	s_or_b32 s2, vcc_lo, s2
	s_and_b32 exec_lo, exec_lo, s2
	s_cbranch_execz .LBB89_8
; %bb.3:
	v_cmp_ngt_f64_e64 s2, |v[181:182]|, |v[183:184]|
                                        ; implicit-def: $vgpr185_vgpr186
	s_and_saveexec_b32 s4, s2
	s_xor_b32 s2, exec_lo, s4
                                        ; implicit-def: $vgpr187_vgpr188
	s_cbranch_execz .LBB89_5
; %bb.4:
	v_div_scale_f64 v[185:186], null, v[183:184], v[183:184], v[181:182]
	v_div_scale_f64 v[191:192], vcc_lo, v[181:182], v[183:184], v[181:182]
	v_rcp_f64_e32 v[187:188], v[185:186]
	v_fma_f64 v[189:190], -v[185:186], v[187:188], 1.0
	v_fma_f64 v[187:188], v[187:188], v[189:190], v[187:188]
	v_fma_f64 v[189:190], -v[185:186], v[187:188], 1.0
	v_fma_f64 v[187:188], v[187:188], v[189:190], v[187:188]
	v_mul_f64 v[189:190], v[191:192], v[187:188]
	v_fma_f64 v[185:186], -v[185:186], v[189:190], v[191:192]
	v_div_fmas_f64 v[185:186], v[185:186], v[187:188], v[189:190]
	v_div_fixup_f64 v[185:186], v[185:186], v[183:184], v[181:182]
	v_fma_f64 v[181:182], v[181:182], v[185:186], v[183:184]
	v_div_scale_f64 v[183:184], null, v[181:182], v[181:182], 1.0
	v_rcp_f64_e32 v[187:188], v[183:184]
	v_fma_f64 v[189:190], -v[183:184], v[187:188], 1.0
	v_fma_f64 v[187:188], v[187:188], v[189:190], v[187:188]
	v_fma_f64 v[189:190], -v[183:184], v[187:188], 1.0
	v_fma_f64 v[187:188], v[187:188], v[189:190], v[187:188]
	v_div_scale_f64 v[189:190], vcc_lo, 1.0, v[181:182], 1.0
	v_mul_f64 v[191:192], v[189:190], v[187:188]
	v_fma_f64 v[183:184], -v[183:184], v[191:192], v[189:190]
	v_div_fmas_f64 v[183:184], v[183:184], v[187:188], v[191:192]
	v_div_fixup_f64 v[187:188], v[183:184], v[181:182], 1.0
                                        ; implicit-def: $vgpr181_vgpr182
	v_mul_f64 v[185:186], v[185:186], v[187:188]
	v_xor_b32_e32 v188, 0x80000000, v188
.LBB89_5:
	s_andn2_saveexec_b32 s2, s2
	s_cbranch_execz .LBB89_7
; %bb.6:
	v_div_scale_f64 v[185:186], null, v[181:182], v[181:182], v[183:184]
	v_div_scale_f64 v[191:192], vcc_lo, v[183:184], v[181:182], v[183:184]
	v_rcp_f64_e32 v[187:188], v[185:186]
	v_fma_f64 v[189:190], -v[185:186], v[187:188], 1.0
	v_fma_f64 v[187:188], v[187:188], v[189:190], v[187:188]
	v_fma_f64 v[189:190], -v[185:186], v[187:188], 1.0
	v_fma_f64 v[187:188], v[187:188], v[189:190], v[187:188]
	v_mul_f64 v[189:190], v[191:192], v[187:188]
	v_fma_f64 v[185:186], -v[185:186], v[189:190], v[191:192]
	v_div_fmas_f64 v[185:186], v[185:186], v[187:188], v[189:190]
	v_div_fixup_f64 v[187:188], v[185:186], v[181:182], v[183:184]
	v_fma_f64 v[181:182], v[183:184], v[187:188], v[181:182]
	v_div_scale_f64 v[183:184], null, v[181:182], v[181:182], 1.0
	v_rcp_f64_e32 v[185:186], v[183:184]
	v_fma_f64 v[189:190], -v[183:184], v[185:186], 1.0
	v_fma_f64 v[185:186], v[185:186], v[189:190], v[185:186]
	v_fma_f64 v[189:190], -v[183:184], v[185:186], 1.0
	v_fma_f64 v[185:186], v[185:186], v[189:190], v[185:186]
	v_div_scale_f64 v[189:190], vcc_lo, 1.0, v[181:182], 1.0
	v_mul_f64 v[191:192], v[189:190], v[185:186]
	v_fma_f64 v[183:184], -v[183:184], v[191:192], v[189:190]
	v_div_fmas_f64 v[183:184], v[183:184], v[185:186], v[191:192]
	v_div_fixup_f64 v[185:186], v[183:184], v[181:182], 1.0
	v_mul_f64 v[187:188], v[187:188], -v[185:186]
.LBB89_7:
	s_or_b32 exec_lo, exec_lo, s2
	ds_write2_b64 v255, v[185:186], v[187:188] offset1:1
.LBB89_8:
	s_or_b32 exec_lo, exec_lo, s3
	s_waitcnt vmcnt(0) lgkmcnt(0)
	s_waitcnt_vscnt null, 0x0
	s_barrier
	buffer_gl0_inv
	ds_read2_b64 v[181:184], v255 offset1:1
	s_waitcnt lgkmcnt(0)
	buffer_store_dword v181, off, s[16:19], 0 offset:240 ; 4-byte Folded Spill
	buffer_store_dword v182, off, s[16:19], 0 offset:244 ; 4-byte Folded Spill
	;; [unrolled: 1-line block ×4, first 2 shown]
	s_and_saveexec_b32 s2, s1
	s_cbranch_execz .LBB89_10
; %bb.9:
	s_clause 0x7
	buffer_load_dword v187, off, s[16:19], 0 offset:16
	buffer_load_dword v188, off, s[16:19], 0 offset:20
	;; [unrolled: 1-line block ×8, first 2 shown]
	v_mov_b32_e32 v173, v179
	v_mov_b32_e32 v174, v180
	s_waitcnt vmcnt(2)
	v_mul_f64 v[179:180], v[183:184], v[189:190]
	s_waitcnt vmcnt(0)
	v_mul_f64 v[181:182], v[185:186], v[189:190]
	v_fma_f64 v[189:190], v[185:186], v[187:188], v[179:180]
	v_mov_b32_e32 v180, v174
	v_fma_f64 v[181:182], v[183:184], v[187:188], -v[181:182]
	ds_read2_b64 v[183:186], v253 offset0:2 offset1:3
	v_mov_b32_e32 v179, v173
	s_waitcnt lgkmcnt(0)
	v_mul_f64 v[177:178], v[185:186], v[189:190]
	v_fma_f64 v[177:178], v[183:184], v[181:182], -v[177:178]
	v_mul_f64 v[183:184], v[183:184], v[189:190]
	v_fma_f64 v[183:184], v[185:186], v[181:182], v[183:184]
	s_clause 0x3
	buffer_load_dword v185, off, s[16:19], 0
	buffer_load_dword v186, off, s[16:19], 0 offset:4
	buffer_load_dword v187, off, s[16:19], 0 offset:8
	;; [unrolled: 1-line block ×3, first 2 shown]
	s_waitcnt vmcnt(2)
	v_add_f64 v[185:186], v[185:186], -v[177:178]
	s_waitcnt vmcnt(0)
	v_add_f64 v[187:188], v[187:188], -v[183:184]
	buffer_store_dword v185, off, s[16:19], 0 ; 4-byte Folded Spill
	buffer_store_dword v186, off, s[16:19], 0 offset:4 ; 4-byte Folded Spill
	buffer_store_dword v187, off, s[16:19], 0 offset:8 ; 4-byte Folded Spill
	;; [unrolled: 1-line block ×3, first 2 shown]
	ds_read2_b64 v[183:186], v253 offset0:4 offset1:5
	v_mov_b32_e32 v188, v182
	v_mov_b32_e32 v187, v181
	s_waitcnt lgkmcnt(0)
	v_mul_f64 v[177:178], v[185:186], v[189:190]
	v_fma_f64 v[177:178], v[183:184], v[181:182], -v[177:178]
	v_mul_f64 v[183:184], v[183:184], v[189:190]
	v_add_f64 v[169:170], v[169:170], -v[177:178]
	v_fma_f64 v[183:184], v[185:186], v[181:182], v[183:184]
	v_add_f64 v[171:172], v[171:172], -v[183:184]
	ds_read2_b64 v[183:186], v253 offset0:6 offset1:7
	s_waitcnt lgkmcnt(0)
	v_mul_f64 v[177:178], v[185:186], v[189:190]
	v_fma_f64 v[177:178], v[183:184], v[181:182], -v[177:178]
	v_mul_f64 v[183:184], v[183:184], v[189:190]
	v_add_f64 v[165:166], v[165:166], -v[177:178]
	v_fma_f64 v[183:184], v[185:186], v[181:182], v[183:184]
	v_add_f64 v[167:168], v[167:168], -v[183:184]
	ds_read2_b64 v[183:186], v253 offset0:8 offset1:9
	;; [unrolled: 8-line block ×42, first 2 shown]
	s_waitcnt lgkmcnt(0)
	v_mul_f64 v[177:178], v[185:186], v[189:190]
	v_fma_f64 v[177:178], v[183:184], v[181:182], -v[177:178]
	v_mul_f64 v[183:184], v[183:184], v[189:190]
	buffer_store_dword v187, off, s[16:19], 0 offset:16 ; 4-byte Folded Spill
	buffer_store_dword v188, off, s[16:19], 0 offset:20 ; 4-byte Folded Spill
	;; [unrolled: 1-line block ×4, first 2 shown]
	v_add_f64 v[1:2], v[1:2], -v[177:178]
	v_fma_f64 v[183:184], v[185:186], v[181:182], v[183:184]
	v_add_f64 v[3:4], v[3:4], -v[183:184]
.LBB89_10:
	s_or_b32 exec_lo, exec_lo, s2
	s_mov_b32 s2, exec_lo
	s_waitcnt_vscnt null, 0x0
	s_barrier
	buffer_gl0_inv
	v_cmpx_eq_u32_e32 1, v0
	s_cbranch_execz .LBB89_17
; %bb.11:
	s_clause 0x3
	buffer_load_dword v181, off, s[16:19], 0
	buffer_load_dword v182, off, s[16:19], 0 offset:4
	buffer_load_dword v183, off, s[16:19], 0 offset:8
	;; [unrolled: 1-line block ×3, first 2 shown]
	s_waitcnt vmcnt(0)
	ds_write2_b64 v255, v[181:182], v[183:184] offset1:1
	ds_write2_b64 v253, v[169:170], v[171:172] offset0:4 offset1:5
	ds_write2_b64 v253, v[165:166], v[167:168] offset0:6 offset1:7
	;; [unrolled: 1-line block ×43, first 2 shown]
	ds_read2_b64 v[181:184], v255 offset1:1
	s_waitcnt lgkmcnt(0)
	v_cmp_neq_f64_e32 vcc_lo, 0, v[181:182]
	v_cmp_neq_f64_e64 s1, 0, v[183:184]
	s_or_b32 s1, vcc_lo, s1
	s_and_b32 exec_lo, exec_lo, s1
	s_cbranch_execz .LBB89_17
; %bb.12:
	v_cmp_ngt_f64_e64 s1, |v[181:182]|, |v[183:184]|
                                        ; implicit-def: $vgpr185_vgpr186
	s_and_saveexec_b32 s3, s1
	s_xor_b32 s1, exec_lo, s3
                                        ; implicit-def: $vgpr187_vgpr188
	s_cbranch_execz .LBB89_14
; %bb.13:
	v_div_scale_f64 v[185:186], null, v[183:184], v[183:184], v[181:182]
	v_div_scale_f64 v[191:192], vcc_lo, v[181:182], v[183:184], v[181:182]
	v_rcp_f64_e32 v[187:188], v[185:186]
	v_fma_f64 v[189:190], -v[185:186], v[187:188], 1.0
	v_fma_f64 v[187:188], v[187:188], v[189:190], v[187:188]
	v_fma_f64 v[189:190], -v[185:186], v[187:188], 1.0
	v_fma_f64 v[187:188], v[187:188], v[189:190], v[187:188]
	v_mul_f64 v[189:190], v[191:192], v[187:188]
	v_fma_f64 v[185:186], -v[185:186], v[189:190], v[191:192]
	v_div_fmas_f64 v[185:186], v[185:186], v[187:188], v[189:190]
	v_div_fixup_f64 v[185:186], v[185:186], v[183:184], v[181:182]
	v_fma_f64 v[181:182], v[181:182], v[185:186], v[183:184]
	v_div_scale_f64 v[183:184], null, v[181:182], v[181:182], 1.0
	v_rcp_f64_e32 v[187:188], v[183:184]
	v_fma_f64 v[189:190], -v[183:184], v[187:188], 1.0
	v_fma_f64 v[187:188], v[187:188], v[189:190], v[187:188]
	v_fma_f64 v[189:190], -v[183:184], v[187:188], 1.0
	v_fma_f64 v[187:188], v[187:188], v[189:190], v[187:188]
	v_div_scale_f64 v[189:190], vcc_lo, 1.0, v[181:182], 1.0
	v_mul_f64 v[191:192], v[189:190], v[187:188]
	v_fma_f64 v[183:184], -v[183:184], v[191:192], v[189:190]
	v_div_fmas_f64 v[183:184], v[183:184], v[187:188], v[191:192]
	v_div_fixup_f64 v[187:188], v[183:184], v[181:182], 1.0
                                        ; implicit-def: $vgpr181_vgpr182
	v_mul_f64 v[185:186], v[185:186], v[187:188]
	v_xor_b32_e32 v188, 0x80000000, v188
.LBB89_14:
	s_andn2_saveexec_b32 s1, s1
	s_cbranch_execz .LBB89_16
; %bb.15:
	v_div_scale_f64 v[185:186], null, v[181:182], v[181:182], v[183:184]
	v_div_scale_f64 v[191:192], vcc_lo, v[183:184], v[181:182], v[183:184]
	v_rcp_f64_e32 v[187:188], v[185:186]
	v_fma_f64 v[189:190], -v[185:186], v[187:188], 1.0
	v_fma_f64 v[187:188], v[187:188], v[189:190], v[187:188]
	v_fma_f64 v[189:190], -v[185:186], v[187:188], 1.0
	v_fma_f64 v[187:188], v[187:188], v[189:190], v[187:188]
	v_mul_f64 v[189:190], v[191:192], v[187:188]
	v_fma_f64 v[185:186], -v[185:186], v[189:190], v[191:192]
	v_div_fmas_f64 v[185:186], v[185:186], v[187:188], v[189:190]
	v_div_fixup_f64 v[187:188], v[185:186], v[181:182], v[183:184]
	v_fma_f64 v[181:182], v[183:184], v[187:188], v[181:182]
	v_div_scale_f64 v[183:184], null, v[181:182], v[181:182], 1.0
	v_rcp_f64_e32 v[185:186], v[183:184]
	v_fma_f64 v[189:190], -v[183:184], v[185:186], 1.0
	v_fma_f64 v[185:186], v[185:186], v[189:190], v[185:186]
	v_fma_f64 v[189:190], -v[183:184], v[185:186], 1.0
	v_fma_f64 v[185:186], v[185:186], v[189:190], v[185:186]
	v_div_scale_f64 v[189:190], vcc_lo, 1.0, v[181:182], 1.0
	v_mul_f64 v[191:192], v[189:190], v[185:186]
	v_fma_f64 v[183:184], -v[183:184], v[191:192], v[189:190]
	v_div_fmas_f64 v[183:184], v[183:184], v[185:186], v[191:192]
	v_div_fixup_f64 v[185:186], v[183:184], v[181:182], 1.0
	v_mul_f64 v[187:188], v[187:188], -v[185:186]
.LBB89_16:
	s_or_b32 exec_lo, exec_lo, s1
	ds_write2_b64 v255, v[185:186], v[187:188] offset1:1
.LBB89_17:
	s_or_b32 exec_lo, exec_lo, s2
	s_waitcnt lgkmcnt(0)
	s_barrier
	buffer_gl0_inv
	ds_read2_b64 v[221:224], v255 offset1:1
	s_mov_b32 s1, exec_lo
	v_cmpx_lt_u32_e32 1, v0
	s_cbranch_execz .LBB89_19
; %bb.18:
	s_clause 0x3
	buffer_load_dword v185, off, s[16:19], 0
	buffer_load_dword v186, off, s[16:19], 0 offset:4
	buffer_load_dword v187, off, s[16:19], 0 offset:8
	;; [unrolled: 1-line block ×3, first 2 shown]
	v_mov_b32_e32 v173, v175
	v_mov_b32_e32 v174, v176
	s_waitcnt vmcnt(0) lgkmcnt(0)
	v_mul_f64 v[175:176], v[221:222], v[187:188]
	v_mul_f64 v[181:182], v[223:224], v[187:188]
	v_fma_f64 v[187:188], v[223:224], v[185:186], v[175:176]
	v_fma_f64 v[181:182], v[221:222], v[185:186], -v[181:182]
	ds_read2_b64 v[183:186], v253 offset0:4 offset1:5
	v_mov_b32_e32 v176, v174
	v_mov_b32_e32 v175, v173
	s_waitcnt lgkmcnt(0)
	v_mul_f64 v[173:174], v[185:186], v[187:188]
	v_fma_f64 v[173:174], v[183:184], v[181:182], -v[173:174]
	v_mul_f64 v[183:184], v[183:184], v[187:188]
	v_add_f64 v[169:170], v[169:170], -v[173:174]
	v_fma_f64 v[183:184], v[185:186], v[181:182], v[183:184]
	v_add_f64 v[171:172], v[171:172], -v[183:184]
	ds_read2_b64 v[183:186], v253 offset0:6 offset1:7
	s_waitcnt lgkmcnt(0)
	v_mul_f64 v[173:174], v[185:186], v[187:188]
	v_fma_f64 v[173:174], v[183:184], v[181:182], -v[173:174]
	v_mul_f64 v[183:184], v[183:184], v[187:188]
	v_add_f64 v[165:166], v[165:166], -v[173:174]
	v_fma_f64 v[183:184], v[185:186], v[181:182], v[183:184]
	v_add_f64 v[167:168], v[167:168], -v[183:184]
	ds_read2_b64 v[183:186], v253 offset0:8 offset1:9
	;; [unrolled: 8-line block ×42, first 2 shown]
	s_waitcnt lgkmcnt(0)
	v_mul_f64 v[173:174], v[185:186], v[187:188]
	v_fma_f64 v[173:174], v[183:184], v[181:182], -v[173:174]
	v_mul_f64 v[183:184], v[183:184], v[187:188]
	v_add_f64 v[1:2], v[1:2], -v[173:174]
	v_fma_f64 v[183:184], v[185:186], v[181:182], v[183:184]
	v_mov_b32_e32 v186, v182
	v_mov_b32_e32 v185, v181
	buffer_store_dword v185, off, s[16:19], 0 ; 4-byte Folded Spill
	buffer_store_dword v186, off, s[16:19], 0 offset:4 ; 4-byte Folded Spill
	buffer_store_dword v187, off, s[16:19], 0 offset:8 ; 4-byte Folded Spill
	;; [unrolled: 1-line block ×3, first 2 shown]
	v_add_f64 v[3:4], v[3:4], -v[183:184]
.LBB89_19:
	s_or_b32 exec_lo, exec_lo, s1
	s_mov_b32 s2, exec_lo
	s_waitcnt lgkmcnt(0)
	s_waitcnt_vscnt null, 0x0
	s_barrier
	buffer_gl0_inv
	v_cmpx_eq_u32_e32 2, v0
	s_cbranch_execz .LBB89_26
; %bb.20:
	ds_write2_b64 v255, v[169:170], v[171:172] offset1:1
	ds_write2_b64 v253, v[165:166], v[167:168] offset0:6 offset1:7
	ds_write2_b64 v253, v[225:226], v[227:228] offset0:8 offset1:9
	;; [unrolled: 1-line block ×42, first 2 shown]
	ds_read2_b64 v[181:184], v255 offset1:1
	s_waitcnt lgkmcnt(0)
	v_cmp_neq_f64_e32 vcc_lo, 0, v[181:182]
	v_cmp_neq_f64_e64 s1, 0, v[183:184]
	s_or_b32 s1, vcc_lo, s1
	s_and_b32 exec_lo, exec_lo, s1
	s_cbranch_execz .LBB89_26
; %bb.21:
	v_cmp_ngt_f64_e64 s1, |v[181:182]|, |v[183:184]|
                                        ; implicit-def: $vgpr185_vgpr186
	s_and_saveexec_b32 s3, s1
	s_xor_b32 s1, exec_lo, s3
                                        ; implicit-def: $vgpr187_vgpr188
	s_cbranch_execz .LBB89_23
; %bb.22:
	v_div_scale_f64 v[185:186], null, v[183:184], v[183:184], v[181:182]
	v_div_scale_f64 v[191:192], vcc_lo, v[181:182], v[183:184], v[181:182]
	v_rcp_f64_e32 v[187:188], v[185:186]
	v_fma_f64 v[189:190], -v[185:186], v[187:188], 1.0
	v_fma_f64 v[187:188], v[187:188], v[189:190], v[187:188]
	v_fma_f64 v[189:190], -v[185:186], v[187:188], 1.0
	v_fma_f64 v[187:188], v[187:188], v[189:190], v[187:188]
	v_mul_f64 v[189:190], v[191:192], v[187:188]
	v_fma_f64 v[185:186], -v[185:186], v[189:190], v[191:192]
	v_div_fmas_f64 v[185:186], v[185:186], v[187:188], v[189:190]
	v_div_fixup_f64 v[185:186], v[185:186], v[183:184], v[181:182]
	v_fma_f64 v[181:182], v[181:182], v[185:186], v[183:184]
	v_div_scale_f64 v[183:184], null, v[181:182], v[181:182], 1.0
	v_rcp_f64_e32 v[187:188], v[183:184]
	v_fma_f64 v[189:190], -v[183:184], v[187:188], 1.0
	v_fma_f64 v[187:188], v[187:188], v[189:190], v[187:188]
	v_fma_f64 v[189:190], -v[183:184], v[187:188], 1.0
	v_fma_f64 v[187:188], v[187:188], v[189:190], v[187:188]
	v_div_scale_f64 v[189:190], vcc_lo, 1.0, v[181:182], 1.0
	v_mul_f64 v[191:192], v[189:190], v[187:188]
	v_fma_f64 v[183:184], -v[183:184], v[191:192], v[189:190]
	v_div_fmas_f64 v[183:184], v[183:184], v[187:188], v[191:192]
	v_div_fixup_f64 v[187:188], v[183:184], v[181:182], 1.0
                                        ; implicit-def: $vgpr181_vgpr182
	v_mul_f64 v[185:186], v[185:186], v[187:188]
	v_xor_b32_e32 v188, 0x80000000, v188
.LBB89_23:
	s_andn2_saveexec_b32 s1, s1
	s_cbranch_execz .LBB89_25
; %bb.24:
	v_div_scale_f64 v[185:186], null, v[181:182], v[181:182], v[183:184]
	v_div_scale_f64 v[191:192], vcc_lo, v[183:184], v[181:182], v[183:184]
	v_rcp_f64_e32 v[187:188], v[185:186]
	v_fma_f64 v[189:190], -v[185:186], v[187:188], 1.0
	v_fma_f64 v[187:188], v[187:188], v[189:190], v[187:188]
	v_fma_f64 v[189:190], -v[185:186], v[187:188], 1.0
	v_fma_f64 v[187:188], v[187:188], v[189:190], v[187:188]
	v_mul_f64 v[189:190], v[191:192], v[187:188]
	v_fma_f64 v[185:186], -v[185:186], v[189:190], v[191:192]
	v_div_fmas_f64 v[185:186], v[185:186], v[187:188], v[189:190]
	v_div_fixup_f64 v[187:188], v[185:186], v[181:182], v[183:184]
	v_fma_f64 v[181:182], v[183:184], v[187:188], v[181:182]
	v_div_scale_f64 v[183:184], null, v[181:182], v[181:182], 1.0
	v_rcp_f64_e32 v[185:186], v[183:184]
	v_fma_f64 v[189:190], -v[183:184], v[185:186], 1.0
	v_fma_f64 v[185:186], v[185:186], v[189:190], v[185:186]
	v_fma_f64 v[189:190], -v[183:184], v[185:186], 1.0
	v_fma_f64 v[185:186], v[185:186], v[189:190], v[185:186]
	v_div_scale_f64 v[189:190], vcc_lo, 1.0, v[181:182], 1.0
	v_mul_f64 v[191:192], v[189:190], v[185:186]
	v_fma_f64 v[183:184], -v[183:184], v[191:192], v[189:190]
	v_div_fmas_f64 v[183:184], v[183:184], v[185:186], v[191:192]
	v_div_fixup_f64 v[185:186], v[183:184], v[181:182], 1.0
	v_mul_f64 v[187:188], v[187:188], -v[185:186]
.LBB89_25:
	s_or_b32 exec_lo, exec_lo, s1
	ds_write2_b64 v255, v[185:186], v[187:188] offset1:1
.LBB89_26:
	s_or_b32 exec_lo, exec_lo, s2
	s_waitcnt lgkmcnt(0)
	s_barrier
	buffer_gl0_inv
	ds_read2_b64 v[181:184], v255 offset1:1
	s_mov_b32 s1, exec_lo
	s_waitcnt lgkmcnt(0)
	buffer_store_dword v181, off, s[16:19], 0 offset:272 ; 4-byte Folded Spill
	buffer_store_dword v182, off, s[16:19], 0 offset:276 ; 4-byte Folded Spill
	;; [unrolled: 1-line block ×4, first 2 shown]
	v_cmpx_lt_u32_e32 2, v0
	s_cbranch_execz .LBB89_28
; %bb.27:
	s_clause 0x3
	buffer_load_dword v183, off, s[16:19], 0 offset:272
	buffer_load_dword v184, off, s[16:19], 0 offset:276
	;; [unrolled: 1-line block ×4, first 2 shown]
	s_waitcnt vmcnt(0)
	v_mul_f64 v[181:182], v[185:186], v[171:172]
	v_mul_f64 v[171:172], v[183:184], v[171:172]
	v_fma_f64 v[181:182], v[183:184], v[169:170], -v[181:182]
	v_fma_f64 v[171:172], v[185:186], v[169:170], v[171:172]
	ds_read2_b64 v[183:186], v253 offset0:6 offset1:7
	s_waitcnt lgkmcnt(0)
	v_mul_f64 v[169:170], v[185:186], v[171:172]
	v_fma_f64 v[169:170], v[183:184], v[181:182], -v[169:170]
	v_mul_f64 v[183:184], v[183:184], v[171:172]
	v_add_f64 v[165:166], v[165:166], -v[169:170]
	v_fma_f64 v[183:184], v[185:186], v[181:182], v[183:184]
	v_add_f64 v[167:168], v[167:168], -v[183:184]
	ds_read2_b64 v[183:186], v253 offset0:8 offset1:9
	s_waitcnt lgkmcnt(0)
	v_mul_f64 v[169:170], v[185:186], v[171:172]
	v_fma_f64 v[169:170], v[183:184], v[181:182], -v[169:170]
	v_mul_f64 v[183:184], v[183:184], v[171:172]
	v_add_f64 v[225:226], v[225:226], -v[169:170]
	v_fma_f64 v[183:184], v[185:186], v[181:182], v[183:184]
	v_add_f64 v[227:228], v[227:228], -v[183:184]
	;; [unrolled: 8-line block ×41, first 2 shown]
	ds_read2_b64 v[183:186], v253 offset0:88 offset1:89
	s_waitcnt lgkmcnt(0)
	v_mul_f64 v[169:170], v[185:186], v[171:172]
	v_fma_f64 v[169:170], v[183:184], v[181:182], -v[169:170]
	v_mul_f64 v[183:184], v[183:184], v[171:172]
	v_add_f64 v[1:2], v[1:2], -v[169:170]
	v_fma_f64 v[183:184], v[185:186], v[181:182], v[183:184]
	v_mov_b32_e32 v169, v181
	v_mov_b32_e32 v170, v182
	v_add_f64 v[3:4], v[3:4], -v[183:184]
.LBB89_28:
	s_or_b32 exec_lo, exec_lo, s1
	s_mov_b32 s2, exec_lo
	s_waitcnt_vscnt null, 0x0
	s_barrier
	buffer_gl0_inv
	v_cmpx_eq_u32_e32 3, v0
	s_cbranch_execz .LBB89_35
; %bb.29:
	ds_write2_b64 v255, v[165:166], v[167:168] offset1:1
	ds_write2_b64 v253, v[225:226], v[227:228] offset0:8 offset1:9
	ds_write2_b64 v253, v[157:158], v[159:160] offset0:10 offset1:11
	;; [unrolled: 1-line block ×41, first 2 shown]
	ds_read2_b64 v[181:184], v255 offset1:1
	s_waitcnt lgkmcnt(0)
	v_cmp_neq_f64_e32 vcc_lo, 0, v[181:182]
	v_cmp_neq_f64_e64 s1, 0, v[183:184]
	s_or_b32 s1, vcc_lo, s1
	s_and_b32 exec_lo, exec_lo, s1
	s_cbranch_execz .LBB89_35
; %bb.30:
	v_cmp_ngt_f64_e64 s1, |v[181:182]|, |v[183:184]|
                                        ; implicit-def: $vgpr185_vgpr186
	s_and_saveexec_b32 s3, s1
	s_xor_b32 s1, exec_lo, s3
                                        ; implicit-def: $vgpr187_vgpr188
	s_cbranch_execz .LBB89_32
; %bb.31:
	v_div_scale_f64 v[185:186], null, v[183:184], v[183:184], v[181:182]
	v_div_scale_f64 v[191:192], vcc_lo, v[181:182], v[183:184], v[181:182]
	v_rcp_f64_e32 v[187:188], v[185:186]
	v_fma_f64 v[189:190], -v[185:186], v[187:188], 1.0
	v_fma_f64 v[187:188], v[187:188], v[189:190], v[187:188]
	v_fma_f64 v[189:190], -v[185:186], v[187:188], 1.0
	v_fma_f64 v[187:188], v[187:188], v[189:190], v[187:188]
	v_mul_f64 v[189:190], v[191:192], v[187:188]
	v_fma_f64 v[185:186], -v[185:186], v[189:190], v[191:192]
	v_div_fmas_f64 v[185:186], v[185:186], v[187:188], v[189:190]
	v_div_fixup_f64 v[185:186], v[185:186], v[183:184], v[181:182]
	v_fma_f64 v[181:182], v[181:182], v[185:186], v[183:184]
	v_div_scale_f64 v[183:184], null, v[181:182], v[181:182], 1.0
	v_rcp_f64_e32 v[187:188], v[183:184]
	v_fma_f64 v[189:190], -v[183:184], v[187:188], 1.0
	v_fma_f64 v[187:188], v[187:188], v[189:190], v[187:188]
	v_fma_f64 v[189:190], -v[183:184], v[187:188], 1.0
	v_fma_f64 v[187:188], v[187:188], v[189:190], v[187:188]
	v_div_scale_f64 v[189:190], vcc_lo, 1.0, v[181:182], 1.0
	v_mul_f64 v[191:192], v[189:190], v[187:188]
	v_fma_f64 v[183:184], -v[183:184], v[191:192], v[189:190]
	v_div_fmas_f64 v[183:184], v[183:184], v[187:188], v[191:192]
	v_div_fixup_f64 v[187:188], v[183:184], v[181:182], 1.0
                                        ; implicit-def: $vgpr181_vgpr182
	v_mul_f64 v[185:186], v[185:186], v[187:188]
	v_xor_b32_e32 v188, 0x80000000, v188
.LBB89_32:
	s_andn2_saveexec_b32 s1, s1
	s_cbranch_execz .LBB89_34
; %bb.33:
	v_div_scale_f64 v[185:186], null, v[181:182], v[181:182], v[183:184]
	v_div_scale_f64 v[191:192], vcc_lo, v[183:184], v[181:182], v[183:184]
	v_rcp_f64_e32 v[187:188], v[185:186]
	v_fma_f64 v[189:190], -v[185:186], v[187:188], 1.0
	v_fma_f64 v[187:188], v[187:188], v[189:190], v[187:188]
	v_fma_f64 v[189:190], -v[185:186], v[187:188], 1.0
	v_fma_f64 v[187:188], v[187:188], v[189:190], v[187:188]
	v_mul_f64 v[189:190], v[191:192], v[187:188]
	v_fma_f64 v[185:186], -v[185:186], v[189:190], v[191:192]
	v_div_fmas_f64 v[185:186], v[185:186], v[187:188], v[189:190]
	v_div_fixup_f64 v[187:188], v[185:186], v[181:182], v[183:184]
	v_fma_f64 v[181:182], v[183:184], v[187:188], v[181:182]
	v_div_scale_f64 v[183:184], null, v[181:182], v[181:182], 1.0
	v_rcp_f64_e32 v[185:186], v[183:184]
	v_fma_f64 v[189:190], -v[183:184], v[185:186], 1.0
	v_fma_f64 v[185:186], v[185:186], v[189:190], v[185:186]
	v_fma_f64 v[189:190], -v[183:184], v[185:186], 1.0
	v_fma_f64 v[185:186], v[185:186], v[189:190], v[185:186]
	v_div_scale_f64 v[189:190], vcc_lo, 1.0, v[181:182], 1.0
	v_mul_f64 v[191:192], v[189:190], v[185:186]
	v_fma_f64 v[183:184], -v[183:184], v[191:192], v[189:190]
	v_div_fmas_f64 v[183:184], v[183:184], v[185:186], v[191:192]
	v_div_fixup_f64 v[185:186], v[183:184], v[181:182], 1.0
	v_mul_f64 v[187:188], v[187:188], -v[185:186]
.LBB89_34:
	s_or_b32 exec_lo, exec_lo, s1
	ds_write2_b64 v255, v[185:186], v[187:188] offset1:1
.LBB89_35:
	s_or_b32 exec_lo, exec_lo, s2
	s_waitcnt lgkmcnt(0)
	s_barrier
	buffer_gl0_inv
	ds_read2_b64 v[181:184], v255 offset1:1
	s_mov_b32 s1, exec_lo
	s_waitcnt lgkmcnt(0)
	buffer_store_dword v181, off, s[16:19], 0 offset:288 ; 4-byte Folded Spill
	buffer_store_dword v182, off, s[16:19], 0 offset:292 ; 4-byte Folded Spill
	;; [unrolled: 1-line block ×4, first 2 shown]
	v_cmpx_lt_u32_e32 3, v0
	s_cbranch_execz .LBB89_37
; %bb.36:
	s_clause 0x3
	buffer_load_dword v183, off, s[16:19], 0 offset:288
	buffer_load_dword v184, off, s[16:19], 0 offset:292
	;; [unrolled: 1-line block ×4, first 2 shown]
	s_waitcnt vmcnt(0)
	v_mul_f64 v[181:182], v[185:186], v[167:168]
	v_mul_f64 v[167:168], v[183:184], v[167:168]
	v_fma_f64 v[181:182], v[183:184], v[165:166], -v[181:182]
	v_fma_f64 v[167:168], v[185:186], v[165:166], v[167:168]
	ds_read2_b64 v[183:186], v253 offset0:8 offset1:9
	s_waitcnt lgkmcnt(0)
	v_mul_f64 v[165:166], v[185:186], v[167:168]
	v_fma_f64 v[165:166], v[183:184], v[181:182], -v[165:166]
	v_mul_f64 v[183:184], v[183:184], v[167:168]
	v_add_f64 v[225:226], v[225:226], -v[165:166]
	v_fma_f64 v[183:184], v[185:186], v[181:182], v[183:184]
	v_add_f64 v[227:228], v[227:228], -v[183:184]
	ds_read2_b64 v[183:186], v253 offset0:10 offset1:11
	s_waitcnt lgkmcnt(0)
	v_mul_f64 v[165:166], v[185:186], v[167:168]
	v_fma_f64 v[165:166], v[183:184], v[181:182], -v[165:166]
	v_mul_f64 v[183:184], v[183:184], v[167:168]
	v_add_f64 v[157:158], v[157:158], -v[165:166]
	v_fma_f64 v[183:184], v[185:186], v[181:182], v[183:184]
	v_add_f64 v[159:160], v[159:160], -v[183:184]
	;; [unrolled: 8-line block ×40, first 2 shown]
	ds_read2_b64 v[183:186], v253 offset0:88 offset1:89
	s_waitcnt lgkmcnt(0)
	v_mul_f64 v[165:166], v[185:186], v[167:168]
	v_fma_f64 v[165:166], v[183:184], v[181:182], -v[165:166]
	v_mul_f64 v[183:184], v[183:184], v[167:168]
	v_add_f64 v[1:2], v[1:2], -v[165:166]
	v_fma_f64 v[183:184], v[185:186], v[181:182], v[183:184]
	v_mov_b32_e32 v165, v181
	v_mov_b32_e32 v166, v182
	v_add_f64 v[3:4], v[3:4], -v[183:184]
.LBB89_37:
	s_or_b32 exec_lo, exec_lo, s1
	s_mov_b32 s2, exec_lo
	s_waitcnt_vscnt null, 0x0
	s_barrier
	buffer_gl0_inv
	v_cmpx_eq_u32_e32 4, v0
	s_cbranch_execz .LBB89_44
; %bb.38:
	ds_write2_b64 v255, v[225:226], v[227:228] offset1:1
	ds_write2_b64 v253, v[157:158], v[159:160] offset0:10 offset1:11
	ds_write2_b64 v253, v[153:154], v[155:156] offset0:12 offset1:13
	;; [unrolled: 1-line block ×40, first 2 shown]
	ds_read2_b64 v[181:184], v255 offset1:1
	s_waitcnt lgkmcnt(0)
	v_cmp_neq_f64_e32 vcc_lo, 0, v[181:182]
	v_cmp_neq_f64_e64 s1, 0, v[183:184]
	s_or_b32 s1, vcc_lo, s1
	s_and_b32 exec_lo, exec_lo, s1
	s_cbranch_execz .LBB89_44
; %bb.39:
	v_cmp_ngt_f64_e64 s1, |v[181:182]|, |v[183:184]|
                                        ; implicit-def: $vgpr185_vgpr186
	s_and_saveexec_b32 s3, s1
	s_xor_b32 s1, exec_lo, s3
                                        ; implicit-def: $vgpr187_vgpr188
	s_cbranch_execz .LBB89_41
; %bb.40:
	v_div_scale_f64 v[185:186], null, v[183:184], v[183:184], v[181:182]
	v_div_scale_f64 v[191:192], vcc_lo, v[181:182], v[183:184], v[181:182]
	v_rcp_f64_e32 v[187:188], v[185:186]
	v_fma_f64 v[189:190], -v[185:186], v[187:188], 1.0
	v_fma_f64 v[187:188], v[187:188], v[189:190], v[187:188]
	v_fma_f64 v[189:190], -v[185:186], v[187:188], 1.0
	v_fma_f64 v[187:188], v[187:188], v[189:190], v[187:188]
	v_mul_f64 v[189:190], v[191:192], v[187:188]
	v_fma_f64 v[185:186], -v[185:186], v[189:190], v[191:192]
	v_div_fmas_f64 v[185:186], v[185:186], v[187:188], v[189:190]
	v_div_fixup_f64 v[185:186], v[185:186], v[183:184], v[181:182]
	v_fma_f64 v[181:182], v[181:182], v[185:186], v[183:184]
	v_div_scale_f64 v[183:184], null, v[181:182], v[181:182], 1.0
	v_rcp_f64_e32 v[187:188], v[183:184]
	v_fma_f64 v[189:190], -v[183:184], v[187:188], 1.0
	v_fma_f64 v[187:188], v[187:188], v[189:190], v[187:188]
	v_fma_f64 v[189:190], -v[183:184], v[187:188], 1.0
	v_fma_f64 v[187:188], v[187:188], v[189:190], v[187:188]
	v_div_scale_f64 v[189:190], vcc_lo, 1.0, v[181:182], 1.0
	v_mul_f64 v[191:192], v[189:190], v[187:188]
	v_fma_f64 v[183:184], -v[183:184], v[191:192], v[189:190]
	v_div_fmas_f64 v[183:184], v[183:184], v[187:188], v[191:192]
	v_div_fixup_f64 v[187:188], v[183:184], v[181:182], 1.0
                                        ; implicit-def: $vgpr181_vgpr182
	v_mul_f64 v[185:186], v[185:186], v[187:188]
	v_xor_b32_e32 v188, 0x80000000, v188
.LBB89_41:
	s_andn2_saveexec_b32 s1, s1
	s_cbranch_execz .LBB89_43
; %bb.42:
	v_div_scale_f64 v[185:186], null, v[181:182], v[181:182], v[183:184]
	v_div_scale_f64 v[191:192], vcc_lo, v[183:184], v[181:182], v[183:184]
	v_rcp_f64_e32 v[187:188], v[185:186]
	v_fma_f64 v[189:190], -v[185:186], v[187:188], 1.0
	v_fma_f64 v[187:188], v[187:188], v[189:190], v[187:188]
	v_fma_f64 v[189:190], -v[185:186], v[187:188], 1.0
	v_fma_f64 v[187:188], v[187:188], v[189:190], v[187:188]
	v_mul_f64 v[189:190], v[191:192], v[187:188]
	v_fma_f64 v[185:186], -v[185:186], v[189:190], v[191:192]
	v_div_fmas_f64 v[185:186], v[185:186], v[187:188], v[189:190]
	v_div_fixup_f64 v[187:188], v[185:186], v[181:182], v[183:184]
	v_fma_f64 v[181:182], v[183:184], v[187:188], v[181:182]
	v_div_scale_f64 v[183:184], null, v[181:182], v[181:182], 1.0
	v_rcp_f64_e32 v[185:186], v[183:184]
	v_fma_f64 v[189:190], -v[183:184], v[185:186], 1.0
	v_fma_f64 v[185:186], v[185:186], v[189:190], v[185:186]
	v_fma_f64 v[189:190], -v[183:184], v[185:186], 1.0
	v_fma_f64 v[185:186], v[185:186], v[189:190], v[185:186]
	v_div_scale_f64 v[189:190], vcc_lo, 1.0, v[181:182], 1.0
	v_mul_f64 v[191:192], v[189:190], v[185:186]
	v_fma_f64 v[183:184], -v[183:184], v[191:192], v[189:190]
	v_div_fmas_f64 v[183:184], v[183:184], v[185:186], v[191:192]
	v_div_fixup_f64 v[185:186], v[183:184], v[181:182], 1.0
	v_mul_f64 v[187:188], v[187:188], -v[185:186]
.LBB89_43:
	s_or_b32 exec_lo, exec_lo, s1
	ds_write2_b64 v255, v[185:186], v[187:188] offset1:1
.LBB89_44:
	s_or_b32 exec_lo, exec_lo, s2
	s_waitcnt lgkmcnt(0)
	s_barrier
	buffer_gl0_inv
	ds_read2_b64 v[181:184], v255 offset1:1
	s_mov_b32 s1, exec_lo
	s_waitcnt lgkmcnt(0)
	buffer_store_dword v181, off, s[16:19], 0 offset:304 ; 4-byte Folded Spill
	buffer_store_dword v182, off, s[16:19], 0 offset:308 ; 4-byte Folded Spill
	;; [unrolled: 1-line block ×4, first 2 shown]
	v_cmpx_lt_u32_e32 4, v0
	s_cbranch_execz .LBB89_46
; %bb.45:
	s_clause 0x3
	buffer_load_dword v183, off, s[16:19], 0 offset:304
	buffer_load_dword v184, off, s[16:19], 0 offset:308
	;; [unrolled: 1-line block ×4, first 2 shown]
	s_waitcnt vmcnt(2)
	v_mul_f64 v[163:164], v[183:184], v[227:228]
	s_waitcnt vmcnt(0)
	v_mul_f64 v[181:182], v[185:186], v[227:228]
	v_fma_f64 v[227:228], v[185:186], v[225:226], v[163:164]
	v_fma_f64 v[181:182], v[183:184], v[225:226], -v[181:182]
	ds_read2_b64 v[183:186], v253 offset0:10 offset1:11
	s_waitcnt lgkmcnt(0)
	v_mul_f64 v[161:162], v[185:186], v[227:228]
	v_mov_b32_e32 v226, v182
	v_mov_b32_e32 v225, v181
	v_fma_f64 v[161:162], v[183:184], v[181:182], -v[161:162]
	v_mul_f64 v[183:184], v[183:184], v[227:228]
	v_add_f64 v[157:158], v[157:158], -v[161:162]
	v_fma_f64 v[183:184], v[185:186], v[181:182], v[183:184]
	v_add_f64 v[159:160], v[159:160], -v[183:184]
	ds_read2_b64 v[183:186], v253 offset0:12 offset1:13
	s_waitcnt lgkmcnt(0)
	v_mul_f64 v[161:162], v[185:186], v[227:228]
	v_fma_f64 v[161:162], v[183:184], v[181:182], -v[161:162]
	v_mul_f64 v[183:184], v[183:184], v[227:228]
	v_add_f64 v[153:154], v[153:154], -v[161:162]
	v_fma_f64 v[183:184], v[185:186], v[181:182], v[183:184]
	v_add_f64 v[155:156], v[155:156], -v[183:184]
	ds_read2_b64 v[183:186], v253 offset0:14 offset1:15
	s_waitcnt lgkmcnt(0)
	v_mul_f64 v[161:162], v[185:186], v[227:228]
	;; [unrolled: 8-line block ×39, first 2 shown]
	v_fma_f64 v[161:162], v[183:184], v[181:182], -v[161:162]
	v_mul_f64 v[183:184], v[183:184], v[227:228]
	v_add_f64 v[1:2], v[1:2], -v[161:162]
	v_fma_f64 v[183:184], v[185:186], v[181:182], v[183:184]
	v_add_f64 v[3:4], v[3:4], -v[183:184]
.LBB89_46:
	s_or_b32 exec_lo, exec_lo, s1
	s_mov_b32 s2, exec_lo
	s_waitcnt_vscnt null, 0x0
	s_barrier
	buffer_gl0_inv
	v_cmpx_eq_u32_e32 5, v0
	s_cbranch_execz .LBB89_53
; %bb.47:
	ds_write2_b64 v255, v[157:158], v[159:160] offset1:1
	ds_write2_b64 v253, v[153:154], v[155:156] offset0:12 offset1:13
	ds_write2_b64 v253, v[149:150], v[151:152] offset0:14 offset1:15
	ds_write2_b64 v253, v[145:146], v[147:148] offset0:16 offset1:17
	ds_write2_b64 v253, v[141:142], v[143:144] offset0:18 offset1:19
	ds_write2_b64 v253, v[137:138], v[139:140] offset0:20 offset1:21
	ds_write2_b64 v253, v[133:134], v[135:136] offset0:22 offset1:23
	ds_write2_b64 v253, v[129:130], v[131:132] offset0:24 offset1:25
	ds_write2_b64 v253, v[125:126], v[127:128] offset0:26 offset1:27
	ds_write2_b64 v253, v[121:122], v[123:124] offset0:28 offset1:29
	ds_write2_b64 v253, v[117:118], v[119:120] offset0:30 offset1:31
	ds_write2_b64 v253, v[113:114], v[115:116] offset0:32 offset1:33
	ds_write2_b64 v253, v[109:110], v[111:112] offset0:34 offset1:35
	ds_write2_b64 v253, v[105:106], v[107:108] offset0:36 offset1:37
	ds_write2_b64 v253, v[101:102], v[103:104] offset0:38 offset1:39
	ds_write2_b64 v253, v[97:98], v[99:100] offset0:40 offset1:41
	ds_write2_b64 v253, v[93:94], v[95:96] offset0:42 offset1:43
	ds_write2_b64 v253, v[89:90], v[91:92] offset0:44 offset1:45
	ds_write2_b64 v253, v[85:86], v[87:88] offset0:46 offset1:47
	ds_write2_b64 v253, v[81:82], v[83:84] offset0:48 offset1:49
	ds_write2_b64 v253, v[77:78], v[79:80] offset0:50 offset1:51
	ds_write2_b64 v253, v[73:74], v[75:76] offset0:52 offset1:53
	ds_write2_b64 v253, v[69:70], v[71:72] offset0:54 offset1:55
	ds_write2_b64 v253, v[65:66], v[67:68] offset0:56 offset1:57
	ds_write2_b64 v253, v[61:62], v[63:64] offset0:58 offset1:59
	ds_write2_b64 v253, v[57:58], v[59:60] offset0:60 offset1:61
	ds_write2_b64 v253, v[53:54], v[55:56] offset0:62 offset1:63
	ds_write2_b64 v253, v[49:50], v[51:52] offset0:64 offset1:65
	ds_write2_b64 v253, v[45:46], v[47:48] offset0:66 offset1:67
	ds_write2_b64 v253, v[41:42], v[43:44] offset0:68 offset1:69
	ds_write2_b64 v253, v[37:38], v[39:40] offset0:70 offset1:71
	ds_write2_b64 v253, v[33:34], v[35:36] offset0:72 offset1:73
	ds_write2_b64 v253, v[29:30], v[31:32] offset0:74 offset1:75
	ds_write2_b64 v253, v[25:26], v[27:28] offset0:76 offset1:77
	ds_write2_b64 v253, v[21:22], v[23:24] offset0:78 offset1:79
	ds_write2_b64 v253, v[17:18], v[19:20] offset0:80 offset1:81
	ds_write2_b64 v253, v[13:14], v[15:16] offset0:82 offset1:83
	ds_write2_b64 v253, v[9:10], v[11:12] offset0:84 offset1:85
	ds_write2_b64 v253, v[5:6], v[7:8] offset0:86 offset1:87
	ds_write2_b64 v253, v[1:2], v[3:4] offset0:88 offset1:89
	ds_read2_b64 v[181:184], v255 offset1:1
	s_waitcnt lgkmcnt(0)
	v_cmp_neq_f64_e32 vcc_lo, 0, v[181:182]
	v_cmp_neq_f64_e64 s1, 0, v[183:184]
	s_or_b32 s1, vcc_lo, s1
	s_and_b32 exec_lo, exec_lo, s1
	s_cbranch_execz .LBB89_53
; %bb.48:
	v_cmp_ngt_f64_e64 s1, |v[181:182]|, |v[183:184]|
                                        ; implicit-def: $vgpr185_vgpr186
	s_and_saveexec_b32 s3, s1
	s_xor_b32 s1, exec_lo, s3
                                        ; implicit-def: $vgpr187_vgpr188
	s_cbranch_execz .LBB89_50
; %bb.49:
	v_div_scale_f64 v[185:186], null, v[183:184], v[183:184], v[181:182]
	v_div_scale_f64 v[191:192], vcc_lo, v[181:182], v[183:184], v[181:182]
	v_rcp_f64_e32 v[187:188], v[185:186]
	v_fma_f64 v[189:190], -v[185:186], v[187:188], 1.0
	v_fma_f64 v[187:188], v[187:188], v[189:190], v[187:188]
	v_fma_f64 v[189:190], -v[185:186], v[187:188], 1.0
	v_fma_f64 v[187:188], v[187:188], v[189:190], v[187:188]
	v_mul_f64 v[189:190], v[191:192], v[187:188]
	v_fma_f64 v[185:186], -v[185:186], v[189:190], v[191:192]
	v_div_fmas_f64 v[185:186], v[185:186], v[187:188], v[189:190]
	v_div_fixup_f64 v[185:186], v[185:186], v[183:184], v[181:182]
	v_fma_f64 v[181:182], v[181:182], v[185:186], v[183:184]
	v_div_scale_f64 v[183:184], null, v[181:182], v[181:182], 1.0
	v_rcp_f64_e32 v[187:188], v[183:184]
	v_fma_f64 v[189:190], -v[183:184], v[187:188], 1.0
	v_fma_f64 v[187:188], v[187:188], v[189:190], v[187:188]
	v_fma_f64 v[189:190], -v[183:184], v[187:188], 1.0
	v_fma_f64 v[187:188], v[187:188], v[189:190], v[187:188]
	v_div_scale_f64 v[189:190], vcc_lo, 1.0, v[181:182], 1.0
	v_mul_f64 v[191:192], v[189:190], v[187:188]
	v_fma_f64 v[183:184], -v[183:184], v[191:192], v[189:190]
	v_div_fmas_f64 v[183:184], v[183:184], v[187:188], v[191:192]
	v_div_fixup_f64 v[187:188], v[183:184], v[181:182], 1.0
                                        ; implicit-def: $vgpr181_vgpr182
	v_mul_f64 v[185:186], v[185:186], v[187:188]
	v_xor_b32_e32 v188, 0x80000000, v188
.LBB89_50:
	s_andn2_saveexec_b32 s1, s1
	s_cbranch_execz .LBB89_52
; %bb.51:
	v_div_scale_f64 v[185:186], null, v[181:182], v[181:182], v[183:184]
	v_div_scale_f64 v[191:192], vcc_lo, v[183:184], v[181:182], v[183:184]
	v_rcp_f64_e32 v[187:188], v[185:186]
	v_fma_f64 v[189:190], -v[185:186], v[187:188], 1.0
	v_fma_f64 v[187:188], v[187:188], v[189:190], v[187:188]
	v_fma_f64 v[189:190], -v[185:186], v[187:188], 1.0
	v_fma_f64 v[187:188], v[187:188], v[189:190], v[187:188]
	v_mul_f64 v[189:190], v[191:192], v[187:188]
	v_fma_f64 v[185:186], -v[185:186], v[189:190], v[191:192]
	v_div_fmas_f64 v[185:186], v[185:186], v[187:188], v[189:190]
	v_div_fixup_f64 v[187:188], v[185:186], v[181:182], v[183:184]
	v_fma_f64 v[181:182], v[183:184], v[187:188], v[181:182]
	v_div_scale_f64 v[183:184], null, v[181:182], v[181:182], 1.0
	v_rcp_f64_e32 v[185:186], v[183:184]
	v_fma_f64 v[189:190], -v[183:184], v[185:186], 1.0
	v_fma_f64 v[185:186], v[185:186], v[189:190], v[185:186]
	v_fma_f64 v[189:190], -v[183:184], v[185:186], 1.0
	v_fma_f64 v[185:186], v[185:186], v[189:190], v[185:186]
	v_div_scale_f64 v[189:190], vcc_lo, 1.0, v[181:182], 1.0
	v_mul_f64 v[191:192], v[189:190], v[185:186]
	v_fma_f64 v[183:184], -v[183:184], v[191:192], v[189:190]
	v_div_fmas_f64 v[183:184], v[183:184], v[185:186], v[191:192]
	v_div_fixup_f64 v[185:186], v[183:184], v[181:182], 1.0
	v_mul_f64 v[187:188], v[187:188], -v[185:186]
.LBB89_52:
	s_or_b32 exec_lo, exec_lo, s1
	ds_write2_b64 v255, v[185:186], v[187:188] offset1:1
.LBB89_53:
	s_or_b32 exec_lo, exec_lo, s2
	s_waitcnt lgkmcnt(0)
	s_barrier
	buffer_gl0_inv
	ds_read2_b64 v[181:184], v255 offset1:1
	s_mov_b32 s1, exec_lo
	s_waitcnt lgkmcnt(0)
	buffer_store_dword v181, off, s[16:19], 0 offset:320 ; 4-byte Folded Spill
	buffer_store_dword v182, off, s[16:19], 0 offset:324 ; 4-byte Folded Spill
	;; [unrolled: 1-line block ×4, first 2 shown]
	v_cmpx_lt_u32_e32 5, v0
	s_cbranch_execz .LBB89_55
; %bb.54:
	s_clause 0x3
	buffer_load_dword v183, off, s[16:19], 0 offset:320
	buffer_load_dword v184, off, s[16:19], 0 offset:324
	;; [unrolled: 1-line block ×4, first 2 shown]
	s_waitcnt vmcnt(0)
	v_mul_f64 v[181:182], v[185:186], v[159:160]
	v_mul_f64 v[159:160], v[183:184], v[159:160]
	v_fma_f64 v[181:182], v[183:184], v[157:158], -v[181:182]
	v_fma_f64 v[159:160], v[185:186], v[157:158], v[159:160]
	ds_read2_b64 v[183:186], v253 offset0:12 offset1:13
	s_waitcnt lgkmcnt(0)
	v_mul_f64 v[157:158], v[185:186], v[159:160]
	v_fma_f64 v[157:158], v[183:184], v[181:182], -v[157:158]
	v_mul_f64 v[183:184], v[183:184], v[159:160]
	v_add_f64 v[153:154], v[153:154], -v[157:158]
	v_fma_f64 v[183:184], v[185:186], v[181:182], v[183:184]
	v_add_f64 v[155:156], v[155:156], -v[183:184]
	ds_read2_b64 v[183:186], v253 offset0:14 offset1:15
	s_waitcnt lgkmcnt(0)
	v_mul_f64 v[157:158], v[185:186], v[159:160]
	v_fma_f64 v[157:158], v[183:184], v[181:182], -v[157:158]
	v_mul_f64 v[183:184], v[183:184], v[159:160]
	v_add_f64 v[149:150], v[149:150], -v[157:158]
	v_fma_f64 v[183:184], v[185:186], v[181:182], v[183:184]
	v_add_f64 v[151:152], v[151:152], -v[183:184]
	ds_read2_b64 v[183:186], v253 offset0:16 offset1:17
	s_waitcnt lgkmcnt(0)
	v_mul_f64 v[157:158], v[185:186], v[159:160]
	v_fma_f64 v[157:158], v[183:184], v[181:182], -v[157:158]
	v_mul_f64 v[183:184], v[183:184], v[159:160]
	v_add_f64 v[145:146], v[145:146], -v[157:158]
	v_fma_f64 v[183:184], v[185:186], v[181:182], v[183:184]
	v_add_f64 v[147:148], v[147:148], -v[183:184]
	ds_read2_b64 v[183:186], v253 offset0:18 offset1:19
	s_waitcnt lgkmcnt(0)
	v_mul_f64 v[157:158], v[185:186], v[159:160]
	v_fma_f64 v[157:158], v[183:184], v[181:182], -v[157:158]
	v_mul_f64 v[183:184], v[183:184], v[159:160]
	v_add_f64 v[141:142], v[141:142], -v[157:158]
	v_fma_f64 v[183:184], v[185:186], v[181:182], v[183:184]
	v_add_f64 v[143:144], v[143:144], -v[183:184]
	ds_read2_b64 v[183:186], v253 offset0:20 offset1:21
	s_waitcnt lgkmcnt(0)
	v_mul_f64 v[157:158], v[185:186], v[159:160]
	v_fma_f64 v[157:158], v[183:184], v[181:182], -v[157:158]
	v_mul_f64 v[183:184], v[183:184], v[159:160]
	v_add_f64 v[137:138], v[137:138], -v[157:158]
	v_fma_f64 v[183:184], v[185:186], v[181:182], v[183:184]
	v_add_f64 v[139:140], v[139:140], -v[183:184]
	ds_read2_b64 v[183:186], v253 offset0:22 offset1:23
	s_waitcnt lgkmcnt(0)
	v_mul_f64 v[157:158], v[185:186], v[159:160]
	v_fma_f64 v[157:158], v[183:184], v[181:182], -v[157:158]
	v_mul_f64 v[183:184], v[183:184], v[159:160]
	v_add_f64 v[133:134], v[133:134], -v[157:158]
	v_fma_f64 v[183:184], v[185:186], v[181:182], v[183:184]
	v_add_f64 v[135:136], v[135:136], -v[183:184]
	ds_read2_b64 v[183:186], v253 offset0:24 offset1:25
	s_waitcnt lgkmcnt(0)
	v_mul_f64 v[157:158], v[185:186], v[159:160]
	v_fma_f64 v[157:158], v[183:184], v[181:182], -v[157:158]
	v_mul_f64 v[183:184], v[183:184], v[159:160]
	v_add_f64 v[129:130], v[129:130], -v[157:158]
	v_fma_f64 v[183:184], v[185:186], v[181:182], v[183:184]
	v_add_f64 v[131:132], v[131:132], -v[183:184]
	ds_read2_b64 v[183:186], v253 offset0:26 offset1:27
	s_waitcnt lgkmcnt(0)
	v_mul_f64 v[157:158], v[185:186], v[159:160]
	v_fma_f64 v[157:158], v[183:184], v[181:182], -v[157:158]
	v_mul_f64 v[183:184], v[183:184], v[159:160]
	v_add_f64 v[125:126], v[125:126], -v[157:158]
	v_fma_f64 v[183:184], v[185:186], v[181:182], v[183:184]
	v_add_f64 v[127:128], v[127:128], -v[183:184]
	ds_read2_b64 v[183:186], v253 offset0:28 offset1:29
	s_waitcnt lgkmcnt(0)
	v_mul_f64 v[157:158], v[185:186], v[159:160]
	v_fma_f64 v[157:158], v[183:184], v[181:182], -v[157:158]
	v_mul_f64 v[183:184], v[183:184], v[159:160]
	v_add_f64 v[121:122], v[121:122], -v[157:158]
	v_fma_f64 v[183:184], v[185:186], v[181:182], v[183:184]
	v_add_f64 v[123:124], v[123:124], -v[183:184]
	ds_read2_b64 v[183:186], v253 offset0:30 offset1:31
	s_waitcnt lgkmcnt(0)
	v_mul_f64 v[157:158], v[185:186], v[159:160]
	v_fma_f64 v[157:158], v[183:184], v[181:182], -v[157:158]
	v_mul_f64 v[183:184], v[183:184], v[159:160]
	v_add_f64 v[117:118], v[117:118], -v[157:158]
	v_fma_f64 v[183:184], v[185:186], v[181:182], v[183:184]
	v_add_f64 v[119:120], v[119:120], -v[183:184]
	ds_read2_b64 v[183:186], v253 offset0:32 offset1:33
	s_waitcnt lgkmcnt(0)
	v_mul_f64 v[157:158], v[185:186], v[159:160]
	v_fma_f64 v[157:158], v[183:184], v[181:182], -v[157:158]
	v_mul_f64 v[183:184], v[183:184], v[159:160]
	v_add_f64 v[113:114], v[113:114], -v[157:158]
	v_fma_f64 v[183:184], v[185:186], v[181:182], v[183:184]
	v_add_f64 v[115:116], v[115:116], -v[183:184]
	ds_read2_b64 v[183:186], v253 offset0:34 offset1:35
	s_waitcnt lgkmcnt(0)
	v_mul_f64 v[157:158], v[185:186], v[159:160]
	v_fma_f64 v[157:158], v[183:184], v[181:182], -v[157:158]
	v_mul_f64 v[183:184], v[183:184], v[159:160]
	v_add_f64 v[109:110], v[109:110], -v[157:158]
	v_fma_f64 v[183:184], v[185:186], v[181:182], v[183:184]
	v_add_f64 v[111:112], v[111:112], -v[183:184]
	ds_read2_b64 v[183:186], v253 offset0:36 offset1:37
	s_waitcnt lgkmcnt(0)
	v_mul_f64 v[157:158], v[185:186], v[159:160]
	v_fma_f64 v[157:158], v[183:184], v[181:182], -v[157:158]
	v_mul_f64 v[183:184], v[183:184], v[159:160]
	v_add_f64 v[105:106], v[105:106], -v[157:158]
	v_fma_f64 v[183:184], v[185:186], v[181:182], v[183:184]
	v_add_f64 v[107:108], v[107:108], -v[183:184]
	ds_read2_b64 v[183:186], v253 offset0:38 offset1:39
	s_waitcnt lgkmcnt(0)
	v_mul_f64 v[157:158], v[185:186], v[159:160]
	v_fma_f64 v[157:158], v[183:184], v[181:182], -v[157:158]
	v_mul_f64 v[183:184], v[183:184], v[159:160]
	v_add_f64 v[101:102], v[101:102], -v[157:158]
	v_fma_f64 v[183:184], v[185:186], v[181:182], v[183:184]
	v_add_f64 v[103:104], v[103:104], -v[183:184]
	ds_read2_b64 v[183:186], v253 offset0:40 offset1:41
	s_waitcnt lgkmcnt(0)
	v_mul_f64 v[157:158], v[185:186], v[159:160]
	v_fma_f64 v[157:158], v[183:184], v[181:182], -v[157:158]
	v_mul_f64 v[183:184], v[183:184], v[159:160]
	v_add_f64 v[97:98], v[97:98], -v[157:158]
	v_fma_f64 v[183:184], v[185:186], v[181:182], v[183:184]
	v_add_f64 v[99:100], v[99:100], -v[183:184]
	ds_read2_b64 v[183:186], v253 offset0:42 offset1:43
	s_waitcnt lgkmcnt(0)
	v_mul_f64 v[157:158], v[185:186], v[159:160]
	v_fma_f64 v[157:158], v[183:184], v[181:182], -v[157:158]
	v_mul_f64 v[183:184], v[183:184], v[159:160]
	v_add_f64 v[93:94], v[93:94], -v[157:158]
	v_fma_f64 v[183:184], v[185:186], v[181:182], v[183:184]
	v_add_f64 v[95:96], v[95:96], -v[183:184]
	ds_read2_b64 v[183:186], v253 offset0:44 offset1:45
	s_waitcnt lgkmcnt(0)
	v_mul_f64 v[157:158], v[185:186], v[159:160]
	v_fma_f64 v[157:158], v[183:184], v[181:182], -v[157:158]
	v_mul_f64 v[183:184], v[183:184], v[159:160]
	v_add_f64 v[89:90], v[89:90], -v[157:158]
	v_fma_f64 v[183:184], v[185:186], v[181:182], v[183:184]
	v_add_f64 v[91:92], v[91:92], -v[183:184]
	ds_read2_b64 v[183:186], v253 offset0:46 offset1:47
	s_waitcnt lgkmcnt(0)
	v_mul_f64 v[157:158], v[185:186], v[159:160]
	v_fma_f64 v[157:158], v[183:184], v[181:182], -v[157:158]
	v_mul_f64 v[183:184], v[183:184], v[159:160]
	v_add_f64 v[85:86], v[85:86], -v[157:158]
	v_fma_f64 v[183:184], v[185:186], v[181:182], v[183:184]
	v_add_f64 v[87:88], v[87:88], -v[183:184]
	ds_read2_b64 v[183:186], v253 offset0:48 offset1:49
	s_waitcnt lgkmcnt(0)
	v_mul_f64 v[157:158], v[185:186], v[159:160]
	v_fma_f64 v[157:158], v[183:184], v[181:182], -v[157:158]
	v_mul_f64 v[183:184], v[183:184], v[159:160]
	v_add_f64 v[81:82], v[81:82], -v[157:158]
	v_fma_f64 v[183:184], v[185:186], v[181:182], v[183:184]
	v_add_f64 v[83:84], v[83:84], -v[183:184]
	ds_read2_b64 v[183:186], v253 offset0:50 offset1:51
	s_waitcnt lgkmcnt(0)
	v_mul_f64 v[157:158], v[185:186], v[159:160]
	v_fma_f64 v[157:158], v[183:184], v[181:182], -v[157:158]
	v_mul_f64 v[183:184], v[183:184], v[159:160]
	v_add_f64 v[77:78], v[77:78], -v[157:158]
	v_fma_f64 v[183:184], v[185:186], v[181:182], v[183:184]
	v_add_f64 v[79:80], v[79:80], -v[183:184]
	ds_read2_b64 v[183:186], v253 offset0:52 offset1:53
	s_waitcnt lgkmcnt(0)
	v_mul_f64 v[157:158], v[185:186], v[159:160]
	v_fma_f64 v[157:158], v[183:184], v[181:182], -v[157:158]
	v_mul_f64 v[183:184], v[183:184], v[159:160]
	v_add_f64 v[73:74], v[73:74], -v[157:158]
	v_fma_f64 v[183:184], v[185:186], v[181:182], v[183:184]
	v_add_f64 v[75:76], v[75:76], -v[183:184]
	ds_read2_b64 v[183:186], v253 offset0:54 offset1:55
	s_waitcnt lgkmcnt(0)
	v_mul_f64 v[157:158], v[185:186], v[159:160]
	v_fma_f64 v[157:158], v[183:184], v[181:182], -v[157:158]
	v_mul_f64 v[183:184], v[183:184], v[159:160]
	v_add_f64 v[69:70], v[69:70], -v[157:158]
	v_fma_f64 v[183:184], v[185:186], v[181:182], v[183:184]
	v_add_f64 v[71:72], v[71:72], -v[183:184]
	ds_read2_b64 v[183:186], v253 offset0:56 offset1:57
	s_waitcnt lgkmcnt(0)
	v_mul_f64 v[157:158], v[185:186], v[159:160]
	v_fma_f64 v[157:158], v[183:184], v[181:182], -v[157:158]
	v_mul_f64 v[183:184], v[183:184], v[159:160]
	v_add_f64 v[65:66], v[65:66], -v[157:158]
	v_fma_f64 v[183:184], v[185:186], v[181:182], v[183:184]
	v_add_f64 v[67:68], v[67:68], -v[183:184]
	ds_read2_b64 v[183:186], v253 offset0:58 offset1:59
	s_waitcnt lgkmcnt(0)
	v_mul_f64 v[157:158], v[185:186], v[159:160]
	v_fma_f64 v[157:158], v[183:184], v[181:182], -v[157:158]
	v_mul_f64 v[183:184], v[183:184], v[159:160]
	v_add_f64 v[61:62], v[61:62], -v[157:158]
	v_fma_f64 v[183:184], v[185:186], v[181:182], v[183:184]
	v_add_f64 v[63:64], v[63:64], -v[183:184]
	ds_read2_b64 v[183:186], v253 offset0:60 offset1:61
	s_waitcnt lgkmcnt(0)
	v_mul_f64 v[157:158], v[185:186], v[159:160]
	v_fma_f64 v[157:158], v[183:184], v[181:182], -v[157:158]
	v_mul_f64 v[183:184], v[183:184], v[159:160]
	v_add_f64 v[57:58], v[57:58], -v[157:158]
	v_fma_f64 v[183:184], v[185:186], v[181:182], v[183:184]
	v_add_f64 v[59:60], v[59:60], -v[183:184]
	ds_read2_b64 v[183:186], v253 offset0:62 offset1:63
	s_waitcnt lgkmcnt(0)
	v_mul_f64 v[157:158], v[185:186], v[159:160]
	v_fma_f64 v[157:158], v[183:184], v[181:182], -v[157:158]
	v_mul_f64 v[183:184], v[183:184], v[159:160]
	v_add_f64 v[53:54], v[53:54], -v[157:158]
	v_fma_f64 v[183:184], v[185:186], v[181:182], v[183:184]
	v_add_f64 v[55:56], v[55:56], -v[183:184]
	ds_read2_b64 v[183:186], v253 offset0:64 offset1:65
	s_waitcnt lgkmcnt(0)
	v_mul_f64 v[157:158], v[185:186], v[159:160]
	v_fma_f64 v[157:158], v[183:184], v[181:182], -v[157:158]
	v_mul_f64 v[183:184], v[183:184], v[159:160]
	v_add_f64 v[49:50], v[49:50], -v[157:158]
	v_fma_f64 v[183:184], v[185:186], v[181:182], v[183:184]
	v_add_f64 v[51:52], v[51:52], -v[183:184]
	ds_read2_b64 v[183:186], v253 offset0:66 offset1:67
	s_waitcnt lgkmcnt(0)
	v_mul_f64 v[157:158], v[185:186], v[159:160]
	v_fma_f64 v[157:158], v[183:184], v[181:182], -v[157:158]
	v_mul_f64 v[183:184], v[183:184], v[159:160]
	v_add_f64 v[45:46], v[45:46], -v[157:158]
	v_fma_f64 v[183:184], v[185:186], v[181:182], v[183:184]
	v_add_f64 v[47:48], v[47:48], -v[183:184]
	ds_read2_b64 v[183:186], v253 offset0:68 offset1:69
	s_waitcnt lgkmcnt(0)
	v_mul_f64 v[157:158], v[185:186], v[159:160]
	v_fma_f64 v[157:158], v[183:184], v[181:182], -v[157:158]
	v_mul_f64 v[183:184], v[183:184], v[159:160]
	v_add_f64 v[41:42], v[41:42], -v[157:158]
	v_fma_f64 v[183:184], v[185:186], v[181:182], v[183:184]
	v_add_f64 v[43:44], v[43:44], -v[183:184]
	ds_read2_b64 v[183:186], v253 offset0:70 offset1:71
	s_waitcnt lgkmcnt(0)
	v_mul_f64 v[157:158], v[185:186], v[159:160]
	v_fma_f64 v[157:158], v[183:184], v[181:182], -v[157:158]
	v_mul_f64 v[183:184], v[183:184], v[159:160]
	v_add_f64 v[37:38], v[37:38], -v[157:158]
	v_fma_f64 v[183:184], v[185:186], v[181:182], v[183:184]
	v_add_f64 v[39:40], v[39:40], -v[183:184]
	ds_read2_b64 v[183:186], v253 offset0:72 offset1:73
	s_waitcnt lgkmcnt(0)
	v_mul_f64 v[157:158], v[185:186], v[159:160]
	v_fma_f64 v[157:158], v[183:184], v[181:182], -v[157:158]
	v_mul_f64 v[183:184], v[183:184], v[159:160]
	v_add_f64 v[33:34], v[33:34], -v[157:158]
	v_fma_f64 v[183:184], v[185:186], v[181:182], v[183:184]
	v_add_f64 v[35:36], v[35:36], -v[183:184]
	ds_read2_b64 v[183:186], v253 offset0:74 offset1:75
	s_waitcnt lgkmcnt(0)
	v_mul_f64 v[157:158], v[185:186], v[159:160]
	v_fma_f64 v[157:158], v[183:184], v[181:182], -v[157:158]
	v_mul_f64 v[183:184], v[183:184], v[159:160]
	v_add_f64 v[29:30], v[29:30], -v[157:158]
	v_fma_f64 v[183:184], v[185:186], v[181:182], v[183:184]
	v_add_f64 v[31:32], v[31:32], -v[183:184]
	ds_read2_b64 v[183:186], v253 offset0:76 offset1:77
	s_waitcnt lgkmcnt(0)
	v_mul_f64 v[157:158], v[185:186], v[159:160]
	v_fma_f64 v[157:158], v[183:184], v[181:182], -v[157:158]
	v_mul_f64 v[183:184], v[183:184], v[159:160]
	v_add_f64 v[25:26], v[25:26], -v[157:158]
	v_fma_f64 v[183:184], v[185:186], v[181:182], v[183:184]
	v_add_f64 v[27:28], v[27:28], -v[183:184]
	ds_read2_b64 v[183:186], v253 offset0:78 offset1:79
	s_waitcnt lgkmcnt(0)
	v_mul_f64 v[157:158], v[185:186], v[159:160]
	v_fma_f64 v[157:158], v[183:184], v[181:182], -v[157:158]
	v_mul_f64 v[183:184], v[183:184], v[159:160]
	v_add_f64 v[21:22], v[21:22], -v[157:158]
	v_fma_f64 v[183:184], v[185:186], v[181:182], v[183:184]
	v_add_f64 v[23:24], v[23:24], -v[183:184]
	ds_read2_b64 v[183:186], v253 offset0:80 offset1:81
	s_waitcnt lgkmcnt(0)
	v_mul_f64 v[157:158], v[185:186], v[159:160]
	v_fma_f64 v[157:158], v[183:184], v[181:182], -v[157:158]
	v_mul_f64 v[183:184], v[183:184], v[159:160]
	v_add_f64 v[17:18], v[17:18], -v[157:158]
	v_fma_f64 v[183:184], v[185:186], v[181:182], v[183:184]
	v_add_f64 v[19:20], v[19:20], -v[183:184]
	ds_read2_b64 v[183:186], v253 offset0:82 offset1:83
	s_waitcnt lgkmcnt(0)
	v_mul_f64 v[157:158], v[185:186], v[159:160]
	v_fma_f64 v[157:158], v[183:184], v[181:182], -v[157:158]
	v_mul_f64 v[183:184], v[183:184], v[159:160]
	v_add_f64 v[13:14], v[13:14], -v[157:158]
	v_fma_f64 v[183:184], v[185:186], v[181:182], v[183:184]
	v_add_f64 v[15:16], v[15:16], -v[183:184]
	ds_read2_b64 v[183:186], v253 offset0:84 offset1:85
	s_waitcnt lgkmcnt(0)
	v_mul_f64 v[157:158], v[185:186], v[159:160]
	v_fma_f64 v[157:158], v[183:184], v[181:182], -v[157:158]
	v_mul_f64 v[183:184], v[183:184], v[159:160]
	v_add_f64 v[9:10], v[9:10], -v[157:158]
	v_fma_f64 v[183:184], v[185:186], v[181:182], v[183:184]
	v_add_f64 v[11:12], v[11:12], -v[183:184]
	ds_read2_b64 v[183:186], v253 offset0:86 offset1:87
	s_waitcnt lgkmcnt(0)
	v_mul_f64 v[157:158], v[185:186], v[159:160]
	v_fma_f64 v[157:158], v[183:184], v[181:182], -v[157:158]
	v_mul_f64 v[183:184], v[183:184], v[159:160]
	v_add_f64 v[5:6], v[5:6], -v[157:158]
	v_fma_f64 v[183:184], v[185:186], v[181:182], v[183:184]
	v_add_f64 v[7:8], v[7:8], -v[183:184]
	ds_read2_b64 v[183:186], v253 offset0:88 offset1:89
	s_waitcnt lgkmcnt(0)
	v_mul_f64 v[157:158], v[185:186], v[159:160]
	v_fma_f64 v[157:158], v[183:184], v[181:182], -v[157:158]
	v_mul_f64 v[183:184], v[183:184], v[159:160]
	v_add_f64 v[1:2], v[1:2], -v[157:158]
	v_fma_f64 v[183:184], v[185:186], v[181:182], v[183:184]
	v_mov_b32_e32 v157, v181
	v_mov_b32_e32 v158, v182
	v_add_f64 v[3:4], v[3:4], -v[183:184]
.LBB89_55:
	s_or_b32 exec_lo, exec_lo, s1
	s_mov_b32 s2, exec_lo
	s_waitcnt_vscnt null, 0x0
	s_barrier
	buffer_gl0_inv
	v_cmpx_eq_u32_e32 6, v0
	s_cbranch_execz .LBB89_62
; %bb.56:
	ds_write2_b64 v255, v[153:154], v[155:156] offset1:1
	ds_write2_b64 v253, v[149:150], v[151:152] offset0:14 offset1:15
	ds_write2_b64 v253, v[145:146], v[147:148] offset0:16 offset1:17
	;; [unrolled: 1-line block ×38, first 2 shown]
	ds_read2_b64 v[181:184], v255 offset1:1
	s_waitcnt lgkmcnt(0)
	v_cmp_neq_f64_e32 vcc_lo, 0, v[181:182]
	v_cmp_neq_f64_e64 s1, 0, v[183:184]
	s_or_b32 s1, vcc_lo, s1
	s_and_b32 exec_lo, exec_lo, s1
	s_cbranch_execz .LBB89_62
; %bb.57:
	v_cmp_ngt_f64_e64 s1, |v[181:182]|, |v[183:184]|
                                        ; implicit-def: $vgpr185_vgpr186
	s_and_saveexec_b32 s3, s1
	s_xor_b32 s1, exec_lo, s3
                                        ; implicit-def: $vgpr187_vgpr188
	s_cbranch_execz .LBB89_59
; %bb.58:
	v_div_scale_f64 v[185:186], null, v[183:184], v[183:184], v[181:182]
	v_div_scale_f64 v[191:192], vcc_lo, v[181:182], v[183:184], v[181:182]
	v_rcp_f64_e32 v[187:188], v[185:186]
	v_fma_f64 v[189:190], -v[185:186], v[187:188], 1.0
	v_fma_f64 v[187:188], v[187:188], v[189:190], v[187:188]
	v_fma_f64 v[189:190], -v[185:186], v[187:188], 1.0
	v_fma_f64 v[187:188], v[187:188], v[189:190], v[187:188]
	v_mul_f64 v[189:190], v[191:192], v[187:188]
	v_fma_f64 v[185:186], -v[185:186], v[189:190], v[191:192]
	v_div_fmas_f64 v[185:186], v[185:186], v[187:188], v[189:190]
	v_div_fixup_f64 v[185:186], v[185:186], v[183:184], v[181:182]
	v_fma_f64 v[181:182], v[181:182], v[185:186], v[183:184]
	v_div_scale_f64 v[183:184], null, v[181:182], v[181:182], 1.0
	v_rcp_f64_e32 v[187:188], v[183:184]
	v_fma_f64 v[189:190], -v[183:184], v[187:188], 1.0
	v_fma_f64 v[187:188], v[187:188], v[189:190], v[187:188]
	v_fma_f64 v[189:190], -v[183:184], v[187:188], 1.0
	v_fma_f64 v[187:188], v[187:188], v[189:190], v[187:188]
	v_div_scale_f64 v[189:190], vcc_lo, 1.0, v[181:182], 1.0
	v_mul_f64 v[191:192], v[189:190], v[187:188]
	v_fma_f64 v[183:184], -v[183:184], v[191:192], v[189:190]
	v_div_fmas_f64 v[183:184], v[183:184], v[187:188], v[191:192]
	v_div_fixup_f64 v[187:188], v[183:184], v[181:182], 1.0
                                        ; implicit-def: $vgpr181_vgpr182
	v_mul_f64 v[185:186], v[185:186], v[187:188]
	v_xor_b32_e32 v188, 0x80000000, v188
.LBB89_59:
	s_andn2_saveexec_b32 s1, s1
	s_cbranch_execz .LBB89_61
; %bb.60:
	v_div_scale_f64 v[185:186], null, v[181:182], v[181:182], v[183:184]
	v_div_scale_f64 v[191:192], vcc_lo, v[183:184], v[181:182], v[183:184]
	v_rcp_f64_e32 v[187:188], v[185:186]
	v_fma_f64 v[189:190], -v[185:186], v[187:188], 1.0
	v_fma_f64 v[187:188], v[187:188], v[189:190], v[187:188]
	v_fma_f64 v[189:190], -v[185:186], v[187:188], 1.0
	v_fma_f64 v[187:188], v[187:188], v[189:190], v[187:188]
	v_mul_f64 v[189:190], v[191:192], v[187:188]
	v_fma_f64 v[185:186], -v[185:186], v[189:190], v[191:192]
	v_div_fmas_f64 v[185:186], v[185:186], v[187:188], v[189:190]
	v_div_fixup_f64 v[187:188], v[185:186], v[181:182], v[183:184]
	v_fma_f64 v[181:182], v[183:184], v[187:188], v[181:182]
	v_div_scale_f64 v[183:184], null, v[181:182], v[181:182], 1.0
	v_rcp_f64_e32 v[185:186], v[183:184]
	v_fma_f64 v[189:190], -v[183:184], v[185:186], 1.0
	v_fma_f64 v[185:186], v[185:186], v[189:190], v[185:186]
	v_fma_f64 v[189:190], -v[183:184], v[185:186], 1.0
	v_fma_f64 v[185:186], v[185:186], v[189:190], v[185:186]
	v_div_scale_f64 v[189:190], vcc_lo, 1.0, v[181:182], 1.0
	v_mul_f64 v[191:192], v[189:190], v[185:186]
	v_fma_f64 v[183:184], -v[183:184], v[191:192], v[189:190]
	v_div_fmas_f64 v[183:184], v[183:184], v[185:186], v[191:192]
	v_div_fixup_f64 v[185:186], v[183:184], v[181:182], 1.0
	v_mul_f64 v[187:188], v[187:188], -v[185:186]
.LBB89_61:
	s_or_b32 exec_lo, exec_lo, s1
	ds_write2_b64 v255, v[185:186], v[187:188] offset1:1
.LBB89_62:
	s_or_b32 exec_lo, exec_lo, s2
	s_waitcnt lgkmcnt(0)
	s_barrier
	buffer_gl0_inv
	ds_read2_b64 v[181:184], v255 offset1:1
	s_mov_b32 s1, exec_lo
	s_waitcnt lgkmcnt(0)
	buffer_store_dword v181, off, s[16:19], 0 offset:336 ; 4-byte Folded Spill
	buffer_store_dword v182, off, s[16:19], 0 offset:340 ; 4-byte Folded Spill
	;; [unrolled: 1-line block ×4, first 2 shown]
	v_cmpx_lt_u32_e32 6, v0
	s_cbranch_execz .LBB89_64
; %bb.63:
	s_clause 0x3
	buffer_load_dword v183, off, s[16:19], 0 offset:336
	buffer_load_dword v184, off, s[16:19], 0 offset:340
	;; [unrolled: 1-line block ×4, first 2 shown]
	s_waitcnt vmcnt(0)
	v_mul_f64 v[181:182], v[185:186], v[155:156]
	v_mul_f64 v[155:156], v[183:184], v[155:156]
	v_fma_f64 v[181:182], v[183:184], v[153:154], -v[181:182]
	v_fma_f64 v[155:156], v[185:186], v[153:154], v[155:156]
	ds_read2_b64 v[183:186], v253 offset0:14 offset1:15
	s_waitcnt lgkmcnt(0)
	v_mul_f64 v[153:154], v[185:186], v[155:156]
	v_fma_f64 v[153:154], v[183:184], v[181:182], -v[153:154]
	v_mul_f64 v[183:184], v[183:184], v[155:156]
	v_add_f64 v[149:150], v[149:150], -v[153:154]
	v_fma_f64 v[183:184], v[185:186], v[181:182], v[183:184]
	v_add_f64 v[151:152], v[151:152], -v[183:184]
	ds_read2_b64 v[183:186], v253 offset0:16 offset1:17
	s_waitcnt lgkmcnt(0)
	v_mul_f64 v[153:154], v[185:186], v[155:156]
	v_fma_f64 v[153:154], v[183:184], v[181:182], -v[153:154]
	v_mul_f64 v[183:184], v[183:184], v[155:156]
	v_add_f64 v[145:146], v[145:146], -v[153:154]
	v_fma_f64 v[183:184], v[185:186], v[181:182], v[183:184]
	v_add_f64 v[147:148], v[147:148], -v[183:184]
	;; [unrolled: 8-line block ×37, first 2 shown]
	ds_read2_b64 v[183:186], v253 offset0:88 offset1:89
	s_waitcnt lgkmcnt(0)
	v_mul_f64 v[153:154], v[185:186], v[155:156]
	v_fma_f64 v[153:154], v[183:184], v[181:182], -v[153:154]
	v_mul_f64 v[183:184], v[183:184], v[155:156]
	v_add_f64 v[1:2], v[1:2], -v[153:154]
	v_fma_f64 v[183:184], v[185:186], v[181:182], v[183:184]
	v_mov_b32_e32 v153, v181
	v_mov_b32_e32 v154, v182
	v_add_f64 v[3:4], v[3:4], -v[183:184]
.LBB89_64:
	s_or_b32 exec_lo, exec_lo, s1
	s_mov_b32 s2, exec_lo
	s_waitcnt_vscnt null, 0x0
	s_barrier
	buffer_gl0_inv
	v_cmpx_eq_u32_e32 7, v0
	s_cbranch_execz .LBB89_71
; %bb.65:
	ds_write2_b64 v255, v[149:150], v[151:152] offset1:1
	ds_write2_b64 v253, v[145:146], v[147:148] offset0:16 offset1:17
	ds_write2_b64 v253, v[141:142], v[143:144] offset0:18 offset1:19
	;; [unrolled: 1-line block ×37, first 2 shown]
	ds_read2_b64 v[181:184], v255 offset1:1
	s_waitcnt lgkmcnt(0)
	v_cmp_neq_f64_e32 vcc_lo, 0, v[181:182]
	v_cmp_neq_f64_e64 s1, 0, v[183:184]
	s_or_b32 s1, vcc_lo, s1
	s_and_b32 exec_lo, exec_lo, s1
	s_cbranch_execz .LBB89_71
; %bb.66:
	v_cmp_ngt_f64_e64 s1, |v[181:182]|, |v[183:184]|
                                        ; implicit-def: $vgpr185_vgpr186
	s_and_saveexec_b32 s3, s1
	s_xor_b32 s1, exec_lo, s3
                                        ; implicit-def: $vgpr187_vgpr188
	s_cbranch_execz .LBB89_68
; %bb.67:
	v_div_scale_f64 v[185:186], null, v[183:184], v[183:184], v[181:182]
	v_div_scale_f64 v[191:192], vcc_lo, v[181:182], v[183:184], v[181:182]
	v_rcp_f64_e32 v[187:188], v[185:186]
	v_fma_f64 v[189:190], -v[185:186], v[187:188], 1.0
	v_fma_f64 v[187:188], v[187:188], v[189:190], v[187:188]
	v_fma_f64 v[189:190], -v[185:186], v[187:188], 1.0
	v_fma_f64 v[187:188], v[187:188], v[189:190], v[187:188]
	v_mul_f64 v[189:190], v[191:192], v[187:188]
	v_fma_f64 v[185:186], -v[185:186], v[189:190], v[191:192]
	v_div_fmas_f64 v[185:186], v[185:186], v[187:188], v[189:190]
	v_div_fixup_f64 v[185:186], v[185:186], v[183:184], v[181:182]
	v_fma_f64 v[181:182], v[181:182], v[185:186], v[183:184]
	v_div_scale_f64 v[183:184], null, v[181:182], v[181:182], 1.0
	v_rcp_f64_e32 v[187:188], v[183:184]
	v_fma_f64 v[189:190], -v[183:184], v[187:188], 1.0
	v_fma_f64 v[187:188], v[187:188], v[189:190], v[187:188]
	v_fma_f64 v[189:190], -v[183:184], v[187:188], 1.0
	v_fma_f64 v[187:188], v[187:188], v[189:190], v[187:188]
	v_div_scale_f64 v[189:190], vcc_lo, 1.0, v[181:182], 1.0
	v_mul_f64 v[191:192], v[189:190], v[187:188]
	v_fma_f64 v[183:184], -v[183:184], v[191:192], v[189:190]
	v_div_fmas_f64 v[183:184], v[183:184], v[187:188], v[191:192]
	v_div_fixup_f64 v[187:188], v[183:184], v[181:182], 1.0
                                        ; implicit-def: $vgpr181_vgpr182
	v_mul_f64 v[185:186], v[185:186], v[187:188]
	v_xor_b32_e32 v188, 0x80000000, v188
.LBB89_68:
	s_andn2_saveexec_b32 s1, s1
	s_cbranch_execz .LBB89_70
; %bb.69:
	v_div_scale_f64 v[185:186], null, v[181:182], v[181:182], v[183:184]
	v_div_scale_f64 v[191:192], vcc_lo, v[183:184], v[181:182], v[183:184]
	v_rcp_f64_e32 v[187:188], v[185:186]
	v_fma_f64 v[189:190], -v[185:186], v[187:188], 1.0
	v_fma_f64 v[187:188], v[187:188], v[189:190], v[187:188]
	v_fma_f64 v[189:190], -v[185:186], v[187:188], 1.0
	v_fma_f64 v[187:188], v[187:188], v[189:190], v[187:188]
	v_mul_f64 v[189:190], v[191:192], v[187:188]
	v_fma_f64 v[185:186], -v[185:186], v[189:190], v[191:192]
	v_div_fmas_f64 v[185:186], v[185:186], v[187:188], v[189:190]
	v_div_fixup_f64 v[187:188], v[185:186], v[181:182], v[183:184]
	v_fma_f64 v[181:182], v[183:184], v[187:188], v[181:182]
	v_div_scale_f64 v[183:184], null, v[181:182], v[181:182], 1.0
	v_rcp_f64_e32 v[185:186], v[183:184]
	v_fma_f64 v[189:190], -v[183:184], v[185:186], 1.0
	v_fma_f64 v[185:186], v[185:186], v[189:190], v[185:186]
	v_fma_f64 v[189:190], -v[183:184], v[185:186], 1.0
	v_fma_f64 v[185:186], v[185:186], v[189:190], v[185:186]
	v_div_scale_f64 v[189:190], vcc_lo, 1.0, v[181:182], 1.0
	v_mul_f64 v[191:192], v[189:190], v[185:186]
	v_fma_f64 v[183:184], -v[183:184], v[191:192], v[189:190]
	v_div_fmas_f64 v[183:184], v[183:184], v[185:186], v[191:192]
	v_div_fixup_f64 v[185:186], v[183:184], v[181:182], 1.0
	v_mul_f64 v[187:188], v[187:188], -v[185:186]
.LBB89_70:
	s_or_b32 exec_lo, exec_lo, s1
	ds_write2_b64 v255, v[185:186], v[187:188] offset1:1
.LBB89_71:
	s_or_b32 exec_lo, exec_lo, s2
	s_waitcnt lgkmcnt(0)
	s_barrier
	buffer_gl0_inv
	ds_read2_b64 v[181:184], v255 offset1:1
	s_mov_b32 s1, exec_lo
	s_waitcnt lgkmcnt(0)
	buffer_store_dword v181, off, s[16:19], 0 offset:352 ; 4-byte Folded Spill
	buffer_store_dword v182, off, s[16:19], 0 offset:356 ; 4-byte Folded Spill
	;; [unrolled: 1-line block ×4, first 2 shown]
	v_cmpx_lt_u32_e32 7, v0
	s_cbranch_execz .LBB89_73
; %bb.72:
	s_clause 0x3
	buffer_load_dword v183, off, s[16:19], 0 offset:352
	buffer_load_dword v184, off, s[16:19], 0 offset:356
	;; [unrolled: 1-line block ×4, first 2 shown]
	s_waitcnt vmcnt(0)
	v_mul_f64 v[181:182], v[185:186], v[151:152]
	v_mul_f64 v[151:152], v[183:184], v[151:152]
	v_fma_f64 v[181:182], v[183:184], v[149:150], -v[181:182]
	v_fma_f64 v[151:152], v[185:186], v[149:150], v[151:152]
	ds_read2_b64 v[183:186], v253 offset0:16 offset1:17
	s_waitcnt lgkmcnt(0)
	v_mul_f64 v[149:150], v[185:186], v[151:152]
	v_fma_f64 v[149:150], v[183:184], v[181:182], -v[149:150]
	v_mul_f64 v[183:184], v[183:184], v[151:152]
	v_add_f64 v[145:146], v[145:146], -v[149:150]
	v_fma_f64 v[183:184], v[185:186], v[181:182], v[183:184]
	v_add_f64 v[147:148], v[147:148], -v[183:184]
	ds_read2_b64 v[183:186], v253 offset0:18 offset1:19
	s_waitcnt lgkmcnt(0)
	v_mul_f64 v[149:150], v[185:186], v[151:152]
	v_fma_f64 v[149:150], v[183:184], v[181:182], -v[149:150]
	v_mul_f64 v[183:184], v[183:184], v[151:152]
	v_add_f64 v[141:142], v[141:142], -v[149:150]
	v_fma_f64 v[183:184], v[185:186], v[181:182], v[183:184]
	v_add_f64 v[143:144], v[143:144], -v[183:184]
	ds_read2_b64 v[183:186], v253 offset0:20 offset1:21
	s_waitcnt lgkmcnt(0)
	v_mul_f64 v[149:150], v[185:186], v[151:152]
	v_fma_f64 v[149:150], v[183:184], v[181:182], -v[149:150]
	v_mul_f64 v[183:184], v[183:184], v[151:152]
	v_add_f64 v[137:138], v[137:138], -v[149:150]
	v_fma_f64 v[183:184], v[185:186], v[181:182], v[183:184]
	v_add_f64 v[139:140], v[139:140], -v[183:184]
	ds_read2_b64 v[183:186], v253 offset0:22 offset1:23
	s_waitcnt lgkmcnt(0)
	v_mul_f64 v[149:150], v[185:186], v[151:152]
	v_fma_f64 v[149:150], v[183:184], v[181:182], -v[149:150]
	v_mul_f64 v[183:184], v[183:184], v[151:152]
	v_add_f64 v[133:134], v[133:134], -v[149:150]
	v_fma_f64 v[183:184], v[185:186], v[181:182], v[183:184]
	v_add_f64 v[135:136], v[135:136], -v[183:184]
	ds_read2_b64 v[183:186], v253 offset0:24 offset1:25
	s_waitcnt lgkmcnt(0)
	v_mul_f64 v[149:150], v[185:186], v[151:152]
	v_fma_f64 v[149:150], v[183:184], v[181:182], -v[149:150]
	v_mul_f64 v[183:184], v[183:184], v[151:152]
	v_add_f64 v[129:130], v[129:130], -v[149:150]
	v_fma_f64 v[183:184], v[185:186], v[181:182], v[183:184]
	v_add_f64 v[131:132], v[131:132], -v[183:184]
	ds_read2_b64 v[183:186], v253 offset0:26 offset1:27
	s_waitcnt lgkmcnt(0)
	v_mul_f64 v[149:150], v[185:186], v[151:152]
	v_fma_f64 v[149:150], v[183:184], v[181:182], -v[149:150]
	v_mul_f64 v[183:184], v[183:184], v[151:152]
	v_add_f64 v[125:126], v[125:126], -v[149:150]
	v_fma_f64 v[183:184], v[185:186], v[181:182], v[183:184]
	v_add_f64 v[127:128], v[127:128], -v[183:184]
	ds_read2_b64 v[183:186], v253 offset0:28 offset1:29
	s_waitcnt lgkmcnt(0)
	v_mul_f64 v[149:150], v[185:186], v[151:152]
	v_fma_f64 v[149:150], v[183:184], v[181:182], -v[149:150]
	v_mul_f64 v[183:184], v[183:184], v[151:152]
	v_add_f64 v[121:122], v[121:122], -v[149:150]
	v_fma_f64 v[183:184], v[185:186], v[181:182], v[183:184]
	v_add_f64 v[123:124], v[123:124], -v[183:184]
	ds_read2_b64 v[183:186], v253 offset0:30 offset1:31
	s_waitcnt lgkmcnt(0)
	v_mul_f64 v[149:150], v[185:186], v[151:152]
	v_fma_f64 v[149:150], v[183:184], v[181:182], -v[149:150]
	v_mul_f64 v[183:184], v[183:184], v[151:152]
	v_add_f64 v[117:118], v[117:118], -v[149:150]
	v_fma_f64 v[183:184], v[185:186], v[181:182], v[183:184]
	v_add_f64 v[119:120], v[119:120], -v[183:184]
	ds_read2_b64 v[183:186], v253 offset0:32 offset1:33
	s_waitcnt lgkmcnt(0)
	v_mul_f64 v[149:150], v[185:186], v[151:152]
	v_fma_f64 v[149:150], v[183:184], v[181:182], -v[149:150]
	v_mul_f64 v[183:184], v[183:184], v[151:152]
	v_add_f64 v[113:114], v[113:114], -v[149:150]
	v_fma_f64 v[183:184], v[185:186], v[181:182], v[183:184]
	v_add_f64 v[115:116], v[115:116], -v[183:184]
	ds_read2_b64 v[183:186], v253 offset0:34 offset1:35
	s_waitcnt lgkmcnt(0)
	v_mul_f64 v[149:150], v[185:186], v[151:152]
	v_fma_f64 v[149:150], v[183:184], v[181:182], -v[149:150]
	v_mul_f64 v[183:184], v[183:184], v[151:152]
	v_add_f64 v[109:110], v[109:110], -v[149:150]
	v_fma_f64 v[183:184], v[185:186], v[181:182], v[183:184]
	v_add_f64 v[111:112], v[111:112], -v[183:184]
	ds_read2_b64 v[183:186], v253 offset0:36 offset1:37
	s_waitcnt lgkmcnt(0)
	v_mul_f64 v[149:150], v[185:186], v[151:152]
	v_fma_f64 v[149:150], v[183:184], v[181:182], -v[149:150]
	v_mul_f64 v[183:184], v[183:184], v[151:152]
	v_add_f64 v[105:106], v[105:106], -v[149:150]
	v_fma_f64 v[183:184], v[185:186], v[181:182], v[183:184]
	v_add_f64 v[107:108], v[107:108], -v[183:184]
	ds_read2_b64 v[183:186], v253 offset0:38 offset1:39
	s_waitcnt lgkmcnt(0)
	v_mul_f64 v[149:150], v[185:186], v[151:152]
	v_fma_f64 v[149:150], v[183:184], v[181:182], -v[149:150]
	v_mul_f64 v[183:184], v[183:184], v[151:152]
	v_add_f64 v[101:102], v[101:102], -v[149:150]
	v_fma_f64 v[183:184], v[185:186], v[181:182], v[183:184]
	v_add_f64 v[103:104], v[103:104], -v[183:184]
	ds_read2_b64 v[183:186], v253 offset0:40 offset1:41
	s_waitcnt lgkmcnt(0)
	v_mul_f64 v[149:150], v[185:186], v[151:152]
	v_fma_f64 v[149:150], v[183:184], v[181:182], -v[149:150]
	v_mul_f64 v[183:184], v[183:184], v[151:152]
	v_add_f64 v[97:98], v[97:98], -v[149:150]
	v_fma_f64 v[183:184], v[185:186], v[181:182], v[183:184]
	v_add_f64 v[99:100], v[99:100], -v[183:184]
	ds_read2_b64 v[183:186], v253 offset0:42 offset1:43
	s_waitcnt lgkmcnt(0)
	v_mul_f64 v[149:150], v[185:186], v[151:152]
	v_fma_f64 v[149:150], v[183:184], v[181:182], -v[149:150]
	v_mul_f64 v[183:184], v[183:184], v[151:152]
	v_add_f64 v[93:94], v[93:94], -v[149:150]
	v_fma_f64 v[183:184], v[185:186], v[181:182], v[183:184]
	v_add_f64 v[95:96], v[95:96], -v[183:184]
	ds_read2_b64 v[183:186], v253 offset0:44 offset1:45
	s_waitcnt lgkmcnt(0)
	v_mul_f64 v[149:150], v[185:186], v[151:152]
	v_fma_f64 v[149:150], v[183:184], v[181:182], -v[149:150]
	v_mul_f64 v[183:184], v[183:184], v[151:152]
	v_add_f64 v[89:90], v[89:90], -v[149:150]
	v_fma_f64 v[183:184], v[185:186], v[181:182], v[183:184]
	v_add_f64 v[91:92], v[91:92], -v[183:184]
	ds_read2_b64 v[183:186], v253 offset0:46 offset1:47
	s_waitcnt lgkmcnt(0)
	v_mul_f64 v[149:150], v[185:186], v[151:152]
	v_fma_f64 v[149:150], v[183:184], v[181:182], -v[149:150]
	v_mul_f64 v[183:184], v[183:184], v[151:152]
	v_add_f64 v[85:86], v[85:86], -v[149:150]
	v_fma_f64 v[183:184], v[185:186], v[181:182], v[183:184]
	v_add_f64 v[87:88], v[87:88], -v[183:184]
	ds_read2_b64 v[183:186], v253 offset0:48 offset1:49
	s_waitcnt lgkmcnt(0)
	v_mul_f64 v[149:150], v[185:186], v[151:152]
	v_fma_f64 v[149:150], v[183:184], v[181:182], -v[149:150]
	v_mul_f64 v[183:184], v[183:184], v[151:152]
	v_add_f64 v[81:82], v[81:82], -v[149:150]
	v_fma_f64 v[183:184], v[185:186], v[181:182], v[183:184]
	v_add_f64 v[83:84], v[83:84], -v[183:184]
	ds_read2_b64 v[183:186], v253 offset0:50 offset1:51
	s_waitcnt lgkmcnt(0)
	v_mul_f64 v[149:150], v[185:186], v[151:152]
	v_fma_f64 v[149:150], v[183:184], v[181:182], -v[149:150]
	v_mul_f64 v[183:184], v[183:184], v[151:152]
	v_add_f64 v[77:78], v[77:78], -v[149:150]
	v_fma_f64 v[183:184], v[185:186], v[181:182], v[183:184]
	v_add_f64 v[79:80], v[79:80], -v[183:184]
	ds_read2_b64 v[183:186], v253 offset0:52 offset1:53
	s_waitcnt lgkmcnt(0)
	v_mul_f64 v[149:150], v[185:186], v[151:152]
	v_fma_f64 v[149:150], v[183:184], v[181:182], -v[149:150]
	v_mul_f64 v[183:184], v[183:184], v[151:152]
	v_add_f64 v[73:74], v[73:74], -v[149:150]
	v_fma_f64 v[183:184], v[185:186], v[181:182], v[183:184]
	v_add_f64 v[75:76], v[75:76], -v[183:184]
	ds_read2_b64 v[183:186], v253 offset0:54 offset1:55
	s_waitcnt lgkmcnt(0)
	v_mul_f64 v[149:150], v[185:186], v[151:152]
	v_fma_f64 v[149:150], v[183:184], v[181:182], -v[149:150]
	v_mul_f64 v[183:184], v[183:184], v[151:152]
	v_add_f64 v[69:70], v[69:70], -v[149:150]
	v_fma_f64 v[183:184], v[185:186], v[181:182], v[183:184]
	v_add_f64 v[71:72], v[71:72], -v[183:184]
	ds_read2_b64 v[183:186], v253 offset0:56 offset1:57
	s_waitcnt lgkmcnt(0)
	v_mul_f64 v[149:150], v[185:186], v[151:152]
	v_fma_f64 v[149:150], v[183:184], v[181:182], -v[149:150]
	v_mul_f64 v[183:184], v[183:184], v[151:152]
	v_add_f64 v[65:66], v[65:66], -v[149:150]
	v_fma_f64 v[183:184], v[185:186], v[181:182], v[183:184]
	v_add_f64 v[67:68], v[67:68], -v[183:184]
	ds_read2_b64 v[183:186], v253 offset0:58 offset1:59
	s_waitcnt lgkmcnt(0)
	v_mul_f64 v[149:150], v[185:186], v[151:152]
	v_fma_f64 v[149:150], v[183:184], v[181:182], -v[149:150]
	v_mul_f64 v[183:184], v[183:184], v[151:152]
	v_add_f64 v[61:62], v[61:62], -v[149:150]
	v_fma_f64 v[183:184], v[185:186], v[181:182], v[183:184]
	v_add_f64 v[63:64], v[63:64], -v[183:184]
	ds_read2_b64 v[183:186], v253 offset0:60 offset1:61
	s_waitcnt lgkmcnt(0)
	v_mul_f64 v[149:150], v[185:186], v[151:152]
	v_fma_f64 v[149:150], v[183:184], v[181:182], -v[149:150]
	v_mul_f64 v[183:184], v[183:184], v[151:152]
	v_add_f64 v[57:58], v[57:58], -v[149:150]
	v_fma_f64 v[183:184], v[185:186], v[181:182], v[183:184]
	v_add_f64 v[59:60], v[59:60], -v[183:184]
	ds_read2_b64 v[183:186], v253 offset0:62 offset1:63
	s_waitcnt lgkmcnt(0)
	v_mul_f64 v[149:150], v[185:186], v[151:152]
	v_fma_f64 v[149:150], v[183:184], v[181:182], -v[149:150]
	v_mul_f64 v[183:184], v[183:184], v[151:152]
	v_add_f64 v[53:54], v[53:54], -v[149:150]
	v_fma_f64 v[183:184], v[185:186], v[181:182], v[183:184]
	v_add_f64 v[55:56], v[55:56], -v[183:184]
	ds_read2_b64 v[183:186], v253 offset0:64 offset1:65
	s_waitcnt lgkmcnt(0)
	v_mul_f64 v[149:150], v[185:186], v[151:152]
	v_fma_f64 v[149:150], v[183:184], v[181:182], -v[149:150]
	v_mul_f64 v[183:184], v[183:184], v[151:152]
	v_add_f64 v[49:50], v[49:50], -v[149:150]
	v_fma_f64 v[183:184], v[185:186], v[181:182], v[183:184]
	v_add_f64 v[51:52], v[51:52], -v[183:184]
	ds_read2_b64 v[183:186], v253 offset0:66 offset1:67
	s_waitcnt lgkmcnt(0)
	v_mul_f64 v[149:150], v[185:186], v[151:152]
	v_fma_f64 v[149:150], v[183:184], v[181:182], -v[149:150]
	v_mul_f64 v[183:184], v[183:184], v[151:152]
	v_add_f64 v[45:46], v[45:46], -v[149:150]
	v_fma_f64 v[183:184], v[185:186], v[181:182], v[183:184]
	v_add_f64 v[47:48], v[47:48], -v[183:184]
	ds_read2_b64 v[183:186], v253 offset0:68 offset1:69
	s_waitcnt lgkmcnt(0)
	v_mul_f64 v[149:150], v[185:186], v[151:152]
	v_fma_f64 v[149:150], v[183:184], v[181:182], -v[149:150]
	v_mul_f64 v[183:184], v[183:184], v[151:152]
	v_add_f64 v[41:42], v[41:42], -v[149:150]
	v_fma_f64 v[183:184], v[185:186], v[181:182], v[183:184]
	v_add_f64 v[43:44], v[43:44], -v[183:184]
	ds_read2_b64 v[183:186], v253 offset0:70 offset1:71
	s_waitcnt lgkmcnt(0)
	v_mul_f64 v[149:150], v[185:186], v[151:152]
	v_fma_f64 v[149:150], v[183:184], v[181:182], -v[149:150]
	v_mul_f64 v[183:184], v[183:184], v[151:152]
	v_add_f64 v[37:38], v[37:38], -v[149:150]
	v_fma_f64 v[183:184], v[185:186], v[181:182], v[183:184]
	v_add_f64 v[39:40], v[39:40], -v[183:184]
	ds_read2_b64 v[183:186], v253 offset0:72 offset1:73
	s_waitcnt lgkmcnt(0)
	v_mul_f64 v[149:150], v[185:186], v[151:152]
	v_fma_f64 v[149:150], v[183:184], v[181:182], -v[149:150]
	v_mul_f64 v[183:184], v[183:184], v[151:152]
	v_add_f64 v[33:34], v[33:34], -v[149:150]
	v_fma_f64 v[183:184], v[185:186], v[181:182], v[183:184]
	v_add_f64 v[35:36], v[35:36], -v[183:184]
	ds_read2_b64 v[183:186], v253 offset0:74 offset1:75
	s_waitcnt lgkmcnt(0)
	v_mul_f64 v[149:150], v[185:186], v[151:152]
	v_fma_f64 v[149:150], v[183:184], v[181:182], -v[149:150]
	v_mul_f64 v[183:184], v[183:184], v[151:152]
	v_add_f64 v[29:30], v[29:30], -v[149:150]
	v_fma_f64 v[183:184], v[185:186], v[181:182], v[183:184]
	v_add_f64 v[31:32], v[31:32], -v[183:184]
	ds_read2_b64 v[183:186], v253 offset0:76 offset1:77
	s_waitcnt lgkmcnt(0)
	v_mul_f64 v[149:150], v[185:186], v[151:152]
	v_fma_f64 v[149:150], v[183:184], v[181:182], -v[149:150]
	v_mul_f64 v[183:184], v[183:184], v[151:152]
	v_add_f64 v[25:26], v[25:26], -v[149:150]
	v_fma_f64 v[183:184], v[185:186], v[181:182], v[183:184]
	v_add_f64 v[27:28], v[27:28], -v[183:184]
	ds_read2_b64 v[183:186], v253 offset0:78 offset1:79
	s_waitcnt lgkmcnt(0)
	v_mul_f64 v[149:150], v[185:186], v[151:152]
	v_fma_f64 v[149:150], v[183:184], v[181:182], -v[149:150]
	v_mul_f64 v[183:184], v[183:184], v[151:152]
	v_add_f64 v[21:22], v[21:22], -v[149:150]
	v_fma_f64 v[183:184], v[185:186], v[181:182], v[183:184]
	v_add_f64 v[23:24], v[23:24], -v[183:184]
	ds_read2_b64 v[183:186], v253 offset0:80 offset1:81
	s_waitcnt lgkmcnt(0)
	v_mul_f64 v[149:150], v[185:186], v[151:152]
	v_fma_f64 v[149:150], v[183:184], v[181:182], -v[149:150]
	v_mul_f64 v[183:184], v[183:184], v[151:152]
	v_add_f64 v[17:18], v[17:18], -v[149:150]
	v_fma_f64 v[183:184], v[185:186], v[181:182], v[183:184]
	v_add_f64 v[19:20], v[19:20], -v[183:184]
	ds_read2_b64 v[183:186], v253 offset0:82 offset1:83
	s_waitcnt lgkmcnt(0)
	v_mul_f64 v[149:150], v[185:186], v[151:152]
	v_fma_f64 v[149:150], v[183:184], v[181:182], -v[149:150]
	v_mul_f64 v[183:184], v[183:184], v[151:152]
	v_add_f64 v[13:14], v[13:14], -v[149:150]
	v_fma_f64 v[183:184], v[185:186], v[181:182], v[183:184]
	v_add_f64 v[15:16], v[15:16], -v[183:184]
	ds_read2_b64 v[183:186], v253 offset0:84 offset1:85
	s_waitcnt lgkmcnt(0)
	v_mul_f64 v[149:150], v[185:186], v[151:152]
	v_fma_f64 v[149:150], v[183:184], v[181:182], -v[149:150]
	v_mul_f64 v[183:184], v[183:184], v[151:152]
	v_add_f64 v[9:10], v[9:10], -v[149:150]
	v_fma_f64 v[183:184], v[185:186], v[181:182], v[183:184]
	v_add_f64 v[11:12], v[11:12], -v[183:184]
	ds_read2_b64 v[183:186], v253 offset0:86 offset1:87
	s_waitcnt lgkmcnt(0)
	v_mul_f64 v[149:150], v[185:186], v[151:152]
	v_fma_f64 v[149:150], v[183:184], v[181:182], -v[149:150]
	v_mul_f64 v[183:184], v[183:184], v[151:152]
	v_add_f64 v[5:6], v[5:6], -v[149:150]
	v_fma_f64 v[183:184], v[185:186], v[181:182], v[183:184]
	v_add_f64 v[7:8], v[7:8], -v[183:184]
	ds_read2_b64 v[183:186], v253 offset0:88 offset1:89
	s_waitcnt lgkmcnt(0)
	v_mul_f64 v[149:150], v[185:186], v[151:152]
	v_fma_f64 v[149:150], v[183:184], v[181:182], -v[149:150]
	v_mul_f64 v[183:184], v[183:184], v[151:152]
	v_add_f64 v[1:2], v[1:2], -v[149:150]
	v_fma_f64 v[183:184], v[185:186], v[181:182], v[183:184]
	v_mov_b32_e32 v149, v181
	v_mov_b32_e32 v150, v182
	v_add_f64 v[3:4], v[3:4], -v[183:184]
.LBB89_73:
	s_or_b32 exec_lo, exec_lo, s1
	s_mov_b32 s2, exec_lo
	s_waitcnt_vscnt null, 0x0
	s_barrier
	buffer_gl0_inv
	v_cmpx_eq_u32_e32 8, v0
	s_cbranch_execz .LBB89_80
; %bb.74:
	ds_write2_b64 v255, v[145:146], v[147:148] offset1:1
	ds_write2_b64 v253, v[141:142], v[143:144] offset0:18 offset1:19
	ds_write2_b64 v253, v[137:138], v[139:140] offset0:20 offset1:21
	;; [unrolled: 1-line block ×36, first 2 shown]
	ds_read2_b64 v[181:184], v255 offset1:1
	s_waitcnt lgkmcnt(0)
	v_cmp_neq_f64_e32 vcc_lo, 0, v[181:182]
	v_cmp_neq_f64_e64 s1, 0, v[183:184]
	s_or_b32 s1, vcc_lo, s1
	s_and_b32 exec_lo, exec_lo, s1
	s_cbranch_execz .LBB89_80
; %bb.75:
	v_cmp_ngt_f64_e64 s1, |v[181:182]|, |v[183:184]|
                                        ; implicit-def: $vgpr185_vgpr186
	s_and_saveexec_b32 s3, s1
	s_xor_b32 s1, exec_lo, s3
                                        ; implicit-def: $vgpr187_vgpr188
	s_cbranch_execz .LBB89_77
; %bb.76:
	v_div_scale_f64 v[185:186], null, v[183:184], v[183:184], v[181:182]
	v_div_scale_f64 v[191:192], vcc_lo, v[181:182], v[183:184], v[181:182]
	v_rcp_f64_e32 v[187:188], v[185:186]
	v_fma_f64 v[189:190], -v[185:186], v[187:188], 1.0
	v_fma_f64 v[187:188], v[187:188], v[189:190], v[187:188]
	v_fma_f64 v[189:190], -v[185:186], v[187:188], 1.0
	v_fma_f64 v[187:188], v[187:188], v[189:190], v[187:188]
	v_mul_f64 v[189:190], v[191:192], v[187:188]
	v_fma_f64 v[185:186], -v[185:186], v[189:190], v[191:192]
	v_div_fmas_f64 v[185:186], v[185:186], v[187:188], v[189:190]
	v_div_fixup_f64 v[185:186], v[185:186], v[183:184], v[181:182]
	v_fma_f64 v[181:182], v[181:182], v[185:186], v[183:184]
	v_div_scale_f64 v[183:184], null, v[181:182], v[181:182], 1.0
	v_rcp_f64_e32 v[187:188], v[183:184]
	v_fma_f64 v[189:190], -v[183:184], v[187:188], 1.0
	v_fma_f64 v[187:188], v[187:188], v[189:190], v[187:188]
	v_fma_f64 v[189:190], -v[183:184], v[187:188], 1.0
	v_fma_f64 v[187:188], v[187:188], v[189:190], v[187:188]
	v_div_scale_f64 v[189:190], vcc_lo, 1.0, v[181:182], 1.0
	v_mul_f64 v[191:192], v[189:190], v[187:188]
	v_fma_f64 v[183:184], -v[183:184], v[191:192], v[189:190]
	v_div_fmas_f64 v[183:184], v[183:184], v[187:188], v[191:192]
	v_div_fixup_f64 v[187:188], v[183:184], v[181:182], 1.0
                                        ; implicit-def: $vgpr181_vgpr182
	v_mul_f64 v[185:186], v[185:186], v[187:188]
	v_xor_b32_e32 v188, 0x80000000, v188
.LBB89_77:
	s_andn2_saveexec_b32 s1, s1
	s_cbranch_execz .LBB89_79
; %bb.78:
	v_div_scale_f64 v[185:186], null, v[181:182], v[181:182], v[183:184]
	v_div_scale_f64 v[191:192], vcc_lo, v[183:184], v[181:182], v[183:184]
	v_rcp_f64_e32 v[187:188], v[185:186]
	v_fma_f64 v[189:190], -v[185:186], v[187:188], 1.0
	v_fma_f64 v[187:188], v[187:188], v[189:190], v[187:188]
	v_fma_f64 v[189:190], -v[185:186], v[187:188], 1.0
	v_fma_f64 v[187:188], v[187:188], v[189:190], v[187:188]
	v_mul_f64 v[189:190], v[191:192], v[187:188]
	v_fma_f64 v[185:186], -v[185:186], v[189:190], v[191:192]
	v_div_fmas_f64 v[185:186], v[185:186], v[187:188], v[189:190]
	v_div_fixup_f64 v[187:188], v[185:186], v[181:182], v[183:184]
	v_fma_f64 v[181:182], v[183:184], v[187:188], v[181:182]
	v_div_scale_f64 v[183:184], null, v[181:182], v[181:182], 1.0
	v_rcp_f64_e32 v[185:186], v[183:184]
	v_fma_f64 v[189:190], -v[183:184], v[185:186], 1.0
	v_fma_f64 v[185:186], v[185:186], v[189:190], v[185:186]
	v_fma_f64 v[189:190], -v[183:184], v[185:186], 1.0
	v_fma_f64 v[185:186], v[185:186], v[189:190], v[185:186]
	v_div_scale_f64 v[189:190], vcc_lo, 1.0, v[181:182], 1.0
	v_mul_f64 v[191:192], v[189:190], v[185:186]
	v_fma_f64 v[183:184], -v[183:184], v[191:192], v[189:190]
	v_div_fmas_f64 v[183:184], v[183:184], v[185:186], v[191:192]
	v_div_fixup_f64 v[185:186], v[183:184], v[181:182], 1.0
	v_mul_f64 v[187:188], v[187:188], -v[185:186]
.LBB89_79:
	s_or_b32 exec_lo, exec_lo, s1
	ds_write2_b64 v255, v[185:186], v[187:188] offset1:1
.LBB89_80:
	s_or_b32 exec_lo, exec_lo, s2
	s_waitcnt lgkmcnt(0)
	s_barrier
	buffer_gl0_inv
	ds_read2_b64 v[181:184], v255 offset1:1
	s_mov_b32 s1, exec_lo
	s_waitcnt lgkmcnt(0)
	buffer_store_dword v181, off, s[16:19], 0 offset:368 ; 4-byte Folded Spill
	buffer_store_dword v182, off, s[16:19], 0 offset:372 ; 4-byte Folded Spill
	;; [unrolled: 1-line block ×4, first 2 shown]
	v_cmpx_lt_u32_e32 8, v0
	s_cbranch_execz .LBB89_82
; %bb.81:
	s_clause 0x3
	buffer_load_dword v183, off, s[16:19], 0 offset:368
	buffer_load_dword v184, off, s[16:19], 0 offset:372
	;; [unrolled: 1-line block ×4, first 2 shown]
	s_waitcnt vmcnt(0)
	v_mul_f64 v[181:182], v[185:186], v[147:148]
	v_mul_f64 v[147:148], v[183:184], v[147:148]
	v_fma_f64 v[181:182], v[183:184], v[145:146], -v[181:182]
	v_fma_f64 v[147:148], v[185:186], v[145:146], v[147:148]
	ds_read2_b64 v[183:186], v253 offset0:18 offset1:19
	s_waitcnt lgkmcnt(0)
	v_mul_f64 v[145:146], v[185:186], v[147:148]
	v_fma_f64 v[145:146], v[183:184], v[181:182], -v[145:146]
	v_mul_f64 v[183:184], v[183:184], v[147:148]
	v_add_f64 v[141:142], v[141:142], -v[145:146]
	v_fma_f64 v[183:184], v[185:186], v[181:182], v[183:184]
	v_add_f64 v[143:144], v[143:144], -v[183:184]
	ds_read2_b64 v[183:186], v253 offset0:20 offset1:21
	s_waitcnt lgkmcnt(0)
	v_mul_f64 v[145:146], v[185:186], v[147:148]
	v_fma_f64 v[145:146], v[183:184], v[181:182], -v[145:146]
	v_mul_f64 v[183:184], v[183:184], v[147:148]
	v_add_f64 v[137:138], v[137:138], -v[145:146]
	v_fma_f64 v[183:184], v[185:186], v[181:182], v[183:184]
	v_add_f64 v[139:140], v[139:140], -v[183:184]
	;; [unrolled: 8-line block ×35, first 2 shown]
	ds_read2_b64 v[183:186], v253 offset0:88 offset1:89
	s_waitcnt lgkmcnt(0)
	v_mul_f64 v[145:146], v[185:186], v[147:148]
	v_fma_f64 v[145:146], v[183:184], v[181:182], -v[145:146]
	v_mul_f64 v[183:184], v[183:184], v[147:148]
	v_add_f64 v[1:2], v[1:2], -v[145:146]
	v_fma_f64 v[183:184], v[185:186], v[181:182], v[183:184]
	v_mov_b32_e32 v145, v181
	v_mov_b32_e32 v146, v182
	v_add_f64 v[3:4], v[3:4], -v[183:184]
.LBB89_82:
	s_or_b32 exec_lo, exec_lo, s1
	s_mov_b32 s2, exec_lo
	s_waitcnt_vscnt null, 0x0
	s_barrier
	buffer_gl0_inv
	v_cmpx_eq_u32_e32 9, v0
	s_cbranch_execz .LBB89_89
; %bb.83:
	ds_write2_b64 v255, v[141:142], v[143:144] offset1:1
	ds_write2_b64 v253, v[137:138], v[139:140] offset0:20 offset1:21
	ds_write2_b64 v253, v[133:134], v[135:136] offset0:22 offset1:23
	;; [unrolled: 1-line block ×35, first 2 shown]
	ds_read2_b64 v[181:184], v255 offset1:1
	s_waitcnt lgkmcnt(0)
	v_cmp_neq_f64_e32 vcc_lo, 0, v[181:182]
	v_cmp_neq_f64_e64 s1, 0, v[183:184]
	s_or_b32 s1, vcc_lo, s1
	s_and_b32 exec_lo, exec_lo, s1
	s_cbranch_execz .LBB89_89
; %bb.84:
	v_cmp_ngt_f64_e64 s1, |v[181:182]|, |v[183:184]|
                                        ; implicit-def: $vgpr185_vgpr186
	s_and_saveexec_b32 s3, s1
	s_xor_b32 s1, exec_lo, s3
                                        ; implicit-def: $vgpr187_vgpr188
	s_cbranch_execz .LBB89_86
; %bb.85:
	v_div_scale_f64 v[185:186], null, v[183:184], v[183:184], v[181:182]
	v_div_scale_f64 v[191:192], vcc_lo, v[181:182], v[183:184], v[181:182]
	v_rcp_f64_e32 v[187:188], v[185:186]
	v_fma_f64 v[189:190], -v[185:186], v[187:188], 1.0
	v_fma_f64 v[187:188], v[187:188], v[189:190], v[187:188]
	v_fma_f64 v[189:190], -v[185:186], v[187:188], 1.0
	v_fma_f64 v[187:188], v[187:188], v[189:190], v[187:188]
	v_mul_f64 v[189:190], v[191:192], v[187:188]
	v_fma_f64 v[185:186], -v[185:186], v[189:190], v[191:192]
	v_div_fmas_f64 v[185:186], v[185:186], v[187:188], v[189:190]
	v_div_fixup_f64 v[185:186], v[185:186], v[183:184], v[181:182]
	v_fma_f64 v[181:182], v[181:182], v[185:186], v[183:184]
	v_div_scale_f64 v[183:184], null, v[181:182], v[181:182], 1.0
	v_rcp_f64_e32 v[187:188], v[183:184]
	v_fma_f64 v[189:190], -v[183:184], v[187:188], 1.0
	v_fma_f64 v[187:188], v[187:188], v[189:190], v[187:188]
	v_fma_f64 v[189:190], -v[183:184], v[187:188], 1.0
	v_fma_f64 v[187:188], v[187:188], v[189:190], v[187:188]
	v_div_scale_f64 v[189:190], vcc_lo, 1.0, v[181:182], 1.0
	v_mul_f64 v[191:192], v[189:190], v[187:188]
	v_fma_f64 v[183:184], -v[183:184], v[191:192], v[189:190]
	v_div_fmas_f64 v[183:184], v[183:184], v[187:188], v[191:192]
	v_div_fixup_f64 v[187:188], v[183:184], v[181:182], 1.0
                                        ; implicit-def: $vgpr181_vgpr182
	v_mul_f64 v[185:186], v[185:186], v[187:188]
	v_xor_b32_e32 v188, 0x80000000, v188
.LBB89_86:
	s_andn2_saveexec_b32 s1, s1
	s_cbranch_execz .LBB89_88
; %bb.87:
	v_div_scale_f64 v[185:186], null, v[181:182], v[181:182], v[183:184]
	v_div_scale_f64 v[191:192], vcc_lo, v[183:184], v[181:182], v[183:184]
	v_rcp_f64_e32 v[187:188], v[185:186]
	v_fma_f64 v[189:190], -v[185:186], v[187:188], 1.0
	v_fma_f64 v[187:188], v[187:188], v[189:190], v[187:188]
	v_fma_f64 v[189:190], -v[185:186], v[187:188], 1.0
	v_fma_f64 v[187:188], v[187:188], v[189:190], v[187:188]
	v_mul_f64 v[189:190], v[191:192], v[187:188]
	v_fma_f64 v[185:186], -v[185:186], v[189:190], v[191:192]
	v_div_fmas_f64 v[185:186], v[185:186], v[187:188], v[189:190]
	v_div_fixup_f64 v[187:188], v[185:186], v[181:182], v[183:184]
	v_fma_f64 v[181:182], v[183:184], v[187:188], v[181:182]
	v_div_scale_f64 v[183:184], null, v[181:182], v[181:182], 1.0
	v_rcp_f64_e32 v[185:186], v[183:184]
	v_fma_f64 v[189:190], -v[183:184], v[185:186], 1.0
	v_fma_f64 v[185:186], v[185:186], v[189:190], v[185:186]
	v_fma_f64 v[189:190], -v[183:184], v[185:186], 1.0
	v_fma_f64 v[185:186], v[185:186], v[189:190], v[185:186]
	v_div_scale_f64 v[189:190], vcc_lo, 1.0, v[181:182], 1.0
	v_mul_f64 v[191:192], v[189:190], v[185:186]
	v_fma_f64 v[183:184], -v[183:184], v[191:192], v[189:190]
	v_div_fmas_f64 v[183:184], v[183:184], v[185:186], v[191:192]
	v_div_fixup_f64 v[185:186], v[183:184], v[181:182], 1.0
	v_mul_f64 v[187:188], v[187:188], -v[185:186]
.LBB89_88:
	s_or_b32 exec_lo, exec_lo, s1
	ds_write2_b64 v255, v[185:186], v[187:188] offset1:1
.LBB89_89:
	s_or_b32 exec_lo, exec_lo, s2
	s_waitcnt lgkmcnt(0)
	s_barrier
	buffer_gl0_inv
	ds_read2_b64 v[181:184], v255 offset1:1
	s_mov_b32 s1, exec_lo
	s_waitcnt lgkmcnt(0)
	buffer_store_dword v181, off, s[16:19], 0 offset:384 ; 4-byte Folded Spill
	buffer_store_dword v182, off, s[16:19], 0 offset:388 ; 4-byte Folded Spill
	;; [unrolled: 1-line block ×4, first 2 shown]
	v_cmpx_lt_u32_e32 9, v0
	s_cbranch_execz .LBB89_91
; %bb.90:
	s_clause 0x3
	buffer_load_dword v183, off, s[16:19], 0 offset:384
	buffer_load_dword v184, off, s[16:19], 0 offset:388
	;; [unrolled: 1-line block ×4, first 2 shown]
	s_waitcnt vmcnt(0)
	v_mul_f64 v[181:182], v[185:186], v[143:144]
	v_mul_f64 v[143:144], v[183:184], v[143:144]
	v_fma_f64 v[181:182], v[183:184], v[141:142], -v[181:182]
	v_fma_f64 v[143:144], v[185:186], v[141:142], v[143:144]
	ds_read2_b64 v[183:186], v253 offset0:20 offset1:21
	s_waitcnt lgkmcnt(0)
	v_mul_f64 v[141:142], v[185:186], v[143:144]
	v_fma_f64 v[141:142], v[183:184], v[181:182], -v[141:142]
	v_mul_f64 v[183:184], v[183:184], v[143:144]
	v_add_f64 v[137:138], v[137:138], -v[141:142]
	v_fma_f64 v[183:184], v[185:186], v[181:182], v[183:184]
	v_add_f64 v[139:140], v[139:140], -v[183:184]
	ds_read2_b64 v[183:186], v253 offset0:22 offset1:23
	s_waitcnt lgkmcnt(0)
	v_mul_f64 v[141:142], v[185:186], v[143:144]
	v_fma_f64 v[141:142], v[183:184], v[181:182], -v[141:142]
	v_mul_f64 v[183:184], v[183:184], v[143:144]
	v_add_f64 v[133:134], v[133:134], -v[141:142]
	v_fma_f64 v[183:184], v[185:186], v[181:182], v[183:184]
	v_add_f64 v[135:136], v[135:136], -v[183:184]
	;; [unrolled: 8-line block ×34, first 2 shown]
	ds_read2_b64 v[183:186], v253 offset0:88 offset1:89
	s_waitcnt lgkmcnt(0)
	v_mul_f64 v[141:142], v[185:186], v[143:144]
	v_fma_f64 v[141:142], v[183:184], v[181:182], -v[141:142]
	v_mul_f64 v[183:184], v[183:184], v[143:144]
	v_add_f64 v[1:2], v[1:2], -v[141:142]
	v_fma_f64 v[183:184], v[185:186], v[181:182], v[183:184]
	v_mov_b32_e32 v141, v181
	v_mov_b32_e32 v142, v182
	v_add_f64 v[3:4], v[3:4], -v[183:184]
.LBB89_91:
	s_or_b32 exec_lo, exec_lo, s1
	s_mov_b32 s2, exec_lo
	s_waitcnt_vscnt null, 0x0
	s_barrier
	buffer_gl0_inv
	v_cmpx_eq_u32_e32 10, v0
	s_cbranch_execz .LBB89_98
; %bb.92:
	ds_write2_b64 v255, v[137:138], v[139:140] offset1:1
	ds_write2_b64 v253, v[133:134], v[135:136] offset0:22 offset1:23
	ds_write2_b64 v253, v[129:130], v[131:132] offset0:24 offset1:25
	;; [unrolled: 1-line block ×34, first 2 shown]
	ds_read2_b64 v[181:184], v255 offset1:1
	s_waitcnt lgkmcnt(0)
	v_cmp_neq_f64_e32 vcc_lo, 0, v[181:182]
	v_cmp_neq_f64_e64 s1, 0, v[183:184]
	s_or_b32 s1, vcc_lo, s1
	s_and_b32 exec_lo, exec_lo, s1
	s_cbranch_execz .LBB89_98
; %bb.93:
	v_cmp_ngt_f64_e64 s1, |v[181:182]|, |v[183:184]|
                                        ; implicit-def: $vgpr185_vgpr186
	s_and_saveexec_b32 s3, s1
	s_xor_b32 s1, exec_lo, s3
                                        ; implicit-def: $vgpr187_vgpr188
	s_cbranch_execz .LBB89_95
; %bb.94:
	v_div_scale_f64 v[185:186], null, v[183:184], v[183:184], v[181:182]
	v_div_scale_f64 v[191:192], vcc_lo, v[181:182], v[183:184], v[181:182]
	v_rcp_f64_e32 v[187:188], v[185:186]
	v_fma_f64 v[189:190], -v[185:186], v[187:188], 1.0
	v_fma_f64 v[187:188], v[187:188], v[189:190], v[187:188]
	v_fma_f64 v[189:190], -v[185:186], v[187:188], 1.0
	v_fma_f64 v[187:188], v[187:188], v[189:190], v[187:188]
	v_mul_f64 v[189:190], v[191:192], v[187:188]
	v_fma_f64 v[185:186], -v[185:186], v[189:190], v[191:192]
	v_div_fmas_f64 v[185:186], v[185:186], v[187:188], v[189:190]
	v_div_fixup_f64 v[185:186], v[185:186], v[183:184], v[181:182]
	v_fma_f64 v[181:182], v[181:182], v[185:186], v[183:184]
	v_div_scale_f64 v[183:184], null, v[181:182], v[181:182], 1.0
	v_rcp_f64_e32 v[187:188], v[183:184]
	v_fma_f64 v[189:190], -v[183:184], v[187:188], 1.0
	v_fma_f64 v[187:188], v[187:188], v[189:190], v[187:188]
	v_fma_f64 v[189:190], -v[183:184], v[187:188], 1.0
	v_fma_f64 v[187:188], v[187:188], v[189:190], v[187:188]
	v_div_scale_f64 v[189:190], vcc_lo, 1.0, v[181:182], 1.0
	v_mul_f64 v[191:192], v[189:190], v[187:188]
	v_fma_f64 v[183:184], -v[183:184], v[191:192], v[189:190]
	v_div_fmas_f64 v[183:184], v[183:184], v[187:188], v[191:192]
	v_div_fixup_f64 v[187:188], v[183:184], v[181:182], 1.0
                                        ; implicit-def: $vgpr181_vgpr182
	v_mul_f64 v[185:186], v[185:186], v[187:188]
	v_xor_b32_e32 v188, 0x80000000, v188
.LBB89_95:
	s_andn2_saveexec_b32 s1, s1
	s_cbranch_execz .LBB89_97
; %bb.96:
	v_div_scale_f64 v[185:186], null, v[181:182], v[181:182], v[183:184]
	v_div_scale_f64 v[191:192], vcc_lo, v[183:184], v[181:182], v[183:184]
	v_rcp_f64_e32 v[187:188], v[185:186]
	v_fma_f64 v[189:190], -v[185:186], v[187:188], 1.0
	v_fma_f64 v[187:188], v[187:188], v[189:190], v[187:188]
	v_fma_f64 v[189:190], -v[185:186], v[187:188], 1.0
	v_fma_f64 v[187:188], v[187:188], v[189:190], v[187:188]
	v_mul_f64 v[189:190], v[191:192], v[187:188]
	v_fma_f64 v[185:186], -v[185:186], v[189:190], v[191:192]
	v_div_fmas_f64 v[185:186], v[185:186], v[187:188], v[189:190]
	v_div_fixup_f64 v[187:188], v[185:186], v[181:182], v[183:184]
	v_fma_f64 v[181:182], v[183:184], v[187:188], v[181:182]
	v_div_scale_f64 v[183:184], null, v[181:182], v[181:182], 1.0
	v_rcp_f64_e32 v[185:186], v[183:184]
	v_fma_f64 v[189:190], -v[183:184], v[185:186], 1.0
	v_fma_f64 v[185:186], v[185:186], v[189:190], v[185:186]
	v_fma_f64 v[189:190], -v[183:184], v[185:186], 1.0
	v_fma_f64 v[185:186], v[185:186], v[189:190], v[185:186]
	v_div_scale_f64 v[189:190], vcc_lo, 1.0, v[181:182], 1.0
	v_mul_f64 v[191:192], v[189:190], v[185:186]
	v_fma_f64 v[183:184], -v[183:184], v[191:192], v[189:190]
	v_div_fmas_f64 v[183:184], v[183:184], v[185:186], v[191:192]
	v_div_fixup_f64 v[185:186], v[183:184], v[181:182], 1.0
	v_mul_f64 v[187:188], v[187:188], -v[185:186]
.LBB89_97:
	s_or_b32 exec_lo, exec_lo, s1
	ds_write2_b64 v255, v[185:186], v[187:188] offset1:1
.LBB89_98:
	s_or_b32 exec_lo, exec_lo, s2
	s_waitcnt lgkmcnt(0)
	s_barrier
	buffer_gl0_inv
	ds_read2_b64 v[181:184], v255 offset1:1
	s_mov_b32 s1, exec_lo
	s_waitcnt lgkmcnt(0)
	buffer_store_dword v181, off, s[16:19], 0 offset:400 ; 4-byte Folded Spill
	buffer_store_dword v182, off, s[16:19], 0 offset:404 ; 4-byte Folded Spill
	;; [unrolled: 1-line block ×4, first 2 shown]
	v_cmpx_lt_u32_e32 10, v0
	s_cbranch_execz .LBB89_100
; %bb.99:
	s_clause 0x3
	buffer_load_dword v183, off, s[16:19], 0 offset:400
	buffer_load_dword v184, off, s[16:19], 0 offset:404
	;; [unrolled: 1-line block ×4, first 2 shown]
	s_waitcnt vmcnt(0)
	v_mul_f64 v[181:182], v[185:186], v[139:140]
	v_mul_f64 v[139:140], v[183:184], v[139:140]
	v_fma_f64 v[181:182], v[183:184], v[137:138], -v[181:182]
	v_fma_f64 v[139:140], v[185:186], v[137:138], v[139:140]
	ds_read2_b64 v[183:186], v253 offset0:22 offset1:23
	s_waitcnt lgkmcnt(0)
	v_mul_f64 v[137:138], v[185:186], v[139:140]
	v_fma_f64 v[137:138], v[183:184], v[181:182], -v[137:138]
	v_mul_f64 v[183:184], v[183:184], v[139:140]
	v_add_f64 v[133:134], v[133:134], -v[137:138]
	v_fma_f64 v[183:184], v[185:186], v[181:182], v[183:184]
	v_add_f64 v[135:136], v[135:136], -v[183:184]
	ds_read2_b64 v[183:186], v253 offset0:24 offset1:25
	s_waitcnt lgkmcnt(0)
	v_mul_f64 v[137:138], v[185:186], v[139:140]
	v_fma_f64 v[137:138], v[183:184], v[181:182], -v[137:138]
	v_mul_f64 v[183:184], v[183:184], v[139:140]
	v_add_f64 v[129:130], v[129:130], -v[137:138]
	v_fma_f64 v[183:184], v[185:186], v[181:182], v[183:184]
	v_add_f64 v[131:132], v[131:132], -v[183:184]
	;; [unrolled: 8-line block ×33, first 2 shown]
	ds_read2_b64 v[183:186], v253 offset0:88 offset1:89
	s_waitcnt lgkmcnt(0)
	v_mul_f64 v[137:138], v[185:186], v[139:140]
	v_fma_f64 v[137:138], v[183:184], v[181:182], -v[137:138]
	v_mul_f64 v[183:184], v[183:184], v[139:140]
	v_add_f64 v[1:2], v[1:2], -v[137:138]
	v_fma_f64 v[183:184], v[185:186], v[181:182], v[183:184]
	v_mov_b32_e32 v137, v181
	v_mov_b32_e32 v138, v182
	v_add_f64 v[3:4], v[3:4], -v[183:184]
.LBB89_100:
	s_or_b32 exec_lo, exec_lo, s1
	s_mov_b32 s2, exec_lo
	s_waitcnt_vscnt null, 0x0
	s_barrier
	buffer_gl0_inv
	v_cmpx_eq_u32_e32 11, v0
	s_cbranch_execz .LBB89_107
; %bb.101:
	ds_write2_b64 v255, v[133:134], v[135:136] offset1:1
	ds_write2_b64 v253, v[129:130], v[131:132] offset0:24 offset1:25
	ds_write2_b64 v253, v[125:126], v[127:128] offset0:26 offset1:27
	;; [unrolled: 1-line block ×33, first 2 shown]
	ds_read2_b64 v[181:184], v255 offset1:1
	s_waitcnt lgkmcnt(0)
	v_cmp_neq_f64_e32 vcc_lo, 0, v[181:182]
	v_cmp_neq_f64_e64 s1, 0, v[183:184]
	s_or_b32 s1, vcc_lo, s1
	s_and_b32 exec_lo, exec_lo, s1
	s_cbranch_execz .LBB89_107
; %bb.102:
	v_cmp_ngt_f64_e64 s1, |v[181:182]|, |v[183:184]|
                                        ; implicit-def: $vgpr185_vgpr186
	s_and_saveexec_b32 s3, s1
	s_xor_b32 s1, exec_lo, s3
                                        ; implicit-def: $vgpr187_vgpr188
	s_cbranch_execz .LBB89_104
; %bb.103:
	v_div_scale_f64 v[185:186], null, v[183:184], v[183:184], v[181:182]
	v_div_scale_f64 v[191:192], vcc_lo, v[181:182], v[183:184], v[181:182]
	v_rcp_f64_e32 v[187:188], v[185:186]
	v_fma_f64 v[189:190], -v[185:186], v[187:188], 1.0
	v_fma_f64 v[187:188], v[187:188], v[189:190], v[187:188]
	v_fma_f64 v[189:190], -v[185:186], v[187:188], 1.0
	v_fma_f64 v[187:188], v[187:188], v[189:190], v[187:188]
	v_mul_f64 v[189:190], v[191:192], v[187:188]
	v_fma_f64 v[185:186], -v[185:186], v[189:190], v[191:192]
	v_div_fmas_f64 v[185:186], v[185:186], v[187:188], v[189:190]
	v_div_fixup_f64 v[185:186], v[185:186], v[183:184], v[181:182]
	v_fma_f64 v[181:182], v[181:182], v[185:186], v[183:184]
	v_div_scale_f64 v[183:184], null, v[181:182], v[181:182], 1.0
	v_rcp_f64_e32 v[187:188], v[183:184]
	v_fma_f64 v[189:190], -v[183:184], v[187:188], 1.0
	v_fma_f64 v[187:188], v[187:188], v[189:190], v[187:188]
	v_fma_f64 v[189:190], -v[183:184], v[187:188], 1.0
	v_fma_f64 v[187:188], v[187:188], v[189:190], v[187:188]
	v_div_scale_f64 v[189:190], vcc_lo, 1.0, v[181:182], 1.0
	v_mul_f64 v[191:192], v[189:190], v[187:188]
	v_fma_f64 v[183:184], -v[183:184], v[191:192], v[189:190]
	v_div_fmas_f64 v[183:184], v[183:184], v[187:188], v[191:192]
	v_div_fixup_f64 v[187:188], v[183:184], v[181:182], 1.0
                                        ; implicit-def: $vgpr181_vgpr182
	v_mul_f64 v[185:186], v[185:186], v[187:188]
	v_xor_b32_e32 v188, 0x80000000, v188
.LBB89_104:
	s_andn2_saveexec_b32 s1, s1
	s_cbranch_execz .LBB89_106
; %bb.105:
	v_div_scale_f64 v[185:186], null, v[181:182], v[181:182], v[183:184]
	v_div_scale_f64 v[191:192], vcc_lo, v[183:184], v[181:182], v[183:184]
	v_rcp_f64_e32 v[187:188], v[185:186]
	v_fma_f64 v[189:190], -v[185:186], v[187:188], 1.0
	v_fma_f64 v[187:188], v[187:188], v[189:190], v[187:188]
	v_fma_f64 v[189:190], -v[185:186], v[187:188], 1.0
	v_fma_f64 v[187:188], v[187:188], v[189:190], v[187:188]
	v_mul_f64 v[189:190], v[191:192], v[187:188]
	v_fma_f64 v[185:186], -v[185:186], v[189:190], v[191:192]
	v_div_fmas_f64 v[185:186], v[185:186], v[187:188], v[189:190]
	v_div_fixup_f64 v[187:188], v[185:186], v[181:182], v[183:184]
	v_fma_f64 v[181:182], v[183:184], v[187:188], v[181:182]
	v_div_scale_f64 v[183:184], null, v[181:182], v[181:182], 1.0
	v_rcp_f64_e32 v[185:186], v[183:184]
	v_fma_f64 v[189:190], -v[183:184], v[185:186], 1.0
	v_fma_f64 v[185:186], v[185:186], v[189:190], v[185:186]
	v_fma_f64 v[189:190], -v[183:184], v[185:186], 1.0
	v_fma_f64 v[185:186], v[185:186], v[189:190], v[185:186]
	v_div_scale_f64 v[189:190], vcc_lo, 1.0, v[181:182], 1.0
	v_mul_f64 v[191:192], v[189:190], v[185:186]
	v_fma_f64 v[183:184], -v[183:184], v[191:192], v[189:190]
	v_div_fmas_f64 v[183:184], v[183:184], v[185:186], v[191:192]
	v_div_fixup_f64 v[185:186], v[183:184], v[181:182], 1.0
	v_mul_f64 v[187:188], v[187:188], -v[185:186]
.LBB89_106:
	s_or_b32 exec_lo, exec_lo, s1
	ds_write2_b64 v255, v[185:186], v[187:188] offset1:1
.LBB89_107:
	s_or_b32 exec_lo, exec_lo, s2
	s_waitcnt lgkmcnt(0)
	s_barrier
	buffer_gl0_inv
	ds_read2_b64 v[181:184], v255 offset1:1
	s_mov_b32 s1, exec_lo
	s_waitcnt lgkmcnt(0)
	buffer_store_dword v181, off, s[16:19], 0 offset:416 ; 4-byte Folded Spill
	buffer_store_dword v182, off, s[16:19], 0 offset:420 ; 4-byte Folded Spill
	;; [unrolled: 1-line block ×4, first 2 shown]
	v_cmpx_lt_u32_e32 11, v0
	s_cbranch_execz .LBB89_109
; %bb.108:
	s_clause 0x3
	buffer_load_dword v183, off, s[16:19], 0 offset:416
	buffer_load_dword v184, off, s[16:19], 0 offset:420
	;; [unrolled: 1-line block ×4, first 2 shown]
	s_waitcnt vmcnt(0)
	v_mul_f64 v[181:182], v[185:186], v[135:136]
	v_mul_f64 v[135:136], v[183:184], v[135:136]
	v_fma_f64 v[181:182], v[183:184], v[133:134], -v[181:182]
	v_fma_f64 v[135:136], v[185:186], v[133:134], v[135:136]
	ds_read2_b64 v[183:186], v253 offset0:24 offset1:25
	s_waitcnt lgkmcnt(0)
	v_mul_f64 v[133:134], v[185:186], v[135:136]
	v_fma_f64 v[133:134], v[183:184], v[181:182], -v[133:134]
	v_mul_f64 v[183:184], v[183:184], v[135:136]
	v_add_f64 v[129:130], v[129:130], -v[133:134]
	v_fma_f64 v[183:184], v[185:186], v[181:182], v[183:184]
	v_add_f64 v[131:132], v[131:132], -v[183:184]
	ds_read2_b64 v[183:186], v253 offset0:26 offset1:27
	s_waitcnt lgkmcnt(0)
	v_mul_f64 v[133:134], v[185:186], v[135:136]
	v_fma_f64 v[133:134], v[183:184], v[181:182], -v[133:134]
	v_mul_f64 v[183:184], v[183:184], v[135:136]
	v_add_f64 v[125:126], v[125:126], -v[133:134]
	v_fma_f64 v[183:184], v[185:186], v[181:182], v[183:184]
	v_add_f64 v[127:128], v[127:128], -v[183:184]
	;; [unrolled: 8-line block ×32, first 2 shown]
	ds_read2_b64 v[183:186], v253 offset0:88 offset1:89
	s_waitcnt lgkmcnt(0)
	v_mul_f64 v[133:134], v[185:186], v[135:136]
	v_fma_f64 v[133:134], v[183:184], v[181:182], -v[133:134]
	v_mul_f64 v[183:184], v[183:184], v[135:136]
	v_add_f64 v[1:2], v[1:2], -v[133:134]
	v_fma_f64 v[183:184], v[185:186], v[181:182], v[183:184]
	v_mov_b32_e32 v133, v181
	v_mov_b32_e32 v134, v182
	v_add_f64 v[3:4], v[3:4], -v[183:184]
.LBB89_109:
	s_or_b32 exec_lo, exec_lo, s1
	s_mov_b32 s2, exec_lo
	s_waitcnt_vscnt null, 0x0
	s_barrier
	buffer_gl0_inv
	v_cmpx_eq_u32_e32 12, v0
	s_cbranch_execz .LBB89_116
; %bb.110:
	ds_write2_b64 v255, v[129:130], v[131:132] offset1:1
	ds_write2_b64 v253, v[125:126], v[127:128] offset0:26 offset1:27
	ds_write2_b64 v253, v[121:122], v[123:124] offset0:28 offset1:29
	ds_write2_b64 v253, v[117:118], v[119:120] offset0:30 offset1:31
	ds_write2_b64 v253, v[113:114], v[115:116] offset0:32 offset1:33
	ds_write2_b64 v253, v[109:110], v[111:112] offset0:34 offset1:35
	ds_write2_b64 v253, v[105:106], v[107:108] offset0:36 offset1:37
	ds_write2_b64 v253, v[101:102], v[103:104] offset0:38 offset1:39
	ds_write2_b64 v253, v[97:98], v[99:100] offset0:40 offset1:41
	ds_write2_b64 v253, v[93:94], v[95:96] offset0:42 offset1:43
	ds_write2_b64 v253, v[89:90], v[91:92] offset0:44 offset1:45
	ds_write2_b64 v253, v[85:86], v[87:88] offset0:46 offset1:47
	ds_write2_b64 v253, v[81:82], v[83:84] offset0:48 offset1:49
	ds_write2_b64 v253, v[77:78], v[79:80] offset0:50 offset1:51
	ds_write2_b64 v253, v[73:74], v[75:76] offset0:52 offset1:53
	ds_write2_b64 v253, v[69:70], v[71:72] offset0:54 offset1:55
	ds_write2_b64 v253, v[65:66], v[67:68] offset0:56 offset1:57
	ds_write2_b64 v253, v[61:62], v[63:64] offset0:58 offset1:59
	ds_write2_b64 v253, v[57:58], v[59:60] offset0:60 offset1:61
	ds_write2_b64 v253, v[53:54], v[55:56] offset0:62 offset1:63
	ds_write2_b64 v253, v[49:50], v[51:52] offset0:64 offset1:65
	ds_write2_b64 v253, v[45:46], v[47:48] offset0:66 offset1:67
	ds_write2_b64 v253, v[41:42], v[43:44] offset0:68 offset1:69
	ds_write2_b64 v253, v[37:38], v[39:40] offset0:70 offset1:71
	ds_write2_b64 v253, v[33:34], v[35:36] offset0:72 offset1:73
	ds_write2_b64 v253, v[29:30], v[31:32] offset0:74 offset1:75
	ds_write2_b64 v253, v[25:26], v[27:28] offset0:76 offset1:77
	ds_write2_b64 v253, v[21:22], v[23:24] offset0:78 offset1:79
	ds_write2_b64 v253, v[17:18], v[19:20] offset0:80 offset1:81
	ds_write2_b64 v253, v[13:14], v[15:16] offset0:82 offset1:83
	ds_write2_b64 v253, v[9:10], v[11:12] offset0:84 offset1:85
	ds_write2_b64 v253, v[5:6], v[7:8] offset0:86 offset1:87
	ds_write2_b64 v253, v[1:2], v[3:4] offset0:88 offset1:89
	ds_read2_b64 v[181:184], v255 offset1:1
	s_waitcnt lgkmcnt(0)
	v_cmp_neq_f64_e32 vcc_lo, 0, v[181:182]
	v_cmp_neq_f64_e64 s1, 0, v[183:184]
	s_or_b32 s1, vcc_lo, s1
	s_and_b32 exec_lo, exec_lo, s1
	s_cbranch_execz .LBB89_116
; %bb.111:
	v_cmp_ngt_f64_e64 s1, |v[181:182]|, |v[183:184]|
                                        ; implicit-def: $vgpr185_vgpr186
	s_and_saveexec_b32 s3, s1
	s_xor_b32 s1, exec_lo, s3
                                        ; implicit-def: $vgpr187_vgpr188
	s_cbranch_execz .LBB89_113
; %bb.112:
	v_div_scale_f64 v[185:186], null, v[183:184], v[183:184], v[181:182]
	v_div_scale_f64 v[191:192], vcc_lo, v[181:182], v[183:184], v[181:182]
	v_rcp_f64_e32 v[187:188], v[185:186]
	v_fma_f64 v[189:190], -v[185:186], v[187:188], 1.0
	v_fma_f64 v[187:188], v[187:188], v[189:190], v[187:188]
	v_fma_f64 v[189:190], -v[185:186], v[187:188], 1.0
	v_fma_f64 v[187:188], v[187:188], v[189:190], v[187:188]
	v_mul_f64 v[189:190], v[191:192], v[187:188]
	v_fma_f64 v[185:186], -v[185:186], v[189:190], v[191:192]
	v_div_fmas_f64 v[185:186], v[185:186], v[187:188], v[189:190]
	v_div_fixup_f64 v[185:186], v[185:186], v[183:184], v[181:182]
	v_fma_f64 v[181:182], v[181:182], v[185:186], v[183:184]
	v_div_scale_f64 v[183:184], null, v[181:182], v[181:182], 1.0
	v_rcp_f64_e32 v[187:188], v[183:184]
	v_fma_f64 v[189:190], -v[183:184], v[187:188], 1.0
	v_fma_f64 v[187:188], v[187:188], v[189:190], v[187:188]
	v_fma_f64 v[189:190], -v[183:184], v[187:188], 1.0
	v_fma_f64 v[187:188], v[187:188], v[189:190], v[187:188]
	v_div_scale_f64 v[189:190], vcc_lo, 1.0, v[181:182], 1.0
	v_mul_f64 v[191:192], v[189:190], v[187:188]
	v_fma_f64 v[183:184], -v[183:184], v[191:192], v[189:190]
	v_div_fmas_f64 v[183:184], v[183:184], v[187:188], v[191:192]
	v_div_fixup_f64 v[187:188], v[183:184], v[181:182], 1.0
                                        ; implicit-def: $vgpr181_vgpr182
	v_mul_f64 v[185:186], v[185:186], v[187:188]
	v_xor_b32_e32 v188, 0x80000000, v188
.LBB89_113:
	s_andn2_saveexec_b32 s1, s1
	s_cbranch_execz .LBB89_115
; %bb.114:
	v_div_scale_f64 v[185:186], null, v[181:182], v[181:182], v[183:184]
	v_div_scale_f64 v[191:192], vcc_lo, v[183:184], v[181:182], v[183:184]
	v_rcp_f64_e32 v[187:188], v[185:186]
	v_fma_f64 v[189:190], -v[185:186], v[187:188], 1.0
	v_fma_f64 v[187:188], v[187:188], v[189:190], v[187:188]
	v_fma_f64 v[189:190], -v[185:186], v[187:188], 1.0
	v_fma_f64 v[187:188], v[187:188], v[189:190], v[187:188]
	v_mul_f64 v[189:190], v[191:192], v[187:188]
	v_fma_f64 v[185:186], -v[185:186], v[189:190], v[191:192]
	v_div_fmas_f64 v[185:186], v[185:186], v[187:188], v[189:190]
	v_div_fixup_f64 v[187:188], v[185:186], v[181:182], v[183:184]
	v_fma_f64 v[181:182], v[183:184], v[187:188], v[181:182]
	v_div_scale_f64 v[183:184], null, v[181:182], v[181:182], 1.0
	v_rcp_f64_e32 v[185:186], v[183:184]
	v_fma_f64 v[189:190], -v[183:184], v[185:186], 1.0
	v_fma_f64 v[185:186], v[185:186], v[189:190], v[185:186]
	v_fma_f64 v[189:190], -v[183:184], v[185:186], 1.0
	v_fma_f64 v[185:186], v[185:186], v[189:190], v[185:186]
	v_div_scale_f64 v[189:190], vcc_lo, 1.0, v[181:182], 1.0
	v_mul_f64 v[191:192], v[189:190], v[185:186]
	v_fma_f64 v[183:184], -v[183:184], v[191:192], v[189:190]
	v_div_fmas_f64 v[183:184], v[183:184], v[185:186], v[191:192]
	v_div_fixup_f64 v[185:186], v[183:184], v[181:182], 1.0
	v_mul_f64 v[187:188], v[187:188], -v[185:186]
.LBB89_115:
	s_or_b32 exec_lo, exec_lo, s1
	ds_write2_b64 v255, v[185:186], v[187:188] offset1:1
.LBB89_116:
	s_or_b32 exec_lo, exec_lo, s2
	s_waitcnt lgkmcnt(0)
	s_barrier
	buffer_gl0_inv
	ds_read2_b64 v[181:184], v255 offset1:1
	s_mov_b32 s1, exec_lo
	s_waitcnt lgkmcnt(0)
	buffer_store_dword v181, off, s[16:19], 0 offset:432 ; 4-byte Folded Spill
	buffer_store_dword v182, off, s[16:19], 0 offset:436 ; 4-byte Folded Spill
	;; [unrolled: 1-line block ×4, first 2 shown]
	v_cmpx_lt_u32_e32 12, v0
	s_cbranch_execz .LBB89_118
; %bb.117:
	s_clause 0x3
	buffer_load_dword v183, off, s[16:19], 0 offset:432
	buffer_load_dword v184, off, s[16:19], 0 offset:436
	;; [unrolled: 1-line block ×4, first 2 shown]
	s_waitcnt vmcnt(0)
	v_mul_f64 v[181:182], v[185:186], v[131:132]
	v_mul_f64 v[131:132], v[183:184], v[131:132]
	v_fma_f64 v[181:182], v[183:184], v[129:130], -v[181:182]
	v_fma_f64 v[131:132], v[185:186], v[129:130], v[131:132]
	ds_read2_b64 v[183:186], v253 offset0:26 offset1:27
	s_waitcnt lgkmcnt(0)
	v_mul_f64 v[129:130], v[185:186], v[131:132]
	v_fma_f64 v[129:130], v[183:184], v[181:182], -v[129:130]
	v_mul_f64 v[183:184], v[183:184], v[131:132]
	v_add_f64 v[125:126], v[125:126], -v[129:130]
	v_fma_f64 v[183:184], v[185:186], v[181:182], v[183:184]
	v_add_f64 v[127:128], v[127:128], -v[183:184]
	ds_read2_b64 v[183:186], v253 offset0:28 offset1:29
	s_waitcnt lgkmcnt(0)
	v_mul_f64 v[129:130], v[185:186], v[131:132]
	v_fma_f64 v[129:130], v[183:184], v[181:182], -v[129:130]
	v_mul_f64 v[183:184], v[183:184], v[131:132]
	v_add_f64 v[121:122], v[121:122], -v[129:130]
	v_fma_f64 v[183:184], v[185:186], v[181:182], v[183:184]
	v_add_f64 v[123:124], v[123:124], -v[183:184]
	;; [unrolled: 8-line block ×31, first 2 shown]
	ds_read2_b64 v[183:186], v253 offset0:88 offset1:89
	s_waitcnt lgkmcnt(0)
	v_mul_f64 v[129:130], v[185:186], v[131:132]
	v_fma_f64 v[129:130], v[183:184], v[181:182], -v[129:130]
	v_mul_f64 v[183:184], v[183:184], v[131:132]
	v_add_f64 v[1:2], v[1:2], -v[129:130]
	v_fma_f64 v[183:184], v[185:186], v[181:182], v[183:184]
	v_mov_b32_e32 v129, v181
	v_mov_b32_e32 v130, v182
	v_add_f64 v[3:4], v[3:4], -v[183:184]
.LBB89_118:
	s_or_b32 exec_lo, exec_lo, s1
	s_mov_b32 s2, exec_lo
	s_waitcnt_vscnt null, 0x0
	s_barrier
	buffer_gl0_inv
	v_cmpx_eq_u32_e32 13, v0
	s_cbranch_execz .LBB89_125
; %bb.119:
	ds_write2_b64 v255, v[125:126], v[127:128] offset1:1
	ds_write2_b64 v253, v[121:122], v[123:124] offset0:28 offset1:29
	ds_write2_b64 v253, v[117:118], v[119:120] offset0:30 offset1:31
	;; [unrolled: 1-line block ×31, first 2 shown]
	ds_read2_b64 v[181:184], v255 offset1:1
	s_waitcnt lgkmcnt(0)
	v_cmp_neq_f64_e32 vcc_lo, 0, v[181:182]
	v_cmp_neq_f64_e64 s1, 0, v[183:184]
	s_or_b32 s1, vcc_lo, s1
	s_and_b32 exec_lo, exec_lo, s1
	s_cbranch_execz .LBB89_125
; %bb.120:
	v_cmp_ngt_f64_e64 s1, |v[181:182]|, |v[183:184]|
                                        ; implicit-def: $vgpr185_vgpr186
	s_and_saveexec_b32 s3, s1
	s_xor_b32 s1, exec_lo, s3
                                        ; implicit-def: $vgpr187_vgpr188
	s_cbranch_execz .LBB89_122
; %bb.121:
	v_div_scale_f64 v[185:186], null, v[183:184], v[183:184], v[181:182]
	v_div_scale_f64 v[191:192], vcc_lo, v[181:182], v[183:184], v[181:182]
	v_rcp_f64_e32 v[187:188], v[185:186]
	v_fma_f64 v[189:190], -v[185:186], v[187:188], 1.0
	v_fma_f64 v[187:188], v[187:188], v[189:190], v[187:188]
	v_fma_f64 v[189:190], -v[185:186], v[187:188], 1.0
	v_fma_f64 v[187:188], v[187:188], v[189:190], v[187:188]
	v_mul_f64 v[189:190], v[191:192], v[187:188]
	v_fma_f64 v[185:186], -v[185:186], v[189:190], v[191:192]
	v_div_fmas_f64 v[185:186], v[185:186], v[187:188], v[189:190]
	v_div_fixup_f64 v[185:186], v[185:186], v[183:184], v[181:182]
	v_fma_f64 v[181:182], v[181:182], v[185:186], v[183:184]
	v_div_scale_f64 v[183:184], null, v[181:182], v[181:182], 1.0
	v_rcp_f64_e32 v[187:188], v[183:184]
	v_fma_f64 v[189:190], -v[183:184], v[187:188], 1.0
	v_fma_f64 v[187:188], v[187:188], v[189:190], v[187:188]
	v_fma_f64 v[189:190], -v[183:184], v[187:188], 1.0
	v_fma_f64 v[187:188], v[187:188], v[189:190], v[187:188]
	v_div_scale_f64 v[189:190], vcc_lo, 1.0, v[181:182], 1.0
	v_mul_f64 v[191:192], v[189:190], v[187:188]
	v_fma_f64 v[183:184], -v[183:184], v[191:192], v[189:190]
	v_div_fmas_f64 v[183:184], v[183:184], v[187:188], v[191:192]
	v_div_fixup_f64 v[187:188], v[183:184], v[181:182], 1.0
                                        ; implicit-def: $vgpr181_vgpr182
	v_mul_f64 v[185:186], v[185:186], v[187:188]
	v_xor_b32_e32 v188, 0x80000000, v188
.LBB89_122:
	s_andn2_saveexec_b32 s1, s1
	s_cbranch_execz .LBB89_124
; %bb.123:
	v_div_scale_f64 v[185:186], null, v[181:182], v[181:182], v[183:184]
	v_div_scale_f64 v[191:192], vcc_lo, v[183:184], v[181:182], v[183:184]
	v_rcp_f64_e32 v[187:188], v[185:186]
	v_fma_f64 v[189:190], -v[185:186], v[187:188], 1.0
	v_fma_f64 v[187:188], v[187:188], v[189:190], v[187:188]
	v_fma_f64 v[189:190], -v[185:186], v[187:188], 1.0
	v_fma_f64 v[187:188], v[187:188], v[189:190], v[187:188]
	v_mul_f64 v[189:190], v[191:192], v[187:188]
	v_fma_f64 v[185:186], -v[185:186], v[189:190], v[191:192]
	v_div_fmas_f64 v[185:186], v[185:186], v[187:188], v[189:190]
	v_div_fixup_f64 v[187:188], v[185:186], v[181:182], v[183:184]
	v_fma_f64 v[181:182], v[183:184], v[187:188], v[181:182]
	v_div_scale_f64 v[183:184], null, v[181:182], v[181:182], 1.0
	v_rcp_f64_e32 v[185:186], v[183:184]
	v_fma_f64 v[189:190], -v[183:184], v[185:186], 1.0
	v_fma_f64 v[185:186], v[185:186], v[189:190], v[185:186]
	v_fma_f64 v[189:190], -v[183:184], v[185:186], 1.0
	v_fma_f64 v[185:186], v[185:186], v[189:190], v[185:186]
	v_div_scale_f64 v[189:190], vcc_lo, 1.0, v[181:182], 1.0
	v_mul_f64 v[191:192], v[189:190], v[185:186]
	v_fma_f64 v[183:184], -v[183:184], v[191:192], v[189:190]
	v_div_fmas_f64 v[183:184], v[183:184], v[185:186], v[191:192]
	v_div_fixup_f64 v[185:186], v[183:184], v[181:182], 1.0
	v_mul_f64 v[187:188], v[187:188], -v[185:186]
.LBB89_124:
	s_or_b32 exec_lo, exec_lo, s1
	ds_write2_b64 v255, v[185:186], v[187:188] offset1:1
.LBB89_125:
	s_or_b32 exec_lo, exec_lo, s2
	s_waitcnt lgkmcnt(0)
	s_barrier
	buffer_gl0_inv
	ds_read2_b64 v[181:184], v255 offset1:1
	s_mov_b32 s1, exec_lo
	s_waitcnt lgkmcnt(0)
	buffer_store_dword v181, off, s[16:19], 0 offset:448 ; 4-byte Folded Spill
	buffer_store_dword v182, off, s[16:19], 0 offset:452 ; 4-byte Folded Spill
	;; [unrolled: 1-line block ×4, first 2 shown]
	v_cmpx_lt_u32_e32 13, v0
	s_cbranch_execz .LBB89_127
; %bb.126:
	s_clause 0x3
	buffer_load_dword v183, off, s[16:19], 0 offset:448
	buffer_load_dword v184, off, s[16:19], 0 offset:452
	;; [unrolled: 1-line block ×4, first 2 shown]
	s_waitcnt vmcnt(0)
	v_mul_f64 v[181:182], v[185:186], v[127:128]
	v_mul_f64 v[127:128], v[183:184], v[127:128]
	v_fma_f64 v[181:182], v[183:184], v[125:126], -v[181:182]
	v_fma_f64 v[127:128], v[185:186], v[125:126], v[127:128]
	ds_read2_b64 v[183:186], v253 offset0:28 offset1:29
	s_waitcnt lgkmcnt(0)
	v_mul_f64 v[125:126], v[185:186], v[127:128]
	v_fma_f64 v[125:126], v[183:184], v[181:182], -v[125:126]
	v_mul_f64 v[183:184], v[183:184], v[127:128]
	v_add_f64 v[121:122], v[121:122], -v[125:126]
	v_fma_f64 v[183:184], v[185:186], v[181:182], v[183:184]
	v_add_f64 v[123:124], v[123:124], -v[183:184]
	ds_read2_b64 v[183:186], v253 offset0:30 offset1:31
	s_waitcnt lgkmcnt(0)
	v_mul_f64 v[125:126], v[185:186], v[127:128]
	v_fma_f64 v[125:126], v[183:184], v[181:182], -v[125:126]
	v_mul_f64 v[183:184], v[183:184], v[127:128]
	v_add_f64 v[117:118], v[117:118], -v[125:126]
	v_fma_f64 v[183:184], v[185:186], v[181:182], v[183:184]
	v_add_f64 v[119:120], v[119:120], -v[183:184]
	;; [unrolled: 8-line block ×30, first 2 shown]
	ds_read2_b64 v[183:186], v253 offset0:88 offset1:89
	s_waitcnt lgkmcnt(0)
	v_mul_f64 v[125:126], v[185:186], v[127:128]
	v_fma_f64 v[125:126], v[183:184], v[181:182], -v[125:126]
	v_mul_f64 v[183:184], v[183:184], v[127:128]
	v_add_f64 v[1:2], v[1:2], -v[125:126]
	v_fma_f64 v[183:184], v[185:186], v[181:182], v[183:184]
	v_mov_b32_e32 v125, v181
	v_mov_b32_e32 v126, v182
	v_add_f64 v[3:4], v[3:4], -v[183:184]
.LBB89_127:
	s_or_b32 exec_lo, exec_lo, s1
	s_mov_b32 s2, exec_lo
	s_waitcnt_vscnt null, 0x0
	s_barrier
	buffer_gl0_inv
	v_cmpx_eq_u32_e32 14, v0
	s_cbranch_execz .LBB89_134
; %bb.128:
	ds_write2_b64 v255, v[121:122], v[123:124] offset1:1
	ds_write2_b64 v253, v[117:118], v[119:120] offset0:30 offset1:31
	ds_write2_b64 v253, v[113:114], v[115:116] offset0:32 offset1:33
	;; [unrolled: 1-line block ×30, first 2 shown]
	ds_read2_b64 v[181:184], v255 offset1:1
	s_waitcnt lgkmcnt(0)
	v_cmp_neq_f64_e32 vcc_lo, 0, v[181:182]
	v_cmp_neq_f64_e64 s1, 0, v[183:184]
	s_or_b32 s1, vcc_lo, s1
	s_and_b32 exec_lo, exec_lo, s1
	s_cbranch_execz .LBB89_134
; %bb.129:
	v_cmp_ngt_f64_e64 s1, |v[181:182]|, |v[183:184]|
                                        ; implicit-def: $vgpr185_vgpr186
	s_and_saveexec_b32 s3, s1
	s_xor_b32 s1, exec_lo, s3
                                        ; implicit-def: $vgpr187_vgpr188
	s_cbranch_execz .LBB89_131
; %bb.130:
	v_div_scale_f64 v[185:186], null, v[183:184], v[183:184], v[181:182]
	v_div_scale_f64 v[191:192], vcc_lo, v[181:182], v[183:184], v[181:182]
	v_rcp_f64_e32 v[187:188], v[185:186]
	v_fma_f64 v[189:190], -v[185:186], v[187:188], 1.0
	v_fma_f64 v[187:188], v[187:188], v[189:190], v[187:188]
	v_fma_f64 v[189:190], -v[185:186], v[187:188], 1.0
	v_fma_f64 v[187:188], v[187:188], v[189:190], v[187:188]
	v_mul_f64 v[189:190], v[191:192], v[187:188]
	v_fma_f64 v[185:186], -v[185:186], v[189:190], v[191:192]
	v_div_fmas_f64 v[185:186], v[185:186], v[187:188], v[189:190]
	v_div_fixup_f64 v[185:186], v[185:186], v[183:184], v[181:182]
	v_fma_f64 v[181:182], v[181:182], v[185:186], v[183:184]
	v_div_scale_f64 v[183:184], null, v[181:182], v[181:182], 1.0
	v_rcp_f64_e32 v[187:188], v[183:184]
	v_fma_f64 v[189:190], -v[183:184], v[187:188], 1.0
	v_fma_f64 v[187:188], v[187:188], v[189:190], v[187:188]
	v_fma_f64 v[189:190], -v[183:184], v[187:188], 1.0
	v_fma_f64 v[187:188], v[187:188], v[189:190], v[187:188]
	v_div_scale_f64 v[189:190], vcc_lo, 1.0, v[181:182], 1.0
	v_mul_f64 v[191:192], v[189:190], v[187:188]
	v_fma_f64 v[183:184], -v[183:184], v[191:192], v[189:190]
	v_div_fmas_f64 v[183:184], v[183:184], v[187:188], v[191:192]
	v_div_fixup_f64 v[187:188], v[183:184], v[181:182], 1.0
                                        ; implicit-def: $vgpr181_vgpr182
	v_mul_f64 v[185:186], v[185:186], v[187:188]
	v_xor_b32_e32 v188, 0x80000000, v188
.LBB89_131:
	s_andn2_saveexec_b32 s1, s1
	s_cbranch_execz .LBB89_133
; %bb.132:
	v_div_scale_f64 v[185:186], null, v[181:182], v[181:182], v[183:184]
	v_div_scale_f64 v[191:192], vcc_lo, v[183:184], v[181:182], v[183:184]
	v_rcp_f64_e32 v[187:188], v[185:186]
	v_fma_f64 v[189:190], -v[185:186], v[187:188], 1.0
	v_fma_f64 v[187:188], v[187:188], v[189:190], v[187:188]
	v_fma_f64 v[189:190], -v[185:186], v[187:188], 1.0
	v_fma_f64 v[187:188], v[187:188], v[189:190], v[187:188]
	v_mul_f64 v[189:190], v[191:192], v[187:188]
	v_fma_f64 v[185:186], -v[185:186], v[189:190], v[191:192]
	v_div_fmas_f64 v[185:186], v[185:186], v[187:188], v[189:190]
	v_div_fixup_f64 v[187:188], v[185:186], v[181:182], v[183:184]
	v_fma_f64 v[181:182], v[183:184], v[187:188], v[181:182]
	v_div_scale_f64 v[183:184], null, v[181:182], v[181:182], 1.0
	v_rcp_f64_e32 v[185:186], v[183:184]
	v_fma_f64 v[189:190], -v[183:184], v[185:186], 1.0
	v_fma_f64 v[185:186], v[185:186], v[189:190], v[185:186]
	v_fma_f64 v[189:190], -v[183:184], v[185:186], 1.0
	v_fma_f64 v[185:186], v[185:186], v[189:190], v[185:186]
	v_div_scale_f64 v[189:190], vcc_lo, 1.0, v[181:182], 1.0
	v_mul_f64 v[191:192], v[189:190], v[185:186]
	v_fma_f64 v[183:184], -v[183:184], v[191:192], v[189:190]
	v_div_fmas_f64 v[183:184], v[183:184], v[185:186], v[191:192]
	v_div_fixup_f64 v[185:186], v[183:184], v[181:182], 1.0
	v_mul_f64 v[187:188], v[187:188], -v[185:186]
.LBB89_133:
	s_or_b32 exec_lo, exec_lo, s1
	ds_write2_b64 v255, v[185:186], v[187:188] offset1:1
.LBB89_134:
	s_or_b32 exec_lo, exec_lo, s2
	s_waitcnt lgkmcnt(0)
	s_barrier
	buffer_gl0_inv
	ds_read2_b64 v[181:184], v255 offset1:1
	s_mov_b32 s1, exec_lo
	s_waitcnt lgkmcnt(0)
	buffer_store_dword v181, off, s[16:19], 0 offset:464 ; 4-byte Folded Spill
	buffer_store_dword v182, off, s[16:19], 0 offset:468 ; 4-byte Folded Spill
	;; [unrolled: 1-line block ×4, first 2 shown]
	v_cmpx_lt_u32_e32 14, v0
	s_cbranch_execz .LBB89_136
; %bb.135:
	s_clause 0x3
	buffer_load_dword v183, off, s[16:19], 0 offset:464
	buffer_load_dword v184, off, s[16:19], 0 offset:468
	;; [unrolled: 1-line block ×4, first 2 shown]
	s_waitcnt vmcnt(0)
	v_mul_f64 v[181:182], v[185:186], v[123:124]
	v_mul_f64 v[123:124], v[183:184], v[123:124]
	v_fma_f64 v[181:182], v[183:184], v[121:122], -v[181:182]
	v_fma_f64 v[123:124], v[185:186], v[121:122], v[123:124]
	ds_read2_b64 v[183:186], v253 offset0:30 offset1:31
	s_waitcnt lgkmcnt(0)
	v_mul_f64 v[121:122], v[185:186], v[123:124]
	v_fma_f64 v[121:122], v[183:184], v[181:182], -v[121:122]
	v_mul_f64 v[183:184], v[183:184], v[123:124]
	v_add_f64 v[117:118], v[117:118], -v[121:122]
	v_fma_f64 v[183:184], v[185:186], v[181:182], v[183:184]
	v_add_f64 v[119:120], v[119:120], -v[183:184]
	ds_read2_b64 v[183:186], v253 offset0:32 offset1:33
	s_waitcnt lgkmcnt(0)
	v_mul_f64 v[121:122], v[185:186], v[123:124]
	v_fma_f64 v[121:122], v[183:184], v[181:182], -v[121:122]
	v_mul_f64 v[183:184], v[183:184], v[123:124]
	v_add_f64 v[113:114], v[113:114], -v[121:122]
	v_fma_f64 v[183:184], v[185:186], v[181:182], v[183:184]
	v_add_f64 v[115:116], v[115:116], -v[183:184]
	;; [unrolled: 8-line block ×29, first 2 shown]
	ds_read2_b64 v[183:186], v253 offset0:88 offset1:89
	s_waitcnt lgkmcnt(0)
	v_mul_f64 v[121:122], v[185:186], v[123:124]
	v_fma_f64 v[121:122], v[183:184], v[181:182], -v[121:122]
	v_mul_f64 v[183:184], v[183:184], v[123:124]
	v_add_f64 v[1:2], v[1:2], -v[121:122]
	v_fma_f64 v[183:184], v[185:186], v[181:182], v[183:184]
	v_mov_b32_e32 v121, v181
	v_mov_b32_e32 v122, v182
	v_add_f64 v[3:4], v[3:4], -v[183:184]
.LBB89_136:
	s_or_b32 exec_lo, exec_lo, s1
	s_mov_b32 s2, exec_lo
	s_waitcnt_vscnt null, 0x0
	s_barrier
	buffer_gl0_inv
	v_cmpx_eq_u32_e32 15, v0
	s_cbranch_execz .LBB89_143
; %bb.137:
	ds_write2_b64 v255, v[117:118], v[119:120] offset1:1
	ds_write2_b64 v253, v[113:114], v[115:116] offset0:32 offset1:33
	ds_write2_b64 v253, v[109:110], v[111:112] offset0:34 offset1:35
	;; [unrolled: 1-line block ×29, first 2 shown]
	ds_read2_b64 v[181:184], v255 offset1:1
	s_waitcnt lgkmcnt(0)
	v_cmp_neq_f64_e32 vcc_lo, 0, v[181:182]
	v_cmp_neq_f64_e64 s1, 0, v[183:184]
	s_or_b32 s1, vcc_lo, s1
	s_and_b32 exec_lo, exec_lo, s1
	s_cbranch_execz .LBB89_143
; %bb.138:
	v_cmp_ngt_f64_e64 s1, |v[181:182]|, |v[183:184]|
                                        ; implicit-def: $vgpr185_vgpr186
	s_and_saveexec_b32 s3, s1
	s_xor_b32 s1, exec_lo, s3
                                        ; implicit-def: $vgpr187_vgpr188
	s_cbranch_execz .LBB89_140
; %bb.139:
	v_div_scale_f64 v[185:186], null, v[183:184], v[183:184], v[181:182]
	v_div_scale_f64 v[191:192], vcc_lo, v[181:182], v[183:184], v[181:182]
	v_rcp_f64_e32 v[187:188], v[185:186]
	v_fma_f64 v[189:190], -v[185:186], v[187:188], 1.0
	v_fma_f64 v[187:188], v[187:188], v[189:190], v[187:188]
	v_fma_f64 v[189:190], -v[185:186], v[187:188], 1.0
	v_fma_f64 v[187:188], v[187:188], v[189:190], v[187:188]
	v_mul_f64 v[189:190], v[191:192], v[187:188]
	v_fma_f64 v[185:186], -v[185:186], v[189:190], v[191:192]
	v_div_fmas_f64 v[185:186], v[185:186], v[187:188], v[189:190]
	v_div_fixup_f64 v[185:186], v[185:186], v[183:184], v[181:182]
	v_fma_f64 v[181:182], v[181:182], v[185:186], v[183:184]
	v_div_scale_f64 v[183:184], null, v[181:182], v[181:182], 1.0
	v_rcp_f64_e32 v[187:188], v[183:184]
	v_fma_f64 v[189:190], -v[183:184], v[187:188], 1.0
	v_fma_f64 v[187:188], v[187:188], v[189:190], v[187:188]
	v_fma_f64 v[189:190], -v[183:184], v[187:188], 1.0
	v_fma_f64 v[187:188], v[187:188], v[189:190], v[187:188]
	v_div_scale_f64 v[189:190], vcc_lo, 1.0, v[181:182], 1.0
	v_mul_f64 v[191:192], v[189:190], v[187:188]
	v_fma_f64 v[183:184], -v[183:184], v[191:192], v[189:190]
	v_div_fmas_f64 v[183:184], v[183:184], v[187:188], v[191:192]
	v_div_fixup_f64 v[187:188], v[183:184], v[181:182], 1.0
                                        ; implicit-def: $vgpr181_vgpr182
	v_mul_f64 v[185:186], v[185:186], v[187:188]
	v_xor_b32_e32 v188, 0x80000000, v188
.LBB89_140:
	s_andn2_saveexec_b32 s1, s1
	s_cbranch_execz .LBB89_142
; %bb.141:
	v_div_scale_f64 v[185:186], null, v[181:182], v[181:182], v[183:184]
	v_div_scale_f64 v[191:192], vcc_lo, v[183:184], v[181:182], v[183:184]
	v_rcp_f64_e32 v[187:188], v[185:186]
	v_fma_f64 v[189:190], -v[185:186], v[187:188], 1.0
	v_fma_f64 v[187:188], v[187:188], v[189:190], v[187:188]
	v_fma_f64 v[189:190], -v[185:186], v[187:188], 1.0
	v_fma_f64 v[187:188], v[187:188], v[189:190], v[187:188]
	v_mul_f64 v[189:190], v[191:192], v[187:188]
	v_fma_f64 v[185:186], -v[185:186], v[189:190], v[191:192]
	v_div_fmas_f64 v[185:186], v[185:186], v[187:188], v[189:190]
	v_div_fixup_f64 v[187:188], v[185:186], v[181:182], v[183:184]
	v_fma_f64 v[181:182], v[183:184], v[187:188], v[181:182]
	v_div_scale_f64 v[183:184], null, v[181:182], v[181:182], 1.0
	v_rcp_f64_e32 v[185:186], v[183:184]
	v_fma_f64 v[189:190], -v[183:184], v[185:186], 1.0
	v_fma_f64 v[185:186], v[185:186], v[189:190], v[185:186]
	v_fma_f64 v[189:190], -v[183:184], v[185:186], 1.0
	v_fma_f64 v[185:186], v[185:186], v[189:190], v[185:186]
	v_div_scale_f64 v[189:190], vcc_lo, 1.0, v[181:182], 1.0
	v_mul_f64 v[191:192], v[189:190], v[185:186]
	v_fma_f64 v[183:184], -v[183:184], v[191:192], v[189:190]
	v_div_fmas_f64 v[183:184], v[183:184], v[185:186], v[191:192]
	v_div_fixup_f64 v[185:186], v[183:184], v[181:182], 1.0
	v_mul_f64 v[187:188], v[187:188], -v[185:186]
.LBB89_142:
	s_or_b32 exec_lo, exec_lo, s1
	ds_write2_b64 v255, v[185:186], v[187:188] offset1:1
.LBB89_143:
	s_or_b32 exec_lo, exec_lo, s2
	s_waitcnt lgkmcnt(0)
	s_barrier
	buffer_gl0_inv
	ds_read2_b64 v[181:184], v255 offset1:1
	s_mov_b32 s1, exec_lo
	s_waitcnt lgkmcnt(0)
	buffer_store_dword v181, off, s[16:19], 0 offset:480 ; 4-byte Folded Spill
	buffer_store_dword v182, off, s[16:19], 0 offset:484 ; 4-byte Folded Spill
	;; [unrolled: 1-line block ×4, first 2 shown]
	v_cmpx_lt_u32_e32 15, v0
	s_cbranch_execz .LBB89_145
; %bb.144:
	s_clause 0x3
	buffer_load_dword v183, off, s[16:19], 0 offset:480
	buffer_load_dword v184, off, s[16:19], 0 offset:484
	;; [unrolled: 1-line block ×4, first 2 shown]
	s_waitcnt vmcnt(0)
	v_mul_f64 v[181:182], v[185:186], v[119:120]
	v_mul_f64 v[119:120], v[183:184], v[119:120]
	v_fma_f64 v[181:182], v[183:184], v[117:118], -v[181:182]
	v_fma_f64 v[119:120], v[185:186], v[117:118], v[119:120]
	ds_read2_b64 v[183:186], v253 offset0:32 offset1:33
	s_waitcnt lgkmcnt(0)
	v_mul_f64 v[117:118], v[185:186], v[119:120]
	v_fma_f64 v[117:118], v[183:184], v[181:182], -v[117:118]
	v_mul_f64 v[183:184], v[183:184], v[119:120]
	v_add_f64 v[113:114], v[113:114], -v[117:118]
	v_fma_f64 v[183:184], v[185:186], v[181:182], v[183:184]
	v_add_f64 v[115:116], v[115:116], -v[183:184]
	ds_read2_b64 v[183:186], v253 offset0:34 offset1:35
	s_waitcnt lgkmcnt(0)
	v_mul_f64 v[117:118], v[185:186], v[119:120]
	v_fma_f64 v[117:118], v[183:184], v[181:182], -v[117:118]
	v_mul_f64 v[183:184], v[183:184], v[119:120]
	v_add_f64 v[109:110], v[109:110], -v[117:118]
	v_fma_f64 v[183:184], v[185:186], v[181:182], v[183:184]
	v_add_f64 v[111:112], v[111:112], -v[183:184]
	;; [unrolled: 8-line block ×28, first 2 shown]
	ds_read2_b64 v[183:186], v253 offset0:88 offset1:89
	s_waitcnt lgkmcnt(0)
	v_mul_f64 v[117:118], v[185:186], v[119:120]
	v_fma_f64 v[117:118], v[183:184], v[181:182], -v[117:118]
	v_mul_f64 v[183:184], v[183:184], v[119:120]
	v_add_f64 v[1:2], v[1:2], -v[117:118]
	v_fma_f64 v[183:184], v[185:186], v[181:182], v[183:184]
	v_mov_b32_e32 v117, v181
	v_mov_b32_e32 v118, v182
	v_add_f64 v[3:4], v[3:4], -v[183:184]
.LBB89_145:
	s_or_b32 exec_lo, exec_lo, s1
	s_mov_b32 s2, exec_lo
	s_waitcnt_vscnt null, 0x0
	s_barrier
	buffer_gl0_inv
	v_cmpx_eq_u32_e32 16, v0
	s_cbranch_execz .LBB89_152
; %bb.146:
	ds_write2_b64 v255, v[113:114], v[115:116] offset1:1
	ds_write2_b64 v253, v[109:110], v[111:112] offset0:34 offset1:35
	ds_write2_b64 v253, v[105:106], v[107:108] offset0:36 offset1:37
	;; [unrolled: 1-line block ×28, first 2 shown]
	ds_read2_b64 v[181:184], v255 offset1:1
	s_waitcnt lgkmcnt(0)
	v_cmp_neq_f64_e32 vcc_lo, 0, v[181:182]
	v_cmp_neq_f64_e64 s1, 0, v[183:184]
	s_or_b32 s1, vcc_lo, s1
	s_and_b32 exec_lo, exec_lo, s1
	s_cbranch_execz .LBB89_152
; %bb.147:
	v_cmp_ngt_f64_e64 s1, |v[181:182]|, |v[183:184]|
                                        ; implicit-def: $vgpr185_vgpr186
	s_and_saveexec_b32 s3, s1
	s_xor_b32 s1, exec_lo, s3
                                        ; implicit-def: $vgpr187_vgpr188
	s_cbranch_execz .LBB89_149
; %bb.148:
	v_div_scale_f64 v[185:186], null, v[183:184], v[183:184], v[181:182]
	v_div_scale_f64 v[191:192], vcc_lo, v[181:182], v[183:184], v[181:182]
	v_rcp_f64_e32 v[187:188], v[185:186]
	v_fma_f64 v[189:190], -v[185:186], v[187:188], 1.0
	v_fma_f64 v[187:188], v[187:188], v[189:190], v[187:188]
	v_fma_f64 v[189:190], -v[185:186], v[187:188], 1.0
	v_fma_f64 v[187:188], v[187:188], v[189:190], v[187:188]
	v_mul_f64 v[189:190], v[191:192], v[187:188]
	v_fma_f64 v[185:186], -v[185:186], v[189:190], v[191:192]
	v_div_fmas_f64 v[185:186], v[185:186], v[187:188], v[189:190]
	v_div_fixup_f64 v[185:186], v[185:186], v[183:184], v[181:182]
	v_fma_f64 v[181:182], v[181:182], v[185:186], v[183:184]
	v_div_scale_f64 v[183:184], null, v[181:182], v[181:182], 1.0
	v_rcp_f64_e32 v[187:188], v[183:184]
	v_fma_f64 v[189:190], -v[183:184], v[187:188], 1.0
	v_fma_f64 v[187:188], v[187:188], v[189:190], v[187:188]
	v_fma_f64 v[189:190], -v[183:184], v[187:188], 1.0
	v_fma_f64 v[187:188], v[187:188], v[189:190], v[187:188]
	v_div_scale_f64 v[189:190], vcc_lo, 1.0, v[181:182], 1.0
	v_mul_f64 v[191:192], v[189:190], v[187:188]
	v_fma_f64 v[183:184], -v[183:184], v[191:192], v[189:190]
	v_div_fmas_f64 v[183:184], v[183:184], v[187:188], v[191:192]
	v_div_fixup_f64 v[187:188], v[183:184], v[181:182], 1.0
                                        ; implicit-def: $vgpr181_vgpr182
	v_mul_f64 v[185:186], v[185:186], v[187:188]
	v_xor_b32_e32 v188, 0x80000000, v188
.LBB89_149:
	s_andn2_saveexec_b32 s1, s1
	s_cbranch_execz .LBB89_151
; %bb.150:
	v_div_scale_f64 v[185:186], null, v[181:182], v[181:182], v[183:184]
	v_div_scale_f64 v[191:192], vcc_lo, v[183:184], v[181:182], v[183:184]
	v_rcp_f64_e32 v[187:188], v[185:186]
	v_fma_f64 v[189:190], -v[185:186], v[187:188], 1.0
	v_fma_f64 v[187:188], v[187:188], v[189:190], v[187:188]
	v_fma_f64 v[189:190], -v[185:186], v[187:188], 1.0
	v_fma_f64 v[187:188], v[187:188], v[189:190], v[187:188]
	v_mul_f64 v[189:190], v[191:192], v[187:188]
	v_fma_f64 v[185:186], -v[185:186], v[189:190], v[191:192]
	v_div_fmas_f64 v[185:186], v[185:186], v[187:188], v[189:190]
	v_div_fixup_f64 v[187:188], v[185:186], v[181:182], v[183:184]
	v_fma_f64 v[181:182], v[183:184], v[187:188], v[181:182]
	v_div_scale_f64 v[183:184], null, v[181:182], v[181:182], 1.0
	v_rcp_f64_e32 v[185:186], v[183:184]
	v_fma_f64 v[189:190], -v[183:184], v[185:186], 1.0
	v_fma_f64 v[185:186], v[185:186], v[189:190], v[185:186]
	v_fma_f64 v[189:190], -v[183:184], v[185:186], 1.0
	v_fma_f64 v[185:186], v[185:186], v[189:190], v[185:186]
	v_div_scale_f64 v[189:190], vcc_lo, 1.0, v[181:182], 1.0
	v_mul_f64 v[191:192], v[189:190], v[185:186]
	v_fma_f64 v[183:184], -v[183:184], v[191:192], v[189:190]
	v_div_fmas_f64 v[183:184], v[183:184], v[185:186], v[191:192]
	v_div_fixup_f64 v[185:186], v[183:184], v[181:182], 1.0
	v_mul_f64 v[187:188], v[187:188], -v[185:186]
.LBB89_151:
	s_or_b32 exec_lo, exec_lo, s1
	ds_write2_b64 v255, v[185:186], v[187:188] offset1:1
.LBB89_152:
	s_or_b32 exec_lo, exec_lo, s2
	s_waitcnt lgkmcnt(0)
	s_barrier
	buffer_gl0_inv
	ds_read2_b64 v[181:184], v255 offset1:1
	s_mov_b32 s1, exec_lo
	s_waitcnt lgkmcnt(0)
	buffer_store_dword v181, off, s[16:19], 0 offset:496 ; 4-byte Folded Spill
	buffer_store_dword v182, off, s[16:19], 0 offset:500 ; 4-byte Folded Spill
	;; [unrolled: 1-line block ×4, first 2 shown]
	v_cmpx_lt_u32_e32 16, v0
	s_cbranch_execz .LBB89_154
; %bb.153:
	s_clause 0x3
	buffer_load_dword v183, off, s[16:19], 0 offset:496
	buffer_load_dword v184, off, s[16:19], 0 offset:500
	buffer_load_dword v185, off, s[16:19], 0 offset:504
	buffer_load_dword v186, off, s[16:19], 0 offset:508
	s_waitcnt vmcnt(0)
	v_mul_f64 v[181:182], v[185:186], v[115:116]
	v_mul_f64 v[115:116], v[183:184], v[115:116]
	v_fma_f64 v[181:182], v[183:184], v[113:114], -v[181:182]
	v_fma_f64 v[115:116], v[185:186], v[113:114], v[115:116]
	ds_read2_b64 v[183:186], v253 offset0:34 offset1:35
	s_waitcnt lgkmcnt(0)
	v_mul_f64 v[113:114], v[185:186], v[115:116]
	v_fma_f64 v[113:114], v[183:184], v[181:182], -v[113:114]
	v_mul_f64 v[183:184], v[183:184], v[115:116]
	v_add_f64 v[109:110], v[109:110], -v[113:114]
	v_fma_f64 v[183:184], v[185:186], v[181:182], v[183:184]
	v_add_f64 v[111:112], v[111:112], -v[183:184]
	ds_read2_b64 v[183:186], v253 offset0:36 offset1:37
	s_waitcnt lgkmcnt(0)
	v_mul_f64 v[113:114], v[185:186], v[115:116]
	v_fma_f64 v[113:114], v[183:184], v[181:182], -v[113:114]
	v_mul_f64 v[183:184], v[183:184], v[115:116]
	v_add_f64 v[105:106], v[105:106], -v[113:114]
	v_fma_f64 v[183:184], v[185:186], v[181:182], v[183:184]
	v_add_f64 v[107:108], v[107:108], -v[183:184]
	;; [unrolled: 8-line block ×27, first 2 shown]
	ds_read2_b64 v[183:186], v253 offset0:88 offset1:89
	s_waitcnt lgkmcnt(0)
	v_mul_f64 v[113:114], v[185:186], v[115:116]
	v_fma_f64 v[113:114], v[183:184], v[181:182], -v[113:114]
	v_mul_f64 v[183:184], v[183:184], v[115:116]
	v_add_f64 v[1:2], v[1:2], -v[113:114]
	v_fma_f64 v[183:184], v[185:186], v[181:182], v[183:184]
	v_mov_b32_e32 v113, v181
	v_mov_b32_e32 v114, v182
	v_add_f64 v[3:4], v[3:4], -v[183:184]
.LBB89_154:
	s_or_b32 exec_lo, exec_lo, s1
	s_mov_b32 s2, exec_lo
	s_waitcnt_vscnt null, 0x0
	s_barrier
	buffer_gl0_inv
	v_cmpx_eq_u32_e32 17, v0
	s_cbranch_execz .LBB89_161
; %bb.155:
	ds_write2_b64 v255, v[109:110], v[111:112] offset1:1
	ds_write2_b64 v253, v[105:106], v[107:108] offset0:36 offset1:37
	ds_write2_b64 v253, v[101:102], v[103:104] offset0:38 offset1:39
	;; [unrolled: 1-line block ×27, first 2 shown]
	ds_read2_b64 v[181:184], v255 offset1:1
	s_waitcnt lgkmcnt(0)
	v_cmp_neq_f64_e32 vcc_lo, 0, v[181:182]
	v_cmp_neq_f64_e64 s1, 0, v[183:184]
	s_or_b32 s1, vcc_lo, s1
	s_and_b32 exec_lo, exec_lo, s1
	s_cbranch_execz .LBB89_161
; %bb.156:
	v_cmp_ngt_f64_e64 s1, |v[181:182]|, |v[183:184]|
                                        ; implicit-def: $vgpr185_vgpr186
	s_and_saveexec_b32 s3, s1
	s_xor_b32 s1, exec_lo, s3
                                        ; implicit-def: $vgpr187_vgpr188
	s_cbranch_execz .LBB89_158
; %bb.157:
	v_div_scale_f64 v[185:186], null, v[183:184], v[183:184], v[181:182]
	v_div_scale_f64 v[191:192], vcc_lo, v[181:182], v[183:184], v[181:182]
	v_rcp_f64_e32 v[187:188], v[185:186]
	v_fma_f64 v[189:190], -v[185:186], v[187:188], 1.0
	v_fma_f64 v[187:188], v[187:188], v[189:190], v[187:188]
	v_fma_f64 v[189:190], -v[185:186], v[187:188], 1.0
	v_fma_f64 v[187:188], v[187:188], v[189:190], v[187:188]
	v_mul_f64 v[189:190], v[191:192], v[187:188]
	v_fma_f64 v[185:186], -v[185:186], v[189:190], v[191:192]
	v_div_fmas_f64 v[185:186], v[185:186], v[187:188], v[189:190]
	v_div_fixup_f64 v[185:186], v[185:186], v[183:184], v[181:182]
	v_fma_f64 v[181:182], v[181:182], v[185:186], v[183:184]
	v_div_scale_f64 v[183:184], null, v[181:182], v[181:182], 1.0
	v_rcp_f64_e32 v[187:188], v[183:184]
	v_fma_f64 v[189:190], -v[183:184], v[187:188], 1.0
	v_fma_f64 v[187:188], v[187:188], v[189:190], v[187:188]
	v_fma_f64 v[189:190], -v[183:184], v[187:188], 1.0
	v_fma_f64 v[187:188], v[187:188], v[189:190], v[187:188]
	v_div_scale_f64 v[189:190], vcc_lo, 1.0, v[181:182], 1.0
	v_mul_f64 v[191:192], v[189:190], v[187:188]
	v_fma_f64 v[183:184], -v[183:184], v[191:192], v[189:190]
	v_div_fmas_f64 v[183:184], v[183:184], v[187:188], v[191:192]
	v_div_fixup_f64 v[187:188], v[183:184], v[181:182], 1.0
                                        ; implicit-def: $vgpr181_vgpr182
	v_mul_f64 v[185:186], v[185:186], v[187:188]
	v_xor_b32_e32 v188, 0x80000000, v188
.LBB89_158:
	s_andn2_saveexec_b32 s1, s1
	s_cbranch_execz .LBB89_160
; %bb.159:
	v_div_scale_f64 v[185:186], null, v[181:182], v[181:182], v[183:184]
	v_div_scale_f64 v[191:192], vcc_lo, v[183:184], v[181:182], v[183:184]
	v_rcp_f64_e32 v[187:188], v[185:186]
	v_fma_f64 v[189:190], -v[185:186], v[187:188], 1.0
	v_fma_f64 v[187:188], v[187:188], v[189:190], v[187:188]
	v_fma_f64 v[189:190], -v[185:186], v[187:188], 1.0
	v_fma_f64 v[187:188], v[187:188], v[189:190], v[187:188]
	v_mul_f64 v[189:190], v[191:192], v[187:188]
	v_fma_f64 v[185:186], -v[185:186], v[189:190], v[191:192]
	v_div_fmas_f64 v[185:186], v[185:186], v[187:188], v[189:190]
	v_div_fixup_f64 v[187:188], v[185:186], v[181:182], v[183:184]
	v_fma_f64 v[181:182], v[183:184], v[187:188], v[181:182]
	v_div_scale_f64 v[183:184], null, v[181:182], v[181:182], 1.0
	v_rcp_f64_e32 v[185:186], v[183:184]
	v_fma_f64 v[189:190], -v[183:184], v[185:186], 1.0
	v_fma_f64 v[185:186], v[185:186], v[189:190], v[185:186]
	v_fma_f64 v[189:190], -v[183:184], v[185:186], 1.0
	v_fma_f64 v[185:186], v[185:186], v[189:190], v[185:186]
	v_div_scale_f64 v[189:190], vcc_lo, 1.0, v[181:182], 1.0
	v_mul_f64 v[191:192], v[189:190], v[185:186]
	v_fma_f64 v[183:184], -v[183:184], v[191:192], v[189:190]
	v_div_fmas_f64 v[183:184], v[183:184], v[185:186], v[191:192]
	v_div_fixup_f64 v[185:186], v[183:184], v[181:182], 1.0
	v_mul_f64 v[187:188], v[187:188], -v[185:186]
.LBB89_160:
	s_or_b32 exec_lo, exec_lo, s1
	ds_write2_b64 v255, v[185:186], v[187:188] offset1:1
.LBB89_161:
	s_or_b32 exec_lo, exec_lo, s2
	s_waitcnt lgkmcnt(0)
	s_barrier
	buffer_gl0_inv
	ds_read2_b64 v[181:184], v255 offset1:1
	s_mov_b32 s1, exec_lo
	s_waitcnt lgkmcnt(0)
	buffer_store_dword v181, off, s[16:19], 0 offset:512 ; 4-byte Folded Spill
	buffer_store_dword v182, off, s[16:19], 0 offset:516 ; 4-byte Folded Spill
	;; [unrolled: 1-line block ×4, first 2 shown]
	v_cmpx_lt_u32_e32 17, v0
	s_cbranch_execz .LBB89_163
; %bb.162:
	s_clause 0x3
	buffer_load_dword v183, off, s[16:19], 0 offset:512
	buffer_load_dword v184, off, s[16:19], 0 offset:516
	buffer_load_dword v185, off, s[16:19], 0 offset:520
	buffer_load_dword v186, off, s[16:19], 0 offset:524
	s_waitcnt vmcnt(0)
	v_mul_f64 v[181:182], v[185:186], v[111:112]
	v_mul_f64 v[111:112], v[183:184], v[111:112]
	v_fma_f64 v[181:182], v[183:184], v[109:110], -v[181:182]
	v_fma_f64 v[111:112], v[185:186], v[109:110], v[111:112]
	ds_read2_b64 v[183:186], v253 offset0:36 offset1:37
	s_waitcnt lgkmcnt(0)
	v_mul_f64 v[109:110], v[185:186], v[111:112]
	v_fma_f64 v[109:110], v[183:184], v[181:182], -v[109:110]
	v_mul_f64 v[183:184], v[183:184], v[111:112]
	v_add_f64 v[105:106], v[105:106], -v[109:110]
	v_fma_f64 v[183:184], v[185:186], v[181:182], v[183:184]
	v_add_f64 v[107:108], v[107:108], -v[183:184]
	ds_read2_b64 v[183:186], v253 offset0:38 offset1:39
	s_waitcnt lgkmcnt(0)
	v_mul_f64 v[109:110], v[185:186], v[111:112]
	v_fma_f64 v[109:110], v[183:184], v[181:182], -v[109:110]
	v_mul_f64 v[183:184], v[183:184], v[111:112]
	v_add_f64 v[101:102], v[101:102], -v[109:110]
	v_fma_f64 v[183:184], v[185:186], v[181:182], v[183:184]
	v_add_f64 v[103:104], v[103:104], -v[183:184]
	;; [unrolled: 8-line block ×26, first 2 shown]
	ds_read2_b64 v[183:186], v253 offset0:88 offset1:89
	s_waitcnt lgkmcnt(0)
	v_mul_f64 v[109:110], v[185:186], v[111:112]
	v_fma_f64 v[109:110], v[183:184], v[181:182], -v[109:110]
	v_mul_f64 v[183:184], v[183:184], v[111:112]
	v_add_f64 v[1:2], v[1:2], -v[109:110]
	v_fma_f64 v[183:184], v[185:186], v[181:182], v[183:184]
	v_mov_b32_e32 v109, v181
	v_mov_b32_e32 v110, v182
	v_add_f64 v[3:4], v[3:4], -v[183:184]
.LBB89_163:
	s_or_b32 exec_lo, exec_lo, s1
	s_mov_b32 s2, exec_lo
	s_waitcnt_vscnt null, 0x0
	s_barrier
	buffer_gl0_inv
	v_cmpx_eq_u32_e32 18, v0
	s_cbranch_execz .LBB89_170
; %bb.164:
	ds_write2_b64 v255, v[105:106], v[107:108] offset1:1
	ds_write2_b64 v253, v[101:102], v[103:104] offset0:38 offset1:39
	ds_write2_b64 v253, v[97:98], v[99:100] offset0:40 offset1:41
	;; [unrolled: 1-line block ×26, first 2 shown]
	ds_read2_b64 v[181:184], v255 offset1:1
	s_waitcnt lgkmcnt(0)
	v_cmp_neq_f64_e32 vcc_lo, 0, v[181:182]
	v_cmp_neq_f64_e64 s1, 0, v[183:184]
	s_or_b32 s1, vcc_lo, s1
	s_and_b32 exec_lo, exec_lo, s1
	s_cbranch_execz .LBB89_170
; %bb.165:
	v_cmp_ngt_f64_e64 s1, |v[181:182]|, |v[183:184]|
                                        ; implicit-def: $vgpr185_vgpr186
	s_and_saveexec_b32 s3, s1
	s_xor_b32 s1, exec_lo, s3
                                        ; implicit-def: $vgpr187_vgpr188
	s_cbranch_execz .LBB89_167
; %bb.166:
	v_div_scale_f64 v[185:186], null, v[183:184], v[183:184], v[181:182]
	v_div_scale_f64 v[191:192], vcc_lo, v[181:182], v[183:184], v[181:182]
	v_rcp_f64_e32 v[187:188], v[185:186]
	v_fma_f64 v[189:190], -v[185:186], v[187:188], 1.0
	v_fma_f64 v[187:188], v[187:188], v[189:190], v[187:188]
	v_fma_f64 v[189:190], -v[185:186], v[187:188], 1.0
	v_fma_f64 v[187:188], v[187:188], v[189:190], v[187:188]
	v_mul_f64 v[189:190], v[191:192], v[187:188]
	v_fma_f64 v[185:186], -v[185:186], v[189:190], v[191:192]
	v_div_fmas_f64 v[185:186], v[185:186], v[187:188], v[189:190]
	v_div_fixup_f64 v[185:186], v[185:186], v[183:184], v[181:182]
	v_fma_f64 v[181:182], v[181:182], v[185:186], v[183:184]
	v_div_scale_f64 v[183:184], null, v[181:182], v[181:182], 1.0
	v_rcp_f64_e32 v[187:188], v[183:184]
	v_fma_f64 v[189:190], -v[183:184], v[187:188], 1.0
	v_fma_f64 v[187:188], v[187:188], v[189:190], v[187:188]
	v_fma_f64 v[189:190], -v[183:184], v[187:188], 1.0
	v_fma_f64 v[187:188], v[187:188], v[189:190], v[187:188]
	v_div_scale_f64 v[189:190], vcc_lo, 1.0, v[181:182], 1.0
	v_mul_f64 v[191:192], v[189:190], v[187:188]
	v_fma_f64 v[183:184], -v[183:184], v[191:192], v[189:190]
	v_div_fmas_f64 v[183:184], v[183:184], v[187:188], v[191:192]
	v_div_fixup_f64 v[187:188], v[183:184], v[181:182], 1.0
                                        ; implicit-def: $vgpr181_vgpr182
	v_mul_f64 v[185:186], v[185:186], v[187:188]
	v_xor_b32_e32 v188, 0x80000000, v188
.LBB89_167:
	s_andn2_saveexec_b32 s1, s1
	s_cbranch_execz .LBB89_169
; %bb.168:
	v_div_scale_f64 v[185:186], null, v[181:182], v[181:182], v[183:184]
	v_div_scale_f64 v[191:192], vcc_lo, v[183:184], v[181:182], v[183:184]
	v_rcp_f64_e32 v[187:188], v[185:186]
	v_fma_f64 v[189:190], -v[185:186], v[187:188], 1.0
	v_fma_f64 v[187:188], v[187:188], v[189:190], v[187:188]
	v_fma_f64 v[189:190], -v[185:186], v[187:188], 1.0
	v_fma_f64 v[187:188], v[187:188], v[189:190], v[187:188]
	v_mul_f64 v[189:190], v[191:192], v[187:188]
	v_fma_f64 v[185:186], -v[185:186], v[189:190], v[191:192]
	v_div_fmas_f64 v[185:186], v[185:186], v[187:188], v[189:190]
	v_div_fixup_f64 v[187:188], v[185:186], v[181:182], v[183:184]
	v_fma_f64 v[181:182], v[183:184], v[187:188], v[181:182]
	v_div_scale_f64 v[183:184], null, v[181:182], v[181:182], 1.0
	v_rcp_f64_e32 v[185:186], v[183:184]
	v_fma_f64 v[189:190], -v[183:184], v[185:186], 1.0
	v_fma_f64 v[185:186], v[185:186], v[189:190], v[185:186]
	v_fma_f64 v[189:190], -v[183:184], v[185:186], 1.0
	v_fma_f64 v[185:186], v[185:186], v[189:190], v[185:186]
	v_div_scale_f64 v[189:190], vcc_lo, 1.0, v[181:182], 1.0
	v_mul_f64 v[191:192], v[189:190], v[185:186]
	v_fma_f64 v[183:184], -v[183:184], v[191:192], v[189:190]
	v_div_fmas_f64 v[183:184], v[183:184], v[185:186], v[191:192]
	v_div_fixup_f64 v[185:186], v[183:184], v[181:182], 1.0
	v_mul_f64 v[187:188], v[187:188], -v[185:186]
.LBB89_169:
	s_or_b32 exec_lo, exec_lo, s1
	ds_write2_b64 v255, v[185:186], v[187:188] offset1:1
.LBB89_170:
	s_or_b32 exec_lo, exec_lo, s2
	s_waitcnt lgkmcnt(0)
	s_barrier
	buffer_gl0_inv
	ds_read2_b64 v[181:184], v255 offset1:1
	s_mov_b32 s1, exec_lo
	s_waitcnt lgkmcnt(0)
	buffer_store_dword v181, off, s[16:19], 0 offset:528 ; 4-byte Folded Spill
	buffer_store_dword v182, off, s[16:19], 0 offset:532 ; 4-byte Folded Spill
	;; [unrolled: 1-line block ×4, first 2 shown]
	v_cmpx_lt_u32_e32 18, v0
	s_cbranch_execz .LBB89_172
; %bb.171:
	s_clause 0x3
	buffer_load_dword v183, off, s[16:19], 0 offset:528
	buffer_load_dword v184, off, s[16:19], 0 offset:532
	;; [unrolled: 1-line block ×4, first 2 shown]
	s_waitcnt vmcnt(0)
	v_mul_f64 v[181:182], v[185:186], v[107:108]
	v_mul_f64 v[107:108], v[183:184], v[107:108]
	v_fma_f64 v[181:182], v[183:184], v[105:106], -v[181:182]
	v_fma_f64 v[107:108], v[185:186], v[105:106], v[107:108]
	ds_read2_b64 v[183:186], v253 offset0:38 offset1:39
	s_waitcnt lgkmcnt(0)
	v_mul_f64 v[105:106], v[185:186], v[107:108]
	v_fma_f64 v[105:106], v[183:184], v[181:182], -v[105:106]
	v_mul_f64 v[183:184], v[183:184], v[107:108]
	v_add_f64 v[101:102], v[101:102], -v[105:106]
	v_fma_f64 v[183:184], v[185:186], v[181:182], v[183:184]
	v_add_f64 v[103:104], v[103:104], -v[183:184]
	ds_read2_b64 v[183:186], v253 offset0:40 offset1:41
	s_waitcnt lgkmcnt(0)
	v_mul_f64 v[105:106], v[185:186], v[107:108]
	v_fma_f64 v[105:106], v[183:184], v[181:182], -v[105:106]
	v_mul_f64 v[183:184], v[183:184], v[107:108]
	v_add_f64 v[97:98], v[97:98], -v[105:106]
	v_fma_f64 v[183:184], v[185:186], v[181:182], v[183:184]
	v_add_f64 v[99:100], v[99:100], -v[183:184]
	;; [unrolled: 8-line block ×25, first 2 shown]
	ds_read2_b64 v[183:186], v253 offset0:88 offset1:89
	s_waitcnt lgkmcnt(0)
	v_mul_f64 v[105:106], v[185:186], v[107:108]
	v_fma_f64 v[105:106], v[183:184], v[181:182], -v[105:106]
	v_mul_f64 v[183:184], v[183:184], v[107:108]
	v_add_f64 v[1:2], v[1:2], -v[105:106]
	v_fma_f64 v[183:184], v[185:186], v[181:182], v[183:184]
	v_mov_b32_e32 v105, v181
	v_mov_b32_e32 v106, v182
	v_add_f64 v[3:4], v[3:4], -v[183:184]
.LBB89_172:
	s_or_b32 exec_lo, exec_lo, s1
	s_mov_b32 s2, exec_lo
	s_waitcnt_vscnt null, 0x0
	s_barrier
	buffer_gl0_inv
	v_cmpx_eq_u32_e32 19, v0
	s_cbranch_execz .LBB89_179
; %bb.173:
	ds_write2_b64 v255, v[101:102], v[103:104] offset1:1
	ds_write2_b64 v253, v[97:98], v[99:100] offset0:40 offset1:41
	ds_write2_b64 v253, v[93:94], v[95:96] offset0:42 offset1:43
	;; [unrolled: 1-line block ×25, first 2 shown]
	ds_read2_b64 v[181:184], v255 offset1:1
	s_waitcnt lgkmcnt(0)
	v_cmp_neq_f64_e32 vcc_lo, 0, v[181:182]
	v_cmp_neq_f64_e64 s1, 0, v[183:184]
	s_or_b32 s1, vcc_lo, s1
	s_and_b32 exec_lo, exec_lo, s1
	s_cbranch_execz .LBB89_179
; %bb.174:
	v_cmp_ngt_f64_e64 s1, |v[181:182]|, |v[183:184]|
                                        ; implicit-def: $vgpr185_vgpr186
	s_and_saveexec_b32 s3, s1
	s_xor_b32 s1, exec_lo, s3
                                        ; implicit-def: $vgpr187_vgpr188
	s_cbranch_execz .LBB89_176
; %bb.175:
	v_div_scale_f64 v[185:186], null, v[183:184], v[183:184], v[181:182]
	v_div_scale_f64 v[191:192], vcc_lo, v[181:182], v[183:184], v[181:182]
	v_rcp_f64_e32 v[187:188], v[185:186]
	v_fma_f64 v[189:190], -v[185:186], v[187:188], 1.0
	v_fma_f64 v[187:188], v[187:188], v[189:190], v[187:188]
	v_fma_f64 v[189:190], -v[185:186], v[187:188], 1.0
	v_fma_f64 v[187:188], v[187:188], v[189:190], v[187:188]
	v_mul_f64 v[189:190], v[191:192], v[187:188]
	v_fma_f64 v[185:186], -v[185:186], v[189:190], v[191:192]
	v_div_fmas_f64 v[185:186], v[185:186], v[187:188], v[189:190]
	v_div_fixup_f64 v[185:186], v[185:186], v[183:184], v[181:182]
	v_fma_f64 v[181:182], v[181:182], v[185:186], v[183:184]
	v_div_scale_f64 v[183:184], null, v[181:182], v[181:182], 1.0
	v_rcp_f64_e32 v[187:188], v[183:184]
	v_fma_f64 v[189:190], -v[183:184], v[187:188], 1.0
	v_fma_f64 v[187:188], v[187:188], v[189:190], v[187:188]
	v_fma_f64 v[189:190], -v[183:184], v[187:188], 1.0
	v_fma_f64 v[187:188], v[187:188], v[189:190], v[187:188]
	v_div_scale_f64 v[189:190], vcc_lo, 1.0, v[181:182], 1.0
	v_mul_f64 v[191:192], v[189:190], v[187:188]
	v_fma_f64 v[183:184], -v[183:184], v[191:192], v[189:190]
	v_div_fmas_f64 v[183:184], v[183:184], v[187:188], v[191:192]
	v_div_fixup_f64 v[187:188], v[183:184], v[181:182], 1.0
                                        ; implicit-def: $vgpr181_vgpr182
	v_mul_f64 v[185:186], v[185:186], v[187:188]
	v_xor_b32_e32 v188, 0x80000000, v188
.LBB89_176:
	s_andn2_saveexec_b32 s1, s1
	s_cbranch_execz .LBB89_178
; %bb.177:
	v_div_scale_f64 v[185:186], null, v[181:182], v[181:182], v[183:184]
	v_div_scale_f64 v[191:192], vcc_lo, v[183:184], v[181:182], v[183:184]
	v_rcp_f64_e32 v[187:188], v[185:186]
	v_fma_f64 v[189:190], -v[185:186], v[187:188], 1.0
	v_fma_f64 v[187:188], v[187:188], v[189:190], v[187:188]
	v_fma_f64 v[189:190], -v[185:186], v[187:188], 1.0
	v_fma_f64 v[187:188], v[187:188], v[189:190], v[187:188]
	v_mul_f64 v[189:190], v[191:192], v[187:188]
	v_fma_f64 v[185:186], -v[185:186], v[189:190], v[191:192]
	v_div_fmas_f64 v[185:186], v[185:186], v[187:188], v[189:190]
	v_div_fixup_f64 v[187:188], v[185:186], v[181:182], v[183:184]
	v_fma_f64 v[181:182], v[183:184], v[187:188], v[181:182]
	v_div_scale_f64 v[183:184], null, v[181:182], v[181:182], 1.0
	v_rcp_f64_e32 v[185:186], v[183:184]
	v_fma_f64 v[189:190], -v[183:184], v[185:186], 1.0
	v_fma_f64 v[185:186], v[185:186], v[189:190], v[185:186]
	v_fma_f64 v[189:190], -v[183:184], v[185:186], 1.0
	v_fma_f64 v[185:186], v[185:186], v[189:190], v[185:186]
	v_div_scale_f64 v[189:190], vcc_lo, 1.0, v[181:182], 1.0
	v_mul_f64 v[191:192], v[189:190], v[185:186]
	v_fma_f64 v[183:184], -v[183:184], v[191:192], v[189:190]
	v_div_fmas_f64 v[183:184], v[183:184], v[185:186], v[191:192]
	v_div_fixup_f64 v[185:186], v[183:184], v[181:182], 1.0
	v_mul_f64 v[187:188], v[187:188], -v[185:186]
.LBB89_178:
	s_or_b32 exec_lo, exec_lo, s1
	ds_write2_b64 v255, v[185:186], v[187:188] offset1:1
.LBB89_179:
	s_or_b32 exec_lo, exec_lo, s2
	s_waitcnt lgkmcnt(0)
	s_barrier
	buffer_gl0_inv
	ds_read2_b64 v[181:184], v255 offset1:1
	s_mov_b32 s1, exec_lo
	s_waitcnt lgkmcnt(0)
	buffer_store_dword v181, off, s[16:19], 0 offset:544 ; 4-byte Folded Spill
	buffer_store_dword v182, off, s[16:19], 0 offset:548 ; 4-byte Folded Spill
	;; [unrolled: 1-line block ×4, first 2 shown]
	v_cmpx_lt_u32_e32 19, v0
	s_cbranch_execz .LBB89_181
; %bb.180:
	s_clause 0x3
	buffer_load_dword v183, off, s[16:19], 0 offset:544
	buffer_load_dword v184, off, s[16:19], 0 offset:548
	;; [unrolled: 1-line block ×4, first 2 shown]
	s_waitcnt vmcnt(0)
	v_mul_f64 v[181:182], v[185:186], v[103:104]
	v_mul_f64 v[103:104], v[183:184], v[103:104]
	v_fma_f64 v[181:182], v[183:184], v[101:102], -v[181:182]
	v_fma_f64 v[103:104], v[185:186], v[101:102], v[103:104]
	ds_read2_b64 v[183:186], v253 offset0:40 offset1:41
	s_waitcnt lgkmcnt(0)
	v_mul_f64 v[101:102], v[185:186], v[103:104]
	v_fma_f64 v[101:102], v[183:184], v[181:182], -v[101:102]
	v_mul_f64 v[183:184], v[183:184], v[103:104]
	v_add_f64 v[97:98], v[97:98], -v[101:102]
	v_fma_f64 v[183:184], v[185:186], v[181:182], v[183:184]
	v_add_f64 v[99:100], v[99:100], -v[183:184]
	ds_read2_b64 v[183:186], v253 offset0:42 offset1:43
	s_waitcnt lgkmcnt(0)
	v_mul_f64 v[101:102], v[185:186], v[103:104]
	v_fma_f64 v[101:102], v[183:184], v[181:182], -v[101:102]
	v_mul_f64 v[183:184], v[183:184], v[103:104]
	v_add_f64 v[93:94], v[93:94], -v[101:102]
	v_fma_f64 v[183:184], v[185:186], v[181:182], v[183:184]
	v_add_f64 v[95:96], v[95:96], -v[183:184]
	;; [unrolled: 8-line block ×24, first 2 shown]
	ds_read2_b64 v[183:186], v253 offset0:88 offset1:89
	s_waitcnt lgkmcnt(0)
	v_mul_f64 v[101:102], v[185:186], v[103:104]
	v_fma_f64 v[101:102], v[183:184], v[181:182], -v[101:102]
	v_mul_f64 v[183:184], v[183:184], v[103:104]
	v_add_f64 v[1:2], v[1:2], -v[101:102]
	v_fma_f64 v[183:184], v[185:186], v[181:182], v[183:184]
	v_mov_b32_e32 v101, v181
	v_mov_b32_e32 v102, v182
	v_add_f64 v[3:4], v[3:4], -v[183:184]
.LBB89_181:
	s_or_b32 exec_lo, exec_lo, s1
	s_mov_b32 s2, exec_lo
	s_waitcnt_vscnt null, 0x0
	s_barrier
	buffer_gl0_inv
	v_cmpx_eq_u32_e32 20, v0
	s_cbranch_execz .LBB89_188
; %bb.182:
	ds_write2_b64 v255, v[97:98], v[99:100] offset1:1
	ds_write2_b64 v253, v[93:94], v[95:96] offset0:42 offset1:43
	ds_write2_b64 v253, v[89:90], v[91:92] offset0:44 offset1:45
	;; [unrolled: 1-line block ×24, first 2 shown]
	ds_read2_b64 v[181:184], v255 offset1:1
	s_waitcnt lgkmcnt(0)
	v_cmp_neq_f64_e32 vcc_lo, 0, v[181:182]
	v_cmp_neq_f64_e64 s1, 0, v[183:184]
	s_or_b32 s1, vcc_lo, s1
	s_and_b32 exec_lo, exec_lo, s1
	s_cbranch_execz .LBB89_188
; %bb.183:
	v_cmp_ngt_f64_e64 s1, |v[181:182]|, |v[183:184]|
                                        ; implicit-def: $vgpr185_vgpr186
	s_and_saveexec_b32 s3, s1
	s_xor_b32 s1, exec_lo, s3
                                        ; implicit-def: $vgpr187_vgpr188
	s_cbranch_execz .LBB89_185
; %bb.184:
	v_div_scale_f64 v[185:186], null, v[183:184], v[183:184], v[181:182]
	v_div_scale_f64 v[191:192], vcc_lo, v[181:182], v[183:184], v[181:182]
	v_rcp_f64_e32 v[187:188], v[185:186]
	v_fma_f64 v[189:190], -v[185:186], v[187:188], 1.0
	v_fma_f64 v[187:188], v[187:188], v[189:190], v[187:188]
	v_fma_f64 v[189:190], -v[185:186], v[187:188], 1.0
	v_fma_f64 v[187:188], v[187:188], v[189:190], v[187:188]
	v_mul_f64 v[189:190], v[191:192], v[187:188]
	v_fma_f64 v[185:186], -v[185:186], v[189:190], v[191:192]
	v_div_fmas_f64 v[185:186], v[185:186], v[187:188], v[189:190]
	v_div_fixup_f64 v[185:186], v[185:186], v[183:184], v[181:182]
	v_fma_f64 v[181:182], v[181:182], v[185:186], v[183:184]
	v_div_scale_f64 v[183:184], null, v[181:182], v[181:182], 1.0
	v_rcp_f64_e32 v[187:188], v[183:184]
	v_fma_f64 v[189:190], -v[183:184], v[187:188], 1.0
	v_fma_f64 v[187:188], v[187:188], v[189:190], v[187:188]
	v_fma_f64 v[189:190], -v[183:184], v[187:188], 1.0
	v_fma_f64 v[187:188], v[187:188], v[189:190], v[187:188]
	v_div_scale_f64 v[189:190], vcc_lo, 1.0, v[181:182], 1.0
	v_mul_f64 v[191:192], v[189:190], v[187:188]
	v_fma_f64 v[183:184], -v[183:184], v[191:192], v[189:190]
	v_div_fmas_f64 v[183:184], v[183:184], v[187:188], v[191:192]
	v_div_fixup_f64 v[187:188], v[183:184], v[181:182], 1.0
                                        ; implicit-def: $vgpr181_vgpr182
	v_mul_f64 v[185:186], v[185:186], v[187:188]
	v_xor_b32_e32 v188, 0x80000000, v188
.LBB89_185:
	s_andn2_saveexec_b32 s1, s1
	s_cbranch_execz .LBB89_187
; %bb.186:
	v_div_scale_f64 v[185:186], null, v[181:182], v[181:182], v[183:184]
	v_div_scale_f64 v[191:192], vcc_lo, v[183:184], v[181:182], v[183:184]
	v_rcp_f64_e32 v[187:188], v[185:186]
	v_fma_f64 v[189:190], -v[185:186], v[187:188], 1.0
	v_fma_f64 v[187:188], v[187:188], v[189:190], v[187:188]
	v_fma_f64 v[189:190], -v[185:186], v[187:188], 1.0
	v_fma_f64 v[187:188], v[187:188], v[189:190], v[187:188]
	v_mul_f64 v[189:190], v[191:192], v[187:188]
	v_fma_f64 v[185:186], -v[185:186], v[189:190], v[191:192]
	v_div_fmas_f64 v[185:186], v[185:186], v[187:188], v[189:190]
	v_div_fixup_f64 v[187:188], v[185:186], v[181:182], v[183:184]
	v_fma_f64 v[181:182], v[183:184], v[187:188], v[181:182]
	v_div_scale_f64 v[183:184], null, v[181:182], v[181:182], 1.0
	v_rcp_f64_e32 v[185:186], v[183:184]
	v_fma_f64 v[189:190], -v[183:184], v[185:186], 1.0
	v_fma_f64 v[185:186], v[185:186], v[189:190], v[185:186]
	v_fma_f64 v[189:190], -v[183:184], v[185:186], 1.0
	v_fma_f64 v[185:186], v[185:186], v[189:190], v[185:186]
	v_div_scale_f64 v[189:190], vcc_lo, 1.0, v[181:182], 1.0
	v_mul_f64 v[191:192], v[189:190], v[185:186]
	v_fma_f64 v[183:184], -v[183:184], v[191:192], v[189:190]
	v_div_fmas_f64 v[183:184], v[183:184], v[185:186], v[191:192]
	v_div_fixup_f64 v[185:186], v[183:184], v[181:182], 1.0
	v_mul_f64 v[187:188], v[187:188], -v[185:186]
.LBB89_187:
	s_or_b32 exec_lo, exec_lo, s1
	ds_write2_b64 v255, v[185:186], v[187:188] offset1:1
.LBB89_188:
	s_or_b32 exec_lo, exec_lo, s2
	s_waitcnt lgkmcnt(0)
	s_barrier
	buffer_gl0_inv
	ds_read2_b64 v[181:184], v255 offset1:1
	s_mov_b32 s1, exec_lo
	s_waitcnt lgkmcnt(0)
	buffer_store_dword v181, off, s[16:19], 0 offset:560 ; 4-byte Folded Spill
	buffer_store_dword v182, off, s[16:19], 0 offset:564 ; 4-byte Folded Spill
	;; [unrolled: 1-line block ×4, first 2 shown]
	v_cmpx_lt_u32_e32 20, v0
	s_cbranch_execz .LBB89_190
; %bb.189:
	s_clause 0x3
	buffer_load_dword v183, off, s[16:19], 0 offset:560
	buffer_load_dword v184, off, s[16:19], 0 offset:564
	;; [unrolled: 1-line block ×4, first 2 shown]
	s_waitcnt vmcnt(0)
	v_mul_f64 v[181:182], v[185:186], v[99:100]
	v_mul_f64 v[99:100], v[183:184], v[99:100]
	v_fma_f64 v[181:182], v[183:184], v[97:98], -v[181:182]
	v_fma_f64 v[99:100], v[185:186], v[97:98], v[99:100]
	ds_read2_b64 v[183:186], v253 offset0:42 offset1:43
	s_waitcnt lgkmcnt(0)
	v_mul_f64 v[97:98], v[185:186], v[99:100]
	v_fma_f64 v[97:98], v[183:184], v[181:182], -v[97:98]
	v_mul_f64 v[183:184], v[183:184], v[99:100]
	v_add_f64 v[93:94], v[93:94], -v[97:98]
	v_fma_f64 v[183:184], v[185:186], v[181:182], v[183:184]
	v_add_f64 v[95:96], v[95:96], -v[183:184]
	ds_read2_b64 v[183:186], v253 offset0:44 offset1:45
	s_waitcnt lgkmcnt(0)
	v_mul_f64 v[97:98], v[185:186], v[99:100]
	v_fma_f64 v[97:98], v[183:184], v[181:182], -v[97:98]
	v_mul_f64 v[183:184], v[183:184], v[99:100]
	v_add_f64 v[89:90], v[89:90], -v[97:98]
	v_fma_f64 v[183:184], v[185:186], v[181:182], v[183:184]
	v_add_f64 v[91:92], v[91:92], -v[183:184]
	;; [unrolled: 8-line block ×23, first 2 shown]
	ds_read2_b64 v[183:186], v253 offset0:88 offset1:89
	s_waitcnt lgkmcnt(0)
	v_mul_f64 v[97:98], v[185:186], v[99:100]
	v_fma_f64 v[97:98], v[183:184], v[181:182], -v[97:98]
	v_mul_f64 v[183:184], v[183:184], v[99:100]
	v_add_f64 v[1:2], v[1:2], -v[97:98]
	v_fma_f64 v[183:184], v[185:186], v[181:182], v[183:184]
	v_mov_b32_e32 v97, v181
	v_mov_b32_e32 v98, v182
	v_add_f64 v[3:4], v[3:4], -v[183:184]
.LBB89_190:
	s_or_b32 exec_lo, exec_lo, s1
	s_mov_b32 s2, exec_lo
	s_waitcnt_vscnt null, 0x0
	s_barrier
	buffer_gl0_inv
	v_cmpx_eq_u32_e32 21, v0
	s_cbranch_execz .LBB89_197
; %bb.191:
	ds_write2_b64 v255, v[93:94], v[95:96] offset1:1
	ds_write2_b64 v253, v[89:90], v[91:92] offset0:44 offset1:45
	ds_write2_b64 v253, v[85:86], v[87:88] offset0:46 offset1:47
	;; [unrolled: 1-line block ×23, first 2 shown]
	ds_read2_b64 v[181:184], v255 offset1:1
	s_waitcnt lgkmcnt(0)
	v_cmp_neq_f64_e32 vcc_lo, 0, v[181:182]
	v_cmp_neq_f64_e64 s1, 0, v[183:184]
	s_or_b32 s1, vcc_lo, s1
	s_and_b32 exec_lo, exec_lo, s1
	s_cbranch_execz .LBB89_197
; %bb.192:
	v_cmp_ngt_f64_e64 s1, |v[181:182]|, |v[183:184]|
                                        ; implicit-def: $vgpr185_vgpr186
	s_and_saveexec_b32 s3, s1
	s_xor_b32 s1, exec_lo, s3
                                        ; implicit-def: $vgpr187_vgpr188
	s_cbranch_execz .LBB89_194
; %bb.193:
	v_div_scale_f64 v[185:186], null, v[183:184], v[183:184], v[181:182]
	v_div_scale_f64 v[191:192], vcc_lo, v[181:182], v[183:184], v[181:182]
	v_rcp_f64_e32 v[187:188], v[185:186]
	v_fma_f64 v[189:190], -v[185:186], v[187:188], 1.0
	v_fma_f64 v[187:188], v[187:188], v[189:190], v[187:188]
	v_fma_f64 v[189:190], -v[185:186], v[187:188], 1.0
	v_fma_f64 v[187:188], v[187:188], v[189:190], v[187:188]
	v_mul_f64 v[189:190], v[191:192], v[187:188]
	v_fma_f64 v[185:186], -v[185:186], v[189:190], v[191:192]
	v_div_fmas_f64 v[185:186], v[185:186], v[187:188], v[189:190]
	v_div_fixup_f64 v[185:186], v[185:186], v[183:184], v[181:182]
	v_fma_f64 v[181:182], v[181:182], v[185:186], v[183:184]
	v_div_scale_f64 v[183:184], null, v[181:182], v[181:182], 1.0
	v_rcp_f64_e32 v[187:188], v[183:184]
	v_fma_f64 v[189:190], -v[183:184], v[187:188], 1.0
	v_fma_f64 v[187:188], v[187:188], v[189:190], v[187:188]
	v_fma_f64 v[189:190], -v[183:184], v[187:188], 1.0
	v_fma_f64 v[187:188], v[187:188], v[189:190], v[187:188]
	v_div_scale_f64 v[189:190], vcc_lo, 1.0, v[181:182], 1.0
	v_mul_f64 v[191:192], v[189:190], v[187:188]
	v_fma_f64 v[183:184], -v[183:184], v[191:192], v[189:190]
	v_div_fmas_f64 v[183:184], v[183:184], v[187:188], v[191:192]
	v_div_fixup_f64 v[187:188], v[183:184], v[181:182], 1.0
                                        ; implicit-def: $vgpr181_vgpr182
	v_mul_f64 v[185:186], v[185:186], v[187:188]
	v_xor_b32_e32 v188, 0x80000000, v188
.LBB89_194:
	s_andn2_saveexec_b32 s1, s1
	s_cbranch_execz .LBB89_196
; %bb.195:
	v_div_scale_f64 v[185:186], null, v[181:182], v[181:182], v[183:184]
	v_div_scale_f64 v[191:192], vcc_lo, v[183:184], v[181:182], v[183:184]
	v_rcp_f64_e32 v[187:188], v[185:186]
	v_fma_f64 v[189:190], -v[185:186], v[187:188], 1.0
	v_fma_f64 v[187:188], v[187:188], v[189:190], v[187:188]
	v_fma_f64 v[189:190], -v[185:186], v[187:188], 1.0
	v_fma_f64 v[187:188], v[187:188], v[189:190], v[187:188]
	v_mul_f64 v[189:190], v[191:192], v[187:188]
	v_fma_f64 v[185:186], -v[185:186], v[189:190], v[191:192]
	v_div_fmas_f64 v[185:186], v[185:186], v[187:188], v[189:190]
	v_div_fixup_f64 v[187:188], v[185:186], v[181:182], v[183:184]
	v_fma_f64 v[181:182], v[183:184], v[187:188], v[181:182]
	v_div_scale_f64 v[183:184], null, v[181:182], v[181:182], 1.0
	v_rcp_f64_e32 v[185:186], v[183:184]
	v_fma_f64 v[189:190], -v[183:184], v[185:186], 1.0
	v_fma_f64 v[185:186], v[185:186], v[189:190], v[185:186]
	v_fma_f64 v[189:190], -v[183:184], v[185:186], 1.0
	v_fma_f64 v[185:186], v[185:186], v[189:190], v[185:186]
	v_div_scale_f64 v[189:190], vcc_lo, 1.0, v[181:182], 1.0
	v_mul_f64 v[191:192], v[189:190], v[185:186]
	v_fma_f64 v[183:184], -v[183:184], v[191:192], v[189:190]
	v_div_fmas_f64 v[183:184], v[183:184], v[185:186], v[191:192]
	v_div_fixup_f64 v[185:186], v[183:184], v[181:182], 1.0
	v_mul_f64 v[187:188], v[187:188], -v[185:186]
.LBB89_196:
	s_or_b32 exec_lo, exec_lo, s1
	ds_write2_b64 v255, v[185:186], v[187:188] offset1:1
.LBB89_197:
	s_or_b32 exec_lo, exec_lo, s2
	s_waitcnt lgkmcnt(0)
	s_barrier
	buffer_gl0_inv
	ds_read2_b64 v[181:184], v255 offset1:1
	s_mov_b32 s1, exec_lo
	s_waitcnt lgkmcnt(0)
	buffer_store_dword v181, off, s[16:19], 0 offset:576 ; 4-byte Folded Spill
	buffer_store_dword v182, off, s[16:19], 0 offset:580 ; 4-byte Folded Spill
	;; [unrolled: 1-line block ×4, first 2 shown]
	v_cmpx_lt_u32_e32 21, v0
	s_cbranch_execz .LBB89_199
; %bb.198:
	s_clause 0x3
	buffer_load_dword v183, off, s[16:19], 0 offset:576
	buffer_load_dword v184, off, s[16:19], 0 offset:580
	;; [unrolled: 1-line block ×4, first 2 shown]
	s_waitcnt vmcnt(0)
	v_mul_f64 v[181:182], v[185:186], v[95:96]
	v_mul_f64 v[95:96], v[183:184], v[95:96]
	v_fma_f64 v[181:182], v[183:184], v[93:94], -v[181:182]
	v_fma_f64 v[95:96], v[185:186], v[93:94], v[95:96]
	ds_read2_b64 v[183:186], v253 offset0:44 offset1:45
	s_waitcnt lgkmcnt(0)
	v_mul_f64 v[93:94], v[185:186], v[95:96]
	v_fma_f64 v[93:94], v[183:184], v[181:182], -v[93:94]
	v_mul_f64 v[183:184], v[183:184], v[95:96]
	v_add_f64 v[89:90], v[89:90], -v[93:94]
	v_fma_f64 v[183:184], v[185:186], v[181:182], v[183:184]
	v_add_f64 v[91:92], v[91:92], -v[183:184]
	ds_read2_b64 v[183:186], v253 offset0:46 offset1:47
	s_waitcnt lgkmcnt(0)
	v_mul_f64 v[93:94], v[185:186], v[95:96]
	v_fma_f64 v[93:94], v[183:184], v[181:182], -v[93:94]
	v_mul_f64 v[183:184], v[183:184], v[95:96]
	v_add_f64 v[85:86], v[85:86], -v[93:94]
	v_fma_f64 v[183:184], v[185:186], v[181:182], v[183:184]
	v_add_f64 v[87:88], v[87:88], -v[183:184]
	;; [unrolled: 8-line block ×22, first 2 shown]
	ds_read2_b64 v[183:186], v253 offset0:88 offset1:89
	s_waitcnt lgkmcnt(0)
	v_mul_f64 v[93:94], v[185:186], v[95:96]
	v_fma_f64 v[93:94], v[183:184], v[181:182], -v[93:94]
	v_mul_f64 v[183:184], v[183:184], v[95:96]
	v_add_f64 v[1:2], v[1:2], -v[93:94]
	v_fma_f64 v[183:184], v[185:186], v[181:182], v[183:184]
	v_mov_b32_e32 v93, v181
	v_mov_b32_e32 v94, v182
	v_add_f64 v[3:4], v[3:4], -v[183:184]
.LBB89_199:
	s_or_b32 exec_lo, exec_lo, s1
	s_mov_b32 s2, exec_lo
	s_waitcnt_vscnt null, 0x0
	s_barrier
	buffer_gl0_inv
	v_cmpx_eq_u32_e32 22, v0
	s_cbranch_execz .LBB89_206
; %bb.200:
	ds_write2_b64 v255, v[89:90], v[91:92] offset1:1
	ds_write2_b64 v253, v[85:86], v[87:88] offset0:46 offset1:47
	ds_write2_b64 v253, v[81:82], v[83:84] offset0:48 offset1:49
	;; [unrolled: 1-line block ×22, first 2 shown]
	ds_read2_b64 v[181:184], v255 offset1:1
	s_waitcnt lgkmcnt(0)
	v_cmp_neq_f64_e32 vcc_lo, 0, v[181:182]
	v_cmp_neq_f64_e64 s1, 0, v[183:184]
	s_or_b32 s1, vcc_lo, s1
	s_and_b32 exec_lo, exec_lo, s1
	s_cbranch_execz .LBB89_206
; %bb.201:
	v_cmp_ngt_f64_e64 s1, |v[181:182]|, |v[183:184]|
                                        ; implicit-def: $vgpr185_vgpr186
	s_and_saveexec_b32 s3, s1
	s_xor_b32 s1, exec_lo, s3
                                        ; implicit-def: $vgpr187_vgpr188
	s_cbranch_execz .LBB89_203
; %bb.202:
	v_div_scale_f64 v[185:186], null, v[183:184], v[183:184], v[181:182]
	v_div_scale_f64 v[191:192], vcc_lo, v[181:182], v[183:184], v[181:182]
	v_rcp_f64_e32 v[187:188], v[185:186]
	v_fma_f64 v[189:190], -v[185:186], v[187:188], 1.0
	v_fma_f64 v[187:188], v[187:188], v[189:190], v[187:188]
	v_fma_f64 v[189:190], -v[185:186], v[187:188], 1.0
	v_fma_f64 v[187:188], v[187:188], v[189:190], v[187:188]
	v_mul_f64 v[189:190], v[191:192], v[187:188]
	v_fma_f64 v[185:186], -v[185:186], v[189:190], v[191:192]
	v_div_fmas_f64 v[185:186], v[185:186], v[187:188], v[189:190]
	v_div_fixup_f64 v[185:186], v[185:186], v[183:184], v[181:182]
	v_fma_f64 v[181:182], v[181:182], v[185:186], v[183:184]
	v_div_scale_f64 v[183:184], null, v[181:182], v[181:182], 1.0
	v_rcp_f64_e32 v[187:188], v[183:184]
	v_fma_f64 v[189:190], -v[183:184], v[187:188], 1.0
	v_fma_f64 v[187:188], v[187:188], v[189:190], v[187:188]
	v_fma_f64 v[189:190], -v[183:184], v[187:188], 1.0
	v_fma_f64 v[187:188], v[187:188], v[189:190], v[187:188]
	v_div_scale_f64 v[189:190], vcc_lo, 1.0, v[181:182], 1.0
	v_mul_f64 v[191:192], v[189:190], v[187:188]
	v_fma_f64 v[183:184], -v[183:184], v[191:192], v[189:190]
	v_div_fmas_f64 v[183:184], v[183:184], v[187:188], v[191:192]
	v_div_fixup_f64 v[187:188], v[183:184], v[181:182], 1.0
                                        ; implicit-def: $vgpr181_vgpr182
	v_mul_f64 v[185:186], v[185:186], v[187:188]
	v_xor_b32_e32 v188, 0x80000000, v188
.LBB89_203:
	s_andn2_saveexec_b32 s1, s1
	s_cbranch_execz .LBB89_205
; %bb.204:
	v_div_scale_f64 v[185:186], null, v[181:182], v[181:182], v[183:184]
	v_div_scale_f64 v[191:192], vcc_lo, v[183:184], v[181:182], v[183:184]
	v_rcp_f64_e32 v[187:188], v[185:186]
	v_fma_f64 v[189:190], -v[185:186], v[187:188], 1.0
	v_fma_f64 v[187:188], v[187:188], v[189:190], v[187:188]
	v_fma_f64 v[189:190], -v[185:186], v[187:188], 1.0
	v_fma_f64 v[187:188], v[187:188], v[189:190], v[187:188]
	v_mul_f64 v[189:190], v[191:192], v[187:188]
	v_fma_f64 v[185:186], -v[185:186], v[189:190], v[191:192]
	v_div_fmas_f64 v[185:186], v[185:186], v[187:188], v[189:190]
	v_div_fixup_f64 v[187:188], v[185:186], v[181:182], v[183:184]
	v_fma_f64 v[181:182], v[183:184], v[187:188], v[181:182]
	v_div_scale_f64 v[183:184], null, v[181:182], v[181:182], 1.0
	v_rcp_f64_e32 v[185:186], v[183:184]
	v_fma_f64 v[189:190], -v[183:184], v[185:186], 1.0
	v_fma_f64 v[185:186], v[185:186], v[189:190], v[185:186]
	v_fma_f64 v[189:190], -v[183:184], v[185:186], 1.0
	v_fma_f64 v[185:186], v[185:186], v[189:190], v[185:186]
	v_div_scale_f64 v[189:190], vcc_lo, 1.0, v[181:182], 1.0
	v_mul_f64 v[191:192], v[189:190], v[185:186]
	v_fma_f64 v[183:184], -v[183:184], v[191:192], v[189:190]
	v_div_fmas_f64 v[183:184], v[183:184], v[185:186], v[191:192]
	v_div_fixup_f64 v[185:186], v[183:184], v[181:182], 1.0
	v_mul_f64 v[187:188], v[187:188], -v[185:186]
.LBB89_205:
	s_or_b32 exec_lo, exec_lo, s1
	ds_write2_b64 v255, v[185:186], v[187:188] offset1:1
.LBB89_206:
	s_or_b32 exec_lo, exec_lo, s2
	s_waitcnt lgkmcnt(0)
	s_barrier
	buffer_gl0_inv
	ds_read2_b64 v[181:184], v255 offset1:1
	s_mov_b32 s1, exec_lo
	s_waitcnt lgkmcnt(0)
	buffer_store_dword v181, off, s[16:19], 0 offset:592 ; 4-byte Folded Spill
	buffer_store_dword v182, off, s[16:19], 0 offset:596 ; 4-byte Folded Spill
	;; [unrolled: 1-line block ×4, first 2 shown]
	v_cmpx_lt_u32_e32 22, v0
	s_cbranch_execz .LBB89_208
; %bb.207:
	s_clause 0x3
	buffer_load_dword v183, off, s[16:19], 0 offset:592
	buffer_load_dword v184, off, s[16:19], 0 offset:596
	;; [unrolled: 1-line block ×4, first 2 shown]
	s_waitcnt vmcnt(0)
	v_mul_f64 v[181:182], v[185:186], v[91:92]
	v_mul_f64 v[91:92], v[183:184], v[91:92]
	v_fma_f64 v[181:182], v[183:184], v[89:90], -v[181:182]
	v_fma_f64 v[91:92], v[185:186], v[89:90], v[91:92]
	ds_read2_b64 v[183:186], v253 offset0:46 offset1:47
	s_waitcnt lgkmcnt(0)
	v_mul_f64 v[89:90], v[185:186], v[91:92]
	v_fma_f64 v[89:90], v[183:184], v[181:182], -v[89:90]
	v_mul_f64 v[183:184], v[183:184], v[91:92]
	v_add_f64 v[85:86], v[85:86], -v[89:90]
	v_fma_f64 v[183:184], v[185:186], v[181:182], v[183:184]
	v_add_f64 v[87:88], v[87:88], -v[183:184]
	ds_read2_b64 v[183:186], v253 offset0:48 offset1:49
	s_waitcnt lgkmcnt(0)
	v_mul_f64 v[89:90], v[185:186], v[91:92]
	v_fma_f64 v[89:90], v[183:184], v[181:182], -v[89:90]
	v_mul_f64 v[183:184], v[183:184], v[91:92]
	v_add_f64 v[81:82], v[81:82], -v[89:90]
	v_fma_f64 v[183:184], v[185:186], v[181:182], v[183:184]
	v_add_f64 v[83:84], v[83:84], -v[183:184]
	;; [unrolled: 8-line block ×21, first 2 shown]
	ds_read2_b64 v[183:186], v253 offset0:88 offset1:89
	s_waitcnt lgkmcnt(0)
	v_mul_f64 v[89:90], v[185:186], v[91:92]
	v_fma_f64 v[89:90], v[183:184], v[181:182], -v[89:90]
	v_mul_f64 v[183:184], v[183:184], v[91:92]
	v_add_f64 v[1:2], v[1:2], -v[89:90]
	v_fma_f64 v[183:184], v[185:186], v[181:182], v[183:184]
	v_mov_b32_e32 v89, v181
	v_mov_b32_e32 v90, v182
	v_add_f64 v[3:4], v[3:4], -v[183:184]
.LBB89_208:
	s_or_b32 exec_lo, exec_lo, s1
	s_mov_b32 s2, exec_lo
	s_waitcnt_vscnt null, 0x0
	s_barrier
	buffer_gl0_inv
	v_cmpx_eq_u32_e32 23, v0
	s_cbranch_execz .LBB89_215
; %bb.209:
	ds_write2_b64 v255, v[85:86], v[87:88] offset1:1
	ds_write2_b64 v253, v[81:82], v[83:84] offset0:48 offset1:49
	ds_write2_b64 v253, v[77:78], v[79:80] offset0:50 offset1:51
	;; [unrolled: 1-line block ×21, first 2 shown]
	ds_read2_b64 v[181:184], v255 offset1:1
	s_waitcnt lgkmcnt(0)
	v_cmp_neq_f64_e32 vcc_lo, 0, v[181:182]
	v_cmp_neq_f64_e64 s1, 0, v[183:184]
	s_or_b32 s1, vcc_lo, s1
	s_and_b32 exec_lo, exec_lo, s1
	s_cbranch_execz .LBB89_215
; %bb.210:
	v_cmp_ngt_f64_e64 s1, |v[181:182]|, |v[183:184]|
                                        ; implicit-def: $vgpr185_vgpr186
	s_and_saveexec_b32 s3, s1
	s_xor_b32 s1, exec_lo, s3
                                        ; implicit-def: $vgpr187_vgpr188
	s_cbranch_execz .LBB89_212
; %bb.211:
	v_div_scale_f64 v[185:186], null, v[183:184], v[183:184], v[181:182]
	v_div_scale_f64 v[191:192], vcc_lo, v[181:182], v[183:184], v[181:182]
	v_rcp_f64_e32 v[187:188], v[185:186]
	v_fma_f64 v[189:190], -v[185:186], v[187:188], 1.0
	v_fma_f64 v[187:188], v[187:188], v[189:190], v[187:188]
	v_fma_f64 v[189:190], -v[185:186], v[187:188], 1.0
	v_fma_f64 v[187:188], v[187:188], v[189:190], v[187:188]
	v_mul_f64 v[189:190], v[191:192], v[187:188]
	v_fma_f64 v[185:186], -v[185:186], v[189:190], v[191:192]
	v_div_fmas_f64 v[185:186], v[185:186], v[187:188], v[189:190]
	v_div_fixup_f64 v[185:186], v[185:186], v[183:184], v[181:182]
	v_fma_f64 v[181:182], v[181:182], v[185:186], v[183:184]
	v_div_scale_f64 v[183:184], null, v[181:182], v[181:182], 1.0
	v_rcp_f64_e32 v[187:188], v[183:184]
	v_fma_f64 v[189:190], -v[183:184], v[187:188], 1.0
	v_fma_f64 v[187:188], v[187:188], v[189:190], v[187:188]
	v_fma_f64 v[189:190], -v[183:184], v[187:188], 1.0
	v_fma_f64 v[187:188], v[187:188], v[189:190], v[187:188]
	v_div_scale_f64 v[189:190], vcc_lo, 1.0, v[181:182], 1.0
	v_mul_f64 v[191:192], v[189:190], v[187:188]
	v_fma_f64 v[183:184], -v[183:184], v[191:192], v[189:190]
	v_div_fmas_f64 v[183:184], v[183:184], v[187:188], v[191:192]
	v_div_fixup_f64 v[187:188], v[183:184], v[181:182], 1.0
                                        ; implicit-def: $vgpr181_vgpr182
	v_mul_f64 v[185:186], v[185:186], v[187:188]
	v_xor_b32_e32 v188, 0x80000000, v188
.LBB89_212:
	s_andn2_saveexec_b32 s1, s1
	s_cbranch_execz .LBB89_214
; %bb.213:
	v_div_scale_f64 v[185:186], null, v[181:182], v[181:182], v[183:184]
	v_div_scale_f64 v[191:192], vcc_lo, v[183:184], v[181:182], v[183:184]
	v_rcp_f64_e32 v[187:188], v[185:186]
	v_fma_f64 v[189:190], -v[185:186], v[187:188], 1.0
	v_fma_f64 v[187:188], v[187:188], v[189:190], v[187:188]
	v_fma_f64 v[189:190], -v[185:186], v[187:188], 1.0
	v_fma_f64 v[187:188], v[187:188], v[189:190], v[187:188]
	v_mul_f64 v[189:190], v[191:192], v[187:188]
	v_fma_f64 v[185:186], -v[185:186], v[189:190], v[191:192]
	v_div_fmas_f64 v[185:186], v[185:186], v[187:188], v[189:190]
	v_div_fixup_f64 v[187:188], v[185:186], v[181:182], v[183:184]
	v_fma_f64 v[181:182], v[183:184], v[187:188], v[181:182]
	v_div_scale_f64 v[183:184], null, v[181:182], v[181:182], 1.0
	v_rcp_f64_e32 v[185:186], v[183:184]
	v_fma_f64 v[189:190], -v[183:184], v[185:186], 1.0
	v_fma_f64 v[185:186], v[185:186], v[189:190], v[185:186]
	v_fma_f64 v[189:190], -v[183:184], v[185:186], 1.0
	v_fma_f64 v[185:186], v[185:186], v[189:190], v[185:186]
	v_div_scale_f64 v[189:190], vcc_lo, 1.0, v[181:182], 1.0
	v_mul_f64 v[191:192], v[189:190], v[185:186]
	v_fma_f64 v[183:184], -v[183:184], v[191:192], v[189:190]
	v_div_fmas_f64 v[183:184], v[183:184], v[185:186], v[191:192]
	v_div_fixup_f64 v[185:186], v[183:184], v[181:182], 1.0
	v_mul_f64 v[187:188], v[187:188], -v[185:186]
.LBB89_214:
	s_or_b32 exec_lo, exec_lo, s1
	ds_write2_b64 v255, v[185:186], v[187:188] offset1:1
.LBB89_215:
	s_or_b32 exec_lo, exec_lo, s2
	s_waitcnt lgkmcnt(0)
	s_barrier
	buffer_gl0_inv
	ds_read2_b64 v[181:184], v255 offset1:1
	s_mov_b32 s1, exec_lo
	s_waitcnt lgkmcnt(0)
	buffer_store_dword v181, off, s[16:19], 0 offset:608 ; 4-byte Folded Spill
	buffer_store_dword v182, off, s[16:19], 0 offset:612 ; 4-byte Folded Spill
	;; [unrolled: 1-line block ×4, first 2 shown]
	v_cmpx_lt_u32_e32 23, v0
	s_cbranch_execz .LBB89_217
; %bb.216:
	s_clause 0x3
	buffer_load_dword v183, off, s[16:19], 0 offset:608
	buffer_load_dword v184, off, s[16:19], 0 offset:612
	;; [unrolled: 1-line block ×4, first 2 shown]
	s_waitcnt vmcnt(0)
	v_mul_f64 v[181:182], v[185:186], v[87:88]
	v_mul_f64 v[87:88], v[183:184], v[87:88]
	v_fma_f64 v[181:182], v[183:184], v[85:86], -v[181:182]
	v_fma_f64 v[87:88], v[185:186], v[85:86], v[87:88]
	ds_read2_b64 v[183:186], v253 offset0:48 offset1:49
	s_waitcnt lgkmcnt(0)
	v_mul_f64 v[85:86], v[185:186], v[87:88]
	v_fma_f64 v[85:86], v[183:184], v[181:182], -v[85:86]
	v_mul_f64 v[183:184], v[183:184], v[87:88]
	v_add_f64 v[81:82], v[81:82], -v[85:86]
	v_fma_f64 v[183:184], v[185:186], v[181:182], v[183:184]
	v_add_f64 v[83:84], v[83:84], -v[183:184]
	ds_read2_b64 v[183:186], v253 offset0:50 offset1:51
	s_waitcnt lgkmcnt(0)
	v_mul_f64 v[85:86], v[185:186], v[87:88]
	v_fma_f64 v[85:86], v[183:184], v[181:182], -v[85:86]
	v_mul_f64 v[183:184], v[183:184], v[87:88]
	v_add_f64 v[77:78], v[77:78], -v[85:86]
	v_fma_f64 v[183:184], v[185:186], v[181:182], v[183:184]
	v_add_f64 v[79:80], v[79:80], -v[183:184]
	;; [unrolled: 8-line block ×20, first 2 shown]
	ds_read2_b64 v[183:186], v253 offset0:88 offset1:89
	s_waitcnt lgkmcnt(0)
	v_mul_f64 v[85:86], v[185:186], v[87:88]
	v_fma_f64 v[85:86], v[183:184], v[181:182], -v[85:86]
	v_mul_f64 v[183:184], v[183:184], v[87:88]
	v_add_f64 v[1:2], v[1:2], -v[85:86]
	v_fma_f64 v[183:184], v[185:186], v[181:182], v[183:184]
	v_mov_b32_e32 v85, v181
	v_mov_b32_e32 v86, v182
	v_add_f64 v[3:4], v[3:4], -v[183:184]
.LBB89_217:
	s_or_b32 exec_lo, exec_lo, s1
	s_mov_b32 s2, exec_lo
	s_waitcnt_vscnt null, 0x0
	s_barrier
	buffer_gl0_inv
	v_cmpx_eq_u32_e32 24, v0
	s_cbranch_execz .LBB89_224
; %bb.218:
	ds_write2_b64 v255, v[81:82], v[83:84] offset1:1
	ds_write2_b64 v253, v[77:78], v[79:80] offset0:50 offset1:51
	ds_write2_b64 v253, v[73:74], v[75:76] offset0:52 offset1:53
	;; [unrolled: 1-line block ×20, first 2 shown]
	ds_read2_b64 v[181:184], v255 offset1:1
	s_waitcnt lgkmcnt(0)
	v_cmp_neq_f64_e32 vcc_lo, 0, v[181:182]
	v_cmp_neq_f64_e64 s1, 0, v[183:184]
	s_or_b32 s1, vcc_lo, s1
	s_and_b32 exec_lo, exec_lo, s1
	s_cbranch_execz .LBB89_224
; %bb.219:
	v_cmp_ngt_f64_e64 s1, |v[181:182]|, |v[183:184]|
                                        ; implicit-def: $vgpr185_vgpr186
	s_and_saveexec_b32 s3, s1
	s_xor_b32 s1, exec_lo, s3
                                        ; implicit-def: $vgpr187_vgpr188
	s_cbranch_execz .LBB89_221
; %bb.220:
	v_div_scale_f64 v[185:186], null, v[183:184], v[183:184], v[181:182]
	v_div_scale_f64 v[191:192], vcc_lo, v[181:182], v[183:184], v[181:182]
	v_rcp_f64_e32 v[187:188], v[185:186]
	v_fma_f64 v[189:190], -v[185:186], v[187:188], 1.0
	v_fma_f64 v[187:188], v[187:188], v[189:190], v[187:188]
	v_fma_f64 v[189:190], -v[185:186], v[187:188], 1.0
	v_fma_f64 v[187:188], v[187:188], v[189:190], v[187:188]
	v_mul_f64 v[189:190], v[191:192], v[187:188]
	v_fma_f64 v[185:186], -v[185:186], v[189:190], v[191:192]
	v_div_fmas_f64 v[185:186], v[185:186], v[187:188], v[189:190]
	v_div_fixup_f64 v[185:186], v[185:186], v[183:184], v[181:182]
	v_fma_f64 v[181:182], v[181:182], v[185:186], v[183:184]
	v_div_scale_f64 v[183:184], null, v[181:182], v[181:182], 1.0
	v_rcp_f64_e32 v[187:188], v[183:184]
	v_fma_f64 v[189:190], -v[183:184], v[187:188], 1.0
	v_fma_f64 v[187:188], v[187:188], v[189:190], v[187:188]
	v_fma_f64 v[189:190], -v[183:184], v[187:188], 1.0
	v_fma_f64 v[187:188], v[187:188], v[189:190], v[187:188]
	v_div_scale_f64 v[189:190], vcc_lo, 1.0, v[181:182], 1.0
	v_mul_f64 v[191:192], v[189:190], v[187:188]
	v_fma_f64 v[183:184], -v[183:184], v[191:192], v[189:190]
	v_div_fmas_f64 v[183:184], v[183:184], v[187:188], v[191:192]
	v_div_fixup_f64 v[187:188], v[183:184], v[181:182], 1.0
                                        ; implicit-def: $vgpr181_vgpr182
	v_mul_f64 v[185:186], v[185:186], v[187:188]
	v_xor_b32_e32 v188, 0x80000000, v188
.LBB89_221:
	s_andn2_saveexec_b32 s1, s1
	s_cbranch_execz .LBB89_223
; %bb.222:
	v_div_scale_f64 v[185:186], null, v[181:182], v[181:182], v[183:184]
	v_div_scale_f64 v[191:192], vcc_lo, v[183:184], v[181:182], v[183:184]
	v_rcp_f64_e32 v[187:188], v[185:186]
	v_fma_f64 v[189:190], -v[185:186], v[187:188], 1.0
	v_fma_f64 v[187:188], v[187:188], v[189:190], v[187:188]
	v_fma_f64 v[189:190], -v[185:186], v[187:188], 1.0
	v_fma_f64 v[187:188], v[187:188], v[189:190], v[187:188]
	v_mul_f64 v[189:190], v[191:192], v[187:188]
	v_fma_f64 v[185:186], -v[185:186], v[189:190], v[191:192]
	v_div_fmas_f64 v[185:186], v[185:186], v[187:188], v[189:190]
	v_div_fixup_f64 v[187:188], v[185:186], v[181:182], v[183:184]
	v_fma_f64 v[181:182], v[183:184], v[187:188], v[181:182]
	v_div_scale_f64 v[183:184], null, v[181:182], v[181:182], 1.0
	v_rcp_f64_e32 v[185:186], v[183:184]
	v_fma_f64 v[189:190], -v[183:184], v[185:186], 1.0
	v_fma_f64 v[185:186], v[185:186], v[189:190], v[185:186]
	v_fma_f64 v[189:190], -v[183:184], v[185:186], 1.0
	v_fma_f64 v[185:186], v[185:186], v[189:190], v[185:186]
	v_div_scale_f64 v[189:190], vcc_lo, 1.0, v[181:182], 1.0
	v_mul_f64 v[191:192], v[189:190], v[185:186]
	v_fma_f64 v[183:184], -v[183:184], v[191:192], v[189:190]
	v_div_fmas_f64 v[183:184], v[183:184], v[185:186], v[191:192]
	v_div_fixup_f64 v[185:186], v[183:184], v[181:182], 1.0
	v_mul_f64 v[187:188], v[187:188], -v[185:186]
.LBB89_223:
	s_or_b32 exec_lo, exec_lo, s1
	ds_write2_b64 v255, v[185:186], v[187:188] offset1:1
.LBB89_224:
	s_or_b32 exec_lo, exec_lo, s2
	s_waitcnt lgkmcnt(0)
	s_barrier
	buffer_gl0_inv
	ds_read2_b64 v[181:184], v255 offset1:1
	s_mov_b32 s1, exec_lo
	s_waitcnt lgkmcnt(0)
	buffer_store_dword v181, off, s[16:19], 0 offset:624 ; 4-byte Folded Spill
	buffer_store_dword v182, off, s[16:19], 0 offset:628 ; 4-byte Folded Spill
	;; [unrolled: 1-line block ×4, first 2 shown]
	v_cmpx_lt_u32_e32 24, v0
	s_cbranch_execz .LBB89_226
; %bb.225:
	s_clause 0x3
	buffer_load_dword v183, off, s[16:19], 0 offset:624
	buffer_load_dword v184, off, s[16:19], 0 offset:628
	;; [unrolled: 1-line block ×4, first 2 shown]
	s_waitcnt vmcnt(0)
	v_mul_f64 v[181:182], v[185:186], v[83:84]
	v_mul_f64 v[83:84], v[183:184], v[83:84]
	v_fma_f64 v[181:182], v[183:184], v[81:82], -v[181:182]
	v_fma_f64 v[83:84], v[185:186], v[81:82], v[83:84]
	ds_read2_b64 v[183:186], v253 offset0:50 offset1:51
	s_waitcnt lgkmcnt(0)
	v_mul_f64 v[81:82], v[185:186], v[83:84]
	v_fma_f64 v[81:82], v[183:184], v[181:182], -v[81:82]
	v_mul_f64 v[183:184], v[183:184], v[83:84]
	v_add_f64 v[77:78], v[77:78], -v[81:82]
	v_fma_f64 v[183:184], v[185:186], v[181:182], v[183:184]
	v_add_f64 v[79:80], v[79:80], -v[183:184]
	ds_read2_b64 v[183:186], v253 offset0:52 offset1:53
	s_waitcnt lgkmcnt(0)
	v_mul_f64 v[81:82], v[185:186], v[83:84]
	v_fma_f64 v[81:82], v[183:184], v[181:182], -v[81:82]
	v_mul_f64 v[183:184], v[183:184], v[83:84]
	v_add_f64 v[73:74], v[73:74], -v[81:82]
	v_fma_f64 v[183:184], v[185:186], v[181:182], v[183:184]
	v_add_f64 v[75:76], v[75:76], -v[183:184]
	ds_read2_b64 v[183:186], v253 offset0:54 offset1:55
	s_waitcnt lgkmcnt(0)
	v_mul_f64 v[81:82], v[185:186], v[83:84]
	v_fma_f64 v[81:82], v[183:184], v[181:182], -v[81:82]
	v_mul_f64 v[183:184], v[183:184], v[83:84]
	v_add_f64 v[69:70], v[69:70], -v[81:82]
	v_fma_f64 v[183:184], v[185:186], v[181:182], v[183:184]
	v_add_f64 v[71:72], v[71:72], -v[183:184]
	ds_read2_b64 v[183:186], v253 offset0:56 offset1:57
	s_waitcnt lgkmcnt(0)
	v_mul_f64 v[81:82], v[185:186], v[83:84]
	v_fma_f64 v[81:82], v[183:184], v[181:182], -v[81:82]
	v_mul_f64 v[183:184], v[183:184], v[83:84]
	v_add_f64 v[65:66], v[65:66], -v[81:82]
	v_fma_f64 v[183:184], v[185:186], v[181:182], v[183:184]
	v_add_f64 v[67:68], v[67:68], -v[183:184]
	ds_read2_b64 v[183:186], v253 offset0:58 offset1:59
	s_waitcnt lgkmcnt(0)
	v_mul_f64 v[81:82], v[185:186], v[83:84]
	v_fma_f64 v[81:82], v[183:184], v[181:182], -v[81:82]
	v_mul_f64 v[183:184], v[183:184], v[83:84]
	v_add_f64 v[61:62], v[61:62], -v[81:82]
	v_fma_f64 v[183:184], v[185:186], v[181:182], v[183:184]
	v_add_f64 v[63:64], v[63:64], -v[183:184]
	ds_read2_b64 v[183:186], v253 offset0:60 offset1:61
	s_waitcnt lgkmcnt(0)
	v_mul_f64 v[81:82], v[185:186], v[83:84]
	v_fma_f64 v[81:82], v[183:184], v[181:182], -v[81:82]
	v_mul_f64 v[183:184], v[183:184], v[83:84]
	v_add_f64 v[57:58], v[57:58], -v[81:82]
	v_fma_f64 v[183:184], v[185:186], v[181:182], v[183:184]
	v_add_f64 v[59:60], v[59:60], -v[183:184]
	ds_read2_b64 v[183:186], v253 offset0:62 offset1:63
	s_waitcnt lgkmcnt(0)
	v_mul_f64 v[81:82], v[185:186], v[83:84]
	v_fma_f64 v[81:82], v[183:184], v[181:182], -v[81:82]
	v_mul_f64 v[183:184], v[183:184], v[83:84]
	v_add_f64 v[53:54], v[53:54], -v[81:82]
	v_fma_f64 v[183:184], v[185:186], v[181:182], v[183:184]
	v_add_f64 v[55:56], v[55:56], -v[183:184]
	ds_read2_b64 v[183:186], v253 offset0:64 offset1:65
	s_waitcnt lgkmcnt(0)
	v_mul_f64 v[81:82], v[185:186], v[83:84]
	v_fma_f64 v[81:82], v[183:184], v[181:182], -v[81:82]
	v_mul_f64 v[183:184], v[183:184], v[83:84]
	v_add_f64 v[49:50], v[49:50], -v[81:82]
	v_fma_f64 v[183:184], v[185:186], v[181:182], v[183:184]
	v_add_f64 v[51:52], v[51:52], -v[183:184]
	ds_read2_b64 v[183:186], v253 offset0:66 offset1:67
	s_waitcnt lgkmcnt(0)
	v_mul_f64 v[81:82], v[185:186], v[83:84]
	v_fma_f64 v[81:82], v[183:184], v[181:182], -v[81:82]
	v_mul_f64 v[183:184], v[183:184], v[83:84]
	v_add_f64 v[45:46], v[45:46], -v[81:82]
	v_fma_f64 v[183:184], v[185:186], v[181:182], v[183:184]
	v_add_f64 v[47:48], v[47:48], -v[183:184]
	ds_read2_b64 v[183:186], v253 offset0:68 offset1:69
	s_waitcnt lgkmcnt(0)
	v_mul_f64 v[81:82], v[185:186], v[83:84]
	v_fma_f64 v[81:82], v[183:184], v[181:182], -v[81:82]
	v_mul_f64 v[183:184], v[183:184], v[83:84]
	v_add_f64 v[41:42], v[41:42], -v[81:82]
	v_fma_f64 v[183:184], v[185:186], v[181:182], v[183:184]
	v_add_f64 v[43:44], v[43:44], -v[183:184]
	ds_read2_b64 v[183:186], v253 offset0:70 offset1:71
	s_waitcnt lgkmcnt(0)
	v_mul_f64 v[81:82], v[185:186], v[83:84]
	v_fma_f64 v[81:82], v[183:184], v[181:182], -v[81:82]
	v_mul_f64 v[183:184], v[183:184], v[83:84]
	v_add_f64 v[37:38], v[37:38], -v[81:82]
	v_fma_f64 v[183:184], v[185:186], v[181:182], v[183:184]
	v_add_f64 v[39:40], v[39:40], -v[183:184]
	ds_read2_b64 v[183:186], v253 offset0:72 offset1:73
	s_waitcnt lgkmcnt(0)
	v_mul_f64 v[81:82], v[185:186], v[83:84]
	v_fma_f64 v[81:82], v[183:184], v[181:182], -v[81:82]
	v_mul_f64 v[183:184], v[183:184], v[83:84]
	v_add_f64 v[33:34], v[33:34], -v[81:82]
	v_fma_f64 v[183:184], v[185:186], v[181:182], v[183:184]
	v_add_f64 v[35:36], v[35:36], -v[183:184]
	ds_read2_b64 v[183:186], v253 offset0:74 offset1:75
	s_waitcnt lgkmcnt(0)
	v_mul_f64 v[81:82], v[185:186], v[83:84]
	v_fma_f64 v[81:82], v[183:184], v[181:182], -v[81:82]
	v_mul_f64 v[183:184], v[183:184], v[83:84]
	v_add_f64 v[29:30], v[29:30], -v[81:82]
	v_fma_f64 v[183:184], v[185:186], v[181:182], v[183:184]
	v_add_f64 v[31:32], v[31:32], -v[183:184]
	ds_read2_b64 v[183:186], v253 offset0:76 offset1:77
	s_waitcnt lgkmcnt(0)
	v_mul_f64 v[81:82], v[185:186], v[83:84]
	v_fma_f64 v[81:82], v[183:184], v[181:182], -v[81:82]
	v_mul_f64 v[183:184], v[183:184], v[83:84]
	v_add_f64 v[25:26], v[25:26], -v[81:82]
	v_fma_f64 v[183:184], v[185:186], v[181:182], v[183:184]
	v_add_f64 v[27:28], v[27:28], -v[183:184]
	ds_read2_b64 v[183:186], v253 offset0:78 offset1:79
	s_waitcnt lgkmcnt(0)
	v_mul_f64 v[81:82], v[185:186], v[83:84]
	v_fma_f64 v[81:82], v[183:184], v[181:182], -v[81:82]
	v_mul_f64 v[183:184], v[183:184], v[83:84]
	v_add_f64 v[21:22], v[21:22], -v[81:82]
	v_fma_f64 v[183:184], v[185:186], v[181:182], v[183:184]
	v_add_f64 v[23:24], v[23:24], -v[183:184]
	ds_read2_b64 v[183:186], v253 offset0:80 offset1:81
	s_waitcnt lgkmcnt(0)
	v_mul_f64 v[81:82], v[185:186], v[83:84]
	v_fma_f64 v[81:82], v[183:184], v[181:182], -v[81:82]
	v_mul_f64 v[183:184], v[183:184], v[83:84]
	v_add_f64 v[17:18], v[17:18], -v[81:82]
	v_fma_f64 v[183:184], v[185:186], v[181:182], v[183:184]
	v_add_f64 v[19:20], v[19:20], -v[183:184]
	ds_read2_b64 v[183:186], v253 offset0:82 offset1:83
	s_waitcnt lgkmcnt(0)
	v_mul_f64 v[81:82], v[185:186], v[83:84]
	v_fma_f64 v[81:82], v[183:184], v[181:182], -v[81:82]
	v_mul_f64 v[183:184], v[183:184], v[83:84]
	v_add_f64 v[13:14], v[13:14], -v[81:82]
	v_fma_f64 v[183:184], v[185:186], v[181:182], v[183:184]
	v_add_f64 v[15:16], v[15:16], -v[183:184]
	ds_read2_b64 v[183:186], v253 offset0:84 offset1:85
	s_waitcnt lgkmcnt(0)
	v_mul_f64 v[81:82], v[185:186], v[83:84]
	v_fma_f64 v[81:82], v[183:184], v[181:182], -v[81:82]
	v_mul_f64 v[183:184], v[183:184], v[83:84]
	v_add_f64 v[9:10], v[9:10], -v[81:82]
	v_fma_f64 v[183:184], v[185:186], v[181:182], v[183:184]
	v_add_f64 v[11:12], v[11:12], -v[183:184]
	ds_read2_b64 v[183:186], v253 offset0:86 offset1:87
	s_waitcnt lgkmcnt(0)
	v_mul_f64 v[81:82], v[185:186], v[83:84]
	v_fma_f64 v[81:82], v[183:184], v[181:182], -v[81:82]
	v_mul_f64 v[183:184], v[183:184], v[83:84]
	v_add_f64 v[5:6], v[5:6], -v[81:82]
	v_fma_f64 v[183:184], v[185:186], v[181:182], v[183:184]
	v_add_f64 v[7:8], v[7:8], -v[183:184]
	ds_read2_b64 v[183:186], v253 offset0:88 offset1:89
	s_waitcnt lgkmcnt(0)
	v_mul_f64 v[81:82], v[185:186], v[83:84]
	v_fma_f64 v[81:82], v[183:184], v[181:182], -v[81:82]
	v_mul_f64 v[183:184], v[183:184], v[83:84]
	v_add_f64 v[1:2], v[1:2], -v[81:82]
	v_fma_f64 v[183:184], v[185:186], v[181:182], v[183:184]
	v_mov_b32_e32 v81, v181
	v_mov_b32_e32 v82, v182
	v_add_f64 v[3:4], v[3:4], -v[183:184]
.LBB89_226:
	s_or_b32 exec_lo, exec_lo, s1
	s_mov_b32 s2, exec_lo
	s_waitcnt_vscnt null, 0x0
	s_barrier
	buffer_gl0_inv
	v_cmpx_eq_u32_e32 25, v0
	s_cbranch_execz .LBB89_233
; %bb.227:
	ds_write2_b64 v255, v[77:78], v[79:80] offset1:1
	ds_write2_b64 v253, v[73:74], v[75:76] offset0:52 offset1:53
	ds_write2_b64 v253, v[69:70], v[71:72] offset0:54 offset1:55
	;; [unrolled: 1-line block ×19, first 2 shown]
	ds_read2_b64 v[181:184], v255 offset1:1
	s_waitcnt lgkmcnt(0)
	v_cmp_neq_f64_e32 vcc_lo, 0, v[181:182]
	v_cmp_neq_f64_e64 s1, 0, v[183:184]
	s_or_b32 s1, vcc_lo, s1
	s_and_b32 exec_lo, exec_lo, s1
	s_cbranch_execz .LBB89_233
; %bb.228:
	v_cmp_ngt_f64_e64 s1, |v[181:182]|, |v[183:184]|
                                        ; implicit-def: $vgpr185_vgpr186
	s_and_saveexec_b32 s3, s1
	s_xor_b32 s1, exec_lo, s3
                                        ; implicit-def: $vgpr187_vgpr188
	s_cbranch_execz .LBB89_230
; %bb.229:
	v_div_scale_f64 v[185:186], null, v[183:184], v[183:184], v[181:182]
	v_div_scale_f64 v[191:192], vcc_lo, v[181:182], v[183:184], v[181:182]
	v_rcp_f64_e32 v[187:188], v[185:186]
	v_fma_f64 v[189:190], -v[185:186], v[187:188], 1.0
	v_fma_f64 v[187:188], v[187:188], v[189:190], v[187:188]
	v_fma_f64 v[189:190], -v[185:186], v[187:188], 1.0
	v_fma_f64 v[187:188], v[187:188], v[189:190], v[187:188]
	v_mul_f64 v[189:190], v[191:192], v[187:188]
	v_fma_f64 v[185:186], -v[185:186], v[189:190], v[191:192]
	v_div_fmas_f64 v[185:186], v[185:186], v[187:188], v[189:190]
	v_div_fixup_f64 v[185:186], v[185:186], v[183:184], v[181:182]
	v_fma_f64 v[181:182], v[181:182], v[185:186], v[183:184]
	v_div_scale_f64 v[183:184], null, v[181:182], v[181:182], 1.0
	v_rcp_f64_e32 v[187:188], v[183:184]
	v_fma_f64 v[189:190], -v[183:184], v[187:188], 1.0
	v_fma_f64 v[187:188], v[187:188], v[189:190], v[187:188]
	v_fma_f64 v[189:190], -v[183:184], v[187:188], 1.0
	v_fma_f64 v[187:188], v[187:188], v[189:190], v[187:188]
	v_div_scale_f64 v[189:190], vcc_lo, 1.0, v[181:182], 1.0
	v_mul_f64 v[191:192], v[189:190], v[187:188]
	v_fma_f64 v[183:184], -v[183:184], v[191:192], v[189:190]
	v_div_fmas_f64 v[183:184], v[183:184], v[187:188], v[191:192]
	v_div_fixup_f64 v[187:188], v[183:184], v[181:182], 1.0
                                        ; implicit-def: $vgpr181_vgpr182
	v_mul_f64 v[185:186], v[185:186], v[187:188]
	v_xor_b32_e32 v188, 0x80000000, v188
.LBB89_230:
	s_andn2_saveexec_b32 s1, s1
	s_cbranch_execz .LBB89_232
; %bb.231:
	v_div_scale_f64 v[185:186], null, v[181:182], v[181:182], v[183:184]
	v_div_scale_f64 v[191:192], vcc_lo, v[183:184], v[181:182], v[183:184]
	v_rcp_f64_e32 v[187:188], v[185:186]
	v_fma_f64 v[189:190], -v[185:186], v[187:188], 1.0
	v_fma_f64 v[187:188], v[187:188], v[189:190], v[187:188]
	v_fma_f64 v[189:190], -v[185:186], v[187:188], 1.0
	v_fma_f64 v[187:188], v[187:188], v[189:190], v[187:188]
	v_mul_f64 v[189:190], v[191:192], v[187:188]
	v_fma_f64 v[185:186], -v[185:186], v[189:190], v[191:192]
	v_div_fmas_f64 v[185:186], v[185:186], v[187:188], v[189:190]
	v_div_fixup_f64 v[187:188], v[185:186], v[181:182], v[183:184]
	v_fma_f64 v[181:182], v[183:184], v[187:188], v[181:182]
	v_div_scale_f64 v[183:184], null, v[181:182], v[181:182], 1.0
	v_rcp_f64_e32 v[185:186], v[183:184]
	v_fma_f64 v[189:190], -v[183:184], v[185:186], 1.0
	v_fma_f64 v[185:186], v[185:186], v[189:190], v[185:186]
	v_fma_f64 v[189:190], -v[183:184], v[185:186], 1.0
	v_fma_f64 v[185:186], v[185:186], v[189:190], v[185:186]
	v_div_scale_f64 v[189:190], vcc_lo, 1.0, v[181:182], 1.0
	v_mul_f64 v[191:192], v[189:190], v[185:186]
	v_fma_f64 v[183:184], -v[183:184], v[191:192], v[189:190]
	v_div_fmas_f64 v[183:184], v[183:184], v[185:186], v[191:192]
	v_div_fixup_f64 v[185:186], v[183:184], v[181:182], 1.0
	v_mul_f64 v[187:188], v[187:188], -v[185:186]
.LBB89_232:
	s_or_b32 exec_lo, exec_lo, s1
	ds_write2_b64 v255, v[185:186], v[187:188] offset1:1
.LBB89_233:
	s_or_b32 exec_lo, exec_lo, s2
	s_waitcnt lgkmcnt(0)
	s_barrier
	buffer_gl0_inv
	ds_read2_b64 v[181:184], v255 offset1:1
	s_mov_b32 s1, exec_lo
	s_waitcnt lgkmcnt(0)
	buffer_store_dword v181, off, s[16:19], 0 offset:640 ; 4-byte Folded Spill
	buffer_store_dword v182, off, s[16:19], 0 offset:644 ; 4-byte Folded Spill
	buffer_store_dword v183, off, s[16:19], 0 offset:648 ; 4-byte Folded Spill
	buffer_store_dword v184, off, s[16:19], 0 offset:652 ; 4-byte Folded Spill
	v_cmpx_lt_u32_e32 25, v0
	s_cbranch_execz .LBB89_235
; %bb.234:
	s_clause 0x3
	buffer_load_dword v183, off, s[16:19], 0 offset:640
	buffer_load_dword v184, off, s[16:19], 0 offset:644
	;; [unrolled: 1-line block ×4, first 2 shown]
	s_waitcnt vmcnt(0)
	v_mul_f64 v[181:182], v[185:186], v[79:80]
	v_mul_f64 v[79:80], v[183:184], v[79:80]
	v_fma_f64 v[181:182], v[183:184], v[77:78], -v[181:182]
	v_fma_f64 v[79:80], v[185:186], v[77:78], v[79:80]
	ds_read2_b64 v[183:186], v253 offset0:52 offset1:53
	s_waitcnt lgkmcnt(0)
	v_mul_f64 v[77:78], v[185:186], v[79:80]
	v_fma_f64 v[77:78], v[183:184], v[181:182], -v[77:78]
	v_mul_f64 v[183:184], v[183:184], v[79:80]
	v_add_f64 v[73:74], v[73:74], -v[77:78]
	v_fma_f64 v[183:184], v[185:186], v[181:182], v[183:184]
	v_add_f64 v[75:76], v[75:76], -v[183:184]
	ds_read2_b64 v[183:186], v253 offset0:54 offset1:55
	s_waitcnt lgkmcnt(0)
	v_mul_f64 v[77:78], v[185:186], v[79:80]
	v_fma_f64 v[77:78], v[183:184], v[181:182], -v[77:78]
	v_mul_f64 v[183:184], v[183:184], v[79:80]
	v_add_f64 v[69:70], v[69:70], -v[77:78]
	v_fma_f64 v[183:184], v[185:186], v[181:182], v[183:184]
	v_add_f64 v[71:72], v[71:72], -v[183:184]
	;; [unrolled: 8-line block ×18, first 2 shown]
	ds_read2_b64 v[183:186], v253 offset0:88 offset1:89
	s_waitcnt lgkmcnt(0)
	v_mul_f64 v[77:78], v[185:186], v[79:80]
	v_fma_f64 v[77:78], v[183:184], v[181:182], -v[77:78]
	v_mul_f64 v[183:184], v[183:184], v[79:80]
	v_add_f64 v[1:2], v[1:2], -v[77:78]
	v_fma_f64 v[183:184], v[185:186], v[181:182], v[183:184]
	v_mov_b32_e32 v77, v181
	v_mov_b32_e32 v78, v182
	v_add_f64 v[3:4], v[3:4], -v[183:184]
.LBB89_235:
	s_or_b32 exec_lo, exec_lo, s1
	s_mov_b32 s2, exec_lo
	s_waitcnt_vscnt null, 0x0
	s_barrier
	buffer_gl0_inv
	v_cmpx_eq_u32_e32 26, v0
	s_cbranch_execz .LBB89_242
; %bb.236:
	ds_write2_b64 v255, v[73:74], v[75:76] offset1:1
	ds_write2_b64 v253, v[69:70], v[71:72] offset0:54 offset1:55
	ds_write2_b64 v253, v[65:66], v[67:68] offset0:56 offset1:57
	;; [unrolled: 1-line block ×18, first 2 shown]
	ds_read2_b64 v[181:184], v255 offset1:1
	s_waitcnt lgkmcnt(0)
	v_cmp_neq_f64_e32 vcc_lo, 0, v[181:182]
	v_cmp_neq_f64_e64 s1, 0, v[183:184]
	s_or_b32 s1, vcc_lo, s1
	s_and_b32 exec_lo, exec_lo, s1
	s_cbranch_execz .LBB89_242
; %bb.237:
	v_cmp_ngt_f64_e64 s1, |v[181:182]|, |v[183:184]|
                                        ; implicit-def: $vgpr185_vgpr186
	s_and_saveexec_b32 s3, s1
	s_xor_b32 s1, exec_lo, s3
                                        ; implicit-def: $vgpr187_vgpr188
	s_cbranch_execz .LBB89_239
; %bb.238:
	v_div_scale_f64 v[185:186], null, v[183:184], v[183:184], v[181:182]
	v_div_scale_f64 v[191:192], vcc_lo, v[181:182], v[183:184], v[181:182]
	v_rcp_f64_e32 v[187:188], v[185:186]
	v_fma_f64 v[189:190], -v[185:186], v[187:188], 1.0
	v_fma_f64 v[187:188], v[187:188], v[189:190], v[187:188]
	v_fma_f64 v[189:190], -v[185:186], v[187:188], 1.0
	v_fma_f64 v[187:188], v[187:188], v[189:190], v[187:188]
	v_mul_f64 v[189:190], v[191:192], v[187:188]
	v_fma_f64 v[185:186], -v[185:186], v[189:190], v[191:192]
	v_div_fmas_f64 v[185:186], v[185:186], v[187:188], v[189:190]
	v_div_fixup_f64 v[185:186], v[185:186], v[183:184], v[181:182]
	v_fma_f64 v[181:182], v[181:182], v[185:186], v[183:184]
	v_div_scale_f64 v[183:184], null, v[181:182], v[181:182], 1.0
	v_rcp_f64_e32 v[187:188], v[183:184]
	v_fma_f64 v[189:190], -v[183:184], v[187:188], 1.0
	v_fma_f64 v[187:188], v[187:188], v[189:190], v[187:188]
	v_fma_f64 v[189:190], -v[183:184], v[187:188], 1.0
	v_fma_f64 v[187:188], v[187:188], v[189:190], v[187:188]
	v_div_scale_f64 v[189:190], vcc_lo, 1.0, v[181:182], 1.0
	v_mul_f64 v[191:192], v[189:190], v[187:188]
	v_fma_f64 v[183:184], -v[183:184], v[191:192], v[189:190]
	v_div_fmas_f64 v[183:184], v[183:184], v[187:188], v[191:192]
	v_div_fixup_f64 v[187:188], v[183:184], v[181:182], 1.0
                                        ; implicit-def: $vgpr181_vgpr182
	v_mul_f64 v[185:186], v[185:186], v[187:188]
	v_xor_b32_e32 v188, 0x80000000, v188
.LBB89_239:
	s_andn2_saveexec_b32 s1, s1
	s_cbranch_execz .LBB89_241
; %bb.240:
	v_div_scale_f64 v[185:186], null, v[181:182], v[181:182], v[183:184]
	v_div_scale_f64 v[191:192], vcc_lo, v[183:184], v[181:182], v[183:184]
	v_rcp_f64_e32 v[187:188], v[185:186]
	v_fma_f64 v[189:190], -v[185:186], v[187:188], 1.0
	v_fma_f64 v[187:188], v[187:188], v[189:190], v[187:188]
	v_fma_f64 v[189:190], -v[185:186], v[187:188], 1.0
	v_fma_f64 v[187:188], v[187:188], v[189:190], v[187:188]
	v_mul_f64 v[189:190], v[191:192], v[187:188]
	v_fma_f64 v[185:186], -v[185:186], v[189:190], v[191:192]
	v_div_fmas_f64 v[185:186], v[185:186], v[187:188], v[189:190]
	v_div_fixup_f64 v[187:188], v[185:186], v[181:182], v[183:184]
	v_fma_f64 v[181:182], v[183:184], v[187:188], v[181:182]
	v_div_scale_f64 v[183:184], null, v[181:182], v[181:182], 1.0
	v_rcp_f64_e32 v[185:186], v[183:184]
	v_fma_f64 v[189:190], -v[183:184], v[185:186], 1.0
	v_fma_f64 v[185:186], v[185:186], v[189:190], v[185:186]
	v_fma_f64 v[189:190], -v[183:184], v[185:186], 1.0
	v_fma_f64 v[185:186], v[185:186], v[189:190], v[185:186]
	v_div_scale_f64 v[189:190], vcc_lo, 1.0, v[181:182], 1.0
	v_mul_f64 v[191:192], v[189:190], v[185:186]
	v_fma_f64 v[183:184], -v[183:184], v[191:192], v[189:190]
	v_div_fmas_f64 v[183:184], v[183:184], v[185:186], v[191:192]
	v_div_fixup_f64 v[185:186], v[183:184], v[181:182], 1.0
	v_mul_f64 v[187:188], v[187:188], -v[185:186]
.LBB89_241:
	s_or_b32 exec_lo, exec_lo, s1
	ds_write2_b64 v255, v[185:186], v[187:188] offset1:1
.LBB89_242:
	s_or_b32 exec_lo, exec_lo, s2
	s_waitcnt lgkmcnt(0)
	s_barrier
	buffer_gl0_inv
	ds_read2_b64 v[181:184], v255 offset1:1
	s_mov_b32 s1, exec_lo
	s_waitcnt lgkmcnt(0)
	buffer_store_dword v181, off, s[16:19], 0 offset:656 ; 4-byte Folded Spill
	buffer_store_dword v182, off, s[16:19], 0 offset:660 ; 4-byte Folded Spill
	;; [unrolled: 1-line block ×4, first 2 shown]
	v_cmpx_lt_u32_e32 26, v0
	s_cbranch_execz .LBB89_244
; %bb.243:
	s_clause 0x3
	buffer_load_dword v183, off, s[16:19], 0 offset:656
	buffer_load_dword v184, off, s[16:19], 0 offset:660
	;; [unrolled: 1-line block ×4, first 2 shown]
	s_waitcnt vmcnt(0)
	v_mul_f64 v[181:182], v[185:186], v[75:76]
	v_mul_f64 v[75:76], v[183:184], v[75:76]
	v_fma_f64 v[181:182], v[183:184], v[73:74], -v[181:182]
	v_fma_f64 v[75:76], v[185:186], v[73:74], v[75:76]
	ds_read2_b64 v[183:186], v253 offset0:54 offset1:55
	s_waitcnt lgkmcnt(0)
	v_mul_f64 v[73:74], v[185:186], v[75:76]
	v_fma_f64 v[73:74], v[183:184], v[181:182], -v[73:74]
	v_mul_f64 v[183:184], v[183:184], v[75:76]
	v_add_f64 v[69:70], v[69:70], -v[73:74]
	v_fma_f64 v[183:184], v[185:186], v[181:182], v[183:184]
	v_add_f64 v[71:72], v[71:72], -v[183:184]
	ds_read2_b64 v[183:186], v253 offset0:56 offset1:57
	s_waitcnt lgkmcnt(0)
	v_mul_f64 v[73:74], v[185:186], v[75:76]
	v_fma_f64 v[73:74], v[183:184], v[181:182], -v[73:74]
	v_mul_f64 v[183:184], v[183:184], v[75:76]
	v_add_f64 v[65:66], v[65:66], -v[73:74]
	v_fma_f64 v[183:184], v[185:186], v[181:182], v[183:184]
	v_add_f64 v[67:68], v[67:68], -v[183:184]
	;; [unrolled: 8-line block ×17, first 2 shown]
	ds_read2_b64 v[183:186], v253 offset0:88 offset1:89
	s_waitcnt lgkmcnt(0)
	v_mul_f64 v[73:74], v[185:186], v[75:76]
	v_fma_f64 v[73:74], v[183:184], v[181:182], -v[73:74]
	v_mul_f64 v[183:184], v[183:184], v[75:76]
	v_add_f64 v[1:2], v[1:2], -v[73:74]
	v_fma_f64 v[183:184], v[185:186], v[181:182], v[183:184]
	v_mov_b32_e32 v73, v181
	v_mov_b32_e32 v74, v182
	v_add_f64 v[3:4], v[3:4], -v[183:184]
.LBB89_244:
	s_or_b32 exec_lo, exec_lo, s1
	s_mov_b32 s2, exec_lo
	s_waitcnt_vscnt null, 0x0
	s_barrier
	buffer_gl0_inv
	v_cmpx_eq_u32_e32 27, v0
	s_cbranch_execz .LBB89_251
; %bb.245:
	ds_write2_b64 v255, v[69:70], v[71:72] offset1:1
	ds_write2_b64 v253, v[65:66], v[67:68] offset0:56 offset1:57
	ds_write2_b64 v253, v[61:62], v[63:64] offset0:58 offset1:59
	;; [unrolled: 1-line block ×17, first 2 shown]
	ds_read2_b64 v[181:184], v255 offset1:1
	s_waitcnt lgkmcnt(0)
	v_cmp_neq_f64_e32 vcc_lo, 0, v[181:182]
	v_cmp_neq_f64_e64 s1, 0, v[183:184]
	s_or_b32 s1, vcc_lo, s1
	s_and_b32 exec_lo, exec_lo, s1
	s_cbranch_execz .LBB89_251
; %bb.246:
	v_cmp_ngt_f64_e64 s1, |v[181:182]|, |v[183:184]|
                                        ; implicit-def: $vgpr185_vgpr186
	s_and_saveexec_b32 s3, s1
	s_xor_b32 s1, exec_lo, s3
                                        ; implicit-def: $vgpr187_vgpr188
	s_cbranch_execz .LBB89_248
; %bb.247:
	v_div_scale_f64 v[185:186], null, v[183:184], v[183:184], v[181:182]
	v_div_scale_f64 v[191:192], vcc_lo, v[181:182], v[183:184], v[181:182]
	v_rcp_f64_e32 v[187:188], v[185:186]
	v_fma_f64 v[189:190], -v[185:186], v[187:188], 1.0
	v_fma_f64 v[187:188], v[187:188], v[189:190], v[187:188]
	v_fma_f64 v[189:190], -v[185:186], v[187:188], 1.0
	v_fma_f64 v[187:188], v[187:188], v[189:190], v[187:188]
	v_mul_f64 v[189:190], v[191:192], v[187:188]
	v_fma_f64 v[185:186], -v[185:186], v[189:190], v[191:192]
	v_div_fmas_f64 v[185:186], v[185:186], v[187:188], v[189:190]
	v_div_fixup_f64 v[185:186], v[185:186], v[183:184], v[181:182]
	v_fma_f64 v[181:182], v[181:182], v[185:186], v[183:184]
	v_div_scale_f64 v[183:184], null, v[181:182], v[181:182], 1.0
	v_rcp_f64_e32 v[187:188], v[183:184]
	v_fma_f64 v[189:190], -v[183:184], v[187:188], 1.0
	v_fma_f64 v[187:188], v[187:188], v[189:190], v[187:188]
	v_fma_f64 v[189:190], -v[183:184], v[187:188], 1.0
	v_fma_f64 v[187:188], v[187:188], v[189:190], v[187:188]
	v_div_scale_f64 v[189:190], vcc_lo, 1.0, v[181:182], 1.0
	v_mul_f64 v[191:192], v[189:190], v[187:188]
	v_fma_f64 v[183:184], -v[183:184], v[191:192], v[189:190]
	v_div_fmas_f64 v[183:184], v[183:184], v[187:188], v[191:192]
	v_div_fixup_f64 v[187:188], v[183:184], v[181:182], 1.0
                                        ; implicit-def: $vgpr181_vgpr182
	v_mul_f64 v[185:186], v[185:186], v[187:188]
	v_xor_b32_e32 v188, 0x80000000, v188
.LBB89_248:
	s_andn2_saveexec_b32 s1, s1
	s_cbranch_execz .LBB89_250
; %bb.249:
	v_div_scale_f64 v[185:186], null, v[181:182], v[181:182], v[183:184]
	v_div_scale_f64 v[191:192], vcc_lo, v[183:184], v[181:182], v[183:184]
	v_rcp_f64_e32 v[187:188], v[185:186]
	v_fma_f64 v[189:190], -v[185:186], v[187:188], 1.0
	v_fma_f64 v[187:188], v[187:188], v[189:190], v[187:188]
	v_fma_f64 v[189:190], -v[185:186], v[187:188], 1.0
	v_fma_f64 v[187:188], v[187:188], v[189:190], v[187:188]
	v_mul_f64 v[189:190], v[191:192], v[187:188]
	v_fma_f64 v[185:186], -v[185:186], v[189:190], v[191:192]
	v_div_fmas_f64 v[185:186], v[185:186], v[187:188], v[189:190]
	v_div_fixup_f64 v[187:188], v[185:186], v[181:182], v[183:184]
	v_fma_f64 v[181:182], v[183:184], v[187:188], v[181:182]
	v_div_scale_f64 v[183:184], null, v[181:182], v[181:182], 1.0
	v_rcp_f64_e32 v[185:186], v[183:184]
	v_fma_f64 v[189:190], -v[183:184], v[185:186], 1.0
	v_fma_f64 v[185:186], v[185:186], v[189:190], v[185:186]
	v_fma_f64 v[189:190], -v[183:184], v[185:186], 1.0
	v_fma_f64 v[185:186], v[185:186], v[189:190], v[185:186]
	v_div_scale_f64 v[189:190], vcc_lo, 1.0, v[181:182], 1.0
	v_mul_f64 v[191:192], v[189:190], v[185:186]
	v_fma_f64 v[183:184], -v[183:184], v[191:192], v[189:190]
	v_div_fmas_f64 v[183:184], v[183:184], v[185:186], v[191:192]
	v_div_fixup_f64 v[185:186], v[183:184], v[181:182], 1.0
	v_mul_f64 v[187:188], v[187:188], -v[185:186]
.LBB89_250:
	s_or_b32 exec_lo, exec_lo, s1
	ds_write2_b64 v255, v[185:186], v[187:188] offset1:1
.LBB89_251:
	s_or_b32 exec_lo, exec_lo, s2
	s_waitcnt lgkmcnt(0)
	s_barrier
	buffer_gl0_inv
	ds_read2_b64 v[181:184], v255 offset1:1
	s_mov_b32 s1, exec_lo
	s_waitcnt lgkmcnt(0)
	buffer_store_dword v181, off, s[16:19], 0 offset:672 ; 4-byte Folded Spill
	buffer_store_dword v182, off, s[16:19], 0 offset:676 ; 4-byte Folded Spill
	;; [unrolled: 1-line block ×4, first 2 shown]
	v_cmpx_lt_u32_e32 27, v0
	s_cbranch_execz .LBB89_253
; %bb.252:
	s_clause 0x3
	buffer_load_dword v183, off, s[16:19], 0 offset:672
	buffer_load_dword v184, off, s[16:19], 0 offset:676
	;; [unrolled: 1-line block ×4, first 2 shown]
	s_waitcnt vmcnt(0)
	v_mul_f64 v[181:182], v[185:186], v[71:72]
	v_mul_f64 v[71:72], v[183:184], v[71:72]
	v_fma_f64 v[181:182], v[183:184], v[69:70], -v[181:182]
	v_fma_f64 v[71:72], v[185:186], v[69:70], v[71:72]
	ds_read2_b64 v[183:186], v253 offset0:56 offset1:57
	s_waitcnt lgkmcnt(0)
	v_mul_f64 v[69:70], v[185:186], v[71:72]
	v_fma_f64 v[69:70], v[183:184], v[181:182], -v[69:70]
	v_mul_f64 v[183:184], v[183:184], v[71:72]
	v_add_f64 v[65:66], v[65:66], -v[69:70]
	v_fma_f64 v[183:184], v[185:186], v[181:182], v[183:184]
	v_add_f64 v[67:68], v[67:68], -v[183:184]
	ds_read2_b64 v[183:186], v253 offset0:58 offset1:59
	s_waitcnt lgkmcnt(0)
	v_mul_f64 v[69:70], v[185:186], v[71:72]
	v_fma_f64 v[69:70], v[183:184], v[181:182], -v[69:70]
	v_mul_f64 v[183:184], v[183:184], v[71:72]
	v_add_f64 v[61:62], v[61:62], -v[69:70]
	v_fma_f64 v[183:184], v[185:186], v[181:182], v[183:184]
	v_add_f64 v[63:64], v[63:64], -v[183:184]
	ds_read2_b64 v[183:186], v253 offset0:60 offset1:61
	s_waitcnt lgkmcnt(0)
	v_mul_f64 v[69:70], v[185:186], v[71:72]
	v_fma_f64 v[69:70], v[183:184], v[181:182], -v[69:70]
	v_mul_f64 v[183:184], v[183:184], v[71:72]
	v_add_f64 v[57:58], v[57:58], -v[69:70]
	v_fma_f64 v[183:184], v[185:186], v[181:182], v[183:184]
	v_add_f64 v[59:60], v[59:60], -v[183:184]
	ds_read2_b64 v[183:186], v253 offset0:62 offset1:63
	s_waitcnt lgkmcnt(0)
	v_mul_f64 v[69:70], v[185:186], v[71:72]
	v_fma_f64 v[69:70], v[183:184], v[181:182], -v[69:70]
	v_mul_f64 v[183:184], v[183:184], v[71:72]
	v_add_f64 v[53:54], v[53:54], -v[69:70]
	v_fma_f64 v[183:184], v[185:186], v[181:182], v[183:184]
	v_add_f64 v[55:56], v[55:56], -v[183:184]
	ds_read2_b64 v[183:186], v253 offset0:64 offset1:65
	s_waitcnt lgkmcnt(0)
	v_mul_f64 v[69:70], v[185:186], v[71:72]
	v_fma_f64 v[69:70], v[183:184], v[181:182], -v[69:70]
	v_mul_f64 v[183:184], v[183:184], v[71:72]
	v_add_f64 v[49:50], v[49:50], -v[69:70]
	v_fma_f64 v[183:184], v[185:186], v[181:182], v[183:184]
	v_add_f64 v[51:52], v[51:52], -v[183:184]
	ds_read2_b64 v[183:186], v253 offset0:66 offset1:67
	s_waitcnt lgkmcnt(0)
	v_mul_f64 v[69:70], v[185:186], v[71:72]
	v_fma_f64 v[69:70], v[183:184], v[181:182], -v[69:70]
	v_mul_f64 v[183:184], v[183:184], v[71:72]
	v_add_f64 v[45:46], v[45:46], -v[69:70]
	v_fma_f64 v[183:184], v[185:186], v[181:182], v[183:184]
	v_add_f64 v[47:48], v[47:48], -v[183:184]
	ds_read2_b64 v[183:186], v253 offset0:68 offset1:69
	s_waitcnt lgkmcnt(0)
	v_mul_f64 v[69:70], v[185:186], v[71:72]
	v_fma_f64 v[69:70], v[183:184], v[181:182], -v[69:70]
	v_mul_f64 v[183:184], v[183:184], v[71:72]
	v_add_f64 v[41:42], v[41:42], -v[69:70]
	v_fma_f64 v[183:184], v[185:186], v[181:182], v[183:184]
	v_add_f64 v[43:44], v[43:44], -v[183:184]
	ds_read2_b64 v[183:186], v253 offset0:70 offset1:71
	s_waitcnt lgkmcnt(0)
	v_mul_f64 v[69:70], v[185:186], v[71:72]
	v_fma_f64 v[69:70], v[183:184], v[181:182], -v[69:70]
	v_mul_f64 v[183:184], v[183:184], v[71:72]
	v_add_f64 v[37:38], v[37:38], -v[69:70]
	v_fma_f64 v[183:184], v[185:186], v[181:182], v[183:184]
	v_add_f64 v[39:40], v[39:40], -v[183:184]
	ds_read2_b64 v[183:186], v253 offset0:72 offset1:73
	s_waitcnt lgkmcnt(0)
	v_mul_f64 v[69:70], v[185:186], v[71:72]
	v_fma_f64 v[69:70], v[183:184], v[181:182], -v[69:70]
	v_mul_f64 v[183:184], v[183:184], v[71:72]
	v_add_f64 v[33:34], v[33:34], -v[69:70]
	v_fma_f64 v[183:184], v[185:186], v[181:182], v[183:184]
	v_add_f64 v[35:36], v[35:36], -v[183:184]
	ds_read2_b64 v[183:186], v253 offset0:74 offset1:75
	s_waitcnt lgkmcnt(0)
	v_mul_f64 v[69:70], v[185:186], v[71:72]
	v_fma_f64 v[69:70], v[183:184], v[181:182], -v[69:70]
	v_mul_f64 v[183:184], v[183:184], v[71:72]
	v_add_f64 v[29:30], v[29:30], -v[69:70]
	v_fma_f64 v[183:184], v[185:186], v[181:182], v[183:184]
	v_add_f64 v[31:32], v[31:32], -v[183:184]
	ds_read2_b64 v[183:186], v253 offset0:76 offset1:77
	s_waitcnt lgkmcnt(0)
	v_mul_f64 v[69:70], v[185:186], v[71:72]
	v_fma_f64 v[69:70], v[183:184], v[181:182], -v[69:70]
	v_mul_f64 v[183:184], v[183:184], v[71:72]
	v_add_f64 v[25:26], v[25:26], -v[69:70]
	v_fma_f64 v[183:184], v[185:186], v[181:182], v[183:184]
	v_add_f64 v[27:28], v[27:28], -v[183:184]
	ds_read2_b64 v[183:186], v253 offset0:78 offset1:79
	s_waitcnt lgkmcnt(0)
	v_mul_f64 v[69:70], v[185:186], v[71:72]
	v_fma_f64 v[69:70], v[183:184], v[181:182], -v[69:70]
	v_mul_f64 v[183:184], v[183:184], v[71:72]
	v_add_f64 v[21:22], v[21:22], -v[69:70]
	v_fma_f64 v[183:184], v[185:186], v[181:182], v[183:184]
	v_add_f64 v[23:24], v[23:24], -v[183:184]
	ds_read2_b64 v[183:186], v253 offset0:80 offset1:81
	s_waitcnt lgkmcnt(0)
	v_mul_f64 v[69:70], v[185:186], v[71:72]
	v_fma_f64 v[69:70], v[183:184], v[181:182], -v[69:70]
	v_mul_f64 v[183:184], v[183:184], v[71:72]
	v_add_f64 v[17:18], v[17:18], -v[69:70]
	v_fma_f64 v[183:184], v[185:186], v[181:182], v[183:184]
	v_add_f64 v[19:20], v[19:20], -v[183:184]
	ds_read2_b64 v[183:186], v253 offset0:82 offset1:83
	s_waitcnt lgkmcnt(0)
	v_mul_f64 v[69:70], v[185:186], v[71:72]
	v_fma_f64 v[69:70], v[183:184], v[181:182], -v[69:70]
	v_mul_f64 v[183:184], v[183:184], v[71:72]
	v_add_f64 v[13:14], v[13:14], -v[69:70]
	v_fma_f64 v[183:184], v[185:186], v[181:182], v[183:184]
	v_add_f64 v[15:16], v[15:16], -v[183:184]
	ds_read2_b64 v[183:186], v253 offset0:84 offset1:85
	s_waitcnt lgkmcnt(0)
	v_mul_f64 v[69:70], v[185:186], v[71:72]
	v_fma_f64 v[69:70], v[183:184], v[181:182], -v[69:70]
	v_mul_f64 v[183:184], v[183:184], v[71:72]
	v_add_f64 v[9:10], v[9:10], -v[69:70]
	v_fma_f64 v[183:184], v[185:186], v[181:182], v[183:184]
	v_add_f64 v[11:12], v[11:12], -v[183:184]
	ds_read2_b64 v[183:186], v253 offset0:86 offset1:87
	s_waitcnt lgkmcnt(0)
	v_mul_f64 v[69:70], v[185:186], v[71:72]
	v_fma_f64 v[69:70], v[183:184], v[181:182], -v[69:70]
	v_mul_f64 v[183:184], v[183:184], v[71:72]
	v_add_f64 v[5:6], v[5:6], -v[69:70]
	v_fma_f64 v[183:184], v[185:186], v[181:182], v[183:184]
	v_add_f64 v[7:8], v[7:8], -v[183:184]
	ds_read2_b64 v[183:186], v253 offset0:88 offset1:89
	s_waitcnt lgkmcnt(0)
	v_mul_f64 v[69:70], v[185:186], v[71:72]
	v_fma_f64 v[69:70], v[183:184], v[181:182], -v[69:70]
	v_mul_f64 v[183:184], v[183:184], v[71:72]
	v_add_f64 v[1:2], v[1:2], -v[69:70]
	v_fma_f64 v[183:184], v[185:186], v[181:182], v[183:184]
	v_mov_b32_e32 v69, v181
	v_mov_b32_e32 v70, v182
	v_add_f64 v[3:4], v[3:4], -v[183:184]
.LBB89_253:
	s_or_b32 exec_lo, exec_lo, s1
	s_mov_b32 s2, exec_lo
	s_waitcnt_vscnt null, 0x0
	s_barrier
	buffer_gl0_inv
	v_cmpx_eq_u32_e32 28, v0
	s_cbranch_execz .LBB89_260
; %bb.254:
	ds_write2_b64 v255, v[65:66], v[67:68] offset1:1
	ds_write2_b64 v253, v[61:62], v[63:64] offset0:58 offset1:59
	ds_write2_b64 v253, v[57:58], v[59:60] offset0:60 offset1:61
	;; [unrolled: 1-line block ×16, first 2 shown]
	ds_read2_b64 v[181:184], v255 offset1:1
	s_waitcnt lgkmcnt(0)
	v_cmp_neq_f64_e32 vcc_lo, 0, v[181:182]
	v_cmp_neq_f64_e64 s1, 0, v[183:184]
	s_or_b32 s1, vcc_lo, s1
	s_and_b32 exec_lo, exec_lo, s1
	s_cbranch_execz .LBB89_260
; %bb.255:
	v_cmp_ngt_f64_e64 s1, |v[181:182]|, |v[183:184]|
                                        ; implicit-def: $vgpr185_vgpr186
	s_and_saveexec_b32 s3, s1
	s_xor_b32 s1, exec_lo, s3
                                        ; implicit-def: $vgpr187_vgpr188
	s_cbranch_execz .LBB89_257
; %bb.256:
	v_div_scale_f64 v[185:186], null, v[183:184], v[183:184], v[181:182]
	v_div_scale_f64 v[191:192], vcc_lo, v[181:182], v[183:184], v[181:182]
	v_rcp_f64_e32 v[187:188], v[185:186]
	v_fma_f64 v[189:190], -v[185:186], v[187:188], 1.0
	v_fma_f64 v[187:188], v[187:188], v[189:190], v[187:188]
	v_fma_f64 v[189:190], -v[185:186], v[187:188], 1.0
	v_fma_f64 v[187:188], v[187:188], v[189:190], v[187:188]
	v_mul_f64 v[189:190], v[191:192], v[187:188]
	v_fma_f64 v[185:186], -v[185:186], v[189:190], v[191:192]
	v_div_fmas_f64 v[185:186], v[185:186], v[187:188], v[189:190]
	v_div_fixup_f64 v[185:186], v[185:186], v[183:184], v[181:182]
	v_fma_f64 v[181:182], v[181:182], v[185:186], v[183:184]
	v_div_scale_f64 v[183:184], null, v[181:182], v[181:182], 1.0
	v_rcp_f64_e32 v[187:188], v[183:184]
	v_fma_f64 v[189:190], -v[183:184], v[187:188], 1.0
	v_fma_f64 v[187:188], v[187:188], v[189:190], v[187:188]
	v_fma_f64 v[189:190], -v[183:184], v[187:188], 1.0
	v_fma_f64 v[187:188], v[187:188], v[189:190], v[187:188]
	v_div_scale_f64 v[189:190], vcc_lo, 1.0, v[181:182], 1.0
	v_mul_f64 v[191:192], v[189:190], v[187:188]
	v_fma_f64 v[183:184], -v[183:184], v[191:192], v[189:190]
	v_div_fmas_f64 v[183:184], v[183:184], v[187:188], v[191:192]
	v_div_fixup_f64 v[187:188], v[183:184], v[181:182], 1.0
                                        ; implicit-def: $vgpr181_vgpr182
	v_mul_f64 v[185:186], v[185:186], v[187:188]
	v_xor_b32_e32 v188, 0x80000000, v188
.LBB89_257:
	s_andn2_saveexec_b32 s1, s1
	s_cbranch_execz .LBB89_259
; %bb.258:
	v_div_scale_f64 v[185:186], null, v[181:182], v[181:182], v[183:184]
	v_div_scale_f64 v[191:192], vcc_lo, v[183:184], v[181:182], v[183:184]
	v_rcp_f64_e32 v[187:188], v[185:186]
	v_fma_f64 v[189:190], -v[185:186], v[187:188], 1.0
	v_fma_f64 v[187:188], v[187:188], v[189:190], v[187:188]
	v_fma_f64 v[189:190], -v[185:186], v[187:188], 1.0
	v_fma_f64 v[187:188], v[187:188], v[189:190], v[187:188]
	v_mul_f64 v[189:190], v[191:192], v[187:188]
	v_fma_f64 v[185:186], -v[185:186], v[189:190], v[191:192]
	v_div_fmas_f64 v[185:186], v[185:186], v[187:188], v[189:190]
	v_div_fixup_f64 v[187:188], v[185:186], v[181:182], v[183:184]
	v_fma_f64 v[181:182], v[183:184], v[187:188], v[181:182]
	v_div_scale_f64 v[183:184], null, v[181:182], v[181:182], 1.0
	v_rcp_f64_e32 v[185:186], v[183:184]
	v_fma_f64 v[189:190], -v[183:184], v[185:186], 1.0
	v_fma_f64 v[185:186], v[185:186], v[189:190], v[185:186]
	v_fma_f64 v[189:190], -v[183:184], v[185:186], 1.0
	v_fma_f64 v[185:186], v[185:186], v[189:190], v[185:186]
	v_div_scale_f64 v[189:190], vcc_lo, 1.0, v[181:182], 1.0
	v_mul_f64 v[191:192], v[189:190], v[185:186]
	v_fma_f64 v[183:184], -v[183:184], v[191:192], v[189:190]
	v_div_fmas_f64 v[183:184], v[183:184], v[185:186], v[191:192]
	v_div_fixup_f64 v[185:186], v[183:184], v[181:182], 1.0
	v_mul_f64 v[187:188], v[187:188], -v[185:186]
.LBB89_259:
	s_or_b32 exec_lo, exec_lo, s1
	ds_write2_b64 v255, v[185:186], v[187:188] offset1:1
.LBB89_260:
	s_or_b32 exec_lo, exec_lo, s2
	s_waitcnt lgkmcnt(0)
	s_barrier
	buffer_gl0_inv
	ds_read2_b64 v[181:184], v255 offset1:1
	s_mov_b32 s1, exec_lo
	s_waitcnt lgkmcnt(0)
	buffer_store_dword v181, off, s[16:19], 0 offset:688 ; 4-byte Folded Spill
	buffer_store_dword v182, off, s[16:19], 0 offset:692 ; 4-byte Folded Spill
	;; [unrolled: 1-line block ×4, first 2 shown]
	v_cmpx_lt_u32_e32 28, v0
	s_cbranch_execz .LBB89_262
; %bb.261:
	s_clause 0x3
	buffer_load_dword v183, off, s[16:19], 0 offset:688
	buffer_load_dword v184, off, s[16:19], 0 offset:692
	;; [unrolled: 1-line block ×4, first 2 shown]
	s_waitcnt vmcnt(2)
	v_mul_f64 v[181:182], v[183:184], v[67:68]
	s_waitcnt vmcnt(0)
	v_mul_f64 v[67:68], v[185:186], v[67:68]
	v_fma_f64 v[181:182], v[185:186], v[65:66], v[181:182]
	v_fma_f64 v[65:66], v[183:184], v[65:66], -v[67:68]
	ds_read2_b64 v[183:186], v253 offset0:58 offset1:59
	s_waitcnt lgkmcnt(0)
	v_mul_f64 v[67:68], v[185:186], v[181:182]
	v_fma_f64 v[67:68], v[183:184], v[65:66], -v[67:68]
	v_mul_f64 v[183:184], v[183:184], v[181:182]
	v_add_f64 v[61:62], v[61:62], -v[67:68]
	v_fma_f64 v[183:184], v[185:186], v[65:66], v[183:184]
	v_add_f64 v[63:64], v[63:64], -v[183:184]
	ds_read2_b64 v[183:186], v253 offset0:60 offset1:61
	s_waitcnt lgkmcnt(0)
	v_mul_f64 v[67:68], v[185:186], v[181:182]
	v_fma_f64 v[67:68], v[183:184], v[65:66], -v[67:68]
	v_mul_f64 v[183:184], v[183:184], v[181:182]
	v_add_f64 v[57:58], v[57:58], -v[67:68]
	v_fma_f64 v[183:184], v[185:186], v[65:66], v[183:184]
	v_add_f64 v[59:60], v[59:60], -v[183:184]
	;; [unrolled: 8-line block ×15, first 2 shown]
	ds_read2_b64 v[183:186], v253 offset0:88 offset1:89
	s_waitcnt lgkmcnt(0)
	v_mul_f64 v[67:68], v[185:186], v[181:182]
	v_fma_f64 v[67:68], v[183:184], v[65:66], -v[67:68]
	v_mul_f64 v[183:184], v[183:184], v[181:182]
	v_add_f64 v[1:2], v[1:2], -v[67:68]
	v_fma_f64 v[183:184], v[185:186], v[65:66], v[183:184]
	v_mov_b32_e32 v67, v181
	v_mov_b32_e32 v68, v182
	v_add_f64 v[3:4], v[3:4], -v[183:184]
.LBB89_262:
	s_or_b32 exec_lo, exec_lo, s1
	s_mov_b32 s2, exec_lo
	s_waitcnt_vscnt null, 0x0
	s_barrier
	buffer_gl0_inv
	v_cmpx_eq_u32_e32 29, v0
	s_cbranch_execz .LBB89_269
; %bb.263:
	ds_write2_b64 v255, v[61:62], v[63:64] offset1:1
	ds_write2_b64 v253, v[57:58], v[59:60] offset0:60 offset1:61
	ds_write2_b64 v253, v[53:54], v[55:56] offset0:62 offset1:63
	;; [unrolled: 1-line block ×15, first 2 shown]
	ds_read2_b64 v[181:184], v255 offset1:1
	s_waitcnt lgkmcnt(0)
	v_cmp_neq_f64_e32 vcc_lo, 0, v[181:182]
	v_cmp_neq_f64_e64 s1, 0, v[183:184]
	s_or_b32 s1, vcc_lo, s1
	s_and_b32 exec_lo, exec_lo, s1
	s_cbranch_execz .LBB89_269
; %bb.264:
	v_cmp_ngt_f64_e64 s1, |v[181:182]|, |v[183:184]|
                                        ; implicit-def: $vgpr185_vgpr186
	s_and_saveexec_b32 s3, s1
	s_xor_b32 s1, exec_lo, s3
                                        ; implicit-def: $vgpr187_vgpr188
	s_cbranch_execz .LBB89_266
; %bb.265:
	v_div_scale_f64 v[185:186], null, v[183:184], v[183:184], v[181:182]
	v_div_scale_f64 v[191:192], vcc_lo, v[181:182], v[183:184], v[181:182]
	v_rcp_f64_e32 v[187:188], v[185:186]
	v_fma_f64 v[189:190], -v[185:186], v[187:188], 1.0
	v_fma_f64 v[187:188], v[187:188], v[189:190], v[187:188]
	v_fma_f64 v[189:190], -v[185:186], v[187:188], 1.0
	v_fma_f64 v[187:188], v[187:188], v[189:190], v[187:188]
	v_mul_f64 v[189:190], v[191:192], v[187:188]
	v_fma_f64 v[185:186], -v[185:186], v[189:190], v[191:192]
	v_div_fmas_f64 v[185:186], v[185:186], v[187:188], v[189:190]
	v_div_fixup_f64 v[185:186], v[185:186], v[183:184], v[181:182]
	v_fma_f64 v[181:182], v[181:182], v[185:186], v[183:184]
	v_div_scale_f64 v[183:184], null, v[181:182], v[181:182], 1.0
	v_rcp_f64_e32 v[187:188], v[183:184]
	v_fma_f64 v[189:190], -v[183:184], v[187:188], 1.0
	v_fma_f64 v[187:188], v[187:188], v[189:190], v[187:188]
	v_fma_f64 v[189:190], -v[183:184], v[187:188], 1.0
	v_fma_f64 v[187:188], v[187:188], v[189:190], v[187:188]
	v_div_scale_f64 v[189:190], vcc_lo, 1.0, v[181:182], 1.0
	v_mul_f64 v[191:192], v[189:190], v[187:188]
	v_fma_f64 v[183:184], -v[183:184], v[191:192], v[189:190]
	v_div_fmas_f64 v[183:184], v[183:184], v[187:188], v[191:192]
	v_div_fixup_f64 v[187:188], v[183:184], v[181:182], 1.0
                                        ; implicit-def: $vgpr181_vgpr182
	v_mul_f64 v[185:186], v[185:186], v[187:188]
	v_xor_b32_e32 v188, 0x80000000, v188
.LBB89_266:
	s_andn2_saveexec_b32 s1, s1
	s_cbranch_execz .LBB89_268
; %bb.267:
	v_div_scale_f64 v[185:186], null, v[181:182], v[181:182], v[183:184]
	v_div_scale_f64 v[191:192], vcc_lo, v[183:184], v[181:182], v[183:184]
	v_rcp_f64_e32 v[187:188], v[185:186]
	v_fma_f64 v[189:190], -v[185:186], v[187:188], 1.0
	v_fma_f64 v[187:188], v[187:188], v[189:190], v[187:188]
	v_fma_f64 v[189:190], -v[185:186], v[187:188], 1.0
	v_fma_f64 v[187:188], v[187:188], v[189:190], v[187:188]
	v_mul_f64 v[189:190], v[191:192], v[187:188]
	v_fma_f64 v[185:186], -v[185:186], v[189:190], v[191:192]
	v_div_fmas_f64 v[185:186], v[185:186], v[187:188], v[189:190]
	v_div_fixup_f64 v[187:188], v[185:186], v[181:182], v[183:184]
	v_fma_f64 v[181:182], v[183:184], v[187:188], v[181:182]
	v_div_scale_f64 v[183:184], null, v[181:182], v[181:182], 1.0
	v_rcp_f64_e32 v[185:186], v[183:184]
	v_fma_f64 v[189:190], -v[183:184], v[185:186], 1.0
	v_fma_f64 v[185:186], v[185:186], v[189:190], v[185:186]
	v_fma_f64 v[189:190], -v[183:184], v[185:186], 1.0
	v_fma_f64 v[185:186], v[185:186], v[189:190], v[185:186]
	v_div_scale_f64 v[189:190], vcc_lo, 1.0, v[181:182], 1.0
	v_mul_f64 v[191:192], v[189:190], v[185:186]
	v_fma_f64 v[183:184], -v[183:184], v[191:192], v[189:190]
	v_div_fmas_f64 v[183:184], v[183:184], v[185:186], v[191:192]
	v_div_fixup_f64 v[185:186], v[183:184], v[181:182], 1.0
	v_mul_f64 v[187:188], v[187:188], -v[185:186]
.LBB89_268:
	s_or_b32 exec_lo, exec_lo, s1
	ds_write2_b64 v255, v[185:186], v[187:188] offset1:1
.LBB89_269:
	s_or_b32 exec_lo, exec_lo, s2
	s_waitcnt lgkmcnt(0)
	s_barrier
	buffer_gl0_inv
	ds_read2_b64 v[181:184], v255 offset1:1
	s_mov_b32 s1, exec_lo
	s_waitcnt lgkmcnt(0)
	buffer_store_dword v181, off, s[16:19], 0 offset:704 ; 4-byte Folded Spill
	buffer_store_dword v182, off, s[16:19], 0 offset:708 ; 4-byte Folded Spill
	;; [unrolled: 1-line block ×4, first 2 shown]
	v_cmpx_lt_u32_e32 29, v0
	s_cbranch_execz .LBB89_271
; %bb.270:
	s_clause 0x3
	buffer_load_dword v183, off, s[16:19], 0 offset:704
	buffer_load_dword v184, off, s[16:19], 0 offset:708
	;; [unrolled: 1-line block ×4, first 2 shown]
	s_waitcnt vmcnt(2)
	v_mul_f64 v[181:182], v[183:184], v[63:64]
	s_waitcnt vmcnt(0)
	v_mul_f64 v[63:64], v[185:186], v[63:64]
	v_fma_f64 v[181:182], v[185:186], v[61:62], v[181:182]
	v_fma_f64 v[61:62], v[183:184], v[61:62], -v[63:64]
	ds_read2_b64 v[183:186], v253 offset0:60 offset1:61
	s_waitcnt lgkmcnt(0)
	v_mul_f64 v[63:64], v[185:186], v[181:182]
	v_fma_f64 v[63:64], v[183:184], v[61:62], -v[63:64]
	v_mul_f64 v[183:184], v[183:184], v[181:182]
	v_add_f64 v[57:58], v[57:58], -v[63:64]
	v_fma_f64 v[183:184], v[185:186], v[61:62], v[183:184]
	v_add_f64 v[59:60], v[59:60], -v[183:184]
	ds_read2_b64 v[183:186], v253 offset0:62 offset1:63
	s_waitcnt lgkmcnt(0)
	v_mul_f64 v[63:64], v[185:186], v[181:182]
	v_fma_f64 v[63:64], v[183:184], v[61:62], -v[63:64]
	v_mul_f64 v[183:184], v[183:184], v[181:182]
	v_add_f64 v[53:54], v[53:54], -v[63:64]
	v_fma_f64 v[183:184], v[185:186], v[61:62], v[183:184]
	v_add_f64 v[55:56], v[55:56], -v[183:184]
	;; [unrolled: 8-line block ×14, first 2 shown]
	ds_read2_b64 v[183:186], v253 offset0:88 offset1:89
	s_waitcnt lgkmcnt(0)
	v_mul_f64 v[63:64], v[185:186], v[181:182]
	v_fma_f64 v[63:64], v[183:184], v[61:62], -v[63:64]
	v_mul_f64 v[183:184], v[183:184], v[181:182]
	v_add_f64 v[1:2], v[1:2], -v[63:64]
	v_fma_f64 v[183:184], v[185:186], v[61:62], v[183:184]
	v_mov_b32_e32 v63, v181
	v_mov_b32_e32 v64, v182
	v_add_f64 v[3:4], v[3:4], -v[183:184]
.LBB89_271:
	s_or_b32 exec_lo, exec_lo, s1
	s_mov_b32 s2, exec_lo
	s_waitcnt_vscnt null, 0x0
	s_barrier
	buffer_gl0_inv
	v_cmpx_eq_u32_e32 30, v0
	s_cbranch_execz .LBB89_278
; %bb.272:
	ds_write2_b64 v255, v[57:58], v[59:60] offset1:1
	ds_write2_b64 v253, v[53:54], v[55:56] offset0:62 offset1:63
	ds_write2_b64 v253, v[49:50], v[51:52] offset0:64 offset1:65
	ds_write2_b64 v253, v[45:46], v[47:48] offset0:66 offset1:67
	ds_write2_b64 v253, v[41:42], v[43:44] offset0:68 offset1:69
	ds_write2_b64 v253, v[37:38], v[39:40] offset0:70 offset1:71
	ds_write2_b64 v253, v[33:34], v[35:36] offset0:72 offset1:73
	ds_write2_b64 v253, v[29:30], v[31:32] offset0:74 offset1:75
	ds_write2_b64 v253, v[25:26], v[27:28] offset0:76 offset1:77
	ds_write2_b64 v253, v[21:22], v[23:24] offset0:78 offset1:79
	ds_write2_b64 v253, v[17:18], v[19:20] offset0:80 offset1:81
	ds_write2_b64 v253, v[13:14], v[15:16] offset0:82 offset1:83
	ds_write2_b64 v253, v[9:10], v[11:12] offset0:84 offset1:85
	ds_write2_b64 v253, v[5:6], v[7:8] offset0:86 offset1:87
	ds_write2_b64 v253, v[1:2], v[3:4] offset0:88 offset1:89
	ds_read2_b64 v[181:184], v255 offset1:1
	s_waitcnt lgkmcnt(0)
	v_cmp_neq_f64_e32 vcc_lo, 0, v[181:182]
	v_cmp_neq_f64_e64 s1, 0, v[183:184]
	s_or_b32 s1, vcc_lo, s1
	s_and_b32 exec_lo, exec_lo, s1
	s_cbranch_execz .LBB89_278
; %bb.273:
	v_cmp_ngt_f64_e64 s1, |v[181:182]|, |v[183:184]|
                                        ; implicit-def: $vgpr185_vgpr186
	s_and_saveexec_b32 s3, s1
	s_xor_b32 s1, exec_lo, s3
                                        ; implicit-def: $vgpr187_vgpr188
	s_cbranch_execz .LBB89_275
; %bb.274:
	v_div_scale_f64 v[185:186], null, v[183:184], v[183:184], v[181:182]
	v_div_scale_f64 v[191:192], vcc_lo, v[181:182], v[183:184], v[181:182]
	v_rcp_f64_e32 v[187:188], v[185:186]
	v_fma_f64 v[189:190], -v[185:186], v[187:188], 1.0
	v_fma_f64 v[187:188], v[187:188], v[189:190], v[187:188]
	v_fma_f64 v[189:190], -v[185:186], v[187:188], 1.0
	v_fma_f64 v[187:188], v[187:188], v[189:190], v[187:188]
	v_mul_f64 v[189:190], v[191:192], v[187:188]
	v_fma_f64 v[185:186], -v[185:186], v[189:190], v[191:192]
	v_div_fmas_f64 v[185:186], v[185:186], v[187:188], v[189:190]
	v_div_fixup_f64 v[185:186], v[185:186], v[183:184], v[181:182]
	v_fma_f64 v[181:182], v[181:182], v[185:186], v[183:184]
	v_div_scale_f64 v[183:184], null, v[181:182], v[181:182], 1.0
	v_rcp_f64_e32 v[187:188], v[183:184]
	v_fma_f64 v[189:190], -v[183:184], v[187:188], 1.0
	v_fma_f64 v[187:188], v[187:188], v[189:190], v[187:188]
	v_fma_f64 v[189:190], -v[183:184], v[187:188], 1.0
	v_fma_f64 v[187:188], v[187:188], v[189:190], v[187:188]
	v_div_scale_f64 v[189:190], vcc_lo, 1.0, v[181:182], 1.0
	v_mul_f64 v[191:192], v[189:190], v[187:188]
	v_fma_f64 v[183:184], -v[183:184], v[191:192], v[189:190]
	v_div_fmas_f64 v[183:184], v[183:184], v[187:188], v[191:192]
	v_div_fixup_f64 v[187:188], v[183:184], v[181:182], 1.0
                                        ; implicit-def: $vgpr181_vgpr182
	v_mul_f64 v[185:186], v[185:186], v[187:188]
	v_xor_b32_e32 v188, 0x80000000, v188
.LBB89_275:
	s_andn2_saveexec_b32 s1, s1
	s_cbranch_execz .LBB89_277
; %bb.276:
	v_div_scale_f64 v[185:186], null, v[181:182], v[181:182], v[183:184]
	v_div_scale_f64 v[191:192], vcc_lo, v[183:184], v[181:182], v[183:184]
	v_rcp_f64_e32 v[187:188], v[185:186]
	v_fma_f64 v[189:190], -v[185:186], v[187:188], 1.0
	v_fma_f64 v[187:188], v[187:188], v[189:190], v[187:188]
	v_fma_f64 v[189:190], -v[185:186], v[187:188], 1.0
	v_fma_f64 v[187:188], v[187:188], v[189:190], v[187:188]
	v_mul_f64 v[189:190], v[191:192], v[187:188]
	v_fma_f64 v[185:186], -v[185:186], v[189:190], v[191:192]
	v_div_fmas_f64 v[185:186], v[185:186], v[187:188], v[189:190]
	v_div_fixup_f64 v[187:188], v[185:186], v[181:182], v[183:184]
	v_fma_f64 v[181:182], v[183:184], v[187:188], v[181:182]
	v_div_scale_f64 v[183:184], null, v[181:182], v[181:182], 1.0
	v_rcp_f64_e32 v[185:186], v[183:184]
	v_fma_f64 v[189:190], -v[183:184], v[185:186], 1.0
	v_fma_f64 v[185:186], v[185:186], v[189:190], v[185:186]
	v_fma_f64 v[189:190], -v[183:184], v[185:186], 1.0
	v_fma_f64 v[185:186], v[185:186], v[189:190], v[185:186]
	v_div_scale_f64 v[189:190], vcc_lo, 1.0, v[181:182], 1.0
	v_mul_f64 v[191:192], v[189:190], v[185:186]
	v_fma_f64 v[183:184], -v[183:184], v[191:192], v[189:190]
	v_div_fmas_f64 v[183:184], v[183:184], v[185:186], v[191:192]
	v_div_fixup_f64 v[185:186], v[183:184], v[181:182], 1.0
	v_mul_f64 v[187:188], v[187:188], -v[185:186]
.LBB89_277:
	s_or_b32 exec_lo, exec_lo, s1
	ds_write2_b64 v255, v[185:186], v[187:188] offset1:1
.LBB89_278:
	s_or_b32 exec_lo, exec_lo, s2
	s_waitcnt lgkmcnt(0)
	s_barrier
	buffer_gl0_inv
	ds_read2_b64 v[181:184], v255 offset1:1
	s_mov_b32 s1, exec_lo
	s_waitcnt lgkmcnt(0)
	buffer_store_dword v181, off, s[16:19], 0 offset:720 ; 4-byte Folded Spill
	buffer_store_dword v182, off, s[16:19], 0 offset:724 ; 4-byte Folded Spill
	;; [unrolled: 1-line block ×4, first 2 shown]
	v_cmpx_lt_u32_e32 30, v0
	s_cbranch_execz .LBB89_280
; %bb.279:
	s_clause 0x3
	buffer_load_dword v183, off, s[16:19], 0 offset:720
	buffer_load_dword v184, off, s[16:19], 0 offset:724
	;; [unrolled: 1-line block ×4, first 2 shown]
	s_waitcnt vmcnt(2)
	v_mul_f64 v[181:182], v[183:184], v[59:60]
	s_waitcnt vmcnt(0)
	v_mul_f64 v[59:60], v[185:186], v[59:60]
	v_fma_f64 v[181:182], v[185:186], v[57:58], v[181:182]
	v_fma_f64 v[57:58], v[183:184], v[57:58], -v[59:60]
	ds_read2_b64 v[183:186], v253 offset0:62 offset1:63
	s_waitcnt lgkmcnt(0)
	v_mul_f64 v[59:60], v[185:186], v[181:182]
	v_fma_f64 v[59:60], v[183:184], v[57:58], -v[59:60]
	v_mul_f64 v[183:184], v[183:184], v[181:182]
	v_add_f64 v[53:54], v[53:54], -v[59:60]
	v_fma_f64 v[183:184], v[185:186], v[57:58], v[183:184]
	v_add_f64 v[55:56], v[55:56], -v[183:184]
	ds_read2_b64 v[183:186], v253 offset0:64 offset1:65
	s_waitcnt lgkmcnt(0)
	v_mul_f64 v[59:60], v[185:186], v[181:182]
	v_fma_f64 v[59:60], v[183:184], v[57:58], -v[59:60]
	v_mul_f64 v[183:184], v[183:184], v[181:182]
	v_add_f64 v[49:50], v[49:50], -v[59:60]
	v_fma_f64 v[183:184], v[185:186], v[57:58], v[183:184]
	v_add_f64 v[51:52], v[51:52], -v[183:184]
	;; [unrolled: 8-line block ×13, first 2 shown]
	ds_read2_b64 v[183:186], v253 offset0:88 offset1:89
	s_waitcnt lgkmcnt(0)
	v_mul_f64 v[59:60], v[185:186], v[181:182]
	v_fma_f64 v[59:60], v[183:184], v[57:58], -v[59:60]
	v_mul_f64 v[183:184], v[183:184], v[181:182]
	v_add_f64 v[1:2], v[1:2], -v[59:60]
	v_fma_f64 v[183:184], v[185:186], v[57:58], v[183:184]
	v_mov_b32_e32 v59, v181
	v_mov_b32_e32 v60, v182
	v_add_f64 v[3:4], v[3:4], -v[183:184]
.LBB89_280:
	s_or_b32 exec_lo, exec_lo, s1
	s_mov_b32 s2, exec_lo
	s_waitcnt_vscnt null, 0x0
	s_barrier
	buffer_gl0_inv
	v_cmpx_eq_u32_e32 31, v0
	s_cbranch_execz .LBB89_287
; %bb.281:
	ds_write2_b64 v255, v[53:54], v[55:56] offset1:1
	ds_write2_b64 v253, v[49:50], v[51:52] offset0:64 offset1:65
	ds_write2_b64 v253, v[45:46], v[47:48] offset0:66 offset1:67
	;; [unrolled: 1-line block ×13, first 2 shown]
	ds_read2_b64 v[181:184], v255 offset1:1
	s_waitcnt lgkmcnt(0)
	v_cmp_neq_f64_e32 vcc_lo, 0, v[181:182]
	v_cmp_neq_f64_e64 s1, 0, v[183:184]
	s_or_b32 s1, vcc_lo, s1
	s_and_b32 exec_lo, exec_lo, s1
	s_cbranch_execz .LBB89_287
; %bb.282:
	v_cmp_ngt_f64_e64 s1, |v[181:182]|, |v[183:184]|
                                        ; implicit-def: $vgpr185_vgpr186
	s_and_saveexec_b32 s3, s1
	s_xor_b32 s1, exec_lo, s3
                                        ; implicit-def: $vgpr187_vgpr188
	s_cbranch_execz .LBB89_284
; %bb.283:
	v_div_scale_f64 v[185:186], null, v[183:184], v[183:184], v[181:182]
	v_div_scale_f64 v[191:192], vcc_lo, v[181:182], v[183:184], v[181:182]
	v_rcp_f64_e32 v[187:188], v[185:186]
	v_fma_f64 v[189:190], -v[185:186], v[187:188], 1.0
	v_fma_f64 v[187:188], v[187:188], v[189:190], v[187:188]
	v_fma_f64 v[189:190], -v[185:186], v[187:188], 1.0
	v_fma_f64 v[187:188], v[187:188], v[189:190], v[187:188]
	v_mul_f64 v[189:190], v[191:192], v[187:188]
	v_fma_f64 v[185:186], -v[185:186], v[189:190], v[191:192]
	v_div_fmas_f64 v[185:186], v[185:186], v[187:188], v[189:190]
	v_div_fixup_f64 v[185:186], v[185:186], v[183:184], v[181:182]
	v_fma_f64 v[181:182], v[181:182], v[185:186], v[183:184]
	v_div_scale_f64 v[183:184], null, v[181:182], v[181:182], 1.0
	v_rcp_f64_e32 v[187:188], v[183:184]
	v_fma_f64 v[189:190], -v[183:184], v[187:188], 1.0
	v_fma_f64 v[187:188], v[187:188], v[189:190], v[187:188]
	v_fma_f64 v[189:190], -v[183:184], v[187:188], 1.0
	v_fma_f64 v[187:188], v[187:188], v[189:190], v[187:188]
	v_div_scale_f64 v[189:190], vcc_lo, 1.0, v[181:182], 1.0
	v_mul_f64 v[191:192], v[189:190], v[187:188]
	v_fma_f64 v[183:184], -v[183:184], v[191:192], v[189:190]
	v_div_fmas_f64 v[183:184], v[183:184], v[187:188], v[191:192]
	v_div_fixup_f64 v[187:188], v[183:184], v[181:182], 1.0
                                        ; implicit-def: $vgpr181_vgpr182
	v_mul_f64 v[185:186], v[185:186], v[187:188]
	v_xor_b32_e32 v188, 0x80000000, v188
.LBB89_284:
	s_andn2_saveexec_b32 s1, s1
	s_cbranch_execz .LBB89_286
; %bb.285:
	v_div_scale_f64 v[185:186], null, v[181:182], v[181:182], v[183:184]
	v_div_scale_f64 v[191:192], vcc_lo, v[183:184], v[181:182], v[183:184]
	v_rcp_f64_e32 v[187:188], v[185:186]
	v_fma_f64 v[189:190], -v[185:186], v[187:188], 1.0
	v_fma_f64 v[187:188], v[187:188], v[189:190], v[187:188]
	v_fma_f64 v[189:190], -v[185:186], v[187:188], 1.0
	v_fma_f64 v[187:188], v[187:188], v[189:190], v[187:188]
	v_mul_f64 v[189:190], v[191:192], v[187:188]
	v_fma_f64 v[185:186], -v[185:186], v[189:190], v[191:192]
	v_div_fmas_f64 v[185:186], v[185:186], v[187:188], v[189:190]
	v_div_fixup_f64 v[187:188], v[185:186], v[181:182], v[183:184]
	v_fma_f64 v[181:182], v[183:184], v[187:188], v[181:182]
	v_div_scale_f64 v[183:184], null, v[181:182], v[181:182], 1.0
	v_rcp_f64_e32 v[185:186], v[183:184]
	v_fma_f64 v[189:190], -v[183:184], v[185:186], 1.0
	v_fma_f64 v[185:186], v[185:186], v[189:190], v[185:186]
	v_fma_f64 v[189:190], -v[183:184], v[185:186], 1.0
	v_fma_f64 v[185:186], v[185:186], v[189:190], v[185:186]
	v_div_scale_f64 v[189:190], vcc_lo, 1.0, v[181:182], 1.0
	v_mul_f64 v[191:192], v[189:190], v[185:186]
	v_fma_f64 v[183:184], -v[183:184], v[191:192], v[189:190]
	v_div_fmas_f64 v[183:184], v[183:184], v[185:186], v[191:192]
	v_div_fixup_f64 v[185:186], v[183:184], v[181:182], 1.0
	v_mul_f64 v[187:188], v[187:188], -v[185:186]
.LBB89_286:
	s_or_b32 exec_lo, exec_lo, s1
	ds_write2_b64 v255, v[185:186], v[187:188] offset1:1
.LBB89_287:
	s_or_b32 exec_lo, exec_lo, s2
	s_waitcnt lgkmcnt(0)
	s_barrier
	buffer_gl0_inv
	ds_read2_b64 v[181:184], v255 offset1:1
	s_mov_b32 s1, exec_lo
	s_waitcnt lgkmcnt(0)
	buffer_store_dword v181, off, s[16:19], 0 offset:736 ; 4-byte Folded Spill
	buffer_store_dword v182, off, s[16:19], 0 offset:740 ; 4-byte Folded Spill
	;; [unrolled: 1-line block ×4, first 2 shown]
	v_cmpx_lt_u32_e32 31, v0
	s_cbranch_execz .LBB89_289
; %bb.288:
	s_clause 0x3
	buffer_load_dword v183, off, s[16:19], 0 offset:736
	buffer_load_dword v184, off, s[16:19], 0 offset:740
	;; [unrolled: 1-line block ×4, first 2 shown]
	s_waitcnt vmcnt(2)
	v_mul_f64 v[181:182], v[183:184], v[55:56]
	s_waitcnt vmcnt(0)
	v_mul_f64 v[55:56], v[185:186], v[55:56]
	v_fma_f64 v[181:182], v[185:186], v[53:54], v[181:182]
	v_fma_f64 v[53:54], v[183:184], v[53:54], -v[55:56]
	ds_read2_b64 v[183:186], v253 offset0:64 offset1:65
	s_waitcnt lgkmcnt(0)
	v_mul_f64 v[55:56], v[185:186], v[181:182]
	v_fma_f64 v[55:56], v[183:184], v[53:54], -v[55:56]
	v_mul_f64 v[183:184], v[183:184], v[181:182]
	v_add_f64 v[49:50], v[49:50], -v[55:56]
	v_fma_f64 v[183:184], v[185:186], v[53:54], v[183:184]
	v_add_f64 v[51:52], v[51:52], -v[183:184]
	ds_read2_b64 v[183:186], v253 offset0:66 offset1:67
	s_waitcnt lgkmcnt(0)
	v_mul_f64 v[55:56], v[185:186], v[181:182]
	v_fma_f64 v[55:56], v[183:184], v[53:54], -v[55:56]
	v_mul_f64 v[183:184], v[183:184], v[181:182]
	v_add_f64 v[45:46], v[45:46], -v[55:56]
	v_fma_f64 v[183:184], v[185:186], v[53:54], v[183:184]
	v_add_f64 v[47:48], v[47:48], -v[183:184]
	;; [unrolled: 8-line block ×12, first 2 shown]
	ds_read2_b64 v[183:186], v253 offset0:88 offset1:89
	s_waitcnt lgkmcnt(0)
	v_mul_f64 v[55:56], v[185:186], v[181:182]
	v_fma_f64 v[55:56], v[183:184], v[53:54], -v[55:56]
	v_mul_f64 v[183:184], v[183:184], v[181:182]
	v_add_f64 v[1:2], v[1:2], -v[55:56]
	v_fma_f64 v[183:184], v[185:186], v[53:54], v[183:184]
	v_mov_b32_e32 v55, v181
	v_mov_b32_e32 v56, v182
	v_add_f64 v[3:4], v[3:4], -v[183:184]
.LBB89_289:
	s_or_b32 exec_lo, exec_lo, s1
	s_mov_b32 s2, exec_lo
	s_waitcnt_vscnt null, 0x0
	s_barrier
	buffer_gl0_inv
	v_cmpx_eq_u32_e32 32, v0
	s_cbranch_execz .LBB89_296
; %bb.290:
	ds_write2_b64 v255, v[49:50], v[51:52] offset1:1
	ds_write2_b64 v253, v[45:46], v[47:48] offset0:66 offset1:67
	ds_write2_b64 v253, v[41:42], v[43:44] offset0:68 offset1:69
	;; [unrolled: 1-line block ×12, first 2 shown]
	ds_read2_b64 v[181:184], v255 offset1:1
	s_waitcnt lgkmcnt(0)
	v_cmp_neq_f64_e32 vcc_lo, 0, v[181:182]
	v_cmp_neq_f64_e64 s1, 0, v[183:184]
	s_or_b32 s1, vcc_lo, s1
	s_and_b32 exec_lo, exec_lo, s1
	s_cbranch_execz .LBB89_296
; %bb.291:
	v_cmp_ngt_f64_e64 s1, |v[181:182]|, |v[183:184]|
                                        ; implicit-def: $vgpr185_vgpr186
	s_and_saveexec_b32 s3, s1
	s_xor_b32 s1, exec_lo, s3
                                        ; implicit-def: $vgpr187_vgpr188
	s_cbranch_execz .LBB89_293
; %bb.292:
	v_div_scale_f64 v[185:186], null, v[183:184], v[183:184], v[181:182]
	v_div_scale_f64 v[191:192], vcc_lo, v[181:182], v[183:184], v[181:182]
	v_rcp_f64_e32 v[187:188], v[185:186]
	v_fma_f64 v[189:190], -v[185:186], v[187:188], 1.0
	v_fma_f64 v[187:188], v[187:188], v[189:190], v[187:188]
	v_fma_f64 v[189:190], -v[185:186], v[187:188], 1.0
	v_fma_f64 v[187:188], v[187:188], v[189:190], v[187:188]
	v_mul_f64 v[189:190], v[191:192], v[187:188]
	v_fma_f64 v[185:186], -v[185:186], v[189:190], v[191:192]
	v_div_fmas_f64 v[185:186], v[185:186], v[187:188], v[189:190]
	v_div_fixup_f64 v[185:186], v[185:186], v[183:184], v[181:182]
	v_fma_f64 v[181:182], v[181:182], v[185:186], v[183:184]
	v_div_scale_f64 v[183:184], null, v[181:182], v[181:182], 1.0
	v_rcp_f64_e32 v[187:188], v[183:184]
	v_fma_f64 v[189:190], -v[183:184], v[187:188], 1.0
	v_fma_f64 v[187:188], v[187:188], v[189:190], v[187:188]
	v_fma_f64 v[189:190], -v[183:184], v[187:188], 1.0
	v_fma_f64 v[187:188], v[187:188], v[189:190], v[187:188]
	v_div_scale_f64 v[189:190], vcc_lo, 1.0, v[181:182], 1.0
	v_mul_f64 v[191:192], v[189:190], v[187:188]
	v_fma_f64 v[183:184], -v[183:184], v[191:192], v[189:190]
	v_div_fmas_f64 v[183:184], v[183:184], v[187:188], v[191:192]
	v_div_fixup_f64 v[187:188], v[183:184], v[181:182], 1.0
                                        ; implicit-def: $vgpr181_vgpr182
	v_mul_f64 v[185:186], v[185:186], v[187:188]
	v_xor_b32_e32 v188, 0x80000000, v188
.LBB89_293:
	s_andn2_saveexec_b32 s1, s1
	s_cbranch_execz .LBB89_295
; %bb.294:
	v_div_scale_f64 v[185:186], null, v[181:182], v[181:182], v[183:184]
	v_div_scale_f64 v[191:192], vcc_lo, v[183:184], v[181:182], v[183:184]
	v_rcp_f64_e32 v[187:188], v[185:186]
	v_fma_f64 v[189:190], -v[185:186], v[187:188], 1.0
	v_fma_f64 v[187:188], v[187:188], v[189:190], v[187:188]
	v_fma_f64 v[189:190], -v[185:186], v[187:188], 1.0
	v_fma_f64 v[187:188], v[187:188], v[189:190], v[187:188]
	v_mul_f64 v[189:190], v[191:192], v[187:188]
	v_fma_f64 v[185:186], -v[185:186], v[189:190], v[191:192]
	v_div_fmas_f64 v[185:186], v[185:186], v[187:188], v[189:190]
	v_div_fixup_f64 v[187:188], v[185:186], v[181:182], v[183:184]
	v_fma_f64 v[181:182], v[183:184], v[187:188], v[181:182]
	v_div_scale_f64 v[183:184], null, v[181:182], v[181:182], 1.0
	v_rcp_f64_e32 v[185:186], v[183:184]
	v_fma_f64 v[189:190], -v[183:184], v[185:186], 1.0
	v_fma_f64 v[185:186], v[185:186], v[189:190], v[185:186]
	v_fma_f64 v[189:190], -v[183:184], v[185:186], 1.0
	v_fma_f64 v[185:186], v[185:186], v[189:190], v[185:186]
	v_div_scale_f64 v[189:190], vcc_lo, 1.0, v[181:182], 1.0
	v_mul_f64 v[191:192], v[189:190], v[185:186]
	v_fma_f64 v[183:184], -v[183:184], v[191:192], v[189:190]
	v_div_fmas_f64 v[183:184], v[183:184], v[185:186], v[191:192]
	v_div_fixup_f64 v[185:186], v[183:184], v[181:182], 1.0
	v_mul_f64 v[187:188], v[187:188], -v[185:186]
.LBB89_295:
	s_or_b32 exec_lo, exec_lo, s1
	ds_write2_b64 v255, v[185:186], v[187:188] offset1:1
.LBB89_296:
	s_or_b32 exec_lo, exec_lo, s2
	s_waitcnt lgkmcnt(0)
	s_barrier
	buffer_gl0_inv
	ds_read2_b64 v[181:184], v255 offset1:1
	s_mov_b32 s1, exec_lo
	s_waitcnt lgkmcnt(0)
	buffer_store_dword v181, off, s[16:19], 0 offset:752 ; 4-byte Folded Spill
	buffer_store_dword v182, off, s[16:19], 0 offset:756 ; 4-byte Folded Spill
	;; [unrolled: 1-line block ×4, first 2 shown]
	v_cmpx_lt_u32_e32 32, v0
	s_cbranch_execz .LBB89_298
; %bb.297:
	s_clause 0x3
	buffer_load_dword v183, off, s[16:19], 0 offset:752
	buffer_load_dword v184, off, s[16:19], 0 offset:756
	;; [unrolled: 1-line block ×4, first 2 shown]
	s_waitcnt vmcnt(2)
	v_mul_f64 v[181:182], v[183:184], v[51:52]
	s_waitcnt vmcnt(0)
	v_mul_f64 v[51:52], v[185:186], v[51:52]
	v_fma_f64 v[181:182], v[185:186], v[49:50], v[181:182]
	v_fma_f64 v[49:50], v[183:184], v[49:50], -v[51:52]
	ds_read2_b64 v[183:186], v253 offset0:66 offset1:67
	s_waitcnt lgkmcnt(0)
	v_mul_f64 v[51:52], v[185:186], v[181:182]
	v_fma_f64 v[51:52], v[183:184], v[49:50], -v[51:52]
	v_mul_f64 v[183:184], v[183:184], v[181:182]
	v_add_f64 v[45:46], v[45:46], -v[51:52]
	v_fma_f64 v[183:184], v[185:186], v[49:50], v[183:184]
	v_add_f64 v[47:48], v[47:48], -v[183:184]
	ds_read2_b64 v[183:186], v253 offset0:68 offset1:69
	s_waitcnt lgkmcnt(0)
	v_mul_f64 v[51:52], v[185:186], v[181:182]
	v_fma_f64 v[51:52], v[183:184], v[49:50], -v[51:52]
	v_mul_f64 v[183:184], v[183:184], v[181:182]
	v_add_f64 v[41:42], v[41:42], -v[51:52]
	v_fma_f64 v[183:184], v[185:186], v[49:50], v[183:184]
	v_add_f64 v[43:44], v[43:44], -v[183:184]
	;; [unrolled: 8-line block ×11, first 2 shown]
	ds_read2_b64 v[183:186], v253 offset0:88 offset1:89
	s_waitcnt lgkmcnt(0)
	v_mul_f64 v[51:52], v[185:186], v[181:182]
	v_fma_f64 v[51:52], v[183:184], v[49:50], -v[51:52]
	v_mul_f64 v[183:184], v[183:184], v[181:182]
	v_add_f64 v[1:2], v[1:2], -v[51:52]
	v_fma_f64 v[183:184], v[185:186], v[49:50], v[183:184]
	v_mov_b32_e32 v51, v181
	v_mov_b32_e32 v52, v182
	v_add_f64 v[3:4], v[3:4], -v[183:184]
.LBB89_298:
	s_or_b32 exec_lo, exec_lo, s1
	s_mov_b32 s2, exec_lo
	s_waitcnt_vscnt null, 0x0
	s_barrier
	buffer_gl0_inv
	v_cmpx_eq_u32_e32 33, v0
	s_cbranch_execz .LBB89_305
; %bb.299:
	ds_write2_b64 v255, v[45:46], v[47:48] offset1:1
	ds_write2_b64 v253, v[41:42], v[43:44] offset0:68 offset1:69
	ds_write2_b64 v253, v[37:38], v[39:40] offset0:70 offset1:71
	;; [unrolled: 1-line block ×11, first 2 shown]
	ds_read2_b64 v[181:184], v255 offset1:1
	s_waitcnt lgkmcnt(0)
	v_cmp_neq_f64_e32 vcc_lo, 0, v[181:182]
	v_cmp_neq_f64_e64 s1, 0, v[183:184]
	s_or_b32 s1, vcc_lo, s1
	s_and_b32 exec_lo, exec_lo, s1
	s_cbranch_execz .LBB89_305
; %bb.300:
	v_cmp_ngt_f64_e64 s1, |v[181:182]|, |v[183:184]|
                                        ; implicit-def: $vgpr185_vgpr186
	s_and_saveexec_b32 s3, s1
	s_xor_b32 s1, exec_lo, s3
                                        ; implicit-def: $vgpr187_vgpr188
	s_cbranch_execz .LBB89_302
; %bb.301:
	v_div_scale_f64 v[185:186], null, v[183:184], v[183:184], v[181:182]
	v_div_scale_f64 v[191:192], vcc_lo, v[181:182], v[183:184], v[181:182]
	v_rcp_f64_e32 v[187:188], v[185:186]
	v_fma_f64 v[189:190], -v[185:186], v[187:188], 1.0
	v_fma_f64 v[187:188], v[187:188], v[189:190], v[187:188]
	v_fma_f64 v[189:190], -v[185:186], v[187:188], 1.0
	v_fma_f64 v[187:188], v[187:188], v[189:190], v[187:188]
	v_mul_f64 v[189:190], v[191:192], v[187:188]
	v_fma_f64 v[185:186], -v[185:186], v[189:190], v[191:192]
	v_div_fmas_f64 v[185:186], v[185:186], v[187:188], v[189:190]
	v_div_fixup_f64 v[185:186], v[185:186], v[183:184], v[181:182]
	v_fma_f64 v[181:182], v[181:182], v[185:186], v[183:184]
	v_div_scale_f64 v[183:184], null, v[181:182], v[181:182], 1.0
	v_rcp_f64_e32 v[187:188], v[183:184]
	v_fma_f64 v[189:190], -v[183:184], v[187:188], 1.0
	v_fma_f64 v[187:188], v[187:188], v[189:190], v[187:188]
	v_fma_f64 v[189:190], -v[183:184], v[187:188], 1.0
	v_fma_f64 v[187:188], v[187:188], v[189:190], v[187:188]
	v_div_scale_f64 v[189:190], vcc_lo, 1.0, v[181:182], 1.0
	v_mul_f64 v[191:192], v[189:190], v[187:188]
	v_fma_f64 v[183:184], -v[183:184], v[191:192], v[189:190]
	v_div_fmas_f64 v[183:184], v[183:184], v[187:188], v[191:192]
	v_div_fixup_f64 v[187:188], v[183:184], v[181:182], 1.0
                                        ; implicit-def: $vgpr181_vgpr182
	v_mul_f64 v[185:186], v[185:186], v[187:188]
	v_xor_b32_e32 v188, 0x80000000, v188
.LBB89_302:
	s_andn2_saveexec_b32 s1, s1
	s_cbranch_execz .LBB89_304
; %bb.303:
	v_div_scale_f64 v[185:186], null, v[181:182], v[181:182], v[183:184]
	v_div_scale_f64 v[191:192], vcc_lo, v[183:184], v[181:182], v[183:184]
	v_rcp_f64_e32 v[187:188], v[185:186]
	v_fma_f64 v[189:190], -v[185:186], v[187:188], 1.0
	v_fma_f64 v[187:188], v[187:188], v[189:190], v[187:188]
	v_fma_f64 v[189:190], -v[185:186], v[187:188], 1.0
	v_fma_f64 v[187:188], v[187:188], v[189:190], v[187:188]
	v_mul_f64 v[189:190], v[191:192], v[187:188]
	v_fma_f64 v[185:186], -v[185:186], v[189:190], v[191:192]
	v_div_fmas_f64 v[185:186], v[185:186], v[187:188], v[189:190]
	v_div_fixup_f64 v[187:188], v[185:186], v[181:182], v[183:184]
	v_fma_f64 v[181:182], v[183:184], v[187:188], v[181:182]
	v_div_scale_f64 v[183:184], null, v[181:182], v[181:182], 1.0
	v_rcp_f64_e32 v[185:186], v[183:184]
	v_fma_f64 v[189:190], -v[183:184], v[185:186], 1.0
	v_fma_f64 v[185:186], v[185:186], v[189:190], v[185:186]
	v_fma_f64 v[189:190], -v[183:184], v[185:186], 1.0
	v_fma_f64 v[185:186], v[185:186], v[189:190], v[185:186]
	v_div_scale_f64 v[189:190], vcc_lo, 1.0, v[181:182], 1.0
	v_mul_f64 v[191:192], v[189:190], v[185:186]
	v_fma_f64 v[183:184], -v[183:184], v[191:192], v[189:190]
	v_div_fmas_f64 v[183:184], v[183:184], v[185:186], v[191:192]
	v_div_fixup_f64 v[185:186], v[183:184], v[181:182], 1.0
	v_mul_f64 v[187:188], v[187:188], -v[185:186]
.LBB89_304:
	s_or_b32 exec_lo, exec_lo, s1
	ds_write2_b64 v255, v[185:186], v[187:188] offset1:1
.LBB89_305:
	s_or_b32 exec_lo, exec_lo, s2
	s_waitcnt lgkmcnt(0)
	s_barrier
	buffer_gl0_inv
	ds_read2_b64 v[181:184], v255 offset1:1
	s_mov_b32 s1, exec_lo
	s_waitcnt lgkmcnt(0)
	buffer_store_dword v181, off, s[16:19], 0 offset:768 ; 4-byte Folded Spill
	buffer_store_dword v182, off, s[16:19], 0 offset:772 ; 4-byte Folded Spill
	;; [unrolled: 1-line block ×4, first 2 shown]
	v_cmpx_lt_u32_e32 33, v0
	s_cbranch_execz .LBB89_307
; %bb.306:
	s_clause 0x3
	buffer_load_dword v183, off, s[16:19], 0 offset:768
	buffer_load_dword v184, off, s[16:19], 0 offset:772
	;; [unrolled: 1-line block ×4, first 2 shown]
	s_waitcnt vmcnt(2)
	v_mul_f64 v[181:182], v[183:184], v[47:48]
	s_waitcnt vmcnt(0)
	v_mul_f64 v[47:48], v[185:186], v[47:48]
	v_fma_f64 v[181:182], v[185:186], v[45:46], v[181:182]
	v_fma_f64 v[45:46], v[183:184], v[45:46], -v[47:48]
	ds_read2_b64 v[183:186], v253 offset0:68 offset1:69
	s_waitcnt lgkmcnt(0)
	v_mul_f64 v[47:48], v[185:186], v[181:182]
	v_fma_f64 v[47:48], v[183:184], v[45:46], -v[47:48]
	v_mul_f64 v[183:184], v[183:184], v[181:182]
	v_add_f64 v[41:42], v[41:42], -v[47:48]
	v_fma_f64 v[183:184], v[185:186], v[45:46], v[183:184]
	v_add_f64 v[43:44], v[43:44], -v[183:184]
	ds_read2_b64 v[183:186], v253 offset0:70 offset1:71
	s_waitcnt lgkmcnt(0)
	v_mul_f64 v[47:48], v[185:186], v[181:182]
	v_fma_f64 v[47:48], v[183:184], v[45:46], -v[47:48]
	v_mul_f64 v[183:184], v[183:184], v[181:182]
	v_add_f64 v[37:38], v[37:38], -v[47:48]
	v_fma_f64 v[183:184], v[185:186], v[45:46], v[183:184]
	v_add_f64 v[39:40], v[39:40], -v[183:184]
	ds_read2_b64 v[183:186], v253 offset0:72 offset1:73
	s_waitcnt lgkmcnt(0)
	v_mul_f64 v[47:48], v[185:186], v[181:182]
	v_fma_f64 v[47:48], v[183:184], v[45:46], -v[47:48]
	v_mul_f64 v[183:184], v[183:184], v[181:182]
	v_add_f64 v[33:34], v[33:34], -v[47:48]
	v_fma_f64 v[183:184], v[185:186], v[45:46], v[183:184]
	v_add_f64 v[35:36], v[35:36], -v[183:184]
	ds_read2_b64 v[183:186], v253 offset0:74 offset1:75
	s_waitcnt lgkmcnt(0)
	v_mul_f64 v[47:48], v[185:186], v[181:182]
	v_fma_f64 v[47:48], v[183:184], v[45:46], -v[47:48]
	v_mul_f64 v[183:184], v[183:184], v[181:182]
	v_add_f64 v[29:30], v[29:30], -v[47:48]
	v_fma_f64 v[183:184], v[185:186], v[45:46], v[183:184]
	v_add_f64 v[31:32], v[31:32], -v[183:184]
	ds_read2_b64 v[183:186], v253 offset0:76 offset1:77
	s_waitcnt lgkmcnt(0)
	v_mul_f64 v[47:48], v[185:186], v[181:182]
	v_fma_f64 v[47:48], v[183:184], v[45:46], -v[47:48]
	v_mul_f64 v[183:184], v[183:184], v[181:182]
	v_add_f64 v[25:26], v[25:26], -v[47:48]
	v_fma_f64 v[183:184], v[185:186], v[45:46], v[183:184]
	v_add_f64 v[27:28], v[27:28], -v[183:184]
	ds_read2_b64 v[183:186], v253 offset0:78 offset1:79
	s_waitcnt lgkmcnt(0)
	v_mul_f64 v[47:48], v[185:186], v[181:182]
	v_fma_f64 v[47:48], v[183:184], v[45:46], -v[47:48]
	v_mul_f64 v[183:184], v[183:184], v[181:182]
	v_add_f64 v[21:22], v[21:22], -v[47:48]
	v_fma_f64 v[183:184], v[185:186], v[45:46], v[183:184]
	v_add_f64 v[23:24], v[23:24], -v[183:184]
	ds_read2_b64 v[183:186], v253 offset0:80 offset1:81
	s_waitcnt lgkmcnt(0)
	v_mul_f64 v[47:48], v[185:186], v[181:182]
	v_fma_f64 v[47:48], v[183:184], v[45:46], -v[47:48]
	v_mul_f64 v[183:184], v[183:184], v[181:182]
	v_add_f64 v[17:18], v[17:18], -v[47:48]
	v_fma_f64 v[183:184], v[185:186], v[45:46], v[183:184]
	v_add_f64 v[19:20], v[19:20], -v[183:184]
	ds_read2_b64 v[183:186], v253 offset0:82 offset1:83
	s_waitcnt lgkmcnt(0)
	v_mul_f64 v[47:48], v[185:186], v[181:182]
	v_fma_f64 v[47:48], v[183:184], v[45:46], -v[47:48]
	v_mul_f64 v[183:184], v[183:184], v[181:182]
	v_add_f64 v[13:14], v[13:14], -v[47:48]
	v_fma_f64 v[183:184], v[185:186], v[45:46], v[183:184]
	v_add_f64 v[15:16], v[15:16], -v[183:184]
	ds_read2_b64 v[183:186], v253 offset0:84 offset1:85
	s_waitcnt lgkmcnt(0)
	v_mul_f64 v[47:48], v[185:186], v[181:182]
	v_fma_f64 v[47:48], v[183:184], v[45:46], -v[47:48]
	v_mul_f64 v[183:184], v[183:184], v[181:182]
	v_add_f64 v[9:10], v[9:10], -v[47:48]
	v_fma_f64 v[183:184], v[185:186], v[45:46], v[183:184]
	v_add_f64 v[11:12], v[11:12], -v[183:184]
	ds_read2_b64 v[183:186], v253 offset0:86 offset1:87
	s_waitcnt lgkmcnt(0)
	v_mul_f64 v[47:48], v[185:186], v[181:182]
	v_fma_f64 v[47:48], v[183:184], v[45:46], -v[47:48]
	v_mul_f64 v[183:184], v[183:184], v[181:182]
	v_add_f64 v[5:6], v[5:6], -v[47:48]
	v_fma_f64 v[183:184], v[185:186], v[45:46], v[183:184]
	v_add_f64 v[7:8], v[7:8], -v[183:184]
	ds_read2_b64 v[183:186], v253 offset0:88 offset1:89
	s_waitcnt lgkmcnt(0)
	v_mul_f64 v[47:48], v[185:186], v[181:182]
	v_fma_f64 v[47:48], v[183:184], v[45:46], -v[47:48]
	v_mul_f64 v[183:184], v[183:184], v[181:182]
	v_add_f64 v[1:2], v[1:2], -v[47:48]
	v_fma_f64 v[183:184], v[185:186], v[45:46], v[183:184]
	v_mov_b32_e32 v47, v181
	v_mov_b32_e32 v48, v182
	v_add_f64 v[3:4], v[3:4], -v[183:184]
.LBB89_307:
	s_or_b32 exec_lo, exec_lo, s1
	s_mov_b32 s2, exec_lo
	s_waitcnt_vscnt null, 0x0
	s_barrier
	buffer_gl0_inv
	v_cmpx_eq_u32_e32 34, v0
	s_cbranch_execz .LBB89_314
; %bb.308:
	ds_write2_b64 v255, v[41:42], v[43:44] offset1:1
	ds_write2_b64 v253, v[37:38], v[39:40] offset0:70 offset1:71
	ds_write2_b64 v253, v[33:34], v[35:36] offset0:72 offset1:73
	;; [unrolled: 1-line block ×10, first 2 shown]
	ds_read2_b64 v[181:184], v255 offset1:1
	s_waitcnt lgkmcnt(0)
	v_cmp_neq_f64_e32 vcc_lo, 0, v[181:182]
	v_cmp_neq_f64_e64 s1, 0, v[183:184]
	s_or_b32 s1, vcc_lo, s1
	s_and_b32 exec_lo, exec_lo, s1
	s_cbranch_execz .LBB89_314
; %bb.309:
	v_cmp_ngt_f64_e64 s1, |v[181:182]|, |v[183:184]|
                                        ; implicit-def: $vgpr185_vgpr186
	s_and_saveexec_b32 s3, s1
	s_xor_b32 s1, exec_lo, s3
                                        ; implicit-def: $vgpr187_vgpr188
	s_cbranch_execz .LBB89_311
; %bb.310:
	v_div_scale_f64 v[185:186], null, v[183:184], v[183:184], v[181:182]
	v_div_scale_f64 v[191:192], vcc_lo, v[181:182], v[183:184], v[181:182]
	v_rcp_f64_e32 v[187:188], v[185:186]
	v_fma_f64 v[189:190], -v[185:186], v[187:188], 1.0
	v_fma_f64 v[187:188], v[187:188], v[189:190], v[187:188]
	v_fma_f64 v[189:190], -v[185:186], v[187:188], 1.0
	v_fma_f64 v[187:188], v[187:188], v[189:190], v[187:188]
	v_mul_f64 v[189:190], v[191:192], v[187:188]
	v_fma_f64 v[185:186], -v[185:186], v[189:190], v[191:192]
	v_div_fmas_f64 v[185:186], v[185:186], v[187:188], v[189:190]
	v_div_fixup_f64 v[185:186], v[185:186], v[183:184], v[181:182]
	v_fma_f64 v[181:182], v[181:182], v[185:186], v[183:184]
	v_div_scale_f64 v[183:184], null, v[181:182], v[181:182], 1.0
	v_rcp_f64_e32 v[187:188], v[183:184]
	v_fma_f64 v[189:190], -v[183:184], v[187:188], 1.0
	v_fma_f64 v[187:188], v[187:188], v[189:190], v[187:188]
	v_fma_f64 v[189:190], -v[183:184], v[187:188], 1.0
	v_fma_f64 v[187:188], v[187:188], v[189:190], v[187:188]
	v_div_scale_f64 v[189:190], vcc_lo, 1.0, v[181:182], 1.0
	v_mul_f64 v[191:192], v[189:190], v[187:188]
	v_fma_f64 v[183:184], -v[183:184], v[191:192], v[189:190]
	v_div_fmas_f64 v[183:184], v[183:184], v[187:188], v[191:192]
	v_div_fixup_f64 v[187:188], v[183:184], v[181:182], 1.0
                                        ; implicit-def: $vgpr181_vgpr182
	v_mul_f64 v[185:186], v[185:186], v[187:188]
	v_xor_b32_e32 v188, 0x80000000, v188
.LBB89_311:
	s_andn2_saveexec_b32 s1, s1
	s_cbranch_execz .LBB89_313
; %bb.312:
	v_div_scale_f64 v[185:186], null, v[181:182], v[181:182], v[183:184]
	v_div_scale_f64 v[191:192], vcc_lo, v[183:184], v[181:182], v[183:184]
	v_rcp_f64_e32 v[187:188], v[185:186]
	v_fma_f64 v[189:190], -v[185:186], v[187:188], 1.0
	v_fma_f64 v[187:188], v[187:188], v[189:190], v[187:188]
	v_fma_f64 v[189:190], -v[185:186], v[187:188], 1.0
	v_fma_f64 v[187:188], v[187:188], v[189:190], v[187:188]
	v_mul_f64 v[189:190], v[191:192], v[187:188]
	v_fma_f64 v[185:186], -v[185:186], v[189:190], v[191:192]
	v_div_fmas_f64 v[185:186], v[185:186], v[187:188], v[189:190]
	v_div_fixup_f64 v[187:188], v[185:186], v[181:182], v[183:184]
	v_fma_f64 v[181:182], v[183:184], v[187:188], v[181:182]
	v_div_scale_f64 v[183:184], null, v[181:182], v[181:182], 1.0
	v_rcp_f64_e32 v[185:186], v[183:184]
	v_fma_f64 v[189:190], -v[183:184], v[185:186], 1.0
	v_fma_f64 v[185:186], v[185:186], v[189:190], v[185:186]
	v_fma_f64 v[189:190], -v[183:184], v[185:186], 1.0
	v_fma_f64 v[185:186], v[185:186], v[189:190], v[185:186]
	v_div_scale_f64 v[189:190], vcc_lo, 1.0, v[181:182], 1.0
	v_mul_f64 v[191:192], v[189:190], v[185:186]
	v_fma_f64 v[183:184], -v[183:184], v[191:192], v[189:190]
	v_div_fmas_f64 v[183:184], v[183:184], v[185:186], v[191:192]
	v_div_fixup_f64 v[185:186], v[183:184], v[181:182], 1.0
	v_mul_f64 v[187:188], v[187:188], -v[185:186]
.LBB89_313:
	s_or_b32 exec_lo, exec_lo, s1
	ds_write2_b64 v255, v[185:186], v[187:188] offset1:1
.LBB89_314:
	s_or_b32 exec_lo, exec_lo, s2
	s_waitcnt lgkmcnt(0)
	s_barrier
	buffer_gl0_inv
	ds_read2_b64 v[181:184], v255 offset1:1
	s_mov_b32 s1, exec_lo
	s_waitcnt lgkmcnt(0)
	buffer_store_dword v181, off, s[16:19], 0 offset:784 ; 4-byte Folded Spill
	buffer_store_dword v182, off, s[16:19], 0 offset:788 ; 4-byte Folded Spill
	;; [unrolled: 1-line block ×4, first 2 shown]
	v_cmpx_lt_u32_e32 34, v0
	s_cbranch_execz .LBB89_316
; %bb.315:
	s_clause 0x3
	buffer_load_dword v187, off, s[16:19], 0 offset:784
	buffer_load_dword v188, off, s[16:19], 0 offset:788
	;; [unrolled: 1-line block ×4, first 2 shown]
	s_waitcnt vmcnt(2)
	v_mul_f64 v[181:182], v[187:188], v[43:44]
	s_waitcnt vmcnt(0)
	v_mul_f64 v[43:44], v[189:190], v[43:44]
	v_fma_f64 v[185:186], v[189:190], v[41:42], v[181:182]
	ds_read2_b64 v[181:184], v253 offset0:70 offset1:71
	v_fma_f64 v[41:42], v[187:188], v[41:42], -v[43:44]
	s_waitcnt lgkmcnt(0)
	v_mul_f64 v[43:44], v[183:184], v[185:186]
	v_fma_f64 v[43:44], v[181:182], v[41:42], -v[43:44]
	v_mul_f64 v[181:182], v[181:182], v[185:186]
	v_add_f64 v[37:38], v[37:38], -v[43:44]
	v_fma_f64 v[181:182], v[183:184], v[41:42], v[181:182]
	v_add_f64 v[39:40], v[39:40], -v[181:182]
	ds_read2_b64 v[181:184], v253 offset0:72 offset1:73
	s_waitcnt lgkmcnt(0)
	v_mul_f64 v[43:44], v[183:184], v[185:186]
	v_fma_f64 v[43:44], v[181:182], v[41:42], -v[43:44]
	v_mul_f64 v[181:182], v[181:182], v[185:186]
	v_add_f64 v[33:34], v[33:34], -v[43:44]
	v_fma_f64 v[181:182], v[183:184], v[41:42], v[181:182]
	v_add_f64 v[35:36], v[35:36], -v[181:182]
	ds_read2_b64 v[181:184], v253 offset0:74 offset1:75
	;; [unrolled: 8-line block ×9, first 2 shown]
	s_waitcnt lgkmcnt(0)
	v_mul_f64 v[43:44], v[183:184], v[185:186]
	v_fma_f64 v[43:44], v[181:182], v[41:42], -v[43:44]
	v_mul_f64 v[181:182], v[181:182], v[185:186]
	v_add_f64 v[1:2], v[1:2], -v[43:44]
	v_fma_f64 v[181:182], v[183:184], v[41:42], v[181:182]
	v_mov_b32_e32 v43, v185
	v_mov_b32_e32 v44, v186
	v_add_f64 v[3:4], v[3:4], -v[181:182]
.LBB89_316:
	s_or_b32 exec_lo, exec_lo, s1
	s_mov_b32 s2, exec_lo
	s_waitcnt_vscnt null, 0x0
	s_barrier
	buffer_gl0_inv
	v_cmpx_eq_u32_e32 35, v0
	s_cbranch_execz .LBB89_323
; %bb.317:
	ds_write2_b64 v255, v[37:38], v[39:40] offset1:1
	ds_write2_b64 v253, v[33:34], v[35:36] offset0:72 offset1:73
	ds_write2_b64 v253, v[29:30], v[31:32] offset0:74 offset1:75
	;; [unrolled: 1-line block ×9, first 2 shown]
	ds_read2_b64 v[181:184], v255 offset1:1
	s_waitcnt lgkmcnt(0)
	v_cmp_neq_f64_e32 vcc_lo, 0, v[181:182]
	v_cmp_neq_f64_e64 s1, 0, v[183:184]
	s_or_b32 s1, vcc_lo, s1
	s_and_b32 exec_lo, exec_lo, s1
	s_cbranch_execz .LBB89_323
; %bb.318:
	v_cmp_ngt_f64_e64 s1, |v[181:182]|, |v[183:184]|
                                        ; implicit-def: $vgpr185_vgpr186
	s_and_saveexec_b32 s3, s1
	s_xor_b32 s1, exec_lo, s3
                                        ; implicit-def: $vgpr187_vgpr188
	s_cbranch_execz .LBB89_320
; %bb.319:
	v_div_scale_f64 v[185:186], null, v[183:184], v[183:184], v[181:182]
	v_div_scale_f64 v[191:192], vcc_lo, v[181:182], v[183:184], v[181:182]
	v_rcp_f64_e32 v[187:188], v[185:186]
	v_fma_f64 v[189:190], -v[185:186], v[187:188], 1.0
	v_fma_f64 v[187:188], v[187:188], v[189:190], v[187:188]
	v_fma_f64 v[189:190], -v[185:186], v[187:188], 1.0
	v_fma_f64 v[187:188], v[187:188], v[189:190], v[187:188]
	v_mul_f64 v[189:190], v[191:192], v[187:188]
	v_fma_f64 v[185:186], -v[185:186], v[189:190], v[191:192]
	v_div_fmas_f64 v[185:186], v[185:186], v[187:188], v[189:190]
	v_div_fixup_f64 v[185:186], v[185:186], v[183:184], v[181:182]
	v_fma_f64 v[181:182], v[181:182], v[185:186], v[183:184]
	v_div_scale_f64 v[183:184], null, v[181:182], v[181:182], 1.0
	v_rcp_f64_e32 v[187:188], v[183:184]
	v_fma_f64 v[189:190], -v[183:184], v[187:188], 1.0
	v_fma_f64 v[187:188], v[187:188], v[189:190], v[187:188]
	v_fma_f64 v[189:190], -v[183:184], v[187:188], 1.0
	v_fma_f64 v[187:188], v[187:188], v[189:190], v[187:188]
	v_div_scale_f64 v[189:190], vcc_lo, 1.0, v[181:182], 1.0
	v_mul_f64 v[191:192], v[189:190], v[187:188]
	v_fma_f64 v[183:184], -v[183:184], v[191:192], v[189:190]
	v_div_fmas_f64 v[183:184], v[183:184], v[187:188], v[191:192]
	v_div_fixup_f64 v[187:188], v[183:184], v[181:182], 1.0
                                        ; implicit-def: $vgpr181_vgpr182
	v_mul_f64 v[185:186], v[185:186], v[187:188]
	v_xor_b32_e32 v188, 0x80000000, v188
.LBB89_320:
	s_andn2_saveexec_b32 s1, s1
	s_cbranch_execz .LBB89_322
; %bb.321:
	v_div_scale_f64 v[185:186], null, v[181:182], v[181:182], v[183:184]
	v_div_scale_f64 v[191:192], vcc_lo, v[183:184], v[181:182], v[183:184]
	v_rcp_f64_e32 v[187:188], v[185:186]
	v_fma_f64 v[189:190], -v[185:186], v[187:188], 1.0
	v_fma_f64 v[187:188], v[187:188], v[189:190], v[187:188]
	v_fma_f64 v[189:190], -v[185:186], v[187:188], 1.0
	v_fma_f64 v[187:188], v[187:188], v[189:190], v[187:188]
	v_mul_f64 v[189:190], v[191:192], v[187:188]
	v_fma_f64 v[185:186], -v[185:186], v[189:190], v[191:192]
	v_div_fmas_f64 v[185:186], v[185:186], v[187:188], v[189:190]
	v_div_fixup_f64 v[187:188], v[185:186], v[181:182], v[183:184]
	v_fma_f64 v[181:182], v[183:184], v[187:188], v[181:182]
	v_div_scale_f64 v[183:184], null, v[181:182], v[181:182], 1.0
	v_rcp_f64_e32 v[185:186], v[183:184]
	v_fma_f64 v[189:190], -v[183:184], v[185:186], 1.0
	v_fma_f64 v[185:186], v[185:186], v[189:190], v[185:186]
	v_fma_f64 v[189:190], -v[183:184], v[185:186], 1.0
	v_fma_f64 v[185:186], v[185:186], v[189:190], v[185:186]
	v_div_scale_f64 v[189:190], vcc_lo, 1.0, v[181:182], 1.0
	v_mul_f64 v[191:192], v[189:190], v[185:186]
	v_fma_f64 v[183:184], -v[183:184], v[191:192], v[189:190]
	v_div_fmas_f64 v[183:184], v[183:184], v[185:186], v[191:192]
	v_div_fixup_f64 v[185:186], v[183:184], v[181:182], 1.0
	v_mul_f64 v[187:188], v[187:188], -v[185:186]
.LBB89_322:
	s_or_b32 exec_lo, exec_lo, s1
	ds_write2_b64 v255, v[185:186], v[187:188] offset1:1
.LBB89_323:
	s_or_b32 exec_lo, exec_lo, s2
	s_waitcnt lgkmcnt(0)
	s_barrier
	buffer_gl0_inv
	ds_read2_b64 v[181:184], v255 offset1:1
	s_mov_b32 s1, exec_lo
	s_waitcnt lgkmcnt(0)
	buffer_store_dword v181, off, s[16:19], 0 offset:800 ; 4-byte Folded Spill
	buffer_store_dword v182, off, s[16:19], 0 offset:804 ; 4-byte Folded Spill
	;; [unrolled: 1-line block ×4, first 2 shown]
	v_cmpx_lt_u32_e32 35, v0
	s_cbranch_execz .LBB89_325
; %bb.324:
	s_clause 0x3
	buffer_load_dword v187, off, s[16:19], 0 offset:800
	buffer_load_dword v188, off, s[16:19], 0 offset:804
	;; [unrolled: 1-line block ×4, first 2 shown]
	s_waitcnt vmcnt(2)
	v_mul_f64 v[181:182], v[187:188], v[39:40]
	s_waitcnt vmcnt(0)
	v_mul_f64 v[39:40], v[189:190], v[39:40]
	v_fma_f64 v[185:186], v[189:190], v[37:38], v[181:182]
	ds_read2_b64 v[181:184], v253 offset0:72 offset1:73
	v_fma_f64 v[37:38], v[187:188], v[37:38], -v[39:40]
	s_waitcnt lgkmcnt(0)
	v_mul_f64 v[39:40], v[183:184], v[185:186]
	v_fma_f64 v[39:40], v[181:182], v[37:38], -v[39:40]
	v_mul_f64 v[181:182], v[181:182], v[185:186]
	v_add_f64 v[33:34], v[33:34], -v[39:40]
	v_fma_f64 v[181:182], v[183:184], v[37:38], v[181:182]
	v_add_f64 v[35:36], v[35:36], -v[181:182]
	ds_read2_b64 v[181:184], v253 offset0:74 offset1:75
	s_waitcnt lgkmcnt(0)
	v_mul_f64 v[39:40], v[183:184], v[185:186]
	v_fma_f64 v[39:40], v[181:182], v[37:38], -v[39:40]
	v_mul_f64 v[181:182], v[181:182], v[185:186]
	v_add_f64 v[29:30], v[29:30], -v[39:40]
	v_fma_f64 v[181:182], v[183:184], v[37:38], v[181:182]
	v_add_f64 v[31:32], v[31:32], -v[181:182]
	ds_read2_b64 v[181:184], v253 offset0:76 offset1:77
	;; [unrolled: 8-line block ×8, first 2 shown]
	s_waitcnt lgkmcnt(0)
	v_mul_f64 v[39:40], v[183:184], v[185:186]
	v_fma_f64 v[39:40], v[181:182], v[37:38], -v[39:40]
	v_mul_f64 v[181:182], v[181:182], v[185:186]
	v_add_f64 v[1:2], v[1:2], -v[39:40]
	v_fma_f64 v[181:182], v[183:184], v[37:38], v[181:182]
	v_mov_b32_e32 v39, v185
	v_mov_b32_e32 v40, v186
	v_add_f64 v[3:4], v[3:4], -v[181:182]
.LBB89_325:
	s_or_b32 exec_lo, exec_lo, s1
	s_mov_b32 s2, exec_lo
	s_waitcnt_vscnt null, 0x0
	s_barrier
	buffer_gl0_inv
	v_cmpx_eq_u32_e32 36, v0
	s_cbranch_execz .LBB89_332
; %bb.326:
	ds_write2_b64 v255, v[33:34], v[35:36] offset1:1
	ds_write2_b64 v253, v[29:30], v[31:32] offset0:74 offset1:75
	ds_write2_b64 v253, v[25:26], v[27:28] offset0:76 offset1:77
	;; [unrolled: 1-line block ×8, first 2 shown]
	ds_read2_b64 v[181:184], v255 offset1:1
	s_waitcnt lgkmcnt(0)
	v_cmp_neq_f64_e32 vcc_lo, 0, v[181:182]
	v_cmp_neq_f64_e64 s1, 0, v[183:184]
	s_or_b32 s1, vcc_lo, s1
	s_and_b32 exec_lo, exec_lo, s1
	s_cbranch_execz .LBB89_332
; %bb.327:
	v_cmp_ngt_f64_e64 s1, |v[181:182]|, |v[183:184]|
                                        ; implicit-def: $vgpr185_vgpr186
	s_and_saveexec_b32 s3, s1
	s_xor_b32 s1, exec_lo, s3
                                        ; implicit-def: $vgpr187_vgpr188
	s_cbranch_execz .LBB89_329
; %bb.328:
	v_div_scale_f64 v[185:186], null, v[183:184], v[183:184], v[181:182]
	v_div_scale_f64 v[191:192], vcc_lo, v[181:182], v[183:184], v[181:182]
	v_rcp_f64_e32 v[187:188], v[185:186]
	v_fma_f64 v[189:190], -v[185:186], v[187:188], 1.0
	v_fma_f64 v[187:188], v[187:188], v[189:190], v[187:188]
	v_fma_f64 v[189:190], -v[185:186], v[187:188], 1.0
	v_fma_f64 v[187:188], v[187:188], v[189:190], v[187:188]
	v_mul_f64 v[189:190], v[191:192], v[187:188]
	v_fma_f64 v[185:186], -v[185:186], v[189:190], v[191:192]
	v_div_fmas_f64 v[185:186], v[185:186], v[187:188], v[189:190]
	v_div_fixup_f64 v[185:186], v[185:186], v[183:184], v[181:182]
	v_fma_f64 v[181:182], v[181:182], v[185:186], v[183:184]
	v_div_scale_f64 v[183:184], null, v[181:182], v[181:182], 1.0
	v_rcp_f64_e32 v[187:188], v[183:184]
	v_fma_f64 v[189:190], -v[183:184], v[187:188], 1.0
	v_fma_f64 v[187:188], v[187:188], v[189:190], v[187:188]
	v_fma_f64 v[189:190], -v[183:184], v[187:188], 1.0
	v_fma_f64 v[187:188], v[187:188], v[189:190], v[187:188]
	v_div_scale_f64 v[189:190], vcc_lo, 1.0, v[181:182], 1.0
	v_mul_f64 v[191:192], v[189:190], v[187:188]
	v_fma_f64 v[183:184], -v[183:184], v[191:192], v[189:190]
	v_div_fmas_f64 v[183:184], v[183:184], v[187:188], v[191:192]
	v_div_fixup_f64 v[187:188], v[183:184], v[181:182], 1.0
                                        ; implicit-def: $vgpr181_vgpr182
	v_mul_f64 v[185:186], v[185:186], v[187:188]
	v_xor_b32_e32 v188, 0x80000000, v188
.LBB89_329:
	s_andn2_saveexec_b32 s1, s1
	s_cbranch_execz .LBB89_331
; %bb.330:
	v_div_scale_f64 v[185:186], null, v[181:182], v[181:182], v[183:184]
	v_div_scale_f64 v[191:192], vcc_lo, v[183:184], v[181:182], v[183:184]
	v_rcp_f64_e32 v[187:188], v[185:186]
	v_fma_f64 v[189:190], -v[185:186], v[187:188], 1.0
	v_fma_f64 v[187:188], v[187:188], v[189:190], v[187:188]
	v_fma_f64 v[189:190], -v[185:186], v[187:188], 1.0
	v_fma_f64 v[187:188], v[187:188], v[189:190], v[187:188]
	v_mul_f64 v[189:190], v[191:192], v[187:188]
	v_fma_f64 v[185:186], -v[185:186], v[189:190], v[191:192]
	v_div_fmas_f64 v[185:186], v[185:186], v[187:188], v[189:190]
	v_div_fixup_f64 v[187:188], v[185:186], v[181:182], v[183:184]
	v_fma_f64 v[181:182], v[183:184], v[187:188], v[181:182]
	v_div_scale_f64 v[183:184], null, v[181:182], v[181:182], 1.0
	v_rcp_f64_e32 v[185:186], v[183:184]
	v_fma_f64 v[189:190], -v[183:184], v[185:186], 1.0
	v_fma_f64 v[185:186], v[185:186], v[189:190], v[185:186]
	v_fma_f64 v[189:190], -v[183:184], v[185:186], 1.0
	v_fma_f64 v[185:186], v[185:186], v[189:190], v[185:186]
	v_div_scale_f64 v[189:190], vcc_lo, 1.0, v[181:182], 1.0
	v_mul_f64 v[191:192], v[189:190], v[185:186]
	v_fma_f64 v[183:184], -v[183:184], v[191:192], v[189:190]
	v_div_fmas_f64 v[183:184], v[183:184], v[185:186], v[191:192]
	v_div_fixup_f64 v[185:186], v[183:184], v[181:182], 1.0
	v_mul_f64 v[187:188], v[187:188], -v[185:186]
.LBB89_331:
	s_or_b32 exec_lo, exec_lo, s1
	ds_write2_b64 v255, v[185:186], v[187:188] offset1:1
.LBB89_332:
	s_or_b32 exec_lo, exec_lo, s2
	s_waitcnt lgkmcnt(0)
	s_barrier
	buffer_gl0_inv
	ds_read2_b64 v[181:184], v255 offset1:1
	s_mov_b32 s1, exec_lo
	v_cmpx_lt_u32_e32 36, v0
	s_cbranch_execz .LBB89_334
; %bb.333:
	s_waitcnt lgkmcnt(0)
	v_mul_f64 v[185:186], v[181:182], v[35:36]
	v_mul_f64 v[35:36], v[183:184], v[35:36]
	v_fma_f64 v[189:190], v[183:184], v[33:34], v[185:186]
	ds_read2_b64 v[185:188], v253 offset0:74 offset1:75
	v_fma_f64 v[33:34], v[181:182], v[33:34], -v[35:36]
	s_waitcnt lgkmcnt(0)
	v_mul_f64 v[35:36], v[187:188], v[189:190]
	v_fma_f64 v[35:36], v[185:186], v[33:34], -v[35:36]
	v_mul_f64 v[185:186], v[185:186], v[189:190]
	v_add_f64 v[29:30], v[29:30], -v[35:36]
	v_fma_f64 v[185:186], v[187:188], v[33:34], v[185:186]
	v_add_f64 v[31:32], v[31:32], -v[185:186]
	ds_read2_b64 v[185:188], v253 offset0:76 offset1:77
	s_waitcnt lgkmcnt(0)
	v_mul_f64 v[35:36], v[187:188], v[189:190]
	v_fma_f64 v[35:36], v[185:186], v[33:34], -v[35:36]
	v_mul_f64 v[185:186], v[185:186], v[189:190]
	v_add_f64 v[25:26], v[25:26], -v[35:36]
	v_fma_f64 v[185:186], v[187:188], v[33:34], v[185:186]
	v_add_f64 v[27:28], v[27:28], -v[185:186]
	ds_read2_b64 v[185:188], v253 offset0:78 offset1:79
	s_waitcnt lgkmcnt(0)
	v_mul_f64 v[35:36], v[187:188], v[189:190]
	v_fma_f64 v[35:36], v[185:186], v[33:34], -v[35:36]
	v_mul_f64 v[185:186], v[185:186], v[189:190]
	v_add_f64 v[21:22], v[21:22], -v[35:36]
	v_fma_f64 v[185:186], v[187:188], v[33:34], v[185:186]
	v_add_f64 v[23:24], v[23:24], -v[185:186]
	ds_read2_b64 v[185:188], v253 offset0:80 offset1:81
	s_waitcnt lgkmcnt(0)
	v_mul_f64 v[35:36], v[187:188], v[189:190]
	v_fma_f64 v[35:36], v[185:186], v[33:34], -v[35:36]
	v_mul_f64 v[185:186], v[185:186], v[189:190]
	v_add_f64 v[17:18], v[17:18], -v[35:36]
	v_fma_f64 v[185:186], v[187:188], v[33:34], v[185:186]
	v_add_f64 v[19:20], v[19:20], -v[185:186]
	ds_read2_b64 v[185:188], v253 offset0:82 offset1:83
	s_waitcnt lgkmcnt(0)
	v_mul_f64 v[35:36], v[187:188], v[189:190]
	v_fma_f64 v[35:36], v[185:186], v[33:34], -v[35:36]
	v_mul_f64 v[185:186], v[185:186], v[189:190]
	v_add_f64 v[13:14], v[13:14], -v[35:36]
	v_fma_f64 v[185:186], v[187:188], v[33:34], v[185:186]
	v_add_f64 v[15:16], v[15:16], -v[185:186]
	ds_read2_b64 v[185:188], v253 offset0:84 offset1:85
	s_waitcnt lgkmcnt(0)
	v_mul_f64 v[35:36], v[187:188], v[189:190]
	v_fma_f64 v[35:36], v[185:186], v[33:34], -v[35:36]
	v_mul_f64 v[185:186], v[185:186], v[189:190]
	v_add_f64 v[9:10], v[9:10], -v[35:36]
	v_fma_f64 v[185:186], v[187:188], v[33:34], v[185:186]
	v_add_f64 v[11:12], v[11:12], -v[185:186]
	ds_read2_b64 v[185:188], v253 offset0:86 offset1:87
	s_waitcnt lgkmcnt(0)
	v_mul_f64 v[35:36], v[187:188], v[189:190]
	v_fma_f64 v[35:36], v[185:186], v[33:34], -v[35:36]
	v_mul_f64 v[185:186], v[185:186], v[189:190]
	v_add_f64 v[5:6], v[5:6], -v[35:36]
	v_fma_f64 v[185:186], v[187:188], v[33:34], v[185:186]
	v_add_f64 v[7:8], v[7:8], -v[185:186]
	ds_read2_b64 v[185:188], v253 offset0:88 offset1:89
	s_waitcnt lgkmcnt(0)
	v_mul_f64 v[35:36], v[187:188], v[189:190]
	v_fma_f64 v[35:36], v[185:186], v[33:34], -v[35:36]
	v_mul_f64 v[185:186], v[185:186], v[189:190]
	v_add_f64 v[1:2], v[1:2], -v[35:36]
	v_fma_f64 v[185:186], v[187:188], v[33:34], v[185:186]
	v_mov_b32_e32 v35, v189
	v_mov_b32_e32 v36, v190
	v_add_f64 v[3:4], v[3:4], -v[185:186]
.LBB89_334:
	s_or_b32 exec_lo, exec_lo, s1
	s_mov_b32 s2, exec_lo
	s_waitcnt lgkmcnt(0)
	s_barrier
	buffer_gl0_inv
	v_cmpx_eq_u32_e32 37, v0
	s_cbranch_execz .LBB89_341
; %bb.335:
	ds_write2_b64 v255, v[29:30], v[31:32] offset1:1
	ds_write2_b64 v253, v[25:26], v[27:28] offset0:76 offset1:77
	ds_write2_b64 v253, v[21:22], v[23:24] offset0:78 offset1:79
	;; [unrolled: 1-line block ×7, first 2 shown]
	ds_read2_b64 v[185:188], v255 offset1:1
	s_waitcnt lgkmcnt(0)
	v_cmp_neq_f64_e32 vcc_lo, 0, v[185:186]
	v_cmp_neq_f64_e64 s1, 0, v[187:188]
	s_or_b32 s1, vcc_lo, s1
	s_and_b32 exec_lo, exec_lo, s1
	s_cbranch_execz .LBB89_341
; %bb.336:
	v_cmp_ngt_f64_e64 s1, |v[185:186]|, |v[187:188]|
                                        ; implicit-def: $vgpr189_vgpr190
	s_and_saveexec_b32 s3, s1
	s_xor_b32 s1, exec_lo, s3
                                        ; implicit-def: $vgpr191_vgpr192
	s_cbranch_execz .LBB89_338
; %bb.337:
	v_div_scale_f64 v[189:190], null, v[187:188], v[187:188], v[185:186]
	v_div_scale_f64 v[195:196], vcc_lo, v[185:186], v[187:188], v[185:186]
	v_rcp_f64_e32 v[191:192], v[189:190]
	v_fma_f64 v[193:194], -v[189:190], v[191:192], 1.0
	v_fma_f64 v[191:192], v[191:192], v[193:194], v[191:192]
	v_fma_f64 v[193:194], -v[189:190], v[191:192], 1.0
	v_fma_f64 v[191:192], v[191:192], v[193:194], v[191:192]
	v_mul_f64 v[193:194], v[195:196], v[191:192]
	v_fma_f64 v[189:190], -v[189:190], v[193:194], v[195:196]
	v_div_fmas_f64 v[189:190], v[189:190], v[191:192], v[193:194]
	v_div_fixup_f64 v[189:190], v[189:190], v[187:188], v[185:186]
	v_fma_f64 v[185:186], v[185:186], v[189:190], v[187:188]
	v_div_scale_f64 v[187:188], null, v[185:186], v[185:186], 1.0
	v_rcp_f64_e32 v[191:192], v[187:188]
	v_fma_f64 v[193:194], -v[187:188], v[191:192], 1.0
	v_fma_f64 v[191:192], v[191:192], v[193:194], v[191:192]
	v_fma_f64 v[193:194], -v[187:188], v[191:192], 1.0
	v_fma_f64 v[191:192], v[191:192], v[193:194], v[191:192]
	v_div_scale_f64 v[193:194], vcc_lo, 1.0, v[185:186], 1.0
	v_mul_f64 v[195:196], v[193:194], v[191:192]
	v_fma_f64 v[187:188], -v[187:188], v[195:196], v[193:194]
	v_div_fmas_f64 v[187:188], v[187:188], v[191:192], v[195:196]
	v_div_fixup_f64 v[191:192], v[187:188], v[185:186], 1.0
                                        ; implicit-def: $vgpr185_vgpr186
	v_mul_f64 v[189:190], v[189:190], v[191:192]
	v_xor_b32_e32 v192, 0x80000000, v192
.LBB89_338:
	s_andn2_saveexec_b32 s1, s1
	s_cbranch_execz .LBB89_340
; %bb.339:
	v_div_scale_f64 v[189:190], null, v[185:186], v[185:186], v[187:188]
	v_div_scale_f64 v[195:196], vcc_lo, v[187:188], v[185:186], v[187:188]
	v_rcp_f64_e32 v[191:192], v[189:190]
	v_fma_f64 v[193:194], -v[189:190], v[191:192], 1.0
	v_fma_f64 v[191:192], v[191:192], v[193:194], v[191:192]
	v_fma_f64 v[193:194], -v[189:190], v[191:192], 1.0
	v_fma_f64 v[191:192], v[191:192], v[193:194], v[191:192]
	v_mul_f64 v[193:194], v[195:196], v[191:192]
	v_fma_f64 v[189:190], -v[189:190], v[193:194], v[195:196]
	v_div_fmas_f64 v[189:190], v[189:190], v[191:192], v[193:194]
	v_div_fixup_f64 v[191:192], v[189:190], v[185:186], v[187:188]
	v_fma_f64 v[185:186], v[187:188], v[191:192], v[185:186]
	v_div_scale_f64 v[187:188], null, v[185:186], v[185:186], 1.0
	v_rcp_f64_e32 v[189:190], v[187:188]
	v_fma_f64 v[193:194], -v[187:188], v[189:190], 1.0
	v_fma_f64 v[189:190], v[189:190], v[193:194], v[189:190]
	v_fma_f64 v[193:194], -v[187:188], v[189:190], 1.0
	v_fma_f64 v[189:190], v[189:190], v[193:194], v[189:190]
	v_div_scale_f64 v[193:194], vcc_lo, 1.0, v[185:186], 1.0
	v_mul_f64 v[195:196], v[193:194], v[189:190]
	v_fma_f64 v[187:188], -v[187:188], v[195:196], v[193:194]
	v_div_fmas_f64 v[187:188], v[187:188], v[189:190], v[195:196]
	v_div_fixup_f64 v[189:190], v[187:188], v[185:186], 1.0
	v_mul_f64 v[191:192], v[191:192], -v[189:190]
.LBB89_340:
	s_or_b32 exec_lo, exec_lo, s1
	ds_write2_b64 v255, v[189:190], v[191:192] offset1:1
.LBB89_341:
	s_or_b32 exec_lo, exec_lo, s2
	s_waitcnt lgkmcnt(0)
	s_barrier
	buffer_gl0_inv
	ds_read2_b64 v[185:188], v255 offset1:1
	s_mov_b32 s1, exec_lo
	v_cmpx_lt_u32_e32 37, v0
	s_cbranch_execz .LBB89_343
; %bb.342:
	s_waitcnt lgkmcnt(0)
	v_mul_f64 v[189:190], v[185:186], v[31:32]
	v_mul_f64 v[31:32], v[187:188], v[31:32]
	v_fma_f64 v[193:194], v[187:188], v[29:30], v[189:190]
	ds_read2_b64 v[189:192], v253 offset0:76 offset1:77
	v_fma_f64 v[29:30], v[185:186], v[29:30], -v[31:32]
	s_waitcnt lgkmcnt(0)
	v_mul_f64 v[31:32], v[191:192], v[193:194]
	v_fma_f64 v[31:32], v[189:190], v[29:30], -v[31:32]
	v_mul_f64 v[189:190], v[189:190], v[193:194]
	v_add_f64 v[25:26], v[25:26], -v[31:32]
	v_fma_f64 v[189:190], v[191:192], v[29:30], v[189:190]
	v_add_f64 v[27:28], v[27:28], -v[189:190]
	ds_read2_b64 v[189:192], v253 offset0:78 offset1:79
	s_waitcnt lgkmcnt(0)
	v_mul_f64 v[31:32], v[191:192], v[193:194]
	v_fma_f64 v[31:32], v[189:190], v[29:30], -v[31:32]
	v_mul_f64 v[189:190], v[189:190], v[193:194]
	v_add_f64 v[21:22], v[21:22], -v[31:32]
	v_fma_f64 v[189:190], v[191:192], v[29:30], v[189:190]
	v_add_f64 v[23:24], v[23:24], -v[189:190]
	ds_read2_b64 v[189:192], v253 offset0:80 offset1:81
	;; [unrolled: 8-line block ×6, first 2 shown]
	s_waitcnt lgkmcnt(0)
	v_mul_f64 v[31:32], v[191:192], v[193:194]
	v_fma_f64 v[31:32], v[189:190], v[29:30], -v[31:32]
	v_mul_f64 v[189:190], v[189:190], v[193:194]
	v_add_f64 v[1:2], v[1:2], -v[31:32]
	v_fma_f64 v[189:190], v[191:192], v[29:30], v[189:190]
	v_mov_b32_e32 v31, v193
	v_mov_b32_e32 v32, v194
	v_add_f64 v[3:4], v[3:4], -v[189:190]
.LBB89_343:
	s_or_b32 exec_lo, exec_lo, s1
	s_mov_b32 s2, exec_lo
	s_waitcnt lgkmcnt(0)
	s_barrier
	buffer_gl0_inv
	v_cmpx_eq_u32_e32 38, v0
	s_cbranch_execz .LBB89_350
; %bb.344:
	ds_write2_b64 v255, v[25:26], v[27:28] offset1:1
	ds_write2_b64 v253, v[21:22], v[23:24] offset0:78 offset1:79
	ds_write2_b64 v253, v[17:18], v[19:20] offset0:80 offset1:81
	;; [unrolled: 1-line block ×6, first 2 shown]
	ds_read2_b64 v[189:192], v255 offset1:1
	s_waitcnt lgkmcnt(0)
	v_cmp_neq_f64_e32 vcc_lo, 0, v[189:190]
	v_cmp_neq_f64_e64 s1, 0, v[191:192]
	s_or_b32 s1, vcc_lo, s1
	s_and_b32 exec_lo, exec_lo, s1
	s_cbranch_execz .LBB89_350
; %bb.345:
	v_cmp_ngt_f64_e64 s1, |v[189:190]|, |v[191:192]|
                                        ; implicit-def: $vgpr193_vgpr194
	s_and_saveexec_b32 s3, s1
	s_xor_b32 s1, exec_lo, s3
                                        ; implicit-def: $vgpr195_vgpr196
	s_cbranch_execz .LBB89_347
; %bb.346:
	v_div_scale_f64 v[193:194], null, v[191:192], v[191:192], v[189:190]
	v_div_scale_f64 v[199:200], vcc_lo, v[189:190], v[191:192], v[189:190]
	v_rcp_f64_e32 v[195:196], v[193:194]
	v_fma_f64 v[197:198], -v[193:194], v[195:196], 1.0
	v_fma_f64 v[195:196], v[195:196], v[197:198], v[195:196]
	v_fma_f64 v[197:198], -v[193:194], v[195:196], 1.0
	v_fma_f64 v[195:196], v[195:196], v[197:198], v[195:196]
	v_mul_f64 v[197:198], v[199:200], v[195:196]
	v_fma_f64 v[193:194], -v[193:194], v[197:198], v[199:200]
	v_div_fmas_f64 v[193:194], v[193:194], v[195:196], v[197:198]
	v_div_fixup_f64 v[193:194], v[193:194], v[191:192], v[189:190]
	v_fma_f64 v[189:190], v[189:190], v[193:194], v[191:192]
	v_div_scale_f64 v[191:192], null, v[189:190], v[189:190], 1.0
	v_rcp_f64_e32 v[195:196], v[191:192]
	v_fma_f64 v[197:198], -v[191:192], v[195:196], 1.0
	v_fma_f64 v[195:196], v[195:196], v[197:198], v[195:196]
	v_fma_f64 v[197:198], -v[191:192], v[195:196], 1.0
	v_fma_f64 v[195:196], v[195:196], v[197:198], v[195:196]
	v_div_scale_f64 v[197:198], vcc_lo, 1.0, v[189:190], 1.0
	v_mul_f64 v[199:200], v[197:198], v[195:196]
	v_fma_f64 v[191:192], -v[191:192], v[199:200], v[197:198]
	v_div_fmas_f64 v[191:192], v[191:192], v[195:196], v[199:200]
	v_div_fixup_f64 v[195:196], v[191:192], v[189:190], 1.0
                                        ; implicit-def: $vgpr189_vgpr190
	v_mul_f64 v[193:194], v[193:194], v[195:196]
	v_xor_b32_e32 v196, 0x80000000, v196
.LBB89_347:
	s_andn2_saveexec_b32 s1, s1
	s_cbranch_execz .LBB89_349
; %bb.348:
	v_div_scale_f64 v[193:194], null, v[189:190], v[189:190], v[191:192]
	v_div_scale_f64 v[199:200], vcc_lo, v[191:192], v[189:190], v[191:192]
	v_rcp_f64_e32 v[195:196], v[193:194]
	v_fma_f64 v[197:198], -v[193:194], v[195:196], 1.0
	v_fma_f64 v[195:196], v[195:196], v[197:198], v[195:196]
	v_fma_f64 v[197:198], -v[193:194], v[195:196], 1.0
	v_fma_f64 v[195:196], v[195:196], v[197:198], v[195:196]
	v_mul_f64 v[197:198], v[199:200], v[195:196]
	v_fma_f64 v[193:194], -v[193:194], v[197:198], v[199:200]
	v_div_fmas_f64 v[193:194], v[193:194], v[195:196], v[197:198]
	v_div_fixup_f64 v[195:196], v[193:194], v[189:190], v[191:192]
	v_fma_f64 v[189:190], v[191:192], v[195:196], v[189:190]
	v_div_scale_f64 v[191:192], null, v[189:190], v[189:190], 1.0
	v_rcp_f64_e32 v[193:194], v[191:192]
	v_fma_f64 v[197:198], -v[191:192], v[193:194], 1.0
	v_fma_f64 v[193:194], v[193:194], v[197:198], v[193:194]
	v_fma_f64 v[197:198], -v[191:192], v[193:194], 1.0
	v_fma_f64 v[193:194], v[193:194], v[197:198], v[193:194]
	v_div_scale_f64 v[197:198], vcc_lo, 1.0, v[189:190], 1.0
	v_mul_f64 v[199:200], v[197:198], v[193:194]
	v_fma_f64 v[191:192], -v[191:192], v[199:200], v[197:198]
	v_div_fmas_f64 v[191:192], v[191:192], v[193:194], v[199:200]
	v_div_fixup_f64 v[193:194], v[191:192], v[189:190], 1.0
	v_mul_f64 v[195:196], v[195:196], -v[193:194]
.LBB89_349:
	s_or_b32 exec_lo, exec_lo, s1
	ds_write2_b64 v255, v[193:194], v[195:196] offset1:1
.LBB89_350:
	s_or_b32 exec_lo, exec_lo, s2
	s_waitcnt lgkmcnt(0)
	s_barrier
	buffer_gl0_inv
	ds_read2_b64 v[189:192], v255 offset1:1
	s_mov_b32 s1, exec_lo
	v_cmpx_lt_u32_e32 38, v0
	s_cbranch_execz .LBB89_352
; %bb.351:
	s_waitcnt lgkmcnt(0)
	v_mul_f64 v[193:194], v[189:190], v[27:28]
	v_mul_f64 v[27:28], v[191:192], v[27:28]
	v_fma_f64 v[197:198], v[191:192], v[25:26], v[193:194]
	ds_read2_b64 v[193:196], v253 offset0:78 offset1:79
	v_fma_f64 v[25:26], v[189:190], v[25:26], -v[27:28]
	s_waitcnt lgkmcnt(0)
	v_mul_f64 v[27:28], v[195:196], v[197:198]
	v_fma_f64 v[27:28], v[193:194], v[25:26], -v[27:28]
	v_mul_f64 v[193:194], v[193:194], v[197:198]
	v_add_f64 v[21:22], v[21:22], -v[27:28]
	v_fma_f64 v[193:194], v[195:196], v[25:26], v[193:194]
	v_add_f64 v[23:24], v[23:24], -v[193:194]
	ds_read2_b64 v[193:196], v253 offset0:80 offset1:81
	s_waitcnt lgkmcnt(0)
	v_mul_f64 v[27:28], v[195:196], v[197:198]
	v_fma_f64 v[27:28], v[193:194], v[25:26], -v[27:28]
	v_mul_f64 v[193:194], v[193:194], v[197:198]
	v_add_f64 v[17:18], v[17:18], -v[27:28]
	v_fma_f64 v[193:194], v[195:196], v[25:26], v[193:194]
	v_add_f64 v[19:20], v[19:20], -v[193:194]
	ds_read2_b64 v[193:196], v253 offset0:82 offset1:83
	;; [unrolled: 8-line block ×5, first 2 shown]
	s_waitcnt lgkmcnt(0)
	v_mul_f64 v[27:28], v[195:196], v[197:198]
	v_fma_f64 v[27:28], v[193:194], v[25:26], -v[27:28]
	v_mul_f64 v[193:194], v[193:194], v[197:198]
	v_add_f64 v[1:2], v[1:2], -v[27:28]
	v_fma_f64 v[193:194], v[195:196], v[25:26], v[193:194]
	v_mov_b32_e32 v27, v197
	v_mov_b32_e32 v28, v198
	v_add_f64 v[3:4], v[3:4], -v[193:194]
.LBB89_352:
	s_or_b32 exec_lo, exec_lo, s1
	s_mov_b32 s2, exec_lo
	s_waitcnt lgkmcnt(0)
	s_barrier
	buffer_gl0_inv
	v_cmpx_eq_u32_e32 39, v0
	s_cbranch_execz .LBB89_359
; %bb.353:
	ds_write2_b64 v255, v[21:22], v[23:24] offset1:1
	ds_write2_b64 v253, v[17:18], v[19:20] offset0:80 offset1:81
	ds_write2_b64 v253, v[13:14], v[15:16] offset0:82 offset1:83
	;; [unrolled: 1-line block ×5, first 2 shown]
	ds_read2_b64 v[193:196], v255 offset1:1
	s_waitcnt lgkmcnt(0)
	v_cmp_neq_f64_e32 vcc_lo, 0, v[193:194]
	v_cmp_neq_f64_e64 s1, 0, v[195:196]
	s_or_b32 s1, vcc_lo, s1
	s_and_b32 exec_lo, exec_lo, s1
	s_cbranch_execz .LBB89_359
; %bb.354:
	v_cmp_ngt_f64_e64 s1, |v[193:194]|, |v[195:196]|
                                        ; implicit-def: $vgpr197_vgpr198
	s_and_saveexec_b32 s3, s1
	s_xor_b32 s1, exec_lo, s3
                                        ; implicit-def: $vgpr199_vgpr200
	s_cbranch_execz .LBB89_356
; %bb.355:
	v_div_scale_f64 v[197:198], null, v[195:196], v[195:196], v[193:194]
	v_div_scale_f64 v[203:204], vcc_lo, v[193:194], v[195:196], v[193:194]
	v_rcp_f64_e32 v[199:200], v[197:198]
	v_fma_f64 v[201:202], -v[197:198], v[199:200], 1.0
	v_fma_f64 v[199:200], v[199:200], v[201:202], v[199:200]
	v_fma_f64 v[201:202], -v[197:198], v[199:200], 1.0
	v_fma_f64 v[199:200], v[199:200], v[201:202], v[199:200]
	v_mul_f64 v[201:202], v[203:204], v[199:200]
	v_fma_f64 v[197:198], -v[197:198], v[201:202], v[203:204]
	v_div_fmas_f64 v[197:198], v[197:198], v[199:200], v[201:202]
	v_div_fixup_f64 v[197:198], v[197:198], v[195:196], v[193:194]
	v_fma_f64 v[193:194], v[193:194], v[197:198], v[195:196]
	v_div_scale_f64 v[195:196], null, v[193:194], v[193:194], 1.0
	v_rcp_f64_e32 v[199:200], v[195:196]
	v_fma_f64 v[201:202], -v[195:196], v[199:200], 1.0
	v_fma_f64 v[199:200], v[199:200], v[201:202], v[199:200]
	v_fma_f64 v[201:202], -v[195:196], v[199:200], 1.0
	v_fma_f64 v[199:200], v[199:200], v[201:202], v[199:200]
	v_div_scale_f64 v[201:202], vcc_lo, 1.0, v[193:194], 1.0
	v_mul_f64 v[203:204], v[201:202], v[199:200]
	v_fma_f64 v[195:196], -v[195:196], v[203:204], v[201:202]
	v_div_fmas_f64 v[195:196], v[195:196], v[199:200], v[203:204]
	v_div_fixup_f64 v[199:200], v[195:196], v[193:194], 1.0
                                        ; implicit-def: $vgpr193_vgpr194
	v_mul_f64 v[197:198], v[197:198], v[199:200]
	v_xor_b32_e32 v200, 0x80000000, v200
.LBB89_356:
	s_andn2_saveexec_b32 s1, s1
	s_cbranch_execz .LBB89_358
; %bb.357:
	v_div_scale_f64 v[197:198], null, v[193:194], v[193:194], v[195:196]
	v_div_scale_f64 v[203:204], vcc_lo, v[195:196], v[193:194], v[195:196]
	v_rcp_f64_e32 v[199:200], v[197:198]
	v_fma_f64 v[201:202], -v[197:198], v[199:200], 1.0
	v_fma_f64 v[199:200], v[199:200], v[201:202], v[199:200]
	v_fma_f64 v[201:202], -v[197:198], v[199:200], 1.0
	v_fma_f64 v[199:200], v[199:200], v[201:202], v[199:200]
	v_mul_f64 v[201:202], v[203:204], v[199:200]
	v_fma_f64 v[197:198], -v[197:198], v[201:202], v[203:204]
	v_div_fmas_f64 v[197:198], v[197:198], v[199:200], v[201:202]
	v_div_fixup_f64 v[199:200], v[197:198], v[193:194], v[195:196]
	v_fma_f64 v[193:194], v[195:196], v[199:200], v[193:194]
	v_div_scale_f64 v[195:196], null, v[193:194], v[193:194], 1.0
	v_rcp_f64_e32 v[197:198], v[195:196]
	v_fma_f64 v[201:202], -v[195:196], v[197:198], 1.0
	v_fma_f64 v[197:198], v[197:198], v[201:202], v[197:198]
	v_fma_f64 v[201:202], -v[195:196], v[197:198], 1.0
	v_fma_f64 v[197:198], v[197:198], v[201:202], v[197:198]
	v_div_scale_f64 v[201:202], vcc_lo, 1.0, v[193:194], 1.0
	v_mul_f64 v[203:204], v[201:202], v[197:198]
	v_fma_f64 v[195:196], -v[195:196], v[203:204], v[201:202]
	v_div_fmas_f64 v[195:196], v[195:196], v[197:198], v[203:204]
	v_div_fixup_f64 v[197:198], v[195:196], v[193:194], 1.0
	v_mul_f64 v[199:200], v[199:200], -v[197:198]
.LBB89_358:
	s_or_b32 exec_lo, exec_lo, s1
	ds_write2_b64 v255, v[197:198], v[199:200] offset1:1
.LBB89_359:
	s_or_b32 exec_lo, exec_lo, s2
	s_waitcnt lgkmcnt(0)
	s_barrier
	buffer_gl0_inv
	ds_read2_b64 v[193:196], v255 offset1:1
	s_mov_b32 s1, exec_lo
	v_cmpx_lt_u32_e32 39, v0
	s_cbranch_execz .LBB89_361
; %bb.360:
	s_waitcnt lgkmcnt(0)
	v_mul_f64 v[197:198], v[193:194], v[23:24]
	v_mul_f64 v[23:24], v[195:196], v[23:24]
	v_fma_f64 v[201:202], v[195:196], v[21:22], v[197:198]
	ds_read2_b64 v[197:200], v253 offset0:80 offset1:81
	v_fma_f64 v[21:22], v[193:194], v[21:22], -v[23:24]
	s_waitcnt lgkmcnt(0)
	v_mul_f64 v[23:24], v[199:200], v[201:202]
	v_fma_f64 v[23:24], v[197:198], v[21:22], -v[23:24]
	v_mul_f64 v[197:198], v[197:198], v[201:202]
	v_add_f64 v[17:18], v[17:18], -v[23:24]
	v_fma_f64 v[197:198], v[199:200], v[21:22], v[197:198]
	v_add_f64 v[19:20], v[19:20], -v[197:198]
	ds_read2_b64 v[197:200], v253 offset0:82 offset1:83
	s_waitcnt lgkmcnt(0)
	v_mul_f64 v[23:24], v[199:200], v[201:202]
	v_fma_f64 v[23:24], v[197:198], v[21:22], -v[23:24]
	v_mul_f64 v[197:198], v[197:198], v[201:202]
	v_add_f64 v[13:14], v[13:14], -v[23:24]
	v_fma_f64 v[197:198], v[199:200], v[21:22], v[197:198]
	v_add_f64 v[15:16], v[15:16], -v[197:198]
	ds_read2_b64 v[197:200], v253 offset0:84 offset1:85
	;; [unrolled: 8-line block ×4, first 2 shown]
	s_waitcnt lgkmcnt(0)
	v_mul_f64 v[23:24], v[199:200], v[201:202]
	v_fma_f64 v[23:24], v[197:198], v[21:22], -v[23:24]
	v_mul_f64 v[197:198], v[197:198], v[201:202]
	v_add_f64 v[1:2], v[1:2], -v[23:24]
	v_fma_f64 v[197:198], v[199:200], v[21:22], v[197:198]
	v_mov_b32_e32 v23, v201
	v_mov_b32_e32 v24, v202
	v_add_f64 v[3:4], v[3:4], -v[197:198]
.LBB89_361:
	s_or_b32 exec_lo, exec_lo, s1
	s_mov_b32 s2, exec_lo
	s_waitcnt lgkmcnt(0)
	s_barrier
	buffer_gl0_inv
	v_cmpx_eq_u32_e32 40, v0
	s_cbranch_execz .LBB89_368
; %bb.362:
	ds_write2_b64 v255, v[17:18], v[19:20] offset1:1
	ds_write2_b64 v253, v[13:14], v[15:16] offset0:82 offset1:83
	ds_write2_b64 v253, v[9:10], v[11:12] offset0:84 offset1:85
	;; [unrolled: 1-line block ×4, first 2 shown]
	ds_read2_b64 v[197:200], v255 offset1:1
	s_waitcnt lgkmcnt(0)
	v_cmp_neq_f64_e32 vcc_lo, 0, v[197:198]
	v_cmp_neq_f64_e64 s1, 0, v[199:200]
	s_or_b32 s1, vcc_lo, s1
	s_and_b32 exec_lo, exec_lo, s1
	s_cbranch_execz .LBB89_368
; %bb.363:
	v_cmp_ngt_f64_e64 s1, |v[197:198]|, |v[199:200]|
                                        ; implicit-def: $vgpr201_vgpr202
	s_and_saveexec_b32 s3, s1
	s_xor_b32 s1, exec_lo, s3
                                        ; implicit-def: $vgpr203_vgpr204
	s_cbranch_execz .LBB89_365
; %bb.364:
	v_div_scale_f64 v[201:202], null, v[199:200], v[199:200], v[197:198]
	v_div_scale_f64 v[207:208], vcc_lo, v[197:198], v[199:200], v[197:198]
	v_rcp_f64_e32 v[203:204], v[201:202]
	v_fma_f64 v[205:206], -v[201:202], v[203:204], 1.0
	v_fma_f64 v[203:204], v[203:204], v[205:206], v[203:204]
	v_fma_f64 v[205:206], -v[201:202], v[203:204], 1.0
	v_fma_f64 v[203:204], v[203:204], v[205:206], v[203:204]
	v_mul_f64 v[205:206], v[207:208], v[203:204]
	v_fma_f64 v[201:202], -v[201:202], v[205:206], v[207:208]
	v_div_fmas_f64 v[201:202], v[201:202], v[203:204], v[205:206]
	v_div_fixup_f64 v[201:202], v[201:202], v[199:200], v[197:198]
	v_fma_f64 v[197:198], v[197:198], v[201:202], v[199:200]
	v_div_scale_f64 v[199:200], null, v[197:198], v[197:198], 1.0
	v_rcp_f64_e32 v[203:204], v[199:200]
	v_fma_f64 v[205:206], -v[199:200], v[203:204], 1.0
	v_fma_f64 v[203:204], v[203:204], v[205:206], v[203:204]
	v_fma_f64 v[205:206], -v[199:200], v[203:204], 1.0
	v_fma_f64 v[203:204], v[203:204], v[205:206], v[203:204]
	v_div_scale_f64 v[205:206], vcc_lo, 1.0, v[197:198], 1.0
	v_mul_f64 v[207:208], v[205:206], v[203:204]
	v_fma_f64 v[199:200], -v[199:200], v[207:208], v[205:206]
	v_div_fmas_f64 v[199:200], v[199:200], v[203:204], v[207:208]
	v_div_fixup_f64 v[203:204], v[199:200], v[197:198], 1.0
                                        ; implicit-def: $vgpr197_vgpr198
	v_mul_f64 v[201:202], v[201:202], v[203:204]
	v_xor_b32_e32 v204, 0x80000000, v204
.LBB89_365:
	s_andn2_saveexec_b32 s1, s1
	s_cbranch_execz .LBB89_367
; %bb.366:
	v_div_scale_f64 v[201:202], null, v[197:198], v[197:198], v[199:200]
	v_div_scale_f64 v[207:208], vcc_lo, v[199:200], v[197:198], v[199:200]
	v_rcp_f64_e32 v[203:204], v[201:202]
	v_fma_f64 v[205:206], -v[201:202], v[203:204], 1.0
	v_fma_f64 v[203:204], v[203:204], v[205:206], v[203:204]
	v_fma_f64 v[205:206], -v[201:202], v[203:204], 1.0
	v_fma_f64 v[203:204], v[203:204], v[205:206], v[203:204]
	v_mul_f64 v[205:206], v[207:208], v[203:204]
	v_fma_f64 v[201:202], -v[201:202], v[205:206], v[207:208]
	v_div_fmas_f64 v[201:202], v[201:202], v[203:204], v[205:206]
	v_div_fixup_f64 v[203:204], v[201:202], v[197:198], v[199:200]
	v_fma_f64 v[197:198], v[199:200], v[203:204], v[197:198]
	v_div_scale_f64 v[199:200], null, v[197:198], v[197:198], 1.0
	v_rcp_f64_e32 v[201:202], v[199:200]
	v_fma_f64 v[205:206], -v[199:200], v[201:202], 1.0
	v_fma_f64 v[201:202], v[201:202], v[205:206], v[201:202]
	v_fma_f64 v[205:206], -v[199:200], v[201:202], 1.0
	v_fma_f64 v[201:202], v[201:202], v[205:206], v[201:202]
	v_div_scale_f64 v[205:206], vcc_lo, 1.0, v[197:198], 1.0
	v_mul_f64 v[207:208], v[205:206], v[201:202]
	v_fma_f64 v[199:200], -v[199:200], v[207:208], v[205:206]
	v_div_fmas_f64 v[199:200], v[199:200], v[201:202], v[207:208]
	v_div_fixup_f64 v[201:202], v[199:200], v[197:198], 1.0
	v_mul_f64 v[203:204], v[203:204], -v[201:202]
.LBB89_367:
	s_or_b32 exec_lo, exec_lo, s1
	ds_write2_b64 v255, v[201:202], v[203:204] offset1:1
.LBB89_368:
	s_or_b32 exec_lo, exec_lo, s2
	s_waitcnt lgkmcnt(0)
	s_barrier
	buffer_gl0_inv
	ds_read2_b64 v[197:200], v255 offset1:1
	s_mov_b32 s1, exec_lo
	v_cmpx_lt_u32_e32 40, v0
	s_cbranch_execz .LBB89_370
; %bb.369:
	s_waitcnt lgkmcnt(0)
	v_mul_f64 v[201:202], v[197:198], v[19:20]
	v_mul_f64 v[19:20], v[199:200], v[19:20]
	v_fma_f64 v[205:206], v[199:200], v[17:18], v[201:202]
	ds_read2_b64 v[201:204], v253 offset0:82 offset1:83
	v_fma_f64 v[17:18], v[197:198], v[17:18], -v[19:20]
	s_waitcnt lgkmcnt(0)
	v_mul_f64 v[19:20], v[203:204], v[205:206]
	v_fma_f64 v[19:20], v[201:202], v[17:18], -v[19:20]
	v_mul_f64 v[201:202], v[201:202], v[205:206]
	v_add_f64 v[13:14], v[13:14], -v[19:20]
	v_fma_f64 v[201:202], v[203:204], v[17:18], v[201:202]
	v_add_f64 v[15:16], v[15:16], -v[201:202]
	ds_read2_b64 v[201:204], v253 offset0:84 offset1:85
	s_waitcnt lgkmcnt(0)
	v_mul_f64 v[19:20], v[203:204], v[205:206]
	v_fma_f64 v[19:20], v[201:202], v[17:18], -v[19:20]
	v_mul_f64 v[201:202], v[201:202], v[205:206]
	v_add_f64 v[9:10], v[9:10], -v[19:20]
	v_fma_f64 v[201:202], v[203:204], v[17:18], v[201:202]
	v_add_f64 v[11:12], v[11:12], -v[201:202]
	ds_read2_b64 v[201:204], v253 offset0:86 offset1:87
	;; [unrolled: 8-line block ×3, first 2 shown]
	s_waitcnt lgkmcnt(0)
	v_mul_f64 v[19:20], v[203:204], v[205:206]
	v_fma_f64 v[19:20], v[201:202], v[17:18], -v[19:20]
	v_mul_f64 v[201:202], v[201:202], v[205:206]
	v_add_f64 v[1:2], v[1:2], -v[19:20]
	v_fma_f64 v[201:202], v[203:204], v[17:18], v[201:202]
	v_mov_b32_e32 v19, v205
	v_mov_b32_e32 v20, v206
	v_add_f64 v[3:4], v[3:4], -v[201:202]
.LBB89_370:
	s_or_b32 exec_lo, exec_lo, s1
	s_mov_b32 s2, exec_lo
	s_waitcnt lgkmcnt(0)
	s_barrier
	buffer_gl0_inv
	v_cmpx_eq_u32_e32 41, v0
	s_cbranch_execz .LBB89_377
; %bb.371:
	ds_write2_b64 v255, v[13:14], v[15:16] offset1:1
	ds_write2_b64 v253, v[9:10], v[11:12] offset0:84 offset1:85
	ds_write2_b64 v253, v[5:6], v[7:8] offset0:86 offset1:87
	;; [unrolled: 1-line block ×3, first 2 shown]
	ds_read2_b64 v[201:204], v255 offset1:1
	s_waitcnt lgkmcnt(0)
	v_cmp_neq_f64_e32 vcc_lo, 0, v[201:202]
	v_cmp_neq_f64_e64 s1, 0, v[203:204]
	s_or_b32 s1, vcc_lo, s1
	s_and_b32 exec_lo, exec_lo, s1
	s_cbranch_execz .LBB89_377
; %bb.372:
	v_cmp_ngt_f64_e64 s1, |v[201:202]|, |v[203:204]|
                                        ; implicit-def: $vgpr205_vgpr206
	s_and_saveexec_b32 s3, s1
	s_xor_b32 s1, exec_lo, s3
                                        ; implicit-def: $vgpr207_vgpr208
	s_cbranch_execz .LBB89_374
; %bb.373:
	v_div_scale_f64 v[205:206], null, v[203:204], v[203:204], v[201:202]
	v_div_scale_f64 v[211:212], vcc_lo, v[201:202], v[203:204], v[201:202]
	v_rcp_f64_e32 v[207:208], v[205:206]
	v_fma_f64 v[209:210], -v[205:206], v[207:208], 1.0
	v_fma_f64 v[207:208], v[207:208], v[209:210], v[207:208]
	v_fma_f64 v[209:210], -v[205:206], v[207:208], 1.0
	v_fma_f64 v[207:208], v[207:208], v[209:210], v[207:208]
	v_mul_f64 v[209:210], v[211:212], v[207:208]
	v_fma_f64 v[205:206], -v[205:206], v[209:210], v[211:212]
	v_div_fmas_f64 v[205:206], v[205:206], v[207:208], v[209:210]
	v_div_fixup_f64 v[205:206], v[205:206], v[203:204], v[201:202]
	v_fma_f64 v[201:202], v[201:202], v[205:206], v[203:204]
	v_div_scale_f64 v[203:204], null, v[201:202], v[201:202], 1.0
	v_rcp_f64_e32 v[207:208], v[203:204]
	v_fma_f64 v[209:210], -v[203:204], v[207:208], 1.0
	v_fma_f64 v[207:208], v[207:208], v[209:210], v[207:208]
	v_fma_f64 v[209:210], -v[203:204], v[207:208], 1.0
	v_fma_f64 v[207:208], v[207:208], v[209:210], v[207:208]
	v_div_scale_f64 v[209:210], vcc_lo, 1.0, v[201:202], 1.0
	v_mul_f64 v[211:212], v[209:210], v[207:208]
	v_fma_f64 v[203:204], -v[203:204], v[211:212], v[209:210]
	v_div_fmas_f64 v[203:204], v[203:204], v[207:208], v[211:212]
	v_div_fixup_f64 v[207:208], v[203:204], v[201:202], 1.0
                                        ; implicit-def: $vgpr201_vgpr202
	v_mul_f64 v[205:206], v[205:206], v[207:208]
	v_xor_b32_e32 v208, 0x80000000, v208
.LBB89_374:
	s_andn2_saveexec_b32 s1, s1
	s_cbranch_execz .LBB89_376
; %bb.375:
	v_div_scale_f64 v[205:206], null, v[201:202], v[201:202], v[203:204]
	v_div_scale_f64 v[211:212], vcc_lo, v[203:204], v[201:202], v[203:204]
	v_rcp_f64_e32 v[207:208], v[205:206]
	v_fma_f64 v[209:210], -v[205:206], v[207:208], 1.0
	v_fma_f64 v[207:208], v[207:208], v[209:210], v[207:208]
	v_fma_f64 v[209:210], -v[205:206], v[207:208], 1.0
	v_fma_f64 v[207:208], v[207:208], v[209:210], v[207:208]
	v_mul_f64 v[209:210], v[211:212], v[207:208]
	v_fma_f64 v[205:206], -v[205:206], v[209:210], v[211:212]
	v_div_fmas_f64 v[205:206], v[205:206], v[207:208], v[209:210]
	v_div_fixup_f64 v[207:208], v[205:206], v[201:202], v[203:204]
	v_fma_f64 v[201:202], v[203:204], v[207:208], v[201:202]
	v_div_scale_f64 v[203:204], null, v[201:202], v[201:202], 1.0
	v_rcp_f64_e32 v[205:206], v[203:204]
	v_fma_f64 v[209:210], -v[203:204], v[205:206], 1.0
	v_fma_f64 v[205:206], v[205:206], v[209:210], v[205:206]
	v_fma_f64 v[209:210], -v[203:204], v[205:206], 1.0
	v_fma_f64 v[205:206], v[205:206], v[209:210], v[205:206]
	v_div_scale_f64 v[209:210], vcc_lo, 1.0, v[201:202], 1.0
	v_mul_f64 v[211:212], v[209:210], v[205:206]
	v_fma_f64 v[203:204], -v[203:204], v[211:212], v[209:210]
	v_div_fmas_f64 v[203:204], v[203:204], v[205:206], v[211:212]
	v_div_fixup_f64 v[205:206], v[203:204], v[201:202], 1.0
	v_mul_f64 v[207:208], v[207:208], -v[205:206]
.LBB89_376:
	s_or_b32 exec_lo, exec_lo, s1
	ds_write2_b64 v255, v[205:206], v[207:208] offset1:1
.LBB89_377:
	s_or_b32 exec_lo, exec_lo, s2
	s_waitcnt lgkmcnt(0)
	s_barrier
	buffer_gl0_inv
	ds_read2_b64 v[201:204], v255 offset1:1
	s_mov_b32 s1, exec_lo
	v_cmpx_lt_u32_e32 41, v0
	s_cbranch_execz .LBB89_379
; %bb.378:
	s_waitcnt lgkmcnt(0)
	v_mul_f64 v[205:206], v[201:202], v[15:16]
	v_mul_f64 v[15:16], v[203:204], v[15:16]
	v_fma_f64 v[209:210], v[203:204], v[13:14], v[205:206]
	ds_read2_b64 v[205:208], v253 offset0:84 offset1:85
	v_fma_f64 v[13:14], v[201:202], v[13:14], -v[15:16]
	s_waitcnt lgkmcnt(0)
	v_mul_f64 v[15:16], v[207:208], v[209:210]
	v_fma_f64 v[15:16], v[205:206], v[13:14], -v[15:16]
	v_mul_f64 v[205:206], v[205:206], v[209:210]
	v_add_f64 v[9:10], v[9:10], -v[15:16]
	v_fma_f64 v[205:206], v[207:208], v[13:14], v[205:206]
	v_add_f64 v[11:12], v[11:12], -v[205:206]
	ds_read2_b64 v[205:208], v253 offset0:86 offset1:87
	s_waitcnt lgkmcnt(0)
	v_mul_f64 v[15:16], v[207:208], v[209:210]
	v_fma_f64 v[15:16], v[205:206], v[13:14], -v[15:16]
	v_mul_f64 v[205:206], v[205:206], v[209:210]
	v_add_f64 v[5:6], v[5:6], -v[15:16]
	v_fma_f64 v[205:206], v[207:208], v[13:14], v[205:206]
	v_add_f64 v[7:8], v[7:8], -v[205:206]
	ds_read2_b64 v[205:208], v253 offset0:88 offset1:89
	s_waitcnt lgkmcnt(0)
	v_mul_f64 v[15:16], v[207:208], v[209:210]
	v_fma_f64 v[15:16], v[205:206], v[13:14], -v[15:16]
	v_mul_f64 v[205:206], v[205:206], v[209:210]
	v_add_f64 v[1:2], v[1:2], -v[15:16]
	v_fma_f64 v[205:206], v[207:208], v[13:14], v[205:206]
	v_mov_b32_e32 v15, v209
	v_mov_b32_e32 v16, v210
	v_add_f64 v[3:4], v[3:4], -v[205:206]
.LBB89_379:
	s_or_b32 exec_lo, exec_lo, s1
	s_mov_b32 s2, exec_lo
	s_waitcnt lgkmcnt(0)
	s_barrier
	buffer_gl0_inv
	v_cmpx_eq_u32_e32 42, v0
	s_cbranch_execz .LBB89_386
; %bb.380:
	ds_write2_b64 v255, v[9:10], v[11:12] offset1:1
	ds_write2_b64 v253, v[5:6], v[7:8] offset0:86 offset1:87
	ds_write2_b64 v253, v[1:2], v[3:4] offset0:88 offset1:89
	ds_read2_b64 v[205:208], v255 offset1:1
	s_waitcnt lgkmcnt(0)
	v_cmp_neq_f64_e32 vcc_lo, 0, v[205:206]
	v_cmp_neq_f64_e64 s1, 0, v[207:208]
	s_or_b32 s1, vcc_lo, s1
	s_and_b32 exec_lo, exec_lo, s1
	s_cbranch_execz .LBB89_386
; %bb.381:
	v_cmp_ngt_f64_e64 s1, |v[205:206]|, |v[207:208]|
                                        ; implicit-def: $vgpr209_vgpr210
	s_and_saveexec_b32 s3, s1
	s_xor_b32 s1, exec_lo, s3
                                        ; implicit-def: $vgpr211_vgpr212
	s_cbranch_execz .LBB89_383
; %bb.382:
	v_div_scale_f64 v[209:210], null, v[207:208], v[207:208], v[205:206]
	v_div_scale_f64 v[215:216], vcc_lo, v[205:206], v[207:208], v[205:206]
	v_rcp_f64_e32 v[211:212], v[209:210]
	v_fma_f64 v[213:214], -v[209:210], v[211:212], 1.0
	v_fma_f64 v[211:212], v[211:212], v[213:214], v[211:212]
	v_fma_f64 v[213:214], -v[209:210], v[211:212], 1.0
	v_fma_f64 v[211:212], v[211:212], v[213:214], v[211:212]
	v_mul_f64 v[213:214], v[215:216], v[211:212]
	v_fma_f64 v[209:210], -v[209:210], v[213:214], v[215:216]
	v_div_fmas_f64 v[209:210], v[209:210], v[211:212], v[213:214]
	v_div_fixup_f64 v[209:210], v[209:210], v[207:208], v[205:206]
	v_fma_f64 v[205:206], v[205:206], v[209:210], v[207:208]
	v_div_scale_f64 v[207:208], null, v[205:206], v[205:206], 1.0
	v_rcp_f64_e32 v[211:212], v[207:208]
	v_fma_f64 v[213:214], -v[207:208], v[211:212], 1.0
	v_fma_f64 v[211:212], v[211:212], v[213:214], v[211:212]
	v_fma_f64 v[213:214], -v[207:208], v[211:212], 1.0
	v_fma_f64 v[211:212], v[211:212], v[213:214], v[211:212]
	v_div_scale_f64 v[213:214], vcc_lo, 1.0, v[205:206], 1.0
	v_mul_f64 v[215:216], v[213:214], v[211:212]
	v_fma_f64 v[207:208], -v[207:208], v[215:216], v[213:214]
	v_div_fmas_f64 v[207:208], v[207:208], v[211:212], v[215:216]
	v_div_fixup_f64 v[211:212], v[207:208], v[205:206], 1.0
                                        ; implicit-def: $vgpr205_vgpr206
	v_mul_f64 v[209:210], v[209:210], v[211:212]
	v_xor_b32_e32 v212, 0x80000000, v212
.LBB89_383:
	s_andn2_saveexec_b32 s1, s1
	s_cbranch_execz .LBB89_385
; %bb.384:
	v_div_scale_f64 v[209:210], null, v[205:206], v[205:206], v[207:208]
	v_div_scale_f64 v[215:216], vcc_lo, v[207:208], v[205:206], v[207:208]
	v_rcp_f64_e32 v[211:212], v[209:210]
	v_fma_f64 v[213:214], -v[209:210], v[211:212], 1.0
	v_fma_f64 v[211:212], v[211:212], v[213:214], v[211:212]
	v_fma_f64 v[213:214], -v[209:210], v[211:212], 1.0
	v_fma_f64 v[211:212], v[211:212], v[213:214], v[211:212]
	v_mul_f64 v[213:214], v[215:216], v[211:212]
	v_fma_f64 v[209:210], -v[209:210], v[213:214], v[215:216]
	v_div_fmas_f64 v[209:210], v[209:210], v[211:212], v[213:214]
	v_div_fixup_f64 v[211:212], v[209:210], v[205:206], v[207:208]
	v_fma_f64 v[205:206], v[207:208], v[211:212], v[205:206]
	v_div_scale_f64 v[207:208], null, v[205:206], v[205:206], 1.0
	v_rcp_f64_e32 v[209:210], v[207:208]
	v_fma_f64 v[213:214], -v[207:208], v[209:210], 1.0
	v_fma_f64 v[209:210], v[209:210], v[213:214], v[209:210]
	v_fma_f64 v[213:214], -v[207:208], v[209:210], 1.0
	v_fma_f64 v[209:210], v[209:210], v[213:214], v[209:210]
	v_div_scale_f64 v[213:214], vcc_lo, 1.0, v[205:206], 1.0
	v_mul_f64 v[215:216], v[213:214], v[209:210]
	v_fma_f64 v[207:208], -v[207:208], v[215:216], v[213:214]
	v_div_fmas_f64 v[207:208], v[207:208], v[209:210], v[215:216]
	v_div_fixup_f64 v[209:210], v[207:208], v[205:206], 1.0
	v_mul_f64 v[211:212], v[211:212], -v[209:210]
.LBB89_385:
	s_or_b32 exec_lo, exec_lo, s1
	ds_write2_b64 v255, v[209:210], v[211:212] offset1:1
.LBB89_386:
	s_or_b32 exec_lo, exec_lo, s2
	s_waitcnt lgkmcnt(0)
	s_barrier
	buffer_gl0_inv
	ds_read2_b64 v[205:208], v255 offset1:1
	s_mov_b32 s1, exec_lo
	v_cmpx_lt_u32_e32 42, v0
	s_cbranch_execz .LBB89_388
; %bb.387:
	s_waitcnt lgkmcnt(0)
	v_mul_f64 v[209:210], v[205:206], v[11:12]
	v_mul_f64 v[11:12], v[207:208], v[11:12]
	v_fma_f64 v[213:214], v[207:208], v[9:10], v[209:210]
	ds_read2_b64 v[209:212], v253 offset0:86 offset1:87
	v_fma_f64 v[9:10], v[205:206], v[9:10], -v[11:12]
	s_waitcnt lgkmcnt(0)
	v_mul_f64 v[11:12], v[211:212], v[213:214]
	v_fma_f64 v[11:12], v[209:210], v[9:10], -v[11:12]
	v_mul_f64 v[209:210], v[209:210], v[213:214]
	v_add_f64 v[5:6], v[5:6], -v[11:12]
	v_fma_f64 v[209:210], v[211:212], v[9:10], v[209:210]
	v_add_f64 v[7:8], v[7:8], -v[209:210]
	ds_read2_b64 v[209:212], v253 offset0:88 offset1:89
	s_waitcnt lgkmcnt(0)
	v_mul_f64 v[11:12], v[211:212], v[213:214]
	v_fma_f64 v[11:12], v[209:210], v[9:10], -v[11:12]
	v_mul_f64 v[209:210], v[209:210], v[213:214]
	v_add_f64 v[1:2], v[1:2], -v[11:12]
	v_fma_f64 v[209:210], v[211:212], v[9:10], v[209:210]
	v_mov_b32_e32 v11, v213
	v_mov_b32_e32 v12, v214
	v_add_f64 v[3:4], v[3:4], -v[209:210]
.LBB89_388:
	s_or_b32 exec_lo, exec_lo, s1
	s_mov_b32 s2, exec_lo
	s_waitcnt lgkmcnt(0)
	s_barrier
	buffer_gl0_inv
	v_cmpx_eq_u32_e32 43, v0
	s_cbranch_execz .LBB89_395
; %bb.389:
	ds_write2_b64 v255, v[5:6], v[7:8] offset1:1
	ds_write2_b64 v253, v[1:2], v[3:4] offset0:88 offset1:89
	ds_read2_b64 v[209:212], v255 offset1:1
	s_waitcnt lgkmcnt(0)
	v_cmp_neq_f64_e32 vcc_lo, 0, v[209:210]
	v_cmp_neq_f64_e64 s1, 0, v[211:212]
	s_or_b32 s1, vcc_lo, s1
	s_and_b32 exec_lo, exec_lo, s1
	s_cbranch_execz .LBB89_395
; %bb.390:
	v_cmp_ngt_f64_e64 s1, |v[209:210]|, |v[211:212]|
                                        ; implicit-def: $vgpr213_vgpr214
	s_and_saveexec_b32 s3, s1
	s_xor_b32 s1, exec_lo, s3
                                        ; implicit-def: $vgpr215_vgpr216
	s_cbranch_execz .LBB89_392
; %bb.391:
	v_div_scale_f64 v[213:214], null, v[211:212], v[211:212], v[209:210]
	v_mov_b32_e32 v177, v219
	v_mov_b32_e32 v178, v220
	v_div_scale_f64 v[219:220], vcc_lo, v[209:210], v[211:212], v[209:210]
	v_rcp_f64_e32 v[215:216], v[213:214]
	v_fma_f64 v[217:218], -v[213:214], v[215:216], 1.0
	v_fma_f64 v[215:216], v[215:216], v[217:218], v[215:216]
	v_fma_f64 v[217:218], -v[213:214], v[215:216], 1.0
	v_fma_f64 v[215:216], v[215:216], v[217:218], v[215:216]
	v_mul_f64 v[217:218], v[219:220], v[215:216]
	v_fma_f64 v[213:214], -v[213:214], v[217:218], v[219:220]
	v_div_fmas_f64 v[213:214], v[213:214], v[215:216], v[217:218]
	v_div_fixup_f64 v[213:214], v[213:214], v[211:212], v[209:210]
	v_fma_f64 v[209:210], v[209:210], v[213:214], v[211:212]
	v_div_scale_f64 v[211:212], null, v[209:210], v[209:210], 1.0
	v_rcp_f64_e32 v[215:216], v[211:212]
	v_fma_f64 v[217:218], -v[211:212], v[215:216], 1.0
	v_fma_f64 v[215:216], v[215:216], v[217:218], v[215:216]
	v_fma_f64 v[217:218], -v[211:212], v[215:216], 1.0
	v_fma_f64 v[215:216], v[215:216], v[217:218], v[215:216]
	v_div_scale_f64 v[217:218], vcc_lo, 1.0, v[209:210], 1.0
	v_mul_f64 v[219:220], v[217:218], v[215:216]
	v_fma_f64 v[211:212], -v[211:212], v[219:220], v[217:218]
	v_div_fmas_f64 v[211:212], v[211:212], v[215:216], v[219:220]
	v_mov_b32_e32 v220, v178
	v_mov_b32_e32 v219, v177
	v_div_fixup_f64 v[215:216], v[211:212], v[209:210], 1.0
                                        ; implicit-def: $vgpr209_vgpr210
	v_mul_f64 v[213:214], v[213:214], v[215:216]
	v_xor_b32_e32 v216, 0x80000000, v216
.LBB89_392:
	s_andn2_saveexec_b32 s1, s1
	s_cbranch_execz .LBB89_394
; %bb.393:
	v_div_scale_f64 v[213:214], null, v[209:210], v[209:210], v[211:212]
	v_mov_b32_e32 v177, v219
	v_mov_b32_e32 v178, v220
	v_div_scale_f64 v[219:220], vcc_lo, v[211:212], v[209:210], v[211:212]
	v_rcp_f64_e32 v[215:216], v[213:214]
	v_fma_f64 v[217:218], -v[213:214], v[215:216], 1.0
	v_fma_f64 v[215:216], v[215:216], v[217:218], v[215:216]
	v_fma_f64 v[217:218], -v[213:214], v[215:216], 1.0
	v_fma_f64 v[215:216], v[215:216], v[217:218], v[215:216]
	v_mul_f64 v[217:218], v[219:220], v[215:216]
	v_fma_f64 v[213:214], -v[213:214], v[217:218], v[219:220]
	v_div_fmas_f64 v[213:214], v[213:214], v[215:216], v[217:218]
	v_div_fixup_f64 v[215:216], v[213:214], v[209:210], v[211:212]
	v_fma_f64 v[209:210], v[211:212], v[215:216], v[209:210]
	v_div_scale_f64 v[211:212], null, v[209:210], v[209:210], 1.0
	v_rcp_f64_e32 v[213:214], v[211:212]
	v_fma_f64 v[217:218], -v[211:212], v[213:214], 1.0
	v_fma_f64 v[213:214], v[213:214], v[217:218], v[213:214]
	v_fma_f64 v[217:218], -v[211:212], v[213:214], 1.0
	v_fma_f64 v[213:214], v[213:214], v[217:218], v[213:214]
	v_div_scale_f64 v[217:218], vcc_lo, 1.0, v[209:210], 1.0
	v_mul_f64 v[219:220], v[217:218], v[213:214]
	v_fma_f64 v[211:212], -v[211:212], v[219:220], v[217:218]
	v_div_fmas_f64 v[211:212], v[211:212], v[213:214], v[219:220]
	v_mov_b32_e32 v220, v178
	v_mov_b32_e32 v219, v177
	v_div_fixup_f64 v[213:214], v[211:212], v[209:210], 1.0
	v_mul_f64 v[215:216], v[215:216], -v[213:214]
.LBB89_394:
	s_or_b32 exec_lo, exec_lo, s1
	ds_write2_b64 v255, v[213:214], v[215:216] offset1:1
.LBB89_395:
	s_or_b32 exec_lo, exec_lo, s2
	s_waitcnt lgkmcnt(0)
	s_barrier
	buffer_gl0_inv
	ds_read2_b64 v[209:212], v255 offset1:1
	s_mov_b32 s1, exec_lo
	v_cmpx_lt_u32_e32 43, v0
	s_cbranch_execz .LBB89_397
; %bb.396:
	s_waitcnt lgkmcnt(0)
	v_mul_f64 v[213:214], v[209:210], v[7:8]
	v_mul_f64 v[7:8], v[211:212], v[7:8]
	v_fma_f64 v[217:218], v[211:212], v[5:6], v[213:214]
	ds_read2_b64 v[213:216], v253 offset0:88 offset1:89
	v_fma_f64 v[5:6], v[209:210], v[5:6], -v[7:8]
	s_waitcnt lgkmcnt(0)
	v_mul_f64 v[7:8], v[215:216], v[217:218]
	v_fma_f64 v[7:8], v[213:214], v[5:6], -v[7:8]
	v_mul_f64 v[213:214], v[213:214], v[217:218]
	v_add_f64 v[1:2], v[1:2], -v[7:8]
	v_fma_f64 v[213:214], v[215:216], v[5:6], v[213:214]
	v_mov_b32_e32 v7, v217
	v_mov_b32_e32 v8, v218
	v_add_f64 v[3:4], v[3:4], -v[213:214]
.LBB89_397:
	s_or_b32 exec_lo, exec_lo, s1
	s_mov_b32 s2, exec_lo
	s_waitcnt lgkmcnt(0)
	s_barrier
	buffer_gl0_inv
	v_cmpx_eq_u32_e32 44, v0
	s_cbranch_execz .LBB89_404
; %bb.398:
	v_cmp_neq_f64_e32 vcc_lo, 0, v[1:2]
	v_cmp_neq_f64_e64 s1, 0, v[3:4]
	ds_write2_b64 v255, v[1:2], v[3:4] offset1:1
	s_or_b32 s1, vcc_lo, s1
	s_and_b32 exec_lo, exec_lo, s1
	s_cbranch_execz .LBB89_404
; %bb.399:
	v_cmp_ngt_f64_e64 s1, |v[1:2]|, |v[3:4]|
                                        ; implicit-def: $vgpr213_vgpr214
	s_and_saveexec_b32 s3, s1
	s_xor_b32 s1, exec_lo, s3
                                        ; implicit-def: $vgpr215_vgpr216
	s_cbranch_execz .LBB89_401
; %bb.400:
	v_div_scale_f64 v[213:214], null, v[3:4], v[3:4], v[1:2]
	v_mov_b32_e32 v173, v179
	v_mov_b32_e32 v174, v180
	v_mov_b32_e32 v179, v219
	v_mov_b32_e32 v180, v220
	v_div_scale_f64 v[219:220], vcc_lo, v[1:2], v[3:4], v[1:2]
	v_mov_b32_e32 v161, v181
	v_mov_b32_e32 v162, v182
	;; [unrolled: 1-line block ×14, first 2 shown]
	v_rcp_f64_e32 v[215:216], v[213:214]
	v_mov_b32_e32 v171, v223
	v_mov_b32_e32 v172, v224
	;; [unrolled: 1-line block ×22, first 2 shown]
	v_fma_f64 v[217:218], -v[213:214], v[215:216], 1.0
	v_mov_b32_e32 v233, v235
	v_mov_b32_e32 v234, v236
	;; [unrolled: 1-line block ×19, first 2 shown]
	v_fma_f64 v[215:216], v[215:216], v[217:218], v[215:216]
	v_mov_b32_e32 v251, v177
	v_fma_f64 v[217:218], -v[213:214], v[215:216], 1.0
	v_fma_f64 v[215:216], v[215:216], v[217:218], v[215:216]
	v_mul_f64 v[217:218], v[219:220], v[215:216]
	v_fma_f64 v[213:214], -v[213:214], v[217:218], v[219:220]
	v_div_fmas_f64 v[213:214], v[213:214], v[215:216], v[217:218]
	v_div_fixup_f64 v[213:214], v[213:214], v[3:4], v[1:2]
	v_fma_f64 v[215:216], v[1:2], v[213:214], v[3:4]
	v_div_scale_f64 v[217:218], null, v[215:216], v[215:216], 1.0
	v_rcp_f64_e32 v[219:220], v[217:218]
	v_fma_f64 v[253:254], -v[217:218], v[219:220], 1.0
	v_fma_f64 v[219:220], v[219:220], v[253:254], v[219:220]
	v_fma_f64 v[253:254], -v[217:218], v[219:220], 1.0
	v_fma_f64 v[219:220], v[219:220], v[253:254], v[219:220]
	v_div_scale_f64 v[253:254], vcc_lo, 1.0, v[215:216], 1.0
	v_mul_f64 v[221:222], v[253:254], v[219:220]
	v_fma_f64 v[217:218], -v[217:218], v[221:222], v[253:254]
	v_div_fmas_f64 v[217:218], v[217:218], v[219:220], v[221:222]
	v_mov_b32_e32 v224, v172
	v_mov_b32_e32 v223, v171
	;; [unrolled: 1-line block ×20, first 2 shown]
	v_div_fixup_f64 v[215:216], v[217:218], v[215:216], 1.0
	v_mul_f64 v[213:214], v[213:214], v[215:216]
	v_xor_b32_e32 v216, 0x80000000, v216
.LBB89_401:
	s_andn2_saveexec_b32 s1, s1
	s_cbranch_execz .LBB89_403
; %bb.402:
	v_div_scale_f64 v[213:214], null, v[1:2], v[1:2], v[3:4]
	v_mov_b32_e32 v173, v219
	v_mov_b32_e32 v174, v220
	v_div_scale_f64 v[219:220], vcc_lo, v[3:4], v[1:2], v[3:4]
	v_mov_b32_e32 v161, v181
	v_mov_b32_e32 v162, v182
	;; [unrolled: 1-line block ×16, first 2 shown]
	v_rcp_f64_e32 v[215:216], v[213:214]
	v_mov_b32_e32 v177, v251
	v_mov_b32_e32 v178, v252
	;; [unrolled: 1-line block ×20, first 2 shown]
	v_fma_f64 v[217:218], -v[213:214], v[215:216], 1.0
	v_mov_b32_e32 v233, v235
	v_mov_b32_e32 v234, v236
	v_mov_b32_e32 v235, v237
	v_mov_b32_e32 v236, v238
	v_mov_b32_e32 v237, v239
	v_mov_b32_e32 v238, v240
	v_mov_b32_e32 v239, v241
	v_mov_b32_e32 v240, v242
	v_mov_b32_e32 v241, v243
	v_mov_b32_e32 v242, v244
	v_mov_b32_e32 v243, v245
	v_mov_b32_e32 v244, v246
	v_mov_b32_e32 v245, v247
	v_mov_b32_e32 v246, v248
	v_mov_b32_e32 v247, v249
	v_mov_b32_e32 v248, v250
	v_mov_b32_e32 v249, v251
	v_mov_b32_e32 v250, v252
	v_mov_b32_e32 v252, v178
	v_mov_b32_e32 v251, v177
	v_fma_f64 v[215:216], v[215:216], v[217:218], v[215:216]
	v_fma_f64 v[217:218], -v[213:214], v[215:216], 1.0
	v_fma_f64 v[215:216], v[215:216], v[217:218], v[215:216]
	v_mul_f64 v[217:218], v[219:220], v[215:216]
	v_fma_f64 v[213:214], -v[213:214], v[217:218], v[219:220]
	v_div_fmas_f64 v[213:214], v[213:214], v[215:216], v[217:218]
	v_div_fixup_f64 v[215:216], v[213:214], v[1:2], v[3:4]
	v_fma_f64 v[213:214], v[3:4], v[215:216], v[1:2]
	v_div_scale_f64 v[217:218], null, v[213:214], v[213:214], 1.0
	v_rcp_f64_e32 v[219:220], v[217:218]
	v_fma_f64 v[221:222], -v[217:218], v[219:220], 1.0
	v_fma_f64 v[219:220], v[219:220], v[221:222], v[219:220]
	v_fma_f64 v[221:222], -v[217:218], v[219:220], 1.0
	v_fma_f64 v[219:220], v[219:220], v[221:222], v[219:220]
	v_div_scale_f64 v[221:222], vcc_lo, 1.0, v[213:214], 1.0
	v_mul_f64 v[223:224], v[221:222], v[219:220]
	v_fma_f64 v[217:218], -v[217:218], v[223:224], v[221:222]
	v_div_fmas_f64 v[217:218], v[217:218], v[219:220], v[223:224]
	v_mov_b32_e32 v224, v172
	v_mov_b32_e32 v223, v171
	;; [unrolled: 1-line block ×18, first 2 shown]
	v_div_fixup_f64 v[213:214], v[217:218], v[213:214], 1.0
	v_mul_f64 v[215:216], v[215:216], -v[213:214]
.LBB89_403:
	s_or_b32 exec_lo, exec_lo, s1
	ds_write2_b64 v255, v[213:214], v[215:216] offset1:1
.LBB89_404:
	s_or_b32 exec_lo, exec_lo, s2
	s_waitcnt lgkmcnt(0)
	s_barrier
	buffer_gl0_inv
	ds_read2_b64 v[213:216], v255 offset1:1
	s_mov_b32 s1, exec_lo
	v_cmpx_lt_u32_e32 44, v0
	s_cbranch_execz .LBB89_406
; %bb.405:
	s_waitcnt lgkmcnt(0)
	v_mul_f64 v[217:218], v[215:216], v[3:4]
	v_mul_f64 v[3:4], v[213:214], v[3:4]
	v_fma_f64 v[217:218], v[213:214], v[1:2], -v[217:218]
	v_fma_f64 v[3:4], v[215:216], v[1:2], v[3:4]
	v_mov_b32_e32 v1, v217
	v_mov_b32_e32 v2, v218
.LBB89_406:
	s_or_b32 exec_lo, exec_lo, s1
	s_waitcnt lgkmcnt(0)
	s_barrier
	buffer_gl0_inv
	s_and_saveexec_b32 s7, s0
	s_cbranch_execz .LBB89_409
; %bb.407:
	v_mov_b32_e32 v161, v225
	v_mov_b32_e32 v162, v226
	;; [unrolled: 1-line block ×20, first 2 shown]
	s_clause 0x3
	buffer_load_dword v221, off, s[16:19], 0 offset:240
	buffer_load_dword v222, off, s[16:19], 0 offset:244
	;; [unrolled: 1-line block ×4, first 2 shown]
	v_cmp_neq_f64_e64 s1, 0, v[169:170]
	v_cmp_neq_f64_e64 s2, 0, v[171:172]
	v_mov_b32_e32 v172, v168
	v_mov_b32_e32 v171, v167
	;; [unrolled: 1-line block ×8, first 2 shown]
	s_clause 0x3
	buffer_load_dword v181, off, s[16:19], 0 offset:272
	buffer_load_dword v182, off, s[16:19], 0 offset:276
	buffer_load_dword v183, off, s[16:19], 0 offset:280
	buffer_load_dword v184, off, s[16:19], 0 offset:284
	s_or_b32 s1, s1, s2
	s_waitcnt vmcnt(6)
	v_cmp_eq_f64_e32 vcc_lo, 0, v[221:222]
	s_waitcnt vmcnt(4)
	v_cmp_eq_f64_e64 s0, 0, v[223:224]
	s_waitcnt vmcnt(2)
	v_cmp_eq_f64_e64 s3, 0, v[181:182]
	;; [unrolled: 2-line block ×3, first 2 shown]
	s_clause 0x3
	buffer_load_dword v181, off, s[16:19], 0 offset:288
	buffer_load_dword v182, off, s[16:19], 0 offset:292
	;; [unrolled: 1-line block ×4, first 2 shown]
	s_and_b32 s0, vcc_lo, s0
	v_cndmask_b32_e64 v0, 0, 1, s0
	s_or_b32 s0, s1, s0
	v_cndmask_b32_e64 v0, 2, v0, s0
	v_cmp_eq_u32_e64 s0, 0, v0
	s_and_b32 s3, s3, s4
	s_and_b32 s0, s3, s0
	v_cndmask_b32_e64 v0, v0, 3, s0
	v_cmp_eq_u32_e64 s0, 0, v0
	s_waitcnt vmcnt(2)
	v_cmp_eq_f64_e64 s5, 0, v[181:182]
	s_waitcnt vmcnt(0)
	v_cmp_eq_f64_e32 vcc_lo, 0, v[183:184]
	s_clause 0x3
	buffer_load_dword v181, off, s[16:19], 0 offset:304
	buffer_load_dword v182, off, s[16:19], 0 offset:308
	;; [unrolled: 1-line block ×4, first 2 shown]
	s_and_b32 s5, s5, vcc_lo
	s_and_b32 s0, s5, s0
	v_cndmask_b32_e64 v0, v0, 4, s0
	v_cmp_eq_u32_e32 vcc_lo, 0, v0
	s_waitcnt vmcnt(2)
	v_cmp_eq_f64_e64 s1, 0, v[181:182]
	s_waitcnt vmcnt(0)
	v_cmp_eq_f64_e64 s2, 0, v[183:184]
	s_clause 0x3
	buffer_load_dword v181, off, s[16:19], 0 offset:320
	buffer_load_dword v182, off, s[16:19], 0 offset:324
	buffer_load_dword v183, off, s[16:19], 0 offset:328
	buffer_load_dword v184, off, s[16:19], 0 offset:332
	s_and_b32 s1, s1, s2
	s_and_b32 s1, s1, vcc_lo
	v_cndmask_b32_e64 v0, v0, 5, s1
	v_cmp_eq_u32_e32 vcc_lo, 0, v0
	s_waitcnt vmcnt(2)
	v_cmp_eq_f64_e64 s3, 0, v[181:182]
	s_waitcnt vmcnt(0)
	v_cmp_eq_f64_e64 s4, 0, v[183:184]
	s_clause 0x3
	buffer_load_dword v181, off, s[16:19], 0 offset:336
	buffer_load_dword v182, off, s[16:19], 0 offset:340
	buffer_load_dword v183, off, s[16:19], 0 offset:344
	buffer_load_dword v184, off, s[16:19], 0 offset:348
	s_and_b32 s3, s3, s4
	s_and_b32 s3, s3, vcc_lo
	;; [unrolled: 13-line block ×10, first 2 shown]
	v_cndmask_b32_e64 v0, v0, 14, s0
	v_cmp_eq_u32_e64 s1, 0, v0
	s_waitcnt vmcnt(2)
	v_cmp_eq_f64_e64 s3, 0, v[181:182]
	s_waitcnt vmcnt(0)
	v_cmp_eq_f64_e64 s4, 0, v[183:184]
	s_clause 0x3
	buffer_load_dword v181, off, s[16:19], 0 offset:480
	buffer_load_dword v182, off, s[16:19], 0 offset:484
	;; [unrolled: 1-line block ×4, first 2 shown]
	s_and_b32 s2, s3, s4
	s_and_b32 s1, s2, s1
	v_cndmask_b32_e64 v0, v0, 15, s1
	v_cmp_eq_u32_e64 s3, 0, v0
	s_waitcnt vmcnt(2)
	v_cmp_eq_f64_e64 s5, 0, v[181:182]
	s_waitcnt vmcnt(0)
	v_cmp_eq_f64_e64 s6, 0, v[183:184]
	s_clause 0x5
	buffer_load_dword v181, off, s[16:19], 0 offset:496
	buffer_load_dword v182, off, s[16:19], 0 offset:500
	;; [unrolled: 1-line block ×6, first 2 shown]
	s_and_b32 s5, s5, s6
	s_and_b32 s3, s5, s3
	v_cndmask_b32_e64 v0, v0, 16, s3
	v_cmp_eq_u32_e64 s3, 0, v0
	s_waitcnt vmcnt(4)
	v_cmp_eq_f64_e32 vcc_lo, 0, v[181:182]
	s_waitcnt vmcnt(2)
	v_cmp_eq_f64_e64 s0, 0, v[183:184]
	s_clause 0x3
	buffer_load_dword v181, off, s[16:19], 0 offset:512
	buffer_load_dword v182, off, s[16:19], 0 offset:516
	;; [unrolled: 1-line block ×4, first 2 shown]
	s_waitcnt vmcnt(4)
	v_lshlrev_b64 v[217:218], 2, v[173:174]
	v_add_co_u32 v253, s4, s10, v217
	v_add_co_ci_u32_e64 v254, null, s11, v218, s4
	global_load_dword v217, v[253:254], off
	s_and_b32 s0, vcc_lo, s0
	s_and_b32 s0, s0, s3
	v_cndmask_b32_e64 v0, v0, 17, s0
	v_cmp_eq_u32_e32 vcc_lo, 0, v0
	s_waitcnt vmcnt(3)
	v_cmp_eq_f64_e64 s1, 0, v[181:182]
	s_waitcnt vmcnt(1)
	v_cmp_eq_f64_e64 s2, 0, v[183:184]
	s_clause 0x3
	buffer_load_dword v181, off, s[16:19], 0 offset:528
	buffer_load_dword v182, off, s[16:19], 0 offset:532
	buffer_load_dword v183, off, s[16:19], 0 offset:536
	buffer_load_dword v184, off, s[16:19], 0 offset:540
	s_and_b32 s1, s1, s2
	s_and_b32 s1, s1, vcc_lo
	v_cndmask_b32_e64 v0, v0, 18, s1
	v_cmp_eq_u32_e32 vcc_lo, 0, v0
	s_waitcnt vmcnt(2)
	v_cmp_eq_f64_e64 s4, 0, v[181:182]
	s_waitcnt vmcnt(0)
	v_cmp_eq_f64_e64 s5, 0, v[183:184]
	s_clause 0x3
	buffer_load_dword v181, off, s[16:19], 0 offset:544
	buffer_load_dword v182, off, s[16:19], 0 offset:548
	buffer_load_dword v183, off, s[16:19], 0 offset:552
	buffer_load_dword v184, off, s[16:19], 0 offset:556
	s_and_b32 s4, s4, s5
	s_and_b32 s4, s4, vcc_lo
	;; [unrolled: 13-line block ×16, first 2 shown]
	v_cndmask_b32_e64 v0, v0, 33, s1
	v_cmp_eq_u32_e32 vcc_lo, 0, v0
	s_waitcnt vmcnt(2)
	v_cmp_eq_f64_e64 s4, 0, v[181:182]
	s_waitcnt vmcnt(0)
	v_cmp_eq_f64_e64 s5, 0, v[183:184]
	s_clause 0x3
	buffer_load_dword v181, off, s[16:19], 0 offset:784
	buffer_load_dword v182, off, s[16:19], 0 offset:788
	;; [unrolled: 1-line block ×4, first 2 shown]
	s_and_b32 s4, s4, s5
	v_cmp_eq_f64_e64 s5, 0, v[227:228]
	s_and_b32 s4, s4, vcc_lo
	v_cndmask_b32_e64 v0, v0, 34, s4
	v_cmp_eq_f64_e64 s4, 0, v[225:226]
	v_mov_b32_e32 v228, v164
	v_mov_b32_e32 v227, v163
	;; [unrolled: 1-line block ×3, first 2 shown]
	v_cmp_eq_u32_e32 vcc_lo, 0, v0
	v_mov_b32_e32 v225, v161
	s_and_b32 s4, s4, s5
	v_cmp_eq_f64_e64 s5, 0, v[195:196]
	s_waitcnt vmcnt(2)
	v_cmp_eq_f64_e64 s0, 0, v[181:182]
	s_waitcnt vmcnt(0)
	v_cmp_eq_f64_e64 s3, 0, v[183:184]
	s_clause 0x3
	buffer_load_dword v181, off, s[16:19], 0 offset:800
	buffer_load_dword v182, off, s[16:19], 0 offset:804
	;; [unrolled: 1-line block ×4, first 2 shown]
	s_and_b32 s0, s0, s3
	v_cmp_eq_f64_e64 s3, 0, v[187:188]
	s_and_b32 s0, s0, vcc_lo
	v_cndmask_b32_e64 v0, v0, 35, s0
	v_cmp_eq_f64_e64 s0, 0, v[185:186]
	v_cmp_eq_u32_e32 vcc_lo, 0, v0
	s_and_b32 s0, s0, s3
	v_cmp_eq_f64_e64 s3, 0, v[199:200]
	s_waitcnt vmcnt(2)
	v_cmp_eq_f64_e64 s1, 0, v[181:182]
	s_waitcnt vmcnt(0)
	v_cmp_eq_f64_e64 s2, 0, v[183:184]
	s_and_b32 s1, s1, s2
	v_cmp_eq_f64_e64 s2, 0, v[191:192]
	s_and_b32 s1, s1, vcc_lo
	v_cndmask_b32_e64 v0, v0, 36, s1
	v_cmp_eq_f64_e64 s1, 0, v[189:190]
	v_cmp_eq_u32_e32 vcc_lo, 0, v0
	s_and_b32 s4, s4, vcc_lo
	v_cndmask_b32_e64 v0, v0, 37, s4
	v_cmp_eq_f64_e64 s4, 0, v[193:194]
	v_cmp_eq_u32_e32 vcc_lo, 0, v0
	s_and_b32 s0, s0, vcc_lo
	s_and_b32 s1, s1, s2
	v_cndmask_b32_e64 v0, v0, 38, s0
	v_cmp_eq_f64_e64 s0, 0, v[197:198]
	v_cmp_eq_f64_e64 s2, 0, v[203:204]
	v_cmp_eq_u32_e32 vcc_lo, 0, v0
	s_and_b32 s1, s1, vcc_lo
	s_and_b32 s4, s4, s5
	v_cndmask_b32_e64 v0, v0, 39, s1
	v_cmp_eq_f64_e64 s1, 0, v[201:202]
	;; [unrolled: 6-line block ×5, first 2 shown]
	v_cmp_eq_u32_e32 vcc_lo, 0, v0
	s_and_b32 s4, s4, vcc_lo
	s_and_b32 s0, s0, s3
	v_cndmask_b32_e64 v0, v0, 43, s4
	v_cmp_eq_u32_e32 vcc_lo, 0, v0
	s_and_b32 s0, s0, vcc_lo
	v_cndmask_b32_e64 v0, v0, 44, s0
	s_and_b32 s0, s1, s2
	v_cmp_eq_u32_e32 vcc_lo, 0, v0
	s_and_b32 s0, s0, vcc_lo
	v_cmp_eq_u32_e32 vcc_lo, 0, v217
	v_cndmask_b32_e64 v0, v0, 45, s0
	v_cmp_ne_u32_e64 s0, 0, v0
	s_and_b32 s0, vcc_lo, s0
	s_and_b32 exec_lo, exec_lo, s0
	s_cbranch_execz .LBB89_409
; %bb.408:
	v_add_nc_u32_e32 v0, s13, v0
	global_store_dword v[253:254], v0, off
.LBB89_409:
	s_or_b32 exec_lo, exec_lo, s7
	s_clause 0x5
	buffer_load_dword v173, off, s[16:19], 0 offset:224
	buffer_load_dword v174, off, s[16:19], 0 offset:228
	;; [unrolled: 1-line block ×6, first 2 shown]
	s_waitcnt vmcnt(0)
	global_store_dwordx4 v[173:174], v[181:184], off
	s_clause 0x5
	buffer_load_dword v173, off, s[16:19], 0 offset:232
	buffer_load_dword v174, off, s[16:19], 0 offset:236
	buffer_load_dword v181, off, s[16:19], 0
	buffer_load_dword v182, off, s[16:19], 0 offset:4
	buffer_load_dword v183, off, s[16:19], 0 offset:8
	;; [unrolled: 1-line block ×3, first 2 shown]
	s_waitcnt vmcnt(0)
	global_store_dwordx4 v[173:174], v[181:184], off
	s_clause 0x1
	buffer_load_dword v161, off, s[16:19], 0 offset:824
	buffer_load_dword v162, off, s[16:19], 0 offset:828
	s_waitcnt vmcnt(0)
	global_store_dwordx4 v[161:162], v[169:172], off
	s_clause 0x1
	buffer_load_dword v169, off, s[16:19], 0 offset:264
	buffer_load_dword v170, off, s[16:19], 0 offset:268
	;; [unrolled: 5-line block ×4, first 2 shown]
	s_waitcnt vmcnt(0)
	global_store_dwordx4 v[161:162], v[157:160], off
	global_store_dwordx4 v[231:232], v[153:156], off
	global_store_dwordx4 v[229:230], v[149:152], off
	global_store_dwordx4 v[235:236], v[145:148], off
	global_store_dwordx4 v[233:234], v[141:144], off
	global_store_dwordx4 v[239:240], v[137:140], off
	global_store_dwordx4 v[237:238], v[133:136], off
	global_store_dwordx4 v[243:244], v[129:132], off
	global_store_dwordx4 v[241:242], v[125:128], off
	global_store_dwordx4 v[247:248], v[121:124], off
	global_store_dwordx4 v[245:246], v[117:120], off
	global_store_dwordx4 v[251:252], v[113:116], off
	global_store_dwordx4 v[249:250], v[109:112], off
	s_clause 0x1
	buffer_load_dword v109, off, s[16:19], 0 offset:32
	buffer_load_dword v110, off, s[16:19], 0 offset:36
	s_waitcnt vmcnt(0)
	global_store_dwordx4 v[109:110], v[105:108], off
	global_store_dwordx4 v[219:220], v[101:104], off
	global_store_dwordx4 v[179:180], v[97:100], off
	global_store_dwordx4 v[175:176], v[93:96], off
	s_clause 0x1
	buffer_load_dword v93, off, s[16:19], 0 offset:40
	buffer_load_dword v94, off, s[16:19], 0 offset:44
	s_waitcnt vmcnt(0)
	global_store_dwordx4 v[93:94], v[89:92], off
	s_clause 0x1
	buffer_load_dword v89, off, s[16:19], 0 offset:48
	buffer_load_dword v90, off, s[16:19], 0 offset:52
	s_waitcnt vmcnt(0)
	global_store_dwordx4 v[89:90], v[85:88], off
	;; [unrolled: 5-line block ×23, first 2 shown]
.LBB89_410:
	s_endpgm
	.section	.rodata,"a",@progbits
	.p2align	6, 0x0
	.amdhsa_kernel _ZN9rocsolver6v33100L23getf2_npvt_small_kernelILi45E19rocblas_complex_numIdEiiPS3_EEvT1_T3_lS5_lPT2_S5_S5_
		.amdhsa_group_segment_fixed_size 0
		.amdhsa_private_segment_fixed_size 844
		.amdhsa_kernarg_size 312
		.amdhsa_user_sgpr_count 6
		.amdhsa_user_sgpr_private_segment_buffer 1
		.amdhsa_user_sgpr_dispatch_ptr 0
		.amdhsa_user_sgpr_queue_ptr 0
		.amdhsa_user_sgpr_kernarg_segment_ptr 1
		.amdhsa_user_sgpr_dispatch_id 0
		.amdhsa_user_sgpr_flat_scratch_init 0
		.amdhsa_user_sgpr_private_segment_size 0
		.amdhsa_wavefront_size32 1
		.amdhsa_uses_dynamic_stack 0
		.amdhsa_system_sgpr_private_segment_wavefront_offset 1
		.amdhsa_system_sgpr_workgroup_id_x 1
		.amdhsa_system_sgpr_workgroup_id_y 1
		.amdhsa_system_sgpr_workgroup_id_z 0
		.amdhsa_system_sgpr_workgroup_info 0
		.amdhsa_system_vgpr_workitem_id 1
		.amdhsa_next_free_vgpr 256
		.amdhsa_next_free_sgpr 20
		.amdhsa_reserve_vcc 1
		.amdhsa_reserve_flat_scratch 0
		.amdhsa_float_round_mode_32 0
		.amdhsa_float_round_mode_16_64 0
		.amdhsa_float_denorm_mode_32 3
		.amdhsa_float_denorm_mode_16_64 3
		.amdhsa_dx10_clamp 1
		.amdhsa_ieee_mode 1
		.amdhsa_fp16_overflow 0
		.amdhsa_workgroup_processor_mode 1
		.amdhsa_memory_ordered 1
		.amdhsa_forward_progress 1
		.amdhsa_shared_vgpr_count 0
		.amdhsa_exception_fp_ieee_invalid_op 0
		.amdhsa_exception_fp_denorm_src 0
		.amdhsa_exception_fp_ieee_div_zero 0
		.amdhsa_exception_fp_ieee_overflow 0
		.amdhsa_exception_fp_ieee_underflow 0
		.amdhsa_exception_fp_ieee_inexact 0
		.amdhsa_exception_int_div_zero 0
	.end_amdhsa_kernel
	.section	.text._ZN9rocsolver6v33100L23getf2_npvt_small_kernelILi45E19rocblas_complex_numIdEiiPS3_EEvT1_T3_lS5_lPT2_S5_S5_,"axG",@progbits,_ZN9rocsolver6v33100L23getf2_npvt_small_kernelILi45E19rocblas_complex_numIdEiiPS3_EEvT1_T3_lS5_lPT2_S5_S5_,comdat
.Lfunc_end89:
	.size	_ZN9rocsolver6v33100L23getf2_npvt_small_kernelILi45E19rocblas_complex_numIdEiiPS3_EEvT1_T3_lS5_lPT2_S5_S5_, .Lfunc_end89-_ZN9rocsolver6v33100L23getf2_npvt_small_kernelILi45E19rocblas_complex_numIdEiiPS3_EEvT1_T3_lS5_lPT2_S5_S5_
                                        ; -- End function
	.set _ZN9rocsolver6v33100L23getf2_npvt_small_kernelILi45E19rocblas_complex_numIdEiiPS3_EEvT1_T3_lS5_lPT2_S5_S5_.num_vgpr, 256
	.set _ZN9rocsolver6v33100L23getf2_npvt_small_kernelILi45E19rocblas_complex_numIdEiiPS3_EEvT1_T3_lS5_lPT2_S5_S5_.num_agpr, 0
	.set _ZN9rocsolver6v33100L23getf2_npvt_small_kernelILi45E19rocblas_complex_numIdEiiPS3_EEvT1_T3_lS5_lPT2_S5_S5_.numbered_sgpr, 20
	.set _ZN9rocsolver6v33100L23getf2_npvt_small_kernelILi45E19rocblas_complex_numIdEiiPS3_EEvT1_T3_lS5_lPT2_S5_S5_.num_named_barrier, 0
	.set _ZN9rocsolver6v33100L23getf2_npvt_small_kernelILi45E19rocblas_complex_numIdEiiPS3_EEvT1_T3_lS5_lPT2_S5_S5_.private_seg_size, 844
	.set _ZN9rocsolver6v33100L23getf2_npvt_small_kernelILi45E19rocblas_complex_numIdEiiPS3_EEvT1_T3_lS5_lPT2_S5_S5_.uses_vcc, 1
	.set _ZN9rocsolver6v33100L23getf2_npvt_small_kernelILi45E19rocblas_complex_numIdEiiPS3_EEvT1_T3_lS5_lPT2_S5_S5_.uses_flat_scratch, 0
	.set _ZN9rocsolver6v33100L23getf2_npvt_small_kernelILi45E19rocblas_complex_numIdEiiPS3_EEvT1_T3_lS5_lPT2_S5_S5_.has_dyn_sized_stack, 0
	.set _ZN9rocsolver6v33100L23getf2_npvt_small_kernelILi45E19rocblas_complex_numIdEiiPS3_EEvT1_T3_lS5_lPT2_S5_S5_.has_recursion, 0
	.set _ZN9rocsolver6v33100L23getf2_npvt_small_kernelILi45E19rocblas_complex_numIdEiiPS3_EEvT1_T3_lS5_lPT2_S5_S5_.has_indirect_call, 0
	.section	.AMDGPU.csdata,"",@progbits
; Kernel info:
; codeLenInByte = 103920
; TotalNumSgprs: 22
; NumVgprs: 256
; ScratchSize: 844
; MemoryBound: 1
; FloatMode: 240
; IeeeMode: 1
; LDSByteSize: 0 bytes/workgroup (compile time only)
; SGPRBlocks: 0
; VGPRBlocks: 31
; NumSGPRsForWavesPerEU: 22
; NumVGPRsForWavesPerEU: 256
; Occupancy: 4
; WaveLimiterHint : 0
; COMPUTE_PGM_RSRC2:SCRATCH_EN: 1
; COMPUTE_PGM_RSRC2:USER_SGPR: 6
; COMPUTE_PGM_RSRC2:TRAP_HANDLER: 0
; COMPUTE_PGM_RSRC2:TGID_X_EN: 1
; COMPUTE_PGM_RSRC2:TGID_Y_EN: 1
; COMPUTE_PGM_RSRC2:TGID_Z_EN: 0
; COMPUTE_PGM_RSRC2:TIDIG_COMP_CNT: 1
	.section	.text._ZN9rocsolver6v33100L18getf2_small_kernelILi46E19rocblas_complex_numIdEiiPS3_EEvT1_T3_lS5_lPS5_llPT2_S5_S5_S7_l,"axG",@progbits,_ZN9rocsolver6v33100L18getf2_small_kernelILi46E19rocblas_complex_numIdEiiPS3_EEvT1_T3_lS5_lPS5_llPT2_S5_S5_S7_l,comdat
	.globl	_ZN9rocsolver6v33100L18getf2_small_kernelILi46E19rocblas_complex_numIdEiiPS3_EEvT1_T3_lS5_lPS5_llPT2_S5_S5_S7_l ; -- Begin function _ZN9rocsolver6v33100L18getf2_small_kernelILi46E19rocblas_complex_numIdEiiPS3_EEvT1_T3_lS5_lPS5_llPT2_S5_S5_S7_l
	.p2align	8
	.type	_ZN9rocsolver6v33100L18getf2_small_kernelILi46E19rocblas_complex_numIdEiiPS3_EEvT1_T3_lS5_lPS5_llPT2_S5_S5_S7_l,@function
_ZN9rocsolver6v33100L18getf2_small_kernelILi46E19rocblas_complex_numIdEiiPS3_EEvT1_T3_lS5_lPS5_llPT2_S5_S5_S7_l: ; @_ZN9rocsolver6v33100L18getf2_small_kernelILi46E19rocblas_complex_numIdEiiPS3_EEvT1_T3_lS5_lPS5_llPT2_S5_S5_S7_l
; %bb.0:
	s_clause 0x1
	s_load_dword s0, s[4:5], 0x6c
	s_load_dwordx2 s[16:17], s[4:5], 0x48
	s_waitcnt lgkmcnt(0)
	s_lshr_b32 s0, s0, 16
	v_mad_u64_u32 v[190:191], null, s7, s0, v[1:2]
	s_mov_b32 s0, exec_lo
	v_cmpx_gt_i32_e64 s16, v190
	s_cbranch_execz .LBB90_969
; %bb.1:
	s_load_dwordx4 s[0:3], s[4:5], 0x50
	v_mov_b32_e32 v192, 0
	v_ashrrev_i32_e32 v191, 31, v190
	v_mov_b32_e32 v193, 0
	s_waitcnt lgkmcnt(0)
	s_cmp_eq_u64 s[0:1], 0
	s_cselect_b32 s16, -1, 0
	s_and_b32 vcc_lo, exec_lo, s16
	s_cbranch_vccnz .LBB90_3
; %bb.2:
	v_mul_lo_u32 v4, s3, v190
	v_mul_lo_u32 v5, s2, v191
	v_mad_u64_u32 v[2:3], null, s2, v190, 0
	v_add3_u32 v3, v3, v5, v4
	v_lshlrev_b64 v[2:3], 2, v[2:3]
	v_add_co_u32 v192, vcc_lo, s0, v2
	v_add_co_ci_u32_e64 v193, null, s1, v3, vcc_lo
.LBB90_3:
	s_clause 0x2
	s_load_dwordx8 s[8:15], s[4:5], 0x20
	s_load_dword s6, s[4:5], 0x18
	s_load_dwordx4 s[0:3], s[4:5], 0x8
	v_lshlrev_b32_e32 v196, 4, v0
	s_waitcnt lgkmcnt(0)
	v_mul_lo_u32 v3, s9, v190
	v_mul_lo_u32 v7, s8, v191
	v_mad_u64_u32 v[4:5], null, s8, v190, 0
	v_add3_u32 v2, s6, s6, v0
	s_lshl_b64 s[8:9], s[2:3], 4
	s_ashr_i32 s7, s6, 31
	s_lshl_b64 s[2:3], s[6:7], 4
	v_add_nc_u32_e32 v6, s6, v2
	v_add3_u32 v5, v5, v7, v3
	v_ashrrev_i32_e32 v3, 31, v2
	v_add_nc_u32_e32 v8, s6, v6
	v_lshlrev_b64 v[4:5], 4, v[4:5]
	v_ashrrev_i32_e32 v7, 31, v6
	v_lshlrev_b64 v[2:3], 4, v[2:3]
	v_ashrrev_i32_e32 v9, 31, v8
	v_add_nc_u32_e32 v10, s6, v8
	v_add_co_u32 v12, vcc_lo, s0, v4
	v_add_co_ci_u32_e64 v13, null, s1, v5, vcc_lo
	v_lshlrev_b64 v[4:5], 4, v[8:9]
	v_add_nc_u32_e32 v8, s6, v10
	v_add_co_u32 v197, vcc_lo, v12, s8
	v_ashrrev_i32_e32 v11, 31, v10
	v_add_co_ci_u32_e64 v198, null, s9, v13, vcc_lo
	v_add_nc_u32_e32 v12, s6, v8
	v_lshlrev_b64 v[6:7], 4, v[6:7]
	v_add_co_u32 v14, vcc_lo, v197, v196
	v_ashrrev_i32_e32 v9, 31, v8
	v_add_nc_u32_e32 v16, s6, v12
	v_lshlrev_b64 v[10:11], 4, v[10:11]
	v_add_co_ci_u32_e64 v15, null, 0, v198, vcc_lo
	v_add_co_u32 v2, vcc_lo, v197, v2
	v_ashrrev_i32_e32 v13, 31, v12
	v_add_co_ci_u32_e64 v3, null, v198, v3, vcc_lo
	v_add_co_u32 v6, vcc_lo, v197, v6
	v_add_nc_u32_e32 v18, s6, v16
	v_add_co_ci_u32_e64 v7, null, v198, v7, vcc_lo
	v_lshlrev_b64 v[8:9], 4, v[8:9]
	v_add_co_u32 v4, vcc_lo, v197, v4
	v_add_co_ci_u32_e64 v5, null, v198, v5, vcc_lo
	v_add_co_u32 v10, vcc_lo, v197, v10
	v_lshlrev_b64 v[12:13], 4, v[12:13]
	v_add_co_ci_u32_e64 v11, null, v198, v11, vcc_lo
	v_ashrrev_i32_e32 v17, 31, v16
	v_add_co_u32 v20, vcc_lo, v14, s2
	s_clause 0x1
	global_load_dwordx4 v[174:177], v[2:3], off
	global_load_dwordx4 v[170:173], v[6:7], off
	v_add_nc_u32_e32 v6, s6, v18
	v_add_co_ci_u32_e64 v21, null, s3, v15, vcc_lo
	v_add_co_u32 v2, vcc_lo, v197, v8
	v_ashrrev_i32_e32 v19, 31, v18
	v_add_co_ci_u32_e64 v3, null, v198, v9, vcc_lo
	v_add_co_u32 v8, vcc_lo, v197, v12
	s_clause 0x1
	global_load_dwordx4 v[166:169], v[4:5], off
	global_load_dwordx4 v[162:165], v[10:11], off
	v_lshlrev_b64 v[4:5], 4, v[16:17]
	v_ashrrev_i32_e32 v7, 31, v6
	v_add_nc_u32_e32 v12, s6, v6
	v_add_co_ci_u32_e64 v9, null, v198, v13, vcc_lo
	v_lshlrev_b64 v[10:11], 4, v[18:19]
	s_clause 0x3
	global_load_dwordx4 v[182:185], v[14:15], off
	global_load_dwordx4 v[178:181], v[20:21], off
	;; [unrolled: 1-line block ×4, first 2 shown]
	v_lshlrev_b64 v[2:3], 4, v[6:7]
	v_ashrrev_i32_e32 v13, 31, v12
	v_add_nc_u32_e32 v6, s6, v12
	v_add_co_u32 v4, vcc_lo, v197, v4
	v_add_co_ci_u32_e64 v5, null, v198, v5, vcc_lo
	v_add_co_u32 v8, vcc_lo, v197, v10
	v_add_co_ci_u32_e64 v9, null, v198, v11, vcc_lo
	v_lshlrev_b64 v[10:11], 4, v[12:13]
	v_ashrrev_i32_e32 v7, 31, v6
	v_add_nc_u32_e32 v12, s6, v6
	s_clause 0x1
	global_load_dwordx4 v[158:161], v[4:5], off
	global_load_dwordx4 v[142:145], v[8:9], off
	v_add_co_u32 v2, vcc_lo, v197, v2
	v_lshlrev_b64 v[4:5], 4, v[6:7]
	v_ashrrev_i32_e32 v13, 31, v12
	v_add_nc_u32_e32 v6, s6, v12
	v_add_co_ci_u32_e64 v3, null, v198, v3, vcc_lo
	v_add_co_u32 v8, vcc_lo, v197, v10
	v_add_co_ci_u32_e64 v9, null, v198, v11, vcc_lo
	v_lshlrev_b64 v[10:11], 4, v[12:13]
	v_ashrrev_i32_e32 v7, 31, v6
	v_add_nc_u32_e32 v12, s6, v6
	s_clause 0x1
	global_load_dwordx4 v[146:149], v[2:3], off
	global_load_dwordx4 v[130:133], v[8:9], off
	v_add_co_u32 v4, vcc_lo, v197, v4
	v_lshlrev_b64 v[2:3], 4, v[6:7]
	v_ashrrev_i32_e32 v13, 31, v12
	v_add_nc_u32_e32 v6, s6, v12
	;; [unrolled: 13-line block ×12, first 2 shown]
	v_add_co_ci_u32_e64 v5, null, v198, v5, vcc_lo
	v_add_co_u32 v8, vcc_lo, v197, v10
	v_add_co_ci_u32_e64 v9, null, v198, v11, vcc_lo
	v_lshlrev_b64 v[10:11], 4, v[12:13]
	v_add_nc_u32_e32 v12, s6, v6
	v_ashrrev_i32_e32 v7, 31, v6
	v_add_co_u32 v2, vcc_lo, v197, v2
	v_add_co_ci_u32_e64 v3, null, v198, v3, vcc_lo
	v_add_nc_u32_e32 v14, s6, v12
	v_ashrrev_i32_e32 v13, 31, v12
	v_lshlrev_b64 v[6:7], 4, v[6:7]
	v_add_co_u32 v10, vcc_lo, v197, v10
	v_add_nc_u32_e32 v16, s6, v14
	v_ashrrev_i32_e32 v15, 31, v14
	v_lshlrev_b64 v[12:13], 4, v[12:13]
	v_add_co_ci_u32_e64 v11, null, v198, v11, vcc_lo
	v_add_nc_u32_e32 v18, s6, v16
	v_ashrrev_i32_e32 v17, 31, v16
	v_lshlrev_b64 v[14:15], 4, v[14:15]
	v_add_co_u32 v6, vcc_lo, v197, v6
	v_add_nc_u32_e32 v20, s6, v18
	v_ashrrev_i32_e32 v19, 31, v18
	v_lshlrev_b64 v[16:17], 4, v[16:17]
	v_add_co_ci_u32_e64 v7, null, v198, v7, vcc_lo
	v_add_nc_u32_e32 v22, s6, v20
	v_ashrrev_i32_e32 v21, 31, v20
	v_add_co_u32 v12, vcc_lo, v197, v12
	v_lshlrev_b64 v[18:19], 4, v[18:19]
	v_add_nc_u32_e32 v24, s6, v22
	v_ashrrev_i32_e32 v23, 31, v22
	v_add_co_ci_u32_e64 v13, null, v198, v13, vcc_lo
	v_add_co_u32 v14, vcc_lo, v197, v14
	v_add_nc_u32_e32 v26, s6, v24
	v_ashrrev_i32_e32 v25, 31, v24
	v_lshlrev_b64 v[20:21], 4, v[20:21]
	v_add_co_ci_u32_e64 v15, null, v198, v15, vcc_lo
	v_add_co_u32 v16, vcc_lo, v197, v16
	v_lshlrev_b64 v[22:23], 4, v[22:23]
	v_add_nc_u32_e32 v28, s6, v26
	v_add_co_ci_u32_e64 v17, null, v198, v17, vcc_lo
	v_add_co_u32 v18, vcc_lo, v197, v18
	v_lshlrev_b64 v[24:25], 4, v[24:25]
	v_ashrrev_i32_e32 v27, 31, v26
	v_add_co_ci_u32_e64 v19, null, v198, v19, vcc_lo
	v_add_co_u32 v20, vcc_lo, v197, v20
	v_ashrrev_i32_e32 v29, 31, v28
	v_add_co_ci_u32_e64 v21, null, v198, v21, vcc_lo
	v_add_co_u32 v186, vcc_lo, v197, v22
	v_add_co_ci_u32_e64 v187, null, v198, v23, vcc_lo
	v_lshlrev_b64 v[22:23], 4, v[26:27]
	v_add_co_u32 v188, vcc_lo, v197, v24
	v_add_co_ci_u32_e64 v189, null, v198, v25, vcc_lo
	v_lshlrev_b64 v[24:25], 4, v[28:29]
	v_add_co_u32 v194, vcc_lo, v197, v22
	v_add_co_ci_u32_e64 v195, null, v198, v23, vcc_lo
	s_load_dword s1, s[4:5], 0x0
	v_add_co_u32 v199, vcc_lo, v197, v24
	v_add_co_ci_u32_e64 v200, null, v198, v25, vcc_lo
	s_clause 0xd
	global_load_dwordx4 v[62:65], v[4:5], off
	global_load_dwordx4 v[66:69], v[8:9], off
	;; [unrolled: 1-line block ×14, first 2 shown]
	s_load_dwordx2 s[4:5], s[4:5], 0x40
	s_waitcnt lgkmcnt(0)
	s_max_i32 s0, s1, 46
	s_cmp_lt_i32 s1, 2
	v_mul_lo_u32 v194, s0, v1
	v_lshl_add_u32 v1, v194, 4, 0
	v_add_nc_u32_e32 v186, v1, v196
	v_lshlrev_b32_e32 v196, 4, v194
	v_mov_b32_e32 v194, 0
	s_waitcnt vmcnt(41)
	ds_write2_b64 v186, v[182:183], v[184:185] offset1:1
	s_waitcnt vmcnt(0) lgkmcnt(0)
	s_barrier
	buffer_gl0_inv
	ds_read2_b64 v[186:189], v1 offset1:1
	s_cbranch_scc1 .LBB90_6
; %bb.4:
	v_add3_u32 v195, v196, 0, 16
	v_mov_b32_e32 v194, 0
	s_mov_b32 s7, 1
	s_inst_prefetch 0x1
	.p2align	6
.LBB90_5:                               ; =>This Inner Loop Header: Depth=1
	s_waitcnt lgkmcnt(0)
	v_cmp_gt_f64_e32 vcc_lo, 0, v[188:189]
	v_cmp_gt_f64_e64 s0, 0, v[186:187]
	ds_read2_b64 v[199:202], v195 offset1:1
	v_xor_b32_e32 v204, 0x80000000, v187
	v_xor_b32_e32 v206, 0x80000000, v189
	v_mov_b32_e32 v203, v186
	v_mov_b32_e32 v205, v188
	v_add_nc_u32_e32 v195, 16, v195
	s_waitcnt lgkmcnt(0)
	v_xor_b32_e32 v208, 0x80000000, v202
	v_cndmask_b32_e64 v204, v187, v204, s0
	v_cndmask_b32_e32 v206, v189, v206, vcc_lo
	v_cmp_gt_f64_e32 vcc_lo, 0, v[201:202]
	v_cmp_gt_f64_e64 s0, 0, v[199:200]
	v_mov_b32_e32 v207, v201
	v_add_f64 v[203:204], v[203:204], v[205:206]
	v_xor_b32_e32 v206, 0x80000000, v200
	v_mov_b32_e32 v205, v199
	v_cndmask_b32_e32 v208, v202, v208, vcc_lo
	v_cndmask_b32_e64 v206, v200, v206, s0
	v_add_f64 v[205:206], v[205:206], v[207:208]
	v_cmp_lt_f64_e32 vcc_lo, v[203:204], v[205:206]
	v_cndmask_b32_e32 v187, v187, v200, vcc_lo
	v_cndmask_b32_e32 v186, v186, v199, vcc_lo
	;; [unrolled: 1-line block ×4, first 2 shown]
	v_cndmask_b32_e64 v194, v194, s7, vcc_lo
	s_add_i32 s7, s7, 1
	s_cmp_eq_u32 s1, s7
	s_cbranch_scc0 .LBB90_5
.LBB90_6:
	s_inst_prefetch 0x2
	s_waitcnt lgkmcnt(0)
	v_cmp_neq_f64_e32 vcc_lo, 0, v[186:187]
	v_cmp_neq_f64_e64 s0, 0, v[188:189]
	v_mov_b32_e32 v199, 1
	v_mov_b32_e32 v201, 1
	s_or_b32 s7, vcc_lo, s0
	s_and_saveexec_b32 s0, s7
	s_cbranch_execz .LBB90_12
; %bb.7:
	v_cmp_ngt_f64_e64 s7, |v[186:187]|, |v[188:189]|
	s_and_saveexec_b32 s8, s7
	s_xor_b32 s7, exec_lo, s8
	s_cbranch_execz .LBB90_9
; %bb.8:
	v_div_scale_f64 v[199:200], null, v[188:189], v[188:189], v[186:187]
	v_div_scale_f64 v[205:206], vcc_lo, v[186:187], v[188:189], v[186:187]
	v_rcp_f64_e32 v[201:202], v[199:200]
	v_fma_f64 v[203:204], -v[199:200], v[201:202], 1.0
	v_fma_f64 v[201:202], v[201:202], v[203:204], v[201:202]
	v_fma_f64 v[203:204], -v[199:200], v[201:202], 1.0
	v_fma_f64 v[201:202], v[201:202], v[203:204], v[201:202]
	v_mul_f64 v[203:204], v[205:206], v[201:202]
	v_fma_f64 v[199:200], -v[199:200], v[203:204], v[205:206]
	v_div_fmas_f64 v[199:200], v[199:200], v[201:202], v[203:204]
	v_div_fixup_f64 v[199:200], v[199:200], v[188:189], v[186:187]
	v_fma_f64 v[186:187], v[186:187], v[199:200], v[188:189]
	v_div_scale_f64 v[188:189], null, v[186:187], v[186:187], 1.0
	v_rcp_f64_e32 v[201:202], v[188:189]
	v_fma_f64 v[203:204], -v[188:189], v[201:202], 1.0
	v_fma_f64 v[201:202], v[201:202], v[203:204], v[201:202]
	v_fma_f64 v[203:204], -v[188:189], v[201:202], 1.0
	v_fma_f64 v[201:202], v[201:202], v[203:204], v[201:202]
	v_div_scale_f64 v[203:204], vcc_lo, 1.0, v[186:187], 1.0
	v_mul_f64 v[205:206], v[203:204], v[201:202]
	v_fma_f64 v[188:189], -v[188:189], v[205:206], v[203:204]
	v_div_fmas_f64 v[188:189], v[188:189], v[201:202], v[205:206]
	v_div_fixup_f64 v[188:189], v[188:189], v[186:187], 1.0
	v_mul_f64 v[186:187], v[199:200], v[188:189]
	v_xor_b32_e32 v189, 0x80000000, v189
.LBB90_9:
	s_andn2_saveexec_b32 s7, s7
	s_cbranch_execz .LBB90_11
; %bb.10:
	v_div_scale_f64 v[199:200], null, v[186:187], v[186:187], v[188:189]
	v_div_scale_f64 v[205:206], vcc_lo, v[188:189], v[186:187], v[188:189]
	v_rcp_f64_e32 v[201:202], v[199:200]
	v_fma_f64 v[203:204], -v[199:200], v[201:202], 1.0
	v_fma_f64 v[201:202], v[201:202], v[203:204], v[201:202]
	v_fma_f64 v[203:204], -v[199:200], v[201:202], 1.0
	v_fma_f64 v[201:202], v[201:202], v[203:204], v[201:202]
	v_mul_f64 v[203:204], v[205:206], v[201:202]
	v_fma_f64 v[199:200], -v[199:200], v[203:204], v[205:206]
	v_div_fmas_f64 v[199:200], v[199:200], v[201:202], v[203:204]
	v_div_fixup_f64 v[199:200], v[199:200], v[186:187], v[188:189]
	v_fma_f64 v[186:187], v[188:189], v[199:200], v[186:187]
	v_div_scale_f64 v[188:189], null, v[186:187], v[186:187], 1.0
	v_rcp_f64_e32 v[201:202], v[188:189]
	v_fma_f64 v[203:204], -v[188:189], v[201:202], 1.0
	v_fma_f64 v[201:202], v[201:202], v[203:204], v[201:202]
	v_fma_f64 v[203:204], -v[188:189], v[201:202], 1.0
	v_fma_f64 v[201:202], v[201:202], v[203:204], v[201:202]
	v_div_scale_f64 v[203:204], vcc_lo, 1.0, v[186:187], 1.0
	v_mul_f64 v[205:206], v[203:204], v[201:202]
	v_fma_f64 v[188:189], -v[188:189], v[205:206], v[203:204]
	v_div_fmas_f64 v[188:189], v[188:189], v[201:202], v[205:206]
	v_div_fixup_f64 v[186:187], v[188:189], v[186:187], 1.0
	v_mul_f64 v[188:189], v[199:200], -v[186:187]
.LBB90_11:
	s_or_b32 exec_lo, exec_lo, s7
	v_mov_b32_e32 v201, 0
	v_mov_b32_e32 v199, 2
.LBB90_12:
	s_or_b32 exec_lo, exec_lo, s0
	s_mov_b32 s0, exec_lo
	v_cmpx_ne_u32_e64 v0, v194
	s_xor_b32 s0, exec_lo, s0
	s_cbranch_execz .LBB90_18
; %bb.13:
	s_mov_b32 s7, exec_lo
	v_cmpx_eq_u32_e32 0, v0
	s_cbranch_execz .LBB90_17
; %bb.14:
	v_cmp_ne_u32_e32 vcc_lo, 0, v194
	s_xor_b32 s8, s16, -1
	s_and_b32 s9, s8, vcc_lo
	s_and_saveexec_b32 s8, s9
	s_cbranch_execz .LBB90_16
; %bb.15:
	v_ashrrev_i32_e32 v195, 31, v194
	v_lshlrev_b64 v[202:203], 2, v[194:195]
	v_add_co_u32 v202, vcc_lo, v192, v202
	v_add_co_ci_u32_e64 v203, null, v193, v203, vcc_lo
	s_clause 0x1
	global_load_dword v0, v[202:203], off
	global_load_dword v195, v[192:193], off
	s_waitcnt vmcnt(1)
	global_store_dword v[192:193], v0, off
	s_waitcnt vmcnt(0)
	global_store_dword v[202:203], v195, off
.LBB90_16:
	s_or_b32 exec_lo, exec_lo, s8
	v_mov_b32_e32 v0, v194
.LBB90_17:
	s_or_b32 exec_lo, exec_lo, s7
.LBB90_18:
	s_or_saveexec_b32 s0, s0
	v_mov_b32_e32 v200, v0
	s_xor_b32 exec_lo, exec_lo, s0
	s_cbranch_execz .LBB90_20
; %bb.19:
	v_mov_b32_e32 v200, 0
	ds_write2_b64 v1, v[178:179], v[180:181] offset0:2 offset1:3
	ds_write2_b64 v1, v[174:175], v[176:177] offset0:4 offset1:5
	;; [unrolled: 1-line block ×45, first 2 shown]
.LBB90_20:
	s_or_b32 exec_lo, exec_lo, s0
	s_mov_b32 s0, exec_lo
	s_waitcnt lgkmcnt(0)
	s_waitcnt_vscnt null, 0x0
	s_barrier
	buffer_gl0_inv
	v_cmpx_lt_i32_e32 0, v200
	s_cbranch_execz .LBB90_22
; %bb.21:
	v_mul_f64 v[194:195], v[188:189], v[184:185]
	v_mul_f64 v[184:185], v[186:187], v[184:185]
	v_fma_f64 v[194:195], v[186:187], v[182:183], -v[194:195]
	v_fma_f64 v[184:185], v[188:189], v[182:183], v[184:185]
	ds_read2_b64 v[186:189], v1 offset0:2 offset1:3
	s_waitcnt lgkmcnt(0)
	v_mul_f64 v[182:183], v[188:189], v[184:185]
	v_fma_f64 v[182:183], v[186:187], v[194:195], -v[182:183]
	v_mul_f64 v[186:187], v[186:187], v[184:185]
	v_add_f64 v[178:179], v[178:179], -v[182:183]
	v_fma_f64 v[186:187], v[188:189], v[194:195], v[186:187]
	v_add_f64 v[180:181], v[180:181], -v[186:187]
	ds_read2_b64 v[186:189], v1 offset0:4 offset1:5
	s_waitcnt lgkmcnt(0)
	v_mul_f64 v[182:183], v[188:189], v[184:185]
	v_fma_f64 v[182:183], v[186:187], v[194:195], -v[182:183]
	v_mul_f64 v[186:187], v[186:187], v[184:185]
	v_add_f64 v[174:175], v[174:175], -v[182:183]
	v_fma_f64 v[186:187], v[188:189], v[194:195], v[186:187]
	v_add_f64 v[176:177], v[176:177], -v[186:187]
	;; [unrolled: 8-line block ×44, first 2 shown]
	ds_read2_b64 v[186:189], v1 offset0:90 offset1:91
	s_waitcnt lgkmcnt(0)
	v_mul_f64 v[182:183], v[188:189], v[184:185]
	v_fma_f64 v[182:183], v[186:187], v[194:195], -v[182:183]
	v_mul_f64 v[186:187], v[186:187], v[184:185]
	v_add_f64 v[2:3], v[2:3], -v[182:183]
	v_fma_f64 v[186:187], v[188:189], v[194:195], v[186:187]
	v_mov_b32_e32 v182, v194
	v_mov_b32_e32 v183, v195
	v_add_f64 v[4:5], v[4:5], -v[186:187]
.LBB90_22:
	s_or_b32 exec_lo, exec_lo, s0
	v_lshl_add_u32 v186, v200, 4, v1
	s_barrier
	buffer_gl0_inv
	v_mov_b32_e32 v194, 1
	ds_write2_b64 v186, v[178:179], v[180:181] offset1:1
	s_waitcnt lgkmcnt(0)
	s_barrier
	buffer_gl0_inv
	ds_read2_b64 v[186:189], v1 offset0:2 offset1:3
	s_cmp_lt_i32 s1, 3
	s_cbranch_scc1 .LBB90_25
; %bb.23:
	v_add3_u32 v195, v196, 0, 32
	v_mov_b32_e32 v194, 1
	s_mov_b32 s7, 2
	s_inst_prefetch 0x1
	.p2align	6
.LBB90_24:                              ; =>This Inner Loop Header: Depth=1
	s_waitcnt lgkmcnt(0)
	v_cmp_gt_f64_e32 vcc_lo, 0, v[188:189]
	v_cmp_gt_f64_e64 s0, 0, v[186:187]
	ds_read2_b64 v[202:205], v195 offset1:1
	v_xor_b32_e32 v207, 0x80000000, v187
	v_xor_b32_e32 v209, 0x80000000, v189
	v_mov_b32_e32 v206, v186
	v_mov_b32_e32 v208, v188
	v_add_nc_u32_e32 v195, 16, v195
	s_waitcnt lgkmcnt(0)
	v_xor_b32_e32 v211, 0x80000000, v205
	v_cndmask_b32_e64 v207, v187, v207, s0
	v_cndmask_b32_e32 v209, v189, v209, vcc_lo
	v_cmp_gt_f64_e32 vcc_lo, 0, v[204:205]
	v_cmp_gt_f64_e64 s0, 0, v[202:203]
	v_mov_b32_e32 v210, v204
	v_add_f64 v[206:207], v[206:207], v[208:209]
	v_xor_b32_e32 v209, 0x80000000, v203
	v_mov_b32_e32 v208, v202
	v_cndmask_b32_e32 v211, v205, v211, vcc_lo
	v_cndmask_b32_e64 v209, v203, v209, s0
	v_add_f64 v[208:209], v[208:209], v[210:211]
	v_cmp_lt_f64_e32 vcc_lo, v[206:207], v[208:209]
	v_cndmask_b32_e32 v187, v187, v203, vcc_lo
	v_cndmask_b32_e32 v186, v186, v202, vcc_lo
	;; [unrolled: 1-line block ×4, first 2 shown]
	v_cndmask_b32_e64 v194, v194, s7, vcc_lo
	s_add_i32 s7, s7, 1
	s_cmp_lg_u32 s1, s7
	s_cbranch_scc1 .LBB90_24
.LBB90_25:
	s_inst_prefetch 0x2
	s_waitcnt lgkmcnt(0)
	v_cmp_neq_f64_e32 vcc_lo, 0, v[186:187]
	v_cmp_neq_f64_e64 s0, 0, v[188:189]
	s_or_b32 s7, vcc_lo, s0
	s_and_saveexec_b32 s0, s7
	s_cbranch_execz .LBB90_31
; %bb.26:
	v_cmp_ngt_f64_e64 s7, |v[186:187]|, |v[188:189]|
	s_and_saveexec_b32 s8, s7
	s_xor_b32 s7, exec_lo, s8
	s_cbranch_execz .LBB90_28
; %bb.27:
	v_div_scale_f64 v[202:203], null, v[188:189], v[188:189], v[186:187]
	v_div_scale_f64 v[208:209], vcc_lo, v[186:187], v[188:189], v[186:187]
	v_rcp_f64_e32 v[204:205], v[202:203]
	v_fma_f64 v[206:207], -v[202:203], v[204:205], 1.0
	v_fma_f64 v[204:205], v[204:205], v[206:207], v[204:205]
	v_fma_f64 v[206:207], -v[202:203], v[204:205], 1.0
	v_fma_f64 v[204:205], v[204:205], v[206:207], v[204:205]
	v_mul_f64 v[206:207], v[208:209], v[204:205]
	v_fma_f64 v[202:203], -v[202:203], v[206:207], v[208:209]
	v_div_fmas_f64 v[202:203], v[202:203], v[204:205], v[206:207]
	v_div_fixup_f64 v[202:203], v[202:203], v[188:189], v[186:187]
	v_fma_f64 v[186:187], v[186:187], v[202:203], v[188:189]
	v_div_scale_f64 v[188:189], null, v[186:187], v[186:187], 1.0
	v_rcp_f64_e32 v[204:205], v[188:189]
	v_fma_f64 v[206:207], -v[188:189], v[204:205], 1.0
	v_fma_f64 v[204:205], v[204:205], v[206:207], v[204:205]
	v_fma_f64 v[206:207], -v[188:189], v[204:205], 1.0
	v_fma_f64 v[204:205], v[204:205], v[206:207], v[204:205]
	v_div_scale_f64 v[206:207], vcc_lo, 1.0, v[186:187], 1.0
	v_mul_f64 v[208:209], v[206:207], v[204:205]
	v_fma_f64 v[188:189], -v[188:189], v[208:209], v[206:207]
	v_div_fmas_f64 v[188:189], v[188:189], v[204:205], v[208:209]
	v_div_fixup_f64 v[188:189], v[188:189], v[186:187], 1.0
	v_mul_f64 v[186:187], v[202:203], v[188:189]
	v_xor_b32_e32 v189, 0x80000000, v189
.LBB90_28:
	s_andn2_saveexec_b32 s7, s7
	s_cbranch_execz .LBB90_30
; %bb.29:
	v_div_scale_f64 v[202:203], null, v[186:187], v[186:187], v[188:189]
	v_div_scale_f64 v[208:209], vcc_lo, v[188:189], v[186:187], v[188:189]
	v_rcp_f64_e32 v[204:205], v[202:203]
	v_fma_f64 v[206:207], -v[202:203], v[204:205], 1.0
	v_fma_f64 v[204:205], v[204:205], v[206:207], v[204:205]
	v_fma_f64 v[206:207], -v[202:203], v[204:205], 1.0
	v_fma_f64 v[204:205], v[204:205], v[206:207], v[204:205]
	v_mul_f64 v[206:207], v[208:209], v[204:205]
	v_fma_f64 v[202:203], -v[202:203], v[206:207], v[208:209]
	v_div_fmas_f64 v[202:203], v[202:203], v[204:205], v[206:207]
	v_div_fixup_f64 v[202:203], v[202:203], v[186:187], v[188:189]
	v_fma_f64 v[186:187], v[188:189], v[202:203], v[186:187]
	v_div_scale_f64 v[188:189], null, v[186:187], v[186:187], 1.0
	v_rcp_f64_e32 v[204:205], v[188:189]
	v_fma_f64 v[206:207], -v[188:189], v[204:205], 1.0
	v_fma_f64 v[204:205], v[204:205], v[206:207], v[204:205]
	v_fma_f64 v[206:207], -v[188:189], v[204:205], 1.0
	v_fma_f64 v[204:205], v[204:205], v[206:207], v[204:205]
	v_div_scale_f64 v[206:207], vcc_lo, 1.0, v[186:187], 1.0
	v_mul_f64 v[208:209], v[206:207], v[204:205]
	v_fma_f64 v[188:189], -v[188:189], v[208:209], v[206:207]
	v_div_fmas_f64 v[188:189], v[188:189], v[204:205], v[208:209]
	v_div_fixup_f64 v[186:187], v[188:189], v[186:187], 1.0
	v_mul_f64 v[188:189], v[202:203], -v[186:187]
.LBB90_30:
	s_or_b32 exec_lo, exec_lo, s7
	v_mov_b32_e32 v199, v201
.LBB90_31:
	s_or_b32 exec_lo, exec_lo, s0
	s_mov_b32 s0, exec_lo
	v_cmpx_ne_u32_e64 v200, v194
	s_xor_b32 s0, exec_lo, s0
	s_cbranch_execz .LBB90_37
; %bb.32:
	s_mov_b32 s7, exec_lo
	v_cmpx_eq_u32_e32 1, v200
	s_cbranch_execz .LBB90_36
; %bb.33:
	v_cmp_ne_u32_e32 vcc_lo, 1, v194
	s_xor_b32 s8, s16, -1
	s_and_b32 s9, s8, vcc_lo
	s_and_saveexec_b32 s8, s9
	s_cbranch_execz .LBB90_35
; %bb.34:
	v_ashrrev_i32_e32 v195, 31, v194
	v_lshlrev_b64 v[200:201], 2, v[194:195]
	v_add_co_u32 v200, vcc_lo, v192, v200
	v_add_co_ci_u32_e64 v201, null, v193, v201, vcc_lo
	s_clause 0x1
	global_load_dword v0, v[200:201], off
	global_load_dword v195, v[192:193], off offset:4
	s_waitcnt vmcnt(1)
	global_store_dword v[192:193], v0, off offset:4
	s_waitcnt vmcnt(0)
	global_store_dword v[200:201], v195, off
.LBB90_35:
	s_or_b32 exec_lo, exec_lo, s8
	v_mov_b32_e32 v200, v194
	v_mov_b32_e32 v0, v194
.LBB90_36:
	s_or_b32 exec_lo, exec_lo, s7
.LBB90_37:
	s_andn2_saveexec_b32 s0, s0
	s_cbranch_execz .LBB90_39
; %bb.38:
	v_mov_b32_e32 v200, 1
	ds_write2_b64 v1, v[174:175], v[176:177] offset0:4 offset1:5
	ds_write2_b64 v1, v[170:171], v[172:173] offset0:6 offset1:7
	ds_write2_b64 v1, v[166:167], v[168:169] offset0:8 offset1:9
	ds_write2_b64 v1, v[162:163], v[164:165] offset0:10 offset1:11
	ds_write2_b64 v1, v[154:155], v[156:157] offset0:12 offset1:13
	ds_write2_b64 v1, v[150:151], v[152:153] offset0:14 offset1:15
	ds_write2_b64 v1, v[158:159], v[160:161] offset0:16 offset1:17
	ds_write2_b64 v1, v[142:143], v[144:145] offset0:18 offset1:19
	ds_write2_b64 v1, v[146:147], v[148:149] offset0:20 offset1:21
	ds_write2_b64 v1, v[130:131], v[132:133] offset0:22 offset1:23
	ds_write2_b64 v1, v[138:139], v[140:141] offset0:24 offset1:25
	ds_write2_b64 v1, v[134:135], v[136:137] offset0:26 offset1:27
	ds_write2_b64 v1, v[126:127], v[128:129] offset0:28 offset1:29
	ds_write2_b64 v1, v[122:123], v[124:125] offset0:30 offset1:31
	ds_write2_b64 v1, v[114:115], v[116:117] offset0:32 offset1:33
	ds_write2_b64 v1, v[110:111], v[112:113] offset0:34 offset1:35
	ds_write2_b64 v1, v[118:119], v[120:121] offset0:36 offset1:37
	ds_write2_b64 v1, v[102:103], v[104:105] offset0:38 offset1:39
	ds_write2_b64 v1, v[106:107], v[108:109] offset0:40 offset1:41
	ds_write2_b64 v1, v[90:91], v[92:93] offset0:42 offset1:43
	ds_write2_b64 v1, v[98:99], v[100:101] offset0:44 offset1:45
	ds_write2_b64 v1, v[94:95], v[96:97] offset0:46 offset1:47
	ds_write2_b64 v1, v[86:87], v[88:89] offset0:48 offset1:49
	ds_write2_b64 v1, v[82:83], v[84:85] offset0:50 offset1:51
	ds_write2_b64 v1, v[74:75], v[76:77] offset0:52 offset1:53
	ds_write2_b64 v1, v[70:71], v[72:73] offset0:54 offset1:55
	ds_write2_b64 v1, v[78:79], v[80:81] offset0:56 offset1:57
	ds_write2_b64 v1, v[54:55], v[56:57] offset0:58 offset1:59
	ds_write2_b64 v1, v[58:59], v[60:61] offset0:60 offset1:61
	ds_write2_b64 v1, v[42:43], v[44:45] offset0:62 offset1:63
	ds_write2_b64 v1, v[62:63], v[64:65] offset0:64 offset1:65
	ds_write2_b64 v1, v[66:67], v[68:69] offset0:66 offset1:67
	ds_write2_b64 v1, v[50:51], v[52:53] offset0:68 offset1:69
	ds_write2_b64 v1, v[46:47], v[48:49] offset0:70 offset1:71
	ds_write2_b64 v1, v[38:39], v[40:41] offset0:72 offset1:73
	ds_write2_b64 v1, v[34:35], v[36:37] offset0:74 offset1:75
	ds_write2_b64 v1, v[30:31], v[32:33] offset0:76 offset1:77
	ds_write2_b64 v1, v[26:27], v[28:29] offset0:78 offset1:79
	ds_write2_b64 v1, v[22:23], v[24:25] offset0:80 offset1:81
	ds_write2_b64 v1, v[18:19], v[20:21] offset0:82 offset1:83
	ds_write2_b64 v1, v[14:15], v[16:17] offset0:84 offset1:85
	ds_write2_b64 v1, v[10:11], v[12:13] offset0:86 offset1:87
	ds_write2_b64 v1, v[6:7], v[8:9] offset0:88 offset1:89
	ds_write2_b64 v1, v[2:3], v[4:5] offset0:90 offset1:91
.LBB90_39:
	s_or_b32 exec_lo, exec_lo, s0
	s_mov_b32 s0, exec_lo
	s_waitcnt lgkmcnt(0)
	s_waitcnt_vscnt null, 0x0
	s_barrier
	buffer_gl0_inv
	v_cmpx_lt_i32_e32 1, v200
	s_cbranch_execz .LBB90_41
; %bb.40:
	v_mul_f64 v[194:195], v[188:189], v[180:181]
	v_mul_f64 v[180:181], v[186:187], v[180:181]
	v_fma_f64 v[194:195], v[186:187], v[178:179], -v[194:195]
	v_fma_f64 v[180:181], v[188:189], v[178:179], v[180:181]
	ds_read2_b64 v[186:189], v1 offset0:4 offset1:5
	s_waitcnt lgkmcnt(0)
	v_mul_f64 v[178:179], v[188:189], v[180:181]
	v_fma_f64 v[178:179], v[186:187], v[194:195], -v[178:179]
	v_mul_f64 v[186:187], v[186:187], v[180:181]
	v_add_f64 v[174:175], v[174:175], -v[178:179]
	v_fma_f64 v[186:187], v[188:189], v[194:195], v[186:187]
	v_add_f64 v[176:177], v[176:177], -v[186:187]
	ds_read2_b64 v[186:189], v1 offset0:6 offset1:7
	s_waitcnt lgkmcnt(0)
	v_mul_f64 v[178:179], v[188:189], v[180:181]
	v_fma_f64 v[178:179], v[186:187], v[194:195], -v[178:179]
	v_mul_f64 v[186:187], v[186:187], v[180:181]
	v_add_f64 v[170:171], v[170:171], -v[178:179]
	v_fma_f64 v[186:187], v[188:189], v[194:195], v[186:187]
	v_add_f64 v[172:173], v[172:173], -v[186:187]
	;; [unrolled: 8-line block ×43, first 2 shown]
	ds_read2_b64 v[186:189], v1 offset0:90 offset1:91
	s_waitcnt lgkmcnt(0)
	v_mul_f64 v[178:179], v[188:189], v[180:181]
	v_fma_f64 v[178:179], v[186:187], v[194:195], -v[178:179]
	v_mul_f64 v[186:187], v[186:187], v[180:181]
	v_add_f64 v[2:3], v[2:3], -v[178:179]
	v_fma_f64 v[186:187], v[188:189], v[194:195], v[186:187]
	v_mov_b32_e32 v178, v194
	v_mov_b32_e32 v179, v195
	v_add_f64 v[4:5], v[4:5], -v[186:187]
.LBB90_41:
	s_or_b32 exec_lo, exec_lo, s0
	v_lshl_add_u32 v186, v200, 4, v1
	s_barrier
	buffer_gl0_inv
	v_mov_b32_e32 v194, 2
	ds_write2_b64 v186, v[174:175], v[176:177] offset1:1
	s_waitcnt lgkmcnt(0)
	s_barrier
	buffer_gl0_inv
	ds_read2_b64 v[186:189], v1 offset0:4 offset1:5
	s_cmp_lt_i32 s1, 4
	s_cbranch_scc1 .LBB90_44
; %bb.42:
	v_add3_u32 v195, v196, 0, 48
	v_mov_b32_e32 v194, 2
	s_mov_b32 s7, 3
	s_inst_prefetch 0x1
	.p2align	6
.LBB90_43:                              ; =>This Inner Loop Header: Depth=1
	s_waitcnt lgkmcnt(0)
	v_cmp_gt_f64_e32 vcc_lo, 0, v[188:189]
	v_cmp_gt_f64_e64 s0, 0, v[186:187]
	ds_read2_b64 v[201:204], v195 offset1:1
	v_xor_b32_e32 v206, 0x80000000, v187
	v_xor_b32_e32 v208, 0x80000000, v189
	v_mov_b32_e32 v205, v186
	v_mov_b32_e32 v207, v188
	v_add_nc_u32_e32 v195, 16, v195
	s_waitcnt lgkmcnt(0)
	v_xor_b32_e32 v210, 0x80000000, v204
	v_cndmask_b32_e64 v206, v187, v206, s0
	v_cndmask_b32_e32 v208, v189, v208, vcc_lo
	v_cmp_gt_f64_e32 vcc_lo, 0, v[203:204]
	v_cmp_gt_f64_e64 s0, 0, v[201:202]
	v_mov_b32_e32 v209, v203
	v_add_f64 v[205:206], v[205:206], v[207:208]
	v_xor_b32_e32 v208, 0x80000000, v202
	v_mov_b32_e32 v207, v201
	v_cndmask_b32_e32 v210, v204, v210, vcc_lo
	v_cndmask_b32_e64 v208, v202, v208, s0
	v_add_f64 v[207:208], v[207:208], v[209:210]
	v_cmp_lt_f64_e32 vcc_lo, v[205:206], v[207:208]
	v_cndmask_b32_e32 v187, v187, v202, vcc_lo
	v_cndmask_b32_e32 v186, v186, v201, vcc_lo
	;; [unrolled: 1-line block ×4, first 2 shown]
	v_cndmask_b32_e64 v194, v194, s7, vcc_lo
	s_add_i32 s7, s7, 1
	s_cmp_lg_u32 s1, s7
	s_cbranch_scc1 .LBB90_43
.LBB90_44:
	s_inst_prefetch 0x2
	s_waitcnt lgkmcnt(0)
	v_cmp_eq_f64_e32 vcc_lo, 0, v[186:187]
	v_cmp_eq_f64_e64 s0, 0, v[188:189]
	s_and_b32 s0, vcc_lo, s0
	s_and_saveexec_b32 s7, s0
	s_xor_b32 s0, exec_lo, s7
; %bb.45:
	v_cmp_ne_u32_e32 vcc_lo, 0, v199
	v_cndmask_b32_e32 v199, 3, v199, vcc_lo
; %bb.46:
	s_andn2_saveexec_b32 s0, s0
	s_cbranch_execz .LBB90_52
; %bb.47:
	v_cmp_ngt_f64_e64 s7, |v[186:187]|, |v[188:189]|
	s_and_saveexec_b32 s8, s7
	s_xor_b32 s7, exec_lo, s8
	s_cbranch_execz .LBB90_49
; %bb.48:
	v_div_scale_f64 v[201:202], null, v[188:189], v[188:189], v[186:187]
	v_div_scale_f64 v[207:208], vcc_lo, v[186:187], v[188:189], v[186:187]
	v_rcp_f64_e32 v[203:204], v[201:202]
	v_fma_f64 v[205:206], -v[201:202], v[203:204], 1.0
	v_fma_f64 v[203:204], v[203:204], v[205:206], v[203:204]
	v_fma_f64 v[205:206], -v[201:202], v[203:204], 1.0
	v_fma_f64 v[203:204], v[203:204], v[205:206], v[203:204]
	v_mul_f64 v[205:206], v[207:208], v[203:204]
	v_fma_f64 v[201:202], -v[201:202], v[205:206], v[207:208]
	v_div_fmas_f64 v[201:202], v[201:202], v[203:204], v[205:206]
	v_div_fixup_f64 v[201:202], v[201:202], v[188:189], v[186:187]
	v_fma_f64 v[186:187], v[186:187], v[201:202], v[188:189]
	v_div_scale_f64 v[188:189], null, v[186:187], v[186:187], 1.0
	v_rcp_f64_e32 v[203:204], v[188:189]
	v_fma_f64 v[205:206], -v[188:189], v[203:204], 1.0
	v_fma_f64 v[203:204], v[203:204], v[205:206], v[203:204]
	v_fma_f64 v[205:206], -v[188:189], v[203:204], 1.0
	v_fma_f64 v[203:204], v[203:204], v[205:206], v[203:204]
	v_div_scale_f64 v[205:206], vcc_lo, 1.0, v[186:187], 1.0
	v_mul_f64 v[207:208], v[205:206], v[203:204]
	v_fma_f64 v[188:189], -v[188:189], v[207:208], v[205:206]
	v_div_fmas_f64 v[188:189], v[188:189], v[203:204], v[207:208]
	v_div_fixup_f64 v[188:189], v[188:189], v[186:187], 1.0
	v_mul_f64 v[186:187], v[201:202], v[188:189]
	v_xor_b32_e32 v189, 0x80000000, v189
.LBB90_49:
	s_andn2_saveexec_b32 s7, s7
	s_cbranch_execz .LBB90_51
; %bb.50:
	v_div_scale_f64 v[201:202], null, v[186:187], v[186:187], v[188:189]
	v_div_scale_f64 v[207:208], vcc_lo, v[188:189], v[186:187], v[188:189]
	v_rcp_f64_e32 v[203:204], v[201:202]
	v_fma_f64 v[205:206], -v[201:202], v[203:204], 1.0
	v_fma_f64 v[203:204], v[203:204], v[205:206], v[203:204]
	v_fma_f64 v[205:206], -v[201:202], v[203:204], 1.0
	v_fma_f64 v[203:204], v[203:204], v[205:206], v[203:204]
	v_mul_f64 v[205:206], v[207:208], v[203:204]
	v_fma_f64 v[201:202], -v[201:202], v[205:206], v[207:208]
	v_div_fmas_f64 v[201:202], v[201:202], v[203:204], v[205:206]
	v_div_fixup_f64 v[201:202], v[201:202], v[186:187], v[188:189]
	v_fma_f64 v[186:187], v[188:189], v[201:202], v[186:187]
	v_div_scale_f64 v[188:189], null, v[186:187], v[186:187], 1.0
	v_rcp_f64_e32 v[203:204], v[188:189]
	v_fma_f64 v[205:206], -v[188:189], v[203:204], 1.0
	v_fma_f64 v[203:204], v[203:204], v[205:206], v[203:204]
	v_fma_f64 v[205:206], -v[188:189], v[203:204], 1.0
	v_fma_f64 v[203:204], v[203:204], v[205:206], v[203:204]
	v_div_scale_f64 v[205:206], vcc_lo, 1.0, v[186:187], 1.0
	v_mul_f64 v[207:208], v[205:206], v[203:204]
	v_fma_f64 v[188:189], -v[188:189], v[207:208], v[205:206]
	v_div_fmas_f64 v[188:189], v[188:189], v[203:204], v[207:208]
	v_div_fixup_f64 v[186:187], v[188:189], v[186:187], 1.0
	v_mul_f64 v[188:189], v[201:202], -v[186:187]
.LBB90_51:
	s_or_b32 exec_lo, exec_lo, s7
.LBB90_52:
	s_or_b32 exec_lo, exec_lo, s0
	s_mov_b32 s0, exec_lo
	v_cmpx_ne_u32_e64 v200, v194
	s_xor_b32 s0, exec_lo, s0
	s_cbranch_execz .LBB90_58
; %bb.53:
	s_mov_b32 s7, exec_lo
	v_cmpx_eq_u32_e32 2, v200
	s_cbranch_execz .LBB90_57
; %bb.54:
	v_cmp_ne_u32_e32 vcc_lo, 2, v194
	s_xor_b32 s8, s16, -1
	s_and_b32 s9, s8, vcc_lo
	s_and_saveexec_b32 s8, s9
	s_cbranch_execz .LBB90_56
; %bb.55:
	v_ashrrev_i32_e32 v195, 31, v194
	v_lshlrev_b64 v[200:201], 2, v[194:195]
	v_add_co_u32 v200, vcc_lo, v192, v200
	v_add_co_ci_u32_e64 v201, null, v193, v201, vcc_lo
	s_clause 0x1
	global_load_dword v0, v[200:201], off
	global_load_dword v195, v[192:193], off offset:8
	s_waitcnt vmcnt(1)
	global_store_dword v[192:193], v0, off offset:8
	s_waitcnt vmcnt(0)
	global_store_dword v[200:201], v195, off
.LBB90_56:
	s_or_b32 exec_lo, exec_lo, s8
	v_mov_b32_e32 v200, v194
	v_mov_b32_e32 v0, v194
.LBB90_57:
	s_or_b32 exec_lo, exec_lo, s7
.LBB90_58:
	s_andn2_saveexec_b32 s0, s0
	s_cbranch_execz .LBB90_60
; %bb.59:
	v_mov_b32_e32 v200, 2
	ds_write2_b64 v1, v[170:171], v[172:173] offset0:6 offset1:7
	ds_write2_b64 v1, v[166:167], v[168:169] offset0:8 offset1:9
	;; [unrolled: 1-line block ×43, first 2 shown]
.LBB90_60:
	s_or_b32 exec_lo, exec_lo, s0
	s_mov_b32 s0, exec_lo
	s_waitcnt lgkmcnt(0)
	s_waitcnt_vscnt null, 0x0
	s_barrier
	buffer_gl0_inv
	v_cmpx_lt_i32_e32 2, v200
	s_cbranch_execz .LBB90_62
; %bb.61:
	v_mul_f64 v[194:195], v[188:189], v[176:177]
	v_mul_f64 v[176:177], v[186:187], v[176:177]
	v_fma_f64 v[194:195], v[186:187], v[174:175], -v[194:195]
	v_fma_f64 v[176:177], v[188:189], v[174:175], v[176:177]
	ds_read2_b64 v[186:189], v1 offset0:6 offset1:7
	s_waitcnt lgkmcnt(0)
	v_mul_f64 v[174:175], v[188:189], v[176:177]
	v_fma_f64 v[174:175], v[186:187], v[194:195], -v[174:175]
	v_mul_f64 v[186:187], v[186:187], v[176:177]
	v_add_f64 v[170:171], v[170:171], -v[174:175]
	v_fma_f64 v[186:187], v[188:189], v[194:195], v[186:187]
	v_add_f64 v[172:173], v[172:173], -v[186:187]
	ds_read2_b64 v[186:189], v1 offset0:8 offset1:9
	s_waitcnt lgkmcnt(0)
	v_mul_f64 v[174:175], v[188:189], v[176:177]
	v_fma_f64 v[174:175], v[186:187], v[194:195], -v[174:175]
	v_mul_f64 v[186:187], v[186:187], v[176:177]
	v_add_f64 v[166:167], v[166:167], -v[174:175]
	v_fma_f64 v[186:187], v[188:189], v[194:195], v[186:187]
	v_add_f64 v[168:169], v[168:169], -v[186:187]
	;; [unrolled: 8-line block ×42, first 2 shown]
	ds_read2_b64 v[186:189], v1 offset0:90 offset1:91
	s_waitcnt lgkmcnt(0)
	v_mul_f64 v[174:175], v[188:189], v[176:177]
	v_fma_f64 v[174:175], v[186:187], v[194:195], -v[174:175]
	v_mul_f64 v[186:187], v[186:187], v[176:177]
	v_add_f64 v[2:3], v[2:3], -v[174:175]
	v_fma_f64 v[186:187], v[188:189], v[194:195], v[186:187]
	v_mov_b32_e32 v174, v194
	v_mov_b32_e32 v175, v195
	v_add_f64 v[4:5], v[4:5], -v[186:187]
.LBB90_62:
	s_or_b32 exec_lo, exec_lo, s0
	v_lshl_add_u32 v186, v200, 4, v1
	s_barrier
	buffer_gl0_inv
	v_mov_b32_e32 v194, 3
	ds_write2_b64 v186, v[170:171], v[172:173] offset1:1
	s_waitcnt lgkmcnt(0)
	s_barrier
	buffer_gl0_inv
	ds_read2_b64 v[186:189], v1 offset0:6 offset1:7
	s_cmp_lt_i32 s1, 5
	s_mov_b32 s7, 4
	s_cbranch_scc1 .LBB90_65
; %bb.63:
	v_add3_u32 v195, v196, 0, 64
	v_mov_b32_e32 v194, 3
	s_inst_prefetch 0x1
	.p2align	6
.LBB90_64:                              ; =>This Inner Loop Header: Depth=1
	s_waitcnt lgkmcnt(0)
	v_cmp_gt_f64_e32 vcc_lo, 0, v[188:189]
	v_cmp_gt_f64_e64 s0, 0, v[186:187]
	ds_read2_b64 v[201:204], v195 offset1:1
	v_xor_b32_e32 v206, 0x80000000, v187
	v_xor_b32_e32 v208, 0x80000000, v189
	v_mov_b32_e32 v205, v186
	v_mov_b32_e32 v207, v188
	v_add_nc_u32_e32 v195, 16, v195
	s_waitcnt lgkmcnt(0)
	v_xor_b32_e32 v210, 0x80000000, v204
	v_cndmask_b32_e64 v206, v187, v206, s0
	v_cndmask_b32_e32 v208, v189, v208, vcc_lo
	v_cmp_gt_f64_e32 vcc_lo, 0, v[203:204]
	v_cmp_gt_f64_e64 s0, 0, v[201:202]
	v_mov_b32_e32 v209, v203
	v_add_f64 v[205:206], v[205:206], v[207:208]
	v_xor_b32_e32 v208, 0x80000000, v202
	v_mov_b32_e32 v207, v201
	v_cndmask_b32_e32 v210, v204, v210, vcc_lo
	v_cndmask_b32_e64 v208, v202, v208, s0
	v_add_f64 v[207:208], v[207:208], v[209:210]
	v_cmp_lt_f64_e32 vcc_lo, v[205:206], v[207:208]
	v_cndmask_b32_e32 v187, v187, v202, vcc_lo
	v_cndmask_b32_e32 v186, v186, v201, vcc_lo
	;; [unrolled: 1-line block ×4, first 2 shown]
	v_cndmask_b32_e64 v194, v194, s7, vcc_lo
	s_add_i32 s7, s7, 1
	s_cmp_lg_u32 s1, s7
	s_cbranch_scc1 .LBB90_64
.LBB90_65:
	s_inst_prefetch 0x2
	s_waitcnt lgkmcnt(0)
	v_cmp_eq_f64_e32 vcc_lo, 0, v[186:187]
	v_cmp_eq_f64_e64 s0, 0, v[188:189]
	s_and_b32 s0, vcc_lo, s0
	s_and_saveexec_b32 s7, s0
	s_xor_b32 s0, exec_lo, s7
; %bb.66:
	v_cmp_ne_u32_e32 vcc_lo, 0, v199
	v_cndmask_b32_e32 v199, 4, v199, vcc_lo
; %bb.67:
	s_andn2_saveexec_b32 s0, s0
	s_cbranch_execz .LBB90_73
; %bb.68:
	v_cmp_ngt_f64_e64 s7, |v[186:187]|, |v[188:189]|
	s_and_saveexec_b32 s8, s7
	s_xor_b32 s7, exec_lo, s8
	s_cbranch_execz .LBB90_70
; %bb.69:
	v_div_scale_f64 v[201:202], null, v[188:189], v[188:189], v[186:187]
	v_div_scale_f64 v[207:208], vcc_lo, v[186:187], v[188:189], v[186:187]
	v_rcp_f64_e32 v[203:204], v[201:202]
	v_fma_f64 v[205:206], -v[201:202], v[203:204], 1.0
	v_fma_f64 v[203:204], v[203:204], v[205:206], v[203:204]
	v_fma_f64 v[205:206], -v[201:202], v[203:204], 1.0
	v_fma_f64 v[203:204], v[203:204], v[205:206], v[203:204]
	v_mul_f64 v[205:206], v[207:208], v[203:204]
	v_fma_f64 v[201:202], -v[201:202], v[205:206], v[207:208]
	v_div_fmas_f64 v[201:202], v[201:202], v[203:204], v[205:206]
	v_div_fixup_f64 v[201:202], v[201:202], v[188:189], v[186:187]
	v_fma_f64 v[186:187], v[186:187], v[201:202], v[188:189]
	v_div_scale_f64 v[188:189], null, v[186:187], v[186:187], 1.0
	v_rcp_f64_e32 v[203:204], v[188:189]
	v_fma_f64 v[205:206], -v[188:189], v[203:204], 1.0
	v_fma_f64 v[203:204], v[203:204], v[205:206], v[203:204]
	v_fma_f64 v[205:206], -v[188:189], v[203:204], 1.0
	v_fma_f64 v[203:204], v[203:204], v[205:206], v[203:204]
	v_div_scale_f64 v[205:206], vcc_lo, 1.0, v[186:187], 1.0
	v_mul_f64 v[207:208], v[205:206], v[203:204]
	v_fma_f64 v[188:189], -v[188:189], v[207:208], v[205:206]
	v_div_fmas_f64 v[188:189], v[188:189], v[203:204], v[207:208]
	v_div_fixup_f64 v[188:189], v[188:189], v[186:187], 1.0
	v_mul_f64 v[186:187], v[201:202], v[188:189]
	v_xor_b32_e32 v189, 0x80000000, v189
.LBB90_70:
	s_andn2_saveexec_b32 s7, s7
	s_cbranch_execz .LBB90_72
; %bb.71:
	v_div_scale_f64 v[201:202], null, v[186:187], v[186:187], v[188:189]
	v_div_scale_f64 v[207:208], vcc_lo, v[188:189], v[186:187], v[188:189]
	v_rcp_f64_e32 v[203:204], v[201:202]
	v_fma_f64 v[205:206], -v[201:202], v[203:204], 1.0
	v_fma_f64 v[203:204], v[203:204], v[205:206], v[203:204]
	v_fma_f64 v[205:206], -v[201:202], v[203:204], 1.0
	v_fma_f64 v[203:204], v[203:204], v[205:206], v[203:204]
	v_mul_f64 v[205:206], v[207:208], v[203:204]
	v_fma_f64 v[201:202], -v[201:202], v[205:206], v[207:208]
	v_div_fmas_f64 v[201:202], v[201:202], v[203:204], v[205:206]
	v_div_fixup_f64 v[201:202], v[201:202], v[186:187], v[188:189]
	v_fma_f64 v[186:187], v[188:189], v[201:202], v[186:187]
	v_div_scale_f64 v[188:189], null, v[186:187], v[186:187], 1.0
	v_rcp_f64_e32 v[203:204], v[188:189]
	v_fma_f64 v[205:206], -v[188:189], v[203:204], 1.0
	v_fma_f64 v[203:204], v[203:204], v[205:206], v[203:204]
	v_fma_f64 v[205:206], -v[188:189], v[203:204], 1.0
	v_fma_f64 v[203:204], v[203:204], v[205:206], v[203:204]
	v_div_scale_f64 v[205:206], vcc_lo, 1.0, v[186:187], 1.0
	v_mul_f64 v[207:208], v[205:206], v[203:204]
	v_fma_f64 v[188:189], -v[188:189], v[207:208], v[205:206]
	v_div_fmas_f64 v[188:189], v[188:189], v[203:204], v[207:208]
	v_div_fixup_f64 v[186:187], v[188:189], v[186:187], 1.0
	v_mul_f64 v[188:189], v[201:202], -v[186:187]
.LBB90_72:
	s_or_b32 exec_lo, exec_lo, s7
.LBB90_73:
	s_or_b32 exec_lo, exec_lo, s0
	s_mov_b32 s0, exec_lo
	v_cmpx_ne_u32_e64 v200, v194
	s_xor_b32 s0, exec_lo, s0
	s_cbranch_execz .LBB90_79
; %bb.74:
	s_mov_b32 s7, exec_lo
	v_cmpx_eq_u32_e32 3, v200
	s_cbranch_execz .LBB90_78
; %bb.75:
	v_cmp_ne_u32_e32 vcc_lo, 3, v194
	s_xor_b32 s8, s16, -1
	s_and_b32 s9, s8, vcc_lo
	s_and_saveexec_b32 s8, s9
	s_cbranch_execz .LBB90_77
; %bb.76:
	v_ashrrev_i32_e32 v195, 31, v194
	v_lshlrev_b64 v[200:201], 2, v[194:195]
	v_add_co_u32 v200, vcc_lo, v192, v200
	v_add_co_ci_u32_e64 v201, null, v193, v201, vcc_lo
	s_clause 0x1
	global_load_dword v0, v[200:201], off
	global_load_dword v195, v[192:193], off offset:12
	s_waitcnt vmcnt(1)
	global_store_dword v[192:193], v0, off offset:12
	s_waitcnt vmcnt(0)
	global_store_dword v[200:201], v195, off
.LBB90_77:
	s_or_b32 exec_lo, exec_lo, s8
	v_mov_b32_e32 v200, v194
	v_mov_b32_e32 v0, v194
.LBB90_78:
	s_or_b32 exec_lo, exec_lo, s7
.LBB90_79:
	s_andn2_saveexec_b32 s0, s0
	s_cbranch_execz .LBB90_81
; %bb.80:
	v_mov_b32_e32 v200, 3
	ds_write2_b64 v1, v[166:167], v[168:169] offset0:8 offset1:9
	ds_write2_b64 v1, v[162:163], v[164:165] offset0:10 offset1:11
	;; [unrolled: 1-line block ×42, first 2 shown]
.LBB90_81:
	s_or_b32 exec_lo, exec_lo, s0
	s_mov_b32 s0, exec_lo
	s_waitcnt lgkmcnt(0)
	s_waitcnt_vscnt null, 0x0
	s_barrier
	buffer_gl0_inv
	v_cmpx_lt_i32_e32 3, v200
	s_cbranch_execz .LBB90_83
; %bb.82:
	v_mul_f64 v[194:195], v[188:189], v[172:173]
	v_mul_f64 v[172:173], v[186:187], v[172:173]
	v_fma_f64 v[194:195], v[186:187], v[170:171], -v[194:195]
	v_fma_f64 v[172:173], v[188:189], v[170:171], v[172:173]
	ds_read2_b64 v[186:189], v1 offset0:8 offset1:9
	s_waitcnt lgkmcnt(0)
	v_mul_f64 v[170:171], v[188:189], v[172:173]
	v_fma_f64 v[170:171], v[186:187], v[194:195], -v[170:171]
	v_mul_f64 v[186:187], v[186:187], v[172:173]
	v_add_f64 v[166:167], v[166:167], -v[170:171]
	v_fma_f64 v[186:187], v[188:189], v[194:195], v[186:187]
	v_add_f64 v[168:169], v[168:169], -v[186:187]
	ds_read2_b64 v[186:189], v1 offset0:10 offset1:11
	s_waitcnt lgkmcnt(0)
	v_mul_f64 v[170:171], v[188:189], v[172:173]
	v_fma_f64 v[170:171], v[186:187], v[194:195], -v[170:171]
	v_mul_f64 v[186:187], v[186:187], v[172:173]
	v_add_f64 v[162:163], v[162:163], -v[170:171]
	v_fma_f64 v[186:187], v[188:189], v[194:195], v[186:187]
	v_add_f64 v[164:165], v[164:165], -v[186:187]
	;; [unrolled: 8-line block ×41, first 2 shown]
	ds_read2_b64 v[186:189], v1 offset0:90 offset1:91
	s_waitcnt lgkmcnt(0)
	v_mul_f64 v[170:171], v[188:189], v[172:173]
	v_fma_f64 v[170:171], v[186:187], v[194:195], -v[170:171]
	v_mul_f64 v[186:187], v[186:187], v[172:173]
	v_add_f64 v[2:3], v[2:3], -v[170:171]
	v_fma_f64 v[186:187], v[188:189], v[194:195], v[186:187]
	v_mov_b32_e32 v170, v194
	v_mov_b32_e32 v171, v195
	v_add_f64 v[4:5], v[4:5], -v[186:187]
.LBB90_83:
	s_or_b32 exec_lo, exec_lo, s0
	v_lshl_add_u32 v186, v200, 4, v1
	s_barrier
	buffer_gl0_inv
	v_mov_b32_e32 v194, 4
	ds_write2_b64 v186, v[166:167], v[168:169] offset1:1
	s_waitcnt lgkmcnt(0)
	s_barrier
	buffer_gl0_inv
	ds_read2_b64 v[186:189], v1 offset0:8 offset1:9
	s_cmp_lt_i32 s1, 6
	s_cbranch_scc1 .LBB90_86
; %bb.84:
	v_mov_b32_e32 v194, 4
	v_add3_u32 v195, v196, 0, 0x50
	s_mov_b32 s7, 5
	s_inst_prefetch 0x1
	.p2align	6
.LBB90_85:                              ; =>This Inner Loop Header: Depth=1
	s_waitcnt lgkmcnt(0)
	v_cmp_gt_f64_e32 vcc_lo, 0, v[188:189]
	v_cmp_gt_f64_e64 s0, 0, v[186:187]
	ds_read2_b64 v[201:204], v195 offset1:1
	v_xor_b32_e32 v206, 0x80000000, v187
	v_xor_b32_e32 v208, 0x80000000, v189
	v_mov_b32_e32 v205, v186
	v_mov_b32_e32 v207, v188
	v_add_nc_u32_e32 v195, 16, v195
	s_waitcnt lgkmcnt(0)
	v_xor_b32_e32 v210, 0x80000000, v204
	v_cndmask_b32_e64 v206, v187, v206, s0
	v_cndmask_b32_e32 v208, v189, v208, vcc_lo
	v_cmp_gt_f64_e32 vcc_lo, 0, v[203:204]
	v_cmp_gt_f64_e64 s0, 0, v[201:202]
	v_mov_b32_e32 v209, v203
	v_add_f64 v[205:206], v[205:206], v[207:208]
	v_xor_b32_e32 v208, 0x80000000, v202
	v_mov_b32_e32 v207, v201
	v_cndmask_b32_e32 v210, v204, v210, vcc_lo
	v_cndmask_b32_e64 v208, v202, v208, s0
	v_add_f64 v[207:208], v[207:208], v[209:210]
	v_cmp_lt_f64_e32 vcc_lo, v[205:206], v[207:208]
	v_cndmask_b32_e32 v187, v187, v202, vcc_lo
	v_cndmask_b32_e32 v186, v186, v201, vcc_lo
	;; [unrolled: 1-line block ×4, first 2 shown]
	v_cndmask_b32_e64 v194, v194, s7, vcc_lo
	s_add_i32 s7, s7, 1
	s_cmp_lg_u32 s1, s7
	s_cbranch_scc1 .LBB90_85
.LBB90_86:
	s_inst_prefetch 0x2
	s_waitcnt lgkmcnt(0)
	v_cmp_eq_f64_e32 vcc_lo, 0, v[186:187]
	v_cmp_eq_f64_e64 s0, 0, v[188:189]
	s_and_b32 s0, vcc_lo, s0
	s_and_saveexec_b32 s7, s0
	s_xor_b32 s0, exec_lo, s7
; %bb.87:
	v_cmp_ne_u32_e32 vcc_lo, 0, v199
	v_cndmask_b32_e32 v199, 5, v199, vcc_lo
; %bb.88:
	s_andn2_saveexec_b32 s0, s0
	s_cbranch_execz .LBB90_94
; %bb.89:
	v_cmp_ngt_f64_e64 s7, |v[186:187]|, |v[188:189]|
	s_and_saveexec_b32 s8, s7
	s_xor_b32 s7, exec_lo, s8
	s_cbranch_execz .LBB90_91
; %bb.90:
	v_div_scale_f64 v[201:202], null, v[188:189], v[188:189], v[186:187]
	v_div_scale_f64 v[207:208], vcc_lo, v[186:187], v[188:189], v[186:187]
	v_rcp_f64_e32 v[203:204], v[201:202]
	v_fma_f64 v[205:206], -v[201:202], v[203:204], 1.0
	v_fma_f64 v[203:204], v[203:204], v[205:206], v[203:204]
	v_fma_f64 v[205:206], -v[201:202], v[203:204], 1.0
	v_fma_f64 v[203:204], v[203:204], v[205:206], v[203:204]
	v_mul_f64 v[205:206], v[207:208], v[203:204]
	v_fma_f64 v[201:202], -v[201:202], v[205:206], v[207:208]
	v_div_fmas_f64 v[201:202], v[201:202], v[203:204], v[205:206]
	v_div_fixup_f64 v[201:202], v[201:202], v[188:189], v[186:187]
	v_fma_f64 v[186:187], v[186:187], v[201:202], v[188:189]
	v_div_scale_f64 v[188:189], null, v[186:187], v[186:187], 1.0
	v_rcp_f64_e32 v[203:204], v[188:189]
	v_fma_f64 v[205:206], -v[188:189], v[203:204], 1.0
	v_fma_f64 v[203:204], v[203:204], v[205:206], v[203:204]
	v_fma_f64 v[205:206], -v[188:189], v[203:204], 1.0
	v_fma_f64 v[203:204], v[203:204], v[205:206], v[203:204]
	v_div_scale_f64 v[205:206], vcc_lo, 1.0, v[186:187], 1.0
	v_mul_f64 v[207:208], v[205:206], v[203:204]
	v_fma_f64 v[188:189], -v[188:189], v[207:208], v[205:206]
	v_div_fmas_f64 v[188:189], v[188:189], v[203:204], v[207:208]
	v_div_fixup_f64 v[188:189], v[188:189], v[186:187], 1.0
	v_mul_f64 v[186:187], v[201:202], v[188:189]
	v_xor_b32_e32 v189, 0x80000000, v189
.LBB90_91:
	s_andn2_saveexec_b32 s7, s7
	s_cbranch_execz .LBB90_93
; %bb.92:
	v_div_scale_f64 v[201:202], null, v[186:187], v[186:187], v[188:189]
	v_div_scale_f64 v[207:208], vcc_lo, v[188:189], v[186:187], v[188:189]
	v_rcp_f64_e32 v[203:204], v[201:202]
	v_fma_f64 v[205:206], -v[201:202], v[203:204], 1.0
	v_fma_f64 v[203:204], v[203:204], v[205:206], v[203:204]
	v_fma_f64 v[205:206], -v[201:202], v[203:204], 1.0
	v_fma_f64 v[203:204], v[203:204], v[205:206], v[203:204]
	v_mul_f64 v[205:206], v[207:208], v[203:204]
	v_fma_f64 v[201:202], -v[201:202], v[205:206], v[207:208]
	v_div_fmas_f64 v[201:202], v[201:202], v[203:204], v[205:206]
	v_div_fixup_f64 v[201:202], v[201:202], v[186:187], v[188:189]
	v_fma_f64 v[186:187], v[188:189], v[201:202], v[186:187]
	v_div_scale_f64 v[188:189], null, v[186:187], v[186:187], 1.0
	v_rcp_f64_e32 v[203:204], v[188:189]
	v_fma_f64 v[205:206], -v[188:189], v[203:204], 1.0
	v_fma_f64 v[203:204], v[203:204], v[205:206], v[203:204]
	v_fma_f64 v[205:206], -v[188:189], v[203:204], 1.0
	v_fma_f64 v[203:204], v[203:204], v[205:206], v[203:204]
	v_div_scale_f64 v[205:206], vcc_lo, 1.0, v[186:187], 1.0
	v_mul_f64 v[207:208], v[205:206], v[203:204]
	v_fma_f64 v[188:189], -v[188:189], v[207:208], v[205:206]
	v_div_fmas_f64 v[188:189], v[188:189], v[203:204], v[207:208]
	v_div_fixup_f64 v[186:187], v[188:189], v[186:187], 1.0
	v_mul_f64 v[188:189], v[201:202], -v[186:187]
.LBB90_93:
	s_or_b32 exec_lo, exec_lo, s7
.LBB90_94:
	s_or_b32 exec_lo, exec_lo, s0
	s_mov_b32 s0, exec_lo
	v_cmpx_ne_u32_e64 v200, v194
	s_xor_b32 s0, exec_lo, s0
	s_cbranch_execz .LBB90_100
; %bb.95:
	s_mov_b32 s7, exec_lo
	v_cmpx_eq_u32_e32 4, v200
	s_cbranch_execz .LBB90_99
; %bb.96:
	v_cmp_ne_u32_e32 vcc_lo, 4, v194
	s_xor_b32 s8, s16, -1
	s_and_b32 s9, s8, vcc_lo
	s_and_saveexec_b32 s8, s9
	s_cbranch_execz .LBB90_98
; %bb.97:
	v_ashrrev_i32_e32 v195, 31, v194
	v_lshlrev_b64 v[200:201], 2, v[194:195]
	v_add_co_u32 v200, vcc_lo, v192, v200
	v_add_co_ci_u32_e64 v201, null, v193, v201, vcc_lo
	s_clause 0x1
	global_load_dword v0, v[200:201], off
	global_load_dword v195, v[192:193], off offset:16
	s_waitcnt vmcnt(1)
	global_store_dword v[192:193], v0, off offset:16
	s_waitcnt vmcnt(0)
	global_store_dword v[200:201], v195, off
.LBB90_98:
	s_or_b32 exec_lo, exec_lo, s8
	v_mov_b32_e32 v200, v194
	v_mov_b32_e32 v0, v194
.LBB90_99:
	s_or_b32 exec_lo, exec_lo, s7
.LBB90_100:
	s_andn2_saveexec_b32 s0, s0
	s_cbranch_execz .LBB90_102
; %bb.101:
	v_mov_b32_e32 v200, 4
	ds_write2_b64 v1, v[162:163], v[164:165] offset0:10 offset1:11
	ds_write2_b64 v1, v[154:155], v[156:157] offset0:12 offset1:13
	;; [unrolled: 1-line block ×41, first 2 shown]
.LBB90_102:
	s_or_b32 exec_lo, exec_lo, s0
	s_mov_b32 s0, exec_lo
	s_waitcnt lgkmcnt(0)
	s_waitcnt_vscnt null, 0x0
	s_barrier
	buffer_gl0_inv
	v_cmpx_lt_i32_e32 4, v200
	s_cbranch_execz .LBB90_104
; %bb.103:
	v_mul_f64 v[194:195], v[188:189], v[168:169]
	v_mul_f64 v[168:169], v[186:187], v[168:169]
	v_fma_f64 v[194:195], v[186:187], v[166:167], -v[194:195]
	v_fma_f64 v[168:169], v[188:189], v[166:167], v[168:169]
	ds_read2_b64 v[186:189], v1 offset0:10 offset1:11
	s_waitcnt lgkmcnt(0)
	v_mul_f64 v[166:167], v[188:189], v[168:169]
	v_fma_f64 v[166:167], v[186:187], v[194:195], -v[166:167]
	v_mul_f64 v[186:187], v[186:187], v[168:169]
	v_add_f64 v[162:163], v[162:163], -v[166:167]
	v_fma_f64 v[186:187], v[188:189], v[194:195], v[186:187]
	v_add_f64 v[164:165], v[164:165], -v[186:187]
	ds_read2_b64 v[186:189], v1 offset0:12 offset1:13
	s_waitcnt lgkmcnt(0)
	v_mul_f64 v[166:167], v[188:189], v[168:169]
	v_fma_f64 v[166:167], v[186:187], v[194:195], -v[166:167]
	v_mul_f64 v[186:187], v[186:187], v[168:169]
	v_add_f64 v[154:155], v[154:155], -v[166:167]
	v_fma_f64 v[186:187], v[188:189], v[194:195], v[186:187]
	v_add_f64 v[156:157], v[156:157], -v[186:187]
	;; [unrolled: 8-line block ×40, first 2 shown]
	ds_read2_b64 v[186:189], v1 offset0:90 offset1:91
	s_waitcnt lgkmcnt(0)
	v_mul_f64 v[166:167], v[188:189], v[168:169]
	v_fma_f64 v[166:167], v[186:187], v[194:195], -v[166:167]
	v_mul_f64 v[186:187], v[186:187], v[168:169]
	v_add_f64 v[2:3], v[2:3], -v[166:167]
	v_fma_f64 v[186:187], v[188:189], v[194:195], v[186:187]
	v_mov_b32_e32 v166, v194
	v_mov_b32_e32 v167, v195
	v_add_f64 v[4:5], v[4:5], -v[186:187]
.LBB90_104:
	s_or_b32 exec_lo, exec_lo, s0
	v_lshl_add_u32 v186, v200, 4, v1
	s_barrier
	buffer_gl0_inv
	v_mov_b32_e32 v194, 5
	ds_write2_b64 v186, v[162:163], v[164:165] offset1:1
	s_waitcnt lgkmcnt(0)
	s_barrier
	buffer_gl0_inv
	ds_read2_b64 v[186:189], v1 offset0:10 offset1:11
	s_cmp_lt_i32 s1, 7
	s_cbranch_scc1 .LBB90_107
; %bb.105:
	v_add3_u32 v195, v196, 0, 0x60
	v_mov_b32_e32 v194, 5
	s_mov_b32 s7, 6
	s_inst_prefetch 0x1
	.p2align	6
.LBB90_106:                             ; =>This Inner Loop Header: Depth=1
	s_waitcnt lgkmcnt(0)
	v_cmp_gt_f64_e32 vcc_lo, 0, v[188:189]
	v_cmp_gt_f64_e64 s0, 0, v[186:187]
	ds_read2_b64 v[201:204], v195 offset1:1
	v_xor_b32_e32 v206, 0x80000000, v187
	v_xor_b32_e32 v208, 0x80000000, v189
	v_mov_b32_e32 v205, v186
	v_mov_b32_e32 v207, v188
	v_add_nc_u32_e32 v195, 16, v195
	s_waitcnt lgkmcnt(0)
	v_xor_b32_e32 v210, 0x80000000, v204
	v_cndmask_b32_e64 v206, v187, v206, s0
	v_cndmask_b32_e32 v208, v189, v208, vcc_lo
	v_cmp_gt_f64_e32 vcc_lo, 0, v[203:204]
	v_cmp_gt_f64_e64 s0, 0, v[201:202]
	v_mov_b32_e32 v209, v203
	v_add_f64 v[205:206], v[205:206], v[207:208]
	v_xor_b32_e32 v208, 0x80000000, v202
	v_mov_b32_e32 v207, v201
	v_cndmask_b32_e32 v210, v204, v210, vcc_lo
	v_cndmask_b32_e64 v208, v202, v208, s0
	v_add_f64 v[207:208], v[207:208], v[209:210]
	v_cmp_lt_f64_e32 vcc_lo, v[205:206], v[207:208]
	v_cndmask_b32_e32 v187, v187, v202, vcc_lo
	v_cndmask_b32_e32 v186, v186, v201, vcc_lo
	;; [unrolled: 1-line block ×4, first 2 shown]
	v_cndmask_b32_e64 v194, v194, s7, vcc_lo
	s_add_i32 s7, s7, 1
	s_cmp_lg_u32 s1, s7
	s_cbranch_scc1 .LBB90_106
.LBB90_107:
	s_inst_prefetch 0x2
	s_waitcnt lgkmcnt(0)
	v_cmp_eq_f64_e32 vcc_lo, 0, v[186:187]
	v_cmp_eq_f64_e64 s0, 0, v[188:189]
	s_and_b32 s0, vcc_lo, s0
	s_and_saveexec_b32 s7, s0
	s_xor_b32 s0, exec_lo, s7
; %bb.108:
	v_cmp_ne_u32_e32 vcc_lo, 0, v199
	v_cndmask_b32_e32 v199, 6, v199, vcc_lo
; %bb.109:
	s_andn2_saveexec_b32 s0, s0
	s_cbranch_execz .LBB90_115
; %bb.110:
	v_cmp_ngt_f64_e64 s7, |v[186:187]|, |v[188:189]|
	s_and_saveexec_b32 s8, s7
	s_xor_b32 s7, exec_lo, s8
	s_cbranch_execz .LBB90_112
; %bb.111:
	v_div_scale_f64 v[201:202], null, v[188:189], v[188:189], v[186:187]
	v_div_scale_f64 v[207:208], vcc_lo, v[186:187], v[188:189], v[186:187]
	v_rcp_f64_e32 v[203:204], v[201:202]
	v_fma_f64 v[205:206], -v[201:202], v[203:204], 1.0
	v_fma_f64 v[203:204], v[203:204], v[205:206], v[203:204]
	v_fma_f64 v[205:206], -v[201:202], v[203:204], 1.0
	v_fma_f64 v[203:204], v[203:204], v[205:206], v[203:204]
	v_mul_f64 v[205:206], v[207:208], v[203:204]
	v_fma_f64 v[201:202], -v[201:202], v[205:206], v[207:208]
	v_div_fmas_f64 v[201:202], v[201:202], v[203:204], v[205:206]
	v_div_fixup_f64 v[201:202], v[201:202], v[188:189], v[186:187]
	v_fma_f64 v[186:187], v[186:187], v[201:202], v[188:189]
	v_div_scale_f64 v[188:189], null, v[186:187], v[186:187], 1.0
	v_rcp_f64_e32 v[203:204], v[188:189]
	v_fma_f64 v[205:206], -v[188:189], v[203:204], 1.0
	v_fma_f64 v[203:204], v[203:204], v[205:206], v[203:204]
	v_fma_f64 v[205:206], -v[188:189], v[203:204], 1.0
	v_fma_f64 v[203:204], v[203:204], v[205:206], v[203:204]
	v_div_scale_f64 v[205:206], vcc_lo, 1.0, v[186:187], 1.0
	v_mul_f64 v[207:208], v[205:206], v[203:204]
	v_fma_f64 v[188:189], -v[188:189], v[207:208], v[205:206]
	v_div_fmas_f64 v[188:189], v[188:189], v[203:204], v[207:208]
	v_div_fixup_f64 v[188:189], v[188:189], v[186:187], 1.0
	v_mul_f64 v[186:187], v[201:202], v[188:189]
	v_xor_b32_e32 v189, 0x80000000, v189
.LBB90_112:
	s_andn2_saveexec_b32 s7, s7
	s_cbranch_execz .LBB90_114
; %bb.113:
	v_div_scale_f64 v[201:202], null, v[186:187], v[186:187], v[188:189]
	v_div_scale_f64 v[207:208], vcc_lo, v[188:189], v[186:187], v[188:189]
	v_rcp_f64_e32 v[203:204], v[201:202]
	v_fma_f64 v[205:206], -v[201:202], v[203:204], 1.0
	v_fma_f64 v[203:204], v[203:204], v[205:206], v[203:204]
	v_fma_f64 v[205:206], -v[201:202], v[203:204], 1.0
	v_fma_f64 v[203:204], v[203:204], v[205:206], v[203:204]
	v_mul_f64 v[205:206], v[207:208], v[203:204]
	v_fma_f64 v[201:202], -v[201:202], v[205:206], v[207:208]
	v_div_fmas_f64 v[201:202], v[201:202], v[203:204], v[205:206]
	v_div_fixup_f64 v[201:202], v[201:202], v[186:187], v[188:189]
	v_fma_f64 v[186:187], v[188:189], v[201:202], v[186:187]
	v_div_scale_f64 v[188:189], null, v[186:187], v[186:187], 1.0
	v_rcp_f64_e32 v[203:204], v[188:189]
	v_fma_f64 v[205:206], -v[188:189], v[203:204], 1.0
	v_fma_f64 v[203:204], v[203:204], v[205:206], v[203:204]
	v_fma_f64 v[205:206], -v[188:189], v[203:204], 1.0
	v_fma_f64 v[203:204], v[203:204], v[205:206], v[203:204]
	v_div_scale_f64 v[205:206], vcc_lo, 1.0, v[186:187], 1.0
	v_mul_f64 v[207:208], v[205:206], v[203:204]
	v_fma_f64 v[188:189], -v[188:189], v[207:208], v[205:206]
	v_div_fmas_f64 v[188:189], v[188:189], v[203:204], v[207:208]
	v_div_fixup_f64 v[186:187], v[188:189], v[186:187], 1.0
	v_mul_f64 v[188:189], v[201:202], -v[186:187]
.LBB90_114:
	s_or_b32 exec_lo, exec_lo, s7
.LBB90_115:
	s_or_b32 exec_lo, exec_lo, s0
	s_mov_b32 s0, exec_lo
	v_cmpx_ne_u32_e64 v200, v194
	s_xor_b32 s0, exec_lo, s0
	s_cbranch_execz .LBB90_121
; %bb.116:
	s_mov_b32 s7, exec_lo
	v_cmpx_eq_u32_e32 5, v200
	s_cbranch_execz .LBB90_120
; %bb.117:
	v_cmp_ne_u32_e32 vcc_lo, 5, v194
	s_xor_b32 s8, s16, -1
	s_and_b32 s9, s8, vcc_lo
	s_and_saveexec_b32 s8, s9
	s_cbranch_execz .LBB90_119
; %bb.118:
	v_ashrrev_i32_e32 v195, 31, v194
	v_lshlrev_b64 v[200:201], 2, v[194:195]
	v_add_co_u32 v200, vcc_lo, v192, v200
	v_add_co_ci_u32_e64 v201, null, v193, v201, vcc_lo
	s_clause 0x1
	global_load_dword v0, v[200:201], off
	global_load_dword v195, v[192:193], off offset:20
	s_waitcnt vmcnt(1)
	global_store_dword v[192:193], v0, off offset:20
	s_waitcnt vmcnt(0)
	global_store_dword v[200:201], v195, off
.LBB90_119:
	s_or_b32 exec_lo, exec_lo, s8
	v_mov_b32_e32 v200, v194
	v_mov_b32_e32 v0, v194
.LBB90_120:
	s_or_b32 exec_lo, exec_lo, s7
.LBB90_121:
	s_andn2_saveexec_b32 s0, s0
	s_cbranch_execz .LBB90_123
; %bb.122:
	v_mov_b32_e32 v200, 5
	ds_write2_b64 v1, v[154:155], v[156:157] offset0:12 offset1:13
	ds_write2_b64 v1, v[150:151], v[152:153] offset0:14 offset1:15
	;; [unrolled: 1-line block ×40, first 2 shown]
.LBB90_123:
	s_or_b32 exec_lo, exec_lo, s0
	s_mov_b32 s0, exec_lo
	s_waitcnt lgkmcnt(0)
	s_waitcnt_vscnt null, 0x0
	s_barrier
	buffer_gl0_inv
	v_cmpx_lt_i32_e32 5, v200
	s_cbranch_execz .LBB90_125
; %bb.124:
	v_mul_f64 v[194:195], v[188:189], v[164:165]
	v_mul_f64 v[164:165], v[186:187], v[164:165]
	v_fma_f64 v[194:195], v[186:187], v[162:163], -v[194:195]
	v_fma_f64 v[164:165], v[188:189], v[162:163], v[164:165]
	ds_read2_b64 v[186:189], v1 offset0:12 offset1:13
	s_waitcnt lgkmcnt(0)
	v_mul_f64 v[162:163], v[188:189], v[164:165]
	v_fma_f64 v[162:163], v[186:187], v[194:195], -v[162:163]
	v_mul_f64 v[186:187], v[186:187], v[164:165]
	v_add_f64 v[154:155], v[154:155], -v[162:163]
	v_fma_f64 v[186:187], v[188:189], v[194:195], v[186:187]
	v_add_f64 v[156:157], v[156:157], -v[186:187]
	ds_read2_b64 v[186:189], v1 offset0:14 offset1:15
	s_waitcnt lgkmcnt(0)
	v_mul_f64 v[162:163], v[188:189], v[164:165]
	v_fma_f64 v[162:163], v[186:187], v[194:195], -v[162:163]
	v_mul_f64 v[186:187], v[186:187], v[164:165]
	v_add_f64 v[150:151], v[150:151], -v[162:163]
	v_fma_f64 v[186:187], v[188:189], v[194:195], v[186:187]
	v_add_f64 v[152:153], v[152:153], -v[186:187]
	ds_read2_b64 v[186:189], v1 offset0:16 offset1:17
	s_waitcnt lgkmcnt(0)
	v_mul_f64 v[162:163], v[188:189], v[164:165]
	v_fma_f64 v[162:163], v[186:187], v[194:195], -v[162:163]
	v_mul_f64 v[186:187], v[186:187], v[164:165]
	v_add_f64 v[158:159], v[158:159], -v[162:163]
	v_fma_f64 v[186:187], v[188:189], v[194:195], v[186:187]
	v_add_f64 v[160:161], v[160:161], -v[186:187]
	ds_read2_b64 v[186:189], v1 offset0:18 offset1:19
	s_waitcnt lgkmcnt(0)
	v_mul_f64 v[162:163], v[188:189], v[164:165]
	v_fma_f64 v[162:163], v[186:187], v[194:195], -v[162:163]
	v_mul_f64 v[186:187], v[186:187], v[164:165]
	v_add_f64 v[142:143], v[142:143], -v[162:163]
	v_fma_f64 v[186:187], v[188:189], v[194:195], v[186:187]
	v_add_f64 v[144:145], v[144:145], -v[186:187]
	ds_read2_b64 v[186:189], v1 offset0:20 offset1:21
	s_waitcnt lgkmcnt(0)
	v_mul_f64 v[162:163], v[188:189], v[164:165]
	v_fma_f64 v[162:163], v[186:187], v[194:195], -v[162:163]
	v_mul_f64 v[186:187], v[186:187], v[164:165]
	v_add_f64 v[146:147], v[146:147], -v[162:163]
	v_fma_f64 v[186:187], v[188:189], v[194:195], v[186:187]
	v_add_f64 v[148:149], v[148:149], -v[186:187]
	ds_read2_b64 v[186:189], v1 offset0:22 offset1:23
	s_waitcnt lgkmcnt(0)
	v_mul_f64 v[162:163], v[188:189], v[164:165]
	v_fma_f64 v[162:163], v[186:187], v[194:195], -v[162:163]
	v_mul_f64 v[186:187], v[186:187], v[164:165]
	v_add_f64 v[130:131], v[130:131], -v[162:163]
	v_fma_f64 v[186:187], v[188:189], v[194:195], v[186:187]
	v_add_f64 v[132:133], v[132:133], -v[186:187]
	ds_read2_b64 v[186:189], v1 offset0:24 offset1:25
	s_waitcnt lgkmcnt(0)
	v_mul_f64 v[162:163], v[188:189], v[164:165]
	v_fma_f64 v[162:163], v[186:187], v[194:195], -v[162:163]
	v_mul_f64 v[186:187], v[186:187], v[164:165]
	v_add_f64 v[138:139], v[138:139], -v[162:163]
	v_fma_f64 v[186:187], v[188:189], v[194:195], v[186:187]
	v_add_f64 v[140:141], v[140:141], -v[186:187]
	ds_read2_b64 v[186:189], v1 offset0:26 offset1:27
	s_waitcnt lgkmcnt(0)
	v_mul_f64 v[162:163], v[188:189], v[164:165]
	v_fma_f64 v[162:163], v[186:187], v[194:195], -v[162:163]
	v_mul_f64 v[186:187], v[186:187], v[164:165]
	v_add_f64 v[134:135], v[134:135], -v[162:163]
	v_fma_f64 v[186:187], v[188:189], v[194:195], v[186:187]
	v_add_f64 v[136:137], v[136:137], -v[186:187]
	ds_read2_b64 v[186:189], v1 offset0:28 offset1:29
	s_waitcnt lgkmcnt(0)
	v_mul_f64 v[162:163], v[188:189], v[164:165]
	v_fma_f64 v[162:163], v[186:187], v[194:195], -v[162:163]
	v_mul_f64 v[186:187], v[186:187], v[164:165]
	v_add_f64 v[126:127], v[126:127], -v[162:163]
	v_fma_f64 v[186:187], v[188:189], v[194:195], v[186:187]
	v_add_f64 v[128:129], v[128:129], -v[186:187]
	ds_read2_b64 v[186:189], v1 offset0:30 offset1:31
	s_waitcnt lgkmcnt(0)
	v_mul_f64 v[162:163], v[188:189], v[164:165]
	v_fma_f64 v[162:163], v[186:187], v[194:195], -v[162:163]
	v_mul_f64 v[186:187], v[186:187], v[164:165]
	v_add_f64 v[122:123], v[122:123], -v[162:163]
	v_fma_f64 v[186:187], v[188:189], v[194:195], v[186:187]
	v_add_f64 v[124:125], v[124:125], -v[186:187]
	ds_read2_b64 v[186:189], v1 offset0:32 offset1:33
	s_waitcnt lgkmcnt(0)
	v_mul_f64 v[162:163], v[188:189], v[164:165]
	v_fma_f64 v[162:163], v[186:187], v[194:195], -v[162:163]
	v_mul_f64 v[186:187], v[186:187], v[164:165]
	v_add_f64 v[114:115], v[114:115], -v[162:163]
	v_fma_f64 v[186:187], v[188:189], v[194:195], v[186:187]
	v_add_f64 v[116:117], v[116:117], -v[186:187]
	ds_read2_b64 v[186:189], v1 offset0:34 offset1:35
	s_waitcnt lgkmcnt(0)
	v_mul_f64 v[162:163], v[188:189], v[164:165]
	v_fma_f64 v[162:163], v[186:187], v[194:195], -v[162:163]
	v_mul_f64 v[186:187], v[186:187], v[164:165]
	v_add_f64 v[110:111], v[110:111], -v[162:163]
	v_fma_f64 v[186:187], v[188:189], v[194:195], v[186:187]
	v_add_f64 v[112:113], v[112:113], -v[186:187]
	ds_read2_b64 v[186:189], v1 offset0:36 offset1:37
	s_waitcnt lgkmcnt(0)
	v_mul_f64 v[162:163], v[188:189], v[164:165]
	v_fma_f64 v[162:163], v[186:187], v[194:195], -v[162:163]
	v_mul_f64 v[186:187], v[186:187], v[164:165]
	v_add_f64 v[118:119], v[118:119], -v[162:163]
	v_fma_f64 v[186:187], v[188:189], v[194:195], v[186:187]
	v_add_f64 v[120:121], v[120:121], -v[186:187]
	ds_read2_b64 v[186:189], v1 offset0:38 offset1:39
	s_waitcnt lgkmcnt(0)
	v_mul_f64 v[162:163], v[188:189], v[164:165]
	v_fma_f64 v[162:163], v[186:187], v[194:195], -v[162:163]
	v_mul_f64 v[186:187], v[186:187], v[164:165]
	v_add_f64 v[102:103], v[102:103], -v[162:163]
	v_fma_f64 v[186:187], v[188:189], v[194:195], v[186:187]
	v_add_f64 v[104:105], v[104:105], -v[186:187]
	ds_read2_b64 v[186:189], v1 offset0:40 offset1:41
	s_waitcnt lgkmcnt(0)
	v_mul_f64 v[162:163], v[188:189], v[164:165]
	v_fma_f64 v[162:163], v[186:187], v[194:195], -v[162:163]
	v_mul_f64 v[186:187], v[186:187], v[164:165]
	v_add_f64 v[106:107], v[106:107], -v[162:163]
	v_fma_f64 v[186:187], v[188:189], v[194:195], v[186:187]
	v_add_f64 v[108:109], v[108:109], -v[186:187]
	ds_read2_b64 v[186:189], v1 offset0:42 offset1:43
	s_waitcnt lgkmcnt(0)
	v_mul_f64 v[162:163], v[188:189], v[164:165]
	v_fma_f64 v[162:163], v[186:187], v[194:195], -v[162:163]
	v_mul_f64 v[186:187], v[186:187], v[164:165]
	v_add_f64 v[90:91], v[90:91], -v[162:163]
	v_fma_f64 v[186:187], v[188:189], v[194:195], v[186:187]
	v_add_f64 v[92:93], v[92:93], -v[186:187]
	ds_read2_b64 v[186:189], v1 offset0:44 offset1:45
	s_waitcnt lgkmcnt(0)
	v_mul_f64 v[162:163], v[188:189], v[164:165]
	v_fma_f64 v[162:163], v[186:187], v[194:195], -v[162:163]
	v_mul_f64 v[186:187], v[186:187], v[164:165]
	v_add_f64 v[98:99], v[98:99], -v[162:163]
	v_fma_f64 v[186:187], v[188:189], v[194:195], v[186:187]
	v_add_f64 v[100:101], v[100:101], -v[186:187]
	ds_read2_b64 v[186:189], v1 offset0:46 offset1:47
	s_waitcnt lgkmcnt(0)
	v_mul_f64 v[162:163], v[188:189], v[164:165]
	v_fma_f64 v[162:163], v[186:187], v[194:195], -v[162:163]
	v_mul_f64 v[186:187], v[186:187], v[164:165]
	v_add_f64 v[94:95], v[94:95], -v[162:163]
	v_fma_f64 v[186:187], v[188:189], v[194:195], v[186:187]
	v_add_f64 v[96:97], v[96:97], -v[186:187]
	ds_read2_b64 v[186:189], v1 offset0:48 offset1:49
	s_waitcnt lgkmcnt(0)
	v_mul_f64 v[162:163], v[188:189], v[164:165]
	v_fma_f64 v[162:163], v[186:187], v[194:195], -v[162:163]
	v_mul_f64 v[186:187], v[186:187], v[164:165]
	v_add_f64 v[86:87], v[86:87], -v[162:163]
	v_fma_f64 v[186:187], v[188:189], v[194:195], v[186:187]
	v_add_f64 v[88:89], v[88:89], -v[186:187]
	ds_read2_b64 v[186:189], v1 offset0:50 offset1:51
	s_waitcnt lgkmcnt(0)
	v_mul_f64 v[162:163], v[188:189], v[164:165]
	v_fma_f64 v[162:163], v[186:187], v[194:195], -v[162:163]
	v_mul_f64 v[186:187], v[186:187], v[164:165]
	v_add_f64 v[82:83], v[82:83], -v[162:163]
	v_fma_f64 v[186:187], v[188:189], v[194:195], v[186:187]
	v_add_f64 v[84:85], v[84:85], -v[186:187]
	ds_read2_b64 v[186:189], v1 offset0:52 offset1:53
	s_waitcnt lgkmcnt(0)
	v_mul_f64 v[162:163], v[188:189], v[164:165]
	v_fma_f64 v[162:163], v[186:187], v[194:195], -v[162:163]
	v_mul_f64 v[186:187], v[186:187], v[164:165]
	v_add_f64 v[74:75], v[74:75], -v[162:163]
	v_fma_f64 v[186:187], v[188:189], v[194:195], v[186:187]
	v_add_f64 v[76:77], v[76:77], -v[186:187]
	ds_read2_b64 v[186:189], v1 offset0:54 offset1:55
	s_waitcnt lgkmcnt(0)
	v_mul_f64 v[162:163], v[188:189], v[164:165]
	v_fma_f64 v[162:163], v[186:187], v[194:195], -v[162:163]
	v_mul_f64 v[186:187], v[186:187], v[164:165]
	v_add_f64 v[70:71], v[70:71], -v[162:163]
	v_fma_f64 v[186:187], v[188:189], v[194:195], v[186:187]
	v_add_f64 v[72:73], v[72:73], -v[186:187]
	ds_read2_b64 v[186:189], v1 offset0:56 offset1:57
	s_waitcnt lgkmcnt(0)
	v_mul_f64 v[162:163], v[188:189], v[164:165]
	v_fma_f64 v[162:163], v[186:187], v[194:195], -v[162:163]
	v_mul_f64 v[186:187], v[186:187], v[164:165]
	v_add_f64 v[78:79], v[78:79], -v[162:163]
	v_fma_f64 v[186:187], v[188:189], v[194:195], v[186:187]
	v_add_f64 v[80:81], v[80:81], -v[186:187]
	ds_read2_b64 v[186:189], v1 offset0:58 offset1:59
	s_waitcnt lgkmcnt(0)
	v_mul_f64 v[162:163], v[188:189], v[164:165]
	v_fma_f64 v[162:163], v[186:187], v[194:195], -v[162:163]
	v_mul_f64 v[186:187], v[186:187], v[164:165]
	v_add_f64 v[54:55], v[54:55], -v[162:163]
	v_fma_f64 v[186:187], v[188:189], v[194:195], v[186:187]
	v_add_f64 v[56:57], v[56:57], -v[186:187]
	ds_read2_b64 v[186:189], v1 offset0:60 offset1:61
	s_waitcnt lgkmcnt(0)
	v_mul_f64 v[162:163], v[188:189], v[164:165]
	v_fma_f64 v[162:163], v[186:187], v[194:195], -v[162:163]
	v_mul_f64 v[186:187], v[186:187], v[164:165]
	v_add_f64 v[58:59], v[58:59], -v[162:163]
	v_fma_f64 v[186:187], v[188:189], v[194:195], v[186:187]
	v_add_f64 v[60:61], v[60:61], -v[186:187]
	ds_read2_b64 v[186:189], v1 offset0:62 offset1:63
	s_waitcnt lgkmcnt(0)
	v_mul_f64 v[162:163], v[188:189], v[164:165]
	v_fma_f64 v[162:163], v[186:187], v[194:195], -v[162:163]
	v_mul_f64 v[186:187], v[186:187], v[164:165]
	v_add_f64 v[42:43], v[42:43], -v[162:163]
	v_fma_f64 v[186:187], v[188:189], v[194:195], v[186:187]
	v_add_f64 v[44:45], v[44:45], -v[186:187]
	ds_read2_b64 v[186:189], v1 offset0:64 offset1:65
	s_waitcnt lgkmcnt(0)
	v_mul_f64 v[162:163], v[188:189], v[164:165]
	v_fma_f64 v[162:163], v[186:187], v[194:195], -v[162:163]
	v_mul_f64 v[186:187], v[186:187], v[164:165]
	v_add_f64 v[62:63], v[62:63], -v[162:163]
	v_fma_f64 v[186:187], v[188:189], v[194:195], v[186:187]
	v_add_f64 v[64:65], v[64:65], -v[186:187]
	ds_read2_b64 v[186:189], v1 offset0:66 offset1:67
	s_waitcnt lgkmcnt(0)
	v_mul_f64 v[162:163], v[188:189], v[164:165]
	v_fma_f64 v[162:163], v[186:187], v[194:195], -v[162:163]
	v_mul_f64 v[186:187], v[186:187], v[164:165]
	v_add_f64 v[66:67], v[66:67], -v[162:163]
	v_fma_f64 v[186:187], v[188:189], v[194:195], v[186:187]
	v_add_f64 v[68:69], v[68:69], -v[186:187]
	ds_read2_b64 v[186:189], v1 offset0:68 offset1:69
	s_waitcnt lgkmcnt(0)
	v_mul_f64 v[162:163], v[188:189], v[164:165]
	v_fma_f64 v[162:163], v[186:187], v[194:195], -v[162:163]
	v_mul_f64 v[186:187], v[186:187], v[164:165]
	v_add_f64 v[50:51], v[50:51], -v[162:163]
	v_fma_f64 v[186:187], v[188:189], v[194:195], v[186:187]
	v_add_f64 v[52:53], v[52:53], -v[186:187]
	ds_read2_b64 v[186:189], v1 offset0:70 offset1:71
	s_waitcnt lgkmcnt(0)
	v_mul_f64 v[162:163], v[188:189], v[164:165]
	v_fma_f64 v[162:163], v[186:187], v[194:195], -v[162:163]
	v_mul_f64 v[186:187], v[186:187], v[164:165]
	v_add_f64 v[46:47], v[46:47], -v[162:163]
	v_fma_f64 v[186:187], v[188:189], v[194:195], v[186:187]
	v_add_f64 v[48:49], v[48:49], -v[186:187]
	ds_read2_b64 v[186:189], v1 offset0:72 offset1:73
	s_waitcnt lgkmcnt(0)
	v_mul_f64 v[162:163], v[188:189], v[164:165]
	v_fma_f64 v[162:163], v[186:187], v[194:195], -v[162:163]
	v_mul_f64 v[186:187], v[186:187], v[164:165]
	v_add_f64 v[38:39], v[38:39], -v[162:163]
	v_fma_f64 v[186:187], v[188:189], v[194:195], v[186:187]
	v_add_f64 v[40:41], v[40:41], -v[186:187]
	ds_read2_b64 v[186:189], v1 offset0:74 offset1:75
	s_waitcnt lgkmcnt(0)
	v_mul_f64 v[162:163], v[188:189], v[164:165]
	v_fma_f64 v[162:163], v[186:187], v[194:195], -v[162:163]
	v_mul_f64 v[186:187], v[186:187], v[164:165]
	v_add_f64 v[34:35], v[34:35], -v[162:163]
	v_fma_f64 v[186:187], v[188:189], v[194:195], v[186:187]
	v_add_f64 v[36:37], v[36:37], -v[186:187]
	ds_read2_b64 v[186:189], v1 offset0:76 offset1:77
	s_waitcnt lgkmcnt(0)
	v_mul_f64 v[162:163], v[188:189], v[164:165]
	v_fma_f64 v[162:163], v[186:187], v[194:195], -v[162:163]
	v_mul_f64 v[186:187], v[186:187], v[164:165]
	v_add_f64 v[30:31], v[30:31], -v[162:163]
	v_fma_f64 v[186:187], v[188:189], v[194:195], v[186:187]
	v_add_f64 v[32:33], v[32:33], -v[186:187]
	ds_read2_b64 v[186:189], v1 offset0:78 offset1:79
	s_waitcnt lgkmcnt(0)
	v_mul_f64 v[162:163], v[188:189], v[164:165]
	v_fma_f64 v[162:163], v[186:187], v[194:195], -v[162:163]
	v_mul_f64 v[186:187], v[186:187], v[164:165]
	v_add_f64 v[26:27], v[26:27], -v[162:163]
	v_fma_f64 v[186:187], v[188:189], v[194:195], v[186:187]
	v_add_f64 v[28:29], v[28:29], -v[186:187]
	ds_read2_b64 v[186:189], v1 offset0:80 offset1:81
	s_waitcnt lgkmcnt(0)
	v_mul_f64 v[162:163], v[188:189], v[164:165]
	v_fma_f64 v[162:163], v[186:187], v[194:195], -v[162:163]
	v_mul_f64 v[186:187], v[186:187], v[164:165]
	v_add_f64 v[22:23], v[22:23], -v[162:163]
	v_fma_f64 v[186:187], v[188:189], v[194:195], v[186:187]
	v_add_f64 v[24:25], v[24:25], -v[186:187]
	ds_read2_b64 v[186:189], v1 offset0:82 offset1:83
	s_waitcnt lgkmcnt(0)
	v_mul_f64 v[162:163], v[188:189], v[164:165]
	v_fma_f64 v[162:163], v[186:187], v[194:195], -v[162:163]
	v_mul_f64 v[186:187], v[186:187], v[164:165]
	v_add_f64 v[18:19], v[18:19], -v[162:163]
	v_fma_f64 v[186:187], v[188:189], v[194:195], v[186:187]
	v_add_f64 v[20:21], v[20:21], -v[186:187]
	ds_read2_b64 v[186:189], v1 offset0:84 offset1:85
	s_waitcnt lgkmcnt(0)
	v_mul_f64 v[162:163], v[188:189], v[164:165]
	v_fma_f64 v[162:163], v[186:187], v[194:195], -v[162:163]
	v_mul_f64 v[186:187], v[186:187], v[164:165]
	v_add_f64 v[14:15], v[14:15], -v[162:163]
	v_fma_f64 v[186:187], v[188:189], v[194:195], v[186:187]
	v_add_f64 v[16:17], v[16:17], -v[186:187]
	ds_read2_b64 v[186:189], v1 offset0:86 offset1:87
	s_waitcnt lgkmcnt(0)
	v_mul_f64 v[162:163], v[188:189], v[164:165]
	v_fma_f64 v[162:163], v[186:187], v[194:195], -v[162:163]
	v_mul_f64 v[186:187], v[186:187], v[164:165]
	v_add_f64 v[10:11], v[10:11], -v[162:163]
	v_fma_f64 v[186:187], v[188:189], v[194:195], v[186:187]
	v_add_f64 v[12:13], v[12:13], -v[186:187]
	ds_read2_b64 v[186:189], v1 offset0:88 offset1:89
	s_waitcnt lgkmcnt(0)
	v_mul_f64 v[162:163], v[188:189], v[164:165]
	v_fma_f64 v[162:163], v[186:187], v[194:195], -v[162:163]
	v_mul_f64 v[186:187], v[186:187], v[164:165]
	v_add_f64 v[6:7], v[6:7], -v[162:163]
	v_fma_f64 v[186:187], v[188:189], v[194:195], v[186:187]
	v_add_f64 v[8:9], v[8:9], -v[186:187]
	ds_read2_b64 v[186:189], v1 offset0:90 offset1:91
	s_waitcnt lgkmcnt(0)
	v_mul_f64 v[162:163], v[188:189], v[164:165]
	v_fma_f64 v[162:163], v[186:187], v[194:195], -v[162:163]
	v_mul_f64 v[186:187], v[186:187], v[164:165]
	v_add_f64 v[2:3], v[2:3], -v[162:163]
	v_fma_f64 v[186:187], v[188:189], v[194:195], v[186:187]
	v_mov_b32_e32 v162, v194
	v_mov_b32_e32 v163, v195
	v_add_f64 v[4:5], v[4:5], -v[186:187]
.LBB90_125:
	s_or_b32 exec_lo, exec_lo, s0
	v_lshl_add_u32 v186, v200, 4, v1
	s_barrier
	buffer_gl0_inv
	v_mov_b32_e32 v194, 6
	ds_write2_b64 v186, v[154:155], v[156:157] offset1:1
	s_waitcnt lgkmcnt(0)
	s_barrier
	buffer_gl0_inv
	ds_read2_b64 v[186:189], v1 offset0:12 offset1:13
	s_cmp_lt_i32 s1, 8
	s_cbranch_scc1 .LBB90_128
; %bb.126:
	v_add3_u32 v195, v196, 0, 0x70
	v_mov_b32_e32 v194, 6
	s_mov_b32 s7, 7
	s_inst_prefetch 0x1
	.p2align	6
.LBB90_127:                             ; =>This Inner Loop Header: Depth=1
	s_waitcnt lgkmcnt(0)
	v_cmp_gt_f64_e32 vcc_lo, 0, v[188:189]
	v_cmp_gt_f64_e64 s0, 0, v[186:187]
	ds_read2_b64 v[201:204], v195 offset1:1
	v_xor_b32_e32 v206, 0x80000000, v187
	v_xor_b32_e32 v208, 0x80000000, v189
	v_mov_b32_e32 v205, v186
	v_mov_b32_e32 v207, v188
	v_add_nc_u32_e32 v195, 16, v195
	s_waitcnt lgkmcnt(0)
	v_xor_b32_e32 v210, 0x80000000, v204
	v_cndmask_b32_e64 v206, v187, v206, s0
	v_cndmask_b32_e32 v208, v189, v208, vcc_lo
	v_cmp_gt_f64_e32 vcc_lo, 0, v[203:204]
	v_cmp_gt_f64_e64 s0, 0, v[201:202]
	v_mov_b32_e32 v209, v203
	v_add_f64 v[205:206], v[205:206], v[207:208]
	v_xor_b32_e32 v208, 0x80000000, v202
	v_mov_b32_e32 v207, v201
	v_cndmask_b32_e32 v210, v204, v210, vcc_lo
	v_cndmask_b32_e64 v208, v202, v208, s0
	v_add_f64 v[207:208], v[207:208], v[209:210]
	v_cmp_lt_f64_e32 vcc_lo, v[205:206], v[207:208]
	v_cndmask_b32_e32 v187, v187, v202, vcc_lo
	v_cndmask_b32_e32 v186, v186, v201, vcc_lo
	v_cndmask_b32_e32 v189, v189, v204, vcc_lo
	v_cndmask_b32_e32 v188, v188, v203, vcc_lo
	v_cndmask_b32_e64 v194, v194, s7, vcc_lo
	s_add_i32 s7, s7, 1
	s_cmp_lg_u32 s1, s7
	s_cbranch_scc1 .LBB90_127
.LBB90_128:
	s_inst_prefetch 0x2
	s_waitcnt lgkmcnt(0)
	v_cmp_eq_f64_e32 vcc_lo, 0, v[186:187]
	v_cmp_eq_f64_e64 s0, 0, v[188:189]
	s_and_b32 s0, vcc_lo, s0
	s_and_saveexec_b32 s7, s0
	s_xor_b32 s0, exec_lo, s7
; %bb.129:
	v_cmp_ne_u32_e32 vcc_lo, 0, v199
	v_cndmask_b32_e32 v199, 7, v199, vcc_lo
; %bb.130:
	s_andn2_saveexec_b32 s0, s0
	s_cbranch_execz .LBB90_136
; %bb.131:
	v_cmp_ngt_f64_e64 s7, |v[186:187]|, |v[188:189]|
	s_and_saveexec_b32 s8, s7
	s_xor_b32 s7, exec_lo, s8
	s_cbranch_execz .LBB90_133
; %bb.132:
	v_div_scale_f64 v[201:202], null, v[188:189], v[188:189], v[186:187]
	v_div_scale_f64 v[207:208], vcc_lo, v[186:187], v[188:189], v[186:187]
	v_rcp_f64_e32 v[203:204], v[201:202]
	v_fma_f64 v[205:206], -v[201:202], v[203:204], 1.0
	v_fma_f64 v[203:204], v[203:204], v[205:206], v[203:204]
	v_fma_f64 v[205:206], -v[201:202], v[203:204], 1.0
	v_fma_f64 v[203:204], v[203:204], v[205:206], v[203:204]
	v_mul_f64 v[205:206], v[207:208], v[203:204]
	v_fma_f64 v[201:202], -v[201:202], v[205:206], v[207:208]
	v_div_fmas_f64 v[201:202], v[201:202], v[203:204], v[205:206]
	v_div_fixup_f64 v[201:202], v[201:202], v[188:189], v[186:187]
	v_fma_f64 v[186:187], v[186:187], v[201:202], v[188:189]
	v_div_scale_f64 v[188:189], null, v[186:187], v[186:187], 1.0
	v_rcp_f64_e32 v[203:204], v[188:189]
	v_fma_f64 v[205:206], -v[188:189], v[203:204], 1.0
	v_fma_f64 v[203:204], v[203:204], v[205:206], v[203:204]
	v_fma_f64 v[205:206], -v[188:189], v[203:204], 1.0
	v_fma_f64 v[203:204], v[203:204], v[205:206], v[203:204]
	v_div_scale_f64 v[205:206], vcc_lo, 1.0, v[186:187], 1.0
	v_mul_f64 v[207:208], v[205:206], v[203:204]
	v_fma_f64 v[188:189], -v[188:189], v[207:208], v[205:206]
	v_div_fmas_f64 v[188:189], v[188:189], v[203:204], v[207:208]
	v_div_fixup_f64 v[188:189], v[188:189], v[186:187], 1.0
	v_mul_f64 v[186:187], v[201:202], v[188:189]
	v_xor_b32_e32 v189, 0x80000000, v189
.LBB90_133:
	s_andn2_saveexec_b32 s7, s7
	s_cbranch_execz .LBB90_135
; %bb.134:
	v_div_scale_f64 v[201:202], null, v[186:187], v[186:187], v[188:189]
	v_div_scale_f64 v[207:208], vcc_lo, v[188:189], v[186:187], v[188:189]
	v_rcp_f64_e32 v[203:204], v[201:202]
	v_fma_f64 v[205:206], -v[201:202], v[203:204], 1.0
	v_fma_f64 v[203:204], v[203:204], v[205:206], v[203:204]
	v_fma_f64 v[205:206], -v[201:202], v[203:204], 1.0
	v_fma_f64 v[203:204], v[203:204], v[205:206], v[203:204]
	v_mul_f64 v[205:206], v[207:208], v[203:204]
	v_fma_f64 v[201:202], -v[201:202], v[205:206], v[207:208]
	v_div_fmas_f64 v[201:202], v[201:202], v[203:204], v[205:206]
	v_div_fixup_f64 v[201:202], v[201:202], v[186:187], v[188:189]
	v_fma_f64 v[186:187], v[188:189], v[201:202], v[186:187]
	v_div_scale_f64 v[188:189], null, v[186:187], v[186:187], 1.0
	v_rcp_f64_e32 v[203:204], v[188:189]
	v_fma_f64 v[205:206], -v[188:189], v[203:204], 1.0
	v_fma_f64 v[203:204], v[203:204], v[205:206], v[203:204]
	v_fma_f64 v[205:206], -v[188:189], v[203:204], 1.0
	v_fma_f64 v[203:204], v[203:204], v[205:206], v[203:204]
	v_div_scale_f64 v[205:206], vcc_lo, 1.0, v[186:187], 1.0
	v_mul_f64 v[207:208], v[205:206], v[203:204]
	v_fma_f64 v[188:189], -v[188:189], v[207:208], v[205:206]
	v_div_fmas_f64 v[188:189], v[188:189], v[203:204], v[207:208]
	v_div_fixup_f64 v[186:187], v[188:189], v[186:187], 1.0
	v_mul_f64 v[188:189], v[201:202], -v[186:187]
.LBB90_135:
	s_or_b32 exec_lo, exec_lo, s7
.LBB90_136:
	s_or_b32 exec_lo, exec_lo, s0
	s_mov_b32 s0, exec_lo
	v_cmpx_ne_u32_e64 v200, v194
	s_xor_b32 s0, exec_lo, s0
	s_cbranch_execz .LBB90_142
; %bb.137:
	s_mov_b32 s7, exec_lo
	v_cmpx_eq_u32_e32 6, v200
	s_cbranch_execz .LBB90_141
; %bb.138:
	v_cmp_ne_u32_e32 vcc_lo, 6, v194
	s_xor_b32 s8, s16, -1
	s_and_b32 s9, s8, vcc_lo
	s_and_saveexec_b32 s8, s9
	s_cbranch_execz .LBB90_140
; %bb.139:
	v_ashrrev_i32_e32 v195, 31, v194
	v_lshlrev_b64 v[200:201], 2, v[194:195]
	v_add_co_u32 v200, vcc_lo, v192, v200
	v_add_co_ci_u32_e64 v201, null, v193, v201, vcc_lo
	s_clause 0x1
	global_load_dword v0, v[200:201], off
	global_load_dword v195, v[192:193], off offset:24
	s_waitcnt vmcnt(1)
	global_store_dword v[192:193], v0, off offset:24
	s_waitcnt vmcnt(0)
	global_store_dword v[200:201], v195, off
.LBB90_140:
	s_or_b32 exec_lo, exec_lo, s8
	v_mov_b32_e32 v200, v194
	v_mov_b32_e32 v0, v194
.LBB90_141:
	s_or_b32 exec_lo, exec_lo, s7
.LBB90_142:
	s_andn2_saveexec_b32 s0, s0
	s_cbranch_execz .LBB90_144
; %bb.143:
	v_mov_b32_e32 v200, 6
	ds_write2_b64 v1, v[150:151], v[152:153] offset0:14 offset1:15
	ds_write2_b64 v1, v[158:159], v[160:161] offset0:16 offset1:17
	;; [unrolled: 1-line block ×39, first 2 shown]
.LBB90_144:
	s_or_b32 exec_lo, exec_lo, s0
	s_mov_b32 s0, exec_lo
	s_waitcnt lgkmcnt(0)
	s_waitcnt_vscnt null, 0x0
	s_barrier
	buffer_gl0_inv
	v_cmpx_lt_i32_e32 6, v200
	s_cbranch_execz .LBB90_146
; %bb.145:
	v_mul_f64 v[194:195], v[188:189], v[156:157]
	v_mul_f64 v[156:157], v[186:187], v[156:157]
	v_fma_f64 v[194:195], v[186:187], v[154:155], -v[194:195]
	v_fma_f64 v[156:157], v[188:189], v[154:155], v[156:157]
	ds_read2_b64 v[186:189], v1 offset0:14 offset1:15
	s_waitcnt lgkmcnt(0)
	v_mul_f64 v[154:155], v[188:189], v[156:157]
	v_fma_f64 v[154:155], v[186:187], v[194:195], -v[154:155]
	v_mul_f64 v[186:187], v[186:187], v[156:157]
	v_add_f64 v[150:151], v[150:151], -v[154:155]
	v_fma_f64 v[186:187], v[188:189], v[194:195], v[186:187]
	v_add_f64 v[152:153], v[152:153], -v[186:187]
	ds_read2_b64 v[186:189], v1 offset0:16 offset1:17
	s_waitcnt lgkmcnt(0)
	v_mul_f64 v[154:155], v[188:189], v[156:157]
	v_fma_f64 v[154:155], v[186:187], v[194:195], -v[154:155]
	v_mul_f64 v[186:187], v[186:187], v[156:157]
	v_add_f64 v[158:159], v[158:159], -v[154:155]
	v_fma_f64 v[186:187], v[188:189], v[194:195], v[186:187]
	v_add_f64 v[160:161], v[160:161], -v[186:187]
	;; [unrolled: 8-line block ×38, first 2 shown]
	ds_read2_b64 v[186:189], v1 offset0:90 offset1:91
	s_waitcnt lgkmcnt(0)
	v_mul_f64 v[154:155], v[188:189], v[156:157]
	v_fma_f64 v[154:155], v[186:187], v[194:195], -v[154:155]
	v_mul_f64 v[186:187], v[186:187], v[156:157]
	v_add_f64 v[2:3], v[2:3], -v[154:155]
	v_fma_f64 v[186:187], v[188:189], v[194:195], v[186:187]
	v_mov_b32_e32 v154, v194
	v_mov_b32_e32 v155, v195
	v_add_f64 v[4:5], v[4:5], -v[186:187]
.LBB90_146:
	s_or_b32 exec_lo, exec_lo, s0
	v_lshl_add_u32 v186, v200, 4, v1
	s_barrier
	buffer_gl0_inv
	v_mov_b32_e32 v194, 7
	ds_write2_b64 v186, v[150:151], v[152:153] offset1:1
	s_waitcnt lgkmcnt(0)
	s_barrier
	buffer_gl0_inv
	ds_read2_b64 v[186:189], v1 offset0:14 offset1:15
	s_cmp_lt_i32 s1, 9
	s_cbranch_scc1 .LBB90_149
; %bb.147:
	v_add3_u32 v195, v196, 0, 0x80
	v_mov_b32_e32 v194, 7
	s_mov_b32 s7, 8
	s_inst_prefetch 0x1
	.p2align	6
.LBB90_148:                             ; =>This Inner Loop Header: Depth=1
	s_waitcnt lgkmcnt(0)
	v_cmp_gt_f64_e32 vcc_lo, 0, v[188:189]
	v_cmp_gt_f64_e64 s0, 0, v[186:187]
	ds_read2_b64 v[201:204], v195 offset1:1
	v_xor_b32_e32 v206, 0x80000000, v187
	v_xor_b32_e32 v208, 0x80000000, v189
	v_mov_b32_e32 v205, v186
	v_mov_b32_e32 v207, v188
	v_add_nc_u32_e32 v195, 16, v195
	s_waitcnt lgkmcnt(0)
	v_xor_b32_e32 v210, 0x80000000, v204
	v_cndmask_b32_e64 v206, v187, v206, s0
	v_cndmask_b32_e32 v208, v189, v208, vcc_lo
	v_cmp_gt_f64_e32 vcc_lo, 0, v[203:204]
	v_cmp_gt_f64_e64 s0, 0, v[201:202]
	v_mov_b32_e32 v209, v203
	v_add_f64 v[205:206], v[205:206], v[207:208]
	v_xor_b32_e32 v208, 0x80000000, v202
	v_mov_b32_e32 v207, v201
	v_cndmask_b32_e32 v210, v204, v210, vcc_lo
	v_cndmask_b32_e64 v208, v202, v208, s0
	v_add_f64 v[207:208], v[207:208], v[209:210]
	v_cmp_lt_f64_e32 vcc_lo, v[205:206], v[207:208]
	v_cndmask_b32_e32 v187, v187, v202, vcc_lo
	v_cndmask_b32_e32 v186, v186, v201, vcc_lo
	;; [unrolled: 1-line block ×4, first 2 shown]
	v_cndmask_b32_e64 v194, v194, s7, vcc_lo
	s_add_i32 s7, s7, 1
	s_cmp_lg_u32 s1, s7
	s_cbranch_scc1 .LBB90_148
.LBB90_149:
	s_inst_prefetch 0x2
	s_waitcnt lgkmcnt(0)
	v_cmp_eq_f64_e32 vcc_lo, 0, v[186:187]
	v_cmp_eq_f64_e64 s0, 0, v[188:189]
	s_and_b32 s0, vcc_lo, s0
	s_and_saveexec_b32 s7, s0
	s_xor_b32 s0, exec_lo, s7
; %bb.150:
	v_cmp_ne_u32_e32 vcc_lo, 0, v199
	v_cndmask_b32_e32 v199, 8, v199, vcc_lo
; %bb.151:
	s_andn2_saveexec_b32 s0, s0
	s_cbranch_execz .LBB90_157
; %bb.152:
	v_cmp_ngt_f64_e64 s7, |v[186:187]|, |v[188:189]|
	s_and_saveexec_b32 s8, s7
	s_xor_b32 s7, exec_lo, s8
	s_cbranch_execz .LBB90_154
; %bb.153:
	v_div_scale_f64 v[201:202], null, v[188:189], v[188:189], v[186:187]
	v_div_scale_f64 v[207:208], vcc_lo, v[186:187], v[188:189], v[186:187]
	v_rcp_f64_e32 v[203:204], v[201:202]
	v_fma_f64 v[205:206], -v[201:202], v[203:204], 1.0
	v_fma_f64 v[203:204], v[203:204], v[205:206], v[203:204]
	v_fma_f64 v[205:206], -v[201:202], v[203:204], 1.0
	v_fma_f64 v[203:204], v[203:204], v[205:206], v[203:204]
	v_mul_f64 v[205:206], v[207:208], v[203:204]
	v_fma_f64 v[201:202], -v[201:202], v[205:206], v[207:208]
	v_div_fmas_f64 v[201:202], v[201:202], v[203:204], v[205:206]
	v_div_fixup_f64 v[201:202], v[201:202], v[188:189], v[186:187]
	v_fma_f64 v[186:187], v[186:187], v[201:202], v[188:189]
	v_div_scale_f64 v[188:189], null, v[186:187], v[186:187], 1.0
	v_rcp_f64_e32 v[203:204], v[188:189]
	v_fma_f64 v[205:206], -v[188:189], v[203:204], 1.0
	v_fma_f64 v[203:204], v[203:204], v[205:206], v[203:204]
	v_fma_f64 v[205:206], -v[188:189], v[203:204], 1.0
	v_fma_f64 v[203:204], v[203:204], v[205:206], v[203:204]
	v_div_scale_f64 v[205:206], vcc_lo, 1.0, v[186:187], 1.0
	v_mul_f64 v[207:208], v[205:206], v[203:204]
	v_fma_f64 v[188:189], -v[188:189], v[207:208], v[205:206]
	v_div_fmas_f64 v[188:189], v[188:189], v[203:204], v[207:208]
	v_div_fixup_f64 v[188:189], v[188:189], v[186:187], 1.0
	v_mul_f64 v[186:187], v[201:202], v[188:189]
	v_xor_b32_e32 v189, 0x80000000, v189
.LBB90_154:
	s_andn2_saveexec_b32 s7, s7
	s_cbranch_execz .LBB90_156
; %bb.155:
	v_div_scale_f64 v[201:202], null, v[186:187], v[186:187], v[188:189]
	v_div_scale_f64 v[207:208], vcc_lo, v[188:189], v[186:187], v[188:189]
	v_rcp_f64_e32 v[203:204], v[201:202]
	v_fma_f64 v[205:206], -v[201:202], v[203:204], 1.0
	v_fma_f64 v[203:204], v[203:204], v[205:206], v[203:204]
	v_fma_f64 v[205:206], -v[201:202], v[203:204], 1.0
	v_fma_f64 v[203:204], v[203:204], v[205:206], v[203:204]
	v_mul_f64 v[205:206], v[207:208], v[203:204]
	v_fma_f64 v[201:202], -v[201:202], v[205:206], v[207:208]
	v_div_fmas_f64 v[201:202], v[201:202], v[203:204], v[205:206]
	v_div_fixup_f64 v[201:202], v[201:202], v[186:187], v[188:189]
	v_fma_f64 v[186:187], v[188:189], v[201:202], v[186:187]
	v_div_scale_f64 v[188:189], null, v[186:187], v[186:187], 1.0
	v_rcp_f64_e32 v[203:204], v[188:189]
	v_fma_f64 v[205:206], -v[188:189], v[203:204], 1.0
	v_fma_f64 v[203:204], v[203:204], v[205:206], v[203:204]
	v_fma_f64 v[205:206], -v[188:189], v[203:204], 1.0
	v_fma_f64 v[203:204], v[203:204], v[205:206], v[203:204]
	v_div_scale_f64 v[205:206], vcc_lo, 1.0, v[186:187], 1.0
	v_mul_f64 v[207:208], v[205:206], v[203:204]
	v_fma_f64 v[188:189], -v[188:189], v[207:208], v[205:206]
	v_div_fmas_f64 v[188:189], v[188:189], v[203:204], v[207:208]
	v_div_fixup_f64 v[186:187], v[188:189], v[186:187], 1.0
	v_mul_f64 v[188:189], v[201:202], -v[186:187]
.LBB90_156:
	s_or_b32 exec_lo, exec_lo, s7
.LBB90_157:
	s_or_b32 exec_lo, exec_lo, s0
	s_mov_b32 s0, exec_lo
	v_cmpx_ne_u32_e64 v200, v194
	s_xor_b32 s0, exec_lo, s0
	s_cbranch_execz .LBB90_163
; %bb.158:
	s_mov_b32 s7, exec_lo
	v_cmpx_eq_u32_e32 7, v200
	s_cbranch_execz .LBB90_162
; %bb.159:
	v_cmp_ne_u32_e32 vcc_lo, 7, v194
	s_xor_b32 s8, s16, -1
	s_and_b32 s9, s8, vcc_lo
	s_and_saveexec_b32 s8, s9
	s_cbranch_execz .LBB90_161
; %bb.160:
	v_ashrrev_i32_e32 v195, 31, v194
	v_lshlrev_b64 v[200:201], 2, v[194:195]
	v_add_co_u32 v200, vcc_lo, v192, v200
	v_add_co_ci_u32_e64 v201, null, v193, v201, vcc_lo
	s_clause 0x1
	global_load_dword v0, v[200:201], off
	global_load_dword v195, v[192:193], off offset:28
	s_waitcnt vmcnt(1)
	global_store_dword v[192:193], v0, off offset:28
	s_waitcnt vmcnt(0)
	global_store_dword v[200:201], v195, off
.LBB90_161:
	s_or_b32 exec_lo, exec_lo, s8
	v_mov_b32_e32 v200, v194
	v_mov_b32_e32 v0, v194
.LBB90_162:
	s_or_b32 exec_lo, exec_lo, s7
.LBB90_163:
	s_andn2_saveexec_b32 s0, s0
	s_cbranch_execz .LBB90_165
; %bb.164:
	v_mov_b32_e32 v200, 7
	ds_write2_b64 v1, v[158:159], v[160:161] offset0:16 offset1:17
	ds_write2_b64 v1, v[142:143], v[144:145] offset0:18 offset1:19
	;; [unrolled: 1-line block ×38, first 2 shown]
.LBB90_165:
	s_or_b32 exec_lo, exec_lo, s0
	s_mov_b32 s0, exec_lo
	s_waitcnt lgkmcnt(0)
	s_waitcnt_vscnt null, 0x0
	s_barrier
	buffer_gl0_inv
	v_cmpx_lt_i32_e32 7, v200
	s_cbranch_execz .LBB90_167
; %bb.166:
	v_mul_f64 v[194:195], v[188:189], v[152:153]
	v_mul_f64 v[152:153], v[186:187], v[152:153]
	v_fma_f64 v[194:195], v[186:187], v[150:151], -v[194:195]
	v_fma_f64 v[152:153], v[188:189], v[150:151], v[152:153]
	ds_read2_b64 v[186:189], v1 offset0:16 offset1:17
	s_waitcnt lgkmcnt(0)
	v_mul_f64 v[150:151], v[188:189], v[152:153]
	v_fma_f64 v[150:151], v[186:187], v[194:195], -v[150:151]
	v_mul_f64 v[186:187], v[186:187], v[152:153]
	v_add_f64 v[158:159], v[158:159], -v[150:151]
	v_fma_f64 v[186:187], v[188:189], v[194:195], v[186:187]
	v_add_f64 v[160:161], v[160:161], -v[186:187]
	ds_read2_b64 v[186:189], v1 offset0:18 offset1:19
	s_waitcnt lgkmcnt(0)
	v_mul_f64 v[150:151], v[188:189], v[152:153]
	v_fma_f64 v[150:151], v[186:187], v[194:195], -v[150:151]
	v_mul_f64 v[186:187], v[186:187], v[152:153]
	v_add_f64 v[142:143], v[142:143], -v[150:151]
	v_fma_f64 v[186:187], v[188:189], v[194:195], v[186:187]
	v_add_f64 v[144:145], v[144:145], -v[186:187]
	;; [unrolled: 8-line block ×37, first 2 shown]
	ds_read2_b64 v[186:189], v1 offset0:90 offset1:91
	s_waitcnt lgkmcnt(0)
	v_mul_f64 v[150:151], v[188:189], v[152:153]
	v_fma_f64 v[150:151], v[186:187], v[194:195], -v[150:151]
	v_mul_f64 v[186:187], v[186:187], v[152:153]
	v_add_f64 v[2:3], v[2:3], -v[150:151]
	v_fma_f64 v[186:187], v[188:189], v[194:195], v[186:187]
	v_mov_b32_e32 v150, v194
	v_mov_b32_e32 v151, v195
	v_add_f64 v[4:5], v[4:5], -v[186:187]
.LBB90_167:
	s_or_b32 exec_lo, exec_lo, s0
	v_lshl_add_u32 v186, v200, 4, v1
	s_barrier
	buffer_gl0_inv
	v_mov_b32_e32 v194, 8
	ds_write2_b64 v186, v[158:159], v[160:161] offset1:1
	s_waitcnt lgkmcnt(0)
	s_barrier
	buffer_gl0_inv
	ds_read2_b64 v[186:189], v1 offset0:16 offset1:17
	s_cmp_lt_i32 s1, 10
	s_cbranch_scc1 .LBB90_170
; %bb.168:
	v_add3_u32 v195, v196, 0, 0x90
	v_mov_b32_e32 v194, 8
	s_mov_b32 s7, 9
	s_inst_prefetch 0x1
	.p2align	6
.LBB90_169:                             ; =>This Inner Loop Header: Depth=1
	s_waitcnt lgkmcnt(0)
	v_cmp_gt_f64_e32 vcc_lo, 0, v[188:189]
	v_cmp_gt_f64_e64 s0, 0, v[186:187]
	ds_read2_b64 v[201:204], v195 offset1:1
	v_xor_b32_e32 v206, 0x80000000, v187
	v_xor_b32_e32 v208, 0x80000000, v189
	v_mov_b32_e32 v205, v186
	v_mov_b32_e32 v207, v188
	v_add_nc_u32_e32 v195, 16, v195
	s_waitcnt lgkmcnt(0)
	v_xor_b32_e32 v210, 0x80000000, v204
	v_cndmask_b32_e64 v206, v187, v206, s0
	v_cndmask_b32_e32 v208, v189, v208, vcc_lo
	v_cmp_gt_f64_e32 vcc_lo, 0, v[203:204]
	v_cmp_gt_f64_e64 s0, 0, v[201:202]
	v_mov_b32_e32 v209, v203
	v_add_f64 v[205:206], v[205:206], v[207:208]
	v_xor_b32_e32 v208, 0x80000000, v202
	v_mov_b32_e32 v207, v201
	v_cndmask_b32_e32 v210, v204, v210, vcc_lo
	v_cndmask_b32_e64 v208, v202, v208, s0
	v_add_f64 v[207:208], v[207:208], v[209:210]
	v_cmp_lt_f64_e32 vcc_lo, v[205:206], v[207:208]
	v_cndmask_b32_e32 v187, v187, v202, vcc_lo
	v_cndmask_b32_e32 v186, v186, v201, vcc_lo
	;; [unrolled: 1-line block ×4, first 2 shown]
	v_cndmask_b32_e64 v194, v194, s7, vcc_lo
	s_add_i32 s7, s7, 1
	s_cmp_lg_u32 s1, s7
	s_cbranch_scc1 .LBB90_169
.LBB90_170:
	s_inst_prefetch 0x2
	s_waitcnt lgkmcnt(0)
	v_cmp_eq_f64_e32 vcc_lo, 0, v[186:187]
	v_cmp_eq_f64_e64 s0, 0, v[188:189]
	s_and_b32 s0, vcc_lo, s0
	s_and_saveexec_b32 s7, s0
	s_xor_b32 s0, exec_lo, s7
; %bb.171:
	v_cmp_ne_u32_e32 vcc_lo, 0, v199
	v_cndmask_b32_e32 v199, 9, v199, vcc_lo
; %bb.172:
	s_andn2_saveexec_b32 s0, s0
	s_cbranch_execz .LBB90_178
; %bb.173:
	v_cmp_ngt_f64_e64 s7, |v[186:187]|, |v[188:189]|
	s_and_saveexec_b32 s8, s7
	s_xor_b32 s7, exec_lo, s8
	s_cbranch_execz .LBB90_175
; %bb.174:
	v_div_scale_f64 v[201:202], null, v[188:189], v[188:189], v[186:187]
	v_div_scale_f64 v[207:208], vcc_lo, v[186:187], v[188:189], v[186:187]
	v_rcp_f64_e32 v[203:204], v[201:202]
	v_fma_f64 v[205:206], -v[201:202], v[203:204], 1.0
	v_fma_f64 v[203:204], v[203:204], v[205:206], v[203:204]
	v_fma_f64 v[205:206], -v[201:202], v[203:204], 1.0
	v_fma_f64 v[203:204], v[203:204], v[205:206], v[203:204]
	v_mul_f64 v[205:206], v[207:208], v[203:204]
	v_fma_f64 v[201:202], -v[201:202], v[205:206], v[207:208]
	v_div_fmas_f64 v[201:202], v[201:202], v[203:204], v[205:206]
	v_div_fixup_f64 v[201:202], v[201:202], v[188:189], v[186:187]
	v_fma_f64 v[186:187], v[186:187], v[201:202], v[188:189]
	v_div_scale_f64 v[188:189], null, v[186:187], v[186:187], 1.0
	v_rcp_f64_e32 v[203:204], v[188:189]
	v_fma_f64 v[205:206], -v[188:189], v[203:204], 1.0
	v_fma_f64 v[203:204], v[203:204], v[205:206], v[203:204]
	v_fma_f64 v[205:206], -v[188:189], v[203:204], 1.0
	v_fma_f64 v[203:204], v[203:204], v[205:206], v[203:204]
	v_div_scale_f64 v[205:206], vcc_lo, 1.0, v[186:187], 1.0
	v_mul_f64 v[207:208], v[205:206], v[203:204]
	v_fma_f64 v[188:189], -v[188:189], v[207:208], v[205:206]
	v_div_fmas_f64 v[188:189], v[188:189], v[203:204], v[207:208]
	v_div_fixup_f64 v[188:189], v[188:189], v[186:187], 1.0
	v_mul_f64 v[186:187], v[201:202], v[188:189]
	v_xor_b32_e32 v189, 0x80000000, v189
.LBB90_175:
	s_andn2_saveexec_b32 s7, s7
	s_cbranch_execz .LBB90_177
; %bb.176:
	v_div_scale_f64 v[201:202], null, v[186:187], v[186:187], v[188:189]
	v_div_scale_f64 v[207:208], vcc_lo, v[188:189], v[186:187], v[188:189]
	v_rcp_f64_e32 v[203:204], v[201:202]
	v_fma_f64 v[205:206], -v[201:202], v[203:204], 1.0
	v_fma_f64 v[203:204], v[203:204], v[205:206], v[203:204]
	v_fma_f64 v[205:206], -v[201:202], v[203:204], 1.0
	v_fma_f64 v[203:204], v[203:204], v[205:206], v[203:204]
	v_mul_f64 v[205:206], v[207:208], v[203:204]
	v_fma_f64 v[201:202], -v[201:202], v[205:206], v[207:208]
	v_div_fmas_f64 v[201:202], v[201:202], v[203:204], v[205:206]
	v_div_fixup_f64 v[201:202], v[201:202], v[186:187], v[188:189]
	v_fma_f64 v[186:187], v[188:189], v[201:202], v[186:187]
	v_div_scale_f64 v[188:189], null, v[186:187], v[186:187], 1.0
	v_rcp_f64_e32 v[203:204], v[188:189]
	v_fma_f64 v[205:206], -v[188:189], v[203:204], 1.0
	v_fma_f64 v[203:204], v[203:204], v[205:206], v[203:204]
	v_fma_f64 v[205:206], -v[188:189], v[203:204], 1.0
	v_fma_f64 v[203:204], v[203:204], v[205:206], v[203:204]
	v_div_scale_f64 v[205:206], vcc_lo, 1.0, v[186:187], 1.0
	v_mul_f64 v[207:208], v[205:206], v[203:204]
	v_fma_f64 v[188:189], -v[188:189], v[207:208], v[205:206]
	v_div_fmas_f64 v[188:189], v[188:189], v[203:204], v[207:208]
	v_div_fixup_f64 v[186:187], v[188:189], v[186:187], 1.0
	v_mul_f64 v[188:189], v[201:202], -v[186:187]
.LBB90_177:
	s_or_b32 exec_lo, exec_lo, s7
.LBB90_178:
	s_or_b32 exec_lo, exec_lo, s0
	s_mov_b32 s0, exec_lo
	v_cmpx_ne_u32_e64 v200, v194
	s_xor_b32 s0, exec_lo, s0
	s_cbranch_execz .LBB90_184
; %bb.179:
	s_mov_b32 s7, exec_lo
	v_cmpx_eq_u32_e32 8, v200
	s_cbranch_execz .LBB90_183
; %bb.180:
	v_cmp_ne_u32_e32 vcc_lo, 8, v194
	s_xor_b32 s8, s16, -1
	s_and_b32 s9, s8, vcc_lo
	s_and_saveexec_b32 s8, s9
	s_cbranch_execz .LBB90_182
; %bb.181:
	v_ashrrev_i32_e32 v195, 31, v194
	v_lshlrev_b64 v[200:201], 2, v[194:195]
	v_add_co_u32 v200, vcc_lo, v192, v200
	v_add_co_ci_u32_e64 v201, null, v193, v201, vcc_lo
	s_clause 0x1
	global_load_dword v0, v[200:201], off
	global_load_dword v195, v[192:193], off offset:32
	s_waitcnt vmcnt(1)
	global_store_dword v[192:193], v0, off offset:32
	s_waitcnt vmcnt(0)
	global_store_dword v[200:201], v195, off
.LBB90_182:
	s_or_b32 exec_lo, exec_lo, s8
	v_mov_b32_e32 v200, v194
	v_mov_b32_e32 v0, v194
.LBB90_183:
	s_or_b32 exec_lo, exec_lo, s7
.LBB90_184:
	s_andn2_saveexec_b32 s0, s0
	s_cbranch_execz .LBB90_186
; %bb.185:
	v_mov_b32_e32 v200, 8
	ds_write2_b64 v1, v[142:143], v[144:145] offset0:18 offset1:19
	ds_write2_b64 v1, v[146:147], v[148:149] offset0:20 offset1:21
	;; [unrolled: 1-line block ×37, first 2 shown]
.LBB90_186:
	s_or_b32 exec_lo, exec_lo, s0
	s_mov_b32 s0, exec_lo
	s_waitcnt lgkmcnt(0)
	s_waitcnt_vscnt null, 0x0
	s_barrier
	buffer_gl0_inv
	v_cmpx_lt_i32_e32 8, v200
	s_cbranch_execz .LBB90_188
; %bb.187:
	v_mul_f64 v[194:195], v[188:189], v[160:161]
	v_mul_f64 v[160:161], v[186:187], v[160:161]
	v_fma_f64 v[194:195], v[186:187], v[158:159], -v[194:195]
	v_fma_f64 v[160:161], v[188:189], v[158:159], v[160:161]
	ds_read2_b64 v[186:189], v1 offset0:18 offset1:19
	s_waitcnt lgkmcnt(0)
	v_mul_f64 v[158:159], v[188:189], v[160:161]
	v_fma_f64 v[158:159], v[186:187], v[194:195], -v[158:159]
	v_mul_f64 v[186:187], v[186:187], v[160:161]
	v_add_f64 v[142:143], v[142:143], -v[158:159]
	v_fma_f64 v[186:187], v[188:189], v[194:195], v[186:187]
	v_add_f64 v[144:145], v[144:145], -v[186:187]
	ds_read2_b64 v[186:189], v1 offset0:20 offset1:21
	s_waitcnt lgkmcnt(0)
	v_mul_f64 v[158:159], v[188:189], v[160:161]
	v_fma_f64 v[158:159], v[186:187], v[194:195], -v[158:159]
	v_mul_f64 v[186:187], v[186:187], v[160:161]
	v_add_f64 v[146:147], v[146:147], -v[158:159]
	v_fma_f64 v[186:187], v[188:189], v[194:195], v[186:187]
	v_add_f64 v[148:149], v[148:149], -v[186:187]
	ds_read2_b64 v[186:189], v1 offset0:22 offset1:23
	s_waitcnt lgkmcnt(0)
	v_mul_f64 v[158:159], v[188:189], v[160:161]
	v_fma_f64 v[158:159], v[186:187], v[194:195], -v[158:159]
	v_mul_f64 v[186:187], v[186:187], v[160:161]
	v_add_f64 v[130:131], v[130:131], -v[158:159]
	v_fma_f64 v[186:187], v[188:189], v[194:195], v[186:187]
	v_add_f64 v[132:133], v[132:133], -v[186:187]
	ds_read2_b64 v[186:189], v1 offset0:24 offset1:25
	s_waitcnt lgkmcnt(0)
	v_mul_f64 v[158:159], v[188:189], v[160:161]
	v_fma_f64 v[158:159], v[186:187], v[194:195], -v[158:159]
	v_mul_f64 v[186:187], v[186:187], v[160:161]
	v_add_f64 v[138:139], v[138:139], -v[158:159]
	v_fma_f64 v[186:187], v[188:189], v[194:195], v[186:187]
	v_add_f64 v[140:141], v[140:141], -v[186:187]
	ds_read2_b64 v[186:189], v1 offset0:26 offset1:27
	s_waitcnt lgkmcnt(0)
	v_mul_f64 v[158:159], v[188:189], v[160:161]
	v_fma_f64 v[158:159], v[186:187], v[194:195], -v[158:159]
	v_mul_f64 v[186:187], v[186:187], v[160:161]
	v_add_f64 v[134:135], v[134:135], -v[158:159]
	v_fma_f64 v[186:187], v[188:189], v[194:195], v[186:187]
	v_add_f64 v[136:137], v[136:137], -v[186:187]
	ds_read2_b64 v[186:189], v1 offset0:28 offset1:29
	s_waitcnt lgkmcnt(0)
	v_mul_f64 v[158:159], v[188:189], v[160:161]
	v_fma_f64 v[158:159], v[186:187], v[194:195], -v[158:159]
	v_mul_f64 v[186:187], v[186:187], v[160:161]
	v_add_f64 v[126:127], v[126:127], -v[158:159]
	v_fma_f64 v[186:187], v[188:189], v[194:195], v[186:187]
	v_add_f64 v[128:129], v[128:129], -v[186:187]
	ds_read2_b64 v[186:189], v1 offset0:30 offset1:31
	s_waitcnt lgkmcnt(0)
	v_mul_f64 v[158:159], v[188:189], v[160:161]
	v_fma_f64 v[158:159], v[186:187], v[194:195], -v[158:159]
	v_mul_f64 v[186:187], v[186:187], v[160:161]
	v_add_f64 v[122:123], v[122:123], -v[158:159]
	v_fma_f64 v[186:187], v[188:189], v[194:195], v[186:187]
	v_add_f64 v[124:125], v[124:125], -v[186:187]
	ds_read2_b64 v[186:189], v1 offset0:32 offset1:33
	s_waitcnt lgkmcnt(0)
	v_mul_f64 v[158:159], v[188:189], v[160:161]
	v_fma_f64 v[158:159], v[186:187], v[194:195], -v[158:159]
	v_mul_f64 v[186:187], v[186:187], v[160:161]
	v_add_f64 v[114:115], v[114:115], -v[158:159]
	v_fma_f64 v[186:187], v[188:189], v[194:195], v[186:187]
	v_add_f64 v[116:117], v[116:117], -v[186:187]
	ds_read2_b64 v[186:189], v1 offset0:34 offset1:35
	s_waitcnt lgkmcnt(0)
	v_mul_f64 v[158:159], v[188:189], v[160:161]
	v_fma_f64 v[158:159], v[186:187], v[194:195], -v[158:159]
	v_mul_f64 v[186:187], v[186:187], v[160:161]
	v_add_f64 v[110:111], v[110:111], -v[158:159]
	v_fma_f64 v[186:187], v[188:189], v[194:195], v[186:187]
	v_add_f64 v[112:113], v[112:113], -v[186:187]
	ds_read2_b64 v[186:189], v1 offset0:36 offset1:37
	s_waitcnt lgkmcnt(0)
	v_mul_f64 v[158:159], v[188:189], v[160:161]
	v_fma_f64 v[158:159], v[186:187], v[194:195], -v[158:159]
	v_mul_f64 v[186:187], v[186:187], v[160:161]
	v_add_f64 v[118:119], v[118:119], -v[158:159]
	v_fma_f64 v[186:187], v[188:189], v[194:195], v[186:187]
	v_add_f64 v[120:121], v[120:121], -v[186:187]
	ds_read2_b64 v[186:189], v1 offset0:38 offset1:39
	s_waitcnt lgkmcnt(0)
	v_mul_f64 v[158:159], v[188:189], v[160:161]
	v_fma_f64 v[158:159], v[186:187], v[194:195], -v[158:159]
	v_mul_f64 v[186:187], v[186:187], v[160:161]
	v_add_f64 v[102:103], v[102:103], -v[158:159]
	v_fma_f64 v[186:187], v[188:189], v[194:195], v[186:187]
	v_add_f64 v[104:105], v[104:105], -v[186:187]
	ds_read2_b64 v[186:189], v1 offset0:40 offset1:41
	s_waitcnt lgkmcnt(0)
	v_mul_f64 v[158:159], v[188:189], v[160:161]
	v_fma_f64 v[158:159], v[186:187], v[194:195], -v[158:159]
	v_mul_f64 v[186:187], v[186:187], v[160:161]
	v_add_f64 v[106:107], v[106:107], -v[158:159]
	v_fma_f64 v[186:187], v[188:189], v[194:195], v[186:187]
	v_add_f64 v[108:109], v[108:109], -v[186:187]
	ds_read2_b64 v[186:189], v1 offset0:42 offset1:43
	s_waitcnt lgkmcnt(0)
	v_mul_f64 v[158:159], v[188:189], v[160:161]
	v_fma_f64 v[158:159], v[186:187], v[194:195], -v[158:159]
	v_mul_f64 v[186:187], v[186:187], v[160:161]
	v_add_f64 v[90:91], v[90:91], -v[158:159]
	v_fma_f64 v[186:187], v[188:189], v[194:195], v[186:187]
	v_add_f64 v[92:93], v[92:93], -v[186:187]
	ds_read2_b64 v[186:189], v1 offset0:44 offset1:45
	s_waitcnt lgkmcnt(0)
	v_mul_f64 v[158:159], v[188:189], v[160:161]
	v_fma_f64 v[158:159], v[186:187], v[194:195], -v[158:159]
	v_mul_f64 v[186:187], v[186:187], v[160:161]
	v_add_f64 v[98:99], v[98:99], -v[158:159]
	v_fma_f64 v[186:187], v[188:189], v[194:195], v[186:187]
	v_add_f64 v[100:101], v[100:101], -v[186:187]
	ds_read2_b64 v[186:189], v1 offset0:46 offset1:47
	s_waitcnt lgkmcnt(0)
	v_mul_f64 v[158:159], v[188:189], v[160:161]
	v_fma_f64 v[158:159], v[186:187], v[194:195], -v[158:159]
	v_mul_f64 v[186:187], v[186:187], v[160:161]
	v_add_f64 v[94:95], v[94:95], -v[158:159]
	v_fma_f64 v[186:187], v[188:189], v[194:195], v[186:187]
	v_add_f64 v[96:97], v[96:97], -v[186:187]
	ds_read2_b64 v[186:189], v1 offset0:48 offset1:49
	s_waitcnt lgkmcnt(0)
	v_mul_f64 v[158:159], v[188:189], v[160:161]
	v_fma_f64 v[158:159], v[186:187], v[194:195], -v[158:159]
	v_mul_f64 v[186:187], v[186:187], v[160:161]
	v_add_f64 v[86:87], v[86:87], -v[158:159]
	v_fma_f64 v[186:187], v[188:189], v[194:195], v[186:187]
	v_add_f64 v[88:89], v[88:89], -v[186:187]
	ds_read2_b64 v[186:189], v1 offset0:50 offset1:51
	s_waitcnt lgkmcnt(0)
	v_mul_f64 v[158:159], v[188:189], v[160:161]
	v_fma_f64 v[158:159], v[186:187], v[194:195], -v[158:159]
	v_mul_f64 v[186:187], v[186:187], v[160:161]
	v_add_f64 v[82:83], v[82:83], -v[158:159]
	v_fma_f64 v[186:187], v[188:189], v[194:195], v[186:187]
	v_add_f64 v[84:85], v[84:85], -v[186:187]
	ds_read2_b64 v[186:189], v1 offset0:52 offset1:53
	s_waitcnt lgkmcnt(0)
	v_mul_f64 v[158:159], v[188:189], v[160:161]
	v_fma_f64 v[158:159], v[186:187], v[194:195], -v[158:159]
	v_mul_f64 v[186:187], v[186:187], v[160:161]
	v_add_f64 v[74:75], v[74:75], -v[158:159]
	v_fma_f64 v[186:187], v[188:189], v[194:195], v[186:187]
	v_add_f64 v[76:77], v[76:77], -v[186:187]
	ds_read2_b64 v[186:189], v1 offset0:54 offset1:55
	s_waitcnt lgkmcnt(0)
	v_mul_f64 v[158:159], v[188:189], v[160:161]
	v_fma_f64 v[158:159], v[186:187], v[194:195], -v[158:159]
	v_mul_f64 v[186:187], v[186:187], v[160:161]
	v_add_f64 v[70:71], v[70:71], -v[158:159]
	v_fma_f64 v[186:187], v[188:189], v[194:195], v[186:187]
	v_add_f64 v[72:73], v[72:73], -v[186:187]
	ds_read2_b64 v[186:189], v1 offset0:56 offset1:57
	s_waitcnt lgkmcnt(0)
	v_mul_f64 v[158:159], v[188:189], v[160:161]
	v_fma_f64 v[158:159], v[186:187], v[194:195], -v[158:159]
	v_mul_f64 v[186:187], v[186:187], v[160:161]
	v_add_f64 v[78:79], v[78:79], -v[158:159]
	v_fma_f64 v[186:187], v[188:189], v[194:195], v[186:187]
	v_add_f64 v[80:81], v[80:81], -v[186:187]
	ds_read2_b64 v[186:189], v1 offset0:58 offset1:59
	s_waitcnt lgkmcnt(0)
	v_mul_f64 v[158:159], v[188:189], v[160:161]
	v_fma_f64 v[158:159], v[186:187], v[194:195], -v[158:159]
	v_mul_f64 v[186:187], v[186:187], v[160:161]
	v_add_f64 v[54:55], v[54:55], -v[158:159]
	v_fma_f64 v[186:187], v[188:189], v[194:195], v[186:187]
	v_add_f64 v[56:57], v[56:57], -v[186:187]
	ds_read2_b64 v[186:189], v1 offset0:60 offset1:61
	s_waitcnt lgkmcnt(0)
	v_mul_f64 v[158:159], v[188:189], v[160:161]
	v_fma_f64 v[158:159], v[186:187], v[194:195], -v[158:159]
	v_mul_f64 v[186:187], v[186:187], v[160:161]
	v_add_f64 v[58:59], v[58:59], -v[158:159]
	v_fma_f64 v[186:187], v[188:189], v[194:195], v[186:187]
	v_add_f64 v[60:61], v[60:61], -v[186:187]
	ds_read2_b64 v[186:189], v1 offset0:62 offset1:63
	s_waitcnt lgkmcnt(0)
	v_mul_f64 v[158:159], v[188:189], v[160:161]
	v_fma_f64 v[158:159], v[186:187], v[194:195], -v[158:159]
	v_mul_f64 v[186:187], v[186:187], v[160:161]
	v_add_f64 v[42:43], v[42:43], -v[158:159]
	v_fma_f64 v[186:187], v[188:189], v[194:195], v[186:187]
	v_add_f64 v[44:45], v[44:45], -v[186:187]
	ds_read2_b64 v[186:189], v1 offset0:64 offset1:65
	s_waitcnt lgkmcnt(0)
	v_mul_f64 v[158:159], v[188:189], v[160:161]
	v_fma_f64 v[158:159], v[186:187], v[194:195], -v[158:159]
	v_mul_f64 v[186:187], v[186:187], v[160:161]
	v_add_f64 v[62:63], v[62:63], -v[158:159]
	v_fma_f64 v[186:187], v[188:189], v[194:195], v[186:187]
	v_add_f64 v[64:65], v[64:65], -v[186:187]
	ds_read2_b64 v[186:189], v1 offset0:66 offset1:67
	s_waitcnt lgkmcnt(0)
	v_mul_f64 v[158:159], v[188:189], v[160:161]
	v_fma_f64 v[158:159], v[186:187], v[194:195], -v[158:159]
	v_mul_f64 v[186:187], v[186:187], v[160:161]
	v_add_f64 v[66:67], v[66:67], -v[158:159]
	v_fma_f64 v[186:187], v[188:189], v[194:195], v[186:187]
	v_add_f64 v[68:69], v[68:69], -v[186:187]
	ds_read2_b64 v[186:189], v1 offset0:68 offset1:69
	s_waitcnt lgkmcnt(0)
	v_mul_f64 v[158:159], v[188:189], v[160:161]
	v_fma_f64 v[158:159], v[186:187], v[194:195], -v[158:159]
	v_mul_f64 v[186:187], v[186:187], v[160:161]
	v_add_f64 v[50:51], v[50:51], -v[158:159]
	v_fma_f64 v[186:187], v[188:189], v[194:195], v[186:187]
	v_add_f64 v[52:53], v[52:53], -v[186:187]
	ds_read2_b64 v[186:189], v1 offset0:70 offset1:71
	s_waitcnt lgkmcnt(0)
	v_mul_f64 v[158:159], v[188:189], v[160:161]
	v_fma_f64 v[158:159], v[186:187], v[194:195], -v[158:159]
	v_mul_f64 v[186:187], v[186:187], v[160:161]
	v_add_f64 v[46:47], v[46:47], -v[158:159]
	v_fma_f64 v[186:187], v[188:189], v[194:195], v[186:187]
	v_add_f64 v[48:49], v[48:49], -v[186:187]
	ds_read2_b64 v[186:189], v1 offset0:72 offset1:73
	s_waitcnt lgkmcnt(0)
	v_mul_f64 v[158:159], v[188:189], v[160:161]
	v_fma_f64 v[158:159], v[186:187], v[194:195], -v[158:159]
	v_mul_f64 v[186:187], v[186:187], v[160:161]
	v_add_f64 v[38:39], v[38:39], -v[158:159]
	v_fma_f64 v[186:187], v[188:189], v[194:195], v[186:187]
	v_add_f64 v[40:41], v[40:41], -v[186:187]
	ds_read2_b64 v[186:189], v1 offset0:74 offset1:75
	s_waitcnt lgkmcnt(0)
	v_mul_f64 v[158:159], v[188:189], v[160:161]
	v_fma_f64 v[158:159], v[186:187], v[194:195], -v[158:159]
	v_mul_f64 v[186:187], v[186:187], v[160:161]
	v_add_f64 v[34:35], v[34:35], -v[158:159]
	v_fma_f64 v[186:187], v[188:189], v[194:195], v[186:187]
	v_add_f64 v[36:37], v[36:37], -v[186:187]
	ds_read2_b64 v[186:189], v1 offset0:76 offset1:77
	s_waitcnt lgkmcnt(0)
	v_mul_f64 v[158:159], v[188:189], v[160:161]
	v_fma_f64 v[158:159], v[186:187], v[194:195], -v[158:159]
	v_mul_f64 v[186:187], v[186:187], v[160:161]
	v_add_f64 v[30:31], v[30:31], -v[158:159]
	v_fma_f64 v[186:187], v[188:189], v[194:195], v[186:187]
	v_add_f64 v[32:33], v[32:33], -v[186:187]
	ds_read2_b64 v[186:189], v1 offset0:78 offset1:79
	s_waitcnt lgkmcnt(0)
	v_mul_f64 v[158:159], v[188:189], v[160:161]
	v_fma_f64 v[158:159], v[186:187], v[194:195], -v[158:159]
	v_mul_f64 v[186:187], v[186:187], v[160:161]
	v_add_f64 v[26:27], v[26:27], -v[158:159]
	v_fma_f64 v[186:187], v[188:189], v[194:195], v[186:187]
	v_add_f64 v[28:29], v[28:29], -v[186:187]
	ds_read2_b64 v[186:189], v1 offset0:80 offset1:81
	s_waitcnt lgkmcnt(0)
	v_mul_f64 v[158:159], v[188:189], v[160:161]
	v_fma_f64 v[158:159], v[186:187], v[194:195], -v[158:159]
	v_mul_f64 v[186:187], v[186:187], v[160:161]
	v_add_f64 v[22:23], v[22:23], -v[158:159]
	v_fma_f64 v[186:187], v[188:189], v[194:195], v[186:187]
	v_add_f64 v[24:25], v[24:25], -v[186:187]
	ds_read2_b64 v[186:189], v1 offset0:82 offset1:83
	s_waitcnt lgkmcnt(0)
	v_mul_f64 v[158:159], v[188:189], v[160:161]
	v_fma_f64 v[158:159], v[186:187], v[194:195], -v[158:159]
	v_mul_f64 v[186:187], v[186:187], v[160:161]
	v_add_f64 v[18:19], v[18:19], -v[158:159]
	v_fma_f64 v[186:187], v[188:189], v[194:195], v[186:187]
	v_add_f64 v[20:21], v[20:21], -v[186:187]
	ds_read2_b64 v[186:189], v1 offset0:84 offset1:85
	s_waitcnt lgkmcnt(0)
	v_mul_f64 v[158:159], v[188:189], v[160:161]
	v_fma_f64 v[158:159], v[186:187], v[194:195], -v[158:159]
	v_mul_f64 v[186:187], v[186:187], v[160:161]
	v_add_f64 v[14:15], v[14:15], -v[158:159]
	v_fma_f64 v[186:187], v[188:189], v[194:195], v[186:187]
	v_add_f64 v[16:17], v[16:17], -v[186:187]
	ds_read2_b64 v[186:189], v1 offset0:86 offset1:87
	s_waitcnt lgkmcnt(0)
	v_mul_f64 v[158:159], v[188:189], v[160:161]
	v_fma_f64 v[158:159], v[186:187], v[194:195], -v[158:159]
	v_mul_f64 v[186:187], v[186:187], v[160:161]
	v_add_f64 v[10:11], v[10:11], -v[158:159]
	v_fma_f64 v[186:187], v[188:189], v[194:195], v[186:187]
	v_add_f64 v[12:13], v[12:13], -v[186:187]
	ds_read2_b64 v[186:189], v1 offset0:88 offset1:89
	s_waitcnt lgkmcnt(0)
	v_mul_f64 v[158:159], v[188:189], v[160:161]
	v_fma_f64 v[158:159], v[186:187], v[194:195], -v[158:159]
	v_mul_f64 v[186:187], v[186:187], v[160:161]
	v_add_f64 v[6:7], v[6:7], -v[158:159]
	v_fma_f64 v[186:187], v[188:189], v[194:195], v[186:187]
	v_add_f64 v[8:9], v[8:9], -v[186:187]
	ds_read2_b64 v[186:189], v1 offset0:90 offset1:91
	s_waitcnt lgkmcnt(0)
	v_mul_f64 v[158:159], v[188:189], v[160:161]
	v_fma_f64 v[158:159], v[186:187], v[194:195], -v[158:159]
	v_mul_f64 v[186:187], v[186:187], v[160:161]
	v_add_f64 v[2:3], v[2:3], -v[158:159]
	v_fma_f64 v[186:187], v[188:189], v[194:195], v[186:187]
	v_mov_b32_e32 v158, v194
	v_mov_b32_e32 v159, v195
	v_add_f64 v[4:5], v[4:5], -v[186:187]
.LBB90_188:
	s_or_b32 exec_lo, exec_lo, s0
	v_lshl_add_u32 v186, v200, 4, v1
	s_barrier
	buffer_gl0_inv
	v_mov_b32_e32 v194, 9
	ds_write2_b64 v186, v[142:143], v[144:145] offset1:1
	s_waitcnt lgkmcnt(0)
	s_barrier
	buffer_gl0_inv
	ds_read2_b64 v[186:189], v1 offset0:18 offset1:19
	s_cmp_lt_i32 s1, 11
	s_cbranch_scc1 .LBB90_191
; %bb.189:
	v_add3_u32 v195, v196, 0, 0xa0
	v_mov_b32_e32 v194, 9
	s_mov_b32 s7, 10
	s_inst_prefetch 0x1
	.p2align	6
.LBB90_190:                             ; =>This Inner Loop Header: Depth=1
	s_waitcnt lgkmcnt(0)
	v_cmp_gt_f64_e32 vcc_lo, 0, v[188:189]
	v_cmp_gt_f64_e64 s0, 0, v[186:187]
	ds_read2_b64 v[201:204], v195 offset1:1
	v_xor_b32_e32 v206, 0x80000000, v187
	v_xor_b32_e32 v208, 0x80000000, v189
	v_mov_b32_e32 v205, v186
	v_mov_b32_e32 v207, v188
	v_add_nc_u32_e32 v195, 16, v195
	s_waitcnt lgkmcnt(0)
	v_xor_b32_e32 v210, 0x80000000, v204
	v_cndmask_b32_e64 v206, v187, v206, s0
	v_cndmask_b32_e32 v208, v189, v208, vcc_lo
	v_cmp_gt_f64_e32 vcc_lo, 0, v[203:204]
	v_cmp_gt_f64_e64 s0, 0, v[201:202]
	v_mov_b32_e32 v209, v203
	v_add_f64 v[205:206], v[205:206], v[207:208]
	v_xor_b32_e32 v208, 0x80000000, v202
	v_mov_b32_e32 v207, v201
	v_cndmask_b32_e32 v210, v204, v210, vcc_lo
	v_cndmask_b32_e64 v208, v202, v208, s0
	v_add_f64 v[207:208], v[207:208], v[209:210]
	v_cmp_lt_f64_e32 vcc_lo, v[205:206], v[207:208]
	v_cndmask_b32_e32 v187, v187, v202, vcc_lo
	v_cndmask_b32_e32 v186, v186, v201, vcc_lo
	;; [unrolled: 1-line block ×4, first 2 shown]
	v_cndmask_b32_e64 v194, v194, s7, vcc_lo
	s_add_i32 s7, s7, 1
	s_cmp_lg_u32 s1, s7
	s_cbranch_scc1 .LBB90_190
.LBB90_191:
	s_inst_prefetch 0x2
	s_waitcnt lgkmcnt(0)
	v_cmp_eq_f64_e32 vcc_lo, 0, v[186:187]
	v_cmp_eq_f64_e64 s0, 0, v[188:189]
	s_and_b32 s0, vcc_lo, s0
	s_and_saveexec_b32 s7, s0
	s_xor_b32 s0, exec_lo, s7
; %bb.192:
	v_cmp_ne_u32_e32 vcc_lo, 0, v199
	v_cndmask_b32_e32 v199, 10, v199, vcc_lo
; %bb.193:
	s_andn2_saveexec_b32 s0, s0
	s_cbranch_execz .LBB90_199
; %bb.194:
	v_cmp_ngt_f64_e64 s7, |v[186:187]|, |v[188:189]|
	s_and_saveexec_b32 s8, s7
	s_xor_b32 s7, exec_lo, s8
	s_cbranch_execz .LBB90_196
; %bb.195:
	v_div_scale_f64 v[201:202], null, v[188:189], v[188:189], v[186:187]
	v_div_scale_f64 v[207:208], vcc_lo, v[186:187], v[188:189], v[186:187]
	v_rcp_f64_e32 v[203:204], v[201:202]
	v_fma_f64 v[205:206], -v[201:202], v[203:204], 1.0
	v_fma_f64 v[203:204], v[203:204], v[205:206], v[203:204]
	v_fma_f64 v[205:206], -v[201:202], v[203:204], 1.0
	v_fma_f64 v[203:204], v[203:204], v[205:206], v[203:204]
	v_mul_f64 v[205:206], v[207:208], v[203:204]
	v_fma_f64 v[201:202], -v[201:202], v[205:206], v[207:208]
	v_div_fmas_f64 v[201:202], v[201:202], v[203:204], v[205:206]
	v_div_fixup_f64 v[201:202], v[201:202], v[188:189], v[186:187]
	v_fma_f64 v[186:187], v[186:187], v[201:202], v[188:189]
	v_div_scale_f64 v[188:189], null, v[186:187], v[186:187], 1.0
	v_rcp_f64_e32 v[203:204], v[188:189]
	v_fma_f64 v[205:206], -v[188:189], v[203:204], 1.0
	v_fma_f64 v[203:204], v[203:204], v[205:206], v[203:204]
	v_fma_f64 v[205:206], -v[188:189], v[203:204], 1.0
	v_fma_f64 v[203:204], v[203:204], v[205:206], v[203:204]
	v_div_scale_f64 v[205:206], vcc_lo, 1.0, v[186:187], 1.0
	v_mul_f64 v[207:208], v[205:206], v[203:204]
	v_fma_f64 v[188:189], -v[188:189], v[207:208], v[205:206]
	v_div_fmas_f64 v[188:189], v[188:189], v[203:204], v[207:208]
	v_div_fixup_f64 v[188:189], v[188:189], v[186:187], 1.0
	v_mul_f64 v[186:187], v[201:202], v[188:189]
	v_xor_b32_e32 v189, 0x80000000, v189
.LBB90_196:
	s_andn2_saveexec_b32 s7, s7
	s_cbranch_execz .LBB90_198
; %bb.197:
	v_div_scale_f64 v[201:202], null, v[186:187], v[186:187], v[188:189]
	v_div_scale_f64 v[207:208], vcc_lo, v[188:189], v[186:187], v[188:189]
	v_rcp_f64_e32 v[203:204], v[201:202]
	v_fma_f64 v[205:206], -v[201:202], v[203:204], 1.0
	v_fma_f64 v[203:204], v[203:204], v[205:206], v[203:204]
	v_fma_f64 v[205:206], -v[201:202], v[203:204], 1.0
	v_fma_f64 v[203:204], v[203:204], v[205:206], v[203:204]
	v_mul_f64 v[205:206], v[207:208], v[203:204]
	v_fma_f64 v[201:202], -v[201:202], v[205:206], v[207:208]
	v_div_fmas_f64 v[201:202], v[201:202], v[203:204], v[205:206]
	v_div_fixup_f64 v[201:202], v[201:202], v[186:187], v[188:189]
	v_fma_f64 v[186:187], v[188:189], v[201:202], v[186:187]
	v_div_scale_f64 v[188:189], null, v[186:187], v[186:187], 1.0
	v_rcp_f64_e32 v[203:204], v[188:189]
	v_fma_f64 v[205:206], -v[188:189], v[203:204], 1.0
	v_fma_f64 v[203:204], v[203:204], v[205:206], v[203:204]
	v_fma_f64 v[205:206], -v[188:189], v[203:204], 1.0
	v_fma_f64 v[203:204], v[203:204], v[205:206], v[203:204]
	v_div_scale_f64 v[205:206], vcc_lo, 1.0, v[186:187], 1.0
	v_mul_f64 v[207:208], v[205:206], v[203:204]
	v_fma_f64 v[188:189], -v[188:189], v[207:208], v[205:206]
	v_div_fmas_f64 v[188:189], v[188:189], v[203:204], v[207:208]
	v_div_fixup_f64 v[186:187], v[188:189], v[186:187], 1.0
	v_mul_f64 v[188:189], v[201:202], -v[186:187]
.LBB90_198:
	s_or_b32 exec_lo, exec_lo, s7
.LBB90_199:
	s_or_b32 exec_lo, exec_lo, s0
	s_mov_b32 s0, exec_lo
	v_cmpx_ne_u32_e64 v200, v194
	s_xor_b32 s0, exec_lo, s0
	s_cbranch_execz .LBB90_205
; %bb.200:
	s_mov_b32 s7, exec_lo
	v_cmpx_eq_u32_e32 9, v200
	s_cbranch_execz .LBB90_204
; %bb.201:
	v_cmp_ne_u32_e32 vcc_lo, 9, v194
	s_xor_b32 s8, s16, -1
	s_and_b32 s9, s8, vcc_lo
	s_and_saveexec_b32 s8, s9
	s_cbranch_execz .LBB90_203
; %bb.202:
	v_ashrrev_i32_e32 v195, 31, v194
	v_lshlrev_b64 v[200:201], 2, v[194:195]
	v_add_co_u32 v200, vcc_lo, v192, v200
	v_add_co_ci_u32_e64 v201, null, v193, v201, vcc_lo
	s_clause 0x1
	global_load_dword v0, v[200:201], off
	global_load_dword v195, v[192:193], off offset:36
	s_waitcnt vmcnt(1)
	global_store_dword v[192:193], v0, off offset:36
	s_waitcnt vmcnt(0)
	global_store_dword v[200:201], v195, off
.LBB90_203:
	s_or_b32 exec_lo, exec_lo, s8
	v_mov_b32_e32 v200, v194
	v_mov_b32_e32 v0, v194
.LBB90_204:
	s_or_b32 exec_lo, exec_lo, s7
.LBB90_205:
	s_andn2_saveexec_b32 s0, s0
	s_cbranch_execz .LBB90_207
; %bb.206:
	v_mov_b32_e32 v200, 9
	ds_write2_b64 v1, v[146:147], v[148:149] offset0:20 offset1:21
	ds_write2_b64 v1, v[130:131], v[132:133] offset0:22 offset1:23
	;; [unrolled: 1-line block ×36, first 2 shown]
.LBB90_207:
	s_or_b32 exec_lo, exec_lo, s0
	s_mov_b32 s0, exec_lo
	s_waitcnt lgkmcnt(0)
	s_waitcnt_vscnt null, 0x0
	s_barrier
	buffer_gl0_inv
	v_cmpx_lt_i32_e32 9, v200
	s_cbranch_execz .LBB90_209
; %bb.208:
	v_mul_f64 v[194:195], v[188:189], v[144:145]
	v_mul_f64 v[144:145], v[186:187], v[144:145]
	v_fma_f64 v[194:195], v[186:187], v[142:143], -v[194:195]
	v_fma_f64 v[144:145], v[188:189], v[142:143], v[144:145]
	ds_read2_b64 v[186:189], v1 offset0:20 offset1:21
	s_waitcnt lgkmcnt(0)
	v_mul_f64 v[142:143], v[188:189], v[144:145]
	v_fma_f64 v[142:143], v[186:187], v[194:195], -v[142:143]
	v_mul_f64 v[186:187], v[186:187], v[144:145]
	v_add_f64 v[146:147], v[146:147], -v[142:143]
	v_fma_f64 v[186:187], v[188:189], v[194:195], v[186:187]
	v_add_f64 v[148:149], v[148:149], -v[186:187]
	ds_read2_b64 v[186:189], v1 offset0:22 offset1:23
	s_waitcnt lgkmcnt(0)
	v_mul_f64 v[142:143], v[188:189], v[144:145]
	v_fma_f64 v[142:143], v[186:187], v[194:195], -v[142:143]
	v_mul_f64 v[186:187], v[186:187], v[144:145]
	v_add_f64 v[130:131], v[130:131], -v[142:143]
	v_fma_f64 v[186:187], v[188:189], v[194:195], v[186:187]
	v_add_f64 v[132:133], v[132:133], -v[186:187]
	;; [unrolled: 8-line block ×35, first 2 shown]
	ds_read2_b64 v[186:189], v1 offset0:90 offset1:91
	s_waitcnt lgkmcnt(0)
	v_mul_f64 v[142:143], v[188:189], v[144:145]
	v_fma_f64 v[142:143], v[186:187], v[194:195], -v[142:143]
	v_mul_f64 v[186:187], v[186:187], v[144:145]
	v_add_f64 v[2:3], v[2:3], -v[142:143]
	v_fma_f64 v[186:187], v[188:189], v[194:195], v[186:187]
	v_mov_b32_e32 v142, v194
	v_mov_b32_e32 v143, v195
	v_add_f64 v[4:5], v[4:5], -v[186:187]
.LBB90_209:
	s_or_b32 exec_lo, exec_lo, s0
	v_lshl_add_u32 v186, v200, 4, v1
	s_barrier
	buffer_gl0_inv
	v_mov_b32_e32 v194, 10
	ds_write2_b64 v186, v[146:147], v[148:149] offset1:1
	s_waitcnt lgkmcnt(0)
	s_barrier
	buffer_gl0_inv
	ds_read2_b64 v[186:189], v1 offset0:20 offset1:21
	s_cmp_lt_i32 s1, 12
	s_cbranch_scc1 .LBB90_212
; %bb.210:
	v_add3_u32 v195, v196, 0, 0xb0
	v_mov_b32_e32 v194, 10
	s_mov_b32 s7, 11
	s_inst_prefetch 0x1
	.p2align	6
.LBB90_211:                             ; =>This Inner Loop Header: Depth=1
	s_waitcnt lgkmcnt(0)
	v_cmp_gt_f64_e32 vcc_lo, 0, v[188:189]
	v_cmp_gt_f64_e64 s0, 0, v[186:187]
	ds_read2_b64 v[201:204], v195 offset1:1
	v_xor_b32_e32 v206, 0x80000000, v187
	v_xor_b32_e32 v208, 0x80000000, v189
	v_mov_b32_e32 v205, v186
	v_mov_b32_e32 v207, v188
	v_add_nc_u32_e32 v195, 16, v195
	s_waitcnt lgkmcnt(0)
	v_xor_b32_e32 v210, 0x80000000, v204
	v_cndmask_b32_e64 v206, v187, v206, s0
	v_cndmask_b32_e32 v208, v189, v208, vcc_lo
	v_cmp_gt_f64_e32 vcc_lo, 0, v[203:204]
	v_cmp_gt_f64_e64 s0, 0, v[201:202]
	v_mov_b32_e32 v209, v203
	v_add_f64 v[205:206], v[205:206], v[207:208]
	v_xor_b32_e32 v208, 0x80000000, v202
	v_mov_b32_e32 v207, v201
	v_cndmask_b32_e32 v210, v204, v210, vcc_lo
	v_cndmask_b32_e64 v208, v202, v208, s0
	v_add_f64 v[207:208], v[207:208], v[209:210]
	v_cmp_lt_f64_e32 vcc_lo, v[205:206], v[207:208]
	v_cndmask_b32_e32 v187, v187, v202, vcc_lo
	v_cndmask_b32_e32 v186, v186, v201, vcc_lo
	;; [unrolled: 1-line block ×4, first 2 shown]
	v_cndmask_b32_e64 v194, v194, s7, vcc_lo
	s_add_i32 s7, s7, 1
	s_cmp_lg_u32 s1, s7
	s_cbranch_scc1 .LBB90_211
.LBB90_212:
	s_inst_prefetch 0x2
	s_waitcnt lgkmcnt(0)
	v_cmp_eq_f64_e32 vcc_lo, 0, v[186:187]
	v_cmp_eq_f64_e64 s0, 0, v[188:189]
	s_and_b32 s0, vcc_lo, s0
	s_and_saveexec_b32 s7, s0
	s_xor_b32 s0, exec_lo, s7
; %bb.213:
	v_cmp_ne_u32_e32 vcc_lo, 0, v199
	v_cndmask_b32_e32 v199, 11, v199, vcc_lo
; %bb.214:
	s_andn2_saveexec_b32 s0, s0
	s_cbranch_execz .LBB90_220
; %bb.215:
	v_cmp_ngt_f64_e64 s7, |v[186:187]|, |v[188:189]|
	s_and_saveexec_b32 s8, s7
	s_xor_b32 s7, exec_lo, s8
	s_cbranch_execz .LBB90_217
; %bb.216:
	v_div_scale_f64 v[201:202], null, v[188:189], v[188:189], v[186:187]
	v_div_scale_f64 v[207:208], vcc_lo, v[186:187], v[188:189], v[186:187]
	v_rcp_f64_e32 v[203:204], v[201:202]
	v_fma_f64 v[205:206], -v[201:202], v[203:204], 1.0
	v_fma_f64 v[203:204], v[203:204], v[205:206], v[203:204]
	v_fma_f64 v[205:206], -v[201:202], v[203:204], 1.0
	v_fma_f64 v[203:204], v[203:204], v[205:206], v[203:204]
	v_mul_f64 v[205:206], v[207:208], v[203:204]
	v_fma_f64 v[201:202], -v[201:202], v[205:206], v[207:208]
	v_div_fmas_f64 v[201:202], v[201:202], v[203:204], v[205:206]
	v_div_fixup_f64 v[201:202], v[201:202], v[188:189], v[186:187]
	v_fma_f64 v[186:187], v[186:187], v[201:202], v[188:189]
	v_div_scale_f64 v[188:189], null, v[186:187], v[186:187], 1.0
	v_rcp_f64_e32 v[203:204], v[188:189]
	v_fma_f64 v[205:206], -v[188:189], v[203:204], 1.0
	v_fma_f64 v[203:204], v[203:204], v[205:206], v[203:204]
	v_fma_f64 v[205:206], -v[188:189], v[203:204], 1.0
	v_fma_f64 v[203:204], v[203:204], v[205:206], v[203:204]
	v_div_scale_f64 v[205:206], vcc_lo, 1.0, v[186:187], 1.0
	v_mul_f64 v[207:208], v[205:206], v[203:204]
	v_fma_f64 v[188:189], -v[188:189], v[207:208], v[205:206]
	v_div_fmas_f64 v[188:189], v[188:189], v[203:204], v[207:208]
	v_div_fixup_f64 v[188:189], v[188:189], v[186:187], 1.0
	v_mul_f64 v[186:187], v[201:202], v[188:189]
	v_xor_b32_e32 v189, 0x80000000, v189
.LBB90_217:
	s_andn2_saveexec_b32 s7, s7
	s_cbranch_execz .LBB90_219
; %bb.218:
	v_div_scale_f64 v[201:202], null, v[186:187], v[186:187], v[188:189]
	v_div_scale_f64 v[207:208], vcc_lo, v[188:189], v[186:187], v[188:189]
	v_rcp_f64_e32 v[203:204], v[201:202]
	v_fma_f64 v[205:206], -v[201:202], v[203:204], 1.0
	v_fma_f64 v[203:204], v[203:204], v[205:206], v[203:204]
	v_fma_f64 v[205:206], -v[201:202], v[203:204], 1.0
	v_fma_f64 v[203:204], v[203:204], v[205:206], v[203:204]
	v_mul_f64 v[205:206], v[207:208], v[203:204]
	v_fma_f64 v[201:202], -v[201:202], v[205:206], v[207:208]
	v_div_fmas_f64 v[201:202], v[201:202], v[203:204], v[205:206]
	v_div_fixup_f64 v[201:202], v[201:202], v[186:187], v[188:189]
	v_fma_f64 v[186:187], v[188:189], v[201:202], v[186:187]
	v_div_scale_f64 v[188:189], null, v[186:187], v[186:187], 1.0
	v_rcp_f64_e32 v[203:204], v[188:189]
	v_fma_f64 v[205:206], -v[188:189], v[203:204], 1.0
	v_fma_f64 v[203:204], v[203:204], v[205:206], v[203:204]
	v_fma_f64 v[205:206], -v[188:189], v[203:204], 1.0
	v_fma_f64 v[203:204], v[203:204], v[205:206], v[203:204]
	v_div_scale_f64 v[205:206], vcc_lo, 1.0, v[186:187], 1.0
	v_mul_f64 v[207:208], v[205:206], v[203:204]
	v_fma_f64 v[188:189], -v[188:189], v[207:208], v[205:206]
	v_div_fmas_f64 v[188:189], v[188:189], v[203:204], v[207:208]
	v_div_fixup_f64 v[186:187], v[188:189], v[186:187], 1.0
	v_mul_f64 v[188:189], v[201:202], -v[186:187]
.LBB90_219:
	s_or_b32 exec_lo, exec_lo, s7
.LBB90_220:
	s_or_b32 exec_lo, exec_lo, s0
	s_mov_b32 s0, exec_lo
	v_cmpx_ne_u32_e64 v200, v194
	s_xor_b32 s0, exec_lo, s0
	s_cbranch_execz .LBB90_226
; %bb.221:
	s_mov_b32 s7, exec_lo
	v_cmpx_eq_u32_e32 10, v200
	s_cbranch_execz .LBB90_225
; %bb.222:
	v_cmp_ne_u32_e32 vcc_lo, 10, v194
	s_xor_b32 s8, s16, -1
	s_and_b32 s9, s8, vcc_lo
	s_and_saveexec_b32 s8, s9
	s_cbranch_execz .LBB90_224
; %bb.223:
	v_ashrrev_i32_e32 v195, 31, v194
	v_lshlrev_b64 v[200:201], 2, v[194:195]
	v_add_co_u32 v200, vcc_lo, v192, v200
	v_add_co_ci_u32_e64 v201, null, v193, v201, vcc_lo
	s_clause 0x1
	global_load_dword v0, v[200:201], off
	global_load_dword v195, v[192:193], off offset:40
	s_waitcnt vmcnt(1)
	global_store_dword v[192:193], v0, off offset:40
	s_waitcnt vmcnt(0)
	global_store_dword v[200:201], v195, off
.LBB90_224:
	s_or_b32 exec_lo, exec_lo, s8
	v_mov_b32_e32 v200, v194
	v_mov_b32_e32 v0, v194
.LBB90_225:
	s_or_b32 exec_lo, exec_lo, s7
.LBB90_226:
	s_andn2_saveexec_b32 s0, s0
	s_cbranch_execz .LBB90_228
; %bb.227:
	v_mov_b32_e32 v200, 10
	ds_write2_b64 v1, v[130:131], v[132:133] offset0:22 offset1:23
	ds_write2_b64 v1, v[138:139], v[140:141] offset0:24 offset1:25
	ds_write2_b64 v1, v[134:135], v[136:137] offset0:26 offset1:27
	ds_write2_b64 v1, v[126:127], v[128:129] offset0:28 offset1:29
	ds_write2_b64 v1, v[122:123], v[124:125] offset0:30 offset1:31
	ds_write2_b64 v1, v[114:115], v[116:117] offset0:32 offset1:33
	ds_write2_b64 v1, v[110:111], v[112:113] offset0:34 offset1:35
	ds_write2_b64 v1, v[118:119], v[120:121] offset0:36 offset1:37
	ds_write2_b64 v1, v[102:103], v[104:105] offset0:38 offset1:39
	ds_write2_b64 v1, v[106:107], v[108:109] offset0:40 offset1:41
	ds_write2_b64 v1, v[90:91], v[92:93] offset0:42 offset1:43
	ds_write2_b64 v1, v[98:99], v[100:101] offset0:44 offset1:45
	ds_write2_b64 v1, v[94:95], v[96:97] offset0:46 offset1:47
	ds_write2_b64 v1, v[86:87], v[88:89] offset0:48 offset1:49
	ds_write2_b64 v1, v[82:83], v[84:85] offset0:50 offset1:51
	ds_write2_b64 v1, v[74:75], v[76:77] offset0:52 offset1:53
	ds_write2_b64 v1, v[70:71], v[72:73] offset0:54 offset1:55
	ds_write2_b64 v1, v[78:79], v[80:81] offset0:56 offset1:57
	ds_write2_b64 v1, v[54:55], v[56:57] offset0:58 offset1:59
	ds_write2_b64 v1, v[58:59], v[60:61] offset0:60 offset1:61
	ds_write2_b64 v1, v[42:43], v[44:45] offset0:62 offset1:63
	ds_write2_b64 v1, v[62:63], v[64:65] offset0:64 offset1:65
	ds_write2_b64 v1, v[66:67], v[68:69] offset0:66 offset1:67
	ds_write2_b64 v1, v[50:51], v[52:53] offset0:68 offset1:69
	ds_write2_b64 v1, v[46:47], v[48:49] offset0:70 offset1:71
	ds_write2_b64 v1, v[38:39], v[40:41] offset0:72 offset1:73
	ds_write2_b64 v1, v[34:35], v[36:37] offset0:74 offset1:75
	ds_write2_b64 v1, v[30:31], v[32:33] offset0:76 offset1:77
	ds_write2_b64 v1, v[26:27], v[28:29] offset0:78 offset1:79
	ds_write2_b64 v1, v[22:23], v[24:25] offset0:80 offset1:81
	ds_write2_b64 v1, v[18:19], v[20:21] offset0:82 offset1:83
	ds_write2_b64 v1, v[14:15], v[16:17] offset0:84 offset1:85
	ds_write2_b64 v1, v[10:11], v[12:13] offset0:86 offset1:87
	ds_write2_b64 v1, v[6:7], v[8:9] offset0:88 offset1:89
	ds_write2_b64 v1, v[2:3], v[4:5] offset0:90 offset1:91
.LBB90_228:
	s_or_b32 exec_lo, exec_lo, s0
	s_mov_b32 s0, exec_lo
	s_waitcnt lgkmcnt(0)
	s_waitcnt_vscnt null, 0x0
	s_barrier
	buffer_gl0_inv
	v_cmpx_lt_i32_e32 10, v200
	s_cbranch_execz .LBB90_230
; %bb.229:
	v_mul_f64 v[194:195], v[188:189], v[148:149]
	v_mul_f64 v[148:149], v[186:187], v[148:149]
	v_fma_f64 v[194:195], v[186:187], v[146:147], -v[194:195]
	v_fma_f64 v[148:149], v[188:189], v[146:147], v[148:149]
	ds_read2_b64 v[186:189], v1 offset0:22 offset1:23
	s_waitcnt lgkmcnt(0)
	v_mul_f64 v[146:147], v[188:189], v[148:149]
	v_fma_f64 v[146:147], v[186:187], v[194:195], -v[146:147]
	v_mul_f64 v[186:187], v[186:187], v[148:149]
	v_add_f64 v[130:131], v[130:131], -v[146:147]
	v_fma_f64 v[186:187], v[188:189], v[194:195], v[186:187]
	v_add_f64 v[132:133], v[132:133], -v[186:187]
	ds_read2_b64 v[186:189], v1 offset0:24 offset1:25
	s_waitcnt lgkmcnt(0)
	v_mul_f64 v[146:147], v[188:189], v[148:149]
	v_fma_f64 v[146:147], v[186:187], v[194:195], -v[146:147]
	v_mul_f64 v[186:187], v[186:187], v[148:149]
	v_add_f64 v[138:139], v[138:139], -v[146:147]
	v_fma_f64 v[186:187], v[188:189], v[194:195], v[186:187]
	v_add_f64 v[140:141], v[140:141], -v[186:187]
	;; [unrolled: 8-line block ×34, first 2 shown]
	ds_read2_b64 v[186:189], v1 offset0:90 offset1:91
	s_waitcnt lgkmcnt(0)
	v_mul_f64 v[146:147], v[188:189], v[148:149]
	v_fma_f64 v[146:147], v[186:187], v[194:195], -v[146:147]
	v_mul_f64 v[186:187], v[186:187], v[148:149]
	v_add_f64 v[2:3], v[2:3], -v[146:147]
	v_fma_f64 v[186:187], v[188:189], v[194:195], v[186:187]
	v_mov_b32_e32 v146, v194
	v_mov_b32_e32 v147, v195
	v_add_f64 v[4:5], v[4:5], -v[186:187]
.LBB90_230:
	s_or_b32 exec_lo, exec_lo, s0
	v_lshl_add_u32 v186, v200, 4, v1
	s_barrier
	buffer_gl0_inv
	v_mov_b32_e32 v194, 11
	ds_write2_b64 v186, v[130:131], v[132:133] offset1:1
	s_waitcnt lgkmcnt(0)
	s_barrier
	buffer_gl0_inv
	ds_read2_b64 v[186:189], v1 offset0:22 offset1:23
	s_cmp_lt_i32 s1, 13
	s_cbranch_scc1 .LBB90_233
; %bb.231:
	v_add3_u32 v195, v196, 0, 0xc0
	v_mov_b32_e32 v194, 11
	s_mov_b32 s7, 12
	s_inst_prefetch 0x1
	.p2align	6
.LBB90_232:                             ; =>This Inner Loop Header: Depth=1
	s_waitcnt lgkmcnt(0)
	v_cmp_gt_f64_e32 vcc_lo, 0, v[188:189]
	v_cmp_gt_f64_e64 s0, 0, v[186:187]
	ds_read2_b64 v[201:204], v195 offset1:1
	v_xor_b32_e32 v206, 0x80000000, v187
	v_xor_b32_e32 v208, 0x80000000, v189
	v_mov_b32_e32 v205, v186
	v_mov_b32_e32 v207, v188
	v_add_nc_u32_e32 v195, 16, v195
	s_waitcnt lgkmcnt(0)
	v_xor_b32_e32 v210, 0x80000000, v204
	v_cndmask_b32_e64 v206, v187, v206, s0
	v_cndmask_b32_e32 v208, v189, v208, vcc_lo
	v_cmp_gt_f64_e32 vcc_lo, 0, v[203:204]
	v_cmp_gt_f64_e64 s0, 0, v[201:202]
	v_mov_b32_e32 v209, v203
	v_add_f64 v[205:206], v[205:206], v[207:208]
	v_xor_b32_e32 v208, 0x80000000, v202
	v_mov_b32_e32 v207, v201
	v_cndmask_b32_e32 v210, v204, v210, vcc_lo
	v_cndmask_b32_e64 v208, v202, v208, s0
	v_add_f64 v[207:208], v[207:208], v[209:210]
	v_cmp_lt_f64_e32 vcc_lo, v[205:206], v[207:208]
	v_cndmask_b32_e32 v187, v187, v202, vcc_lo
	v_cndmask_b32_e32 v186, v186, v201, vcc_lo
	;; [unrolled: 1-line block ×4, first 2 shown]
	v_cndmask_b32_e64 v194, v194, s7, vcc_lo
	s_add_i32 s7, s7, 1
	s_cmp_lg_u32 s1, s7
	s_cbranch_scc1 .LBB90_232
.LBB90_233:
	s_inst_prefetch 0x2
	s_waitcnt lgkmcnt(0)
	v_cmp_eq_f64_e32 vcc_lo, 0, v[186:187]
	v_cmp_eq_f64_e64 s0, 0, v[188:189]
	s_and_b32 s0, vcc_lo, s0
	s_and_saveexec_b32 s7, s0
	s_xor_b32 s0, exec_lo, s7
; %bb.234:
	v_cmp_ne_u32_e32 vcc_lo, 0, v199
	v_cndmask_b32_e32 v199, 12, v199, vcc_lo
; %bb.235:
	s_andn2_saveexec_b32 s0, s0
	s_cbranch_execz .LBB90_241
; %bb.236:
	v_cmp_ngt_f64_e64 s7, |v[186:187]|, |v[188:189]|
	s_and_saveexec_b32 s8, s7
	s_xor_b32 s7, exec_lo, s8
	s_cbranch_execz .LBB90_238
; %bb.237:
	v_div_scale_f64 v[201:202], null, v[188:189], v[188:189], v[186:187]
	v_div_scale_f64 v[207:208], vcc_lo, v[186:187], v[188:189], v[186:187]
	v_rcp_f64_e32 v[203:204], v[201:202]
	v_fma_f64 v[205:206], -v[201:202], v[203:204], 1.0
	v_fma_f64 v[203:204], v[203:204], v[205:206], v[203:204]
	v_fma_f64 v[205:206], -v[201:202], v[203:204], 1.0
	v_fma_f64 v[203:204], v[203:204], v[205:206], v[203:204]
	v_mul_f64 v[205:206], v[207:208], v[203:204]
	v_fma_f64 v[201:202], -v[201:202], v[205:206], v[207:208]
	v_div_fmas_f64 v[201:202], v[201:202], v[203:204], v[205:206]
	v_div_fixup_f64 v[201:202], v[201:202], v[188:189], v[186:187]
	v_fma_f64 v[186:187], v[186:187], v[201:202], v[188:189]
	v_div_scale_f64 v[188:189], null, v[186:187], v[186:187], 1.0
	v_rcp_f64_e32 v[203:204], v[188:189]
	v_fma_f64 v[205:206], -v[188:189], v[203:204], 1.0
	v_fma_f64 v[203:204], v[203:204], v[205:206], v[203:204]
	v_fma_f64 v[205:206], -v[188:189], v[203:204], 1.0
	v_fma_f64 v[203:204], v[203:204], v[205:206], v[203:204]
	v_div_scale_f64 v[205:206], vcc_lo, 1.0, v[186:187], 1.0
	v_mul_f64 v[207:208], v[205:206], v[203:204]
	v_fma_f64 v[188:189], -v[188:189], v[207:208], v[205:206]
	v_div_fmas_f64 v[188:189], v[188:189], v[203:204], v[207:208]
	v_div_fixup_f64 v[188:189], v[188:189], v[186:187], 1.0
	v_mul_f64 v[186:187], v[201:202], v[188:189]
	v_xor_b32_e32 v189, 0x80000000, v189
.LBB90_238:
	s_andn2_saveexec_b32 s7, s7
	s_cbranch_execz .LBB90_240
; %bb.239:
	v_div_scale_f64 v[201:202], null, v[186:187], v[186:187], v[188:189]
	v_div_scale_f64 v[207:208], vcc_lo, v[188:189], v[186:187], v[188:189]
	v_rcp_f64_e32 v[203:204], v[201:202]
	v_fma_f64 v[205:206], -v[201:202], v[203:204], 1.0
	v_fma_f64 v[203:204], v[203:204], v[205:206], v[203:204]
	v_fma_f64 v[205:206], -v[201:202], v[203:204], 1.0
	v_fma_f64 v[203:204], v[203:204], v[205:206], v[203:204]
	v_mul_f64 v[205:206], v[207:208], v[203:204]
	v_fma_f64 v[201:202], -v[201:202], v[205:206], v[207:208]
	v_div_fmas_f64 v[201:202], v[201:202], v[203:204], v[205:206]
	v_div_fixup_f64 v[201:202], v[201:202], v[186:187], v[188:189]
	v_fma_f64 v[186:187], v[188:189], v[201:202], v[186:187]
	v_div_scale_f64 v[188:189], null, v[186:187], v[186:187], 1.0
	v_rcp_f64_e32 v[203:204], v[188:189]
	v_fma_f64 v[205:206], -v[188:189], v[203:204], 1.0
	v_fma_f64 v[203:204], v[203:204], v[205:206], v[203:204]
	v_fma_f64 v[205:206], -v[188:189], v[203:204], 1.0
	v_fma_f64 v[203:204], v[203:204], v[205:206], v[203:204]
	v_div_scale_f64 v[205:206], vcc_lo, 1.0, v[186:187], 1.0
	v_mul_f64 v[207:208], v[205:206], v[203:204]
	v_fma_f64 v[188:189], -v[188:189], v[207:208], v[205:206]
	v_div_fmas_f64 v[188:189], v[188:189], v[203:204], v[207:208]
	v_div_fixup_f64 v[186:187], v[188:189], v[186:187], 1.0
	v_mul_f64 v[188:189], v[201:202], -v[186:187]
.LBB90_240:
	s_or_b32 exec_lo, exec_lo, s7
.LBB90_241:
	s_or_b32 exec_lo, exec_lo, s0
	s_mov_b32 s0, exec_lo
	v_cmpx_ne_u32_e64 v200, v194
	s_xor_b32 s0, exec_lo, s0
	s_cbranch_execz .LBB90_247
; %bb.242:
	s_mov_b32 s7, exec_lo
	v_cmpx_eq_u32_e32 11, v200
	s_cbranch_execz .LBB90_246
; %bb.243:
	v_cmp_ne_u32_e32 vcc_lo, 11, v194
	s_xor_b32 s8, s16, -1
	s_and_b32 s9, s8, vcc_lo
	s_and_saveexec_b32 s8, s9
	s_cbranch_execz .LBB90_245
; %bb.244:
	v_ashrrev_i32_e32 v195, 31, v194
	v_lshlrev_b64 v[200:201], 2, v[194:195]
	v_add_co_u32 v200, vcc_lo, v192, v200
	v_add_co_ci_u32_e64 v201, null, v193, v201, vcc_lo
	s_clause 0x1
	global_load_dword v0, v[200:201], off
	global_load_dword v195, v[192:193], off offset:44
	s_waitcnt vmcnt(1)
	global_store_dword v[192:193], v0, off offset:44
	s_waitcnt vmcnt(0)
	global_store_dword v[200:201], v195, off
.LBB90_245:
	s_or_b32 exec_lo, exec_lo, s8
	v_mov_b32_e32 v200, v194
	v_mov_b32_e32 v0, v194
.LBB90_246:
	s_or_b32 exec_lo, exec_lo, s7
.LBB90_247:
	s_andn2_saveexec_b32 s0, s0
	s_cbranch_execz .LBB90_249
; %bb.248:
	v_mov_b32_e32 v200, 11
	ds_write2_b64 v1, v[138:139], v[140:141] offset0:24 offset1:25
	ds_write2_b64 v1, v[134:135], v[136:137] offset0:26 offset1:27
	;; [unrolled: 1-line block ×34, first 2 shown]
.LBB90_249:
	s_or_b32 exec_lo, exec_lo, s0
	s_mov_b32 s0, exec_lo
	s_waitcnt lgkmcnt(0)
	s_waitcnt_vscnt null, 0x0
	s_barrier
	buffer_gl0_inv
	v_cmpx_lt_i32_e32 11, v200
	s_cbranch_execz .LBB90_251
; %bb.250:
	v_mul_f64 v[194:195], v[188:189], v[132:133]
	v_mul_f64 v[132:133], v[186:187], v[132:133]
	v_fma_f64 v[194:195], v[186:187], v[130:131], -v[194:195]
	v_fma_f64 v[132:133], v[188:189], v[130:131], v[132:133]
	ds_read2_b64 v[186:189], v1 offset0:24 offset1:25
	s_waitcnt lgkmcnt(0)
	v_mul_f64 v[130:131], v[188:189], v[132:133]
	v_fma_f64 v[130:131], v[186:187], v[194:195], -v[130:131]
	v_mul_f64 v[186:187], v[186:187], v[132:133]
	v_add_f64 v[138:139], v[138:139], -v[130:131]
	v_fma_f64 v[186:187], v[188:189], v[194:195], v[186:187]
	v_add_f64 v[140:141], v[140:141], -v[186:187]
	ds_read2_b64 v[186:189], v1 offset0:26 offset1:27
	s_waitcnt lgkmcnt(0)
	v_mul_f64 v[130:131], v[188:189], v[132:133]
	v_fma_f64 v[130:131], v[186:187], v[194:195], -v[130:131]
	v_mul_f64 v[186:187], v[186:187], v[132:133]
	v_add_f64 v[134:135], v[134:135], -v[130:131]
	v_fma_f64 v[186:187], v[188:189], v[194:195], v[186:187]
	v_add_f64 v[136:137], v[136:137], -v[186:187]
	;; [unrolled: 8-line block ×33, first 2 shown]
	ds_read2_b64 v[186:189], v1 offset0:90 offset1:91
	s_waitcnt lgkmcnt(0)
	v_mul_f64 v[130:131], v[188:189], v[132:133]
	v_fma_f64 v[130:131], v[186:187], v[194:195], -v[130:131]
	v_mul_f64 v[186:187], v[186:187], v[132:133]
	v_add_f64 v[2:3], v[2:3], -v[130:131]
	v_fma_f64 v[186:187], v[188:189], v[194:195], v[186:187]
	v_mov_b32_e32 v130, v194
	v_mov_b32_e32 v131, v195
	v_add_f64 v[4:5], v[4:5], -v[186:187]
.LBB90_251:
	s_or_b32 exec_lo, exec_lo, s0
	v_lshl_add_u32 v186, v200, 4, v1
	s_barrier
	buffer_gl0_inv
	v_mov_b32_e32 v194, 12
	ds_write2_b64 v186, v[138:139], v[140:141] offset1:1
	s_waitcnt lgkmcnt(0)
	s_barrier
	buffer_gl0_inv
	ds_read2_b64 v[186:189], v1 offset0:24 offset1:25
	s_cmp_lt_i32 s1, 14
	s_cbranch_scc1 .LBB90_254
; %bb.252:
	v_add3_u32 v195, v196, 0, 0xd0
	v_mov_b32_e32 v194, 12
	s_mov_b32 s7, 13
	s_inst_prefetch 0x1
	.p2align	6
.LBB90_253:                             ; =>This Inner Loop Header: Depth=1
	s_waitcnt lgkmcnt(0)
	v_cmp_gt_f64_e32 vcc_lo, 0, v[188:189]
	v_cmp_gt_f64_e64 s0, 0, v[186:187]
	ds_read2_b64 v[201:204], v195 offset1:1
	v_xor_b32_e32 v206, 0x80000000, v187
	v_xor_b32_e32 v208, 0x80000000, v189
	v_mov_b32_e32 v205, v186
	v_mov_b32_e32 v207, v188
	v_add_nc_u32_e32 v195, 16, v195
	s_waitcnt lgkmcnt(0)
	v_xor_b32_e32 v210, 0x80000000, v204
	v_cndmask_b32_e64 v206, v187, v206, s0
	v_cndmask_b32_e32 v208, v189, v208, vcc_lo
	v_cmp_gt_f64_e32 vcc_lo, 0, v[203:204]
	v_cmp_gt_f64_e64 s0, 0, v[201:202]
	v_mov_b32_e32 v209, v203
	v_add_f64 v[205:206], v[205:206], v[207:208]
	v_xor_b32_e32 v208, 0x80000000, v202
	v_mov_b32_e32 v207, v201
	v_cndmask_b32_e32 v210, v204, v210, vcc_lo
	v_cndmask_b32_e64 v208, v202, v208, s0
	v_add_f64 v[207:208], v[207:208], v[209:210]
	v_cmp_lt_f64_e32 vcc_lo, v[205:206], v[207:208]
	v_cndmask_b32_e32 v187, v187, v202, vcc_lo
	v_cndmask_b32_e32 v186, v186, v201, vcc_lo
	;; [unrolled: 1-line block ×4, first 2 shown]
	v_cndmask_b32_e64 v194, v194, s7, vcc_lo
	s_add_i32 s7, s7, 1
	s_cmp_lg_u32 s1, s7
	s_cbranch_scc1 .LBB90_253
.LBB90_254:
	s_inst_prefetch 0x2
	s_waitcnt lgkmcnt(0)
	v_cmp_eq_f64_e32 vcc_lo, 0, v[186:187]
	v_cmp_eq_f64_e64 s0, 0, v[188:189]
	s_and_b32 s0, vcc_lo, s0
	s_and_saveexec_b32 s7, s0
	s_xor_b32 s0, exec_lo, s7
; %bb.255:
	v_cmp_ne_u32_e32 vcc_lo, 0, v199
	v_cndmask_b32_e32 v199, 13, v199, vcc_lo
; %bb.256:
	s_andn2_saveexec_b32 s0, s0
	s_cbranch_execz .LBB90_262
; %bb.257:
	v_cmp_ngt_f64_e64 s7, |v[186:187]|, |v[188:189]|
	s_and_saveexec_b32 s8, s7
	s_xor_b32 s7, exec_lo, s8
	s_cbranch_execz .LBB90_259
; %bb.258:
	v_div_scale_f64 v[201:202], null, v[188:189], v[188:189], v[186:187]
	v_div_scale_f64 v[207:208], vcc_lo, v[186:187], v[188:189], v[186:187]
	v_rcp_f64_e32 v[203:204], v[201:202]
	v_fma_f64 v[205:206], -v[201:202], v[203:204], 1.0
	v_fma_f64 v[203:204], v[203:204], v[205:206], v[203:204]
	v_fma_f64 v[205:206], -v[201:202], v[203:204], 1.0
	v_fma_f64 v[203:204], v[203:204], v[205:206], v[203:204]
	v_mul_f64 v[205:206], v[207:208], v[203:204]
	v_fma_f64 v[201:202], -v[201:202], v[205:206], v[207:208]
	v_div_fmas_f64 v[201:202], v[201:202], v[203:204], v[205:206]
	v_div_fixup_f64 v[201:202], v[201:202], v[188:189], v[186:187]
	v_fma_f64 v[186:187], v[186:187], v[201:202], v[188:189]
	v_div_scale_f64 v[188:189], null, v[186:187], v[186:187], 1.0
	v_rcp_f64_e32 v[203:204], v[188:189]
	v_fma_f64 v[205:206], -v[188:189], v[203:204], 1.0
	v_fma_f64 v[203:204], v[203:204], v[205:206], v[203:204]
	v_fma_f64 v[205:206], -v[188:189], v[203:204], 1.0
	v_fma_f64 v[203:204], v[203:204], v[205:206], v[203:204]
	v_div_scale_f64 v[205:206], vcc_lo, 1.0, v[186:187], 1.0
	v_mul_f64 v[207:208], v[205:206], v[203:204]
	v_fma_f64 v[188:189], -v[188:189], v[207:208], v[205:206]
	v_div_fmas_f64 v[188:189], v[188:189], v[203:204], v[207:208]
	v_div_fixup_f64 v[188:189], v[188:189], v[186:187], 1.0
	v_mul_f64 v[186:187], v[201:202], v[188:189]
	v_xor_b32_e32 v189, 0x80000000, v189
.LBB90_259:
	s_andn2_saveexec_b32 s7, s7
	s_cbranch_execz .LBB90_261
; %bb.260:
	v_div_scale_f64 v[201:202], null, v[186:187], v[186:187], v[188:189]
	v_div_scale_f64 v[207:208], vcc_lo, v[188:189], v[186:187], v[188:189]
	v_rcp_f64_e32 v[203:204], v[201:202]
	v_fma_f64 v[205:206], -v[201:202], v[203:204], 1.0
	v_fma_f64 v[203:204], v[203:204], v[205:206], v[203:204]
	v_fma_f64 v[205:206], -v[201:202], v[203:204], 1.0
	v_fma_f64 v[203:204], v[203:204], v[205:206], v[203:204]
	v_mul_f64 v[205:206], v[207:208], v[203:204]
	v_fma_f64 v[201:202], -v[201:202], v[205:206], v[207:208]
	v_div_fmas_f64 v[201:202], v[201:202], v[203:204], v[205:206]
	v_div_fixup_f64 v[201:202], v[201:202], v[186:187], v[188:189]
	v_fma_f64 v[186:187], v[188:189], v[201:202], v[186:187]
	v_div_scale_f64 v[188:189], null, v[186:187], v[186:187], 1.0
	v_rcp_f64_e32 v[203:204], v[188:189]
	v_fma_f64 v[205:206], -v[188:189], v[203:204], 1.0
	v_fma_f64 v[203:204], v[203:204], v[205:206], v[203:204]
	v_fma_f64 v[205:206], -v[188:189], v[203:204], 1.0
	v_fma_f64 v[203:204], v[203:204], v[205:206], v[203:204]
	v_div_scale_f64 v[205:206], vcc_lo, 1.0, v[186:187], 1.0
	v_mul_f64 v[207:208], v[205:206], v[203:204]
	v_fma_f64 v[188:189], -v[188:189], v[207:208], v[205:206]
	v_div_fmas_f64 v[188:189], v[188:189], v[203:204], v[207:208]
	v_div_fixup_f64 v[186:187], v[188:189], v[186:187], 1.0
	v_mul_f64 v[188:189], v[201:202], -v[186:187]
.LBB90_261:
	s_or_b32 exec_lo, exec_lo, s7
.LBB90_262:
	s_or_b32 exec_lo, exec_lo, s0
	s_mov_b32 s0, exec_lo
	v_cmpx_ne_u32_e64 v200, v194
	s_xor_b32 s0, exec_lo, s0
	s_cbranch_execz .LBB90_268
; %bb.263:
	s_mov_b32 s7, exec_lo
	v_cmpx_eq_u32_e32 12, v200
	s_cbranch_execz .LBB90_267
; %bb.264:
	v_cmp_ne_u32_e32 vcc_lo, 12, v194
	s_xor_b32 s8, s16, -1
	s_and_b32 s9, s8, vcc_lo
	s_and_saveexec_b32 s8, s9
	s_cbranch_execz .LBB90_266
; %bb.265:
	v_ashrrev_i32_e32 v195, 31, v194
	v_lshlrev_b64 v[200:201], 2, v[194:195]
	v_add_co_u32 v200, vcc_lo, v192, v200
	v_add_co_ci_u32_e64 v201, null, v193, v201, vcc_lo
	s_clause 0x1
	global_load_dword v0, v[200:201], off
	global_load_dword v195, v[192:193], off offset:48
	s_waitcnt vmcnt(1)
	global_store_dword v[192:193], v0, off offset:48
	s_waitcnt vmcnt(0)
	global_store_dword v[200:201], v195, off
.LBB90_266:
	s_or_b32 exec_lo, exec_lo, s8
	v_mov_b32_e32 v200, v194
	v_mov_b32_e32 v0, v194
.LBB90_267:
	s_or_b32 exec_lo, exec_lo, s7
.LBB90_268:
	s_andn2_saveexec_b32 s0, s0
	s_cbranch_execz .LBB90_270
; %bb.269:
	v_mov_b32_e32 v200, 12
	ds_write2_b64 v1, v[134:135], v[136:137] offset0:26 offset1:27
	ds_write2_b64 v1, v[126:127], v[128:129] offset0:28 offset1:29
	;; [unrolled: 1-line block ×33, first 2 shown]
.LBB90_270:
	s_or_b32 exec_lo, exec_lo, s0
	s_mov_b32 s0, exec_lo
	s_waitcnt lgkmcnt(0)
	s_waitcnt_vscnt null, 0x0
	s_barrier
	buffer_gl0_inv
	v_cmpx_lt_i32_e32 12, v200
	s_cbranch_execz .LBB90_272
; %bb.271:
	v_mul_f64 v[194:195], v[188:189], v[140:141]
	v_mul_f64 v[140:141], v[186:187], v[140:141]
	v_fma_f64 v[194:195], v[186:187], v[138:139], -v[194:195]
	v_fma_f64 v[140:141], v[188:189], v[138:139], v[140:141]
	ds_read2_b64 v[186:189], v1 offset0:26 offset1:27
	s_waitcnt lgkmcnt(0)
	v_mul_f64 v[138:139], v[188:189], v[140:141]
	v_fma_f64 v[138:139], v[186:187], v[194:195], -v[138:139]
	v_mul_f64 v[186:187], v[186:187], v[140:141]
	v_add_f64 v[134:135], v[134:135], -v[138:139]
	v_fma_f64 v[186:187], v[188:189], v[194:195], v[186:187]
	v_add_f64 v[136:137], v[136:137], -v[186:187]
	ds_read2_b64 v[186:189], v1 offset0:28 offset1:29
	s_waitcnt lgkmcnt(0)
	v_mul_f64 v[138:139], v[188:189], v[140:141]
	v_fma_f64 v[138:139], v[186:187], v[194:195], -v[138:139]
	v_mul_f64 v[186:187], v[186:187], v[140:141]
	v_add_f64 v[126:127], v[126:127], -v[138:139]
	v_fma_f64 v[186:187], v[188:189], v[194:195], v[186:187]
	v_add_f64 v[128:129], v[128:129], -v[186:187]
	;; [unrolled: 8-line block ×32, first 2 shown]
	ds_read2_b64 v[186:189], v1 offset0:90 offset1:91
	s_waitcnt lgkmcnt(0)
	v_mul_f64 v[138:139], v[188:189], v[140:141]
	v_fma_f64 v[138:139], v[186:187], v[194:195], -v[138:139]
	v_mul_f64 v[186:187], v[186:187], v[140:141]
	v_add_f64 v[2:3], v[2:3], -v[138:139]
	v_fma_f64 v[186:187], v[188:189], v[194:195], v[186:187]
	v_mov_b32_e32 v138, v194
	v_mov_b32_e32 v139, v195
	v_add_f64 v[4:5], v[4:5], -v[186:187]
.LBB90_272:
	s_or_b32 exec_lo, exec_lo, s0
	v_lshl_add_u32 v186, v200, 4, v1
	s_barrier
	buffer_gl0_inv
	v_mov_b32_e32 v194, 13
	ds_write2_b64 v186, v[134:135], v[136:137] offset1:1
	s_waitcnt lgkmcnt(0)
	s_barrier
	buffer_gl0_inv
	ds_read2_b64 v[186:189], v1 offset0:26 offset1:27
	s_cmp_lt_i32 s1, 15
	s_cbranch_scc1 .LBB90_275
; %bb.273:
	v_add3_u32 v195, v196, 0, 0xe0
	v_mov_b32_e32 v194, 13
	s_mov_b32 s7, 14
	s_inst_prefetch 0x1
	.p2align	6
.LBB90_274:                             ; =>This Inner Loop Header: Depth=1
	s_waitcnt lgkmcnt(0)
	v_cmp_gt_f64_e32 vcc_lo, 0, v[188:189]
	v_cmp_gt_f64_e64 s0, 0, v[186:187]
	ds_read2_b64 v[201:204], v195 offset1:1
	v_xor_b32_e32 v206, 0x80000000, v187
	v_xor_b32_e32 v208, 0x80000000, v189
	v_mov_b32_e32 v205, v186
	v_mov_b32_e32 v207, v188
	v_add_nc_u32_e32 v195, 16, v195
	s_waitcnt lgkmcnt(0)
	v_xor_b32_e32 v210, 0x80000000, v204
	v_cndmask_b32_e64 v206, v187, v206, s0
	v_cndmask_b32_e32 v208, v189, v208, vcc_lo
	v_cmp_gt_f64_e32 vcc_lo, 0, v[203:204]
	v_cmp_gt_f64_e64 s0, 0, v[201:202]
	v_mov_b32_e32 v209, v203
	v_add_f64 v[205:206], v[205:206], v[207:208]
	v_xor_b32_e32 v208, 0x80000000, v202
	v_mov_b32_e32 v207, v201
	v_cndmask_b32_e32 v210, v204, v210, vcc_lo
	v_cndmask_b32_e64 v208, v202, v208, s0
	v_add_f64 v[207:208], v[207:208], v[209:210]
	v_cmp_lt_f64_e32 vcc_lo, v[205:206], v[207:208]
	v_cndmask_b32_e32 v187, v187, v202, vcc_lo
	v_cndmask_b32_e32 v186, v186, v201, vcc_lo
	;; [unrolled: 1-line block ×4, first 2 shown]
	v_cndmask_b32_e64 v194, v194, s7, vcc_lo
	s_add_i32 s7, s7, 1
	s_cmp_lg_u32 s1, s7
	s_cbranch_scc1 .LBB90_274
.LBB90_275:
	s_inst_prefetch 0x2
	s_waitcnt lgkmcnt(0)
	v_cmp_eq_f64_e32 vcc_lo, 0, v[186:187]
	v_cmp_eq_f64_e64 s0, 0, v[188:189]
	s_and_b32 s0, vcc_lo, s0
	s_and_saveexec_b32 s7, s0
	s_xor_b32 s0, exec_lo, s7
; %bb.276:
	v_cmp_ne_u32_e32 vcc_lo, 0, v199
	v_cndmask_b32_e32 v199, 14, v199, vcc_lo
; %bb.277:
	s_andn2_saveexec_b32 s0, s0
	s_cbranch_execz .LBB90_283
; %bb.278:
	v_cmp_ngt_f64_e64 s7, |v[186:187]|, |v[188:189]|
	s_and_saveexec_b32 s8, s7
	s_xor_b32 s7, exec_lo, s8
	s_cbranch_execz .LBB90_280
; %bb.279:
	v_div_scale_f64 v[201:202], null, v[188:189], v[188:189], v[186:187]
	v_div_scale_f64 v[207:208], vcc_lo, v[186:187], v[188:189], v[186:187]
	v_rcp_f64_e32 v[203:204], v[201:202]
	v_fma_f64 v[205:206], -v[201:202], v[203:204], 1.0
	v_fma_f64 v[203:204], v[203:204], v[205:206], v[203:204]
	v_fma_f64 v[205:206], -v[201:202], v[203:204], 1.0
	v_fma_f64 v[203:204], v[203:204], v[205:206], v[203:204]
	v_mul_f64 v[205:206], v[207:208], v[203:204]
	v_fma_f64 v[201:202], -v[201:202], v[205:206], v[207:208]
	v_div_fmas_f64 v[201:202], v[201:202], v[203:204], v[205:206]
	v_div_fixup_f64 v[201:202], v[201:202], v[188:189], v[186:187]
	v_fma_f64 v[186:187], v[186:187], v[201:202], v[188:189]
	v_div_scale_f64 v[188:189], null, v[186:187], v[186:187], 1.0
	v_rcp_f64_e32 v[203:204], v[188:189]
	v_fma_f64 v[205:206], -v[188:189], v[203:204], 1.0
	v_fma_f64 v[203:204], v[203:204], v[205:206], v[203:204]
	v_fma_f64 v[205:206], -v[188:189], v[203:204], 1.0
	v_fma_f64 v[203:204], v[203:204], v[205:206], v[203:204]
	v_div_scale_f64 v[205:206], vcc_lo, 1.0, v[186:187], 1.0
	v_mul_f64 v[207:208], v[205:206], v[203:204]
	v_fma_f64 v[188:189], -v[188:189], v[207:208], v[205:206]
	v_div_fmas_f64 v[188:189], v[188:189], v[203:204], v[207:208]
	v_div_fixup_f64 v[188:189], v[188:189], v[186:187], 1.0
	v_mul_f64 v[186:187], v[201:202], v[188:189]
	v_xor_b32_e32 v189, 0x80000000, v189
.LBB90_280:
	s_andn2_saveexec_b32 s7, s7
	s_cbranch_execz .LBB90_282
; %bb.281:
	v_div_scale_f64 v[201:202], null, v[186:187], v[186:187], v[188:189]
	v_div_scale_f64 v[207:208], vcc_lo, v[188:189], v[186:187], v[188:189]
	v_rcp_f64_e32 v[203:204], v[201:202]
	v_fma_f64 v[205:206], -v[201:202], v[203:204], 1.0
	v_fma_f64 v[203:204], v[203:204], v[205:206], v[203:204]
	v_fma_f64 v[205:206], -v[201:202], v[203:204], 1.0
	v_fma_f64 v[203:204], v[203:204], v[205:206], v[203:204]
	v_mul_f64 v[205:206], v[207:208], v[203:204]
	v_fma_f64 v[201:202], -v[201:202], v[205:206], v[207:208]
	v_div_fmas_f64 v[201:202], v[201:202], v[203:204], v[205:206]
	v_div_fixup_f64 v[201:202], v[201:202], v[186:187], v[188:189]
	v_fma_f64 v[186:187], v[188:189], v[201:202], v[186:187]
	v_div_scale_f64 v[188:189], null, v[186:187], v[186:187], 1.0
	v_rcp_f64_e32 v[203:204], v[188:189]
	v_fma_f64 v[205:206], -v[188:189], v[203:204], 1.0
	v_fma_f64 v[203:204], v[203:204], v[205:206], v[203:204]
	v_fma_f64 v[205:206], -v[188:189], v[203:204], 1.0
	v_fma_f64 v[203:204], v[203:204], v[205:206], v[203:204]
	v_div_scale_f64 v[205:206], vcc_lo, 1.0, v[186:187], 1.0
	v_mul_f64 v[207:208], v[205:206], v[203:204]
	v_fma_f64 v[188:189], -v[188:189], v[207:208], v[205:206]
	v_div_fmas_f64 v[188:189], v[188:189], v[203:204], v[207:208]
	v_div_fixup_f64 v[186:187], v[188:189], v[186:187], 1.0
	v_mul_f64 v[188:189], v[201:202], -v[186:187]
.LBB90_282:
	s_or_b32 exec_lo, exec_lo, s7
.LBB90_283:
	s_or_b32 exec_lo, exec_lo, s0
	s_mov_b32 s0, exec_lo
	v_cmpx_ne_u32_e64 v200, v194
	s_xor_b32 s0, exec_lo, s0
	s_cbranch_execz .LBB90_289
; %bb.284:
	s_mov_b32 s7, exec_lo
	v_cmpx_eq_u32_e32 13, v200
	s_cbranch_execz .LBB90_288
; %bb.285:
	v_cmp_ne_u32_e32 vcc_lo, 13, v194
	s_xor_b32 s8, s16, -1
	s_and_b32 s9, s8, vcc_lo
	s_and_saveexec_b32 s8, s9
	s_cbranch_execz .LBB90_287
; %bb.286:
	v_ashrrev_i32_e32 v195, 31, v194
	v_lshlrev_b64 v[200:201], 2, v[194:195]
	v_add_co_u32 v200, vcc_lo, v192, v200
	v_add_co_ci_u32_e64 v201, null, v193, v201, vcc_lo
	s_clause 0x1
	global_load_dword v0, v[200:201], off
	global_load_dword v195, v[192:193], off offset:52
	s_waitcnt vmcnt(1)
	global_store_dword v[192:193], v0, off offset:52
	s_waitcnt vmcnt(0)
	global_store_dword v[200:201], v195, off
.LBB90_287:
	s_or_b32 exec_lo, exec_lo, s8
	v_mov_b32_e32 v200, v194
	v_mov_b32_e32 v0, v194
.LBB90_288:
	s_or_b32 exec_lo, exec_lo, s7
.LBB90_289:
	s_andn2_saveexec_b32 s0, s0
	s_cbranch_execz .LBB90_291
; %bb.290:
	v_mov_b32_e32 v200, 13
	ds_write2_b64 v1, v[126:127], v[128:129] offset0:28 offset1:29
	ds_write2_b64 v1, v[122:123], v[124:125] offset0:30 offset1:31
	;; [unrolled: 1-line block ×32, first 2 shown]
.LBB90_291:
	s_or_b32 exec_lo, exec_lo, s0
	s_mov_b32 s0, exec_lo
	s_waitcnt lgkmcnt(0)
	s_waitcnt_vscnt null, 0x0
	s_barrier
	buffer_gl0_inv
	v_cmpx_lt_i32_e32 13, v200
	s_cbranch_execz .LBB90_293
; %bb.292:
	v_mul_f64 v[194:195], v[188:189], v[136:137]
	v_mul_f64 v[136:137], v[186:187], v[136:137]
	v_fma_f64 v[194:195], v[186:187], v[134:135], -v[194:195]
	v_fma_f64 v[136:137], v[188:189], v[134:135], v[136:137]
	ds_read2_b64 v[186:189], v1 offset0:28 offset1:29
	s_waitcnt lgkmcnt(0)
	v_mul_f64 v[134:135], v[188:189], v[136:137]
	v_fma_f64 v[134:135], v[186:187], v[194:195], -v[134:135]
	v_mul_f64 v[186:187], v[186:187], v[136:137]
	v_add_f64 v[126:127], v[126:127], -v[134:135]
	v_fma_f64 v[186:187], v[188:189], v[194:195], v[186:187]
	v_add_f64 v[128:129], v[128:129], -v[186:187]
	ds_read2_b64 v[186:189], v1 offset0:30 offset1:31
	s_waitcnt lgkmcnt(0)
	v_mul_f64 v[134:135], v[188:189], v[136:137]
	v_fma_f64 v[134:135], v[186:187], v[194:195], -v[134:135]
	v_mul_f64 v[186:187], v[186:187], v[136:137]
	v_add_f64 v[122:123], v[122:123], -v[134:135]
	v_fma_f64 v[186:187], v[188:189], v[194:195], v[186:187]
	v_add_f64 v[124:125], v[124:125], -v[186:187]
	;; [unrolled: 8-line block ×31, first 2 shown]
	ds_read2_b64 v[186:189], v1 offset0:90 offset1:91
	s_waitcnt lgkmcnt(0)
	v_mul_f64 v[134:135], v[188:189], v[136:137]
	v_fma_f64 v[134:135], v[186:187], v[194:195], -v[134:135]
	v_mul_f64 v[186:187], v[186:187], v[136:137]
	v_add_f64 v[2:3], v[2:3], -v[134:135]
	v_fma_f64 v[186:187], v[188:189], v[194:195], v[186:187]
	v_mov_b32_e32 v134, v194
	v_mov_b32_e32 v135, v195
	v_add_f64 v[4:5], v[4:5], -v[186:187]
.LBB90_293:
	s_or_b32 exec_lo, exec_lo, s0
	v_lshl_add_u32 v186, v200, 4, v1
	s_barrier
	buffer_gl0_inv
	v_mov_b32_e32 v194, 14
	ds_write2_b64 v186, v[126:127], v[128:129] offset1:1
	s_waitcnt lgkmcnt(0)
	s_barrier
	buffer_gl0_inv
	ds_read2_b64 v[186:189], v1 offset0:28 offset1:29
	s_cmp_lt_i32 s1, 16
	s_cbranch_scc1 .LBB90_296
; %bb.294:
	v_add3_u32 v195, v196, 0, 0xf0
	v_mov_b32_e32 v194, 14
	s_mov_b32 s7, 15
	s_inst_prefetch 0x1
	.p2align	6
.LBB90_295:                             ; =>This Inner Loop Header: Depth=1
	s_waitcnt lgkmcnt(0)
	v_cmp_gt_f64_e32 vcc_lo, 0, v[188:189]
	v_cmp_gt_f64_e64 s0, 0, v[186:187]
	ds_read2_b64 v[201:204], v195 offset1:1
	v_xor_b32_e32 v206, 0x80000000, v187
	v_xor_b32_e32 v208, 0x80000000, v189
	v_mov_b32_e32 v205, v186
	v_mov_b32_e32 v207, v188
	v_add_nc_u32_e32 v195, 16, v195
	s_waitcnt lgkmcnt(0)
	v_xor_b32_e32 v210, 0x80000000, v204
	v_cndmask_b32_e64 v206, v187, v206, s0
	v_cndmask_b32_e32 v208, v189, v208, vcc_lo
	v_cmp_gt_f64_e32 vcc_lo, 0, v[203:204]
	v_cmp_gt_f64_e64 s0, 0, v[201:202]
	v_mov_b32_e32 v209, v203
	v_add_f64 v[205:206], v[205:206], v[207:208]
	v_xor_b32_e32 v208, 0x80000000, v202
	v_mov_b32_e32 v207, v201
	v_cndmask_b32_e32 v210, v204, v210, vcc_lo
	v_cndmask_b32_e64 v208, v202, v208, s0
	v_add_f64 v[207:208], v[207:208], v[209:210]
	v_cmp_lt_f64_e32 vcc_lo, v[205:206], v[207:208]
	v_cndmask_b32_e32 v187, v187, v202, vcc_lo
	v_cndmask_b32_e32 v186, v186, v201, vcc_lo
	;; [unrolled: 1-line block ×4, first 2 shown]
	v_cndmask_b32_e64 v194, v194, s7, vcc_lo
	s_add_i32 s7, s7, 1
	s_cmp_lg_u32 s1, s7
	s_cbranch_scc1 .LBB90_295
.LBB90_296:
	s_inst_prefetch 0x2
	s_waitcnt lgkmcnt(0)
	v_cmp_eq_f64_e32 vcc_lo, 0, v[186:187]
	v_cmp_eq_f64_e64 s0, 0, v[188:189]
	s_and_b32 s0, vcc_lo, s0
	s_and_saveexec_b32 s7, s0
	s_xor_b32 s0, exec_lo, s7
; %bb.297:
	v_cmp_ne_u32_e32 vcc_lo, 0, v199
	v_cndmask_b32_e32 v199, 15, v199, vcc_lo
; %bb.298:
	s_andn2_saveexec_b32 s0, s0
	s_cbranch_execz .LBB90_304
; %bb.299:
	v_cmp_ngt_f64_e64 s7, |v[186:187]|, |v[188:189]|
	s_and_saveexec_b32 s8, s7
	s_xor_b32 s7, exec_lo, s8
	s_cbranch_execz .LBB90_301
; %bb.300:
	v_div_scale_f64 v[201:202], null, v[188:189], v[188:189], v[186:187]
	v_div_scale_f64 v[207:208], vcc_lo, v[186:187], v[188:189], v[186:187]
	v_rcp_f64_e32 v[203:204], v[201:202]
	v_fma_f64 v[205:206], -v[201:202], v[203:204], 1.0
	v_fma_f64 v[203:204], v[203:204], v[205:206], v[203:204]
	v_fma_f64 v[205:206], -v[201:202], v[203:204], 1.0
	v_fma_f64 v[203:204], v[203:204], v[205:206], v[203:204]
	v_mul_f64 v[205:206], v[207:208], v[203:204]
	v_fma_f64 v[201:202], -v[201:202], v[205:206], v[207:208]
	v_div_fmas_f64 v[201:202], v[201:202], v[203:204], v[205:206]
	v_div_fixup_f64 v[201:202], v[201:202], v[188:189], v[186:187]
	v_fma_f64 v[186:187], v[186:187], v[201:202], v[188:189]
	v_div_scale_f64 v[188:189], null, v[186:187], v[186:187], 1.0
	v_rcp_f64_e32 v[203:204], v[188:189]
	v_fma_f64 v[205:206], -v[188:189], v[203:204], 1.0
	v_fma_f64 v[203:204], v[203:204], v[205:206], v[203:204]
	v_fma_f64 v[205:206], -v[188:189], v[203:204], 1.0
	v_fma_f64 v[203:204], v[203:204], v[205:206], v[203:204]
	v_div_scale_f64 v[205:206], vcc_lo, 1.0, v[186:187], 1.0
	v_mul_f64 v[207:208], v[205:206], v[203:204]
	v_fma_f64 v[188:189], -v[188:189], v[207:208], v[205:206]
	v_div_fmas_f64 v[188:189], v[188:189], v[203:204], v[207:208]
	v_div_fixup_f64 v[188:189], v[188:189], v[186:187], 1.0
	v_mul_f64 v[186:187], v[201:202], v[188:189]
	v_xor_b32_e32 v189, 0x80000000, v189
.LBB90_301:
	s_andn2_saveexec_b32 s7, s7
	s_cbranch_execz .LBB90_303
; %bb.302:
	v_div_scale_f64 v[201:202], null, v[186:187], v[186:187], v[188:189]
	v_div_scale_f64 v[207:208], vcc_lo, v[188:189], v[186:187], v[188:189]
	v_rcp_f64_e32 v[203:204], v[201:202]
	v_fma_f64 v[205:206], -v[201:202], v[203:204], 1.0
	v_fma_f64 v[203:204], v[203:204], v[205:206], v[203:204]
	v_fma_f64 v[205:206], -v[201:202], v[203:204], 1.0
	v_fma_f64 v[203:204], v[203:204], v[205:206], v[203:204]
	v_mul_f64 v[205:206], v[207:208], v[203:204]
	v_fma_f64 v[201:202], -v[201:202], v[205:206], v[207:208]
	v_div_fmas_f64 v[201:202], v[201:202], v[203:204], v[205:206]
	v_div_fixup_f64 v[201:202], v[201:202], v[186:187], v[188:189]
	v_fma_f64 v[186:187], v[188:189], v[201:202], v[186:187]
	v_div_scale_f64 v[188:189], null, v[186:187], v[186:187], 1.0
	v_rcp_f64_e32 v[203:204], v[188:189]
	v_fma_f64 v[205:206], -v[188:189], v[203:204], 1.0
	v_fma_f64 v[203:204], v[203:204], v[205:206], v[203:204]
	v_fma_f64 v[205:206], -v[188:189], v[203:204], 1.0
	v_fma_f64 v[203:204], v[203:204], v[205:206], v[203:204]
	v_div_scale_f64 v[205:206], vcc_lo, 1.0, v[186:187], 1.0
	v_mul_f64 v[207:208], v[205:206], v[203:204]
	v_fma_f64 v[188:189], -v[188:189], v[207:208], v[205:206]
	v_div_fmas_f64 v[188:189], v[188:189], v[203:204], v[207:208]
	v_div_fixup_f64 v[186:187], v[188:189], v[186:187], 1.0
	v_mul_f64 v[188:189], v[201:202], -v[186:187]
.LBB90_303:
	s_or_b32 exec_lo, exec_lo, s7
.LBB90_304:
	s_or_b32 exec_lo, exec_lo, s0
	s_mov_b32 s0, exec_lo
	v_cmpx_ne_u32_e64 v200, v194
	s_xor_b32 s0, exec_lo, s0
	s_cbranch_execz .LBB90_310
; %bb.305:
	s_mov_b32 s7, exec_lo
	v_cmpx_eq_u32_e32 14, v200
	s_cbranch_execz .LBB90_309
; %bb.306:
	v_cmp_ne_u32_e32 vcc_lo, 14, v194
	s_xor_b32 s8, s16, -1
	s_and_b32 s9, s8, vcc_lo
	s_and_saveexec_b32 s8, s9
	s_cbranch_execz .LBB90_308
; %bb.307:
	v_ashrrev_i32_e32 v195, 31, v194
	v_lshlrev_b64 v[200:201], 2, v[194:195]
	v_add_co_u32 v200, vcc_lo, v192, v200
	v_add_co_ci_u32_e64 v201, null, v193, v201, vcc_lo
	s_clause 0x1
	global_load_dword v0, v[200:201], off
	global_load_dword v195, v[192:193], off offset:56
	s_waitcnt vmcnt(1)
	global_store_dword v[192:193], v0, off offset:56
	s_waitcnt vmcnt(0)
	global_store_dword v[200:201], v195, off
.LBB90_308:
	s_or_b32 exec_lo, exec_lo, s8
	v_mov_b32_e32 v200, v194
	v_mov_b32_e32 v0, v194
.LBB90_309:
	s_or_b32 exec_lo, exec_lo, s7
.LBB90_310:
	s_andn2_saveexec_b32 s0, s0
	s_cbranch_execz .LBB90_312
; %bb.311:
	v_mov_b32_e32 v200, 14
	ds_write2_b64 v1, v[122:123], v[124:125] offset0:30 offset1:31
	ds_write2_b64 v1, v[114:115], v[116:117] offset0:32 offset1:33
	;; [unrolled: 1-line block ×31, first 2 shown]
.LBB90_312:
	s_or_b32 exec_lo, exec_lo, s0
	s_mov_b32 s0, exec_lo
	s_waitcnt lgkmcnt(0)
	s_waitcnt_vscnt null, 0x0
	s_barrier
	buffer_gl0_inv
	v_cmpx_lt_i32_e32 14, v200
	s_cbranch_execz .LBB90_314
; %bb.313:
	v_mul_f64 v[194:195], v[188:189], v[128:129]
	v_mul_f64 v[128:129], v[186:187], v[128:129]
	v_fma_f64 v[194:195], v[186:187], v[126:127], -v[194:195]
	v_fma_f64 v[128:129], v[188:189], v[126:127], v[128:129]
	ds_read2_b64 v[186:189], v1 offset0:30 offset1:31
	s_waitcnt lgkmcnt(0)
	v_mul_f64 v[126:127], v[188:189], v[128:129]
	v_fma_f64 v[126:127], v[186:187], v[194:195], -v[126:127]
	v_mul_f64 v[186:187], v[186:187], v[128:129]
	v_add_f64 v[122:123], v[122:123], -v[126:127]
	v_fma_f64 v[186:187], v[188:189], v[194:195], v[186:187]
	v_add_f64 v[124:125], v[124:125], -v[186:187]
	ds_read2_b64 v[186:189], v1 offset0:32 offset1:33
	s_waitcnt lgkmcnt(0)
	v_mul_f64 v[126:127], v[188:189], v[128:129]
	v_fma_f64 v[126:127], v[186:187], v[194:195], -v[126:127]
	v_mul_f64 v[186:187], v[186:187], v[128:129]
	v_add_f64 v[114:115], v[114:115], -v[126:127]
	v_fma_f64 v[186:187], v[188:189], v[194:195], v[186:187]
	v_add_f64 v[116:117], v[116:117], -v[186:187]
	ds_read2_b64 v[186:189], v1 offset0:34 offset1:35
	s_waitcnt lgkmcnt(0)
	v_mul_f64 v[126:127], v[188:189], v[128:129]
	v_fma_f64 v[126:127], v[186:187], v[194:195], -v[126:127]
	v_mul_f64 v[186:187], v[186:187], v[128:129]
	v_add_f64 v[110:111], v[110:111], -v[126:127]
	v_fma_f64 v[186:187], v[188:189], v[194:195], v[186:187]
	v_add_f64 v[112:113], v[112:113], -v[186:187]
	ds_read2_b64 v[186:189], v1 offset0:36 offset1:37
	s_waitcnt lgkmcnt(0)
	v_mul_f64 v[126:127], v[188:189], v[128:129]
	v_fma_f64 v[126:127], v[186:187], v[194:195], -v[126:127]
	v_mul_f64 v[186:187], v[186:187], v[128:129]
	v_add_f64 v[118:119], v[118:119], -v[126:127]
	v_fma_f64 v[186:187], v[188:189], v[194:195], v[186:187]
	v_add_f64 v[120:121], v[120:121], -v[186:187]
	ds_read2_b64 v[186:189], v1 offset0:38 offset1:39
	s_waitcnt lgkmcnt(0)
	v_mul_f64 v[126:127], v[188:189], v[128:129]
	v_fma_f64 v[126:127], v[186:187], v[194:195], -v[126:127]
	v_mul_f64 v[186:187], v[186:187], v[128:129]
	v_add_f64 v[102:103], v[102:103], -v[126:127]
	v_fma_f64 v[186:187], v[188:189], v[194:195], v[186:187]
	v_add_f64 v[104:105], v[104:105], -v[186:187]
	ds_read2_b64 v[186:189], v1 offset0:40 offset1:41
	s_waitcnt lgkmcnt(0)
	v_mul_f64 v[126:127], v[188:189], v[128:129]
	v_fma_f64 v[126:127], v[186:187], v[194:195], -v[126:127]
	v_mul_f64 v[186:187], v[186:187], v[128:129]
	v_add_f64 v[106:107], v[106:107], -v[126:127]
	v_fma_f64 v[186:187], v[188:189], v[194:195], v[186:187]
	v_add_f64 v[108:109], v[108:109], -v[186:187]
	ds_read2_b64 v[186:189], v1 offset0:42 offset1:43
	s_waitcnt lgkmcnt(0)
	v_mul_f64 v[126:127], v[188:189], v[128:129]
	v_fma_f64 v[126:127], v[186:187], v[194:195], -v[126:127]
	v_mul_f64 v[186:187], v[186:187], v[128:129]
	v_add_f64 v[90:91], v[90:91], -v[126:127]
	v_fma_f64 v[186:187], v[188:189], v[194:195], v[186:187]
	v_add_f64 v[92:93], v[92:93], -v[186:187]
	ds_read2_b64 v[186:189], v1 offset0:44 offset1:45
	s_waitcnt lgkmcnt(0)
	v_mul_f64 v[126:127], v[188:189], v[128:129]
	v_fma_f64 v[126:127], v[186:187], v[194:195], -v[126:127]
	v_mul_f64 v[186:187], v[186:187], v[128:129]
	v_add_f64 v[98:99], v[98:99], -v[126:127]
	v_fma_f64 v[186:187], v[188:189], v[194:195], v[186:187]
	v_add_f64 v[100:101], v[100:101], -v[186:187]
	ds_read2_b64 v[186:189], v1 offset0:46 offset1:47
	s_waitcnt lgkmcnt(0)
	v_mul_f64 v[126:127], v[188:189], v[128:129]
	v_fma_f64 v[126:127], v[186:187], v[194:195], -v[126:127]
	v_mul_f64 v[186:187], v[186:187], v[128:129]
	v_add_f64 v[94:95], v[94:95], -v[126:127]
	v_fma_f64 v[186:187], v[188:189], v[194:195], v[186:187]
	v_add_f64 v[96:97], v[96:97], -v[186:187]
	ds_read2_b64 v[186:189], v1 offset0:48 offset1:49
	s_waitcnt lgkmcnt(0)
	v_mul_f64 v[126:127], v[188:189], v[128:129]
	v_fma_f64 v[126:127], v[186:187], v[194:195], -v[126:127]
	v_mul_f64 v[186:187], v[186:187], v[128:129]
	v_add_f64 v[86:87], v[86:87], -v[126:127]
	v_fma_f64 v[186:187], v[188:189], v[194:195], v[186:187]
	v_add_f64 v[88:89], v[88:89], -v[186:187]
	ds_read2_b64 v[186:189], v1 offset0:50 offset1:51
	s_waitcnt lgkmcnt(0)
	v_mul_f64 v[126:127], v[188:189], v[128:129]
	v_fma_f64 v[126:127], v[186:187], v[194:195], -v[126:127]
	v_mul_f64 v[186:187], v[186:187], v[128:129]
	v_add_f64 v[82:83], v[82:83], -v[126:127]
	v_fma_f64 v[186:187], v[188:189], v[194:195], v[186:187]
	v_add_f64 v[84:85], v[84:85], -v[186:187]
	ds_read2_b64 v[186:189], v1 offset0:52 offset1:53
	s_waitcnt lgkmcnt(0)
	v_mul_f64 v[126:127], v[188:189], v[128:129]
	v_fma_f64 v[126:127], v[186:187], v[194:195], -v[126:127]
	v_mul_f64 v[186:187], v[186:187], v[128:129]
	v_add_f64 v[74:75], v[74:75], -v[126:127]
	v_fma_f64 v[186:187], v[188:189], v[194:195], v[186:187]
	v_add_f64 v[76:77], v[76:77], -v[186:187]
	ds_read2_b64 v[186:189], v1 offset0:54 offset1:55
	s_waitcnt lgkmcnt(0)
	v_mul_f64 v[126:127], v[188:189], v[128:129]
	v_fma_f64 v[126:127], v[186:187], v[194:195], -v[126:127]
	v_mul_f64 v[186:187], v[186:187], v[128:129]
	v_add_f64 v[70:71], v[70:71], -v[126:127]
	v_fma_f64 v[186:187], v[188:189], v[194:195], v[186:187]
	v_add_f64 v[72:73], v[72:73], -v[186:187]
	ds_read2_b64 v[186:189], v1 offset0:56 offset1:57
	s_waitcnt lgkmcnt(0)
	v_mul_f64 v[126:127], v[188:189], v[128:129]
	v_fma_f64 v[126:127], v[186:187], v[194:195], -v[126:127]
	v_mul_f64 v[186:187], v[186:187], v[128:129]
	v_add_f64 v[78:79], v[78:79], -v[126:127]
	v_fma_f64 v[186:187], v[188:189], v[194:195], v[186:187]
	v_add_f64 v[80:81], v[80:81], -v[186:187]
	ds_read2_b64 v[186:189], v1 offset0:58 offset1:59
	s_waitcnt lgkmcnt(0)
	v_mul_f64 v[126:127], v[188:189], v[128:129]
	v_fma_f64 v[126:127], v[186:187], v[194:195], -v[126:127]
	v_mul_f64 v[186:187], v[186:187], v[128:129]
	v_add_f64 v[54:55], v[54:55], -v[126:127]
	v_fma_f64 v[186:187], v[188:189], v[194:195], v[186:187]
	v_add_f64 v[56:57], v[56:57], -v[186:187]
	ds_read2_b64 v[186:189], v1 offset0:60 offset1:61
	s_waitcnt lgkmcnt(0)
	v_mul_f64 v[126:127], v[188:189], v[128:129]
	v_fma_f64 v[126:127], v[186:187], v[194:195], -v[126:127]
	v_mul_f64 v[186:187], v[186:187], v[128:129]
	v_add_f64 v[58:59], v[58:59], -v[126:127]
	v_fma_f64 v[186:187], v[188:189], v[194:195], v[186:187]
	v_add_f64 v[60:61], v[60:61], -v[186:187]
	ds_read2_b64 v[186:189], v1 offset0:62 offset1:63
	s_waitcnt lgkmcnt(0)
	v_mul_f64 v[126:127], v[188:189], v[128:129]
	v_fma_f64 v[126:127], v[186:187], v[194:195], -v[126:127]
	v_mul_f64 v[186:187], v[186:187], v[128:129]
	v_add_f64 v[42:43], v[42:43], -v[126:127]
	v_fma_f64 v[186:187], v[188:189], v[194:195], v[186:187]
	v_add_f64 v[44:45], v[44:45], -v[186:187]
	ds_read2_b64 v[186:189], v1 offset0:64 offset1:65
	s_waitcnt lgkmcnt(0)
	v_mul_f64 v[126:127], v[188:189], v[128:129]
	v_fma_f64 v[126:127], v[186:187], v[194:195], -v[126:127]
	v_mul_f64 v[186:187], v[186:187], v[128:129]
	v_add_f64 v[62:63], v[62:63], -v[126:127]
	v_fma_f64 v[186:187], v[188:189], v[194:195], v[186:187]
	v_add_f64 v[64:65], v[64:65], -v[186:187]
	ds_read2_b64 v[186:189], v1 offset0:66 offset1:67
	s_waitcnt lgkmcnt(0)
	v_mul_f64 v[126:127], v[188:189], v[128:129]
	v_fma_f64 v[126:127], v[186:187], v[194:195], -v[126:127]
	v_mul_f64 v[186:187], v[186:187], v[128:129]
	v_add_f64 v[66:67], v[66:67], -v[126:127]
	v_fma_f64 v[186:187], v[188:189], v[194:195], v[186:187]
	v_add_f64 v[68:69], v[68:69], -v[186:187]
	ds_read2_b64 v[186:189], v1 offset0:68 offset1:69
	s_waitcnt lgkmcnt(0)
	v_mul_f64 v[126:127], v[188:189], v[128:129]
	v_fma_f64 v[126:127], v[186:187], v[194:195], -v[126:127]
	v_mul_f64 v[186:187], v[186:187], v[128:129]
	v_add_f64 v[50:51], v[50:51], -v[126:127]
	v_fma_f64 v[186:187], v[188:189], v[194:195], v[186:187]
	v_add_f64 v[52:53], v[52:53], -v[186:187]
	ds_read2_b64 v[186:189], v1 offset0:70 offset1:71
	s_waitcnt lgkmcnt(0)
	v_mul_f64 v[126:127], v[188:189], v[128:129]
	v_fma_f64 v[126:127], v[186:187], v[194:195], -v[126:127]
	v_mul_f64 v[186:187], v[186:187], v[128:129]
	v_add_f64 v[46:47], v[46:47], -v[126:127]
	v_fma_f64 v[186:187], v[188:189], v[194:195], v[186:187]
	v_add_f64 v[48:49], v[48:49], -v[186:187]
	ds_read2_b64 v[186:189], v1 offset0:72 offset1:73
	s_waitcnt lgkmcnt(0)
	v_mul_f64 v[126:127], v[188:189], v[128:129]
	v_fma_f64 v[126:127], v[186:187], v[194:195], -v[126:127]
	v_mul_f64 v[186:187], v[186:187], v[128:129]
	v_add_f64 v[38:39], v[38:39], -v[126:127]
	v_fma_f64 v[186:187], v[188:189], v[194:195], v[186:187]
	v_add_f64 v[40:41], v[40:41], -v[186:187]
	ds_read2_b64 v[186:189], v1 offset0:74 offset1:75
	s_waitcnt lgkmcnt(0)
	v_mul_f64 v[126:127], v[188:189], v[128:129]
	v_fma_f64 v[126:127], v[186:187], v[194:195], -v[126:127]
	v_mul_f64 v[186:187], v[186:187], v[128:129]
	v_add_f64 v[34:35], v[34:35], -v[126:127]
	v_fma_f64 v[186:187], v[188:189], v[194:195], v[186:187]
	v_add_f64 v[36:37], v[36:37], -v[186:187]
	ds_read2_b64 v[186:189], v1 offset0:76 offset1:77
	s_waitcnt lgkmcnt(0)
	v_mul_f64 v[126:127], v[188:189], v[128:129]
	v_fma_f64 v[126:127], v[186:187], v[194:195], -v[126:127]
	v_mul_f64 v[186:187], v[186:187], v[128:129]
	v_add_f64 v[30:31], v[30:31], -v[126:127]
	v_fma_f64 v[186:187], v[188:189], v[194:195], v[186:187]
	v_add_f64 v[32:33], v[32:33], -v[186:187]
	ds_read2_b64 v[186:189], v1 offset0:78 offset1:79
	s_waitcnt lgkmcnt(0)
	v_mul_f64 v[126:127], v[188:189], v[128:129]
	v_fma_f64 v[126:127], v[186:187], v[194:195], -v[126:127]
	v_mul_f64 v[186:187], v[186:187], v[128:129]
	v_add_f64 v[26:27], v[26:27], -v[126:127]
	v_fma_f64 v[186:187], v[188:189], v[194:195], v[186:187]
	v_add_f64 v[28:29], v[28:29], -v[186:187]
	ds_read2_b64 v[186:189], v1 offset0:80 offset1:81
	s_waitcnt lgkmcnt(0)
	v_mul_f64 v[126:127], v[188:189], v[128:129]
	v_fma_f64 v[126:127], v[186:187], v[194:195], -v[126:127]
	v_mul_f64 v[186:187], v[186:187], v[128:129]
	v_add_f64 v[22:23], v[22:23], -v[126:127]
	v_fma_f64 v[186:187], v[188:189], v[194:195], v[186:187]
	v_add_f64 v[24:25], v[24:25], -v[186:187]
	ds_read2_b64 v[186:189], v1 offset0:82 offset1:83
	s_waitcnt lgkmcnt(0)
	v_mul_f64 v[126:127], v[188:189], v[128:129]
	v_fma_f64 v[126:127], v[186:187], v[194:195], -v[126:127]
	v_mul_f64 v[186:187], v[186:187], v[128:129]
	v_add_f64 v[18:19], v[18:19], -v[126:127]
	v_fma_f64 v[186:187], v[188:189], v[194:195], v[186:187]
	v_add_f64 v[20:21], v[20:21], -v[186:187]
	ds_read2_b64 v[186:189], v1 offset0:84 offset1:85
	s_waitcnt lgkmcnt(0)
	v_mul_f64 v[126:127], v[188:189], v[128:129]
	v_fma_f64 v[126:127], v[186:187], v[194:195], -v[126:127]
	v_mul_f64 v[186:187], v[186:187], v[128:129]
	v_add_f64 v[14:15], v[14:15], -v[126:127]
	v_fma_f64 v[186:187], v[188:189], v[194:195], v[186:187]
	v_add_f64 v[16:17], v[16:17], -v[186:187]
	ds_read2_b64 v[186:189], v1 offset0:86 offset1:87
	s_waitcnt lgkmcnt(0)
	v_mul_f64 v[126:127], v[188:189], v[128:129]
	v_fma_f64 v[126:127], v[186:187], v[194:195], -v[126:127]
	v_mul_f64 v[186:187], v[186:187], v[128:129]
	v_add_f64 v[10:11], v[10:11], -v[126:127]
	v_fma_f64 v[186:187], v[188:189], v[194:195], v[186:187]
	v_add_f64 v[12:13], v[12:13], -v[186:187]
	ds_read2_b64 v[186:189], v1 offset0:88 offset1:89
	s_waitcnt lgkmcnt(0)
	v_mul_f64 v[126:127], v[188:189], v[128:129]
	v_fma_f64 v[126:127], v[186:187], v[194:195], -v[126:127]
	v_mul_f64 v[186:187], v[186:187], v[128:129]
	v_add_f64 v[6:7], v[6:7], -v[126:127]
	v_fma_f64 v[186:187], v[188:189], v[194:195], v[186:187]
	v_add_f64 v[8:9], v[8:9], -v[186:187]
	ds_read2_b64 v[186:189], v1 offset0:90 offset1:91
	s_waitcnt lgkmcnt(0)
	v_mul_f64 v[126:127], v[188:189], v[128:129]
	v_fma_f64 v[126:127], v[186:187], v[194:195], -v[126:127]
	v_mul_f64 v[186:187], v[186:187], v[128:129]
	v_add_f64 v[2:3], v[2:3], -v[126:127]
	v_fma_f64 v[186:187], v[188:189], v[194:195], v[186:187]
	v_mov_b32_e32 v126, v194
	v_mov_b32_e32 v127, v195
	v_add_f64 v[4:5], v[4:5], -v[186:187]
.LBB90_314:
	s_or_b32 exec_lo, exec_lo, s0
	v_lshl_add_u32 v186, v200, 4, v1
	s_barrier
	buffer_gl0_inv
	v_mov_b32_e32 v194, 15
	ds_write2_b64 v186, v[122:123], v[124:125] offset1:1
	s_waitcnt lgkmcnt(0)
	s_barrier
	buffer_gl0_inv
	ds_read2_b64 v[186:189], v1 offset0:30 offset1:31
	s_cmp_lt_i32 s1, 17
	s_cbranch_scc1 .LBB90_317
; %bb.315:
	v_add3_u32 v195, v196, 0, 0x100
	v_mov_b32_e32 v194, 15
	s_mov_b32 s7, 16
	s_inst_prefetch 0x1
	.p2align	6
.LBB90_316:                             ; =>This Inner Loop Header: Depth=1
	s_waitcnt lgkmcnt(0)
	v_cmp_gt_f64_e32 vcc_lo, 0, v[188:189]
	v_cmp_gt_f64_e64 s0, 0, v[186:187]
	ds_read2_b64 v[201:204], v195 offset1:1
	v_xor_b32_e32 v206, 0x80000000, v187
	v_xor_b32_e32 v208, 0x80000000, v189
	v_mov_b32_e32 v205, v186
	v_mov_b32_e32 v207, v188
	v_add_nc_u32_e32 v195, 16, v195
	s_waitcnt lgkmcnt(0)
	v_xor_b32_e32 v210, 0x80000000, v204
	v_cndmask_b32_e64 v206, v187, v206, s0
	v_cndmask_b32_e32 v208, v189, v208, vcc_lo
	v_cmp_gt_f64_e32 vcc_lo, 0, v[203:204]
	v_cmp_gt_f64_e64 s0, 0, v[201:202]
	v_mov_b32_e32 v209, v203
	v_add_f64 v[205:206], v[205:206], v[207:208]
	v_xor_b32_e32 v208, 0x80000000, v202
	v_mov_b32_e32 v207, v201
	v_cndmask_b32_e32 v210, v204, v210, vcc_lo
	v_cndmask_b32_e64 v208, v202, v208, s0
	v_add_f64 v[207:208], v[207:208], v[209:210]
	v_cmp_lt_f64_e32 vcc_lo, v[205:206], v[207:208]
	v_cndmask_b32_e32 v187, v187, v202, vcc_lo
	v_cndmask_b32_e32 v186, v186, v201, vcc_lo
	;; [unrolled: 1-line block ×4, first 2 shown]
	v_cndmask_b32_e64 v194, v194, s7, vcc_lo
	s_add_i32 s7, s7, 1
	s_cmp_lg_u32 s1, s7
	s_cbranch_scc1 .LBB90_316
.LBB90_317:
	s_inst_prefetch 0x2
	s_waitcnt lgkmcnt(0)
	v_cmp_eq_f64_e32 vcc_lo, 0, v[186:187]
	v_cmp_eq_f64_e64 s0, 0, v[188:189]
	s_and_b32 s0, vcc_lo, s0
	s_and_saveexec_b32 s7, s0
	s_xor_b32 s0, exec_lo, s7
; %bb.318:
	v_cmp_ne_u32_e32 vcc_lo, 0, v199
	v_cndmask_b32_e32 v199, 16, v199, vcc_lo
; %bb.319:
	s_andn2_saveexec_b32 s0, s0
	s_cbranch_execz .LBB90_325
; %bb.320:
	v_cmp_ngt_f64_e64 s7, |v[186:187]|, |v[188:189]|
	s_and_saveexec_b32 s8, s7
	s_xor_b32 s7, exec_lo, s8
	s_cbranch_execz .LBB90_322
; %bb.321:
	v_div_scale_f64 v[201:202], null, v[188:189], v[188:189], v[186:187]
	v_div_scale_f64 v[207:208], vcc_lo, v[186:187], v[188:189], v[186:187]
	v_rcp_f64_e32 v[203:204], v[201:202]
	v_fma_f64 v[205:206], -v[201:202], v[203:204], 1.0
	v_fma_f64 v[203:204], v[203:204], v[205:206], v[203:204]
	v_fma_f64 v[205:206], -v[201:202], v[203:204], 1.0
	v_fma_f64 v[203:204], v[203:204], v[205:206], v[203:204]
	v_mul_f64 v[205:206], v[207:208], v[203:204]
	v_fma_f64 v[201:202], -v[201:202], v[205:206], v[207:208]
	v_div_fmas_f64 v[201:202], v[201:202], v[203:204], v[205:206]
	v_div_fixup_f64 v[201:202], v[201:202], v[188:189], v[186:187]
	v_fma_f64 v[186:187], v[186:187], v[201:202], v[188:189]
	v_div_scale_f64 v[188:189], null, v[186:187], v[186:187], 1.0
	v_rcp_f64_e32 v[203:204], v[188:189]
	v_fma_f64 v[205:206], -v[188:189], v[203:204], 1.0
	v_fma_f64 v[203:204], v[203:204], v[205:206], v[203:204]
	v_fma_f64 v[205:206], -v[188:189], v[203:204], 1.0
	v_fma_f64 v[203:204], v[203:204], v[205:206], v[203:204]
	v_div_scale_f64 v[205:206], vcc_lo, 1.0, v[186:187], 1.0
	v_mul_f64 v[207:208], v[205:206], v[203:204]
	v_fma_f64 v[188:189], -v[188:189], v[207:208], v[205:206]
	v_div_fmas_f64 v[188:189], v[188:189], v[203:204], v[207:208]
	v_div_fixup_f64 v[188:189], v[188:189], v[186:187], 1.0
	v_mul_f64 v[186:187], v[201:202], v[188:189]
	v_xor_b32_e32 v189, 0x80000000, v189
.LBB90_322:
	s_andn2_saveexec_b32 s7, s7
	s_cbranch_execz .LBB90_324
; %bb.323:
	v_div_scale_f64 v[201:202], null, v[186:187], v[186:187], v[188:189]
	v_div_scale_f64 v[207:208], vcc_lo, v[188:189], v[186:187], v[188:189]
	v_rcp_f64_e32 v[203:204], v[201:202]
	v_fma_f64 v[205:206], -v[201:202], v[203:204], 1.0
	v_fma_f64 v[203:204], v[203:204], v[205:206], v[203:204]
	v_fma_f64 v[205:206], -v[201:202], v[203:204], 1.0
	v_fma_f64 v[203:204], v[203:204], v[205:206], v[203:204]
	v_mul_f64 v[205:206], v[207:208], v[203:204]
	v_fma_f64 v[201:202], -v[201:202], v[205:206], v[207:208]
	v_div_fmas_f64 v[201:202], v[201:202], v[203:204], v[205:206]
	v_div_fixup_f64 v[201:202], v[201:202], v[186:187], v[188:189]
	v_fma_f64 v[186:187], v[188:189], v[201:202], v[186:187]
	v_div_scale_f64 v[188:189], null, v[186:187], v[186:187], 1.0
	v_rcp_f64_e32 v[203:204], v[188:189]
	v_fma_f64 v[205:206], -v[188:189], v[203:204], 1.0
	v_fma_f64 v[203:204], v[203:204], v[205:206], v[203:204]
	v_fma_f64 v[205:206], -v[188:189], v[203:204], 1.0
	v_fma_f64 v[203:204], v[203:204], v[205:206], v[203:204]
	v_div_scale_f64 v[205:206], vcc_lo, 1.0, v[186:187], 1.0
	v_mul_f64 v[207:208], v[205:206], v[203:204]
	v_fma_f64 v[188:189], -v[188:189], v[207:208], v[205:206]
	v_div_fmas_f64 v[188:189], v[188:189], v[203:204], v[207:208]
	v_div_fixup_f64 v[186:187], v[188:189], v[186:187], 1.0
	v_mul_f64 v[188:189], v[201:202], -v[186:187]
.LBB90_324:
	s_or_b32 exec_lo, exec_lo, s7
.LBB90_325:
	s_or_b32 exec_lo, exec_lo, s0
	s_mov_b32 s0, exec_lo
	v_cmpx_ne_u32_e64 v200, v194
	s_xor_b32 s0, exec_lo, s0
	s_cbranch_execz .LBB90_331
; %bb.326:
	s_mov_b32 s7, exec_lo
	v_cmpx_eq_u32_e32 15, v200
	s_cbranch_execz .LBB90_330
; %bb.327:
	v_cmp_ne_u32_e32 vcc_lo, 15, v194
	s_xor_b32 s8, s16, -1
	s_and_b32 s9, s8, vcc_lo
	s_and_saveexec_b32 s8, s9
	s_cbranch_execz .LBB90_329
; %bb.328:
	v_ashrrev_i32_e32 v195, 31, v194
	v_lshlrev_b64 v[200:201], 2, v[194:195]
	v_add_co_u32 v200, vcc_lo, v192, v200
	v_add_co_ci_u32_e64 v201, null, v193, v201, vcc_lo
	s_clause 0x1
	global_load_dword v0, v[200:201], off
	global_load_dword v195, v[192:193], off offset:60
	s_waitcnt vmcnt(1)
	global_store_dword v[192:193], v0, off offset:60
	s_waitcnt vmcnt(0)
	global_store_dword v[200:201], v195, off
.LBB90_329:
	s_or_b32 exec_lo, exec_lo, s8
	v_mov_b32_e32 v200, v194
	v_mov_b32_e32 v0, v194
.LBB90_330:
	s_or_b32 exec_lo, exec_lo, s7
.LBB90_331:
	s_andn2_saveexec_b32 s0, s0
	s_cbranch_execz .LBB90_333
; %bb.332:
	v_mov_b32_e32 v200, 15
	ds_write2_b64 v1, v[114:115], v[116:117] offset0:32 offset1:33
	ds_write2_b64 v1, v[110:111], v[112:113] offset0:34 offset1:35
	;; [unrolled: 1-line block ×30, first 2 shown]
.LBB90_333:
	s_or_b32 exec_lo, exec_lo, s0
	s_mov_b32 s0, exec_lo
	s_waitcnt lgkmcnt(0)
	s_waitcnt_vscnt null, 0x0
	s_barrier
	buffer_gl0_inv
	v_cmpx_lt_i32_e32 15, v200
	s_cbranch_execz .LBB90_335
; %bb.334:
	v_mul_f64 v[194:195], v[188:189], v[124:125]
	v_mul_f64 v[124:125], v[186:187], v[124:125]
	v_fma_f64 v[194:195], v[186:187], v[122:123], -v[194:195]
	v_fma_f64 v[124:125], v[188:189], v[122:123], v[124:125]
	ds_read2_b64 v[186:189], v1 offset0:32 offset1:33
	s_waitcnt lgkmcnt(0)
	v_mul_f64 v[122:123], v[188:189], v[124:125]
	v_fma_f64 v[122:123], v[186:187], v[194:195], -v[122:123]
	v_mul_f64 v[186:187], v[186:187], v[124:125]
	v_add_f64 v[114:115], v[114:115], -v[122:123]
	v_fma_f64 v[186:187], v[188:189], v[194:195], v[186:187]
	v_add_f64 v[116:117], v[116:117], -v[186:187]
	ds_read2_b64 v[186:189], v1 offset0:34 offset1:35
	s_waitcnt lgkmcnt(0)
	v_mul_f64 v[122:123], v[188:189], v[124:125]
	v_fma_f64 v[122:123], v[186:187], v[194:195], -v[122:123]
	v_mul_f64 v[186:187], v[186:187], v[124:125]
	v_add_f64 v[110:111], v[110:111], -v[122:123]
	v_fma_f64 v[186:187], v[188:189], v[194:195], v[186:187]
	v_add_f64 v[112:113], v[112:113], -v[186:187]
	;; [unrolled: 8-line block ×29, first 2 shown]
	ds_read2_b64 v[186:189], v1 offset0:90 offset1:91
	s_waitcnt lgkmcnt(0)
	v_mul_f64 v[122:123], v[188:189], v[124:125]
	v_fma_f64 v[122:123], v[186:187], v[194:195], -v[122:123]
	v_mul_f64 v[186:187], v[186:187], v[124:125]
	v_add_f64 v[2:3], v[2:3], -v[122:123]
	v_fma_f64 v[186:187], v[188:189], v[194:195], v[186:187]
	v_mov_b32_e32 v122, v194
	v_mov_b32_e32 v123, v195
	v_add_f64 v[4:5], v[4:5], -v[186:187]
.LBB90_335:
	s_or_b32 exec_lo, exec_lo, s0
	v_lshl_add_u32 v186, v200, 4, v1
	s_barrier
	buffer_gl0_inv
	v_mov_b32_e32 v194, 16
	ds_write2_b64 v186, v[114:115], v[116:117] offset1:1
	s_waitcnt lgkmcnt(0)
	s_barrier
	buffer_gl0_inv
	ds_read2_b64 v[186:189], v1 offset0:32 offset1:33
	s_cmp_lt_i32 s1, 18
	s_cbranch_scc1 .LBB90_338
; %bb.336:
	v_add3_u32 v195, v196, 0, 0x110
	v_mov_b32_e32 v194, 16
	s_mov_b32 s7, 17
	s_inst_prefetch 0x1
	.p2align	6
.LBB90_337:                             ; =>This Inner Loop Header: Depth=1
	s_waitcnt lgkmcnt(0)
	v_cmp_gt_f64_e32 vcc_lo, 0, v[188:189]
	v_cmp_gt_f64_e64 s0, 0, v[186:187]
	ds_read2_b64 v[201:204], v195 offset1:1
	v_xor_b32_e32 v206, 0x80000000, v187
	v_xor_b32_e32 v208, 0x80000000, v189
	v_mov_b32_e32 v205, v186
	v_mov_b32_e32 v207, v188
	v_add_nc_u32_e32 v195, 16, v195
	s_waitcnt lgkmcnt(0)
	v_xor_b32_e32 v210, 0x80000000, v204
	v_cndmask_b32_e64 v206, v187, v206, s0
	v_cndmask_b32_e32 v208, v189, v208, vcc_lo
	v_cmp_gt_f64_e32 vcc_lo, 0, v[203:204]
	v_cmp_gt_f64_e64 s0, 0, v[201:202]
	v_mov_b32_e32 v209, v203
	v_add_f64 v[205:206], v[205:206], v[207:208]
	v_xor_b32_e32 v208, 0x80000000, v202
	v_mov_b32_e32 v207, v201
	v_cndmask_b32_e32 v210, v204, v210, vcc_lo
	v_cndmask_b32_e64 v208, v202, v208, s0
	v_add_f64 v[207:208], v[207:208], v[209:210]
	v_cmp_lt_f64_e32 vcc_lo, v[205:206], v[207:208]
	v_cndmask_b32_e32 v187, v187, v202, vcc_lo
	v_cndmask_b32_e32 v186, v186, v201, vcc_lo
	;; [unrolled: 1-line block ×4, first 2 shown]
	v_cndmask_b32_e64 v194, v194, s7, vcc_lo
	s_add_i32 s7, s7, 1
	s_cmp_lg_u32 s1, s7
	s_cbranch_scc1 .LBB90_337
.LBB90_338:
	s_inst_prefetch 0x2
	s_waitcnt lgkmcnt(0)
	v_cmp_eq_f64_e32 vcc_lo, 0, v[186:187]
	v_cmp_eq_f64_e64 s0, 0, v[188:189]
	s_and_b32 s0, vcc_lo, s0
	s_and_saveexec_b32 s7, s0
	s_xor_b32 s0, exec_lo, s7
; %bb.339:
	v_cmp_ne_u32_e32 vcc_lo, 0, v199
	v_cndmask_b32_e32 v199, 17, v199, vcc_lo
; %bb.340:
	s_andn2_saveexec_b32 s0, s0
	s_cbranch_execz .LBB90_346
; %bb.341:
	v_cmp_ngt_f64_e64 s7, |v[186:187]|, |v[188:189]|
	s_and_saveexec_b32 s8, s7
	s_xor_b32 s7, exec_lo, s8
	s_cbranch_execz .LBB90_343
; %bb.342:
	v_div_scale_f64 v[201:202], null, v[188:189], v[188:189], v[186:187]
	v_div_scale_f64 v[207:208], vcc_lo, v[186:187], v[188:189], v[186:187]
	v_rcp_f64_e32 v[203:204], v[201:202]
	v_fma_f64 v[205:206], -v[201:202], v[203:204], 1.0
	v_fma_f64 v[203:204], v[203:204], v[205:206], v[203:204]
	v_fma_f64 v[205:206], -v[201:202], v[203:204], 1.0
	v_fma_f64 v[203:204], v[203:204], v[205:206], v[203:204]
	v_mul_f64 v[205:206], v[207:208], v[203:204]
	v_fma_f64 v[201:202], -v[201:202], v[205:206], v[207:208]
	v_div_fmas_f64 v[201:202], v[201:202], v[203:204], v[205:206]
	v_div_fixup_f64 v[201:202], v[201:202], v[188:189], v[186:187]
	v_fma_f64 v[186:187], v[186:187], v[201:202], v[188:189]
	v_div_scale_f64 v[188:189], null, v[186:187], v[186:187], 1.0
	v_rcp_f64_e32 v[203:204], v[188:189]
	v_fma_f64 v[205:206], -v[188:189], v[203:204], 1.0
	v_fma_f64 v[203:204], v[203:204], v[205:206], v[203:204]
	v_fma_f64 v[205:206], -v[188:189], v[203:204], 1.0
	v_fma_f64 v[203:204], v[203:204], v[205:206], v[203:204]
	v_div_scale_f64 v[205:206], vcc_lo, 1.0, v[186:187], 1.0
	v_mul_f64 v[207:208], v[205:206], v[203:204]
	v_fma_f64 v[188:189], -v[188:189], v[207:208], v[205:206]
	v_div_fmas_f64 v[188:189], v[188:189], v[203:204], v[207:208]
	v_div_fixup_f64 v[188:189], v[188:189], v[186:187], 1.0
	v_mul_f64 v[186:187], v[201:202], v[188:189]
	v_xor_b32_e32 v189, 0x80000000, v189
.LBB90_343:
	s_andn2_saveexec_b32 s7, s7
	s_cbranch_execz .LBB90_345
; %bb.344:
	v_div_scale_f64 v[201:202], null, v[186:187], v[186:187], v[188:189]
	v_div_scale_f64 v[207:208], vcc_lo, v[188:189], v[186:187], v[188:189]
	v_rcp_f64_e32 v[203:204], v[201:202]
	v_fma_f64 v[205:206], -v[201:202], v[203:204], 1.0
	v_fma_f64 v[203:204], v[203:204], v[205:206], v[203:204]
	v_fma_f64 v[205:206], -v[201:202], v[203:204], 1.0
	v_fma_f64 v[203:204], v[203:204], v[205:206], v[203:204]
	v_mul_f64 v[205:206], v[207:208], v[203:204]
	v_fma_f64 v[201:202], -v[201:202], v[205:206], v[207:208]
	v_div_fmas_f64 v[201:202], v[201:202], v[203:204], v[205:206]
	v_div_fixup_f64 v[201:202], v[201:202], v[186:187], v[188:189]
	v_fma_f64 v[186:187], v[188:189], v[201:202], v[186:187]
	v_div_scale_f64 v[188:189], null, v[186:187], v[186:187], 1.0
	v_rcp_f64_e32 v[203:204], v[188:189]
	v_fma_f64 v[205:206], -v[188:189], v[203:204], 1.0
	v_fma_f64 v[203:204], v[203:204], v[205:206], v[203:204]
	v_fma_f64 v[205:206], -v[188:189], v[203:204], 1.0
	v_fma_f64 v[203:204], v[203:204], v[205:206], v[203:204]
	v_div_scale_f64 v[205:206], vcc_lo, 1.0, v[186:187], 1.0
	v_mul_f64 v[207:208], v[205:206], v[203:204]
	v_fma_f64 v[188:189], -v[188:189], v[207:208], v[205:206]
	v_div_fmas_f64 v[188:189], v[188:189], v[203:204], v[207:208]
	v_div_fixup_f64 v[186:187], v[188:189], v[186:187], 1.0
	v_mul_f64 v[188:189], v[201:202], -v[186:187]
.LBB90_345:
	s_or_b32 exec_lo, exec_lo, s7
.LBB90_346:
	s_or_b32 exec_lo, exec_lo, s0
	s_mov_b32 s0, exec_lo
	v_cmpx_ne_u32_e64 v200, v194
	s_xor_b32 s0, exec_lo, s0
	s_cbranch_execz .LBB90_352
; %bb.347:
	s_mov_b32 s7, exec_lo
	v_cmpx_eq_u32_e32 16, v200
	s_cbranch_execz .LBB90_351
; %bb.348:
	v_cmp_ne_u32_e32 vcc_lo, 16, v194
	s_xor_b32 s8, s16, -1
	s_and_b32 s9, s8, vcc_lo
	s_and_saveexec_b32 s8, s9
	s_cbranch_execz .LBB90_350
; %bb.349:
	v_ashrrev_i32_e32 v195, 31, v194
	v_lshlrev_b64 v[200:201], 2, v[194:195]
	v_add_co_u32 v200, vcc_lo, v192, v200
	v_add_co_ci_u32_e64 v201, null, v193, v201, vcc_lo
	s_clause 0x1
	global_load_dword v0, v[200:201], off
	global_load_dword v195, v[192:193], off offset:64
	s_waitcnt vmcnt(1)
	global_store_dword v[192:193], v0, off offset:64
	s_waitcnt vmcnt(0)
	global_store_dword v[200:201], v195, off
.LBB90_350:
	s_or_b32 exec_lo, exec_lo, s8
	v_mov_b32_e32 v200, v194
	v_mov_b32_e32 v0, v194
.LBB90_351:
	s_or_b32 exec_lo, exec_lo, s7
.LBB90_352:
	s_andn2_saveexec_b32 s0, s0
	s_cbranch_execz .LBB90_354
; %bb.353:
	v_mov_b32_e32 v200, 16
	ds_write2_b64 v1, v[110:111], v[112:113] offset0:34 offset1:35
	ds_write2_b64 v1, v[118:119], v[120:121] offset0:36 offset1:37
	;; [unrolled: 1-line block ×29, first 2 shown]
.LBB90_354:
	s_or_b32 exec_lo, exec_lo, s0
	s_mov_b32 s0, exec_lo
	s_waitcnt lgkmcnt(0)
	s_waitcnt_vscnt null, 0x0
	s_barrier
	buffer_gl0_inv
	v_cmpx_lt_i32_e32 16, v200
	s_cbranch_execz .LBB90_356
; %bb.355:
	v_mul_f64 v[194:195], v[188:189], v[116:117]
	v_mul_f64 v[116:117], v[186:187], v[116:117]
	v_fma_f64 v[194:195], v[186:187], v[114:115], -v[194:195]
	v_fma_f64 v[116:117], v[188:189], v[114:115], v[116:117]
	ds_read2_b64 v[186:189], v1 offset0:34 offset1:35
	s_waitcnt lgkmcnt(0)
	v_mul_f64 v[114:115], v[188:189], v[116:117]
	v_fma_f64 v[114:115], v[186:187], v[194:195], -v[114:115]
	v_mul_f64 v[186:187], v[186:187], v[116:117]
	v_add_f64 v[110:111], v[110:111], -v[114:115]
	v_fma_f64 v[186:187], v[188:189], v[194:195], v[186:187]
	v_add_f64 v[112:113], v[112:113], -v[186:187]
	ds_read2_b64 v[186:189], v1 offset0:36 offset1:37
	s_waitcnt lgkmcnt(0)
	v_mul_f64 v[114:115], v[188:189], v[116:117]
	v_fma_f64 v[114:115], v[186:187], v[194:195], -v[114:115]
	v_mul_f64 v[186:187], v[186:187], v[116:117]
	v_add_f64 v[118:119], v[118:119], -v[114:115]
	v_fma_f64 v[186:187], v[188:189], v[194:195], v[186:187]
	v_add_f64 v[120:121], v[120:121], -v[186:187]
	;; [unrolled: 8-line block ×28, first 2 shown]
	ds_read2_b64 v[186:189], v1 offset0:90 offset1:91
	s_waitcnt lgkmcnt(0)
	v_mul_f64 v[114:115], v[188:189], v[116:117]
	v_fma_f64 v[114:115], v[186:187], v[194:195], -v[114:115]
	v_mul_f64 v[186:187], v[186:187], v[116:117]
	v_add_f64 v[2:3], v[2:3], -v[114:115]
	v_fma_f64 v[186:187], v[188:189], v[194:195], v[186:187]
	v_mov_b32_e32 v114, v194
	v_mov_b32_e32 v115, v195
	v_add_f64 v[4:5], v[4:5], -v[186:187]
.LBB90_356:
	s_or_b32 exec_lo, exec_lo, s0
	v_lshl_add_u32 v186, v200, 4, v1
	s_barrier
	buffer_gl0_inv
	v_mov_b32_e32 v194, 17
	ds_write2_b64 v186, v[110:111], v[112:113] offset1:1
	s_waitcnt lgkmcnt(0)
	s_barrier
	buffer_gl0_inv
	ds_read2_b64 v[186:189], v1 offset0:34 offset1:35
	s_cmp_lt_i32 s1, 19
	s_cbranch_scc1 .LBB90_359
; %bb.357:
	v_add3_u32 v195, v196, 0, 0x120
	v_mov_b32_e32 v194, 17
	s_mov_b32 s7, 18
	s_inst_prefetch 0x1
	.p2align	6
.LBB90_358:                             ; =>This Inner Loop Header: Depth=1
	s_waitcnt lgkmcnt(0)
	v_cmp_gt_f64_e32 vcc_lo, 0, v[188:189]
	v_cmp_gt_f64_e64 s0, 0, v[186:187]
	ds_read2_b64 v[201:204], v195 offset1:1
	v_xor_b32_e32 v206, 0x80000000, v187
	v_xor_b32_e32 v208, 0x80000000, v189
	v_mov_b32_e32 v205, v186
	v_mov_b32_e32 v207, v188
	v_add_nc_u32_e32 v195, 16, v195
	s_waitcnt lgkmcnt(0)
	v_xor_b32_e32 v210, 0x80000000, v204
	v_cndmask_b32_e64 v206, v187, v206, s0
	v_cndmask_b32_e32 v208, v189, v208, vcc_lo
	v_cmp_gt_f64_e32 vcc_lo, 0, v[203:204]
	v_cmp_gt_f64_e64 s0, 0, v[201:202]
	v_mov_b32_e32 v209, v203
	v_add_f64 v[205:206], v[205:206], v[207:208]
	v_xor_b32_e32 v208, 0x80000000, v202
	v_mov_b32_e32 v207, v201
	v_cndmask_b32_e32 v210, v204, v210, vcc_lo
	v_cndmask_b32_e64 v208, v202, v208, s0
	v_add_f64 v[207:208], v[207:208], v[209:210]
	v_cmp_lt_f64_e32 vcc_lo, v[205:206], v[207:208]
	v_cndmask_b32_e32 v187, v187, v202, vcc_lo
	v_cndmask_b32_e32 v186, v186, v201, vcc_lo
	;; [unrolled: 1-line block ×4, first 2 shown]
	v_cndmask_b32_e64 v194, v194, s7, vcc_lo
	s_add_i32 s7, s7, 1
	s_cmp_lg_u32 s1, s7
	s_cbranch_scc1 .LBB90_358
.LBB90_359:
	s_inst_prefetch 0x2
	s_waitcnt lgkmcnt(0)
	v_cmp_eq_f64_e32 vcc_lo, 0, v[186:187]
	v_cmp_eq_f64_e64 s0, 0, v[188:189]
	s_and_b32 s0, vcc_lo, s0
	s_and_saveexec_b32 s7, s0
	s_xor_b32 s0, exec_lo, s7
; %bb.360:
	v_cmp_ne_u32_e32 vcc_lo, 0, v199
	v_cndmask_b32_e32 v199, 18, v199, vcc_lo
; %bb.361:
	s_andn2_saveexec_b32 s0, s0
	s_cbranch_execz .LBB90_367
; %bb.362:
	v_cmp_ngt_f64_e64 s7, |v[186:187]|, |v[188:189]|
	s_and_saveexec_b32 s8, s7
	s_xor_b32 s7, exec_lo, s8
	s_cbranch_execz .LBB90_364
; %bb.363:
	v_div_scale_f64 v[201:202], null, v[188:189], v[188:189], v[186:187]
	v_div_scale_f64 v[207:208], vcc_lo, v[186:187], v[188:189], v[186:187]
	v_rcp_f64_e32 v[203:204], v[201:202]
	v_fma_f64 v[205:206], -v[201:202], v[203:204], 1.0
	v_fma_f64 v[203:204], v[203:204], v[205:206], v[203:204]
	v_fma_f64 v[205:206], -v[201:202], v[203:204], 1.0
	v_fma_f64 v[203:204], v[203:204], v[205:206], v[203:204]
	v_mul_f64 v[205:206], v[207:208], v[203:204]
	v_fma_f64 v[201:202], -v[201:202], v[205:206], v[207:208]
	v_div_fmas_f64 v[201:202], v[201:202], v[203:204], v[205:206]
	v_div_fixup_f64 v[201:202], v[201:202], v[188:189], v[186:187]
	v_fma_f64 v[186:187], v[186:187], v[201:202], v[188:189]
	v_div_scale_f64 v[188:189], null, v[186:187], v[186:187], 1.0
	v_rcp_f64_e32 v[203:204], v[188:189]
	v_fma_f64 v[205:206], -v[188:189], v[203:204], 1.0
	v_fma_f64 v[203:204], v[203:204], v[205:206], v[203:204]
	v_fma_f64 v[205:206], -v[188:189], v[203:204], 1.0
	v_fma_f64 v[203:204], v[203:204], v[205:206], v[203:204]
	v_div_scale_f64 v[205:206], vcc_lo, 1.0, v[186:187], 1.0
	v_mul_f64 v[207:208], v[205:206], v[203:204]
	v_fma_f64 v[188:189], -v[188:189], v[207:208], v[205:206]
	v_div_fmas_f64 v[188:189], v[188:189], v[203:204], v[207:208]
	v_div_fixup_f64 v[188:189], v[188:189], v[186:187], 1.0
	v_mul_f64 v[186:187], v[201:202], v[188:189]
	v_xor_b32_e32 v189, 0x80000000, v189
.LBB90_364:
	s_andn2_saveexec_b32 s7, s7
	s_cbranch_execz .LBB90_366
; %bb.365:
	v_div_scale_f64 v[201:202], null, v[186:187], v[186:187], v[188:189]
	v_div_scale_f64 v[207:208], vcc_lo, v[188:189], v[186:187], v[188:189]
	v_rcp_f64_e32 v[203:204], v[201:202]
	v_fma_f64 v[205:206], -v[201:202], v[203:204], 1.0
	v_fma_f64 v[203:204], v[203:204], v[205:206], v[203:204]
	v_fma_f64 v[205:206], -v[201:202], v[203:204], 1.0
	v_fma_f64 v[203:204], v[203:204], v[205:206], v[203:204]
	v_mul_f64 v[205:206], v[207:208], v[203:204]
	v_fma_f64 v[201:202], -v[201:202], v[205:206], v[207:208]
	v_div_fmas_f64 v[201:202], v[201:202], v[203:204], v[205:206]
	v_div_fixup_f64 v[201:202], v[201:202], v[186:187], v[188:189]
	v_fma_f64 v[186:187], v[188:189], v[201:202], v[186:187]
	v_div_scale_f64 v[188:189], null, v[186:187], v[186:187], 1.0
	v_rcp_f64_e32 v[203:204], v[188:189]
	v_fma_f64 v[205:206], -v[188:189], v[203:204], 1.0
	v_fma_f64 v[203:204], v[203:204], v[205:206], v[203:204]
	v_fma_f64 v[205:206], -v[188:189], v[203:204], 1.0
	v_fma_f64 v[203:204], v[203:204], v[205:206], v[203:204]
	v_div_scale_f64 v[205:206], vcc_lo, 1.0, v[186:187], 1.0
	v_mul_f64 v[207:208], v[205:206], v[203:204]
	v_fma_f64 v[188:189], -v[188:189], v[207:208], v[205:206]
	v_div_fmas_f64 v[188:189], v[188:189], v[203:204], v[207:208]
	v_div_fixup_f64 v[186:187], v[188:189], v[186:187], 1.0
	v_mul_f64 v[188:189], v[201:202], -v[186:187]
.LBB90_366:
	s_or_b32 exec_lo, exec_lo, s7
.LBB90_367:
	s_or_b32 exec_lo, exec_lo, s0
	s_mov_b32 s0, exec_lo
	v_cmpx_ne_u32_e64 v200, v194
	s_xor_b32 s0, exec_lo, s0
	s_cbranch_execz .LBB90_373
; %bb.368:
	s_mov_b32 s7, exec_lo
	v_cmpx_eq_u32_e32 17, v200
	s_cbranch_execz .LBB90_372
; %bb.369:
	v_cmp_ne_u32_e32 vcc_lo, 17, v194
	s_xor_b32 s8, s16, -1
	s_and_b32 s9, s8, vcc_lo
	s_and_saveexec_b32 s8, s9
	s_cbranch_execz .LBB90_371
; %bb.370:
	v_ashrrev_i32_e32 v195, 31, v194
	v_lshlrev_b64 v[200:201], 2, v[194:195]
	v_add_co_u32 v200, vcc_lo, v192, v200
	v_add_co_ci_u32_e64 v201, null, v193, v201, vcc_lo
	s_clause 0x1
	global_load_dword v0, v[200:201], off
	global_load_dword v195, v[192:193], off offset:68
	s_waitcnt vmcnt(1)
	global_store_dword v[192:193], v0, off offset:68
	s_waitcnt vmcnt(0)
	global_store_dword v[200:201], v195, off
.LBB90_371:
	s_or_b32 exec_lo, exec_lo, s8
	v_mov_b32_e32 v200, v194
	v_mov_b32_e32 v0, v194
.LBB90_372:
	s_or_b32 exec_lo, exec_lo, s7
.LBB90_373:
	s_andn2_saveexec_b32 s0, s0
	s_cbranch_execz .LBB90_375
; %bb.374:
	v_mov_b32_e32 v200, 17
	ds_write2_b64 v1, v[118:119], v[120:121] offset0:36 offset1:37
	ds_write2_b64 v1, v[102:103], v[104:105] offset0:38 offset1:39
	;; [unrolled: 1-line block ×28, first 2 shown]
.LBB90_375:
	s_or_b32 exec_lo, exec_lo, s0
	s_mov_b32 s0, exec_lo
	s_waitcnt lgkmcnt(0)
	s_waitcnt_vscnt null, 0x0
	s_barrier
	buffer_gl0_inv
	v_cmpx_lt_i32_e32 17, v200
	s_cbranch_execz .LBB90_377
; %bb.376:
	v_mul_f64 v[194:195], v[188:189], v[112:113]
	v_mul_f64 v[112:113], v[186:187], v[112:113]
	v_fma_f64 v[194:195], v[186:187], v[110:111], -v[194:195]
	v_fma_f64 v[112:113], v[188:189], v[110:111], v[112:113]
	ds_read2_b64 v[186:189], v1 offset0:36 offset1:37
	s_waitcnt lgkmcnt(0)
	v_mul_f64 v[110:111], v[188:189], v[112:113]
	v_fma_f64 v[110:111], v[186:187], v[194:195], -v[110:111]
	v_mul_f64 v[186:187], v[186:187], v[112:113]
	v_add_f64 v[118:119], v[118:119], -v[110:111]
	v_fma_f64 v[186:187], v[188:189], v[194:195], v[186:187]
	v_add_f64 v[120:121], v[120:121], -v[186:187]
	ds_read2_b64 v[186:189], v1 offset0:38 offset1:39
	s_waitcnt lgkmcnt(0)
	v_mul_f64 v[110:111], v[188:189], v[112:113]
	v_fma_f64 v[110:111], v[186:187], v[194:195], -v[110:111]
	v_mul_f64 v[186:187], v[186:187], v[112:113]
	v_add_f64 v[102:103], v[102:103], -v[110:111]
	v_fma_f64 v[186:187], v[188:189], v[194:195], v[186:187]
	v_add_f64 v[104:105], v[104:105], -v[186:187]
	;; [unrolled: 8-line block ×27, first 2 shown]
	ds_read2_b64 v[186:189], v1 offset0:90 offset1:91
	s_waitcnt lgkmcnt(0)
	v_mul_f64 v[110:111], v[188:189], v[112:113]
	v_fma_f64 v[110:111], v[186:187], v[194:195], -v[110:111]
	v_mul_f64 v[186:187], v[186:187], v[112:113]
	v_add_f64 v[2:3], v[2:3], -v[110:111]
	v_fma_f64 v[186:187], v[188:189], v[194:195], v[186:187]
	v_mov_b32_e32 v110, v194
	v_mov_b32_e32 v111, v195
	v_add_f64 v[4:5], v[4:5], -v[186:187]
.LBB90_377:
	s_or_b32 exec_lo, exec_lo, s0
	v_lshl_add_u32 v186, v200, 4, v1
	s_barrier
	buffer_gl0_inv
	v_mov_b32_e32 v194, 18
	ds_write2_b64 v186, v[118:119], v[120:121] offset1:1
	s_waitcnt lgkmcnt(0)
	s_barrier
	buffer_gl0_inv
	ds_read2_b64 v[186:189], v1 offset0:36 offset1:37
	s_cmp_lt_i32 s1, 20
	s_cbranch_scc1 .LBB90_380
; %bb.378:
	v_add3_u32 v195, v196, 0, 0x130
	v_mov_b32_e32 v194, 18
	s_mov_b32 s7, 19
	s_inst_prefetch 0x1
	.p2align	6
.LBB90_379:                             ; =>This Inner Loop Header: Depth=1
	s_waitcnt lgkmcnt(0)
	v_cmp_gt_f64_e32 vcc_lo, 0, v[188:189]
	v_cmp_gt_f64_e64 s0, 0, v[186:187]
	ds_read2_b64 v[201:204], v195 offset1:1
	v_xor_b32_e32 v206, 0x80000000, v187
	v_xor_b32_e32 v208, 0x80000000, v189
	v_mov_b32_e32 v205, v186
	v_mov_b32_e32 v207, v188
	v_add_nc_u32_e32 v195, 16, v195
	s_waitcnt lgkmcnt(0)
	v_xor_b32_e32 v210, 0x80000000, v204
	v_cndmask_b32_e64 v206, v187, v206, s0
	v_cndmask_b32_e32 v208, v189, v208, vcc_lo
	v_cmp_gt_f64_e32 vcc_lo, 0, v[203:204]
	v_cmp_gt_f64_e64 s0, 0, v[201:202]
	v_mov_b32_e32 v209, v203
	v_add_f64 v[205:206], v[205:206], v[207:208]
	v_xor_b32_e32 v208, 0x80000000, v202
	v_mov_b32_e32 v207, v201
	v_cndmask_b32_e32 v210, v204, v210, vcc_lo
	v_cndmask_b32_e64 v208, v202, v208, s0
	v_add_f64 v[207:208], v[207:208], v[209:210]
	v_cmp_lt_f64_e32 vcc_lo, v[205:206], v[207:208]
	v_cndmask_b32_e32 v187, v187, v202, vcc_lo
	v_cndmask_b32_e32 v186, v186, v201, vcc_lo
	;; [unrolled: 1-line block ×4, first 2 shown]
	v_cndmask_b32_e64 v194, v194, s7, vcc_lo
	s_add_i32 s7, s7, 1
	s_cmp_lg_u32 s1, s7
	s_cbranch_scc1 .LBB90_379
.LBB90_380:
	s_inst_prefetch 0x2
	s_waitcnt lgkmcnt(0)
	v_cmp_eq_f64_e32 vcc_lo, 0, v[186:187]
	v_cmp_eq_f64_e64 s0, 0, v[188:189]
	s_and_b32 s0, vcc_lo, s0
	s_and_saveexec_b32 s7, s0
	s_xor_b32 s0, exec_lo, s7
; %bb.381:
	v_cmp_ne_u32_e32 vcc_lo, 0, v199
	v_cndmask_b32_e32 v199, 19, v199, vcc_lo
; %bb.382:
	s_andn2_saveexec_b32 s0, s0
	s_cbranch_execz .LBB90_388
; %bb.383:
	v_cmp_ngt_f64_e64 s7, |v[186:187]|, |v[188:189]|
	s_and_saveexec_b32 s8, s7
	s_xor_b32 s7, exec_lo, s8
	s_cbranch_execz .LBB90_385
; %bb.384:
	v_div_scale_f64 v[201:202], null, v[188:189], v[188:189], v[186:187]
	v_div_scale_f64 v[207:208], vcc_lo, v[186:187], v[188:189], v[186:187]
	v_rcp_f64_e32 v[203:204], v[201:202]
	v_fma_f64 v[205:206], -v[201:202], v[203:204], 1.0
	v_fma_f64 v[203:204], v[203:204], v[205:206], v[203:204]
	v_fma_f64 v[205:206], -v[201:202], v[203:204], 1.0
	v_fma_f64 v[203:204], v[203:204], v[205:206], v[203:204]
	v_mul_f64 v[205:206], v[207:208], v[203:204]
	v_fma_f64 v[201:202], -v[201:202], v[205:206], v[207:208]
	v_div_fmas_f64 v[201:202], v[201:202], v[203:204], v[205:206]
	v_div_fixup_f64 v[201:202], v[201:202], v[188:189], v[186:187]
	v_fma_f64 v[186:187], v[186:187], v[201:202], v[188:189]
	v_div_scale_f64 v[188:189], null, v[186:187], v[186:187], 1.0
	v_rcp_f64_e32 v[203:204], v[188:189]
	v_fma_f64 v[205:206], -v[188:189], v[203:204], 1.0
	v_fma_f64 v[203:204], v[203:204], v[205:206], v[203:204]
	v_fma_f64 v[205:206], -v[188:189], v[203:204], 1.0
	v_fma_f64 v[203:204], v[203:204], v[205:206], v[203:204]
	v_div_scale_f64 v[205:206], vcc_lo, 1.0, v[186:187], 1.0
	v_mul_f64 v[207:208], v[205:206], v[203:204]
	v_fma_f64 v[188:189], -v[188:189], v[207:208], v[205:206]
	v_div_fmas_f64 v[188:189], v[188:189], v[203:204], v[207:208]
	v_div_fixup_f64 v[188:189], v[188:189], v[186:187], 1.0
	v_mul_f64 v[186:187], v[201:202], v[188:189]
	v_xor_b32_e32 v189, 0x80000000, v189
.LBB90_385:
	s_andn2_saveexec_b32 s7, s7
	s_cbranch_execz .LBB90_387
; %bb.386:
	v_div_scale_f64 v[201:202], null, v[186:187], v[186:187], v[188:189]
	v_div_scale_f64 v[207:208], vcc_lo, v[188:189], v[186:187], v[188:189]
	v_rcp_f64_e32 v[203:204], v[201:202]
	v_fma_f64 v[205:206], -v[201:202], v[203:204], 1.0
	v_fma_f64 v[203:204], v[203:204], v[205:206], v[203:204]
	v_fma_f64 v[205:206], -v[201:202], v[203:204], 1.0
	v_fma_f64 v[203:204], v[203:204], v[205:206], v[203:204]
	v_mul_f64 v[205:206], v[207:208], v[203:204]
	v_fma_f64 v[201:202], -v[201:202], v[205:206], v[207:208]
	v_div_fmas_f64 v[201:202], v[201:202], v[203:204], v[205:206]
	v_div_fixup_f64 v[201:202], v[201:202], v[186:187], v[188:189]
	v_fma_f64 v[186:187], v[188:189], v[201:202], v[186:187]
	v_div_scale_f64 v[188:189], null, v[186:187], v[186:187], 1.0
	v_rcp_f64_e32 v[203:204], v[188:189]
	v_fma_f64 v[205:206], -v[188:189], v[203:204], 1.0
	v_fma_f64 v[203:204], v[203:204], v[205:206], v[203:204]
	v_fma_f64 v[205:206], -v[188:189], v[203:204], 1.0
	v_fma_f64 v[203:204], v[203:204], v[205:206], v[203:204]
	v_div_scale_f64 v[205:206], vcc_lo, 1.0, v[186:187], 1.0
	v_mul_f64 v[207:208], v[205:206], v[203:204]
	v_fma_f64 v[188:189], -v[188:189], v[207:208], v[205:206]
	v_div_fmas_f64 v[188:189], v[188:189], v[203:204], v[207:208]
	v_div_fixup_f64 v[186:187], v[188:189], v[186:187], 1.0
	v_mul_f64 v[188:189], v[201:202], -v[186:187]
.LBB90_387:
	s_or_b32 exec_lo, exec_lo, s7
.LBB90_388:
	s_or_b32 exec_lo, exec_lo, s0
	s_mov_b32 s0, exec_lo
	v_cmpx_ne_u32_e64 v200, v194
	s_xor_b32 s0, exec_lo, s0
	s_cbranch_execz .LBB90_394
; %bb.389:
	s_mov_b32 s7, exec_lo
	v_cmpx_eq_u32_e32 18, v200
	s_cbranch_execz .LBB90_393
; %bb.390:
	v_cmp_ne_u32_e32 vcc_lo, 18, v194
	s_xor_b32 s8, s16, -1
	s_and_b32 s9, s8, vcc_lo
	s_and_saveexec_b32 s8, s9
	s_cbranch_execz .LBB90_392
; %bb.391:
	v_ashrrev_i32_e32 v195, 31, v194
	v_lshlrev_b64 v[200:201], 2, v[194:195]
	v_add_co_u32 v200, vcc_lo, v192, v200
	v_add_co_ci_u32_e64 v201, null, v193, v201, vcc_lo
	s_clause 0x1
	global_load_dword v0, v[200:201], off
	global_load_dword v195, v[192:193], off offset:72
	s_waitcnt vmcnt(1)
	global_store_dword v[192:193], v0, off offset:72
	s_waitcnt vmcnt(0)
	global_store_dword v[200:201], v195, off
.LBB90_392:
	s_or_b32 exec_lo, exec_lo, s8
	v_mov_b32_e32 v200, v194
	v_mov_b32_e32 v0, v194
.LBB90_393:
	s_or_b32 exec_lo, exec_lo, s7
.LBB90_394:
	s_andn2_saveexec_b32 s0, s0
	s_cbranch_execz .LBB90_396
; %bb.395:
	v_mov_b32_e32 v200, 18
	ds_write2_b64 v1, v[102:103], v[104:105] offset0:38 offset1:39
	ds_write2_b64 v1, v[106:107], v[108:109] offset0:40 offset1:41
	;; [unrolled: 1-line block ×27, first 2 shown]
.LBB90_396:
	s_or_b32 exec_lo, exec_lo, s0
	s_mov_b32 s0, exec_lo
	s_waitcnt lgkmcnt(0)
	s_waitcnt_vscnt null, 0x0
	s_barrier
	buffer_gl0_inv
	v_cmpx_lt_i32_e32 18, v200
	s_cbranch_execz .LBB90_398
; %bb.397:
	v_mul_f64 v[194:195], v[188:189], v[120:121]
	v_mul_f64 v[120:121], v[186:187], v[120:121]
	v_fma_f64 v[194:195], v[186:187], v[118:119], -v[194:195]
	v_fma_f64 v[120:121], v[188:189], v[118:119], v[120:121]
	ds_read2_b64 v[186:189], v1 offset0:38 offset1:39
	s_waitcnt lgkmcnt(0)
	v_mul_f64 v[118:119], v[188:189], v[120:121]
	v_fma_f64 v[118:119], v[186:187], v[194:195], -v[118:119]
	v_mul_f64 v[186:187], v[186:187], v[120:121]
	v_add_f64 v[102:103], v[102:103], -v[118:119]
	v_fma_f64 v[186:187], v[188:189], v[194:195], v[186:187]
	v_add_f64 v[104:105], v[104:105], -v[186:187]
	ds_read2_b64 v[186:189], v1 offset0:40 offset1:41
	s_waitcnt lgkmcnt(0)
	v_mul_f64 v[118:119], v[188:189], v[120:121]
	v_fma_f64 v[118:119], v[186:187], v[194:195], -v[118:119]
	v_mul_f64 v[186:187], v[186:187], v[120:121]
	v_add_f64 v[106:107], v[106:107], -v[118:119]
	v_fma_f64 v[186:187], v[188:189], v[194:195], v[186:187]
	v_add_f64 v[108:109], v[108:109], -v[186:187]
	;; [unrolled: 8-line block ×26, first 2 shown]
	ds_read2_b64 v[186:189], v1 offset0:90 offset1:91
	s_waitcnt lgkmcnt(0)
	v_mul_f64 v[118:119], v[188:189], v[120:121]
	v_fma_f64 v[118:119], v[186:187], v[194:195], -v[118:119]
	v_mul_f64 v[186:187], v[186:187], v[120:121]
	v_add_f64 v[2:3], v[2:3], -v[118:119]
	v_fma_f64 v[186:187], v[188:189], v[194:195], v[186:187]
	v_mov_b32_e32 v118, v194
	v_mov_b32_e32 v119, v195
	v_add_f64 v[4:5], v[4:5], -v[186:187]
.LBB90_398:
	s_or_b32 exec_lo, exec_lo, s0
	v_lshl_add_u32 v186, v200, 4, v1
	s_barrier
	buffer_gl0_inv
	v_mov_b32_e32 v194, 19
	ds_write2_b64 v186, v[102:103], v[104:105] offset1:1
	s_waitcnt lgkmcnt(0)
	s_barrier
	buffer_gl0_inv
	ds_read2_b64 v[186:189], v1 offset0:38 offset1:39
	s_cmp_lt_i32 s1, 21
	s_cbranch_scc1 .LBB90_401
; %bb.399:
	v_add3_u32 v195, v196, 0, 0x140
	v_mov_b32_e32 v194, 19
	s_mov_b32 s7, 20
	s_inst_prefetch 0x1
	.p2align	6
.LBB90_400:                             ; =>This Inner Loop Header: Depth=1
	s_waitcnt lgkmcnt(0)
	v_cmp_gt_f64_e32 vcc_lo, 0, v[188:189]
	v_cmp_gt_f64_e64 s0, 0, v[186:187]
	ds_read2_b64 v[201:204], v195 offset1:1
	v_xor_b32_e32 v206, 0x80000000, v187
	v_xor_b32_e32 v208, 0x80000000, v189
	v_mov_b32_e32 v205, v186
	v_mov_b32_e32 v207, v188
	v_add_nc_u32_e32 v195, 16, v195
	s_waitcnt lgkmcnt(0)
	v_xor_b32_e32 v210, 0x80000000, v204
	v_cndmask_b32_e64 v206, v187, v206, s0
	v_cndmask_b32_e32 v208, v189, v208, vcc_lo
	v_cmp_gt_f64_e32 vcc_lo, 0, v[203:204]
	v_cmp_gt_f64_e64 s0, 0, v[201:202]
	v_mov_b32_e32 v209, v203
	v_add_f64 v[205:206], v[205:206], v[207:208]
	v_xor_b32_e32 v208, 0x80000000, v202
	v_mov_b32_e32 v207, v201
	v_cndmask_b32_e32 v210, v204, v210, vcc_lo
	v_cndmask_b32_e64 v208, v202, v208, s0
	v_add_f64 v[207:208], v[207:208], v[209:210]
	v_cmp_lt_f64_e32 vcc_lo, v[205:206], v[207:208]
	v_cndmask_b32_e32 v187, v187, v202, vcc_lo
	v_cndmask_b32_e32 v186, v186, v201, vcc_lo
	;; [unrolled: 1-line block ×4, first 2 shown]
	v_cndmask_b32_e64 v194, v194, s7, vcc_lo
	s_add_i32 s7, s7, 1
	s_cmp_lg_u32 s1, s7
	s_cbranch_scc1 .LBB90_400
.LBB90_401:
	s_inst_prefetch 0x2
	s_waitcnt lgkmcnt(0)
	v_cmp_eq_f64_e32 vcc_lo, 0, v[186:187]
	v_cmp_eq_f64_e64 s0, 0, v[188:189]
	s_and_b32 s0, vcc_lo, s0
	s_and_saveexec_b32 s7, s0
	s_xor_b32 s0, exec_lo, s7
; %bb.402:
	v_cmp_ne_u32_e32 vcc_lo, 0, v199
	v_cndmask_b32_e32 v199, 20, v199, vcc_lo
; %bb.403:
	s_andn2_saveexec_b32 s0, s0
	s_cbranch_execz .LBB90_409
; %bb.404:
	v_cmp_ngt_f64_e64 s7, |v[186:187]|, |v[188:189]|
	s_and_saveexec_b32 s8, s7
	s_xor_b32 s7, exec_lo, s8
	s_cbranch_execz .LBB90_406
; %bb.405:
	v_div_scale_f64 v[201:202], null, v[188:189], v[188:189], v[186:187]
	v_div_scale_f64 v[207:208], vcc_lo, v[186:187], v[188:189], v[186:187]
	v_rcp_f64_e32 v[203:204], v[201:202]
	v_fma_f64 v[205:206], -v[201:202], v[203:204], 1.0
	v_fma_f64 v[203:204], v[203:204], v[205:206], v[203:204]
	v_fma_f64 v[205:206], -v[201:202], v[203:204], 1.0
	v_fma_f64 v[203:204], v[203:204], v[205:206], v[203:204]
	v_mul_f64 v[205:206], v[207:208], v[203:204]
	v_fma_f64 v[201:202], -v[201:202], v[205:206], v[207:208]
	v_div_fmas_f64 v[201:202], v[201:202], v[203:204], v[205:206]
	v_div_fixup_f64 v[201:202], v[201:202], v[188:189], v[186:187]
	v_fma_f64 v[186:187], v[186:187], v[201:202], v[188:189]
	v_div_scale_f64 v[188:189], null, v[186:187], v[186:187], 1.0
	v_rcp_f64_e32 v[203:204], v[188:189]
	v_fma_f64 v[205:206], -v[188:189], v[203:204], 1.0
	v_fma_f64 v[203:204], v[203:204], v[205:206], v[203:204]
	v_fma_f64 v[205:206], -v[188:189], v[203:204], 1.0
	v_fma_f64 v[203:204], v[203:204], v[205:206], v[203:204]
	v_div_scale_f64 v[205:206], vcc_lo, 1.0, v[186:187], 1.0
	v_mul_f64 v[207:208], v[205:206], v[203:204]
	v_fma_f64 v[188:189], -v[188:189], v[207:208], v[205:206]
	v_div_fmas_f64 v[188:189], v[188:189], v[203:204], v[207:208]
	v_div_fixup_f64 v[188:189], v[188:189], v[186:187], 1.0
	v_mul_f64 v[186:187], v[201:202], v[188:189]
	v_xor_b32_e32 v189, 0x80000000, v189
.LBB90_406:
	s_andn2_saveexec_b32 s7, s7
	s_cbranch_execz .LBB90_408
; %bb.407:
	v_div_scale_f64 v[201:202], null, v[186:187], v[186:187], v[188:189]
	v_div_scale_f64 v[207:208], vcc_lo, v[188:189], v[186:187], v[188:189]
	v_rcp_f64_e32 v[203:204], v[201:202]
	v_fma_f64 v[205:206], -v[201:202], v[203:204], 1.0
	v_fma_f64 v[203:204], v[203:204], v[205:206], v[203:204]
	v_fma_f64 v[205:206], -v[201:202], v[203:204], 1.0
	v_fma_f64 v[203:204], v[203:204], v[205:206], v[203:204]
	v_mul_f64 v[205:206], v[207:208], v[203:204]
	v_fma_f64 v[201:202], -v[201:202], v[205:206], v[207:208]
	v_div_fmas_f64 v[201:202], v[201:202], v[203:204], v[205:206]
	v_div_fixup_f64 v[201:202], v[201:202], v[186:187], v[188:189]
	v_fma_f64 v[186:187], v[188:189], v[201:202], v[186:187]
	v_div_scale_f64 v[188:189], null, v[186:187], v[186:187], 1.0
	v_rcp_f64_e32 v[203:204], v[188:189]
	v_fma_f64 v[205:206], -v[188:189], v[203:204], 1.0
	v_fma_f64 v[203:204], v[203:204], v[205:206], v[203:204]
	v_fma_f64 v[205:206], -v[188:189], v[203:204], 1.0
	v_fma_f64 v[203:204], v[203:204], v[205:206], v[203:204]
	v_div_scale_f64 v[205:206], vcc_lo, 1.0, v[186:187], 1.0
	v_mul_f64 v[207:208], v[205:206], v[203:204]
	v_fma_f64 v[188:189], -v[188:189], v[207:208], v[205:206]
	v_div_fmas_f64 v[188:189], v[188:189], v[203:204], v[207:208]
	v_div_fixup_f64 v[186:187], v[188:189], v[186:187], 1.0
	v_mul_f64 v[188:189], v[201:202], -v[186:187]
.LBB90_408:
	s_or_b32 exec_lo, exec_lo, s7
.LBB90_409:
	s_or_b32 exec_lo, exec_lo, s0
	s_mov_b32 s0, exec_lo
	v_cmpx_ne_u32_e64 v200, v194
	s_xor_b32 s0, exec_lo, s0
	s_cbranch_execz .LBB90_415
; %bb.410:
	s_mov_b32 s7, exec_lo
	v_cmpx_eq_u32_e32 19, v200
	s_cbranch_execz .LBB90_414
; %bb.411:
	v_cmp_ne_u32_e32 vcc_lo, 19, v194
	s_xor_b32 s8, s16, -1
	s_and_b32 s9, s8, vcc_lo
	s_and_saveexec_b32 s8, s9
	s_cbranch_execz .LBB90_413
; %bb.412:
	v_ashrrev_i32_e32 v195, 31, v194
	v_lshlrev_b64 v[200:201], 2, v[194:195]
	v_add_co_u32 v200, vcc_lo, v192, v200
	v_add_co_ci_u32_e64 v201, null, v193, v201, vcc_lo
	s_clause 0x1
	global_load_dword v0, v[200:201], off
	global_load_dword v195, v[192:193], off offset:76
	s_waitcnt vmcnt(1)
	global_store_dword v[192:193], v0, off offset:76
	s_waitcnt vmcnt(0)
	global_store_dword v[200:201], v195, off
.LBB90_413:
	s_or_b32 exec_lo, exec_lo, s8
	v_mov_b32_e32 v200, v194
	v_mov_b32_e32 v0, v194
.LBB90_414:
	s_or_b32 exec_lo, exec_lo, s7
.LBB90_415:
	s_andn2_saveexec_b32 s0, s0
	s_cbranch_execz .LBB90_417
; %bb.416:
	v_mov_b32_e32 v200, 19
	ds_write2_b64 v1, v[106:107], v[108:109] offset0:40 offset1:41
	ds_write2_b64 v1, v[90:91], v[92:93] offset0:42 offset1:43
	;; [unrolled: 1-line block ×26, first 2 shown]
.LBB90_417:
	s_or_b32 exec_lo, exec_lo, s0
	s_mov_b32 s0, exec_lo
	s_waitcnt lgkmcnt(0)
	s_waitcnt_vscnt null, 0x0
	s_barrier
	buffer_gl0_inv
	v_cmpx_lt_i32_e32 19, v200
	s_cbranch_execz .LBB90_419
; %bb.418:
	v_mul_f64 v[194:195], v[188:189], v[104:105]
	v_mul_f64 v[104:105], v[186:187], v[104:105]
	v_fma_f64 v[194:195], v[186:187], v[102:103], -v[194:195]
	v_fma_f64 v[104:105], v[188:189], v[102:103], v[104:105]
	ds_read2_b64 v[186:189], v1 offset0:40 offset1:41
	s_waitcnt lgkmcnt(0)
	v_mul_f64 v[102:103], v[188:189], v[104:105]
	v_fma_f64 v[102:103], v[186:187], v[194:195], -v[102:103]
	v_mul_f64 v[186:187], v[186:187], v[104:105]
	v_add_f64 v[106:107], v[106:107], -v[102:103]
	v_fma_f64 v[186:187], v[188:189], v[194:195], v[186:187]
	v_add_f64 v[108:109], v[108:109], -v[186:187]
	ds_read2_b64 v[186:189], v1 offset0:42 offset1:43
	s_waitcnt lgkmcnt(0)
	v_mul_f64 v[102:103], v[188:189], v[104:105]
	v_fma_f64 v[102:103], v[186:187], v[194:195], -v[102:103]
	v_mul_f64 v[186:187], v[186:187], v[104:105]
	v_add_f64 v[90:91], v[90:91], -v[102:103]
	v_fma_f64 v[186:187], v[188:189], v[194:195], v[186:187]
	v_add_f64 v[92:93], v[92:93], -v[186:187]
	ds_read2_b64 v[186:189], v1 offset0:44 offset1:45
	s_waitcnt lgkmcnt(0)
	v_mul_f64 v[102:103], v[188:189], v[104:105]
	v_fma_f64 v[102:103], v[186:187], v[194:195], -v[102:103]
	v_mul_f64 v[186:187], v[186:187], v[104:105]
	v_add_f64 v[98:99], v[98:99], -v[102:103]
	v_fma_f64 v[186:187], v[188:189], v[194:195], v[186:187]
	v_add_f64 v[100:101], v[100:101], -v[186:187]
	ds_read2_b64 v[186:189], v1 offset0:46 offset1:47
	s_waitcnt lgkmcnt(0)
	v_mul_f64 v[102:103], v[188:189], v[104:105]
	v_fma_f64 v[102:103], v[186:187], v[194:195], -v[102:103]
	v_mul_f64 v[186:187], v[186:187], v[104:105]
	v_add_f64 v[94:95], v[94:95], -v[102:103]
	v_fma_f64 v[186:187], v[188:189], v[194:195], v[186:187]
	v_add_f64 v[96:97], v[96:97], -v[186:187]
	ds_read2_b64 v[186:189], v1 offset0:48 offset1:49
	s_waitcnt lgkmcnt(0)
	v_mul_f64 v[102:103], v[188:189], v[104:105]
	v_fma_f64 v[102:103], v[186:187], v[194:195], -v[102:103]
	v_mul_f64 v[186:187], v[186:187], v[104:105]
	v_add_f64 v[86:87], v[86:87], -v[102:103]
	v_fma_f64 v[186:187], v[188:189], v[194:195], v[186:187]
	v_add_f64 v[88:89], v[88:89], -v[186:187]
	ds_read2_b64 v[186:189], v1 offset0:50 offset1:51
	s_waitcnt lgkmcnt(0)
	v_mul_f64 v[102:103], v[188:189], v[104:105]
	v_fma_f64 v[102:103], v[186:187], v[194:195], -v[102:103]
	v_mul_f64 v[186:187], v[186:187], v[104:105]
	v_add_f64 v[82:83], v[82:83], -v[102:103]
	v_fma_f64 v[186:187], v[188:189], v[194:195], v[186:187]
	v_add_f64 v[84:85], v[84:85], -v[186:187]
	ds_read2_b64 v[186:189], v1 offset0:52 offset1:53
	s_waitcnt lgkmcnt(0)
	v_mul_f64 v[102:103], v[188:189], v[104:105]
	v_fma_f64 v[102:103], v[186:187], v[194:195], -v[102:103]
	v_mul_f64 v[186:187], v[186:187], v[104:105]
	v_add_f64 v[74:75], v[74:75], -v[102:103]
	v_fma_f64 v[186:187], v[188:189], v[194:195], v[186:187]
	v_add_f64 v[76:77], v[76:77], -v[186:187]
	ds_read2_b64 v[186:189], v1 offset0:54 offset1:55
	s_waitcnt lgkmcnt(0)
	v_mul_f64 v[102:103], v[188:189], v[104:105]
	v_fma_f64 v[102:103], v[186:187], v[194:195], -v[102:103]
	v_mul_f64 v[186:187], v[186:187], v[104:105]
	v_add_f64 v[70:71], v[70:71], -v[102:103]
	v_fma_f64 v[186:187], v[188:189], v[194:195], v[186:187]
	v_add_f64 v[72:73], v[72:73], -v[186:187]
	ds_read2_b64 v[186:189], v1 offset0:56 offset1:57
	s_waitcnt lgkmcnt(0)
	v_mul_f64 v[102:103], v[188:189], v[104:105]
	v_fma_f64 v[102:103], v[186:187], v[194:195], -v[102:103]
	v_mul_f64 v[186:187], v[186:187], v[104:105]
	v_add_f64 v[78:79], v[78:79], -v[102:103]
	v_fma_f64 v[186:187], v[188:189], v[194:195], v[186:187]
	v_add_f64 v[80:81], v[80:81], -v[186:187]
	ds_read2_b64 v[186:189], v1 offset0:58 offset1:59
	s_waitcnt lgkmcnt(0)
	v_mul_f64 v[102:103], v[188:189], v[104:105]
	v_fma_f64 v[102:103], v[186:187], v[194:195], -v[102:103]
	v_mul_f64 v[186:187], v[186:187], v[104:105]
	v_add_f64 v[54:55], v[54:55], -v[102:103]
	v_fma_f64 v[186:187], v[188:189], v[194:195], v[186:187]
	v_add_f64 v[56:57], v[56:57], -v[186:187]
	ds_read2_b64 v[186:189], v1 offset0:60 offset1:61
	s_waitcnt lgkmcnt(0)
	v_mul_f64 v[102:103], v[188:189], v[104:105]
	v_fma_f64 v[102:103], v[186:187], v[194:195], -v[102:103]
	v_mul_f64 v[186:187], v[186:187], v[104:105]
	v_add_f64 v[58:59], v[58:59], -v[102:103]
	v_fma_f64 v[186:187], v[188:189], v[194:195], v[186:187]
	v_add_f64 v[60:61], v[60:61], -v[186:187]
	ds_read2_b64 v[186:189], v1 offset0:62 offset1:63
	s_waitcnt lgkmcnt(0)
	v_mul_f64 v[102:103], v[188:189], v[104:105]
	v_fma_f64 v[102:103], v[186:187], v[194:195], -v[102:103]
	v_mul_f64 v[186:187], v[186:187], v[104:105]
	v_add_f64 v[42:43], v[42:43], -v[102:103]
	v_fma_f64 v[186:187], v[188:189], v[194:195], v[186:187]
	v_add_f64 v[44:45], v[44:45], -v[186:187]
	ds_read2_b64 v[186:189], v1 offset0:64 offset1:65
	s_waitcnt lgkmcnt(0)
	v_mul_f64 v[102:103], v[188:189], v[104:105]
	v_fma_f64 v[102:103], v[186:187], v[194:195], -v[102:103]
	v_mul_f64 v[186:187], v[186:187], v[104:105]
	v_add_f64 v[62:63], v[62:63], -v[102:103]
	v_fma_f64 v[186:187], v[188:189], v[194:195], v[186:187]
	v_add_f64 v[64:65], v[64:65], -v[186:187]
	ds_read2_b64 v[186:189], v1 offset0:66 offset1:67
	s_waitcnt lgkmcnt(0)
	v_mul_f64 v[102:103], v[188:189], v[104:105]
	v_fma_f64 v[102:103], v[186:187], v[194:195], -v[102:103]
	v_mul_f64 v[186:187], v[186:187], v[104:105]
	v_add_f64 v[66:67], v[66:67], -v[102:103]
	v_fma_f64 v[186:187], v[188:189], v[194:195], v[186:187]
	v_add_f64 v[68:69], v[68:69], -v[186:187]
	ds_read2_b64 v[186:189], v1 offset0:68 offset1:69
	s_waitcnt lgkmcnt(0)
	v_mul_f64 v[102:103], v[188:189], v[104:105]
	v_fma_f64 v[102:103], v[186:187], v[194:195], -v[102:103]
	v_mul_f64 v[186:187], v[186:187], v[104:105]
	v_add_f64 v[50:51], v[50:51], -v[102:103]
	v_fma_f64 v[186:187], v[188:189], v[194:195], v[186:187]
	v_add_f64 v[52:53], v[52:53], -v[186:187]
	ds_read2_b64 v[186:189], v1 offset0:70 offset1:71
	s_waitcnt lgkmcnt(0)
	v_mul_f64 v[102:103], v[188:189], v[104:105]
	v_fma_f64 v[102:103], v[186:187], v[194:195], -v[102:103]
	v_mul_f64 v[186:187], v[186:187], v[104:105]
	v_add_f64 v[46:47], v[46:47], -v[102:103]
	v_fma_f64 v[186:187], v[188:189], v[194:195], v[186:187]
	v_add_f64 v[48:49], v[48:49], -v[186:187]
	ds_read2_b64 v[186:189], v1 offset0:72 offset1:73
	s_waitcnt lgkmcnt(0)
	v_mul_f64 v[102:103], v[188:189], v[104:105]
	v_fma_f64 v[102:103], v[186:187], v[194:195], -v[102:103]
	v_mul_f64 v[186:187], v[186:187], v[104:105]
	v_add_f64 v[38:39], v[38:39], -v[102:103]
	v_fma_f64 v[186:187], v[188:189], v[194:195], v[186:187]
	v_add_f64 v[40:41], v[40:41], -v[186:187]
	ds_read2_b64 v[186:189], v1 offset0:74 offset1:75
	s_waitcnt lgkmcnt(0)
	v_mul_f64 v[102:103], v[188:189], v[104:105]
	v_fma_f64 v[102:103], v[186:187], v[194:195], -v[102:103]
	v_mul_f64 v[186:187], v[186:187], v[104:105]
	v_add_f64 v[34:35], v[34:35], -v[102:103]
	v_fma_f64 v[186:187], v[188:189], v[194:195], v[186:187]
	v_add_f64 v[36:37], v[36:37], -v[186:187]
	ds_read2_b64 v[186:189], v1 offset0:76 offset1:77
	s_waitcnt lgkmcnt(0)
	v_mul_f64 v[102:103], v[188:189], v[104:105]
	v_fma_f64 v[102:103], v[186:187], v[194:195], -v[102:103]
	v_mul_f64 v[186:187], v[186:187], v[104:105]
	v_add_f64 v[30:31], v[30:31], -v[102:103]
	v_fma_f64 v[186:187], v[188:189], v[194:195], v[186:187]
	v_add_f64 v[32:33], v[32:33], -v[186:187]
	ds_read2_b64 v[186:189], v1 offset0:78 offset1:79
	s_waitcnt lgkmcnt(0)
	v_mul_f64 v[102:103], v[188:189], v[104:105]
	v_fma_f64 v[102:103], v[186:187], v[194:195], -v[102:103]
	v_mul_f64 v[186:187], v[186:187], v[104:105]
	v_add_f64 v[26:27], v[26:27], -v[102:103]
	v_fma_f64 v[186:187], v[188:189], v[194:195], v[186:187]
	v_add_f64 v[28:29], v[28:29], -v[186:187]
	ds_read2_b64 v[186:189], v1 offset0:80 offset1:81
	s_waitcnt lgkmcnt(0)
	v_mul_f64 v[102:103], v[188:189], v[104:105]
	v_fma_f64 v[102:103], v[186:187], v[194:195], -v[102:103]
	v_mul_f64 v[186:187], v[186:187], v[104:105]
	v_add_f64 v[22:23], v[22:23], -v[102:103]
	v_fma_f64 v[186:187], v[188:189], v[194:195], v[186:187]
	v_add_f64 v[24:25], v[24:25], -v[186:187]
	ds_read2_b64 v[186:189], v1 offset0:82 offset1:83
	s_waitcnt lgkmcnt(0)
	v_mul_f64 v[102:103], v[188:189], v[104:105]
	v_fma_f64 v[102:103], v[186:187], v[194:195], -v[102:103]
	v_mul_f64 v[186:187], v[186:187], v[104:105]
	v_add_f64 v[18:19], v[18:19], -v[102:103]
	v_fma_f64 v[186:187], v[188:189], v[194:195], v[186:187]
	v_add_f64 v[20:21], v[20:21], -v[186:187]
	ds_read2_b64 v[186:189], v1 offset0:84 offset1:85
	s_waitcnt lgkmcnt(0)
	v_mul_f64 v[102:103], v[188:189], v[104:105]
	v_fma_f64 v[102:103], v[186:187], v[194:195], -v[102:103]
	v_mul_f64 v[186:187], v[186:187], v[104:105]
	v_add_f64 v[14:15], v[14:15], -v[102:103]
	v_fma_f64 v[186:187], v[188:189], v[194:195], v[186:187]
	v_add_f64 v[16:17], v[16:17], -v[186:187]
	ds_read2_b64 v[186:189], v1 offset0:86 offset1:87
	s_waitcnt lgkmcnt(0)
	v_mul_f64 v[102:103], v[188:189], v[104:105]
	v_fma_f64 v[102:103], v[186:187], v[194:195], -v[102:103]
	v_mul_f64 v[186:187], v[186:187], v[104:105]
	v_add_f64 v[10:11], v[10:11], -v[102:103]
	v_fma_f64 v[186:187], v[188:189], v[194:195], v[186:187]
	v_add_f64 v[12:13], v[12:13], -v[186:187]
	ds_read2_b64 v[186:189], v1 offset0:88 offset1:89
	s_waitcnt lgkmcnt(0)
	v_mul_f64 v[102:103], v[188:189], v[104:105]
	v_fma_f64 v[102:103], v[186:187], v[194:195], -v[102:103]
	v_mul_f64 v[186:187], v[186:187], v[104:105]
	v_add_f64 v[6:7], v[6:7], -v[102:103]
	v_fma_f64 v[186:187], v[188:189], v[194:195], v[186:187]
	v_add_f64 v[8:9], v[8:9], -v[186:187]
	ds_read2_b64 v[186:189], v1 offset0:90 offset1:91
	s_waitcnt lgkmcnt(0)
	v_mul_f64 v[102:103], v[188:189], v[104:105]
	v_fma_f64 v[102:103], v[186:187], v[194:195], -v[102:103]
	v_mul_f64 v[186:187], v[186:187], v[104:105]
	v_add_f64 v[2:3], v[2:3], -v[102:103]
	v_fma_f64 v[186:187], v[188:189], v[194:195], v[186:187]
	v_mov_b32_e32 v102, v194
	v_mov_b32_e32 v103, v195
	v_add_f64 v[4:5], v[4:5], -v[186:187]
.LBB90_419:
	s_or_b32 exec_lo, exec_lo, s0
	v_lshl_add_u32 v186, v200, 4, v1
	s_barrier
	buffer_gl0_inv
	v_mov_b32_e32 v194, 20
	ds_write2_b64 v186, v[106:107], v[108:109] offset1:1
	s_waitcnt lgkmcnt(0)
	s_barrier
	buffer_gl0_inv
	ds_read2_b64 v[186:189], v1 offset0:40 offset1:41
	s_cmp_lt_i32 s1, 22
	s_cbranch_scc1 .LBB90_422
; %bb.420:
	v_add3_u32 v195, v196, 0, 0x150
	v_mov_b32_e32 v194, 20
	s_mov_b32 s7, 21
	s_inst_prefetch 0x1
	.p2align	6
.LBB90_421:                             ; =>This Inner Loop Header: Depth=1
	s_waitcnt lgkmcnt(0)
	v_cmp_gt_f64_e32 vcc_lo, 0, v[188:189]
	v_cmp_gt_f64_e64 s0, 0, v[186:187]
	ds_read2_b64 v[201:204], v195 offset1:1
	v_xor_b32_e32 v206, 0x80000000, v187
	v_xor_b32_e32 v208, 0x80000000, v189
	v_mov_b32_e32 v205, v186
	v_mov_b32_e32 v207, v188
	v_add_nc_u32_e32 v195, 16, v195
	s_waitcnt lgkmcnt(0)
	v_xor_b32_e32 v210, 0x80000000, v204
	v_cndmask_b32_e64 v206, v187, v206, s0
	v_cndmask_b32_e32 v208, v189, v208, vcc_lo
	v_cmp_gt_f64_e32 vcc_lo, 0, v[203:204]
	v_cmp_gt_f64_e64 s0, 0, v[201:202]
	v_mov_b32_e32 v209, v203
	v_add_f64 v[205:206], v[205:206], v[207:208]
	v_xor_b32_e32 v208, 0x80000000, v202
	v_mov_b32_e32 v207, v201
	v_cndmask_b32_e32 v210, v204, v210, vcc_lo
	v_cndmask_b32_e64 v208, v202, v208, s0
	v_add_f64 v[207:208], v[207:208], v[209:210]
	v_cmp_lt_f64_e32 vcc_lo, v[205:206], v[207:208]
	v_cndmask_b32_e32 v187, v187, v202, vcc_lo
	v_cndmask_b32_e32 v186, v186, v201, vcc_lo
	;; [unrolled: 1-line block ×4, first 2 shown]
	v_cndmask_b32_e64 v194, v194, s7, vcc_lo
	s_add_i32 s7, s7, 1
	s_cmp_lg_u32 s1, s7
	s_cbranch_scc1 .LBB90_421
.LBB90_422:
	s_inst_prefetch 0x2
	s_waitcnt lgkmcnt(0)
	v_cmp_eq_f64_e32 vcc_lo, 0, v[186:187]
	v_cmp_eq_f64_e64 s0, 0, v[188:189]
	s_and_b32 s0, vcc_lo, s0
	s_and_saveexec_b32 s7, s0
	s_xor_b32 s0, exec_lo, s7
; %bb.423:
	v_cmp_ne_u32_e32 vcc_lo, 0, v199
	v_cndmask_b32_e32 v199, 21, v199, vcc_lo
; %bb.424:
	s_andn2_saveexec_b32 s0, s0
	s_cbranch_execz .LBB90_430
; %bb.425:
	v_cmp_ngt_f64_e64 s7, |v[186:187]|, |v[188:189]|
	s_and_saveexec_b32 s8, s7
	s_xor_b32 s7, exec_lo, s8
	s_cbranch_execz .LBB90_427
; %bb.426:
	v_div_scale_f64 v[201:202], null, v[188:189], v[188:189], v[186:187]
	v_div_scale_f64 v[207:208], vcc_lo, v[186:187], v[188:189], v[186:187]
	v_rcp_f64_e32 v[203:204], v[201:202]
	v_fma_f64 v[205:206], -v[201:202], v[203:204], 1.0
	v_fma_f64 v[203:204], v[203:204], v[205:206], v[203:204]
	v_fma_f64 v[205:206], -v[201:202], v[203:204], 1.0
	v_fma_f64 v[203:204], v[203:204], v[205:206], v[203:204]
	v_mul_f64 v[205:206], v[207:208], v[203:204]
	v_fma_f64 v[201:202], -v[201:202], v[205:206], v[207:208]
	v_div_fmas_f64 v[201:202], v[201:202], v[203:204], v[205:206]
	v_div_fixup_f64 v[201:202], v[201:202], v[188:189], v[186:187]
	v_fma_f64 v[186:187], v[186:187], v[201:202], v[188:189]
	v_div_scale_f64 v[188:189], null, v[186:187], v[186:187], 1.0
	v_rcp_f64_e32 v[203:204], v[188:189]
	v_fma_f64 v[205:206], -v[188:189], v[203:204], 1.0
	v_fma_f64 v[203:204], v[203:204], v[205:206], v[203:204]
	v_fma_f64 v[205:206], -v[188:189], v[203:204], 1.0
	v_fma_f64 v[203:204], v[203:204], v[205:206], v[203:204]
	v_div_scale_f64 v[205:206], vcc_lo, 1.0, v[186:187], 1.0
	v_mul_f64 v[207:208], v[205:206], v[203:204]
	v_fma_f64 v[188:189], -v[188:189], v[207:208], v[205:206]
	v_div_fmas_f64 v[188:189], v[188:189], v[203:204], v[207:208]
	v_div_fixup_f64 v[188:189], v[188:189], v[186:187], 1.0
	v_mul_f64 v[186:187], v[201:202], v[188:189]
	v_xor_b32_e32 v189, 0x80000000, v189
.LBB90_427:
	s_andn2_saveexec_b32 s7, s7
	s_cbranch_execz .LBB90_429
; %bb.428:
	v_div_scale_f64 v[201:202], null, v[186:187], v[186:187], v[188:189]
	v_div_scale_f64 v[207:208], vcc_lo, v[188:189], v[186:187], v[188:189]
	v_rcp_f64_e32 v[203:204], v[201:202]
	v_fma_f64 v[205:206], -v[201:202], v[203:204], 1.0
	v_fma_f64 v[203:204], v[203:204], v[205:206], v[203:204]
	v_fma_f64 v[205:206], -v[201:202], v[203:204], 1.0
	v_fma_f64 v[203:204], v[203:204], v[205:206], v[203:204]
	v_mul_f64 v[205:206], v[207:208], v[203:204]
	v_fma_f64 v[201:202], -v[201:202], v[205:206], v[207:208]
	v_div_fmas_f64 v[201:202], v[201:202], v[203:204], v[205:206]
	v_div_fixup_f64 v[201:202], v[201:202], v[186:187], v[188:189]
	v_fma_f64 v[186:187], v[188:189], v[201:202], v[186:187]
	v_div_scale_f64 v[188:189], null, v[186:187], v[186:187], 1.0
	v_rcp_f64_e32 v[203:204], v[188:189]
	v_fma_f64 v[205:206], -v[188:189], v[203:204], 1.0
	v_fma_f64 v[203:204], v[203:204], v[205:206], v[203:204]
	v_fma_f64 v[205:206], -v[188:189], v[203:204], 1.0
	v_fma_f64 v[203:204], v[203:204], v[205:206], v[203:204]
	v_div_scale_f64 v[205:206], vcc_lo, 1.0, v[186:187], 1.0
	v_mul_f64 v[207:208], v[205:206], v[203:204]
	v_fma_f64 v[188:189], -v[188:189], v[207:208], v[205:206]
	v_div_fmas_f64 v[188:189], v[188:189], v[203:204], v[207:208]
	v_div_fixup_f64 v[186:187], v[188:189], v[186:187], 1.0
	v_mul_f64 v[188:189], v[201:202], -v[186:187]
.LBB90_429:
	s_or_b32 exec_lo, exec_lo, s7
.LBB90_430:
	s_or_b32 exec_lo, exec_lo, s0
	s_mov_b32 s0, exec_lo
	v_cmpx_ne_u32_e64 v200, v194
	s_xor_b32 s0, exec_lo, s0
	s_cbranch_execz .LBB90_436
; %bb.431:
	s_mov_b32 s7, exec_lo
	v_cmpx_eq_u32_e32 20, v200
	s_cbranch_execz .LBB90_435
; %bb.432:
	v_cmp_ne_u32_e32 vcc_lo, 20, v194
	s_xor_b32 s8, s16, -1
	s_and_b32 s9, s8, vcc_lo
	s_and_saveexec_b32 s8, s9
	s_cbranch_execz .LBB90_434
; %bb.433:
	v_ashrrev_i32_e32 v195, 31, v194
	v_lshlrev_b64 v[200:201], 2, v[194:195]
	v_add_co_u32 v200, vcc_lo, v192, v200
	v_add_co_ci_u32_e64 v201, null, v193, v201, vcc_lo
	s_clause 0x1
	global_load_dword v0, v[200:201], off
	global_load_dword v195, v[192:193], off offset:80
	s_waitcnt vmcnt(1)
	global_store_dword v[192:193], v0, off offset:80
	s_waitcnt vmcnt(0)
	global_store_dword v[200:201], v195, off
.LBB90_434:
	s_or_b32 exec_lo, exec_lo, s8
	v_mov_b32_e32 v200, v194
	v_mov_b32_e32 v0, v194
.LBB90_435:
	s_or_b32 exec_lo, exec_lo, s7
.LBB90_436:
	s_andn2_saveexec_b32 s0, s0
	s_cbranch_execz .LBB90_438
; %bb.437:
	v_mov_b32_e32 v200, 20
	ds_write2_b64 v1, v[90:91], v[92:93] offset0:42 offset1:43
	ds_write2_b64 v1, v[98:99], v[100:101] offset0:44 offset1:45
	;; [unrolled: 1-line block ×25, first 2 shown]
.LBB90_438:
	s_or_b32 exec_lo, exec_lo, s0
	s_mov_b32 s0, exec_lo
	s_waitcnt lgkmcnt(0)
	s_waitcnt_vscnt null, 0x0
	s_barrier
	buffer_gl0_inv
	v_cmpx_lt_i32_e32 20, v200
	s_cbranch_execz .LBB90_440
; %bb.439:
	v_mul_f64 v[194:195], v[188:189], v[108:109]
	v_mul_f64 v[108:109], v[186:187], v[108:109]
	v_fma_f64 v[194:195], v[186:187], v[106:107], -v[194:195]
	v_fma_f64 v[108:109], v[188:189], v[106:107], v[108:109]
	ds_read2_b64 v[186:189], v1 offset0:42 offset1:43
	s_waitcnt lgkmcnt(0)
	v_mul_f64 v[106:107], v[188:189], v[108:109]
	v_fma_f64 v[106:107], v[186:187], v[194:195], -v[106:107]
	v_mul_f64 v[186:187], v[186:187], v[108:109]
	v_add_f64 v[90:91], v[90:91], -v[106:107]
	v_fma_f64 v[186:187], v[188:189], v[194:195], v[186:187]
	v_add_f64 v[92:93], v[92:93], -v[186:187]
	ds_read2_b64 v[186:189], v1 offset0:44 offset1:45
	s_waitcnt lgkmcnt(0)
	v_mul_f64 v[106:107], v[188:189], v[108:109]
	v_fma_f64 v[106:107], v[186:187], v[194:195], -v[106:107]
	v_mul_f64 v[186:187], v[186:187], v[108:109]
	v_add_f64 v[98:99], v[98:99], -v[106:107]
	v_fma_f64 v[186:187], v[188:189], v[194:195], v[186:187]
	v_add_f64 v[100:101], v[100:101], -v[186:187]
	;; [unrolled: 8-line block ×24, first 2 shown]
	ds_read2_b64 v[186:189], v1 offset0:90 offset1:91
	s_waitcnt lgkmcnt(0)
	v_mul_f64 v[106:107], v[188:189], v[108:109]
	v_fma_f64 v[106:107], v[186:187], v[194:195], -v[106:107]
	v_mul_f64 v[186:187], v[186:187], v[108:109]
	v_add_f64 v[2:3], v[2:3], -v[106:107]
	v_fma_f64 v[186:187], v[188:189], v[194:195], v[186:187]
	v_mov_b32_e32 v106, v194
	v_mov_b32_e32 v107, v195
	v_add_f64 v[4:5], v[4:5], -v[186:187]
.LBB90_440:
	s_or_b32 exec_lo, exec_lo, s0
	v_lshl_add_u32 v186, v200, 4, v1
	s_barrier
	buffer_gl0_inv
	v_mov_b32_e32 v194, 21
	ds_write2_b64 v186, v[90:91], v[92:93] offset1:1
	s_waitcnt lgkmcnt(0)
	s_barrier
	buffer_gl0_inv
	ds_read2_b64 v[186:189], v1 offset0:42 offset1:43
	s_cmp_lt_i32 s1, 23
	s_cbranch_scc1 .LBB90_443
; %bb.441:
	v_add3_u32 v195, v196, 0, 0x160
	v_mov_b32_e32 v194, 21
	s_mov_b32 s7, 22
	s_inst_prefetch 0x1
	.p2align	6
.LBB90_442:                             ; =>This Inner Loop Header: Depth=1
	s_waitcnt lgkmcnt(0)
	v_cmp_gt_f64_e32 vcc_lo, 0, v[188:189]
	v_cmp_gt_f64_e64 s0, 0, v[186:187]
	ds_read2_b64 v[201:204], v195 offset1:1
	v_xor_b32_e32 v206, 0x80000000, v187
	v_xor_b32_e32 v208, 0x80000000, v189
	v_mov_b32_e32 v205, v186
	v_mov_b32_e32 v207, v188
	v_add_nc_u32_e32 v195, 16, v195
	s_waitcnt lgkmcnt(0)
	v_xor_b32_e32 v210, 0x80000000, v204
	v_cndmask_b32_e64 v206, v187, v206, s0
	v_cndmask_b32_e32 v208, v189, v208, vcc_lo
	v_cmp_gt_f64_e32 vcc_lo, 0, v[203:204]
	v_cmp_gt_f64_e64 s0, 0, v[201:202]
	v_mov_b32_e32 v209, v203
	v_add_f64 v[205:206], v[205:206], v[207:208]
	v_xor_b32_e32 v208, 0x80000000, v202
	v_mov_b32_e32 v207, v201
	v_cndmask_b32_e32 v210, v204, v210, vcc_lo
	v_cndmask_b32_e64 v208, v202, v208, s0
	v_add_f64 v[207:208], v[207:208], v[209:210]
	v_cmp_lt_f64_e32 vcc_lo, v[205:206], v[207:208]
	v_cndmask_b32_e32 v187, v187, v202, vcc_lo
	v_cndmask_b32_e32 v186, v186, v201, vcc_lo
	;; [unrolled: 1-line block ×4, first 2 shown]
	v_cndmask_b32_e64 v194, v194, s7, vcc_lo
	s_add_i32 s7, s7, 1
	s_cmp_lg_u32 s1, s7
	s_cbranch_scc1 .LBB90_442
.LBB90_443:
	s_inst_prefetch 0x2
	s_waitcnt lgkmcnt(0)
	v_cmp_eq_f64_e32 vcc_lo, 0, v[186:187]
	v_cmp_eq_f64_e64 s0, 0, v[188:189]
	s_and_b32 s0, vcc_lo, s0
	s_and_saveexec_b32 s7, s0
	s_xor_b32 s0, exec_lo, s7
; %bb.444:
	v_cmp_ne_u32_e32 vcc_lo, 0, v199
	v_cndmask_b32_e32 v199, 22, v199, vcc_lo
; %bb.445:
	s_andn2_saveexec_b32 s0, s0
	s_cbranch_execz .LBB90_451
; %bb.446:
	v_cmp_ngt_f64_e64 s7, |v[186:187]|, |v[188:189]|
	s_and_saveexec_b32 s8, s7
	s_xor_b32 s7, exec_lo, s8
	s_cbranch_execz .LBB90_448
; %bb.447:
	v_div_scale_f64 v[201:202], null, v[188:189], v[188:189], v[186:187]
	v_div_scale_f64 v[207:208], vcc_lo, v[186:187], v[188:189], v[186:187]
	v_rcp_f64_e32 v[203:204], v[201:202]
	v_fma_f64 v[205:206], -v[201:202], v[203:204], 1.0
	v_fma_f64 v[203:204], v[203:204], v[205:206], v[203:204]
	v_fma_f64 v[205:206], -v[201:202], v[203:204], 1.0
	v_fma_f64 v[203:204], v[203:204], v[205:206], v[203:204]
	v_mul_f64 v[205:206], v[207:208], v[203:204]
	v_fma_f64 v[201:202], -v[201:202], v[205:206], v[207:208]
	v_div_fmas_f64 v[201:202], v[201:202], v[203:204], v[205:206]
	v_div_fixup_f64 v[201:202], v[201:202], v[188:189], v[186:187]
	v_fma_f64 v[186:187], v[186:187], v[201:202], v[188:189]
	v_div_scale_f64 v[188:189], null, v[186:187], v[186:187], 1.0
	v_rcp_f64_e32 v[203:204], v[188:189]
	v_fma_f64 v[205:206], -v[188:189], v[203:204], 1.0
	v_fma_f64 v[203:204], v[203:204], v[205:206], v[203:204]
	v_fma_f64 v[205:206], -v[188:189], v[203:204], 1.0
	v_fma_f64 v[203:204], v[203:204], v[205:206], v[203:204]
	v_div_scale_f64 v[205:206], vcc_lo, 1.0, v[186:187], 1.0
	v_mul_f64 v[207:208], v[205:206], v[203:204]
	v_fma_f64 v[188:189], -v[188:189], v[207:208], v[205:206]
	v_div_fmas_f64 v[188:189], v[188:189], v[203:204], v[207:208]
	v_div_fixup_f64 v[188:189], v[188:189], v[186:187], 1.0
	v_mul_f64 v[186:187], v[201:202], v[188:189]
	v_xor_b32_e32 v189, 0x80000000, v189
.LBB90_448:
	s_andn2_saveexec_b32 s7, s7
	s_cbranch_execz .LBB90_450
; %bb.449:
	v_div_scale_f64 v[201:202], null, v[186:187], v[186:187], v[188:189]
	v_div_scale_f64 v[207:208], vcc_lo, v[188:189], v[186:187], v[188:189]
	v_rcp_f64_e32 v[203:204], v[201:202]
	v_fma_f64 v[205:206], -v[201:202], v[203:204], 1.0
	v_fma_f64 v[203:204], v[203:204], v[205:206], v[203:204]
	v_fma_f64 v[205:206], -v[201:202], v[203:204], 1.0
	v_fma_f64 v[203:204], v[203:204], v[205:206], v[203:204]
	v_mul_f64 v[205:206], v[207:208], v[203:204]
	v_fma_f64 v[201:202], -v[201:202], v[205:206], v[207:208]
	v_div_fmas_f64 v[201:202], v[201:202], v[203:204], v[205:206]
	v_div_fixup_f64 v[201:202], v[201:202], v[186:187], v[188:189]
	v_fma_f64 v[186:187], v[188:189], v[201:202], v[186:187]
	v_div_scale_f64 v[188:189], null, v[186:187], v[186:187], 1.0
	v_rcp_f64_e32 v[203:204], v[188:189]
	v_fma_f64 v[205:206], -v[188:189], v[203:204], 1.0
	v_fma_f64 v[203:204], v[203:204], v[205:206], v[203:204]
	v_fma_f64 v[205:206], -v[188:189], v[203:204], 1.0
	v_fma_f64 v[203:204], v[203:204], v[205:206], v[203:204]
	v_div_scale_f64 v[205:206], vcc_lo, 1.0, v[186:187], 1.0
	v_mul_f64 v[207:208], v[205:206], v[203:204]
	v_fma_f64 v[188:189], -v[188:189], v[207:208], v[205:206]
	v_div_fmas_f64 v[188:189], v[188:189], v[203:204], v[207:208]
	v_div_fixup_f64 v[186:187], v[188:189], v[186:187], 1.0
	v_mul_f64 v[188:189], v[201:202], -v[186:187]
.LBB90_450:
	s_or_b32 exec_lo, exec_lo, s7
.LBB90_451:
	s_or_b32 exec_lo, exec_lo, s0
	s_mov_b32 s0, exec_lo
	v_cmpx_ne_u32_e64 v200, v194
	s_xor_b32 s0, exec_lo, s0
	s_cbranch_execz .LBB90_457
; %bb.452:
	s_mov_b32 s7, exec_lo
	v_cmpx_eq_u32_e32 21, v200
	s_cbranch_execz .LBB90_456
; %bb.453:
	v_cmp_ne_u32_e32 vcc_lo, 21, v194
	s_xor_b32 s8, s16, -1
	s_and_b32 s9, s8, vcc_lo
	s_and_saveexec_b32 s8, s9
	s_cbranch_execz .LBB90_455
; %bb.454:
	v_ashrrev_i32_e32 v195, 31, v194
	v_lshlrev_b64 v[200:201], 2, v[194:195]
	v_add_co_u32 v200, vcc_lo, v192, v200
	v_add_co_ci_u32_e64 v201, null, v193, v201, vcc_lo
	s_clause 0x1
	global_load_dword v0, v[200:201], off
	global_load_dword v195, v[192:193], off offset:84
	s_waitcnt vmcnt(1)
	global_store_dword v[192:193], v0, off offset:84
	s_waitcnt vmcnt(0)
	global_store_dword v[200:201], v195, off
.LBB90_455:
	s_or_b32 exec_lo, exec_lo, s8
	v_mov_b32_e32 v200, v194
	v_mov_b32_e32 v0, v194
.LBB90_456:
	s_or_b32 exec_lo, exec_lo, s7
.LBB90_457:
	s_andn2_saveexec_b32 s0, s0
	s_cbranch_execz .LBB90_459
; %bb.458:
	v_mov_b32_e32 v200, 21
	ds_write2_b64 v1, v[98:99], v[100:101] offset0:44 offset1:45
	ds_write2_b64 v1, v[94:95], v[96:97] offset0:46 offset1:47
	;; [unrolled: 1-line block ×24, first 2 shown]
.LBB90_459:
	s_or_b32 exec_lo, exec_lo, s0
	s_mov_b32 s0, exec_lo
	s_waitcnt lgkmcnt(0)
	s_waitcnt_vscnt null, 0x0
	s_barrier
	buffer_gl0_inv
	v_cmpx_lt_i32_e32 21, v200
	s_cbranch_execz .LBB90_461
; %bb.460:
	v_mul_f64 v[194:195], v[188:189], v[92:93]
	v_mul_f64 v[92:93], v[186:187], v[92:93]
	v_fma_f64 v[194:195], v[186:187], v[90:91], -v[194:195]
	v_fma_f64 v[92:93], v[188:189], v[90:91], v[92:93]
	ds_read2_b64 v[186:189], v1 offset0:44 offset1:45
	s_waitcnt lgkmcnt(0)
	v_mul_f64 v[90:91], v[188:189], v[92:93]
	v_fma_f64 v[90:91], v[186:187], v[194:195], -v[90:91]
	v_mul_f64 v[186:187], v[186:187], v[92:93]
	v_add_f64 v[98:99], v[98:99], -v[90:91]
	v_fma_f64 v[186:187], v[188:189], v[194:195], v[186:187]
	v_add_f64 v[100:101], v[100:101], -v[186:187]
	ds_read2_b64 v[186:189], v1 offset0:46 offset1:47
	s_waitcnt lgkmcnt(0)
	v_mul_f64 v[90:91], v[188:189], v[92:93]
	v_fma_f64 v[90:91], v[186:187], v[194:195], -v[90:91]
	v_mul_f64 v[186:187], v[186:187], v[92:93]
	v_add_f64 v[94:95], v[94:95], -v[90:91]
	v_fma_f64 v[186:187], v[188:189], v[194:195], v[186:187]
	v_add_f64 v[96:97], v[96:97], -v[186:187]
	;; [unrolled: 8-line block ×23, first 2 shown]
	ds_read2_b64 v[186:189], v1 offset0:90 offset1:91
	s_waitcnt lgkmcnt(0)
	v_mul_f64 v[90:91], v[188:189], v[92:93]
	v_fma_f64 v[90:91], v[186:187], v[194:195], -v[90:91]
	v_mul_f64 v[186:187], v[186:187], v[92:93]
	v_add_f64 v[2:3], v[2:3], -v[90:91]
	v_fma_f64 v[186:187], v[188:189], v[194:195], v[186:187]
	v_mov_b32_e32 v90, v194
	v_mov_b32_e32 v91, v195
	v_add_f64 v[4:5], v[4:5], -v[186:187]
.LBB90_461:
	s_or_b32 exec_lo, exec_lo, s0
	v_lshl_add_u32 v186, v200, 4, v1
	s_barrier
	buffer_gl0_inv
	v_mov_b32_e32 v194, 22
	ds_write2_b64 v186, v[98:99], v[100:101] offset1:1
	s_waitcnt lgkmcnt(0)
	s_barrier
	buffer_gl0_inv
	ds_read2_b64 v[186:189], v1 offset0:44 offset1:45
	s_cmp_lt_i32 s1, 24
	s_cbranch_scc1 .LBB90_464
; %bb.462:
	v_add3_u32 v195, v196, 0, 0x170
	v_mov_b32_e32 v194, 22
	s_mov_b32 s7, 23
	s_inst_prefetch 0x1
	.p2align	6
.LBB90_463:                             ; =>This Inner Loop Header: Depth=1
	s_waitcnt lgkmcnt(0)
	v_cmp_gt_f64_e32 vcc_lo, 0, v[188:189]
	v_cmp_gt_f64_e64 s0, 0, v[186:187]
	ds_read2_b64 v[201:204], v195 offset1:1
	v_xor_b32_e32 v206, 0x80000000, v187
	v_xor_b32_e32 v208, 0x80000000, v189
	v_mov_b32_e32 v205, v186
	v_mov_b32_e32 v207, v188
	v_add_nc_u32_e32 v195, 16, v195
	s_waitcnt lgkmcnt(0)
	v_xor_b32_e32 v210, 0x80000000, v204
	v_cndmask_b32_e64 v206, v187, v206, s0
	v_cndmask_b32_e32 v208, v189, v208, vcc_lo
	v_cmp_gt_f64_e32 vcc_lo, 0, v[203:204]
	v_cmp_gt_f64_e64 s0, 0, v[201:202]
	v_mov_b32_e32 v209, v203
	v_add_f64 v[205:206], v[205:206], v[207:208]
	v_xor_b32_e32 v208, 0x80000000, v202
	v_mov_b32_e32 v207, v201
	v_cndmask_b32_e32 v210, v204, v210, vcc_lo
	v_cndmask_b32_e64 v208, v202, v208, s0
	v_add_f64 v[207:208], v[207:208], v[209:210]
	v_cmp_lt_f64_e32 vcc_lo, v[205:206], v[207:208]
	v_cndmask_b32_e32 v187, v187, v202, vcc_lo
	v_cndmask_b32_e32 v186, v186, v201, vcc_lo
	;; [unrolled: 1-line block ×4, first 2 shown]
	v_cndmask_b32_e64 v194, v194, s7, vcc_lo
	s_add_i32 s7, s7, 1
	s_cmp_lg_u32 s1, s7
	s_cbranch_scc1 .LBB90_463
.LBB90_464:
	s_inst_prefetch 0x2
	s_waitcnt lgkmcnt(0)
	v_cmp_eq_f64_e32 vcc_lo, 0, v[186:187]
	v_cmp_eq_f64_e64 s0, 0, v[188:189]
	s_and_b32 s0, vcc_lo, s0
	s_and_saveexec_b32 s7, s0
	s_xor_b32 s0, exec_lo, s7
; %bb.465:
	v_cmp_ne_u32_e32 vcc_lo, 0, v199
	v_cndmask_b32_e32 v199, 23, v199, vcc_lo
; %bb.466:
	s_andn2_saveexec_b32 s0, s0
	s_cbranch_execz .LBB90_472
; %bb.467:
	v_cmp_ngt_f64_e64 s7, |v[186:187]|, |v[188:189]|
	s_and_saveexec_b32 s8, s7
	s_xor_b32 s7, exec_lo, s8
	s_cbranch_execz .LBB90_469
; %bb.468:
	v_div_scale_f64 v[201:202], null, v[188:189], v[188:189], v[186:187]
	v_div_scale_f64 v[207:208], vcc_lo, v[186:187], v[188:189], v[186:187]
	v_rcp_f64_e32 v[203:204], v[201:202]
	v_fma_f64 v[205:206], -v[201:202], v[203:204], 1.0
	v_fma_f64 v[203:204], v[203:204], v[205:206], v[203:204]
	v_fma_f64 v[205:206], -v[201:202], v[203:204], 1.0
	v_fma_f64 v[203:204], v[203:204], v[205:206], v[203:204]
	v_mul_f64 v[205:206], v[207:208], v[203:204]
	v_fma_f64 v[201:202], -v[201:202], v[205:206], v[207:208]
	v_div_fmas_f64 v[201:202], v[201:202], v[203:204], v[205:206]
	v_div_fixup_f64 v[201:202], v[201:202], v[188:189], v[186:187]
	v_fma_f64 v[186:187], v[186:187], v[201:202], v[188:189]
	v_div_scale_f64 v[188:189], null, v[186:187], v[186:187], 1.0
	v_rcp_f64_e32 v[203:204], v[188:189]
	v_fma_f64 v[205:206], -v[188:189], v[203:204], 1.0
	v_fma_f64 v[203:204], v[203:204], v[205:206], v[203:204]
	v_fma_f64 v[205:206], -v[188:189], v[203:204], 1.0
	v_fma_f64 v[203:204], v[203:204], v[205:206], v[203:204]
	v_div_scale_f64 v[205:206], vcc_lo, 1.0, v[186:187], 1.0
	v_mul_f64 v[207:208], v[205:206], v[203:204]
	v_fma_f64 v[188:189], -v[188:189], v[207:208], v[205:206]
	v_div_fmas_f64 v[188:189], v[188:189], v[203:204], v[207:208]
	v_div_fixup_f64 v[188:189], v[188:189], v[186:187], 1.0
	v_mul_f64 v[186:187], v[201:202], v[188:189]
	v_xor_b32_e32 v189, 0x80000000, v189
.LBB90_469:
	s_andn2_saveexec_b32 s7, s7
	s_cbranch_execz .LBB90_471
; %bb.470:
	v_div_scale_f64 v[201:202], null, v[186:187], v[186:187], v[188:189]
	v_div_scale_f64 v[207:208], vcc_lo, v[188:189], v[186:187], v[188:189]
	v_rcp_f64_e32 v[203:204], v[201:202]
	v_fma_f64 v[205:206], -v[201:202], v[203:204], 1.0
	v_fma_f64 v[203:204], v[203:204], v[205:206], v[203:204]
	v_fma_f64 v[205:206], -v[201:202], v[203:204], 1.0
	v_fma_f64 v[203:204], v[203:204], v[205:206], v[203:204]
	v_mul_f64 v[205:206], v[207:208], v[203:204]
	v_fma_f64 v[201:202], -v[201:202], v[205:206], v[207:208]
	v_div_fmas_f64 v[201:202], v[201:202], v[203:204], v[205:206]
	v_div_fixup_f64 v[201:202], v[201:202], v[186:187], v[188:189]
	v_fma_f64 v[186:187], v[188:189], v[201:202], v[186:187]
	v_div_scale_f64 v[188:189], null, v[186:187], v[186:187], 1.0
	v_rcp_f64_e32 v[203:204], v[188:189]
	v_fma_f64 v[205:206], -v[188:189], v[203:204], 1.0
	v_fma_f64 v[203:204], v[203:204], v[205:206], v[203:204]
	v_fma_f64 v[205:206], -v[188:189], v[203:204], 1.0
	v_fma_f64 v[203:204], v[203:204], v[205:206], v[203:204]
	v_div_scale_f64 v[205:206], vcc_lo, 1.0, v[186:187], 1.0
	v_mul_f64 v[207:208], v[205:206], v[203:204]
	v_fma_f64 v[188:189], -v[188:189], v[207:208], v[205:206]
	v_div_fmas_f64 v[188:189], v[188:189], v[203:204], v[207:208]
	v_div_fixup_f64 v[186:187], v[188:189], v[186:187], 1.0
	v_mul_f64 v[188:189], v[201:202], -v[186:187]
.LBB90_471:
	s_or_b32 exec_lo, exec_lo, s7
.LBB90_472:
	s_or_b32 exec_lo, exec_lo, s0
	s_mov_b32 s0, exec_lo
	v_cmpx_ne_u32_e64 v200, v194
	s_xor_b32 s0, exec_lo, s0
	s_cbranch_execz .LBB90_478
; %bb.473:
	s_mov_b32 s7, exec_lo
	v_cmpx_eq_u32_e32 22, v200
	s_cbranch_execz .LBB90_477
; %bb.474:
	v_cmp_ne_u32_e32 vcc_lo, 22, v194
	s_xor_b32 s8, s16, -1
	s_and_b32 s9, s8, vcc_lo
	s_and_saveexec_b32 s8, s9
	s_cbranch_execz .LBB90_476
; %bb.475:
	v_ashrrev_i32_e32 v195, 31, v194
	v_lshlrev_b64 v[200:201], 2, v[194:195]
	v_add_co_u32 v200, vcc_lo, v192, v200
	v_add_co_ci_u32_e64 v201, null, v193, v201, vcc_lo
	s_clause 0x1
	global_load_dword v0, v[200:201], off
	global_load_dword v195, v[192:193], off offset:88
	s_waitcnt vmcnt(1)
	global_store_dword v[192:193], v0, off offset:88
	s_waitcnt vmcnt(0)
	global_store_dword v[200:201], v195, off
.LBB90_476:
	s_or_b32 exec_lo, exec_lo, s8
	v_mov_b32_e32 v200, v194
	v_mov_b32_e32 v0, v194
.LBB90_477:
	s_or_b32 exec_lo, exec_lo, s7
.LBB90_478:
	s_andn2_saveexec_b32 s0, s0
	s_cbranch_execz .LBB90_480
; %bb.479:
	v_mov_b32_e32 v200, 22
	ds_write2_b64 v1, v[94:95], v[96:97] offset0:46 offset1:47
	ds_write2_b64 v1, v[86:87], v[88:89] offset0:48 offset1:49
	;; [unrolled: 1-line block ×23, first 2 shown]
.LBB90_480:
	s_or_b32 exec_lo, exec_lo, s0
	s_mov_b32 s0, exec_lo
	s_waitcnt lgkmcnt(0)
	s_waitcnt_vscnt null, 0x0
	s_barrier
	buffer_gl0_inv
	v_cmpx_lt_i32_e32 22, v200
	s_cbranch_execz .LBB90_482
; %bb.481:
	v_mul_f64 v[194:195], v[188:189], v[100:101]
	v_mul_f64 v[100:101], v[186:187], v[100:101]
	v_fma_f64 v[194:195], v[186:187], v[98:99], -v[194:195]
	v_fma_f64 v[100:101], v[188:189], v[98:99], v[100:101]
	ds_read2_b64 v[186:189], v1 offset0:46 offset1:47
	s_waitcnt lgkmcnt(0)
	v_mul_f64 v[98:99], v[188:189], v[100:101]
	v_fma_f64 v[98:99], v[186:187], v[194:195], -v[98:99]
	v_mul_f64 v[186:187], v[186:187], v[100:101]
	v_add_f64 v[94:95], v[94:95], -v[98:99]
	v_fma_f64 v[186:187], v[188:189], v[194:195], v[186:187]
	v_add_f64 v[96:97], v[96:97], -v[186:187]
	ds_read2_b64 v[186:189], v1 offset0:48 offset1:49
	s_waitcnt lgkmcnt(0)
	v_mul_f64 v[98:99], v[188:189], v[100:101]
	v_fma_f64 v[98:99], v[186:187], v[194:195], -v[98:99]
	v_mul_f64 v[186:187], v[186:187], v[100:101]
	v_add_f64 v[86:87], v[86:87], -v[98:99]
	v_fma_f64 v[186:187], v[188:189], v[194:195], v[186:187]
	v_add_f64 v[88:89], v[88:89], -v[186:187]
	ds_read2_b64 v[186:189], v1 offset0:50 offset1:51
	s_waitcnt lgkmcnt(0)
	v_mul_f64 v[98:99], v[188:189], v[100:101]
	v_fma_f64 v[98:99], v[186:187], v[194:195], -v[98:99]
	v_mul_f64 v[186:187], v[186:187], v[100:101]
	v_add_f64 v[82:83], v[82:83], -v[98:99]
	v_fma_f64 v[186:187], v[188:189], v[194:195], v[186:187]
	v_add_f64 v[84:85], v[84:85], -v[186:187]
	ds_read2_b64 v[186:189], v1 offset0:52 offset1:53
	s_waitcnt lgkmcnt(0)
	v_mul_f64 v[98:99], v[188:189], v[100:101]
	v_fma_f64 v[98:99], v[186:187], v[194:195], -v[98:99]
	v_mul_f64 v[186:187], v[186:187], v[100:101]
	v_add_f64 v[74:75], v[74:75], -v[98:99]
	v_fma_f64 v[186:187], v[188:189], v[194:195], v[186:187]
	v_add_f64 v[76:77], v[76:77], -v[186:187]
	ds_read2_b64 v[186:189], v1 offset0:54 offset1:55
	s_waitcnt lgkmcnt(0)
	v_mul_f64 v[98:99], v[188:189], v[100:101]
	v_fma_f64 v[98:99], v[186:187], v[194:195], -v[98:99]
	v_mul_f64 v[186:187], v[186:187], v[100:101]
	v_add_f64 v[70:71], v[70:71], -v[98:99]
	v_fma_f64 v[186:187], v[188:189], v[194:195], v[186:187]
	v_add_f64 v[72:73], v[72:73], -v[186:187]
	ds_read2_b64 v[186:189], v1 offset0:56 offset1:57
	s_waitcnt lgkmcnt(0)
	v_mul_f64 v[98:99], v[188:189], v[100:101]
	v_fma_f64 v[98:99], v[186:187], v[194:195], -v[98:99]
	v_mul_f64 v[186:187], v[186:187], v[100:101]
	v_add_f64 v[78:79], v[78:79], -v[98:99]
	v_fma_f64 v[186:187], v[188:189], v[194:195], v[186:187]
	v_add_f64 v[80:81], v[80:81], -v[186:187]
	ds_read2_b64 v[186:189], v1 offset0:58 offset1:59
	s_waitcnt lgkmcnt(0)
	v_mul_f64 v[98:99], v[188:189], v[100:101]
	v_fma_f64 v[98:99], v[186:187], v[194:195], -v[98:99]
	v_mul_f64 v[186:187], v[186:187], v[100:101]
	v_add_f64 v[54:55], v[54:55], -v[98:99]
	v_fma_f64 v[186:187], v[188:189], v[194:195], v[186:187]
	v_add_f64 v[56:57], v[56:57], -v[186:187]
	ds_read2_b64 v[186:189], v1 offset0:60 offset1:61
	s_waitcnt lgkmcnt(0)
	v_mul_f64 v[98:99], v[188:189], v[100:101]
	v_fma_f64 v[98:99], v[186:187], v[194:195], -v[98:99]
	v_mul_f64 v[186:187], v[186:187], v[100:101]
	v_add_f64 v[58:59], v[58:59], -v[98:99]
	v_fma_f64 v[186:187], v[188:189], v[194:195], v[186:187]
	v_add_f64 v[60:61], v[60:61], -v[186:187]
	ds_read2_b64 v[186:189], v1 offset0:62 offset1:63
	s_waitcnt lgkmcnt(0)
	v_mul_f64 v[98:99], v[188:189], v[100:101]
	v_fma_f64 v[98:99], v[186:187], v[194:195], -v[98:99]
	v_mul_f64 v[186:187], v[186:187], v[100:101]
	v_add_f64 v[42:43], v[42:43], -v[98:99]
	v_fma_f64 v[186:187], v[188:189], v[194:195], v[186:187]
	v_add_f64 v[44:45], v[44:45], -v[186:187]
	ds_read2_b64 v[186:189], v1 offset0:64 offset1:65
	s_waitcnt lgkmcnt(0)
	v_mul_f64 v[98:99], v[188:189], v[100:101]
	v_fma_f64 v[98:99], v[186:187], v[194:195], -v[98:99]
	v_mul_f64 v[186:187], v[186:187], v[100:101]
	v_add_f64 v[62:63], v[62:63], -v[98:99]
	v_fma_f64 v[186:187], v[188:189], v[194:195], v[186:187]
	v_add_f64 v[64:65], v[64:65], -v[186:187]
	ds_read2_b64 v[186:189], v1 offset0:66 offset1:67
	s_waitcnt lgkmcnt(0)
	v_mul_f64 v[98:99], v[188:189], v[100:101]
	v_fma_f64 v[98:99], v[186:187], v[194:195], -v[98:99]
	v_mul_f64 v[186:187], v[186:187], v[100:101]
	v_add_f64 v[66:67], v[66:67], -v[98:99]
	v_fma_f64 v[186:187], v[188:189], v[194:195], v[186:187]
	v_add_f64 v[68:69], v[68:69], -v[186:187]
	ds_read2_b64 v[186:189], v1 offset0:68 offset1:69
	s_waitcnt lgkmcnt(0)
	v_mul_f64 v[98:99], v[188:189], v[100:101]
	v_fma_f64 v[98:99], v[186:187], v[194:195], -v[98:99]
	v_mul_f64 v[186:187], v[186:187], v[100:101]
	v_add_f64 v[50:51], v[50:51], -v[98:99]
	v_fma_f64 v[186:187], v[188:189], v[194:195], v[186:187]
	v_add_f64 v[52:53], v[52:53], -v[186:187]
	ds_read2_b64 v[186:189], v1 offset0:70 offset1:71
	s_waitcnt lgkmcnt(0)
	v_mul_f64 v[98:99], v[188:189], v[100:101]
	v_fma_f64 v[98:99], v[186:187], v[194:195], -v[98:99]
	v_mul_f64 v[186:187], v[186:187], v[100:101]
	v_add_f64 v[46:47], v[46:47], -v[98:99]
	v_fma_f64 v[186:187], v[188:189], v[194:195], v[186:187]
	v_add_f64 v[48:49], v[48:49], -v[186:187]
	ds_read2_b64 v[186:189], v1 offset0:72 offset1:73
	s_waitcnt lgkmcnt(0)
	v_mul_f64 v[98:99], v[188:189], v[100:101]
	v_fma_f64 v[98:99], v[186:187], v[194:195], -v[98:99]
	v_mul_f64 v[186:187], v[186:187], v[100:101]
	v_add_f64 v[38:39], v[38:39], -v[98:99]
	v_fma_f64 v[186:187], v[188:189], v[194:195], v[186:187]
	v_add_f64 v[40:41], v[40:41], -v[186:187]
	ds_read2_b64 v[186:189], v1 offset0:74 offset1:75
	s_waitcnt lgkmcnt(0)
	v_mul_f64 v[98:99], v[188:189], v[100:101]
	v_fma_f64 v[98:99], v[186:187], v[194:195], -v[98:99]
	v_mul_f64 v[186:187], v[186:187], v[100:101]
	v_add_f64 v[34:35], v[34:35], -v[98:99]
	v_fma_f64 v[186:187], v[188:189], v[194:195], v[186:187]
	v_add_f64 v[36:37], v[36:37], -v[186:187]
	ds_read2_b64 v[186:189], v1 offset0:76 offset1:77
	s_waitcnt lgkmcnt(0)
	v_mul_f64 v[98:99], v[188:189], v[100:101]
	v_fma_f64 v[98:99], v[186:187], v[194:195], -v[98:99]
	v_mul_f64 v[186:187], v[186:187], v[100:101]
	v_add_f64 v[30:31], v[30:31], -v[98:99]
	v_fma_f64 v[186:187], v[188:189], v[194:195], v[186:187]
	v_add_f64 v[32:33], v[32:33], -v[186:187]
	ds_read2_b64 v[186:189], v1 offset0:78 offset1:79
	s_waitcnt lgkmcnt(0)
	v_mul_f64 v[98:99], v[188:189], v[100:101]
	v_fma_f64 v[98:99], v[186:187], v[194:195], -v[98:99]
	v_mul_f64 v[186:187], v[186:187], v[100:101]
	v_add_f64 v[26:27], v[26:27], -v[98:99]
	v_fma_f64 v[186:187], v[188:189], v[194:195], v[186:187]
	v_add_f64 v[28:29], v[28:29], -v[186:187]
	ds_read2_b64 v[186:189], v1 offset0:80 offset1:81
	s_waitcnt lgkmcnt(0)
	v_mul_f64 v[98:99], v[188:189], v[100:101]
	v_fma_f64 v[98:99], v[186:187], v[194:195], -v[98:99]
	v_mul_f64 v[186:187], v[186:187], v[100:101]
	v_add_f64 v[22:23], v[22:23], -v[98:99]
	v_fma_f64 v[186:187], v[188:189], v[194:195], v[186:187]
	v_add_f64 v[24:25], v[24:25], -v[186:187]
	ds_read2_b64 v[186:189], v1 offset0:82 offset1:83
	s_waitcnt lgkmcnt(0)
	v_mul_f64 v[98:99], v[188:189], v[100:101]
	v_fma_f64 v[98:99], v[186:187], v[194:195], -v[98:99]
	v_mul_f64 v[186:187], v[186:187], v[100:101]
	v_add_f64 v[18:19], v[18:19], -v[98:99]
	v_fma_f64 v[186:187], v[188:189], v[194:195], v[186:187]
	v_add_f64 v[20:21], v[20:21], -v[186:187]
	ds_read2_b64 v[186:189], v1 offset0:84 offset1:85
	s_waitcnt lgkmcnt(0)
	v_mul_f64 v[98:99], v[188:189], v[100:101]
	v_fma_f64 v[98:99], v[186:187], v[194:195], -v[98:99]
	v_mul_f64 v[186:187], v[186:187], v[100:101]
	v_add_f64 v[14:15], v[14:15], -v[98:99]
	v_fma_f64 v[186:187], v[188:189], v[194:195], v[186:187]
	v_add_f64 v[16:17], v[16:17], -v[186:187]
	ds_read2_b64 v[186:189], v1 offset0:86 offset1:87
	s_waitcnt lgkmcnt(0)
	v_mul_f64 v[98:99], v[188:189], v[100:101]
	v_fma_f64 v[98:99], v[186:187], v[194:195], -v[98:99]
	v_mul_f64 v[186:187], v[186:187], v[100:101]
	v_add_f64 v[10:11], v[10:11], -v[98:99]
	v_fma_f64 v[186:187], v[188:189], v[194:195], v[186:187]
	v_add_f64 v[12:13], v[12:13], -v[186:187]
	ds_read2_b64 v[186:189], v1 offset0:88 offset1:89
	s_waitcnt lgkmcnt(0)
	v_mul_f64 v[98:99], v[188:189], v[100:101]
	v_fma_f64 v[98:99], v[186:187], v[194:195], -v[98:99]
	v_mul_f64 v[186:187], v[186:187], v[100:101]
	v_add_f64 v[6:7], v[6:7], -v[98:99]
	v_fma_f64 v[186:187], v[188:189], v[194:195], v[186:187]
	v_add_f64 v[8:9], v[8:9], -v[186:187]
	ds_read2_b64 v[186:189], v1 offset0:90 offset1:91
	s_waitcnt lgkmcnt(0)
	v_mul_f64 v[98:99], v[188:189], v[100:101]
	v_fma_f64 v[98:99], v[186:187], v[194:195], -v[98:99]
	v_mul_f64 v[186:187], v[186:187], v[100:101]
	v_add_f64 v[2:3], v[2:3], -v[98:99]
	v_fma_f64 v[186:187], v[188:189], v[194:195], v[186:187]
	v_mov_b32_e32 v98, v194
	v_mov_b32_e32 v99, v195
	v_add_f64 v[4:5], v[4:5], -v[186:187]
.LBB90_482:
	s_or_b32 exec_lo, exec_lo, s0
	v_lshl_add_u32 v186, v200, 4, v1
	s_barrier
	buffer_gl0_inv
	v_mov_b32_e32 v194, 23
	ds_write2_b64 v186, v[94:95], v[96:97] offset1:1
	s_waitcnt lgkmcnt(0)
	s_barrier
	buffer_gl0_inv
	ds_read2_b64 v[186:189], v1 offset0:46 offset1:47
	s_cmp_lt_i32 s1, 25
	s_cbranch_scc1 .LBB90_485
; %bb.483:
	v_add3_u32 v195, v196, 0, 0x180
	v_mov_b32_e32 v194, 23
	s_mov_b32 s7, 24
	s_inst_prefetch 0x1
	.p2align	6
.LBB90_484:                             ; =>This Inner Loop Header: Depth=1
	s_waitcnt lgkmcnt(0)
	v_cmp_gt_f64_e32 vcc_lo, 0, v[188:189]
	v_cmp_gt_f64_e64 s0, 0, v[186:187]
	ds_read2_b64 v[201:204], v195 offset1:1
	v_xor_b32_e32 v206, 0x80000000, v187
	v_xor_b32_e32 v208, 0x80000000, v189
	v_mov_b32_e32 v205, v186
	v_mov_b32_e32 v207, v188
	v_add_nc_u32_e32 v195, 16, v195
	s_waitcnt lgkmcnt(0)
	v_xor_b32_e32 v210, 0x80000000, v204
	v_cndmask_b32_e64 v206, v187, v206, s0
	v_cndmask_b32_e32 v208, v189, v208, vcc_lo
	v_cmp_gt_f64_e32 vcc_lo, 0, v[203:204]
	v_cmp_gt_f64_e64 s0, 0, v[201:202]
	v_mov_b32_e32 v209, v203
	v_add_f64 v[205:206], v[205:206], v[207:208]
	v_xor_b32_e32 v208, 0x80000000, v202
	v_mov_b32_e32 v207, v201
	v_cndmask_b32_e32 v210, v204, v210, vcc_lo
	v_cndmask_b32_e64 v208, v202, v208, s0
	v_add_f64 v[207:208], v[207:208], v[209:210]
	v_cmp_lt_f64_e32 vcc_lo, v[205:206], v[207:208]
	v_cndmask_b32_e32 v187, v187, v202, vcc_lo
	v_cndmask_b32_e32 v186, v186, v201, vcc_lo
	v_cndmask_b32_e32 v189, v189, v204, vcc_lo
	v_cndmask_b32_e32 v188, v188, v203, vcc_lo
	v_cndmask_b32_e64 v194, v194, s7, vcc_lo
	s_add_i32 s7, s7, 1
	s_cmp_lg_u32 s1, s7
	s_cbranch_scc1 .LBB90_484
.LBB90_485:
	s_inst_prefetch 0x2
	s_waitcnt lgkmcnt(0)
	v_cmp_eq_f64_e32 vcc_lo, 0, v[186:187]
	v_cmp_eq_f64_e64 s0, 0, v[188:189]
	s_and_b32 s0, vcc_lo, s0
	s_and_saveexec_b32 s7, s0
	s_xor_b32 s0, exec_lo, s7
; %bb.486:
	v_cmp_ne_u32_e32 vcc_lo, 0, v199
	v_cndmask_b32_e32 v199, 24, v199, vcc_lo
; %bb.487:
	s_andn2_saveexec_b32 s0, s0
	s_cbranch_execz .LBB90_493
; %bb.488:
	v_cmp_ngt_f64_e64 s7, |v[186:187]|, |v[188:189]|
	s_and_saveexec_b32 s8, s7
	s_xor_b32 s7, exec_lo, s8
	s_cbranch_execz .LBB90_490
; %bb.489:
	v_div_scale_f64 v[201:202], null, v[188:189], v[188:189], v[186:187]
	v_div_scale_f64 v[207:208], vcc_lo, v[186:187], v[188:189], v[186:187]
	v_rcp_f64_e32 v[203:204], v[201:202]
	v_fma_f64 v[205:206], -v[201:202], v[203:204], 1.0
	v_fma_f64 v[203:204], v[203:204], v[205:206], v[203:204]
	v_fma_f64 v[205:206], -v[201:202], v[203:204], 1.0
	v_fma_f64 v[203:204], v[203:204], v[205:206], v[203:204]
	v_mul_f64 v[205:206], v[207:208], v[203:204]
	v_fma_f64 v[201:202], -v[201:202], v[205:206], v[207:208]
	v_div_fmas_f64 v[201:202], v[201:202], v[203:204], v[205:206]
	v_div_fixup_f64 v[201:202], v[201:202], v[188:189], v[186:187]
	v_fma_f64 v[186:187], v[186:187], v[201:202], v[188:189]
	v_div_scale_f64 v[188:189], null, v[186:187], v[186:187], 1.0
	v_rcp_f64_e32 v[203:204], v[188:189]
	v_fma_f64 v[205:206], -v[188:189], v[203:204], 1.0
	v_fma_f64 v[203:204], v[203:204], v[205:206], v[203:204]
	v_fma_f64 v[205:206], -v[188:189], v[203:204], 1.0
	v_fma_f64 v[203:204], v[203:204], v[205:206], v[203:204]
	v_div_scale_f64 v[205:206], vcc_lo, 1.0, v[186:187], 1.0
	v_mul_f64 v[207:208], v[205:206], v[203:204]
	v_fma_f64 v[188:189], -v[188:189], v[207:208], v[205:206]
	v_div_fmas_f64 v[188:189], v[188:189], v[203:204], v[207:208]
	v_div_fixup_f64 v[188:189], v[188:189], v[186:187], 1.0
	v_mul_f64 v[186:187], v[201:202], v[188:189]
	v_xor_b32_e32 v189, 0x80000000, v189
.LBB90_490:
	s_andn2_saveexec_b32 s7, s7
	s_cbranch_execz .LBB90_492
; %bb.491:
	v_div_scale_f64 v[201:202], null, v[186:187], v[186:187], v[188:189]
	v_div_scale_f64 v[207:208], vcc_lo, v[188:189], v[186:187], v[188:189]
	v_rcp_f64_e32 v[203:204], v[201:202]
	v_fma_f64 v[205:206], -v[201:202], v[203:204], 1.0
	v_fma_f64 v[203:204], v[203:204], v[205:206], v[203:204]
	v_fma_f64 v[205:206], -v[201:202], v[203:204], 1.0
	v_fma_f64 v[203:204], v[203:204], v[205:206], v[203:204]
	v_mul_f64 v[205:206], v[207:208], v[203:204]
	v_fma_f64 v[201:202], -v[201:202], v[205:206], v[207:208]
	v_div_fmas_f64 v[201:202], v[201:202], v[203:204], v[205:206]
	v_div_fixup_f64 v[201:202], v[201:202], v[186:187], v[188:189]
	v_fma_f64 v[186:187], v[188:189], v[201:202], v[186:187]
	v_div_scale_f64 v[188:189], null, v[186:187], v[186:187], 1.0
	v_rcp_f64_e32 v[203:204], v[188:189]
	v_fma_f64 v[205:206], -v[188:189], v[203:204], 1.0
	v_fma_f64 v[203:204], v[203:204], v[205:206], v[203:204]
	v_fma_f64 v[205:206], -v[188:189], v[203:204], 1.0
	v_fma_f64 v[203:204], v[203:204], v[205:206], v[203:204]
	v_div_scale_f64 v[205:206], vcc_lo, 1.0, v[186:187], 1.0
	v_mul_f64 v[207:208], v[205:206], v[203:204]
	v_fma_f64 v[188:189], -v[188:189], v[207:208], v[205:206]
	v_div_fmas_f64 v[188:189], v[188:189], v[203:204], v[207:208]
	v_div_fixup_f64 v[186:187], v[188:189], v[186:187], 1.0
	v_mul_f64 v[188:189], v[201:202], -v[186:187]
.LBB90_492:
	s_or_b32 exec_lo, exec_lo, s7
.LBB90_493:
	s_or_b32 exec_lo, exec_lo, s0
	s_mov_b32 s0, exec_lo
	v_cmpx_ne_u32_e64 v200, v194
	s_xor_b32 s0, exec_lo, s0
	s_cbranch_execz .LBB90_499
; %bb.494:
	s_mov_b32 s7, exec_lo
	v_cmpx_eq_u32_e32 23, v200
	s_cbranch_execz .LBB90_498
; %bb.495:
	v_cmp_ne_u32_e32 vcc_lo, 23, v194
	s_xor_b32 s8, s16, -1
	s_and_b32 s9, s8, vcc_lo
	s_and_saveexec_b32 s8, s9
	s_cbranch_execz .LBB90_497
; %bb.496:
	v_ashrrev_i32_e32 v195, 31, v194
	v_lshlrev_b64 v[200:201], 2, v[194:195]
	v_add_co_u32 v200, vcc_lo, v192, v200
	v_add_co_ci_u32_e64 v201, null, v193, v201, vcc_lo
	s_clause 0x1
	global_load_dword v0, v[200:201], off
	global_load_dword v195, v[192:193], off offset:92
	s_waitcnt vmcnt(1)
	global_store_dword v[192:193], v0, off offset:92
	s_waitcnt vmcnt(0)
	global_store_dword v[200:201], v195, off
.LBB90_497:
	s_or_b32 exec_lo, exec_lo, s8
	v_mov_b32_e32 v200, v194
	v_mov_b32_e32 v0, v194
.LBB90_498:
	s_or_b32 exec_lo, exec_lo, s7
.LBB90_499:
	s_andn2_saveexec_b32 s0, s0
	s_cbranch_execz .LBB90_501
; %bb.500:
	v_mov_b32_e32 v200, 23
	ds_write2_b64 v1, v[86:87], v[88:89] offset0:48 offset1:49
	ds_write2_b64 v1, v[82:83], v[84:85] offset0:50 offset1:51
	;; [unrolled: 1-line block ×22, first 2 shown]
.LBB90_501:
	s_or_b32 exec_lo, exec_lo, s0
	s_mov_b32 s0, exec_lo
	s_waitcnt lgkmcnt(0)
	s_waitcnt_vscnt null, 0x0
	s_barrier
	buffer_gl0_inv
	v_cmpx_lt_i32_e32 23, v200
	s_cbranch_execz .LBB90_503
; %bb.502:
	v_mul_f64 v[194:195], v[188:189], v[96:97]
	v_mul_f64 v[96:97], v[186:187], v[96:97]
	v_fma_f64 v[194:195], v[186:187], v[94:95], -v[194:195]
	v_fma_f64 v[96:97], v[188:189], v[94:95], v[96:97]
	ds_read2_b64 v[186:189], v1 offset0:48 offset1:49
	s_waitcnt lgkmcnt(0)
	v_mul_f64 v[94:95], v[188:189], v[96:97]
	v_fma_f64 v[94:95], v[186:187], v[194:195], -v[94:95]
	v_mul_f64 v[186:187], v[186:187], v[96:97]
	v_add_f64 v[86:87], v[86:87], -v[94:95]
	v_fma_f64 v[186:187], v[188:189], v[194:195], v[186:187]
	v_add_f64 v[88:89], v[88:89], -v[186:187]
	ds_read2_b64 v[186:189], v1 offset0:50 offset1:51
	s_waitcnt lgkmcnt(0)
	v_mul_f64 v[94:95], v[188:189], v[96:97]
	v_fma_f64 v[94:95], v[186:187], v[194:195], -v[94:95]
	v_mul_f64 v[186:187], v[186:187], v[96:97]
	v_add_f64 v[82:83], v[82:83], -v[94:95]
	v_fma_f64 v[186:187], v[188:189], v[194:195], v[186:187]
	v_add_f64 v[84:85], v[84:85], -v[186:187]
	;; [unrolled: 8-line block ×21, first 2 shown]
	ds_read2_b64 v[186:189], v1 offset0:90 offset1:91
	s_waitcnt lgkmcnt(0)
	v_mul_f64 v[94:95], v[188:189], v[96:97]
	v_fma_f64 v[94:95], v[186:187], v[194:195], -v[94:95]
	v_mul_f64 v[186:187], v[186:187], v[96:97]
	v_add_f64 v[2:3], v[2:3], -v[94:95]
	v_fma_f64 v[186:187], v[188:189], v[194:195], v[186:187]
	v_mov_b32_e32 v94, v194
	v_mov_b32_e32 v95, v195
	v_add_f64 v[4:5], v[4:5], -v[186:187]
.LBB90_503:
	s_or_b32 exec_lo, exec_lo, s0
	v_lshl_add_u32 v186, v200, 4, v1
	s_barrier
	buffer_gl0_inv
	v_mov_b32_e32 v194, 24
	ds_write2_b64 v186, v[86:87], v[88:89] offset1:1
	s_waitcnt lgkmcnt(0)
	s_barrier
	buffer_gl0_inv
	ds_read2_b64 v[186:189], v1 offset0:48 offset1:49
	s_cmp_lt_i32 s1, 26
	s_cbranch_scc1 .LBB90_506
; %bb.504:
	v_add3_u32 v195, v196, 0, 0x190
	v_mov_b32_e32 v194, 24
	s_mov_b32 s7, 25
	s_inst_prefetch 0x1
	.p2align	6
.LBB90_505:                             ; =>This Inner Loop Header: Depth=1
	s_waitcnt lgkmcnt(0)
	v_cmp_gt_f64_e32 vcc_lo, 0, v[188:189]
	v_cmp_gt_f64_e64 s0, 0, v[186:187]
	ds_read2_b64 v[201:204], v195 offset1:1
	v_xor_b32_e32 v206, 0x80000000, v187
	v_xor_b32_e32 v208, 0x80000000, v189
	v_mov_b32_e32 v205, v186
	v_mov_b32_e32 v207, v188
	v_add_nc_u32_e32 v195, 16, v195
	s_waitcnt lgkmcnt(0)
	v_xor_b32_e32 v210, 0x80000000, v204
	v_cndmask_b32_e64 v206, v187, v206, s0
	v_cndmask_b32_e32 v208, v189, v208, vcc_lo
	v_cmp_gt_f64_e32 vcc_lo, 0, v[203:204]
	v_cmp_gt_f64_e64 s0, 0, v[201:202]
	v_mov_b32_e32 v209, v203
	v_add_f64 v[205:206], v[205:206], v[207:208]
	v_xor_b32_e32 v208, 0x80000000, v202
	v_mov_b32_e32 v207, v201
	v_cndmask_b32_e32 v210, v204, v210, vcc_lo
	v_cndmask_b32_e64 v208, v202, v208, s0
	v_add_f64 v[207:208], v[207:208], v[209:210]
	v_cmp_lt_f64_e32 vcc_lo, v[205:206], v[207:208]
	v_cndmask_b32_e32 v187, v187, v202, vcc_lo
	v_cndmask_b32_e32 v186, v186, v201, vcc_lo
	;; [unrolled: 1-line block ×4, first 2 shown]
	v_cndmask_b32_e64 v194, v194, s7, vcc_lo
	s_add_i32 s7, s7, 1
	s_cmp_lg_u32 s1, s7
	s_cbranch_scc1 .LBB90_505
.LBB90_506:
	s_inst_prefetch 0x2
	s_waitcnt lgkmcnt(0)
	v_cmp_eq_f64_e32 vcc_lo, 0, v[186:187]
	v_cmp_eq_f64_e64 s0, 0, v[188:189]
	s_and_b32 s0, vcc_lo, s0
	s_and_saveexec_b32 s7, s0
	s_xor_b32 s0, exec_lo, s7
; %bb.507:
	v_cmp_ne_u32_e32 vcc_lo, 0, v199
	v_cndmask_b32_e32 v199, 25, v199, vcc_lo
; %bb.508:
	s_andn2_saveexec_b32 s0, s0
	s_cbranch_execz .LBB90_514
; %bb.509:
	v_cmp_ngt_f64_e64 s7, |v[186:187]|, |v[188:189]|
	s_and_saveexec_b32 s8, s7
	s_xor_b32 s7, exec_lo, s8
	s_cbranch_execz .LBB90_511
; %bb.510:
	v_div_scale_f64 v[201:202], null, v[188:189], v[188:189], v[186:187]
	v_div_scale_f64 v[207:208], vcc_lo, v[186:187], v[188:189], v[186:187]
	v_rcp_f64_e32 v[203:204], v[201:202]
	v_fma_f64 v[205:206], -v[201:202], v[203:204], 1.0
	v_fma_f64 v[203:204], v[203:204], v[205:206], v[203:204]
	v_fma_f64 v[205:206], -v[201:202], v[203:204], 1.0
	v_fma_f64 v[203:204], v[203:204], v[205:206], v[203:204]
	v_mul_f64 v[205:206], v[207:208], v[203:204]
	v_fma_f64 v[201:202], -v[201:202], v[205:206], v[207:208]
	v_div_fmas_f64 v[201:202], v[201:202], v[203:204], v[205:206]
	v_div_fixup_f64 v[201:202], v[201:202], v[188:189], v[186:187]
	v_fma_f64 v[186:187], v[186:187], v[201:202], v[188:189]
	v_div_scale_f64 v[188:189], null, v[186:187], v[186:187], 1.0
	v_rcp_f64_e32 v[203:204], v[188:189]
	v_fma_f64 v[205:206], -v[188:189], v[203:204], 1.0
	v_fma_f64 v[203:204], v[203:204], v[205:206], v[203:204]
	v_fma_f64 v[205:206], -v[188:189], v[203:204], 1.0
	v_fma_f64 v[203:204], v[203:204], v[205:206], v[203:204]
	v_div_scale_f64 v[205:206], vcc_lo, 1.0, v[186:187], 1.0
	v_mul_f64 v[207:208], v[205:206], v[203:204]
	v_fma_f64 v[188:189], -v[188:189], v[207:208], v[205:206]
	v_div_fmas_f64 v[188:189], v[188:189], v[203:204], v[207:208]
	v_div_fixup_f64 v[188:189], v[188:189], v[186:187], 1.0
	v_mul_f64 v[186:187], v[201:202], v[188:189]
	v_xor_b32_e32 v189, 0x80000000, v189
.LBB90_511:
	s_andn2_saveexec_b32 s7, s7
	s_cbranch_execz .LBB90_513
; %bb.512:
	v_div_scale_f64 v[201:202], null, v[186:187], v[186:187], v[188:189]
	v_div_scale_f64 v[207:208], vcc_lo, v[188:189], v[186:187], v[188:189]
	v_rcp_f64_e32 v[203:204], v[201:202]
	v_fma_f64 v[205:206], -v[201:202], v[203:204], 1.0
	v_fma_f64 v[203:204], v[203:204], v[205:206], v[203:204]
	v_fma_f64 v[205:206], -v[201:202], v[203:204], 1.0
	v_fma_f64 v[203:204], v[203:204], v[205:206], v[203:204]
	v_mul_f64 v[205:206], v[207:208], v[203:204]
	v_fma_f64 v[201:202], -v[201:202], v[205:206], v[207:208]
	v_div_fmas_f64 v[201:202], v[201:202], v[203:204], v[205:206]
	v_div_fixup_f64 v[201:202], v[201:202], v[186:187], v[188:189]
	v_fma_f64 v[186:187], v[188:189], v[201:202], v[186:187]
	v_div_scale_f64 v[188:189], null, v[186:187], v[186:187], 1.0
	v_rcp_f64_e32 v[203:204], v[188:189]
	v_fma_f64 v[205:206], -v[188:189], v[203:204], 1.0
	v_fma_f64 v[203:204], v[203:204], v[205:206], v[203:204]
	v_fma_f64 v[205:206], -v[188:189], v[203:204], 1.0
	v_fma_f64 v[203:204], v[203:204], v[205:206], v[203:204]
	v_div_scale_f64 v[205:206], vcc_lo, 1.0, v[186:187], 1.0
	v_mul_f64 v[207:208], v[205:206], v[203:204]
	v_fma_f64 v[188:189], -v[188:189], v[207:208], v[205:206]
	v_div_fmas_f64 v[188:189], v[188:189], v[203:204], v[207:208]
	v_div_fixup_f64 v[186:187], v[188:189], v[186:187], 1.0
	v_mul_f64 v[188:189], v[201:202], -v[186:187]
.LBB90_513:
	s_or_b32 exec_lo, exec_lo, s7
.LBB90_514:
	s_or_b32 exec_lo, exec_lo, s0
	s_mov_b32 s0, exec_lo
	v_cmpx_ne_u32_e64 v200, v194
	s_xor_b32 s0, exec_lo, s0
	s_cbranch_execz .LBB90_520
; %bb.515:
	s_mov_b32 s7, exec_lo
	v_cmpx_eq_u32_e32 24, v200
	s_cbranch_execz .LBB90_519
; %bb.516:
	v_cmp_ne_u32_e32 vcc_lo, 24, v194
	s_xor_b32 s8, s16, -1
	s_and_b32 s9, s8, vcc_lo
	s_and_saveexec_b32 s8, s9
	s_cbranch_execz .LBB90_518
; %bb.517:
	v_ashrrev_i32_e32 v195, 31, v194
	v_lshlrev_b64 v[200:201], 2, v[194:195]
	v_add_co_u32 v200, vcc_lo, v192, v200
	v_add_co_ci_u32_e64 v201, null, v193, v201, vcc_lo
	s_clause 0x1
	global_load_dword v0, v[200:201], off
	global_load_dword v195, v[192:193], off offset:96
	s_waitcnt vmcnt(1)
	global_store_dword v[192:193], v0, off offset:96
	s_waitcnt vmcnt(0)
	global_store_dword v[200:201], v195, off
.LBB90_518:
	s_or_b32 exec_lo, exec_lo, s8
	v_mov_b32_e32 v200, v194
	v_mov_b32_e32 v0, v194
.LBB90_519:
	s_or_b32 exec_lo, exec_lo, s7
.LBB90_520:
	s_andn2_saveexec_b32 s0, s0
	s_cbranch_execz .LBB90_522
; %bb.521:
	v_mov_b32_e32 v200, 24
	ds_write2_b64 v1, v[82:83], v[84:85] offset0:50 offset1:51
	ds_write2_b64 v1, v[74:75], v[76:77] offset0:52 offset1:53
	;; [unrolled: 1-line block ×21, first 2 shown]
.LBB90_522:
	s_or_b32 exec_lo, exec_lo, s0
	s_mov_b32 s0, exec_lo
	s_waitcnt lgkmcnt(0)
	s_waitcnt_vscnt null, 0x0
	s_barrier
	buffer_gl0_inv
	v_cmpx_lt_i32_e32 24, v200
	s_cbranch_execz .LBB90_524
; %bb.523:
	v_mul_f64 v[194:195], v[188:189], v[88:89]
	v_mul_f64 v[88:89], v[186:187], v[88:89]
	v_fma_f64 v[194:195], v[186:187], v[86:87], -v[194:195]
	v_fma_f64 v[88:89], v[188:189], v[86:87], v[88:89]
	ds_read2_b64 v[186:189], v1 offset0:50 offset1:51
	s_waitcnt lgkmcnt(0)
	v_mul_f64 v[86:87], v[188:189], v[88:89]
	v_fma_f64 v[86:87], v[186:187], v[194:195], -v[86:87]
	v_mul_f64 v[186:187], v[186:187], v[88:89]
	v_add_f64 v[82:83], v[82:83], -v[86:87]
	v_fma_f64 v[186:187], v[188:189], v[194:195], v[186:187]
	v_add_f64 v[84:85], v[84:85], -v[186:187]
	ds_read2_b64 v[186:189], v1 offset0:52 offset1:53
	s_waitcnt lgkmcnt(0)
	v_mul_f64 v[86:87], v[188:189], v[88:89]
	v_fma_f64 v[86:87], v[186:187], v[194:195], -v[86:87]
	v_mul_f64 v[186:187], v[186:187], v[88:89]
	v_add_f64 v[74:75], v[74:75], -v[86:87]
	v_fma_f64 v[186:187], v[188:189], v[194:195], v[186:187]
	v_add_f64 v[76:77], v[76:77], -v[186:187]
	;; [unrolled: 8-line block ×20, first 2 shown]
	ds_read2_b64 v[186:189], v1 offset0:90 offset1:91
	s_waitcnt lgkmcnt(0)
	v_mul_f64 v[86:87], v[188:189], v[88:89]
	v_fma_f64 v[86:87], v[186:187], v[194:195], -v[86:87]
	v_mul_f64 v[186:187], v[186:187], v[88:89]
	v_add_f64 v[2:3], v[2:3], -v[86:87]
	v_fma_f64 v[186:187], v[188:189], v[194:195], v[186:187]
	v_mov_b32_e32 v86, v194
	v_mov_b32_e32 v87, v195
	v_add_f64 v[4:5], v[4:5], -v[186:187]
.LBB90_524:
	s_or_b32 exec_lo, exec_lo, s0
	v_lshl_add_u32 v186, v200, 4, v1
	s_barrier
	buffer_gl0_inv
	v_mov_b32_e32 v194, 25
	ds_write2_b64 v186, v[82:83], v[84:85] offset1:1
	s_waitcnt lgkmcnt(0)
	s_barrier
	buffer_gl0_inv
	ds_read2_b64 v[186:189], v1 offset0:50 offset1:51
	s_cmp_lt_i32 s1, 27
	s_cbranch_scc1 .LBB90_527
; %bb.525:
	v_add3_u32 v195, v196, 0, 0x1a0
	v_mov_b32_e32 v194, 25
	s_mov_b32 s7, 26
	s_inst_prefetch 0x1
	.p2align	6
.LBB90_526:                             ; =>This Inner Loop Header: Depth=1
	s_waitcnt lgkmcnt(0)
	v_cmp_gt_f64_e32 vcc_lo, 0, v[188:189]
	v_cmp_gt_f64_e64 s0, 0, v[186:187]
	ds_read2_b64 v[201:204], v195 offset1:1
	v_xor_b32_e32 v206, 0x80000000, v187
	v_xor_b32_e32 v208, 0x80000000, v189
	v_mov_b32_e32 v205, v186
	v_mov_b32_e32 v207, v188
	v_add_nc_u32_e32 v195, 16, v195
	s_waitcnt lgkmcnt(0)
	v_xor_b32_e32 v210, 0x80000000, v204
	v_cndmask_b32_e64 v206, v187, v206, s0
	v_cndmask_b32_e32 v208, v189, v208, vcc_lo
	v_cmp_gt_f64_e32 vcc_lo, 0, v[203:204]
	v_cmp_gt_f64_e64 s0, 0, v[201:202]
	v_mov_b32_e32 v209, v203
	v_add_f64 v[205:206], v[205:206], v[207:208]
	v_xor_b32_e32 v208, 0x80000000, v202
	v_mov_b32_e32 v207, v201
	v_cndmask_b32_e32 v210, v204, v210, vcc_lo
	v_cndmask_b32_e64 v208, v202, v208, s0
	v_add_f64 v[207:208], v[207:208], v[209:210]
	v_cmp_lt_f64_e32 vcc_lo, v[205:206], v[207:208]
	v_cndmask_b32_e32 v187, v187, v202, vcc_lo
	v_cndmask_b32_e32 v186, v186, v201, vcc_lo
	;; [unrolled: 1-line block ×4, first 2 shown]
	v_cndmask_b32_e64 v194, v194, s7, vcc_lo
	s_add_i32 s7, s7, 1
	s_cmp_lg_u32 s1, s7
	s_cbranch_scc1 .LBB90_526
.LBB90_527:
	s_inst_prefetch 0x2
	s_waitcnt lgkmcnt(0)
	v_cmp_eq_f64_e32 vcc_lo, 0, v[186:187]
	v_cmp_eq_f64_e64 s0, 0, v[188:189]
	s_and_b32 s0, vcc_lo, s0
	s_and_saveexec_b32 s7, s0
	s_xor_b32 s0, exec_lo, s7
; %bb.528:
	v_cmp_ne_u32_e32 vcc_lo, 0, v199
	v_cndmask_b32_e32 v199, 26, v199, vcc_lo
; %bb.529:
	s_andn2_saveexec_b32 s0, s0
	s_cbranch_execz .LBB90_535
; %bb.530:
	v_cmp_ngt_f64_e64 s7, |v[186:187]|, |v[188:189]|
	s_and_saveexec_b32 s8, s7
	s_xor_b32 s7, exec_lo, s8
	s_cbranch_execz .LBB90_532
; %bb.531:
	v_div_scale_f64 v[201:202], null, v[188:189], v[188:189], v[186:187]
	v_div_scale_f64 v[207:208], vcc_lo, v[186:187], v[188:189], v[186:187]
	v_rcp_f64_e32 v[203:204], v[201:202]
	v_fma_f64 v[205:206], -v[201:202], v[203:204], 1.0
	v_fma_f64 v[203:204], v[203:204], v[205:206], v[203:204]
	v_fma_f64 v[205:206], -v[201:202], v[203:204], 1.0
	v_fma_f64 v[203:204], v[203:204], v[205:206], v[203:204]
	v_mul_f64 v[205:206], v[207:208], v[203:204]
	v_fma_f64 v[201:202], -v[201:202], v[205:206], v[207:208]
	v_div_fmas_f64 v[201:202], v[201:202], v[203:204], v[205:206]
	v_div_fixup_f64 v[201:202], v[201:202], v[188:189], v[186:187]
	v_fma_f64 v[186:187], v[186:187], v[201:202], v[188:189]
	v_div_scale_f64 v[188:189], null, v[186:187], v[186:187], 1.0
	v_rcp_f64_e32 v[203:204], v[188:189]
	v_fma_f64 v[205:206], -v[188:189], v[203:204], 1.0
	v_fma_f64 v[203:204], v[203:204], v[205:206], v[203:204]
	v_fma_f64 v[205:206], -v[188:189], v[203:204], 1.0
	v_fma_f64 v[203:204], v[203:204], v[205:206], v[203:204]
	v_div_scale_f64 v[205:206], vcc_lo, 1.0, v[186:187], 1.0
	v_mul_f64 v[207:208], v[205:206], v[203:204]
	v_fma_f64 v[188:189], -v[188:189], v[207:208], v[205:206]
	v_div_fmas_f64 v[188:189], v[188:189], v[203:204], v[207:208]
	v_div_fixup_f64 v[188:189], v[188:189], v[186:187], 1.0
	v_mul_f64 v[186:187], v[201:202], v[188:189]
	v_xor_b32_e32 v189, 0x80000000, v189
.LBB90_532:
	s_andn2_saveexec_b32 s7, s7
	s_cbranch_execz .LBB90_534
; %bb.533:
	v_div_scale_f64 v[201:202], null, v[186:187], v[186:187], v[188:189]
	v_div_scale_f64 v[207:208], vcc_lo, v[188:189], v[186:187], v[188:189]
	v_rcp_f64_e32 v[203:204], v[201:202]
	v_fma_f64 v[205:206], -v[201:202], v[203:204], 1.0
	v_fma_f64 v[203:204], v[203:204], v[205:206], v[203:204]
	v_fma_f64 v[205:206], -v[201:202], v[203:204], 1.0
	v_fma_f64 v[203:204], v[203:204], v[205:206], v[203:204]
	v_mul_f64 v[205:206], v[207:208], v[203:204]
	v_fma_f64 v[201:202], -v[201:202], v[205:206], v[207:208]
	v_div_fmas_f64 v[201:202], v[201:202], v[203:204], v[205:206]
	v_div_fixup_f64 v[201:202], v[201:202], v[186:187], v[188:189]
	v_fma_f64 v[186:187], v[188:189], v[201:202], v[186:187]
	v_div_scale_f64 v[188:189], null, v[186:187], v[186:187], 1.0
	v_rcp_f64_e32 v[203:204], v[188:189]
	v_fma_f64 v[205:206], -v[188:189], v[203:204], 1.0
	v_fma_f64 v[203:204], v[203:204], v[205:206], v[203:204]
	v_fma_f64 v[205:206], -v[188:189], v[203:204], 1.0
	v_fma_f64 v[203:204], v[203:204], v[205:206], v[203:204]
	v_div_scale_f64 v[205:206], vcc_lo, 1.0, v[186:187], 1.0
	v_mul_f64 v[207:208], v[205:206], v[203:204]
	v_fma_f64 v[188:189], -v[188:189], v[207:208], v[205:206]
	v_div_fmas_f64 v[188:189], v[188:189], v[203:204], v[207:208]
	v_div_fixup_f64 v[186:187], v[188:189], v[186:187], 1.0
	v_mul_f64 v[188:189], v[201:202], -v[186:187]
.LBB90_534:
	s_or_b32 exec_lo, exec_lo, s7
.LBB90_535:
	s_or_b32 exec_lo, exec_lo, s0
	s_mov_b32 s0, exec_lo
	v_cmpx_ne_u32_e64 v200, v194
	s_xor_b32 s0, exec_lo, s0
	s_cbranch_execz .LBB90_541
; %bb.536:
	s_mov_b32 s7, exec_lo
	v_cmpx_eq_u32_e32 25, v200
	s_cbranch_execz .LBB90_540
; %bb.537:
	v_cmp_ne_u32_e32 vcc_lo, 25, v194
	s_xor_b32 s8, s16, -1
	s_and_b32 s9, s8, vcc_lo
	s_and_saveexec_b32 s8, s9
	s_cbranch_execz .LBB90_539
; %bb.538:
	v_ashrrev_i32_e32 v195, 31, v194
	v_lshlrev_b64 v[200:201], 2, v[194:195]
	v_add_co_u32 v200, vcc_lo, v192, v200
	v_add_co_ci_u32_e64 v201, null, v193, v201, vcc_lo
	s_clause 0x1
	global_load_dword v0, v[200:201], off
	global_load_dword v195, v[192:193], off offset:100
	s_waitcnt vmcnt(1)
	global_store_dword v[192:193], v0, off offset:100
	s_waitcnt vmcnt(0)
	global_store_dword v[200:201], v195, off
.LBB90_539:
	s_or_b32 exec_lo, exec_lo, s8
	v_mov_b32_e32 v200, v194
	v_mov_b32_e32 v0, v194
.LBB90_540:
	s_or_b32 exec_lo, exec_lo, s7
.LBB90_541:
	s_andn2_saveexec_b32 s0, s0
	s_cbranch_execz .LBB90_543
; %bb.542:
	v_mov_b32_e32 v200, 25
	ds_write2_b64 v1, v[74:75], v[76:77] offset0:52 offset1:53
	ds_write2_b64 v1, v[70:71], v[72:73] offset0:54 offset1:55
	;; [unrolled: 1-line block ×20, first 2 shown]
.LBB90_543:
	s_or_b32 exec_lo, exec_lo, s0
	s_mov_b32 s0, exec_lo
	s_waitcnt lgkmcnt(0)
	s_waitcnt_vscnt null, 0x0
	s_barrier
	buffer_gl0_inv
	v_cmpx_lt_i32_e32 25, v200
	s_cbranch_execz .LBB90_545
; %bb.544:
	v_mul_f64 v[194:195], v[188:189], v[84:85]
	v_mul_f64 v[84:85], v[186:187], v[84:85]
	v_fma_f64 v[194:195], v[186:187], v[82:83], -v[194:195]
	v_fma_f64 v[84:85], v[188:189], v[82:83], v[84:85]
	ds_read2_b64 v[186:189], v1 offset0:52 offset1:53
	s_waitcnt lgkmcnt(0)
	v_mul_f64 v[82:83], v[188:189], v[84:85]
	v_fma_f64 v[82:83], v[186:187], v[194:195], -v[82:83]
	v_mul_f64 v[186:187], v[186:187], v[84:85]
	v_add_f64 v[74:75], v[74:75], -v[82:83]
	v_fma_f64 v[186:187], v[188:189], v[194:195], v[186:187]
	v_add_f64 v[76:77], v[76:77], -v[186:187]
	ds_read2_b64 v[186:189], v1 offset0:54 offset1:55
	s_waitcnt lgkmcnt(0)
	v_mul_f64 v[82:83], v[188:189], v[84:85]
	v_fma_f64 v[82:83], v[186:187], v[194:195], -v[82:83]
	v_mul_f64 v[186:187], v[186:187], v[84:85]
	v_add_f64 v[70:71], v[70:71], -v[82:83]
	v_fma_f64 v[186:187], v[188:189], v[194:195], v[186:187]
	v_add_f64 v[72:73], v[72:73], -v[186:187]
	;; [unrolled: 8-line block ×19, first 2 shown]
	ds_read2_b64 v[186:189], v1 offset0:90 offset1:91
	s_waitcnt lgkmcnt(0)
	v_mul_f64 v[82:83], v[188:189], v[84:85]
	v_fma_f64 v[82:83], v[186:187], v[194:195], -v[82:83]
	v_mul_f64 v[186:187], v[186:187], v[84:85]
	v_add_f64 v[2:3], v[2:3], -v[82:83]
	v_fma_f64 v[186:187], v[188:189], v[194:195], v[186:187]
	v_mov_b32_e32 v82, v194
	v_mov_b32_e32 v83, v195
	v_add_f64 v[4:5], v[4:5], -v[186:187]
.LBB90_545:
	s_or_b32 exec_lo, exec_lo, s0
	v_lshl_add_u32 v186, v200, 4, v1
	s_barrier
	buffer_gl0_inv
	v_mov_b32_e32 v194, 26
	ds_write2_b64 v186, v[74:75], v[76:77] offset1:1
	s_waitcnt lgkmcnt(0)
	s_barrier
	buffer_gl0_inv
	ds_read2_b64 v[186:189], v1 offset0:52 offset1:53
	s_cmp_lt_i32 s1, 28
	s_cbranch_scc1 .LBB90_548
; %bb.546:
	v_add3_u32 v195, v196, 0, 0x1b0
	v_mov_b32_e32 v194, 26
	s_mov_b32 s7, 27
	s_inst_prefetch 0x1
	.p2align	6
.LBB90_547:                             ; =>This Inner Loop Header: Depth=1
	s_waitcnt lgkmcnt(0)
	v_cmp_gt_f64_e32 vcc_lo, 0, v[188:189]
	v_cmp_gt_f64_e64 s0, 0, v[186:187]
	ds_read2_b64 v[201:204], v195 offset1:1
	v_xor_b32_e32 v206, 0x80000000, v187
	v_xor_b32_e32 v208, 0x80000000, v189
	v_mov_b32_e32 v205, v186
	v_mov_b32_e32 v207, v188
	v_add_nc_u32_e32 v195, 16, v195
	s_waitcnt lgkmcnt(0)
	v_xor_b32_e32 v210, 0x80000000, v204
	v_cndmask_b32_e64 v206, v187, v206, s0
	v_cndmask_b32_e32 v208, v189, v208, vcc_lo
	v_cmp_gt_f64_e32 vcc_lo, 0, v[203:204]
	v_cmp_gt_f64_e64 s0, 0, v[201:202]
	v_mov_b32_e32 v209, v203
	v_add_f64 v[205:206], v[205:206], v[207:208]
	v_xor_b32_e32 v208, 0x80000000, v202
	v_mov_b32_e32 v207, v201
	v_cndmask_b32_e32 v210, v204, v210, vcc_lo
	v_cndmask_b32_e64 v208, v202, v208, s0
	v_add_f64 v[207:208], v[207:208], v[209:210]
	v_cmp_lt_f64_e32 vcc_lo, v[205:206], v[207:208]
	v_cndmask_b32_e32 v187, v187, v202, vcc_lo
	v_cndmask_b32_e32 v186, v186, v201, vcc_lo
	v_cndmask_b32_e32 v189, v189, v204, vcc_lo
	v_cndmask_b32_e32 v188, v188, v203, vcc_lo
	v_cndmask_b32_e64 v194, v194, s7, vcc_lo
	s_add_i32 s7, s7, 1
	s_cmp_lg_u32 s1, s7
	s_cbranch_scc1 .LBB90_547
.LBB90_548:
	s_inst_prefetch 0x2
	s_waitcnt lgkmcnt(0)
	v_cmp_eq_f64_e32 vcc_lo, 0, v[186:187]
	v_cmp_eq_f64_e64 s0, 0, v[188:189]
	s_and_b32 s0, vcc_lo, s0
	s_and_saveexec_b32 s7, s0
	s_xor_b32 s0, exec_lo, s7
; %bb.549:
	v_cmp_ne_u32_e32 vcc_lo, 0, v199
	v_cndmask_b32_e32 v199, 27, v199, vcc_lo
; %bb.550:
	s_andn2_saveexec_b32 s0, s0
	s_cbranch_execz .LBB90_556
; %bb.551:
	v_cmp_ngt_f64_e64 s7, |v[186:187]|, |v[188:189]|
	s_and_saveexec_b32 s8, s7
	s_xor_b32 s7, exec_lo, s8
	s_cbranch_execz .LBB90_553
; %bb.552:
	v_div_scale_f64 v[201:202], null, v[188:189], v[188:189], v[186:187]
	v_div_scale_f64 v[207:208], vcc_lo, v[186:187], v[188:189], v[186:187]
	v_rcp_f64_e32 v[203:204], v[201:202]
	v_fma_f64 v[205:206], -v[201:202], v[203:204], 1.0
	v_fma_f64 v[203:204], v[203:204], v[205:206], v[203:204]
	v_fma_f64 v[205:206], -v[201:202], v[203:204], 1.0
	v_fma_f64 v[203:204], v[203:204], v[205:206], v[203:204]
	v_mul_f64 v[205:206], v[207:208], v[203:204]
	v_fma_f64 v[201:202], -v[201:202], v[205:206], v[207:208]
	v_div_fmas_f64 v[201:202], v[201:202], v[203:204], v[205:206]
	v_div_fixup_f64 v[201:202], v[201:202], v[188:189], v[186:187]
	v_fma_f64 v[186:187], v[186:187], v[201:202], v[188:189]
	v_div_scale_f64 v[188:189], null, v[186:187], v[186:187], 1.0
	v_rcp_f64_e32 v[203:204], v[188:189]
	v_fma_f64 v[205:206], -v[188:189], v[203:204], 1.0
	v_fma_f64 v[203:204], v[203:204], v[205:206], v[203:204]
	v_fma_f64 v[205:206], -v[188:189], v[203:204], 1.0
	v_fma_f64 v[203:204], v[203:204], v[205:206], v[203:204]
	v_div_scale_f64 v[205:206], vcc_lo, 1.0, v[186:187], 1.0
	v_mul_f64 v[207:208], v[205:206], v[203:204]
	v_fma_f64 v[188:189], -v[188:189], v[207:208], v[205:206]
	v_div_fmas_f64 v[188:189], v[188:189], v[203:204], v[207:208]
	v_div_fixup_f64 v[188:189], v[188:189], v[186:187], 1.0
	v_mul_f64 v[186:187], v[201:202], v[188:189]
	v_xor_b32_e32 v189, 0x80000000, v189
.LBB90_553:
	s_andn2_saveexec_b32 s7, s7
	s_cbranch_execz .LBB90_555
; %bb.554:
	v_div_scale_f64 v[201:202], null, v[186:187], v[186:187], v[188:189]
	v_div_scale_f64 v[207:208], vcc_lo, v[188:189], v[186:187], v[188:189]
	v_rcp_f64_e32 v[203:204], v[201:202]
	v_fma_f64 v[205:206], -v[201:202], v[203:204], 1.0
	v_fma_f64 v[203:204], v[203:204], v[205:206], v[203:204]
	v_fma_f64 v[205:206], -v[201:202], v[203:204], 1.0
	v_fma_f64 v[203:204], v[203:204], v[205:206], v[203:204]
	v_mul_f64 v[205:206], v[207:208], v[203:204]
	v_fma_f64 v[201:202], -v[201:202], v[205:206], v[207:208]
	v_div_fmas_f64 v[201:202], v[201:202], v[203:204], v[205:206]
	v_div_fixup_f64 v[201:202], v[201:202], v[186:187], v[188:189]
	v_fma_f64 v[186:187], v[188:189], v[201:202], v[186:187]
	v_div_scale_f64 v[188:189], null, v[186:187], v[186:187], 1.0
	v_rcp_f64_e32 v[203:204], v[188:189]
	v_fma_f64 v[205:206], -v[188:189], v[203:204], 1.0
	v_fma_f64 v[203:204], v[203:204], v[205:206], v[203:204]
	v_fma_f64 v[205:206], -v[188:189], v[203:204], 1.0
	v_fma_f64 v[203:204], v[203:204], v[205:206], v[203:204]
	v_div_scale_f64 v[205:206], vcc_lo, 1.0, v[186:187], 1.0
	v_mul_f64 v[207:208], v[205:206], v[203:204]
	v_fma_f64 v[188:189], -v[188:189], v[207:208], v[205:206]
	v_div_fmas_f64 v[188:189], v[188:189], v[203:204], v[207:208]
	v_div_fixup_f64 v[186:187], v[188:189], v[186:187], 1.0
	v_mul_f64 v[188:189], v[201:202], -v[186:187]
.LBB90_555:
	s_or_b32 exec_lo, exec_lo, s7
.LBB90_556:
	s_or_b32 exec_lo, exec_lo, s0
	s_mov_b32 s0, exec_lo
	v_cmpx_ne_u32_e64 v200, v194
	s_xor_b32 s0, exec_lo, s0
	s_cbranch_execz .LBB90_562
; %bb.557:
	s_mov_b32 s7, exec_lo
	v_cmpx_eq_u32_e32 26, v200
	s_cbranch_execz .LBB90_561
; %bb.558:
	v_cmp_ne_u32_e32 vcc_lo, 26, v194
	s_xor_b32 s8, s16, -1
	s_and_b32 s9, s8, vcc_lo
	s_and_saveexec_b32 s8, s9
	s_cbranch_execz .LBB90_560
; %bb.559:
	v_ashrrev_i32_e32 v195, 31, v194
	v_lshlrev_b64 v[200:201], 2, v[194:195]
	v_add_co_u32 v200, vcc_lo, v192, v200
	v_add_co_ci_u32_e64 v201, null, v193, v201, vcc_lo
	s_clause 0x1
	global_load_dword v0, v[200:201], off
	global_load_dword v195, v[192:193], off offset:104
	s_waitcnt vmcnt(1)
	global_store_dword v[192:193], v0, off offset:104
	s_waitcnt vmcnt(0)
	global_store_dword v[200:201], v195, off
.LBB90_560:
	s_or_b32 exec_lo, exec_lo, s8
	v_mov_b32_e32 v200, v194
	v_mov_b32_e32 v0, v194
.LBB90_561:
	s_or_b32 exec_lo, exec_lo, s7
.LBB90_562:
	s_andn2_saveexec_b32 s0, s0
	s_cbranch_execz .LBB90_564
; %bb.563:
	v_mov_b32_e32 v200, 26
	ds_write2_b64 v1, v[70:71], v[72:73] offset0:54 offset1:55
	ds_write2_b64 v1, v[78:79], v[80:81] offset0:56 offset1:57
	;; [unrolled: 1-line block ×19, first 2 shown]
.LBB90_564:
	s_or_b32 exec_lo, exec_lo, s0
	s_mov_b32 s0, exec_lo
	s_waitcnt lgkmcnt(0)
	s_waitcnt_vscnt null, 0x0
	s_barrier
	buffer_gl0_inv
	v_cmpx_lt_i32_e32 26, v200
	s_cbranch_execz .LBB90_566
; %bb.565:
	v_mul_f64 v[194:195], v[188:189], v[76:77]
	v_mul_f64 v[76:77], v[186:187], v[76:77]
	v_fma_f64 v[194:195], v[186:187], v[74:75], -v[194:195]
	v_fma_f64 v[76:77], v[188:189], v[74:75], v[76:77]
	ds_read2_b64 v[186:189], v1 offset0:54 offset1:55
	s_waitcnt lgkmcnt(0)
	v_mul_f64 v[74:75], v[188:189], v[76:77]
	v_fma_f64 v[74:75], v[186:187], v[194:195], -v[74:75]
	v_mul_f64 v[186:187], v[186:187], v[76:77]
	v_add_f64 v[70:71], v[70:71], -v[74:75]
	v_fma_f64 v[186:187], v[188:189], v[194:195], v[186:187]
	v_add_f64 v[72:73], v[72:73], -v[186:187]
	ds_read2_b64 v[186:189], v1 offset0:56 offset1:57
	s_waitcnt lgkmcnt(0)
	v_mul_f64 v[74:75], v[188:189], v[76:77]
	v_fma_f64 v[74:75], v[186:187], v[194:195], -v[74:75]
	v_mul_f64 v[186:187], v[186:187], v[76:77]
	v_add_f64 v[78:79], v[78:79], -v[74:75]
	v_fma_f64 v[186:187], v[188:189], v[194:195], v[186:187]
	v_add_f64 v[80:81], v[80:81], -v[186:187]
	;; [unrolled: 8-line block ×18, first 2 shown]
	ds_read2_b64 v[186:189], v1 offset0:90 offset1:91
	s_waitcnt lgkmcnt(0)
	v_mul_f64 v[74:75], v[188:189], v[76:77]
	v_fma_f64 v[74:75], v[186:187], v[194:195], -v[74:75]
	v_mul_f64 v[186:187], v[186:187], v[76:77]
	v_add_f64 v[2:3], v[2:3], -v[74:75]
	v_fma_f64 v[186:187], v[188:189], v[194:195], v[186:187]
	v_mov_b32_e32 v74, v194
	v_mov_b32_e32 v75, v195
	v_add_f64 v[4:5], v[4:5], -v[186:187]
.LBB90_566:
	s_or_b32 exec_lo, exec_lo, s0
	v_lshl_add_u32 v186, v200, 4, v1
	s_barrier
	buffer_gl0_inv
	v_mov_b32_e32 v194, 27
	ds_write2_b64 v186, v[70:71], v[72:73] offset1:1
	s_waitcnt lgkmcnt(0)
	s_barrier
	buffer_gl0_inv
	ds_read2_b64 v[186:189], v1 offset0:54 offset1:55
	s_cmp_lt_i32 s1, 29
	s_cbranch_scc1 .LBB90_569
; %bb.567:
	v_add3_u32 v195, v196, 0, 0x1c0
	v_mov_b32_e32 v194, 27
	s_mov_b32 s7, 28
	s_inst_prefetch 0x1
	.p2align	6
.LBB90_568:                             ; =>This Inner Loop Header: Depth=1
	s_waitcnt lgkmcnt(0)
	v_cmp_gt_f64_e32 vcc_lo, 0, v[188:189]
	v_cmp_gt_f64_e64 s0, 0, v[186:187]
	ds_read2_b64 v[201:204], v195 offset1:1
	v_xor_b32_e32 v206, 0x80000000, v187
	v_xor_b32_e32 v208, 0x80000000, v189
	v_mov_b32_e32 v205, v186
	v_mov_b32_e32 v207, v188
	v_add_nc_u32_e32 v195, 16, v195
	s_waitcnt lgkmcnt(0)
	v_xor_b32_e32 v210, 0x80000000, v204
	v_cndmask_b32_e64 v206, v187, v206, s0
	v_cndmask_b32_e32 v208, v189, v208, vcc_lo
	v_cmp_gt_f64_e32 vcc_lo, 0, v[203:204]
	v_cmp_gt_f64_e64 s0, 0, v[201:202]
	v_mov_b32_e32 v209, v203
	v_add_f64 v[205:206], v[205:206], v[207:208]
	v_xor_b32_e32 v208, 0x80000000, v202
	v_mov_b32_e32 v207, v201
	v_cndmask_b32_e32 v210, v204, v210, vcc_lo
	v_cndmask_b32_e64 v208, v202, v208, s0
	v_add_f64 v[207:208], v[207:208], v[209:210]
	v_cmp_lt_f64_e32 vcc_lo, v[205:206], v[207:208]
	v_cndmask_b32_e32 v187, v187, v202, vcc_lo
	v_cndmask_b32_e32 v186, v186, v201, vcc_lo
	;; [unrolled: 1-line block ×4, first 2 shown]
	v_cndmask_b32_e64 v194, v194, s7, vcc_lo
	s_add_i32 s7, s7, 1
	s_cmp_lg_u32 s1, s7
	s_cbranch_scc1 .LBB90_568
.LBB90_569:
	s_inst_prefetch 0x2
	s_waitcnt lgkmcnt(0)
	v_cmp_eq_f64_e32 vcc_lo, 0, v[186:187]
	v_cmp_eq_f64_e64 s0, 0, v[188:189]
	s_and_b32 s0, vcc_lo, s0
	s_and_saveexec_b32 s7, s0
	s_xor_b32 s0, exec_lo, s7
; %bb.570:
	v_cmp_ne_u32_e32 vcc_lo, 0, v199
	v_cndmask_b32_e32 v199, 28, v199, vcc_lo
; %bb.571:
	s_andn2_saveexec_b32 s0, s0
	s_cbranch_execz .LBB90_577
; %bb.572:
	v_cmp_ngt_f64_e64 s7, |v[186:187]|, |v[188:189]|
	s_and_saveexec_b32 s8, s7
	s_xor_b32 s7, exec_lo, s8
	s_cbranch_execz .LBB90_574
; %bb.573:
	v_div_scale_f64 v[201:202], null, v[188:189], v[188:189], v[186:187]
	v_div_scale_f64 v[207:208], vcc_lo, v[186:187], v[188:189], v[186:187]
	v_rcp_f64_e32 v[203:204], v[201:202]
	v_fma_f64 v[205:206], -v[201:202], v[203:204], 1.0
	v_fma_f64 v[203:204], v[203:204], v[205:206], v[203:204]
	v_fma_f64 v[205:206], -v[201:202], v[203:204], 1.0
	v_fma_f64 v[203:204], v[203:204], v[205:206], v[203:204]
	v_mul_f64 v[205:206], v[207:208], v[203:204]
	v_fma_f64 v[201:202], -v[201:202], v[205:206], v[207:208]
	v_div_fmas_f64 v[201:202], v[201:202], v[203:204], v[205:206]
	v_div_fixup_f64 v[201:202], v[201:202], v[188:189], v[186:187]
	v_fma_f64 v[186:187], v[186:187], v[201:202], v[188:189]
	v_div_scale_f64 v[188:189], null, v[186:187], v[186:187], 1.0
	v_rcp_f64_e32 v[203:204], v[188:189]
	v_fma_f64 v[205:206], -v[188:189], v[203:204], 1.0
	v_fma_f64 v[203:204], v[203:204], v[205:206], v[203:204]
	v_fma_f64 v[205:206], -v[188:189], v[203:204], 1.0
	v_fma_f64 v[203:204], v[203:204], v[205:206], v[203:204]
	v_div_scale_f64 v[205:206], vcc_lo, 1.0, v[186:187], 1.0
	v_mul_f64 v[207:208], v[205:206], v[203:204]
	v_fma_f64 v[188:189], -v[188:189], v[207:208], v[205:206]
	v_div_fmas_f64 v[188:189], v[188:189], v[203:204], v[207:208]
	v_div_fixup_f64 v[188:189], v[188:189], v[186:187], 1.0
	v_mul_f64 v[186:187], v[201:202], v[188:189]
	v_xor_b32_e32 v189, 0x80000000, v189
.LBB90_574:
	s_andn2_saveexec_b32 s7, s7
	s_cbranch_execz .LBB90_576
; %bb.575:
	v_div_scale_f64 v[201:202], null, v[186:187], v[186:187], v[188:189]
	v_div_scale_f64 v[207:208], vcc_lo, v[188:189], v[186:187], v[188:189]
	v_rcp_f64_e32 v[203:204], v[201:202]
	v_fma_f64 v[205:206], -v[201:202], v[203:204], 1.0
	v_fma_f64 v[203:204], v[203:204], v[205:206], v[203:204]
	v_fma_f64 v[205:206], -v[201:202], v[203:204], 1.0
	v_fma_f64 v[203:204], v[203:204], v[205:206], v[203:204]
	v_mul_f64 v[205:206], v[207:208], v[203:204]
	v_fma_f64 v[201:202], -v[201:202], v[205:206], v[207:208]
	v_div_fmas_f64 v[201:202], v[201:202], v[203:204], v[205:206]
	v_div_fixup_f64 v[201:202], v[201:202], v[186:187], v[188:189]
	v_fma_f64 v[186:187], v[188:189], v[201:202], v[186:187]
	v_div_scale_f64 v[188:189], null, v[186:187], v[186:187], 1.0
	v_rcp_f64_e32 v[203:204], v[188:189]
	v_fma_f64 v[205:206], -v[188:189], v[203:204], 1.0
	v_fma_f64 v[203:204], v[203:204], v[205:206], v[203:204]
	v_fma_f64 v[205:206], -v[188:189], v[203:204], 1.0
	v_fma_f64 v[203:204], v[203:204], v[205:206], v[203:204]
	v_div_scale_f64 v[205:206], vcc_lo, 1.0, v[186:187], 1.0
	v_mul_f64 v[207:208], v[205:206], v[203:204]
	v_fma_f64 v[188:189], -v[188:189], v[207:208], v[205:206]
	v_div_fmas_f64 v[188:189], v[188:189], v[203:204], v[207:208]
	v_div_fixup_f64 v[186:187], v[188:189], v[186:187], 1.0
	v_mul_f64 v[188:189], v[201:202], -v[186:187]
.LBB90_576:
	s_or_b32 exec_lo, exec_lo, s7
.LBB90_577:
	s_or_b32 exec_lo, exec_lo, s0
	s_mov_b32 s0, exec_lo
	v_cmpx_ne_u32_e64 v200, v194
	s_xor_b32 s0, exec_lo, s0
	s_cbranch_execz .LBB90_583
; %bb.578:
	s_mov_b32 s7, exec_lo
	v_cmpx_eq_u32_e32 27, v200
	s_cbranch_execz .LBB90_582
; %bb.579:
	v_cmp_ne_u32_e32 vcc_lo, 27, v194
	s_xor_b32 s8, s16, -1
	s_and_b32 s9, s8, vcc_lo
	s_and_saveexec_b32 s8, s9
	s_cbranch_execz .LBB90_581
; %bb.580:
	v_ashrrev_i32_e32 v195, 31, v194
	v_lshlrev_b64 v[200:201], 2, v[194:195]
	v_add_co_u32 v200, vcc_lo, v192, v200
	v_add_co_ci_u32_e64 v201, null, v193, v201, vcc_lo
	s_clause 0x1
	global_load_dword v0, v[200:201], off
	global_load_dword v195, v[192:193], off offset:108
	s_waitcnt vmcnt(1)
	global_store_dword v[192:193], v0, off offset:108
	s_waitcnt vmcnt(0)
	global_store_dword v[200:201], v195, off
.LBB90_581:
	s_or_b32 exec_lo, exec_lo, s8
	v_mov_b32_e32 v200, v194
	v_mov_b32_e32 v0, v194
.LBB90_582:
	s_or_b32 exec_lo, exec_lo, s7
.LBB90_583:
	s_andn2_saveexec_b32 s0, s0
	s_cbranch_execz .LBB90_585
; %bb.584:
	v_mov_b32_e32 v200, 27
	ds_write2_b64 v1, v[78:79], v[80:81] offset0:56 offset1:57
	ds_write2_b64 v1, v[54:55], v[56:57] offset0:58 offset1:59
	;; [unrolled: 1-line block ×18, first 2 shown]
.LBB90_585:
	s_or_b32 exec_lo, exec_lo, s0
	s_mov_b32 s0, exec_lo
	s_waitcnt lgkmcnt(0)
	s_waitcnt_vscnt null, 0x0
	s_barrier
	buffer_gl0_inv
	v_cmpx_lt_i32_e32 27, v200
	s_cbranch_execz .LBB90_587
; %bb.586:
	v_mul_f64 v[194:195], v[188:189], v[72:73]
	v_mul_f64 v[72:73], v[186:187], v[72:73]
	v_fma_f64 v[194:195], v[186:187], v[70:71], -v[194:195]
	v_fma_f64 v[72:73], v[188:189], v[70:71], v[72:73]
	ds_read2_b64 v[186:189], v1 offset0:56 offset1:57
	s_waitcnt lgkmcnt(0)
	v_mul_f64 v[70:71], v[188:189], v[72:73]
	v_fma_f64 v[70:71], v[186:187], v[194:195], -v[70:71]
	v_mul_f64 v[186:187], v[186:187], v[72:73]
	v_add_f64 v[78:79], v[78:79], -v[70:71]
	v_fma_f64 v[186:187], v[188:189], v[194:195], v[186:187]
	v_add_f64 v[80:81], v[80:81], -v[186:187]
	ds_read2_b64 v[186:189], v1 offset0:58 offset1:59
	s_waitcnt lgkmcnt(0)
	v_mul_f64 v[70:71], v[188:189], v[72:73]
	v_fma_f64 v[70:71], v[186:187], v[194:195], -v[70:71]
	v_mul_f64 v[186:187], v[186:187], v[72:73]
	v_add_f64 v[54:55], v[54:55], -v[70:71]
	v_fma_f64 v[186:187], v[188:189], v[194:195], v[186:187]
	v_add_f64 v[56:57], v[56:57], -v[186:187]
	ds_read2_b64 v[186:189], v1 offset0:60 offset1:61
	s_waitcnt lgkmcnt(0)
	v_mul_f64 v[70:71], v[188:189], v[72:73]
	v_fma_f64 v[70:71], v[186:187], v[194:195], -v[70:71]
	v_mul_f64 v[186:187], v[186:187], v[72:73]
	v_add_f64 v[58:59], v[58:59], -v[70:71]
	v_fma_f64 v[186:187], v[188:189], v[194:195], v[186:187]
	v_add_f64 v[60:61], v[60:61], -v[186:187]
	ds_read2_b64 v[186:189], v1 offset0:62 offset1:63
	s_waitcnt lgkmcnt(0)
	v_mul_f64 v[70:71], v[188:189], v[72:73]
	v_fma_f64 v[70:71], v[186:187], v[194:195], -v[70:71]
	v_mul_f64 v[186:187], v[186:187], v[72:73]
	v_add_f64 v[42:43], v[42:43], -v[70:71]
	v_fma_f64 v[186:187], v[188:189], v[194:195], v[186:187]
	v_add_f64 v[44:45], v[44:45], -v[186:187]
	ds_read2_b64 v[186:189], v1 offset0:64 offset1:65
	s_waitcnt lgkmcnt(0)
	v_mul_f64 v[70:71], v[188:189], v[72:73]
	v_fma_f64 v[70:71], v[186:187], v[194:195], -v[70:71]
	v_mul_f64 v[186:187], v[186:187], v[72:73]
	v_add_f64 v[62:63], v[62:63], -v[70:71]
	v_fma_f64 v[186:187], v[188:189], v[194:195], v[186:187]
	v_add_f64 v[64:65], v[64:65], -v[186:187]
	ds_read2_b64 v[186:189], v1 offset0:66 offset1:67
	s_waitcnt lgkmcnt(0)
	v_mul_f64 v[70:71], v[188:189], v[72:73]
	v_fma_f64 v[70:71], v[186:187], v[194:195], -v[70:71]
	v_mul_f64 v[186:187], v[186:187], v[72:73]
	v_add_f64 v[66:67], v[66:67], -v[70:71]
	v_fma_f64 v[186:187], v[188:189], v[194:195], v[186:187]
	v_add_f64 v[68:69], v[68:69], -v[186:187]
	ds_read2_b64 v[186:189], v1 offset0:68 offset1:69
	s_waitcnt lgkmcnt(0)
	v_mul_f64 v[70:71], v[188:189], v[72:73]
	v_fma_f64 v[70:71], v[186:187], v[194:195], -v[70:71]
	v_mul_f64 v[186:187], v[186:187], v[72:73]
	v_add_f64 v[50:51], v[50:51], -v[70:71]
	v_fma_f64 v[186:187], v[188:189], v[194:195], v[186:187]
	v_add_f64 v[52:53], v[52:53], -v[186:187]
	ds_read2_b64 v[186:189], v1 offset0:70 offset1:71
	s_waitcnt lgkmcnt(0)
	v_mul_f64 v[70:71], v[188:189], v[72:73]
	v_fma_f64 v[70:71], v[186:187], v[194:195], -v[70:71]
	v_mul_f64 v[186:187], v[186:187], v[72:73]
	v_add_f64 v[46:47], v[46:47], -v[70:71]
	v_fma_f64 v[186:187], v[188:189], v[194:195], v[186:187]
	v_add_f64 v[48:49], v[48:49], -v[186:187]
	ds_read2_b64 v[186:189], v1 offset0:72 offset1:73
	s_waitcnt lgkmcnt(0)
	v_mul_f64 v[70:71], v[188:189], v[72:73]
	v_fma_f64 v[70:71], v[186:187], v[194:195], -v[70:71]
	v_mul_f64 v[186:187], v[186:187], v[72:73]
	v_add_f64 v[38:39], v[38:39], -v[70:71]
	v_fma_f64 v[186:187], v[188:189], v[194:195], v[186:187]
	v_add_f64 v[40:41], v[40:41], -v[186:187]
	ds_read2_b64 v[186:189], v1 offset0:74 offset1:75
	s_waitcnt lgkmcnt(0)
	v_mul_f64 v[70:71], v[188:189], v[72:73]
	v_fma_f64 v[70:71], v[186:187], v[194:195], -v[70:71]
	v_mul_f64 v[186:187], v[186:187], v[72:73]
	v_add_f64 v[34:35], v[34:35], -v[70:71]
	v_fma_f64 v[186:187], v[188:189], v[194:195], v[186:187]
	v_add_f64 v[36:37], v[36:37], -v[186:187]
	ds_read2_b64 v[186:189], v1 offset0:76 offset1:77
	s_waitcnt lgkmcnt(0)
	v_mul_f64 v[70:71], v[188:189], v[72:73]
	v_fma_f64 v[70:71], v[186:187], v[194:195], -v[70:71]
	v_mul_f64 v[186:187], v[186:187], v[72:73]
	v_add_f64 v[30:31], v[30:31], -v[70:71]
	v_fma_f64 v[186:187], v[188:189], v[194:195], v[186:187]
	v_add_f64 v[32:33], v[32:33], -v[186:187]
	ds_read2_b64 v[186:189], v1 offset0:78 offset1:79
	s_waitcnt lgkmcnt(0)
	v_mul_f64 v[70:71], v[188:189], v[72:73]
	v_fma_f64 v[70:71], v[186:187], v[194:195], -v[70:71]
	v_mul_f64 v[186:187], v[186:187], v[72:73]
	v_add_f64 v[26:27], v[26:27], -v[70:71]
	v_fma_f64 v[186:187], v[188:189], v[194:195], v[186:187]
	v_add_f64 v[28:29], v[28:29], -v[186:187]
	ds_read2_b64 v[186:189], v1 offset0:80 offset1:81
	s_waitcnt lgkmcnt(0)
	v_mul_f64 v[70:71], v[188:189], v[72:73]
	v_fma_f64 v[70:71], v[186:187], v[194:195], -v[70:71]
	v_mul_f64 v[186:187], v[186:187], v[72:73]
	v_add_f64 v[22:23], v[22:23], -v[70:71]
	v_fma_f64 v[186:187], v[188:189], v[194:195], v[186:187]
	v_add_f64 v[24:25], v[24:25], -v[186:187]
	ds_read2_b64 v[186:189], v1 offset0:82 offset1:83
	s_waitcnt lgkmcnt(0)
	v_mul_f64 v[70:71], v[188:189], v[72:73]
	v_fma_f64 v[70:71], v[186:187], v[194:195], -v[70:71]
	v_mul_f64 v[186:187], v[186:187], v[72:73]
	v_add_f64 v[18:19], v[18:19], -v[70:71]
	v_fma_f64 v[186:187], v[188:189], v[194:195], v[186:187]
	v_add_f64 v[20:21], v[20:21], -v[186:187]
	ds_read2_b64 v[186:189], v1 offset0:84 offset1:85
	s_waitcnt lgkmcnt(0)
	v_mul_f64 v[70:71], v[188:189], v[72:73]
	v_fma_f64 v[70:71], v[186:187], v[194:195], -v[70:71]
	v_mul_f64 v[186:187], v[186:187], v[72:73]
	v_add_f64 v[14:15], v[14:15], -v[70:71]
	v_fma_f64 v[186:187], v[188:189], v[194:195], v[186:187]
	v_add_f64 v[16:17], v[16:17], -v[186:187]
	ds_read2_b64 v[186:189], v1 offset0:86 offset1:87
	s_waitcnt lgkmcnt(0)
	v_mul_f64 v[70:71], v[188:189], v[72:73]
	v_fma_f64 v[70:71], v[186:187], v[194:195], -v[70:71]
	v_mul_f64 v[186:187], v[186:187], v[72:73]
	v_add_f64 v[10:11], v[10:11], -v[70:71]
	v_fma_f64 v[186:187], v[188:189], v[194:195], v[186:187]
	v_add_f64 v[12:13], v[12:13], -v[186:187]
	ds_read2_b64 v[186:189], v1 offset0:88 offset1:89
	s_waitcnt lgkmcnt(0)
	v_mul_f64 v[70:71], v[188:189], v[72:73]
	v_fma_f64 v[70:71], v[186:187], v[194:195], -v[70:71]
	v_mul_f64 v[186:187], v[186:187], v[72:73]
	v_add_f64 v[6:7], v[6:7], -v[70:71]
	v_fma_f64 v[186:187], v[188:189], v[194:195], v[186:187]
	v_add_f64 v[8:9], v[8:9], -v[186:187]
	ds_read2_b64 v[186:189], v1 offset0:90 offset1:91
	s_waitcnt lgkmcnt(0)
	v_mul_f64 v[70:71], v[188:189], v[72:73]
	v_fma_f64 v[70:71], v[186:187], v[194:195], -v[70:71]
	v_mul_f64 v[186:187], v[186:187], v[72:73]
	v_add_f64 v[2:3], v[2:3], -v[70:71]
	v_fma_f64 v[186:187], v[188:189], v[194:195], v[186:187]
	v_mov_b32_e32 v70, v194
	v_mov_b32_e32 v71, v195
	v_add_f64 v[4:5], v[4:5], -v[186:187]
.LBB90_587:
	s_or_b32 exec_lo, exec_lo, s0
	v_lshl_add_u32 v186, v200, 4, v1
	s_barrier
	buffer_gl0_inv
	v_mov_b32_e32 v194, 28
	ds_write2_b64 v186, v[78:79], v[80:81] offset1:1
	s_waitcnt lgkmcnt(0)
	s_barrier
	buffer_gl0_inv
	ds_read2_b64 v[186:189], v1 offset0:56 offset1:57
	s_cmp_lt_i32 s1, 30
	s_cbranch_scc1 .LBB90_590
; %bb.588:
	v_add3_u32 v195, v196, 0, 0x1d0
	v_mov_b32_e32 v194, 28
	s_mov_b32 s7, 29
	s_inst_prefetch 0x1
	.p2align	6
.LBB90_589:                             ; =>This Inner Loop Header: Depth=1
	s_waitcnt lgkmcnt(0)
	v_cmp_gt_f64_e32 vcc_lo, 0, v[188:189]
	v_cmp_gt_f64_e64 s0, 0, v[186:187]
	ds_read2_b64 v[201:204], v195 offset1:1
	v_xor_b32_e32 v206, 0x80000000, v187
	v_xor_b32_e32 v208, 0x80000000, v189
	v_mov_b32_e32 v205, v186
	v_mov_b32_e32 v207, v188
	v_add_nc_u32_e32 v195, 16, v195
	s_waitcnt lgkmcnt(0)
	v_xor_b32_e32 v210, 0x80000000, v204
	v_cndmask_b32_e64 v206, v187, v206, s0
	v_cndmask_b32_e32 v208, v189, v208, vcc_lo
	v_cmp_gt_f64_e32 vcc_lo, 0, v[203:204]
	v_cmp_gt_f64_e64 s0, 0, v[201:202]
	v_mov_b32_e32 v209, v203
	v_add_f64 v[205:206], v[205:206], v[207:208]
	v_xor_b32_e32 v208, 0x80000000, v202
	v_mov_b32_e32 v207, v201
	v_cndmask_b32_e32 v210, v204, v210, vcc_lo
	v_cndmask_b32_e64 v208, v202, v208, s0
	v_add_f64 v[207:208], v[207:208], v[209:210]
	v_cmp_lt_f64_e32 vcc_lo, v[205:206], v[207:208]
	v_cndmask_b32_e32 v187, v187, v202, vcc_lo
	v_cndmask_b32_e32 v186, v186, v201, vcc_lo
	v_cndmask_b32_e32 v189, v189, v204, vcc_lo
	v_cndmask_b32_e32 v188, v188, v203, vcc_lo
	v_cndmask_b32_e64 v194, v194, s7, vcc_lo
	s_add_i32 s7, s7, 1
	s_cmp_lg_u32 s1, s7
	s_cbranch_scc1 .LBB90_589
.LBB90_590:
	s_inst_prefetch 0x2
	s_waitcnt lgkmcnt(0)
	v_cmp_eq_f64_e32 vcc_lo, 0, v[186:187]
	v_cmp_eq_f64_e64 s0, 0, v[188:189]
	s_and_b32 s0, vcc_lo, s0
	s_and_saveexec_b32 s7, s0
	s_xor_b32 s0, exec_lo, s7
; %bb.591:
	v_cmp_ne_u32_e32 vcc_lo, 0, v199
	v_cndmask_b32_e32 v199, 29, v199, vcc_lo
; %bb.592:
	s_andn2_saveexec_b32 s0, s0
	s_cbranch_execz .LBB90_598
; %bb.593:
	v_cmp_ngt_f64_e64 s7, |v[186:187]|, |v[188:189]|
	s_and_saveexec_b32 s8, s7
	s_xor_b32 s7, exec_lo, s8
	s_cbranch_execz .LBB90_595
; %bb.594:
	v_div_scale_f64 v[201:202], null, v[188:189], v[188:189], v[186:187]
	v_div_scale_f64 v[207:208], vcc_lo, v[186:187], v[188:189], v[186:187]
	v_rcp_f64_e32 v[203:204], v[201:202]
	v_fma_f64 v[205:206], -v[201:202], v[203:204], 1.0
	v_fma_f64 v[203:204], v[203:204], v[205:206], v[203:204]
	v_fma_f64 v[205:206], -v[201:202], v[203:204], 1.0
	v_fma_f64 v[203:204], v[203:204], v[205:206], v[203:204]
	v_mul_f64 v[205:206], v[207:208], v[203:204]
	v_fma_f64 v[201:202], -v[201:202], v[205:206], v[207:208]
	v_div_fmas_f64 v[201:202], v[201:202], v[203:204], v[205:206]
	v_div_fixup_f64 v[201:202], v[201:202], v[188:189], v[186:187]
	v_fma_f64 v[186:187], v[186:187], v[201:202], v[188:189]
	v_div_scale_f64 v[188:189], null, v[186:187], v[186:187], 1.0
	v_rcp_f64_e32 v[203:204], v[188:189]
	v_fma_f64 v[205:206], -v[188:189], v[203:204], 1.0
	v_fma_f64 v[203:204], v[203:204], v[205:206], v[203:204]
	v_fma_f64 v[205:206], -v[188:189], v[203:204], 1.0
	v_fma_f64 v[203:204], v[203:204], v[205:206], v[203:204]
	v_div_scale_f64 v[205:206], vcc_lo, 1.0, v[186:187], 1.0
	v_mul_f64 v[207:208], v[205:206], v[203:204]
	v_fma_f64 v[188:189], -v[188:189], v[207:208], v[205:206]
	v_div_fmas_f64 v[188:189], v[188:189], v[203:204], v[207:208]
	v_div_fixup_f64 v[188:189], v[188:189], v[186:187], 1.0
	v_mul_f64 v[186:187], v[201:202], v[188:189]
	v_xor_b32_e32 v189, 0x80000000, v189
.LBB90_595:
	s_andn2_saveexec_b32 s7, s7
	s_cbranch_execz .LBB90_597
; %bb.596:
	v_div_scale_f64 v[201:202], null, v[186:187], v[186:187], v[188:189]
	v_div_scale_f64 v[207:208], vcc_lo, v[188:189], v[186:187], v[188:189]
	v_rcp_f64_e32 v[203:204], v[201:202]
	v_fma_f64 v[205:206], -v[201:202], v[203:204], 1.0
	v_fma_f64 v[203:204], v[203:204], v[205:206], v[203:204]
	v_fma_f64 v[205:206], -v[201:202], v[203:204], 1.0
	v_fma_f64 v[203:204], v[203:204], v[205:206], v[203:204]
	v_mul_f64 v[205:206], v[207:208], v[203:204]
	v_fma_f64 v[201:202], -v[201:202], v[205:206], v[207:208]
	v_div_fmas_f64 v[201:202], v[201:202], v[203:204], v[205:206]
	v_div_fixup_f64 v[201:202], v[201:202], v[186:187], v[188:189]
	v_fma_f64 v[186:187], v[188:189], v[201:202], v[186:187]
	v_div_scale_f64 v[188:189], null, v[186:187], v[186:187], 1.0
	v_rcp_f64_e32 v[203:204], v[188:189]
	v_fma_f64 v[205:206], -v[188:189], v[203:204], 1.0
	v_fma_f64 v[203:204], v[203:204], v[205:206], v[203:204]
	v_fma_f64 v[205:206], -v[188:189], v[203:204], 1.0
	v_fma_f64 v[203:204], v[203:204], v[205:206], v[203:204]
	v_div_scale_f64 v[205:206], vcc_lo, 1.0, v[186:187], 1.0
	v_mul_f64 v[207:208], v[205:206], v[203:204]
	v_fma_f64 v[188:189], -v[188:189], v[207:208], v[205:206]
	v_div_fmas_f64 v[188:189], v[188:189], v[203:204], v[207:208]
	v_div_fixup_f64 v[186:187], v[188:189], v[186:187], 1.0
	v_mul_f64 v[188:189], v[201:202], -v[186:187]
.LBB90_597:
	s_or_b32 exec_lo, exec_lo, s7
.LBB90_598:
	s_or_b32 exec_lo, exec_lo, s0
	s_mov_b32 s0, exec_lo
	v_cmpx_ne_u32_e64 v200, v194
	s_xor_b32 s0, exec_lo, s0
	s_cbranch_execz .LBB90_604
; %bb.599:
	s_mov_b32 s7, exec_lo
	v_cmpx_eq_u32_e32 28, v200
	s_cbranch_execz .LBB90_603
; %bb.600:
	v_cmp_ne_u32_e32 vcc_lo, 28, v194
	s_xor_b32 s8, s16, -1
	s_and_b32 s9, s8, vcc_lo
	s_and_saveexec_b32 s8, s9
	s_cbranch_execz .LBB90_602
; %bb.601:
	v_ashrrev_i32_e32 v195, 31, v194
	v_lshlrev_b64 v[200:201], 2, v[194:195]
	v_add_co_u32 v200, vcc_lo, v192, v200
	v_add_co_ci_u32_e64 v201, null, v193, v201, vcc_lo
	s_clause 0x1
	global_load_dword v0, v[200:201], off
	global_load_dword v195, v[192:193], off offset:112
	s_waitcnt vmcnt(1)
	global_store_dword v[192:193], v0, off offset:112
	s_waitcnt vmcnt(0)
	global_store_dword v[200:201], v195, off
.LBB90_602:
	s_or_b32 exec_lo, exec_lo, s8
	v_mov_b32_e32 v200, v194
	v_mov_b32_e32 v0, v194
.LBB90_603:
	s_or_b32 exec_lo, exec_lo, s7
.LBB90_604:
	s_andn2_saveexec_b32 s0, s0
	s_cbranch_execz .LBB90_606
; %bb.605:
	v_mov_b32_e32 v200, 28
	ds_write2_b64 v1, v[54:55], v[56:57] offset0:58 offset1:59
	ds_write2_b64 v1, v[58:59], v[60:61] offset0:60 offset1:61
	ds_write2_b64 v1, v[42:43], v[44:45] offset0:62 offset1:63
	ds_write2_b64 v1, v[62:63], v[64:65] offset0:64 offset1:65
	ds_write2_b64 v1, v[66:67], v[68:69] offset0:66 offset1:67
	ds_write2_b64 v1, v[50:51], v[52:53] offset0:68 offset1:69
	ds_write2_b64 v1, v[46:47], v[48:49] offset0:70 offset1:71
	ds_write2_b64 v1, v[38:39], v[40:41] offset0:72 offset1:73
	ds_write2_b64 v1, v[34:35], v[36:37] offset0:74 offset1:75
	ds_write2_b64 v1, v[30:31], v[32:33] offset0:76 offset1:77
	ds_write2_b64 v1, v[26:27], v[28:29] offset0:78 offset1:79
	ds_write2_b64 v1, v[22:23], v[24:25] offset0:80 offset1:81
	ds_write2_b64 v1, v[18:19], v[20:21] offset0:82 offset1:83
	ds_write2_b64 v1, v[14:15], v[16:17] offset0:84 offset1:85
	ds_write2_b64 v1, v[10:11], v[12:13] offset0:86 offset1:87
	ds_write2_b64 v1, v[6:7], v[8:9] offset0:88 offset1:89
	ds_write2_b64 v1, v[2:3], v[4:5] offset0:90 offset1:91
.LBB90_606:
	s_or_b32 exec_lo, exec_lo, s0
	s_mov_b32 s0, exec_lo
	s_waitcnt lgkmcnt(0)
	s_waitcnt_vscnt null, 0x0
	s_barrier
	buffer_gl0_inv
	v_cmpx_lt_i32_e32 28, v200
	s_cbranch_execz .LBB90_608
; %bb.607:
	v_mul_f64 v[194:195], v[188:189], v[80:81]
	v_mul_f64 v[80:81], v[186:187], v[80:81]
	v_fma_f64 v[194:195], v[186:187], v[78:79], -v[194:195]
	v_fma_f64 v[80:81], v[188:189], v[78:79], v[80:81]
	ds_read2_b64 v[186:189], v1 offset0:58 offset1:59
	s_waitcnt lgkmcnt(0)
	v_mul_f64 v[78:79], v[188:189], v[80:81]
	v_fma_f64 v[78:79], v[186:187], v[194:195], -v[78:79]
	v_mul_f64 v[186:187], v[186:187], v[80:81]
	v_add_f64 v[54:55], v[54:55], -v[78:79]
	v_fma_f64 v[186:187], v[188:189], v[194:195], v[186:187]
	v_add_f64 v[56:57], v[56:57], -v[186:187]
	ds_read2_b64 v[186:189], v1 offset0:60 offset1:61
	s_waitcnt lgkmcnt(0)
	v_mul_f64 v[78:79], v[188:189], v[80:81]
	v_fma_f64 v[78:79], v[186:187], v[194:195], -v[78:79]
	v_mul_f64 v[186:187], v[186:187], v[80:81]
	v_add_f64 v[58:59], v[58:59], -v[78:79]
	v_fma_f64 v[186:187], v[188:189], v[194:195], v[186:187]
	v_add_f64 v[60:61], v[60:61], -v[186:187]
	ds_read2_b64 v[186:189], v1 offset0:62 offset1:63
	s_waitcnt lgkmcnt(0)
	v_mul_f64 v[78:79], v[188:189], v[80:81]
	v_fma_f64 v[78:79], v[186:187], v[194:195], -v[78:79]
	v_mul_f64 v[186:187], v[186:187], v[80:81]
	v_add_f64 v[42:43], v[42:43], -v[78:79]
	v_fma_f64 v[186:187], v[188:189], v[194:195], v[186:187]
	v_add_f64 v[44:45], v[44:45], -v[186:187]
	ds_read2_b64 v[186:189], v1 offset0:64 offset1:65
	s_waitcnt lgkmcnt(0)
	v_mul_f64 v[78:79], v[188:189], v[80:81]
	v_fma_f64 v[78:79], v[186:187], v[194:195], -v[78:79]
	v_mul_f64 v[186:187], v[186:187], v[80:81]
	v_add_f64 v[62:63], v[62:63], -v[78:79]
	v_fma_f64 v[186:187], v[188:189], v[194:195], v[186:187]
	v_add_f64 v[64:65], v[64:65], -v[186:187]
	ds_read2_b64 v[186:189], v1 offset0:66 offset1:67
	s_waitcnt lgkmcnt(0)
	v_mul_f64 v[78:79], v[188:189], v[80:81]
	v_fma_f64 v[78:79], v[186:187], v[194:195], -v[78:79]
	v_mul_f64 v[186:187], v[186:187], v[80:81]
	v_add_f64 v[66:67], v[66:67], -v[78:79]
	v_fma_f64 v[186:187], v[188:189], v[194:195], v[186:187]
	v_add_f64 v[68:69], v[68:69], -v[186:187]
	ds_read2_b64 v[186:189], v1 offset0:68 offset1:69
	s_waitcnt lgkmcnt(0)
	v_mul_f64 v[78:79], v[188:189], v[80:81]
	v_fma_f64 v[78:79], v[186:187], v[194:195], -v[78:79]
	v_mul_f64 v[186:187], v[186:187], v[80:81]
	v_add_f64 v[50:51], v[50:51], -v[78:79]
	v_fma_f64 v[186:187], v[188:189], v[194:195], v[186:187]
	v_add_f64 v[52:53], v[52:53], -v[186:187]
	ds_read2_b64 v[186:189], v1 offset0:70 offset1:71
	s_waitcnt lgkmcnt(0)
	v_mul_f64 v[78:79], v[188:189], v[80:81]
	v_fma_f64 v[78:79], v[186:187], v[194:195], -v[78:79]
	v_mul_f64 v[186:187], v[186:187], v[80:81]
	v_add_f64 v[46:47], v[46:47], -v[78:79]
	v_fma_f64 v[186:187], v[188:189], v[194:195], v[186:187]
	v_add_f64 v[48:49], v[48:49], -v[186:187]
	ds_read2_b64 v[186:189], v1 offset0:72 offset1:73
	s_waitcnt lgkmcnt(0)
	v_mul_f64 v[78:79], v[188:189], v[80:81]
	v_fma_f64 v[78:79], v[186:187], v[194:195], -v[78:79]
	v_mul_f64 v[186:187], v[186:187], v[80:81]
	v_add_f64 v[38:39], v[38:39], -v[78:79]
	v_fma_f64 v[186:187], v[188:189], v[194:195], v[186:187]
	v_add_f64 v[40:41], v[40:41], -v[186:187]
	ds_read2_b64 v[186:189], v1 offset0:74 offset1:75
	s_waitcnt lgkmcnt(0)
	v_mul_f64 v[78:79], v[188:189], v[80:81]
	v_fma_f64 v[78:79], v[186:187], v[194:195], -v[78:79]
	v_mul_f64 v[186:187], v[186:187], v[80:81]
	v_add_f64 v[34:35], v[34:35], -v[78:79]
	v_fma_f64 v[186:187], v[188:189], v[194:195], v[186:187]
	v_add_f64 v[36:37], v[36:37], -v[186:187]
	ds_read2_b64 v[186:189], v1 offset0:76 offset1:77
	s_waitcnt lgkmcnt(0)
	v_mul_f64 v[78:79], v[188:189], v[80:81]
	v_fma_f64 v[78:79], v[186:187], v[194:195], -v[78:79]
	v_mul_f64 v[186:187], v[186:187], v[80:81]
	v_add_f64 v[30:31], v[30:31], -v[78:79]
	v_fma_f64 v[186:187], v[188:189], v[194:195], v[186:187]
	v_add_f64 v[32:33], v[32:33], -v[186:187]
	ds_read2_b64 v[186:189], v1 offset0:78 offset1:79
	s_waitcnt lgkmcnt(0)
	v_mul_f64 v[78:79], v[188:189], v[80:81]
	v_fma_f64 v[78:79], v[186:187], v[194:195], -v[78:79]
	v_mul_f64 v[186:187], v[186:187], v[80:81]
	v_add_f64 v[26:27], v[26:27], -v[78:79]
	v_fma_f64 v[186:187], v[188:189], v[194:195], v[186:187]
	v_add_f64 v[28:29], v[28:29], -v[186:187]
	ds_read2_b64 v[186:189], v1 offset0:80 offset1:81
	s_waitcnt lgkmcnt(0)
	v_mul_f64 v[78:79], v[188:189], v[80:81]
	v_fma_f64 v[78:79], v[186:187], v[194:195], -v[78:79]
	v_mul_f64 v[186:187], v[186:187], v[80:81]
	v_add_f64 v[22:23], v[22:23], -v[78:79]
	v_fma_f64 v[186:187], v[188:189], v[194:195], v[186:187]
	v_add_f64 v[24:25], v[24:25], -v[186:187]
	ds_read2_b64 v[186:189], v1 offset0:82 offset1:83
	s_waitcnt lgkmcnt(0)
	v_mul_f64 v[78:79], v[188:189], v[80:81]
	v_fma_f64 v[78:79], v[186:187], v[194:195], -v[78:79]
	v_mul_f64 v[186:187], v[186:187], v[80:81]
	v_add_f64 v[18:19], v[18:19], -v[78:79]
	v_fma_f64 v[186:187], v[188:189], v[194:195], v[186:187]
	v_add_f64 v[20:21], v[20:21], -v[186:187]
	ds_read2_b64 v[186:189], v1 offset0:84 offset1:85
	s_waitcnt lgkmcnt(0)
	v_mul_f64 v[78:79], v[188:189], v[80:81]
	v_fma_f64 v[78:79], v[186:187], v[194:195], -v[78:79]
	v_mul_f64 v[186:187], v[186:187], v[80:81]
	v_add_f64 v[14:15], v[14:15], -v[78:79]
	v_fma_f64 v[186:187], v[188:189], v[194:195], v[186:187]
	v_add_f64 v[16:17], v[16:17], -v[186:187]
	ds_read2_b64 v[186:189], v1 offset0:86 offset1:87
	s_waitcnt lgkmcnt(0)
	v_mul_f64 v[78:79], v[188:189], v[80:81]
	v_fma_f64 v[78:79], v[186:187], v[194:195], -v[78:79]
	v_mul_f64 v[186:187], v[186:187], v[80:81]
	v_add_f64 v[10:11], v[10:11], -v[78:79]
	v_fma_f64 v[186:187], v[188:189], v[194:195], v[186:187]
	v_add_f64 v[12:13], v[12:13], -v[186:187]
	ds_read2_b64 v[186:189], v1 offset0:88 offset1:89
	s_waitcnt lgkmcnt(0)
	v_mul_f64 v[78:79], v[188:189], v[80:81]
	v_fma_f64 v[78:79], v[186:187], v[194:195], -v[78:79]
	v_mul_f64 v[186:187], v[186:187], v[80:81]
	v_add_f64 v[6:7], v[6:7], -v[78:79]
	v_fma_f64 v[186:187], v[188:189], v[194:195], v[186:187]
	v_add_f64 v[8:9], v[8:9], -v[186:187]
	ds_read2_b64 v[186:189], v1 offset0:90 offset1:91
	s_waitcnt lgkmcnt(0)
	v_mul_f64 v[78:79], v[188:189], v[80:81]
	v_fma_f64 v[78:79], v[186:187], v[194:195], -v[78:79]
	v_mul_f64 v[186:187], v[186:187], v[80:81]
	v_add_f64 v[2:3], v[2:3], -v[78:79]
	v_fma_f64 v[186:187], v[188:189], v[194:195], v[186:187]
	v_mov_b32_e32 v78, v194
	v_mov_b32_e32 v79, v195
	v_add_f64 v[4:5], v[4:5], -v[186:187]
.LBB90_608:
	s_or_b32 exec_lo, exec_lo, s0
	v_lshl_add_u32 v186, v200, 4, v1
	s_barrier
	buffer_gl0_inv
	v_mov_b32_e32 v194, 29
	ds_write2_b64 v186, v[54:55], v[56:57] offset1:1
	s_waitcnt lgkmcnt(0)
	s_barrier
	buffer_gl0_inv
	ds_read2_b64 v[186:189], v1 offset0:58 offset1:59
	s_cmp_lt_i32 s1, 31
	s_cbranch_scc1 .LBB90_611
; %bb.609:
	v_add3_u32 v195, v196, 0, 0x1e0
	v_mov_b32_e32 v194, 29
	s_mov_b32 s7, 30
	s_inst_prefetch 0x1
	.p2align	6
.LBB90_610:                             ; =>This Inner Loop Header: Depth=1
	s_waitcnt lgkmcnt(0)
	v_cmp_gt_f64_e32 vcc_lo, 0, v[188:189]
	v_cmp_gt_f64_e64 s0, 0, v[186:187]
	ds_read2_b64 v[201:204], v195 offset1:1
	v_xor_b32_e32 v206, 0x80000000, v187
	v_xor_b32_e32 v208, 0x80000000, v189
	v_mov_b32_e32 v205, v186
	v_mov_b32_e32 v207, v188
	v_add_nc_u32_e32 v195, 16, v195
	s_waitcnt lgkmcnt(0)
	v_xor_b32_e32 v210, 0x80000000, v204
	v_cndmask_b32_e64 v206, v187, v206, s0
	v_cndmask_b32_e32 v208, v189, v208, vcc_lo
	v_cmp_gt_f64_e32 vcc_lo, 0, v[203:204]
	v_cmp_gt_f64_e64 s0, 0, v[201:202]
	v_mov_b32_e32 v209, v203
	v_add_f64 v[205:206], v[205:206], v[207:208]
	v_xor_b32_e32 v208, 0x80000000, v202
	v_mov_b32_e32 v207, v201
	v_cndmask_b32_e32 v210, v204, v210, vcc_lo
	v_cndmask_b32_e64 v208, v202, v208, s0
	v_add_f64 v[207:208], v[207:208], v[209:210]
	v_cmp_lt_f64_e32 vcc_lo, v[205:206], v[207:208]
	v_cndmask_b32_e32 v187, v187, v202, vcc_lo
	v_cndmask_b32_e32 v186, v186, v201, vcc_lo
	;; [unrolled: 1-line block ×4, first 2 shown]
	v_cndmask_b32_e64 v194, v194, s7, vcc_lo
	s_add_i32 s7, s7, 1
	s_cmp_lg_u32 s1, s7
	s_cbranch_scc1 .LBB90_610
.LBB90_611:
	s_inst_prefetch 0x2
	s_waitcnt lgkmcnt(0)
	v_cmp_eq_f64_e32 vcc_lo, 0, v[186:187]
	v_cmp_eq_f64_e64 s0, 0, v[188:189]
	s_and_b32 s0, vcc_lo, s0
	s_and_saveexec_b32 s7, s0
	s_xor_b32 s0, exec_lo, s7
; %bb.612:
	v_cmp_ne_u32_e32 vcc_lo, 0, v199
	v_cndmask_b32_e32 v199, 30, v199, vcc_lo
; %bb.613:
	s_andn2_saveexec_b32 s0, s0
	s_cbranch_execz .LBB90_619
; %bb.614:
	v_cmp_ngt_f64_e64 s7, |v[186:187]|, |v[188:189]|
	s_and_saveexec_b32 s8, s7
	s_xor_b32 s7, exec_lo, s8
	s_cbranch_execz .LBB90_616
; %bb.615:
	v_div_scale_f64 v[201:202], null, v[188:189], v[188:189], v[186:187]
	v_div_scale_f64 v[207:208], vcc_lo, v[186:187], v[188:189], v[186:187]
	v_rcp_f64_e32 v[203:204], v[201:202]
	v_fma_f64 v[205:206], -v[201:202], v[203:204], 1.0
	v_fma_f64 v[203:204], v[203:204], v[205:206], v[203:204]
	v_fma_f64 v[205:206], -v[201:202], v[203:204], 1.0
	v_fma_f64 v[203:204], v[203:204], v[205:206], v[203:204]
	v_mul_f64 v[205:206], v[207:208], v[203:204]
	v_fma_f64 v[201:202], -v[201:202], v[205:206], v[207:208]
	v_div_fmas_f64 v[201:202], v[201:202], v[203:204], v[205:206]
	v_div_fixup_f64 v[201:202], v[201:202], v[188:189], v[186:187]
	v_fma_f64 v[186:187], v[186:187], v[201:202], v[188:189]
	v_div_scale_f64 v[188:189], null, v[186:187], v[186:187], 1.0
	v_rcp_f64_e32 v[203:204], v[188:189]
	v_fma_f64 v[205:206], -v[188:189], v[203:204], 1.0
	v_fma_f64 v[203:204], v[203:204], v[205:206], v[203:204]
	v_fma_f64 v[205:206], -v[188:189], v[203:204], 1.0
	v_fma_f64 v[203:204], v[203:204], v[205:206], v[203:204]
	v_div_scale_f64 v[205:206], vcc_lo, 1.0, v[186:187], 1.0
	v_mul_f64 v[207:208], v[205:206], v[203:204]
	v_fma_f64 v[188:189], -v[188:189], v[207:208], v[205:206]
	v_div_fmas_f64 v[188:189], v[188:189], v[203:204], v[207:208]
	v_div_fixup_f64 v[188:189], v[188:189], v[186:187], 1.0
	v_mul_f64 v[186:187], v[201:202], v[188:189]
	v_xor_b32_e32 v189, 0x80000000, v189
.LBB90_616:
	s_andn2_saveexec_b32 s7, s7
	s_cbranch_execz .LBB90_618
; %bb.617:
	v_div_scale_f64 v[201:202], null, v[186:187], v[186:187], v[188:189]
	v_div_scale_f64 v[207:208], vcc_lo, v[188:189], v[186:187], v[188:189]
	v_rcp_f64_e32 v[203:204], v[201:202]
	v_fma_f64 v[205:206], -v[201:202], v[203:204], 1.0
	v_fma_f64 v[203:204], v[203:204], v[205:206], v[203:204]
	v_fma_f64 v[205:206], -v[201:202], v[203:204], 1.0
	v_fma_f64 v[203:204], v[203:204], v[205:206], v[203:204]
	v_mul_f64 v[205:206], v[207:208], v[203:204]
	v_fma_f64 v[201:202], -v[201:202], v[205:206], v[207:208]
	v_div_fmas_f64 v[201:202], v[201:202], v[203:204], v[205:206]
	v_div_fixup_f64 v[201:202], v[201:202], v[186:187], v[188:189]
	v_fma_f64 v[186:187], v[188:189], v[201:202], v[186:187]
	v_div_scale_f64 v[188:189], null, v[186:187], v[186:187], 1.0
	v_rcp_f64_e32 v[203:204], v[188:189]
	v_fma_f64 v[205:206], -v[188:189], v[203:204], 1.0
	v_fma_f64 v[203:204], v[203:204], v[205:206], v[203:204]
	v_fma_f64 v[205:206], -v[188:189], v[203:204], 1.0
	v_fma_f64 v[203:204], v[203:204], v[205:206], v[203:204]
	v_div_scale_f64 v[205:206], vcc_lo, 1.0, v[186:187], 1.0
	v_mul_f64 v[207:208], v[205:206], v[203:204]
	v_fma_f64 v[188:189], -v[188:189], v[207:208], v[205:206]
	v_div_fmas_f64 v[188:189], v[188:189], v[203:204], v[207:208]
	v_div_fixup_f64 v[186:187], v[188:189], v[186:187], 1.0
	v_mul_f64 v[188:189], v[201:202], -v[186:187]
.LBB90_618:
	s_or_b32 exec_lo, exec_lo, s7
.LBB90_619:
	s_or_b32 exec_lo, exec_lo, s0
	s_mov_b32 s0, exec_lo
	v_cmpx_ne_u32_e64 v200, v194
	s_xor_b32 s0, exec_lo, s0
	s_cbranch_execz .LBB90_625
; %bb.620:
	s_mov_b32 s7, exec_lo
	v_cmpx_eq_u32_e32 29, v200
	s_cbranch_execz .LBB90_624
; %bb.621:
	v_cmp_ne_u32_e32 vcc_lo, 29, v194
	s_xor_b32 s8, s16, -1
	s_and_b32 s9, s8, vcc_lo
	s_and_saveexec_b32 s8, s9
	s_cbranch_execz .LBB90_623
; %bb.622:
	v_ashrrev_i32_e32 v195, 31, v194
	v_lshlrev_b64 v[200:201], 2, v[194:195]
	v_add_co_u32 v200, vcc_lo, v192, v200
	v_add_co_ci_u32_e64 v201, null, v193, v201, vcc_lo
	s_clause 0x1
	global_load_dword v0, v[200:201], off
	global_load_dword v195, v[192:193], off offset:116
	s_waitcnt vmcnt(1)
	global_store_dword v[192:193], v0, off offset:116
	s_waitcnt vmcnt(0)
	global_store_dword v[200:201], v195, off
.LBB90_623:
	s_or_b32 exec_lo, exec_lo, s8
	v_mov_b32_e32 v200, v194
	v_mov_b32_e32 v0, v194
.LBB90_624:
	s_or_b32 exec_lo, exec_lo, s7
.LBB90_625:
	s_andn2_saveexec_b32 s0, s0
	s_cbranch_execz .LBB90_627
; %bb.626:
	v_mov_b32_e32 v200, 29
	ds_write2_b64 v1, v[58:59], v[60:61] offset0:60 offset1:61
	ds_write2_b64 v1, v[42:43], v[44:45] offset0:62 offset1:63
	;; [unrolled: 1-line block ×16, first 2 shown]
.LBB90_627:
	s_or_b32 exec_lo, exec_lo, s0
	s_mov_b32 s0, exec_lo
	s_waitcnt lgkmcnt(0)
	s_waitcnt_vscnt null, 0x0
	s_barrier
	buffer_gl0_inv
	v_cmpx_lt_i32_e32 29, v200
	s_cbranch_execz .LBB90_629
; %bb.628:
	v_mul_f64 v[194:195], v[186:187], v[56:57]
	v_mul_f64 v[56:57], v[188:189], v[56:57]
	v_fma_f64 v[194:195], v[188:189], v[54:55], v[194:195]
	v_fma_f64 v[54:55], v[186:187], v[54:55], -v[56:57]
	ds_read2_b64 v[186:189], v1 offset0:60 offset1:61
	s_waitcnt lgkmcnt(0)
	v_mul_f64 v[56:57], v[188:189], v[194:195]
	v_fma_f64 v[56:57], v[186:187], v[54:55], -v[56:57]
	v_mul_f64 v[186:187], v[186:187], v[194:195]
	v_add_f64 v[58:59], v[58:59], -v[56:57]
	v_fma_f64 v[186:187], v[188:189], v[54:55], v[186:187]
	v_add_f64 v[60:61], v[60:61], -v[186:187]
	ds_read2_b64 v[186:189], v1 offset0:62 offset1:63
	s_waitcnt lgkmcnt(0)
	v_mul_f64 v[56:57], v[188:189], v[194:195]
	v_fma_f64 v[56:57], v[186:187], v[54:55], -v[56:57]
	v_mul_f64 v[186:187], v[186:187], v[194:195]
	v_add_f64 v[42:43], v[42:43], -v[56:57]
	v_fma_f64 v[186:187], v[188:189], v[54:55], v[186:187]
	v_add_f64 v[44:45], v[44:45], -v[186:187]
	;; [unrolled: 8-line block ×15, first 2 shown]
	ds_read2_b64 v[186:189], v1 offset0:90 offset1:91
	s_waitcnt lgkmcnt(0)
	v_mul_f64 v[56:57], v[188:189], v[194:195]
	v_fma_f64 v[56:57], v[186:187], v[54:55], -v[56:57]
	v_mul_f64 v[186:187], v[186:187], v[194:195]
	v_add_f64 v[2:3], v[2:3], -v[56:57]
	v_fma_f64 v[186:187], v[188:189], v[54:55], v[186:187]
	v_mov_b32_e32 v56, v194
	v_mov_b32_e32 v57, v195
	v_add_f64 v[4:5], v[4:5], -v[186:187]
.LBB90_629:
	s_or_b32 exec_lo, exec_lo, s0
	v_lshl_add_u32 v186, v200, 4, v1
	s_barrier
	buffer_gl0_inv
	v_mov_b32_e32 v194, 30
	ds_write2_b64 v186, v[58:59], v[60:61] offset1:1
	s_waitcnt lgkmcnt(0)
	s_barrier
	buffer_gl0_inv
	ds_read2_b64 v[186:189], v1 offset0:60 offset1:61
	s_cmp_lt_i32 s1, 32
	s_cbranch_scc1 .LBB90_632
; %bb.630:
	v_add3_u32 v195, v196, 0, 0x1f0
	v_mov_b32_e32 v194, 30
	s_mov_b32 s7, 31
	s_inst_prefetch 0x1
	.p2align	6
.LBB90_631:                             ; =>This Inner Loop Header: Depth=1
	s_waitcnt lgkmcnt(0)
	v_cmp_gt_f64_e32 vcc_lo, 0, v[188:189]
	v_cmp_gt_f64_e64 s0, 0, v[186:187]
	ds_read2_b64 v[201:204], v195 offset1:1
	v_xor_b32_e32 v206, 0x80000000, v187
	v_xor_b32_e32 v208, 0x80000000, v189
	v_mov_b32_e32 v205, v186
	v_mov_b32_e32 v207, v188
	v_add_nc_u32_e32 v195, 16, v195
	s_waitcnt lgkmcnt(0)
	v_xor_b32_e32 v210, 0x80000000, v204
	v_cndmask_b32_e64 v206, v187, v206, s0
	v_cndmask_b32_e32 v208, v189, v208, vcc_lo
	v_cmp_gt_f64_e32 vcc_lo, 0, v[203:204]
	v_cmp_gt_f64_e64 s0, 0, v[201:202]
	v_mov_b32_e32 v209, v203
	v_add_f64 v[205:206], v[205:206], v[207:208]
	v_xor_b32_e32 v208, 0x80000000, v202
	v_mov_b32_e32 v207, v201
	v_cndmask_b32_e32 v210, v204, v210, vcc_lo
	v_cndmask_b32_e64 v208, v202, v208, s0
	v_add_f64 v[207:208], v[207:208], v[209:210]
	v_cmp_lt_f64_e32 vcc_lo, v[205:206], v[207:208]
	v_cndmask_b32_e32 v187, v187, v202, vcc_lo
	v_cndmask_b32_e32 v186, v186, v201, vcc_lo
	v_cndmask_b32_e32 v189, v189, v204, vcc_lo
	v_cndmask_b32_e32 v188, v188, v203, vcc_lo
	v_cndmask_b32_e64 v194, v194, s7, vcc_lo
	s_add_i32 s7, s7, 1
	s_cmp_lg_u32 s1, s7
	s_cbranch_scc1 .LBB90_631
.LBB90_632:
	s_inst_prefetch 0x2
	s_waitcnt lgkmcnt(0)
	v_cmp_eq_f64_e32 vcc_lo, 0, v[186:187]
	v_cmp_eq_f64_e64 s0, 0, v[188:189]
	s_and_b32 s0, vcc_lo, s0
	s_and_saveexec_b32 s7, s0
	s_xor_b32 s0, exec_lo, s7
; %bb.633:
	v_cmp_ne_u32_e32 vcc_lo, 0, v199
	v_cndmask_b32_e32 v199, 31, v199, vcc_lo
; %bb.634:
	s_andn2_saveexec_b32 s0, s0
	s_cbranch_execz .LBB90_640
; %bb.635:
	v_cmp_ngt_f64_e64 s7, |v[186:187]|, |v[188:189]|
	s_and_saveexec_b32 s8, s7
	s_xor_b32 s7, exec_lo, s8
	s_cbranch_execz .LBB90_637
; %bb.636:
	v_div_scale_f64 v[201:202], null, v[188:189], v[188:189], v[186:187]
	v_div_scale_f64 v[207:208], vcc_lo, v[186:187], v[188:189], v[186:187]
	v_rcp_f64_e32 v[203:204], v[201:202]
	v_fma_f64 v[205:206], -v[201:202], v[203:204], 1.0
	v_fma_f64 v[203:204], v[203:204], v[205:206], v[203:204]
	v_fma_f64 v[205:206], -v[201:202], v[203:204], 1.0
	v_fma_f64 v[203:204], v[203:204], v[205:206], v[203:204]
	v_mul_f64 v[205:206], v[207:208], v[203:204]
	v_fma_f64 v[201:202], -v[201:202], v[205:206], v[207:208]
	v_div_fmas_f64 v[201:202], v[201:202], v[203:204], v[205:206]
	v_div_fixup_f64 v[201:202], v[201:202], v[188:189], v[186:187]
	v_fma_f64 v[186:187], v[186:187], v[201:202], v[188:189]
	v_div_scale_f64 v[188:189], null, v[186:187], v[186:187], 1.0
	v_rcp_f64_e32 v[203:204], v[188:189]
	v_fma_f64 v[205:206], -v[188:189], v[203:204], 1.0
	v_fma_f64 v[203:204], v[203:204], v[205:206], v[203:204]
	v_fma_f64 v[205:206], -v[188:189], v[203:204], 1.0
	v_fma_f64 v[203:204], v[203:204], v[205:206], v[203:204]
	v_div_scale_f64 v[205:206], vcc_lo, 1.0, v[186:187], 1.0
	v_mul_f64 v[207:208], v[205:206], v[203:204]
	v_fma_f64 v[188:189], -v[188:189], v[207:208], v[205:206]
	v_div_fmas_f64 v[188:189], v[188:189], v[203:204], v[207:208]
	v_div_fixup_f64 v[188:189], v[188:189], v[186:187], 1.0
	v_mul_f64 v[186:187], v[201:202], v[188:189]
	v_xor_b32_e32 v189, 0x80000000, v189
.LBB90_637:
	s_andn2_saveexec_b32 s7, s7
	s_cbranch_execz .LBB90_639
; %bb.638:
	v_div_scale_f64 v[201:202], null, v[186:187], v[186:187], v[188:189]
	v_div_scale_f64 v[207:208], vcc_lo, v[188:189], v[186:187], v[188:189]
	v_rcp_f64_e32 v[203:204], v[201:202]
	v_fma_f64 v[205:206], -v[201:202], v[203:204], 1.0
	v_fma_f64 v[203:204], v[203:204], v[205:206], v[203:204]
	v_fma_f64 v[205:206], -v[201:202], v[203:204], 1.0
	v_fma_f64 v[203:204], v[203:204], v[205:206], v[203:204]
	v_mul_f64 v[205:206], v[207:208], v[203:204]
	v_fma_f64 v[201:202], -v[201:202], v[205:206], v[207:208]
	v_div_fmas_f64 v[201:202], v[201:202], v[203:204], v[205:206]
	v_div_fixup_f64 v[201:202], v[201:202], v[186:187], v[188:189]
	v_fma_f64 v[186:187], v[188:189], v[201:202], v[186:187]
	v_div_scale_f64 v[188:189], null, v[186:187], v[186:187], 1.0
	v_rcp_f64_e32 v[203:204], v[188:189]
	v_fma_f64 v[205:206], -v[188:189], v[203:204], 1.0
	v_fma_f64 v[203:204], v[203:204], v[205:206], v[203:204]
	v_fma_f64 v[205:206], -v[188:189], v[203:204], 1.0
	v_fma_f64 v[203:204], v[203:204], v[205:206], v[203:204]
	v_div_scale_f64 v[205:206], vcc_lo, 1.0, v[186:187], 1.0
	v_mul_f64 v[207:208], v[205:206], v[203:204]
	v_fma_f64 v[188:189], -v[188:189], v[207:208], v[205:206]
	v_div_fmas_f64 v[188:189], v[188:189], v[203:204], v[207:208]
	v_div_fixup_f64 v[186:187], v[188:189], v[186:187], 1.0
	v_mul_f64 v[188:189], v[201:202], -v[186:187]
.LBB90_639:
	s_or_b32 exec_lo, exec_lo, s7
.LBB90_640:
	s_or_b32 exec_lo, exec_lo, s0
	s_mov_b32 s0, exec_lo
	v_cmpx_ne_u32_e64 v200, v194
	s_xor_b32 s0, exec_lo, s0
	s_cbranch_execz .LBB90_646
; %bb.641:
	s_mov_b32 s7, exec_lo
	v_cmpx_eq_u32_e32 30, v200
	s_cbranch_execz .LBB90_645
; %bb.642:
	v_cmp_ne_u32_e32 vcc_lo, 30, v194
	s_xor_b32 s8, s16, -1
	s_and_b32 s9, s8, vcc_lo
	s_and_saveexec_b32 s8, s9
	s_cbranch_execz .LBB90_644
; %bb.643:
	v_ashrrev_i32_e32 v195, 31, v194
	v_lshlrev_b64 v[200:201], 2, v[194:195]
	v_add_co_u32 v200, vcc_lo, v192, v200
	v_add_co_ci_u32_e64 v201, null, v193, v201, vcc_lo
	s_clause 0x1
	global_load_dword v0, v[200:201], off
	global_load_dword v195, v[192:193], off offset:120
	s_waitcnt vmcnt(1)
	global_store_dword v[192:193], v0, off offset:120
	s_waitcnt vmcnt(0)
	global_store_dword v[200:201], v195, off
.LBB90_644:
	s_or_b32 exec_lo, exec_lo, s8
	v_mov_b32_e32 v200, v194
	v_mov_b32_e32 v0, v194
.LBB90_645:
	s_or_b32 exec_lo, exec_lo, s7
.LBB90_646:
	s_andn2_saveexec_b32 s0, s0
	s_cbranch_execz .LBB90_648
; %bb.647:
	v_mov_b32_e32 v200, 30
	ds_write2_b64 v1, v[42:43], v[44:45] offset0:62 offset1:63
	ds_write2_b64 v1, v[62:63], v[64:65] offset0:64 offset1:65
	ds_write2_b64 v1, v[66:67], v[68:69] offset0:66 offset1:67
	ds_write2_b64 v1, v[50:51], v[52:53] offset0:68 offset1:69
	ds_write2_b64 v1, v[46:47], v[48:49] offset0:70 offset1:71
	ds_write2_b64 v1, v[38:39], v[40:41] offset0:72 offset1:73
	ds_write2_b64 v1, v[34:35], v[36:37] offset0:74 offset1:75
	ds_write2_b64 v1, v[30:31], v[32:33] offset0:76 offset1:77
	ds_write2_b64 v1, v[26:27], v[28:29] offset0:78 offset1:79
	ds_write2_b64 v1, v[22:23], v[24:25] offset0:80 offset1:81
	ds_write2_b64 v1, v[18:19], v[20:21] offset0:82 offset1:83
	ds_write2_b64 v1, v[14:15], v[16:17] offset0:84 offset1:85
	ds_write2_b64 v1, v[10:11], v[12:13] offset0:86 offset1:87
	ds_write2_b64 v1, v[6:7], v[8:9] offset0:88 offset1:89
	ds_write2_b64 v1, v[2:3], v[4:5] offset0:90 offset1:91
.LBB90_648:
	s_or_b32 exec_lo, exec_lo, s0
	s_mov_b32 s0, exec_lo
	s_waitcnt lgkmcnt(0)
	s_waitcnt_vscnt null, 0x0
	s_barrier
	buffer_gl0_inv
	v_cmpx_lt_i32_e32 30, v200
	s_cbranch_execz .LBB90_650
; %bb.649:
	v_mul_f64 v[194:195], v[186:187], v[60:61]
	v_mul_f64 v[60:61], v[188:189], v[60:61]
	v_fma_f64 v[194:195], v[188:189], v[58:59], v[194:195]
	v_fma_f64 v[58:59], v[186:187], v[58:59], -v[60:61]
	ds_read2_b64 v[186:189], v1 offset0:62 offset1:63
	s_waitcnt lgkmcnt(0)
	v_mul_f64 v[60:61], v[188:189], v[194:195]
	v_fma_f64 v[60:61], v[186:187], v[58:59], -v[60:61]
	v_mul_f64 v[186:187], v[186:187], v[194:195]
	v_add_f64 v[42:43], v[42:43], -v[60:61]
	v_fma_f64 v[186:187], v[188:189], v[58:59], v[186:187]
	v_add_f64 v[44:45], v[44:45], -v[186:187]
	ds_read2_b64 v[186:189], v1 offset0:64 offset1:65
	s_waitcnt lgkmcnt(0)
	v_mul_f64 v[60:61], v[188:189], v[194:195]
	v_fma_f64 v[60:61], v[186:187], v[58:59], -v[60:61]
	v_mul_f64 v[186:187], v[186:187], v[194:195]
	v_add_f64 v[62:63], v[62:63], -v[60:61]
	v_fma_f64 v[186:187], v[188:189], v[58:59], v[186:187]
	v_add_f64 v[64:65], v[64:65], -v[186:187]
	;; [unrolled: 8-line block ×14, first 2 shown]
	ds_read2_b64 v[186:189], v1 offset0:90 offset1:91
	s_waitcnt lgkmcnt(0)
	v_mul_f64 v[60:61], v[188:189], v[194:195]
	v_fma_f64 v[60:61], v[186:187], v[58:59], -v[60:61]
	v_mul_f64 v[186:187], v[186:187], v[194:195]
	v_add_f64 v[2:3], v[2:3], -v[60:61]
	v_fma_f64 v[186:187], v[188:189], v[58:59], v[186:187]
	v_mov_b32_e32 v60, v194
	v_mov_b32_e32 v61, v195
	v_add_f64 v[4:5], v[4:5], -v[186:187]
.LBB90_650:
	s_or_b32 exec_lo, exec_lo, s0
	v_lshl_add_u32 v186, v200, 4, v1
	s_barrier
	buffer_gl0_inv
	v_mov_b32_e32 v194, 31
	ds_write2_b64 v186, v[42:43], v[44:45] offset1:1
	s_waitcnt lgkmcnt(0)
	s_barrier
	buffer_gl0_inv
	ds_read2_b64 v[186:189], v1 offset0:62 offset1:63
	s_cmp_lt_i32 s1, 33
	s_cbranch_scc1 .LBB90_653
; %bb.651:
	v_add3_u32 v195, v196, 0, 0x200
	v_mov_b32_e32 v194, 31
	s_mov_b32 s7, 32
	s_inst_prefetch 0x1
	.p2align	6
.LBB90_652:                             ; =>This Inner Loop Header: Depth=1
	s_waitcnt lgkmcnt(0)
	v_cmp_gt_f64_e32 vcc_lo, 0, v[188:189]
	v_cmp_gt_f64_e64 s0, 0, v[186:187]
	ds_read2_b64 v[201:204], v195 offset1:1
	v_xor_b32_e32 v206, 0x80000000, v187
	v_xor_b32_e32 v208, 0x80000000, v189
	v_mov_b32_e32 v205, v186
	v_mov_b32_e32 v207, v188
	v_add_nc_u32_e32 v195, 16, v195
	s_waitcnt lgkmcnt(0)
	v_xor_b32_e32 v210, 0x80000000, v204
	v_cndmask_b32_e64 v206, v187, v206, s0
	v_cndmask_b32_e32 v208, v189, v208, vcc_lo
	v_cmp_gt_f64_e32 vcc_lo, 0, v[203:204]
	v_cmp_gt_f64_e64 s0, 0, v[201:202]
	v_mov_b32_e32 v209, v203
	v_add_f64 v[205:206], v[205:206], v[207:208]
	v_xor_b32_e32 v208, 0x80000000, v202
	v_mov_b32_e32 v207, v201
	v_cndmask_b32_e32 v210, v204, v210, vcc_lo
	v_cndmask_b32_e64 v208, v202, v208, s0
	v_add_f64 v[207:208], v[207:208], v[209:210]
	v_cmp_lt_f64_e32 vcc_lo, v[205:206], v[207:208]
	v_cndmask_b32_e32 v187, v187, v202, vcc_lo
	v_cndmask_b32_e32 v186, v186, v201, vcc_lo
	;; [unrolled: 1-line block ×4, first 2 shown]
	v_cndmask_b32_e64 v194, v194, s7, vcc_lo
	s_add_i32 s7, s7, 1
	s_cmp_lg_u32 s1, s7
	s_cbranch_scc1 .LBB90_652
.LBB90_653:
	s_inst_prefetch 0x2
	s_waitcnt lgkmcnt(0)
	v_cmp_eq_f64_e32 vcc_lo, 0, v[186:187]
	v_cmp_eq_f64_e64 s0, 0, v[188:189]
	s_and_b32 s0, vcc_lo, s0
	s_and_saveexec_b32 s7, s0
	s_xor_b32 s0, exec_lo, s7
; %bb.654:
	v_cmp_ne_u32_e32 vcc_lo, 0, v199
	v_cndmask_b32_e32 v199, 32, v199, vcc_lo
; %bb.655:
	s_andn2_saveexec_b32 s0, s0
	s_cbranch_execz .LBB90_661
; %bb.656:
	v_cmp_ngt_f64_e64 s7, |v[186:187]|, |v[188:189]|
	s_and_saveexec_b32 s8, s7
	s_xor_b32 s7, exec_lo, s8
	s_cbranch_execz .LBB90_658
; %bb.657:
	v_div_scale_f64 v[201:202], null, v[188:189], v[188:189], v[186:187]
	v_div_scale_f64 v[207:208], vcc_lo, v[186:187], v[188:189], v[186:187]
	v_rcp_f64_e32 v[203:204], v[201:202]
	v_fma_f64 v[205:206], -v[201:202], v[203:204], 1.0
	v_fma_f64 v[203:204], v[203:204], v[205:206], v[203:204]
	v_fma_f64 v[205:206], -v[201:202], v[203:204], 1.0
	v_fma_f64 v[203:204], v[203:204], v[205:206], v[203:204]
	v_mul_f64 v[205:206], v[207:208], v[203:204]
	v_fma_f64 v[201:202], -v[201:202], v[205:206], v[207:208]
	v_div_fmas_f64 v[201:202], v[201:202], v[203:204], v[205:206]
	v_div_fixup_f64 v[201:202], v[201:202], v[188:189], v[186:187]
	v_fma_f64 v[186:187], v[186:187], v[201:202], v[188:189]
	v_div_scale_f64 v[188:189], null, v[186:187], v[186:187], 1.0
	v_rcp_f64_e32 v[203:204], v[188:189]
	v_fma_f64 v[205:206], -v[188:189], v[203:204], 1.0
	v_fma_f64 v[203:204], v[203:204], v[205:206], v[203:204]
	v_fma_f64 v[205:206], -v[188:189], v[203:204], 1.0
	v_fma_f64 v[203:204], v[203:204], v[205:206], v[203:204]
	v_div_scale_f64 v[205:206], vcc_lo, 1.0, v[186:187], 1.0
	v_mul_f64 v[207:208], v[205:206], v[203:204]
	v_fma_f64 v[188:189], -v[188:189], v[207:208], v[205:206]
	v_div_fmas_f64 v[188:189], v[188:189], v[203:204], v[207:208]
	v_div_fixup_f64 v[188:189], v[188:189], v[186:187], 1.0
	v_mul_f64 v[186:187], v[201:202], v[188:189]
	v_xor_b32_e32 v189, 0x80000000, v189
.LBB90_658:
	s_andn2_saveexec_b32 s7, s7
	s_cbranch_execz .LBB90_660
; %bb.659:
	v_div_scale_f64 v[201:202], null, v[186:187], v[186:187], v[188:189]
	v_div_scale_f64 v[207:208], vcc_lo, v[188:189], v[186:187], v[188:189]
	v_rcp_f64_e32 v[203:204], v[201:202]
	v_fma_f64 v[205:206], -v[201:202], v[203:204], 1.0
	v_fma_f64 v[203:204], v[203:204], v[205:206], v[203:204]
	v_fma_f64 v[205:206], -v[201:202], v[203:204], 1.0
	v_fma_f64 v[203:204], v[203:204], v[205:206], v[203:204]
	v_mul_f64 v[205:206], v[207:208], v[203:204]
	v_fma_f64 v[201:202], -v[201:202], v[205:206], v[207:208]
	v_div_fmas_f64 v[201:202], v[201:202], v[203:204], v[205:206]
	v_div_fixup_f64 v[201:202], v[201:202], v[186:187], v[188:189]
	v_fma_f64 v[186:187], v[188:189], v[201:202], v[186:187]
	v_div_scale_f64 v[188:189], null, v[186:187], v[186:187], 1.0
	v_rcp_f64_e32 v[203:204], v[188:189]
	v_fma_f64 v[205:206], -v[188:189], v[203:204], 1.0
	v_fma_f64 v[203:204], v[203:204], v[205:206], v[203:204]
	v_fma_f64 v[205:206], -v[188:189], v[203:204], 1.0
	v_fma_f64 v[203:204], v[203:204], v[205:206], v[203:204]
	v_div_scale_f64 v[205:206], vcc_lo, 1.0, v[186:187], 1.0
	v_mul_f64 v[207:208], v[205:206], v[203:204]
	v_fma_f64 v[188:189], -v[188:189], v[207:208], v[205:206]
	v_div_fmas_f64 v[188:189], v[188:189], v[203:204], v[207:208]
	v_div_fixup_f64 v[186:187], v[188:189], v[186:187], 1.0
	v_mul_f64 v[188:189], v[201:202], -v[186:187]
.LBB90_660:
	s_or_b32 exec_lo, exec_lo, s7
.LBB90_661:
	s_or_b32 exec_lo, exec_lo, s0
	s_mov_b32 s0, exec_lo
	v_cmpx_ne_u32_e64 v200, v194
	s_xor_b32 s0, exec_lo, s0
	s_cbranch_execz .LBB90_667
; %bb.662:
	s_mov_b32 s7, exec_lo
	v_cmpx_eq_u32_e32 31, v200
	s_cbranch_execz .LBB90_666
; %bb.663:
	v_cmp_ne_u32_e32 vcc_lo, 31, v194
	s_xor_b32 s8, s16, -1
	s_and_b32 s9, s8, vcc_lo
	s_and_saveexec_b32 s8, s9
	s_cbranch_execz .LBB90_665
; %bb.664:
	v_ashrrev_i32_e32 v195, 31, v194
	v_lshlrev_b64 v[200:201], 2, v[194:195]
	v_add_co_u32 v200, vcc_lo, v192, v200
	v_add_co_ci_u32_e64 v201, null, v193, v201, vcc_lo
	s_clause 0x1
	global_load_dword v0, v[200:201], off
	global_load_dword v195, v[192:193], off offset:124
	s_waitcnt vmcnt(1)
	global_store_dword v[192:193], v0, off offset:124
	s_waitcnt vmcnt(0)
	global_store_dword v[200:201], v195, off
.LBB90_665:
	s_or_b32 exec_lo, exec_lo, s8
	v_mov_b32_e32 v200, v194
	v_mov_b32_e32 v0, v194
.LBB90_666:
	s_or_b32 exec_lo, exec_lo, s7
.LBB90_667:
	s_andn2_saveexec_b32 s0, s0
	s_cbranch_execz .LBB90_669
; %bb.668:
	v_mov_b32_e32 v200, 31
	ds_write2_b64 v1, v[62:63], v[64:65] offset0:64 offset1:65
	ds_write2_b64 v1, v[66:67], v[68:69] offset0:66 offset1:67
	;; [unrolled: 1-line block ×14, first 2 shown]
.LBB90_669:
	s_or_b32 exec_lo, exec_lo, s0
	s_mov_b32 s0, exec_lo
	s_waitcnt lgkmcnt(0)
	s_waitcnt_vscnt null, 0x0
	s_barrier
	buffer_gl0_inv
	v_cmpx_lt_i32_e32 31, v200
	s_cbranch_execz .LBB90_671
; %bb.670:
	v_mul_f64 v[194:195], v[186:187], v[44:45]
	v_mul_f64 v[44:45], v[188:189], v[44:45]
	v_fma_f64 v[194:195], v[188:189], v[42:43], v[194:195]
	v_fma_f64 v[42:43], v[186:187], v[42:43], -v[44:45]
	ds_read2_b64 v[186:189], v1 offset0:64 offset1:65
	s_waitcnt lgkmcnt(0)
	v_mul_f64 v[44:45], v[188:189], v[194:195]
	v_fma_f64 v[44:45], v[186:187], v[42:43], -v[44:45]
	v_mul_f64 v[186:187], v[186:187], v[194:195]
	v_add_f64 v[62:63], v[62:63], -v[44:45]
	v_fma_f64 v[186:187], v[188:189], v[42:43], v[186:187]
	v_add_f64 v[64:65], v[64:65], -v[186:187]
	ds_read2_b64 v[186:189], v1 offset0:66 offset1:67
	s_waitcnt lgkmcnt(0)
	v_mul_f64 v[44:45], v[188:189], v[194:195]
	v_fma_f64 v[44:45], v[186:187], v[42:43], -v[44:45]
	v_mul_f64 v[186:187], v[186:187], v[194:195]
	v_add_f64 v[66:67], v[66:67], -v[44:45]
	v_fma_f64 v[186:187], v[188:189], v[42:43], v[186:187]
	v_add_f64 v[68:69], v[68:69], -v[186:187]
	;; [unrolled: 8-line block ×13, first 2 shown]
	ds_read2_b64 v[186:189], v1 offset0:90 offset1:91
	s_waitcnt lgkmcnt(0)
	v_mul_f64 v[44:45], v[188:189], v[194:195]
	v_fma_f64 v[44:45], v[186:187], v[42:43], -v[44:45]
	v_mul_f64 v[186:187], v[186:187], v[194:195]
	v_add_f64 v[2:3], v[2:3], -v[44:45]
	v_fma_f64 v[186:187], v[188:189], v[42:43], v[186:187]
	v_mov_b32_e32 v44, v194
	v_mov_b32_e32 v45, v195
	v_add_f64 v[4:5], v[4:5], -v[186:187]
.LBB90_671:
	s_or_b32 exec_lo, exec_lo, s0
	v_lshl_add_u32 v186, v200, 4, v1
	s_barrier
	buffer_gl0_inv
	v_mov_b32_e32 v194, 32
	ds_write2_b64 v186, v[62:63], v[64:65] offset1:1
	s_waitcnt lgkmcnt(0)
	s_barrier
	buffer_gl0_inv
	ds_read2_b64 v[186:189], v1 offset0:64 offset1:65
	s_cmp_lt_i32 s1, 34
	s_cbranch_scc1 .LBB90_674
; %bb.672:
	v_add3_u32 v195, v196, 0, 0x210
	v_mov_b32_e32 v194, 32
	s_mov_b32 s7, 33
	s_inst_prefetch 0x1
	.p2align	6
.LBB90_673:                             ; =>This Inner Loop Header: Depth=1
	s_waitcnt lgkmcnt(0)
	v_cmp_gt_f64_e32 vcc_lo, 0, v[188:189]
	v_cmp_gt_f64_e64 s0, 0, v[186:187]
	ds_read2_b64 v[201:204], v195 offset1:1
	v_xor_b32_e32 v206, 0x80000000, v187
	v_xor_b32_e32 v208, 0x80000000, v189
	v_mov_b32_e32 v205, v186
	v_mov_b32_e32 v207, v188
	v_add_nc_u32_e32 v195, 16, v195
	s_waitcnt lgkmcnt(0)
	v_xor_b32_e32 v210, 0x80000000, v204
	v_cndmask_b32_e64 v206, v187, v206, s0
	v_cndmask_b32_e32 v208, v189, v208, vcc_lo
	v_cmp_gt_f64_e32 vcc_lo, 0, v[203:204]
	v_cmp_gt_f64_e64 s0, 0, v[201:202]
	v_mov_b32_e32 v209, v203
	v_add_f64 v[205:206], v[205:206], v[207:208]
	v_xor_b32_e32 v208, 0x80000000, v202
	v_mov_b32_e32 v207, v201
	v_cndmask_b32_e32 v210, v204, v210, vcc_lo
	v_cndmask_b32_e64 v208, v202, v208, s0
	v_add_f64 v[207:208], v[207:208], v[209:210]
	v_cmp_lt_f64_e32 vcc_lo, v[205:206], v[207:208]
	v_cndmask_b32_e32 v187, v187, v202, vcc_lo
	v_cndmask_b32_e32 v186, v186, v201, vcc_lo
	;; [unrolled: 1-line block ×4, first 2 shown]
	v_cndmask_b32_e64 v194, v194, s7, vcc_lo
	s_add_i32 s7, s7, 1
	s_cmp_lg_u32 s1, s7
	s_cbranch_scc1 .LBB90_673
.LBB90_674:
	s_inst_prefetch 0x2
	s_waitcnt lgkmcnt(0)
	v_cmp_eq_f64_e32 vcc_lo, 0, v[186:187]
	v_cmp_eq_f64_e64 s0, 0, v[188:189]
	s_and_b32 s0, vcc_lo, s0
	s_and_saveexec_b32 s7, s0
	s_xor_b32 s0, exec_lo, s7
; %bb.675:
	v_cmp_ne_u32_e32 vcc_lo, 0, v199
	v_cndmask_b32_e32 v199, 33, v199, vcc_lo
; %bb.676:
	s_andn2_saveexec_b32 s0, s0
	s_cbranch_execz .LBB90_682
; %bb.677:
	v_cmp_ngt_f64_e64 s7, |v[186:187]|, |v[188:189]|
	s_and_saveexec_b32 s8, s7
	s_xor_b32 s7, exec_lo, s8
	s_cbranch_execz .LBB90_679
; %bb.678:
	v_div_scale_f64 v[201:202], null, v[188:189], v[188:189], v[186:187]
	v_div_scale_f64 v[207:208], vcc_lo, v[186:187], v[188:189], v[186:187]
	v_rcp_f64_e32 v[203:204], v[201:202]
	v_fma_f64 v[205:206], -v[201:202], v[203:204], 1.0
	v_fma_f64 v[203:204], v[203:204], v[205:206], v[203:204]
	v_fma_f64 v[205:206], -v[201:202], v[203:204], 1.0
	v_fma_f64 v[203:204], v[203:204], v[205:206], v[203:204]
	v_mul_f64 v[205:206], v[207:208], v[203:204]
	v_fma_f64 v[201:202], -v[201:202], v[205:206], v[207:208]
	v_div_fmas_f64 v[201:202], v[201:202], v[203:204], v[205:206]
	v_div_fixup_f64 v[201:202], v[201:202], v[188:189], v[186:187]
	v_fma_f64 v[186:187], v[186:187], v[201:202], v[188:189]
	v_div_scale_f64 v[188:189], null, v[186:187], v[186:187], 1.0
	v_rcp_f64_e32 v[203:204], v[188:189]
	v_fma_f64 v[205:206], -v[188:189], v[203:204], 1.0
	v_fma_f64 v[203:204], v[203:204], v[205:206], v[203:204]
	v_fma_f64 v[205:206], -v[188:189], v[203:204], 1.0
	v_fma_f64 v[203:204], v[203:204], v[205:206], v[203:204]
	v_div_scale_f64 v[205:206], vcc_lo, 1.0, v[186:187], 1.0
	v_mul_f64 v[207:208], v[205:206], v[203:204]
	v_fma_f64 v[188:189], -v[188:189], v[207:208], v[205:206]
	v_div_fmas_f64 v[188:189], v[188:189], v[203:204], v[207:208]
	v_div_fixup_f64 v[188:189], v[188:189], v[186:187], 1.0
	v_mul_f64 v[186:187], v[201:202], v[188:189]
	v_xor_b32_e32 v189, 0x80000000, v189
.LBB90_679:
	s_andn2_saveexec_b32 s7, s7
	s_cbranch_execz .LBB90_681
; %bb.680:
	v_div_scale_f64 v[201:202], null, v[186:187], v[186:187], v[188:189]
	v_div_scale_f64 v[207:208], vcc_lo, v[188:189], v[186:187], v[188:189]
	v_rcp_f64_e32 v[203:204], v[201:202]
	v_fma_f64 v[205:206], -v[201:202], v[203:204], 1.0
	v_fma_f64 v[203:204], v[203:204], v[205:206], v[203:204]
	v_fma_f64 v[205:206], -v[201:202], v[203:204], 1.0
	v_fma_f64 v[203:204], v[203:204], v[205:206], v[203:204]
	v_mul_f64 v[205:206], v[207:208], v[203:204]
	v_fma_f64 v[201:202], -v[201:202], v[205:206], v[207:208]
	v_div_fmas_f64 v[201:202], v[201:202], v[203:204], v[205:206]
	v_div_fixup_f64 v[201:202], v[201:202], v[186:187], v[188:189]
	v_fma_f64 v[186:187], v[188:189], v[201:202], v[186:187]
	v_div_scale_f64 v[188:189], null, v[186:187], v[186:187], 1.0
	v_rcp_f64_e32 v[203:204], v[188:189]
	v_fma_f64 v[205:206], -v[188:189], v[203:204], 1.0
	v_fma_f64 v[203:204], v[203:204], v[205:206], v[203:204]
	v_fma_f64 v[205:206], -v[188:189], v[203:204], 1.0
	v_fma_f64 v[203:204], v[203:204], v[205:206], v[203:204]
	v_div_scale_f64 v[205:206], vcc_lo, 1.0, v[186:187], 1.0
	v_mul_f64 v[207:208], v[205:206], v[203:204]
	v_fma_f64 v[188:189], -v[188:189], v[207:208], v[205:206]
	v_div_fmas_f64 v[188:189], v[188:189], v[203:204], v[207:208]
	v_div_fixup_f64 v[186:187], v[188:189], v[186:187], 1.0
	v_mul_f64 v[188:189], v[201:202], -v[186:187]
.LBB90_681:
	s_or_b32 exec_lo, exec_lo, s7
.LBB90_682:
	s_or_b32 exec_lo, exec_lo, s0
	s_mov_b32 s0, exec_lo
	v_cmpx_ne_u32_e64 v200, v194
	s_xor_b32 s0, exec_lo, s0
	s_cbranch_execz .LBB90_688
; %bb.683:
	s_mov_b32 s7, exec_lo
	v_cmpx_eq_u32_e32 32, v200
	s_cbranch_execz .LBB90_687
; %bb.684:
	v_cmp_ne_u32_e32 vcc_lo, 32, v194
	s_xor_b32 s8, s16, -1
	s_and_b32 s9, s8, vcc_lo
	s_and_saveexec_b32 s8, s9
	s_cbranch_execz .LBB90_686
; %bb.685:
	v_ashrrev_i32_e32 v195, 31, v194
	v_lshlrev_b64 v[200:201], 2, v[194:195]
	v_add_co_u32 v200, vcc_lo, v192, v200
	v_add_co_ci_u32_e64 v201, null, v193, v201, vcc_lo
	s_clause 0x1
	global_load_dword v0, v[200:201], off
	global_load_dword v195, v[192:193], off offset:128
	s_waitcnt vmcnt(1)
	global_store_dword v[192:193], v0, off offset:128
	s_waitcnt vmcnt(0)
	global_store_dword v[200:201], v195, off
.LBB90_686:
	s_or_b32 exec_lo, exec_lo, s8
	v_mov_b32_e32 v200, v194
	v_mov_b32_e32 v0, v194
.LBB90_687:
	s_or_b32 exec_lo, exec_lo, s7
.LBB90_688:
	s_andn2_saveexec_b32 s0, s0
	s_cbranch_execz .LBB90_690
; %bb.689:
	v_mov_b32_e32 v200, 32
	ds_write2_b64 v1, v[66:67], v[68:69] offset0:66 offset1:67
	ds_write2_b64 v1, v[50:51], v[52:53] offset0:68 offset1:69
	;; [unrolled: 1-line block ×13, first 2 shown]
.LBB90_690:
	s_or_b32 exec_lo, exec_lo, s0
	s_mov_b32 s0, exec_lo
	s_waitcnt lgkmcnt(0)
	s_waitcnt_vscnt null, 0x0
	s_barrier
	buffer_gl0_inv
	v_cmpx_lt_i32_e32 32, v200
	s_cbranch_execz .LBB90_692
; %bb.691:
	v_mul_f64 v[194:195], v[186:187], v[64:65]
	v_mul_f64 v[64:65], v[188:189], v[64:65]
	v_fma_f64 v[194:195], v[188:189], v[62:63], v[194:195]
	v_fma_f64 v[62:63], v[186:187], v[62:63], -v[64:65]
	ds_read2_b64 v[186:189], v1 offset0:66 offset1:67
	s_waitcnt lgkmcnt(0)
	v_mul_f64 v[64:65], v[188:189], v[194:195]
	v_fma_f64 v[64:65], v[186:187], v[62:63], -v[64:65]
	v_mul_f64 v[186:187], v[186:187], v[194:195]
	v_add_f64 v[66:67], v[66:67], -v[64:65]
	v_fma_f64 v[186:187], v[188:189], v[62:63], v[186:187]
	v_add_f64 v[68:69], v[68:69], -v[186:187]
	ds_read2_b64 v[186:189], v1 offset0:68 offset1:69
	s_waitcnt lgkmcnt(0)
	v_mul_f64 v[64:65], v[188:189], v[194:195]
	v_fma_f64 v[64:65], v[186:187], v[62:63], -v[64:65]
	v_mul_f64 v[186:187], v[186:187], v[194:195]
	v_add_f64 v[50:51], v[50:51], -v[64:65]
	v_fma_f64 v[186:187], v[188:189], v[62:63], v[186:187]
	v_add_f64 v[52:53], v[52:53], -v[186:187]
	ds_read2_b64 v[186:189], v1 offset0:70 offset1:71
	s_waitcnt lgkmcnt(0)
	v_mul_f64 v[64:65], v[188:189], v[194:195]
	v_fma_f64 v[64:65], v[186:187], v[62:63], -v[64:65]
	v_mul_f64 v[186:187], v[186:187], v[194:195]
	v_add_f64 v[46:47], v[46:47], -v[64:65]
	v_fma_f64 v[186:187], v[188:189], v[62:63], v[186:187]
	v_add_f64 v[48:49], v[48:49], -v[186:187]
	ds_read2_b64 v[186:189], v1 offset0:72 offset1:73
	s_waitcnt lgkmcnt(0)
	v_mul_f64 v[64:65], v[188:189], v[194:195]
	v_fma_f64 v[64:65], v[186:187], v[62:63], -v[64:65]
	v_mul_f64 v[186:187], v[186:187], v[194:195]
	v_add_f64 v[38:39], v[38:39], -v[64:65]
	v_fma_f64 v[186:187], v[188:189], v[62:63], v[186:187]
	v_add_f64 v[40:41], v[40:41], -v[186:187]
	ds_read2_b64 v[186:189], v1 offset0:74 offset1:75
	s_waitcnt lgkmcnt(0)
	v_mul_f64 v[64:65], v[188:189], v[194:195]
	v_fma_f64 v[64:65], v[186:187], v[62:63], -v[64:65]
	v_mul_f64 v[186:187], v[186:187], v[194:195]
	v_add_f64 v[34:35], v[34:35], -v[64:65]
	v_fma_f64 v[186:187], v[188:189], v[62:63], v[186:187]
	v_add_f64 v[36:37], v[36:37], -v[186:187]
	ds_read2_b64 v[186:189], v1 offset0:76 offset1:77
	s_waitcnt lgkmcnt(0)
	v_mul_f64 v[64:65], v[188:189], v[194:195]
	v_fma_f64 v[64:65], v[186:187], v[62:63], -v[64:65]
	v_mul_f64 v[186:187], v[186:187], v[194:195]
	v_add_f64 v[30:31], v[30:31], -v[64:65]
	v_fma_f64 v[186:187], v[188:189], v[62:63], v[186:187]
	v_add_f64 v[32:33], v[32:33], -v[186:187]
	ds_read2_b64 v[186:189], v1 offset0:78 offset1:79
	s_waitcnt lgkmcnt(0)
	v_mul_f64 v[64:65], v[188:189], v[194:195]
	v_fma_f64 v[64:65], v[186:187], v[62:63], -v[64:65]
	v_mul_f64 v[186:187], v[186:187], v[194:195]
	v_add_f64 v[26:27], v[26:27], -v[64:65]
	v_fma_f64 v[186:187], v[188:189], v[62:63], v[186:187]
	v_add_f64 v[28:29], v[28:29], -v[186:187]
	ds_read2_b64 v[186:189], v1 offset0:80 offset1:81
	s_waitcnt lgkmcnt(0)
	v_mul_f64 v[64:65], v[188:189], v[194:195]
	v_fma_f64 v[64:65], v[186:187], v[62:63], -v[64:65]
	v_mul_f64 v[186:187], v[186:187], v[194:195]
	v_add_f64 v[22:23], v[22:23], -v[64:65]
	v_fma_f64 v[186:187], v[188:189], v[62:63], v[186:187]
	v_add_f64 v[24:25], v[24:25], -v[186:187]
	ds_read2_b64 v[186:189], v1 offset0:82 offset1:83
	s_waitcnt lgkmcnt(0)
	v_mul_f64 v[64:65], v[188:189], v[194:195]
	v_fma_f64 v[64:65], v[186:187], v[62:63], -v[64:65]
	v_mul_f64 v[186:187], v[186:187], v[194:195]
	v_add_f64 v[18:19], v[18:19], -v[64:65]
	v_fma_f64 v[186:187], v[188:189], v[62:63], v[186:187]
	v_add_f64 v[20:21], v[20:21], -v[186:187]
	ds_read2_b64 v[186:189], v1 offset0:84 offset1:85
	s_waitcnt lgkmcnt(0)
	v_mul_f64 v[64:65], v[188:189], v[194:195]
	v_fma_f64 v[64:65], v[186:187], v[62:63], -v[64:65]
	v_mul_f64 v[186:187], v[186:187], v[194:195]
	v_add_f64 v[14:15], v[14:15], -v[64:65]
	v_fma_f64 v[186:187], v[188:189], v[62:63], v[186:187]
	v_add_f64 v[16:17], v[16:17], -v[186:187]
	ds_read2_b64 v[186:189], v1 offset0:86 offset1:87
	s_waitcnt lgkmcnt(0)
	v_mul_f64 v[64:65], v[188:189], v[194:195]
	v_fma_f64 v[64:65], v[186:187], v[62:63], -v[64:65]
	v_mul_f64 v[186:187], v[186:187], v[194:195]
	v_add_f64 v[10:11], v[10:11], -v[64:65]
	v_fma_f64 v[186:187], v[188:189], v[62:63], v[186:187]
	v_add_f64 v[12:13], v[12:13], -v[186:187]
	ds_read2_b64 v[186:189], v1 offset0:88 offset1:89
	s_waitcnt lgkmcnt(0)
	v_mul_f64 v[64:65], v[188:189], v[194:195]
	v_fma_f64 v[64:65], v[186:187], v[62:63], -v[64:65]
	v_mul_f64 v[186:187], v[186:187], v[194:195]
	v_add_f64 v[6:7], v[6:7], -v[64:65]
	v_fma_f64 v[186:187], v[188:189], v[62:63], v[186:187]
	v_add_f64 v[8:9], v[8:9], -v[186:187]
	ds_read2_b64 v[186:189], v1 offset0:90 offset1:91
	s_waitcnt lgkmcnt(0)
	v_mul_f64 v[64:65], v[188:189], v[194:195]
	v_fma_f64 v[64:65], v[186:187], v[62:63], -v[64:65]
	v_mul_f64 v[186:187], v[186:187], v[194:195]
	v_add_f64 v[2:3], v[2:3], -v[64:65]
	v_fma_f64 v[186:187], v[188:189], v[62:63], v[186:187]
	v_mov_b32_e32 v64, v194
	v_mov_b32_e32 v65, v195
	v_add_f64 v[4:5], v[4:5], -v[186:187]
.LBB90_692:
	s_or_b32 exec_lo, exec_lo, s0
	v_lshl_add_u32 v186, v200, 4, v1
	s_barrier
	buffer_gl0_inv
	v_mov_b32_e32 v194, 33
	ds_write2_b64 v186, v[66:67], v[68:69] offset1:1
	s_waitcnt lgkmcnt(0)
	s_barrier
	buffer_gl0_inv
	ds_read2_b64 v[186:189], v1 offset0:66 offset1:67
	s_cmp_lt_i32 s1, 35
	s_cbranch_scc1 .LBB90_695
; %bb.693:
	v_add3_u32 v195, v196, 0, 0x220
	v_mov_b32_e32 v194, 33
	s_mov_b32 s7, 34
	s_inst_prefetch 0x1
	.p2align	6
.LBB90_694:                             ; =>This Inner Loop Header: Depth=1
	s_waitcnt lgkmcnt(0)
	v_cmp_gt_f64_e32 vcc_lo, 0, v[188:189]
	v_cmp_gt_f64_e64 s0, 0, v[186:187]
	ds_read2_b64 v[201:204], v195 offset1:1
	v_xor_b32_e32 v206, 0x80000000, v187
	v_xor_b32_e32 v208, 0x80000000, v189
	v_mov_b32_e32 v205, v186
	v_mov_b32_e32 v207, v188
	v_add_nc_u32_e32 v195, 16, v195
	s_waitcnt lgkmcnt(0)
	v_xor_b32_e32 v210, 0x80000000, v204
	v_cndmask_b32_e64 v206, v187, v206, s0
	v_cndmask_b32_e32 v208, v189, v208, vcc_lo
	v_cmp_gt_f64_e32 vcc_lo, 0, v[203:204]
	v_cmp_gt_f64_e64 s0, 0, v[201:202]
	v_mov_b32_e32 v209, v203
	v_add_f64 v[205:206], v[205:206], v[207:208]
	v_xor_b32_e32 v208, 0x80000000, v202
	v_mov_b32_e32 v207, v201
	v_cndmask_b32_e32 v210, v204, v210, vcc_lo
	v_cndmask_b32_e64 v208, v202, v208, s0
	v_add_f64 v[207:208], v[207:208], v[209:210]
	v_cmp_lt_f64_e32 vcc_lo, v[205:206], v[207:208]
	v_cndmask_b32_e32 v187, v187, v202, vcc_lo
	v_cndmask_b32_e32 v186, v186, v201, vcc_lo
	;; [unrolled: 1-line block ×4, first 2 shown]
	v_cndmask_b32_e64 v194, v194, s7, vcc_lo
	s_add_i32 s7, s7, 1
	s_cmp_lg_u32 s1, s7
	s_cbranch_scc1 .LBB90_694
.LBB90_695:
	s_inst_prefetch 0x2
	s_waitcnt lgkmcnt(0)
	v_cmp_eq_f64_e32 vcc_lo, 0, v[186:187]
	v_cmp_eq_f64_e64 s0, 0, v[188:189]
	s_and_b32 s0, vcc_lo, s0
	s_and_saveexec_b32 s7, s0
	s_xor_b32 s0, exec_lo, s7
; %bb.696:
	v_cmp_ne_u32_e32 vcc_lo, 0, v199
	v_cndmask_b32_e32 v199, 34, v199, vcc_lo
; %bb.697:
	s_andn2_saveexec_b32 s0, s0
	s_cbranch_execz .LBB90_703
; %bb.698:
	v_cmp_ngt_f64_e64 s7, |v[186:187]|, |v[188:189]|
	s_and_saveexec_b32 s8, s7
	s_xor_b32 s7, exec_lo, s8
	s_cbranch_execz .LBB90_700
; %bb.699:
	v_div_scale_f64 v[201:202], null, v[188:189], v[188:189], v[186:187]
	v_div_scale_f64 v[207:208], vcc_lo, v[186:187], v[188:189], v[186:187]
	v_rcp_f64_e32 v[203:204], v[201:202]
	v_fma_f64 v[205:206], -v[201:202], v[203:204], 1.0
	v_fma_f64 v[203:204], v[203:204], v[205:206], v[203:204]
	v_fma_f64 v[205:206], -v[201:202], v[203:204], 1.0
	v_fma_f64 v[203:204], v[203:204], v[205:206], v[203:204]
	v_mul_f64 v[205:206], v[207:208], v[203:204]
	v_fma_f64 v[201:202], -v[201:202], v[205:206], v[207:208]
	v_div_fmas_f64 v[201:202], v[201:202], v[203:204], v[205:206]
	v_div_fixup_f64 v[201:202], v[201:202], v[188:189], v[186:187]
	v_fma_f64 v[186:187], v[186:187], v[201:202], v[188:189]
	v_div_scale_f64 v[188:189], null, v[186:187], v[186:187], 1.0
	v_rcp_f64_e32 v[203:204], v[188:189]
	v_fma_f64 v[205:206], -v[188:189], v[203:204], 1.0
	v_fma_f64 v[203:204], v[203:204], v[205:206], v[203:204]
	v_fma_f64 v[205:206], -v[188:189], v[203:204], 1.0
	v_fma_f64 v[203:204], v[203:204], v[205:206], v[203:204]
	v_div_scale_f64 v[205:206], vcc_lo, 1.0, v[186:187], 1.0
	v_mul_f64 v[207:208], v[205:206], v[203:204]
	v_fma_f64 v[188:189], -v[188:189], v[207:208], v[205:206]
	v_div_fmas_f64 v[188:189], v[188:189], v[203:204], v[207:208]
	v_div_fixup_f64 v[188:189], v[188:189], v[186:187], 1.0
	v_mul_f64 v[186:187], v[201:202], v[188:189]
	v_xor_b32_e32 v189, 0x80000000, v189
.LBB90_700:
	s_andn2_saveexec_b32 s7, s7
	s_cbranch_execz .LBB90_702
; %bb.701:
	v_div_scale_f64 v[201:202], null, v[186:187], v[186:187], v[188:189]
	v_div_scale_f64 v[207:208], vcc_lo, v[188:189], v[186:187], v[188:189]
	v_rcp_f64_e32 v[203:204], v[201:202]
	v_fma_f64 v[205:206], -v[201:202], v[203:204], 1.0
	v_fma_f64 v[203:204], v[203:204], v[205:206], v[203:204]
	v_fma_f64 v[205:206], -v[201:202], v[203:204], 1.0
	v_fma_f64 v[203:204], v[203:204], v[205:206], v[203:204]
	v_mul_f64 v[205:206], v[207:208], v[203:204]
	v_fma_f64 v[201:202], -v[201:202], v[205:206], v[207:208]
	v_div_fmas_f64 v[201:202], v[201:202], v[203:204], v[205:206]
	v_div_fixup_f64 v[201:202], v[201:202], v[186:187], v[188:189]
	v_fma_f64 v[186:187], v[188:189], v[201:202], v[186:187]
	v_div_scale_f64 v[188:189], null, v[186:187], v[186:187], 1.0
	v_rcp_f64_e32 v[203:204], v[188:189]
	v_fma_f64 v[205:206], -v[188:189], v[203:204], 1.0
	v_fma_f64 v[203:204], v[203:204], v[205:206], v[203:204]
	v_fma_f64 v[205:206], -v[188:189], v[203:204], 1.0
	v_fma_f64 v[203:204], v[203:204], v[205:206], v[203:204]
	v_div_scale_f64 v[205:206], vcc_lo, 1.0, v[186:187], 1.0
	v_mul_f64 v[207:208], v[205:206], v[203:204]
	v_fma_f64 v[188:189], -v[188:189], v[207:208], v[205:206]
	v_div_fmas_f64 v[188:189], v[188:189], v[203:204], v[207:208]
	v_div_fixup_f64 v[186:187], v[188:189], v[186:187], 1.0
	v_mul_f64 v[188:189], v[201:202], -v[186:187]
.LBB90_702:
	s_or_b32 exec_lo, exec_lo, s7
.LBB90_703:
	s_or_b32 exec_lo, exec_lo, s0
	s_mov_b32 s0, exec_lo
	v_cmpx_ne_u32_e64 v200, v194
	s_xor_b32 s0, exec_lo, s0
	s_cbranch_execz .LBB90_709
; %bb.704:
	s_mov_b32 s7, exec_lo
	v_cmpx_eq_u32_e32 33, v200
	s_cbranch_execz .LBB90_708
; %bb.705:
	v_cmp_ne_u32_e32 vcc_lo, 33, v194
	s_xor_b32 s8, s16, -1
	s_and_b32 s9, s8, vcc_lo
	s_and_saveexec_b32 s8, s9
	s_cbranch_execz .LBB90_707
; %bb.706:
	v_ashrrev_i32_e32 v195, 31, v194
	v_lshlrev_b64 v[200:201], 2, v[194:195]
	v_add_co_u32 v200, vcc_lo, v192, v200
	v_add_co_ci_u32_e64 v201, null, v193, v201, vcc_lo
	s_clause 0x1
	global_load_dword v0, v[200:201], off
	global_load_dword v195, v[192:193], off offset:132
	s_waitcnt vmcnt(1)
	global_store_dword v[192:193], v0, off offset:132
	s_waitcnt vmcnt(0)
	global_store_dword v[200:201], v195, off
.LBB90_707:
	s_or_b32 exec_lo, exec_lo, s8
	v_mov_b32_e32 v200, v194
	v_mov_b32_e32 v0, v194
.LBB90_708:
	s_or_b32 exec_lo, exec_lo, s7
.LBB90_709:
	s_andn2_saveexec_b32 s0, s0
	s_cbranch_execz .LBB90_711
; %bb.710:
	v_mov_b32_e32 v200, 33
	ds_write2_b64 v1, v[50:51], v[52:53] offset0:68 offset1:69
	ds_write2_b64 v1, v[46:47], v[48:49] offset0:70 offset1:71
	;; [unrolled: 1-line block ×12, first 2 shown]
.LBB90_711:
	s_or_b32 exec_lo, exec_lo, s0
	s_mov_b32 s0, exec_lo
	s_waitcnt lgkmcnt(0)
	s_waitcnt_vscnt null, 0x0
	s_barrier
	buffer_gl0_inv
	v_cmpx_lt_i32_e32 33, v200
	s_cbranch_execz .LBB90_713
; %bb.712:
	v_mul_f64 v[194:195], v[186:187], v[68:69]
	v_mul_f64 v[68:69], v[188:189], v[68:69]
	v_fma_f64 v[194:195], v[188:189], v[66:67], v[194:195]
	v_fma_f64 v[66:67], v[186:187], v[66:67], -v[68:69]
	ds_read2_b64 v[186:189], v1 offset0:68 offset1:69
	s_waitcnt lgkmcnt(0)
	v_mul_f64 v[68:69], v[188:189], v[194:195]
	v_fma_f64 v[68:69], v[186:187], v[66:67], -v[68:69]
	v_mul_f64 v[186:187], v[186:187], v[194:195]
	v_add_f64 v[50:51], v[50:51], -v[68:69]
	v_fma_f64 v[186:187], v[188:189], v[66:67], v[186:187]
	v_add_f64 v[52:53], v[52:53], -v[186:187]
	ds_read2_b64 v[186:189], v1 offset0:70 offset1:71
	s_waitcnt lgkmcnt(0)
	v_mul_f64 v[68:69], v[188:189], v[194:195]
	v_fma_f64 v[68:69], v[186:187], v[66:67], -v[68:69]
	v_mul_f64 v[186:187], v[186:187], v[194:195]
	v_add_f64 v[46:47], v[46:47], -v[68:69]
	v_fma_f64 v[186:187], v[188:189], v[66:67], v[186:187]
	v_add_f64 v[48:49], v[48:49], -v[186:187]
	;; [unrolled: 8-line block ×11, first 2 shown]
	ds_read2_b64 v[186:189], v1 offset0:90 offset1:91
	s_waitcnt lgkmcnt(0)
	v_mul_f64 v[68:69], v[188:189], v[194:195]
	v_fma_f64 v[68:69], v[186:187], v[66:67], -v[68:69]
	v_mul_f64 v[186:187], v[186:187], v[194:195]
	v_add_f64 v[2:3], v[2:3], -v[68:69]
	v_fma_f64 v[186:187], v[188:189], v[66:67], v[186:187]
	v_mov_b32_e32 v68, v194
	v_mov_b32_e32 v69, v195
	v_add_f64 v[4:5], v[4:5], -v[186:187]
.LBB90_713:
	s_or_b32 exec_lo, exec_lo, s0
	v_lshl_add_u32 v186, v200, 4, v1
	s_barrier
	buffer_gl0_inv
	v_mov_b32_e32 v194, 34
	ds_write2_b64 v186, v[50:51], v[52:53] offset1:1
	s_waitcnt lgkmcnt(0)
	s_barrier
	buffer_gl0_inv
	ds_read2_b64 v[186:189], v1 offset0:68 offset1:69
	s_cmp_lt_i32 s1, 36
	s_cbranch_scc1 .LBB90_716
; %bb.714:
	v_add3_u32 v195, v196, 0, 0x230
	v_mov_b32_e32 v194, 34
	s_mov_b32 s7, 35
	s_inst_prefetch 0x1
	.p2align	6
.LBB90_715:                             ; =>This Inner Loop Header: Depth=1
	s_waitcnt lgkmcnt(0)
	v_cmp_gt_f64_e32 vcc_lo, 0, v[188:189]
	v_cmp_gt_f64_e64 s0, 0, v[186:187]
	ds_read2_b64 v[201:204], v195 offset1:1
	v_xor_b32_e32 v206, 0x80000000, v187
	v_xor_b32_e32 v208, 0x80000000, v189
	v_mov_b32_e32 v205, v186
	v_mov_b32_e32 v207, v188
	v_add_nc_u32_e32 v195, 16, v195
	s_waitcnt lgkmcnt(0)
	v_xor_b32_e32 v210, 0x80000000, v204
	v_cndmask_b32_e64 v206, v187, v206, s0
	v_cndmask_b32_e32 v208, v189, v208, vcc_lo
	v_cmp_gt_f64_e32 vcc_lo, 0, v[203:204]
	v_cmp_gt_f64_e64 s0, 0, v[201:202]
	v_mov_b32_e32 v209, v203
	v_add_f64 v[205:206], v[205:206], v[207:208]
	v_xor_b32_e32 v208, 0x80000000, v202
	v_mov_b32_e32 v207, v201
	v_cndmask_b32_e32 v210, v204, v210, vcc_lo
	v_cndmask_b32_e64 v208, v202, v208, s0
	v_add_f64 v[207:208], v[207:208], v[209:210]
	v_cmp_lt_f64_e32 vcc_lo, v[205:206], v[207:208]
	v_cndmask_b32_e32 v187, v187, v202, vcc_lo
	v_cndmask_b32_e32 v186, v186, v201, vcc_lo
	;; [unrolled: 1-line block ×4, first 2 shown]
	v_cndmask_b32_e64 v194, v194, s7, vcc_lo
	s_add_i32 s7, s7, 1
	s_cmp_lg_u32 s1, s7
	s_cbranch_scc1 .LBB90_715
.LBB90_716:
	s_inst_prefetch 0x2
	s_waitcnt lgkmcnt(0)
	v_cmp_eq_f64_e32 vcc_lo, 0, v[186:187]
	v_cmp_eq_f64_e64 s0, 0, v[188:189]
	s_and_b32 s0, vcc_lo, s0
	s_and_saveexec_b32 s7, s0
	s_xor_b32 s0, exec_lo, s7
; %bb.717:
	v_cmp_ne_u32_e32 vcc_lo, 0, v199
	v_cndmask_b32_e32 v199, 35, v199, vcc_lo
; %bb.718:
	s_andn2_saveexec_b32 s0, s0
	s_cbranch_execz .LBB90_724
; %bb.719:
	v_cmp_ngt_f64_e64 s7, |v[186:187]|, |v[188:189]|
	s_and_saveexec_b32 s8, s7
	s_xor_b32 s7, exec_lo, s8
	s_cbranch_execz .LBB90_721
; %bb.720:
	v_div_scale_f64 v[201:202], null, v[188:189], v[188:189], v[186:187]
	v_div_scale_f64 v[207:208], vcc_lo, v[186:187], v[188:189], v[186:187]
	v_rcp_f64_e32 v[203:204], v[201:202]
	v_fma_f64 v[205:206], -v[201:202], v[203:204], 1.0
	v_fma_f64 v[203:204], v[203:204], v[205:206], v[203:204]
	v_fma_f64 v[205:206], -v[201:202], v[203:204], 1.0
	v_fma_f64 v[203:204], v[203:204], v[205:206], v[203:204]
	v_mul_f64 v[205:206], v[207:208], v[203:204]
	v_fma_f64 v[201:202], -v[201:202], v[205:206], v[207:208]
	v_div_fmas_f64 v[201:202], v[201:202], v[203:204], v[205:206]
	v_div_fixup_f64 v[201:202], v[201:202], v[188:189], v[186:187]
	v_fma_f64 v[186:187], v[186:187], v[201:202], v[188:189]
	v_div_scale_f64 v[188:189], null, v[186:187], v[186:187], 1.0
	v_rcp_f64_e32 v[203:204], v[188:189]
	v_fma_f64 v[205:206], -v[188:189], v[203:204], 1.0
	v_fma_f64 v[203:204], v[203:204], v[205:206], v[203:204]
	v_fma_f64 v[205:206], -v[188:189], v[203:204], 1.0
	v_fma_f64 v[203:204], v[203:204], v[205:206], v[203:204]
	v_div_scale_f64 v[205:206], vcc_lo, 1.0, v[186:187], 1.0
	v_mul_f64 v[207:208], v[205:206], v[203:204]
	v_fma_f64 v[188:189], -v[188:189], v[207:208], v[205:206]
	v_div_fmas_f64 v[188:189], v[188:189], v[203:204], v[207:208]
	v_div_fixup_f64 v[188:189], v[188:189], v[186:187], 1.0
	v_mul_f64 v[186:187], v[201:202], v[188:189]
	v_xor_b32_e32 v189, 0x80000000, v189
.LBB90_721:
	s_andn2_saveexec_b32 s7, s7
	s_cbranch_execz .LBB90_723
; %bb.722:
	v_div_scale_f64 v[201:202], null, v[186:187], v[186:187], v[188:189]
	v_div_scale_f64 v[207:208], vcc_lo, v[188:189], v[186:187], v[188:189]
	v_rcp_f64_e32 v[203:204], v[201:202]
	v_fma_f64 v[205:206], -v[201:202], v[203:204], 1.0
	v_fma_f64 v[203:204], v[203:204], v[205:206], v[203:204]
	v_fma_f64 v[205:206], -v[201:202], v[203:204], 1.0
	v_fma_f64 v[203:204], v[203:204], v[205:206], v[203:204]
	v_mul_f64 v[205:206], v[207:208], v[203:204]
	v_fma_f64 v[201:202], -v[201:202], v[205:206], v[207:208]
	v_div_fmas_f64 v[201:202], v[201:202], v[203:204], v[205:206]
	v_div_fixup_f64 v[201:202], v[201:202], v[186:187], v[188:189]
	v_fma_f64 v[186:187], v[188:189], v[201:202], v[186:187]
	v_div_scale_f64 v[188:189], null, v[186:187], v[186:187], 1.0
	v_rcp_f64_e32 v[203:204], v[188:189]
	v_fma_f64 v[205:206], -v[188:189], v[203:204], 1.0
	v_fma_f64 v[203:204], v[203:204], v[205:206], v[203:204]
	v_fma_f64 v[205:206], -v[188:189], v[203:204], 1.0
	v_fma_f64 v[203:204], v[203:204], v[205:206], v[203:204]
	v_div_scale_f64 v[205:206], vcc_lo, 1.0, v[186:187], 1.0
	v_mul_f64 v[207:208], v[205:206], v[203:204]
	v_fma_f64 v[188:189], -v[188:189], v[207:208], v[205:206]
	v_div_fmas_f64 v[188:189], v[188:189], v[203:204], v[207:208]
	v_div_fixup_f64 v[186:187], v[188:189], v[186:187], 1.0
	v_mul_f64 v[188:189], v[201:202], -v[186:187]
.LBB90_723:
	s_or_b32 exec_lo, exec_lo, s7
.LBB90_724:
	s_or_b32 exec_lo, exec_lo, s0
	s_mov_b32 s0, exec_lo
	v_cmpx_ne_u32_e64 v200, v194
	s_xor_b32 s0, exec_lo, s0
	s_cbranch_execz .LBB90_730
; %bb.725:
	s_mov_b32 s7, exec_lo
	v_cmpx_eq_u32_e32 34, v200
	s_cbranch_execz .LBB90_729
; %bb.726:
	v_cmp_ne_u32_e32 vcc_lo, 34, v194
	s_xor_b32 s8, s16, -1
	s_and_b32 s9, s8, vcc_lo
	s_and_saveexec_b32 s8, s9
	s_cbranch_execz .LBB90_728
; %bb.727:
	v_ashrrev_i32_e32 v195, 31, v194
	v_lshlrev_b64 v[200:201], 2, v[194:195]
	v_add_co_u32 v200, vcc_lo, v192, v200
	v_add_co_ci_u32_e64 v201, null, v193, v201, vcc_lo
	s_clause 0x1
	global_load_dword v0, v[200:201], off
	global_load_dword v195, v[192:193], off offset:136
	s_waitcnt vmcnt(1)
	global_store_dword v[192:193], v0, off offset:136
	s_waitcnt vmcnt(0)
	global_store_dword v[200:201], v195, off
.LBB90_728:
	s_or_b32 exec_lo, exec_lo, s8
	v_mov_b32_e32 v200, v194
	v_mov_b32_e32 v0, v194
.LBB90_729:
	s_or_b32 exec_lo, exec_lo, s7
.LBB90_730:
	s_andn2_saveexec_b32 s0, s0
	s_cbranch_execz .LBB90_732
; %bb.731:
	v_mov_b32_e32 v200, 34
	ds_write2_b64 v1, v[46:47], v[48:49] offset0:70 offset1:71
	ds_write2_b64 v1, v[38:39], v[40:41] offset0:72 offset1:73
	;; [unrolled: 1-line block ×11, first 2 shown]
.LBB90_732:
	s_or_b32 exec_lo, exec_lo, s0
	s_mov_b32 s0, exec_lo
	s_waitcnt lgkmcnt(0)
	s_waitcnt_vscnt null, 0x0
	s_barrier
	buffer_gl0_inv
	v_cmpx_lt_i32_e32 34, v200
	s_cbranch_execz .LBB90_734
; %bb.733:
	v_mul_f64 v[194:195], v[186:187], v[52:53]
	v_mul_f64 v[52:53], v[188:189], v[52:53]
	v_fma_f64 v[194:195], v[188:189], v[50:51], v[194:195]
	v_fma_f64 v[50:51], v[186:187], v[50:51], -v[52:53]
	ds_read2_b64 v[186:189], v1 offset0:70 offset1:71
	s_waitcnt lgkmcnt(0)
	v_mul_f64 v[52:53], v[188:189], v[194:195]
	v_fma_f64 v[52:53], v[186:187], v[50:51], -v[52:53]
	v_mul_f64 v[186:187], v[186:187], v[194:195]
	v_add_f64 v[46:47], v[46:47], -v[52:53]
	v_fma_f64 v[186:187], v[188:189], v[50:51], v[186:187]
	v_add_f64 v[48:49], v[48:49], -v[186:187]
	ds_read2_b64 v[186:189], v1 offset0:72 offset1:73
	s_waitcnt lgkmcnt(0)
	v_mul_f64 v[52:53], v[188:189], v[194:195]
	v_fma_f64 v[52:53], v[186:187], v[50:51], -v[52:53]
	v_mul_f64 v[186:187], v[186:187], v[194:195]
	v_add_f64 v[38:39], v[38:39], -v[52:53]
	v_fma_f64 v[186:187], v[188:189], v[50:51], v[186:187]
	v_add_f64 v[40:41], v[40:41], -v[186:187]
	;; [unrolled: 8-line block ×10, first 2 shown]
	ds_read2_b64 v[186:189], v1 offset0:90 offset1:91
	s_waitcnt lgkmcnt(0)
	v_mul_f64 v[52:53], v[188:189], v[194:195]
	v_fma_f64 v[52:53], v[186:187], v[50:51], -v[52:53]
	v_mul_f64 v[186:187], v[186:187], v[194:195]
	v_add_f64 v[2:3], v[2:3], -v[52:53]
	v_fma_f64 v[186:187], v[188:189], v[50:51], v[186:187]
	v_mov_b32_e32 v52, v194
	v_mov_b32_e32 v53, v195
	v_add_f64 v[4:5], v[4:5], -v[186:187]
.LBB90_734:
	s_or_b32 exec_lo, exec_lo, s0
	v_lshl_add_u32 v186, v200, 4, v1
	s_barrier
	buffer_gl0_inv
	v_mov_b32_e32 v194, 35
	ds_write2_b64 v186, v[46:47], v[48:49] offset1:1
	s_waitcnt lgkmcnt(0)
	s_barrier
	buffer_gl0_inv
	ds_read2_b64 v[186:189], v1 offset0:70 offset1:71
	s_cmp_lt_i32 s1, 37
	s_cbranch_scc1 .LBB90_737
; %bb.735:
	v_add3_u32 v195, v196, 0, 0x240
	v_mov_b32_e32 v194, 35
	s_mov_b32 s7, 36
	s_inst_prefetch 0x1
	.p2align	6
.LBB90_736:                             ; =>This Inner Loop Header: Depth=1
	s_waitcnt lgkmcnt(0)
	v_cmp_gt_f64_e32 vcc_lo, 0, v[188:189]
	v_cmp_gt_f64_e64 s0, 0, v[186:187]
	ds_read2_b64 v[201:204], v195 offset1:1
	v_xor_b32_e32 v206, 0x80000000, v187
	v_xor_b32_e32 v208, 0x80000000, v189
	v_mov_b32_e32 v205, v186
	v_mov_b32_e32 v207, v188
	v_add_nc_u32_e32 v195, 16, v195
	s_waitcnt lgkmcnt(0)
	v_xor_b32_e32 v210, 0x80000000, v204
	v_cndmask_b32_e64 v206, v187, v206, s0
	v_cndmask_b32_e32 v208, v189, v208, vcc_lo
	v_cmp_gt_f64_e32 vcc_lo, 0, v[203:204]
	v_cmp_gt_f64_e64 s0, 0, v[201:202]
	v_mov_b32_e32 v209, v203
	v_add_f64 v[205:206], v[205:206], v[207:208]
	v_xor_b32_e32 v208, 0x80000000, v202
	v_mov_b32_e32 v207, v201
	v_cndmask_b32_e32 v210, v204, v210, vcc_lo
	v_cndmask_b32_e64 v208, v202, v208, s0
	v_add_f64 v[207:208], v[207:208], v[209:210]
	v_cmp_lt_f64_e32 vcc_lo, v[205:206], v[207:208]
	v_cndmask_b32_e32 v187, v187, v202, vcc_lo
	v_cndmask_b32_e32 v186, v186, v201, vcc_lo
	;; [unrolled: 1-line block ×4, first 2 shown]
	v_cndmask_b32_e64 v194, v194, s7, vcc_lo
	s_add_i32 s7, s7, 1
	s_cmp_lg_u32 s1, s7
	s_cbranch_scc1 .LBB90_736
.LBB90_737:
	s_inst_prefetch 0x2
	s_waitcnt lgkmcnt(0)
	v_cmp_eq_f64_e32 vcc_lo, 0, v[186:187]
	v_cmp_eq_f64_e64 s0, 0, v[188:189]
	s_and_b32 s0, vcc_lo, s0
	s_and_saveexec_b32 s7, s0
	s_xor_b32 s0, exec_lo, s7
; %bb.738:
	v_cmp_ne_u32_e32 vcc_lo, 0, v199
	v_cndmask_b32_e32 v199, 36, v199, vcc_lo
; %bb.739:
	s_andn2_saveexec_b32 s0, s0
	s_cbranch_execz .LBB90_745
; %bb.740:
	v_cmp_ngt_f64_e64 s7, |v[186:187]|, |v[188:189]|
	s_and_saveexec_b32 s8, s7
	s_xor_b32 s7, exec_lo, s8
	s_cbranch_execz .LBB90_742
; %bb.741:
	v_div_scale_f64 v[201:202], null, v[188:189], v[188:189], v[186:187]
	v_div_scale_f64 v[207:208], vcc_lo, v[186:187], v[188:189], v[186:187]
	v_rcp_f64_e32 v[203:204], v[201:202]
	v_fma_f64 v[205:206], -v[201:202], v[203:204], 1.0
	v_fma_f64 v[203:204], v[203:204], v[205:206], v[203:204]
	v_fma_f64 v[205:206], -v[201:202], v[203:204], 1.0
	v_fma_f64 v[203:204], v[203:204], v[205:206], v[203:204]
	v_mul_f64 v[205:206], v[207:208], v[203:204]
	v_fma_f64 v[201:202], -v[201:202], v[205:206], v[207:208]
	v_div_fmas_f64 v[201:202], v[201:202], v[203:204], v[205:206]
	v_div_fixup_f64 v[201:202], v[201:202], v[188:189], v[186:187]
	v_fma_f64 v[186:187], v[186:187], v[201:202], v[188:189]
	v_div_scale_f64 v[188:189], null, v[186:187], v[186:187], 1.0
	v_rcp_f64_e32 v[203:204], v[188:189]
	v_fma_f64 v[205:206], -v[188:189], v[203:204], 1.0
	v_fma_f64 v[203:204], v[203:204], v[205:206], v[203:204]
	v_fma_f64 v[205:206], -v[188:189], v[203:204], 1.0
	v_fma_f64 v[203:204], v[203:204], v[205:206], v[203:204]
	v_div_scale_f64 v[205:206], vcc_lo, 1.0, v[186:187], 1.0
	v_mul_f64 v[207:208], v[205:206], v[203:204]
	v_fma_f64 v[188:189], -v[188:189], v[207:208], v[205:206]
	v_div_fmas_f64 v[188:189], v[188:189], v[203:204], v[207:208]
	v_div_fixup_f64 v[188:189], v[188:189], v[186:187], 1.0
	v_mul_f64 v[186:187], v[201:202], v[188:189]
	v_xor_b32_e32 v189, 0x80000000, v189
.LBB90_742:
	s_andn2_saveexec_b32 s7, s7
	s_cbranch_execz .LBB90_744
; %bb.743:
	v_div_scale_f64 v[201:202], null, v[186:187], v[186:187], v[188:189]
	v_div_scale_f64 v[207:208], vcc_lo, v[188:189], v[186:187], v[188:189]
	v_rcp_f64_e32 v[203:204], v[201:202]
	v_fma_f64 v[205:206], -v[201:202], v[203:204], 1.0
	v_fma_f64 v[203:204], v[203:204], v[205:206], v[203:204]
	v_fma_f64 v[205:206], -v[201:202], v[203:204], 1.0
	v_fma_f64 v[203:204], v[203:204], v[205:206], v[203:204]
	v_mul_f64 v[205:206], v[207:208], v[203:204]
	v_fma_f64 v[201:202], -v[201:202], v[205:206], v[207:208]
	v_div_fmas_f64 v[201:202], v[201:202], v[203:204], v[205:206]
	v_div_fixup_f64 v[201:202], v[201:202], v[186:187], v[188:189]
	v_fma_f64 v[186:187], v[188:189], v[201:202], v[186:187]
	v_div_scale_f64 v[188:189], null, v[186:187], v[186:187], 1.0
	v_rcp_f64_e32 v[203:204], v[188:189]
	v_fma_f64 v[205:206], -v[188:189], v[203:204], 1.0
	v_fma_f64 v[203:204], v[203:204], v[205:206], v[203:204]
	v_fma_f64 v[205:206], -v[188:189], v[203:204], 1.0
	v_fma_f64 v[203:204], v[203:204], v[205:206], v[203:204]
	v_div_scale_f64 v[205:206], vcc_lo, 1.0, v[186:187], 1.0
	v_mul_f64 v[207:208], v[205:206], v[203:204]
	v_fma_f64 v[188:189], -v[188:189], v[207:208], v[205:206]
	v_div_fmas_f64 v[188:189], v[188:189], v[203:204], v[207:208]
	v_div_fixup_f64 v[186:187], v[188:189], v[186:187], 1.0
	v_mul_f64 v[188:189], v[201:202], -v[186:187]
.LBB90_744:
	s_or_b32 exec_lo, exec_lo, s7
.LBB90_745:
	s_or_b32 exec_lo, exec_lo, s0
	s_mov_b32 s0, exec_lo
	v_cmpx_ne_u32_e64 v200, v194
	s_xor_b32 s0, exec_lo, s0
	s_cbranch_execz .LBB90_751
; %bb.746:
	s_mov_b32 s7, exec_lo
	v_cmpx_eq_u32_e32 35, v200
	s_cbranch_execz .LBB90_750
; %bb.747:
	v_cmp_ne_u32_e32 vcc_lo, 35, v194
	s_xor_b32 s8, s16, -1
	s_and_b32 s9, s8, vcc_lo
	s_and_saveexec_b32 s8, s9
	s_cbranch_execz .LBB90_749
; %bb.748:
	v_ashrrev_i32_e32 v195, 31, v194
	v_lshlrev_b64 v[200:201], 2, v[194:195]
	v_add_co_u32 v200, vcc_lo, v192, v200
	v_add_co_ci_u32_e64 v201, null, v193, v201, vcc_lo
	s_clause 0x1
	global_load_dword v0, v[200:201], off
	global_load_dword v195, v[192:193], off offset:140
	s_waitcnt vmcnt(1)
	global_store_dword v[192:193], v0, off offset:140
	s_waitcnt vmcnt(0)
	global_store_dword v[200:201], v195, off
.LBB90_749:
	s_or_b32 exec_lo, exec_lo, s8
	v_mov_b32_e32 v200, v194
	v_mov_b32_e32 v0, v194
.LBB90_750:
	s_or_b32 exec_lo, exec_lo, s7
.LBB90_751:
	s_andn2_saveexec_b32 s0, s0
	s_cbranch_execz .LBB90_753
; %bb.752:
	v_mov_b32_e32 v200, 35
	ds_write2_b64 v1, v[38:39], v[40:41] offset0:72 offset1:73
	ds_write2_b64 v1, v[34:35], v[36:37] offset0:74 offset1:75
	;; [unrolled: 1-line block ×10, first 2 shown]
.LBB90_753:
	s_or_b32 exec_lo, exec_lo, s0
	s_mov_b32 s0, exec_lo
	s_waitcnt lgkmcnt(0)
	s_waitcnt_vscnt null, 0x0
	s_barrier
	buffer_gl0_inv
	v_cmpx_lt_i32_e32 35, v200
	s_cbranch_execz .LBB90_755
; %bb.754:
	v_mul_f64 v[194:195], v[186:187], v[48:49]
	v_mul_f64 v[48:49], v[188:189], v[48:49]
	v_fma_f64 v[194:195], v[188:189], v[46:47], v[194:195]
	v_fma_f64 v[46:47], v[186:187], v[46:47], -v[48:49]
	ds_read2_b64 v[186:189], v1 offset0:72 offset1:73
	s_waitcnt lgkmcnt(0)
	v_mul_f64 v[48:49], v[188:189], v[194:195]
	v_fma_f64 v[48:49], v[186:187], v[46:47], -v[48:49]
	v_mul_f64 v[186:187], v[186:187], v[194:195]
	v_add_f64 v[38:39], v[38:39], -v[48:49]
	v_fma_f64 v[186:187], v[188:189], v[46:47], v[186:187]
	v_add_f64 v[40:41], v[40:41], -v[186:187]
	ds_read2_b64 v[186:189], v1 offset0:74 offset1:75
	s_waitcnt lgkmcnt(0)
	v_mul_f64 v[48:49], v[188:189], v[194:195]
	v_fma_f64 v[48:49], v[186:187], v[46:47], -v[48:49]
	v_mul_f64 v[186:187], v[186:187], v[194:195]
	v_add_f64 v[34:35], v[34:35], -v[48:49]
	v_fma_f64 v[186:187], v[188:189], v[46:47], v[186:187]
	v_add_f64 v[36:37], v[36:37], -v[186:187]
	;; [unrolled: 8-line block ×9, first 2 shown]
	ds_read2_b64 v[186:189], v1 offset0:90 offset1:91
	s_waitcnt lgkmcnt(0)
	v_mul_f64 v[48:49], v[188:189], v[194:195]
	v_fma_f64 v[48:49], v[186:187], v[46:47], -v[48:49]
	v_mul_f64 v[186:187], v[186:187], v[194:195]
	v_add_f64 v[2:3], v[2:3], -v[48:49]
	v_fma_f64 v[186:187], v[188:189], v[46:47], v[186:187]
	v_mov_b32_e32 v48, v194
	v_mov_b32_e32 v49, v195
	v_add_f64 v[4:5], v[4:5], -v[186:187]
.LBB90_755:
	s_or_b32 exec_lo, exec_lo, s0
	v_lshl_add_u32 v186, v200, 4, v1
	s_barrier
	buffer_gl0_inv
	v_mov_b32_e32 v194, 36
	ds_write2_b64 v186, v[38:39], v[40:41] offset1:1
	s_waitcnt lgkmcnt(0)
	s_barrier
	buffer_gl0_inv
	ds_read2_b64 v[186:189], v1 offset0:72 offset1:73
	s_cmp_lt_i32 s1, 38
	s_cbranch_scc1 .LBB90_758
; %bb.756:
	v_add3_u32 v195, v196, 0, 0x250
	v_mov_b32_e32 v194, 36
	s_mov_b32 s7, 37
	s_inst_prefetch 0x1
	.p2align	6
.LBB90_757:                             ; =>This Inner Loop Header: Depth=1
	s_waitcnt lgkmcnt(0)
	v_cmp_gt_f64_e32 vcc_lo, 0, v[188:189]
	v_cmp_gt_f64_e64 s0, 0, v[186:187]
	ds_read2_b64 v[201:204], v195 offset1:1
	v_xor_b32_e32 v206, 0x80000000, v187
	v_xor_b32_e32 v208, 0x80000000, v189
	v_mov_b32_e32 v205, v186
	v_mov_b32_e32 v207, v188
	v_add_nc_u32_e32 v195, 16, v195
	s_waitcnt lgkmcnt(0)
	v_xor_b32_e32 v210, 0x80000000, v204
	v_cndmask_b32_e64 v206, v187, v206, s0
	v_cndmask_b32_e32 v208, v189, v208, vcc_lo
	v_cmp_gt_f64_e32 vcc_lo, 0, v[203:204]
	v_cmp_gt_f64_e64 s0, 0, v[201:202]
	v_mov_b32_e32 v209, v203
	v_add_f64 v[205:206], v[205:206], v[207:208]
	v_xor_b32_e32 v208, 0x80000000, v202
	v_mov_b32_e32 v207, v201
	v_cndmask_b32_e32 v210, v204, v210, vcc_lo
	v_cndmask_b32_e64 v208, v202, v208, s0
	v_add_f64 v[207:208], v[207:208], v[209:210]
	v_cmp_lt_f64_e32 vcc_lo, v[205:206], v[207:208]
	v_cndmask_b32_e32 v187, v187, v202, vcc_lo
	v_cndmask_b32_e32 v186, v186, v201, vcc_lo
	;; [unrolled: 1-line block ×4, first 2 shown]
	v_cndmask_b32_e64 v194, v194, s7, vcc_lo
	s_add_i32 s7, s7, 1
	s_cmp_lg_u32 s1, s7
	s_cbranch_scc1 .LBB90_757
.LBB90_758:
	s_inst_prefetch 0x2
	s_waitcnt lgkmcnt(0)
	v_cmp_eq_f64_e32 vcc_lo, 0, v[186:187]
	v_cmp_eq_f64_e64 s0, 0, v[188:189]
	s_and_b32 s0, vcc_lo, s0
	s_and_saveexec_b32 s7, s0
	s_xor_b32 s0, exec_lo, s7
; %bb.759:
	v_cmp_ne_u32_e32 vcc_lo, 0, v199
	v_cndmask_b32_e32 v199, 37, v199, vcc_lo
; %bb.760:
	s_andn2_saveexec_b32 s0, s0
	s_cbranch_execz .LBB90_766
; %bb.761:
	v_cmp_ngt_f64_e64 s7, |v[186:187]|, |v[188:189]|
	s_and_saveexec_b32 s8, s7
	s_xor_b32 s7, exec_lo, s8
	s_cbranch_execz .LBB90_763
; %bb.762:
	v_div_scale_f64 v[201:202], null, v[188:189], v[188:189], v[186:187]
	v_div_scale_f64 v[207:208], vcc_lo, v[186:187], v[188:189], v[186:187]
	v_rcp_f64_e32 v[203:204], v[201:202]
	v_fma_f64 v[205:206], -v[201:202], v[203:204], 1.0
	v_fma_f64 v[203:204], v[203:204], v[205:206], v[203:204]
	v_fma_f64 v[205:206], -v[201:202], v[203:204], 1.0
	v_fma_f64 v[203:204], v[203:204], v[205:206], v[203:204]
	v_mul_f64 v[205:206], v[207:208], v[203:204]
	v_fma_f64 v[201:202], -v[201:202], v[205:206], v[207:208]
	v_div_fmas_f64 v[201:202], v[201:202], v[203:204], v[205:206]
	v_div_fixup_f64 v[201:202], v[201:202], v[188:189], v[186:187]
	v_fma_f64 v[186:187], v[186:187], v[201:202], v[188:189]
	v_div_scale_f64 v[188:189], null, v[186:187], v[186:187], 1.0
	v_rcp_f64_e32 v[203:204], v[188:189]
	v_fma_f64 v[205:206], -v[188:189], v[203:204], 1.0
	v_fma_f64 v[203:204], v[203:204], v[205:206], v[203:204]
	v_fma_f64 v[205:206], -v[188:189], v[203:204], 1.0
	v_fma_f64 v[203:204], v[203:204], v[205:206], v[203:204]
	v_div_scale_f64 v[205:206], vcc_lo, 1.0, v[186:187], 1.0
	v_mul_f64 v[207:208], v[205:206], v[203:204]
	v_fma_f64 v[188:189], -v[188:189], v[207:208], v[205:206]
	v_div_fmas_f64 v[188:189], v[188:189], v[203:204], v[207:208]
	v_div_fixup_f64 v[188:189], v[188:189], v[186:187], 1.0
	v_mul_f64 v[186:187], v[201:202], v[188:189]
	v_xor_b32_e32 v189, 0x80000000, v189
.LBB90_763:
	s_andn2_saveexec_b32 s7, s7
	s_cbranch_execz .LBB90_765
; %bb.764:
	v_div_scale_f64 v[201:202], null, v[186:187], v[186:187], v[188:189]
	v_div_scale_f64 v[207:208], vcc_lo, v[188:189], v[186:187], v[188:189]
	v_rcp_f64_e32 v[203:204], v[201:202]
	v_fma_f64 v[205:206], -v[201:202], v[203:204], 1.0
	v_fma_f64 v[203:204], v[203:204], v[205:206], v[203:204]
	v_fma_f64 v[205:206], -v[201:202], v[203:204], 1.0
	v_fma_f64 v[203:204], v[203:204], v[205:206], v[203:204]
	v_mul_f64 v[205:206], v[207:208], v[203:204]
	v_fma_f64 v[201:202], -v[201:202], v[205:206], v[207:208]
	v_div_fmas_f64 v[201:202], v[201:202], v[203:204], v[205:206]
	v_div_fixup_f64 v[201:202], v[201:202], v[186:187], v[188:189]
	v_fma_f64 v[186:187], v[188:189], v[201:202], v[186:187]
	v_div_scale_f64 v[188:189], null, v[186:187], v[186:187], 1.0
	v_rcp_f64_e32 v[203:204], v[188:189]
	v_fma_f64 v[205:206], -v[188:189], v[203:204], 1.0
	v_fma_f64 v[203:204], v[203:204], v[205:206], v[203:204]
	v_fma_f64 v[205:206], -v[188:189], v[203:204], 1.0
	v_fma_f64 v[203:204], v[203:204], v[205:206], v[203:204]
	v_div_scale_f64 v[205:206], vcc_lo, 1.0, v[186:187], 1.0
	v_mul_f64 v[207:208], v[205:206], v[203:204]
	v_fma_f64 v[188:189], -v[188:189], v[207:208], v[205:206]
	v_div_fmas_f64 v[188:189], v[188:189], v[203:204], v[207:208]
	v_div_fixup_f64 v[186:187], v[188:189], v[186:187], 1.0
	v_mul_f64 v[188:189], v[201:202], -v[186:187]
.LBB90_765:
	s_or_b32 exec_lo, exec_lo, s7
.LBB90_766:
	s_or_b32 exec_lo, exec_lo, s0
	s_mov_b32 s0, exec_lo
	v_cmpx_ne_u32_e64 v200, v194
	s_xor_b32 s0, exec_lo, s0
	s_cbranch_execz .LBB90_772
; %bb.767:
	s_mov_b32 s7, exec_lo
	v_cmpx_eq_u32_e32 36, v200
	s_cbranch_execz .LBB90_771
; %bb.768:
	v_cmp_ne_u32_e32 vcc_lo, 36, v194
	s_xor_b32 s8, s16, -1
	s_and_b32 s9, s8, vcc_lo
	s_and_saveexec_b32 s8, s9
	s_cbranch_execz .LBB90_770
; %bb.769:
	v_ashrrev_i32_e32 v195, 31, v194
	v_lshlrev_b64 v[200:201], 2, v[194:195]
	v_add_co_u32 v200, vcc_lo, v192, v200
	v_add_co_ci_u32_e64 v201, null, v193, v201, vcc_lo
	s_clause 0x1
	global_load_dword v0, v[200:201], off
	global_load_dword v195, v[192:193], off offset:144
	s_waitcnt vmcnt(1)
	global_store_dword v[192:193], v0, off offset:144
	s_waitcnt vmcnt(0)
	global_store_dword v[200:201], v195, off
.LBB90_770:
	s_or_b32 exec_lo, exec_lo, s8
	v_mov_b32_e32 v200, v194
	v_mov_b32_e32 v0, v194
.LBB90_771:
	s_or_b32 exec_lo, exec_lo, s7
.LBB90_772:
	s_andn2_saveexec_b32 s0, s0
	s_cbranch_execz .LBB90_774
; %bb.773:
	v_mov_b32_e32 v200, 36
	ds_write2_b64 v1, v[34:35], v[36:37] offset0:74 offset1:75
	ds_write2_b64 v1, v[30:31], v[32:33] offset0:76 offset1:77
	;; [unrolled: 1-line block ×9, first 2 shown]
.LBB90_774:
	s_or_b32 exec_lo, exec_lo, s0
	s_mov_b32 s0, exec_lo
	s_waitcnt lgkmcnt(0)
	s_waitcnt_vscnt null, 0x0
	s_barrier
	buffer_gl0_inv
	v_cmpx_lt_i32_e32 36, v200
	s_cbranch_execz .LBB90_776
; %bb.775:
	v_mul_f64 v[194:195], v[186:187], v[40:41]
	v_mul_f64 v[40:41], v[188:189], v[40:41]
	v_fma_f64 v[194:195], v[188:189], v[38:39], v[194:195]
	v_fma_f64 v[38:39], v[186:187], v[38:39], -v[40:41]
	ds_read2_b64 v[186:189], v1 offset0:74 offset1:75
	s_waitcnt lgkmcnt(0)
	v_mul_f64 v[40:41], v[188:189], v[194:195]
	v_fma_f64 v[40:41], v[186:187], v[38:39], -v[40:41]
	v_mul_f64 v[186:187], v[186:187], v[194:195]
	v_add_f64 v[34:35], v[34:35], -v[40:41]
	v_fma_f64 v[186:187], v[188:189], v[38:39], v[186:187]
	v_add_f64 v[36:37], v[36:37], -v[186:187]
	ds_read2_b64 v[186:189], v1 offset0:76 offset1:77
	s_waitcnt lgkmcnt(0)
	v_mul_f64 v[40:41], v[188:189], v[194:195]
	v_fma_f64 v[40:41], v[186:187], v[38:39], -v[40:41]
	v_mul_f64 v[186:187], v[186:187], v[194:195]
	v_add_f64 v[30:31], v[30:31], -v[40:41]
	v_fma_f64 v[186:187], v[188:189], v[38:39], v[186:187]
	v_add_f64 v[32:33], v[32:33], -v[186:187]
	;; [unrolled: 8-line block ×8, first 2 shown]
	ds_read2_b64 v[186:189], v1 offset0:90 offset1:91
	s_waitcnt lgkmcnt(0)
	v_mul_f64 v[40:41], v[188:189], v[194:195]
	v_fma_f64 v[40:41], v[186:187], v[38:39], -v[40:41]
	v_mul_f64 v[186:187], v[186:187], v[194:195]
	v_add_f64 v[2:3], v[2:3], -v[40:41]
	v_fma_f64 v[186:187], v[188:189], v[38:39], v[186:187]
	v_mov_b32_e32 v40, v194
	v_mov_b32_e32 v41, v195
	v_add_f64 v[4:5], v[4:5], -v[186:187]
.LBB90_776:
	s_or_b32 exec_lo, exec_lo, s0
	v_lshl_add_u32 v186, v200, 4, v1
	s_barrier
	buffer_gl0_inv
	v_mov_b32_e32 v194, 37
	ds_write2_b64 v186, v[34:35], v[36:37] offset1:1
	s_waitcnt lgkmcnt(0)
	s_barrier
	buffer_gl0_inv
	ds_read2_b64 v[186:189], v1 offset0:74 offset1:75
	s_cmp_lt_i32 s1, 39
	s_cbranch_scc1 .LBB90_779
; %bb.777:
	v_add3_u32 v195, v196, 0, 0x260
	v_mov_b32_e32 v194, 37
	s_mov_b32 s7, 38
	s_inst_prefetch 0x1
	.p2align	6
.LBB90_778:                             ; =>This Inner Loop Header: Depth=1
	s_waitcnt lgkmcnt(0)
	v_cmp_gt_f64_e32 vcc_lo, 0, v[188:189]
	v_cmp_gt_f64_e64 s0, 0, v[186:187]
	ds_read2_b64 v[201:204], v195 offset1:1
	v_xor_b32_e32 v206, 0x80000000, v187
	v_xor_b32_e32 v208, 0x80000000, v189
	v_mov_b32_e32 v205, v186
	v_mov_b32_e32 v207, v188
	v_add_nc_u32_e32 v195, 16, v195
	s_waitcnt lgkmcnt(0)
	v_xor_b32_e32 v210, 0x80000000, v204
	v_cndmask_b32_e64 v206, v187, v206, s0
	v_cndmask_b32_e32 v208, v189, v208, vcc_lo
	v_cmp_gt_f64_e32 vcc_lo, 0, v[203:204]
	v_cmp_gt_f64_e64 s0, 0, v[201:202]
	v_mov_b32_e32 v209, v203
	v_add_f64 v[205:206], v[205:206], v[207:208]
	v_xor_b32_e32 v208, 0x80000000, v202
	v_mov_b32_e32 v207, v201
	v_cndmask_b32_e32 v210, v204, v210, vcc_lo
	v_cndmask_b32_e64 v208, v202, v208, s0
	v_add_f64 v[207:208], v[207:208], v[209:210]
	v_cmp_lt_f64_e32 vcc_lo, v[205:206], v[207:208]
	v_cndmask_b32_e32 v187, v187, v202, vcc_lo
	v_cndmask_b32_e32 v186, v186, v201, vcc_lo
	;; [unrolled: 1-line block ×4, first 2 shown]
	v_cndmask_b32_e64 v194, v194, s7, vcc_lo
	s_add_i32 s7, s7, 1
	s_cmp_lg_u32 s1, s7
	s_cbranch_scc1 .LBB90_778
.LBB90_779:
	s_inst_prefetch 0x2
	s_waitcnt lgkmcnt(0)
	v_cmp_eq_f64_e32 vcc_lo, 0, v[186:187]
	v_cmp_eq_f64_e64 s0, 0, v[188:189]
	s_and_b32 s0, vcc_lo, s0
	s_and_saveexec_b32 s7, s0
	s_xor_b32 s0, exec_lo, s7
; %bb.780:
	v_cmp_ne_u32_e32 vcc_lo, 0, v199
	v_cndmask_b32_e32 v199, 38, v199, vcc_lo
; %bb.781:
	s_andn2_saveexec_b32 s0, s0
	s_cbranch_execz .LBB90_787
; %bb.782:
	v_cmp_ngt_f64_e64 s7, |v[186:187]|, |v[188:189]|
	s_and_saveexec_b32 s8, s7
	s_xor_b32 s7, exec_lo, s8
	s_cbranch_execz .LBB90_784
; %bb.783:
	v_div_scale_f64 v[201:202], null, v[188:189], v[188:189], v[186:187]
	v_div_scale_f64 v[207:208], vcc_lo, v[186:187], v[188:189], v[186:187]
	v_rcp_f64_e32 v[203:204], v[201:202]
	v_fma_f64 v[205:206], -v[201:202], v[203:204], 1.0
	v_fma_f64 v[203:204], v[203:204], v[205:206], v[203:204]
	v_fma_f64 v[205:206], -v[201:202], v[203:204], 1.0
	v_fma_f64 v[203:204], v[203:204], v[205:206], v[203:204]
	v_mul_f64 v[205:206], v[207:208], v[203:204]
	v_fma_f64 v[201:202], -v[201:202], v[205:206], v[207:208]
	v_div_fmas_f64 v[201:202], v[201:202], v[203:204], v[205:206]
	v_div_fixup_f64 v[201:202], v[201:202], v[188:189], v[186:187]
	v_fma_f64 v[186:187], v[186:187], v[201:202], v[188:189]
	v_div_scale_f64 v[188:189], null, v[186:187], v[186:187], 1.0
	v_rcp_f64_e32 v[203:204], v[188:189]
	v_fma_f64 v[205:206], -v[188:189], v[203:204], 1.0
	v_fma_f64 v[203:204], v[203:204], v[205:206], v[203:204]
	v_fma_f64 v[205:206], -v[188:189], v[203:204], 1.0
	v_fma_f64 v[203:204], v[203:204], v[205:206], v[203:204]
	v_div_scale_f64 v[205:206], vcc_lo, 1.0, v[186:187], 1.0
	v_mul_f64 v[207:208], v[205:206], v[203:204]
	v_fma_f64 v[188:189], -v[188:189], v[207:208], v[205:206]
	v_div_fmas_f64 v[188:189], v[188:189], v[203:204], v[207:208]
	v_div_fixup_f64 v[188:189], v[188:189], v[186:187], 1.0
	v_mul_f64 v[186:187], v[201:202], v[188:189]
	v_xor_b32_e32 v189, 0x80000000, v189
.LBB90_784:
	s_andn2_saveexec_b32 s7, s7
	s_cbranch_execz .LBB90_786
; %bb.785:
	v_div_scale_f64 v[201:202], null, v[186:187], v[186:187], v[188:189]
	v_div_scale_f64 v[207:208], vcc_lo, v[188:189], v[186:187], v[188:189]
	v_rcp_f64_e32 v[203:204], v[201:202]
	v_fma_f64 v[205:206], -v[201:202], v[203:204], 1.0
	v_fma_f64 v[203:204], v[203:204], v[205:206], v[203:204]
	v_fma_f64 v[205:206], -v[201:202], v[203:204], 1.0
	v_fma_f64 v[203:204], v[203:204], v[205:206], v[203:204]
	v_mul_f64 v[205:206], v[207:208], v[203:204]
	v_fma_f64 v[201:202], -v[201:202], v[205:206], v[207:208]
	v_div_fmas_f64 v[201:202], v[201:202], v[203:204], v[205:206]
	v_div_fixup_f64 v[201:202], v[201:202], v[186:187], v[188:189]
	v_fma_f64 v[186:187], v[188:189], v[201:202], v[186:187]
	v_div_scale_f64 v[188:189], null, v[186:187], v[186:187], 1.0
	v_rcp_f64_e32 v[203:204], v[188:189]
	v_fma_f64 v[205:206], -v[188:189], v[203:204], 1.0
	v_fma_f64 v[203:204], v[203:204], v[205:206], v[203:204]
	v_fma_f64 v[205:206], -v[188:189], v[203:204], 1.0
	v_fma_f64 v[203:204], v[203:204], v[205:206], v[203:204]
	v_div_scale_f64 v[205:206], vcc_lo, 1.0, v[186:187], 1.0
	v_mul_f64 v[207:208], v[205:206], v[203:204]
	v_fma_f64 v[188:189], -v[188:189], v[207:208], v[205:206]
	v_div_fmas_f64 v[188:189], v[188:189], v[203:204], v[207:208]
	v_div_fixup_f64 v[186:187], v[188:189], v[186:187], 1.0
	v_mul_f64 v[188:189], v[201:202], -v[186:187]
.LBB90_786:
	s_or_b32 exec_lo, exec_lo, s7
.LBB90_787:
	s_or_b32 exec_lo, exec_lo, s0
	s_mov_b32 s0, exec_lo
	v_cmpx_ne_u32_e64 v200, v194
	s_xor_b32 s0, exec_lo, s0
	s_cbranch_execz .LBB90_793
; %bb.788:
	s_mov_b32 s7, exec_lo
	v_cmpx_eq_u32_e32 37, v200
	s_cbranch_execz .LBB90_792
; %bb.789:
	v_cmp_ne_u32_e32 vcc_lo, 37, v194
	s_xor_b32 s8, s16, -1
	s_and_b32 s9, s8, vcc_lo
	s_and_saveexec_b32 s8, s9
	s_cbranch_execz .LBB90_791
; %bb.790:
	v_ashrrev_i32_e32 v195, 31, v194
	v_lshlrev_b64 v[200:201], 2, v[194:195]
	v_add_co_u32 v200, vcc_lo, v192, v200
	v_add_co_ci_u32_e64 v201, null, v193, v201, vcc_lo
	s_clause 0x1
	global_load_dword v0, v[200:201], off
	global_load_dword v195, v[192:193], off offset:148
	s_waitcnt vmcnt(1)
	global_store_dword v[192:193], v0, off offset:148
	s_waitcnt vmcnt(0)
	global_store_dword v[200:201], v195, off
.LBB90_791:
	s_or_b32 exec_lo, exec_lo, s8
	v_mov_b32_e32 v200, v194
	v_mov_b32_e32 v0, v194
.LBB90_792:
	s_or_b32 exec_lo, exec_lo, s7
.LBB90_793:
	s_andn2_saveexec_b32 s0, s0
	s_cbranch_execz .LBB90_795
; %bb.794:
	v_mov_b32_e32 v200, 37
	ds_write2_b64 v1, v[30:31], v[32:33] offset0:76 offset1:77
	ds_write2_b64 v1, v[26:27], v[28:29] offset0:78 offset1:79
	;; [unrolled: 1-line block ×8, first 2 shown]
.LBB90_795:
	s_or_b32 exec_lo, exec_lo, s0
	s_mov_b32 s0, exec_lo
	s_waitcnt lgkmcnt(0)
	s_waitcnt_vscnt null, 0x0
	s_barrier
	buffer_gl0_inv
	v_cmpx_lt_i32_e32 37, v200
	s_cbranch_execz .LBB90_797
; %bb.796:
	v_mul_f64 v[194:195], v[186:187], v[36:37]
	v_mul_f64 v[36:37], v[188:189], v[36:37]
	v_fma_f64 v[194:195], v[188:189], v[34:35], v[194:195]
	v_fma_f64 v[34:35], v[186:187], v[34:35], -v[36:37]
	ds_read2_b64 v[186:189], v1 offset0:76 offset1:77
	s_waitcnt lgkmcnt(0)
	v_mul_f64 v[36:37], v[188:189], v[194:195]
	v_fma_f64 v[36:37], v[186:187], v[34:35], -v[36:37]
	v_mul_f64 v[186:187], v[186:187], v[194:195]
	v_add_f64 v[30:31], v[30:31], -v[36:37]
	v_fma_f64 v[186:187], v[188:189], v[34:35], v[186:187]
	v_add_f64 v[32:33], v[32:33], -v[186:187]
	ds_read2_b64 v[186:189], v1 offset0:78 offset1:79
	s_waitcnt lgkmcnt(0)
	v_mul_f64 v[36:37], v[188:189], v[194:195]
	v_fma_f64 v[36:37], v[186:187], v[34:35], -v[36:37]
	v_mul_f64 v[186:187], v[186:187], v[194:195]
	v_add_f64 v[26:27], v[26:27], -v[36:37]
	v_fma_f64 v[186:187], v[188:189], v[34:35], v[186:187]
	v_add_f64 v[28:29], v[28:29], -v[186:187]
	;; [unrolled: 8-line block ×7, first 2 shown]
	ds_read2_b64 v[186:189], v1 offset0:90 offset1:91
	s_waitcnt lgkmcnt(0)
	v_mul_f64 v[36:37], v[188:189], v[194:195]
	v_fma_f64 v[36:37], v[186:187], v[34:35], -v[36:37]
	v_mul_f64 v[186:187], v[186:187], v[194:195]
	v_add_f64 v[2:3], v[2:3], -v[36:37]
	v_fma_f64 v[186:187], v[188:189], v[34:35], v[186:187]
	v_mov_b32_e32 v36, v194
	v_mov_b32_e32 v37, v195
	v_add_f64 v[4:5], v[4:5], -v[186:187]
.LBB90_797:
	s_or_b32 exec_lo, exec_lo, s0
	v_lshl_add_u32 v186, v200, 4, v1
	s_barrier
	buffer_gl0_inv
	v_mov_b32_e32 v194, 38
	ds_write2_b64 v186, v[30:31], v[32:33] offset1:1
	s_waitcnt lgkmcnt(0)
	s_barrier
	buffer_gl0_inv
	ds_read2_b64 v[186:189], v1 offset0:76 offset1:77
	s_cmp_lt_i32 s1, 40
	s_cbranch_scc1 .LBB90_800
; %bb.798:
	v_add3_u32 v195, v196, 0, 0x270
	v_mov_b32_e32 v194, 38
	s_mov_b32 s7, 39
	s_inst_prefetch 0x1
	.p2align	6
.LBB90_799:                             ; =>This Inner Loop Header: Depth=1
	s_waitcnt lgkmcnt(0)
	v_cmp_gt_f64_e32 vcc_lo, 0, v[188:189]
	v_cmp_gt_f64_e64 s0, 0, v[186:187]
	ds_read2_b64 v[201:204], v195 offset1:1
	v_xor_b32_e32 v206, 0x80000000, v187
	v_xor_b32_e32 v208, 0x80000000, v189
	v_mov_b32_e32 v205, v186
	v_mov_b32_e32 v207, v188
	v_add_nc_u32_e32 v195, 16, v195
	s_waitcnt lgkmcnt(0)
	v_xor_b32_e32 v210, 0x80000000, v204
	v_cndmask_b32_e64 v206, v187, v206, s0
	v_cndmask_b32_e32 v208, v189, v208, vcc_lo
	v_cmp_gt_f64_e32 vcc_lo, 0, v[203:204]
	v_cmp_gt_f64_e64 s0, 0, v[201:202]
	v_mov_b32_e32 v209, v203
	v_add_f64 v[205:206], v[205:206], v[207:208]
	v_xor_b32_e32 v208, 0x80000000, v202
	v_mov_b32_e32 v207, v201
	v_cndmask_b32_e32 v210, v204, v210, vcc_lo
	v_cndmask_b32_e64 v208, v202, v208, s0
	v_add_f64 v[207:208], v[207:208], v[209:210]
	v_cmp_lt_f64_e32 vcc_lo, v[205:206], v[207:208]
	v_cndmask_b32_e32 v187, v187, v202, vcc_lo
	v_cndmask_b32_e32 v186, v186, v201, vcc_lo
	;; [unrolled: 1-line block ×4, first 2 shown]
	v_cndmask_b32_e64 v194, v194, s7, vcc_lo
	s_add_i32 s7, s7, 1
	s_cmp_lg_u32 s1, s7
	s_cbranch_scc1 .LBB90_799
.LBB90_800:
	s_inst_prefetch 0x2
	s_waitcnt lgkmcnt(0)
	v_cmp_eq_f64_e32 vcc_lo, 0, v[186:187]
	v_cmp_eq_f64_e64 s0, 0, v[188:189]
	s_and_b32 s0, vcc_lo, s0
	s_and_saveexec_b32 s7, s0
	s_xor_b32 s0, exec_lo, s7
; %bb.801:
	v_cmp_ne_u32_e32 vcc_lo, 0, v199
	v_cndmask_b32_e32 v199, 39, v199, vcc_lo
; %bb.802:
	s_andn2_saveexec_b32 s0, s0
	s_cbranch_execz .LBB90_808
; %bb.803:
	v_cmp_ngt_f64_e64 s7, |v[186:187]|, |v[188:189]|
	s_and_saveexec_b32 s8, s7
	s_xor_b32 s7, exec_lo, s8
	s_cbranch_execz .LBB90_805
; %bb.804:
	v_div_scale_f64 v[201:202], null, v[188:189], v[188:189], v[186:187]
	v_div_scale_f64 v[207:208], vcc_lo, v[186:187], v[188:189], v[186:187]
	v_rcp_f64_e32 v[203:204], v[201:202]
	v_fma_f64 v[205:206], -v[201:202], v[203:204], 1.0
	v_fma_f64 v[203:204], v[203:204], v[205:206], v[203:204]
	v_fma_f64 v[205:206], -v[201:202], v[203:204], 1.0
	v_fma_f64 v[203:204], v[203:204], v[205:206], v[203:204]
	v_mul_f64 v[205:206], v[207:208], v[203:204]
	v_fma_f64 v[201:202], -v[201:202], v[205:206], v[207:208]
	v_div_fmas_f64 v[201:202], v[201:202], v[203:204], v[205:206]
	v_div_fixup_f64 v[201:202], v[201:202], v[188:189], v[186:187]
	v_fma_f64 v[186:187], v[186:187], v[201:202], v[188:189]
	v_div_scale_f64 v[188:189], null, v[186:187], v[186:187], 1.0
	v_rcp_f64_e32 v[203:204], v[188:189]
	v_fma_f64 v[205:206], -v[188:189], v[203:204], 1.0
	v_fma_f64 v[203:204], v[203:204], v[205:206], v[203:204]
	v_fma_f64 v[205:206], -v[188:189], v[203:204], 1.0
	v_fma_f64 v[203:204], v[203:204], v[205:206], v[203:204]
	v_div_scale_f64 v[205:206], vcc_lo, 1.0, v[186:187], 1.0
	v_mul_f64 v[207:208], v[205:206], v[203:204]
	v_fma_f64 v[188:189], -v[188:189], v[207:208], v[205:206]
	v_div_fmas_f64 v[188:189], v[188:189], v[203:204], v[207:208]
	v_div_fixup_f64 v[188:189], v[188:189], v[186:187], 1.0
	v_mul_f64 v[186:187], v[201:202], v[188:189]
	v_xor_b32_e32 v189, 0x80000000, v189
.LBB90_805:
	s_andn2_saveexec_b32 s7, s7
	s_cbranch_execz .LBB90_807
; %bb.806:
	v_div_scale_f64 v[201:202], null, v[186:187], v[186:187], v[188:189]
	v_div_scale_f64 v[207:208], vcc_lo, v[188:189], v[186:187], v[188:189]
	v_rcp_f64_e32 v[203:204], v[201:202]
	v_fma_f64 v[205:206], -v[201:202], v[203:204], 1.0
	v_fma_f64 v[203:204], v[203:204], v[205:206], v[203:204]
	v_fma_f64 v[205:206], -v[201:202], v[203:204], 1.0
	v_fma_f64 v[203:204], v[203:204], v[205:206], v[203:204]
	v_mul_f64 v[205:206], v[207:208], v[203:204]
	v_fma_f64 v[201:202], -v[201:202], v[205:206], v[207:208]
	v_div_fmas_f64 v[201:202], v[201:202], v[203:204], v[205:206]
	v_div_fixup_f64 v[201:202], v[201:202], v[186:187], v[188:189]
	v_fma_f64 v[186:187], v[188:189], v[201:202], v[186:187]
	v_div_scale_f64 v[188:189], null, v[186:187], v[186:187], 1.0
	v_rcp_f64_e32 v[203:204], v[188:189]
	v_fma_f64 v[205:206], -v[188:189], v[203:204], 1.0
	v_fma_f64 v[203:204], v[203:204], v[205:206], v[203:204]
	v_fma_f64 v[205:206], -v[188:189], v[203:204], 1.0
	v_fma_f64 v[203:204], v[203:204], v[205:206], v[203:204]
	v_div_scale_f64 v[205:206], vcc_lo, 1.0, v[186:187], 1.0
	v_mul_f64 v[207:208], v[205:206], v[203:204]
	v_fma_f64 v[188:189], -v[188:189], v[207:208], v[205:206]
	v_div_fmas_f64 v[188:189], v[188:189], v[203:204], v[207:208]
	v_div_fixup_f64 v[186:187], v[188:189], v[186:187], 1.0
	v_mul_f64 v[188:189], v[201:202], -v[186:187]
.LBB90_807:
	s_or_b32 exec_lo, exec_lo, s7
.LBB90_808:
	s_or_b32 exec_lo, exec_lo, s0
	s_mov_b32 s0, exec_lo
	v_cmpx_ne_u32_e64 v200, v194
	s_xor_b32 s0, exec_lo, s0
	s_cbranch_execz .LBB90_814
; %bb.809:
	s_mov_b32 s7, exec_lo
	v_cmpx_eq_u32_e32 38, v200
	s_cbranch_execz .LBB90_813
; %bb.810:
	v_cmp_ne_u32_e32 vcc_lo, 38, v194
	s_xor_b32 s8, s16, -1
	s_and_b32 s9, s8, vcc_lo
	s_and_saveexec_b32 s8, s9
	s_cbranch_execz .LBB90_812
; %bb.811:
	v_ashrrev_i32_e32 v195, 31, v194
	v_lshlrev_b64 v[200:201], 2, v[194:195]
	v_add_co_u32 v200, vcc_lo, v192, v200
	v_add_co_ci_u32_e64 v201, null, v193, v201, vcc_lo
	s_clause 0x1
	global_load_dword v0, v[200:201], off
	global_load_dword v195, v[192:193], off offset:152
	s_waitcnt vmcnt(1)
	global_store_dword v[192:193], v0, off offset:152
	s_waitcnt vmcnt(0)
	global_store_dword v[200:201], v195, off
.LBB90_812:
	s_or_b32 exec_lo, exec_lo, s8
	v_mov_b32_e32 v200, v194
	v_mov_b32_e32 v0, v194
.LBB90_813:
	s_or_b32 exec_lo, exec_lo, s7
.LBB90_814:
	s_andn2_saveexec_b32 s0, s0
	s_cbranch_execz .LBB90_816
; %bb.815:
	v_mov_b32_e32 v200, 38
	ds_write2_b64 v1, v[26:27], v[28:29] offset0:78 offset1:79
	ds_write2_b64 v1, v[22:23], v[24:25] offset0:80 offset1:81
	;; [unrolled: 1-line block ×7, first 2 shown]
.LBB90_816:
	s_or_b32 exec_lo, exec_lo, s0
	s_mov_b32 s0, exec_lo
	s_waitcnt lgkmcnt(0)
	s_waitcnt_vscnt null, 0x0
	s_barrier
	buffer_gl0_inv
	v_cmpx_lt_i32_e32 38, v200
	s_cbranch_execz .LBB90_818
; %bb.817:
	v_mul_f64 v[194:195], v[186:187], v[32:33]
	v_mul_f64 v[32:33], v[188:189], v[32:33]
	ds_read2_b64 v[201:204], v1 offset0:78 offset1:79
	ds_read2_b64 v[205:208], v1 offset0:80 offset1:81
	;; [unrolled: 1-line block ×7, first 2 shown]
	v_fma_f64 v[188:189], v[188:189], v[30:31], v[194:195]
	v_fma_f64 v[30:31], v[186:187], v[30:31], -v[32:33]
	s_waitcnt lgkmcnt(6)
	v_mul_f64 v[32:33], v[203:204], v[188:189]
	v_mul_f64 v[186:187], v[201:202], v[188:189]
	s_waitcnt lgkmcnt(5)
	v_mul_f64 v[194:195], v[207:208], v[188:189]
	v_mul_f64 v[229:230], v[205:206], v[188:189]
	;; [unrolled: 3-line block ×7, first 2 shown]
	v_fma_f64 v[32:33], v[201:202], v[30:31], -v[32:33]
	v_fma_f64 v[186:187], v[203:204], v[30:31], v[186:187]
	v_fma_f64 v[194:195], v[205:206], v[30:31], -v[194:195]
	v_fma_f64 v[201:202], v[207:208], v[30:31], v[229:230]
	;; [unrolled: 2-line block ×7, first 2 shown]
	v_add_f64 v[26:27], v[26:27], -v[32:33]
	v_add_f64 v[28:29], v[28:29], -v[186:187]
	;; [unrolled: 1-line block ×14, first 2 shown]
	v_mov_b32_e32 v32, v188
	v_mov_b32_e32 v33, v189
.LBB90_818:
	s_or_b32 exec_lo, exec_lo, s0
	v_lshl_add_u32 v186, v200, 4, v1
	s_barrier
	buffer_gl0_inv
	v_mov_b32_e32 v194, 39
	ds_write2_b64 v186, v[26:27], v[28:29] offset1:1
	s_waitcnt lgkmcnt(0)
	s_barrier
	buffer_gl0_inv
	ds_read2_b64 v[186:189], v1 offset0:78 offset1:79
	s_cmp_lt_i32 s1, 41
	s_cbranch_scc1 .LBB90_821
; %bb.819:
	v_add3_u32 v195, v196, 0, 0x280
	v_mov_b32_e32 v194, 39
	s_mov_b32 s7, 40
	s_inst_prefetch 0x1
	.p2align	6
.LBB90_820:                             ; =>This Inner Loop Header: Depth=1
	s_waitcnt lgkmcnt(0)
	v_cmp_gt_f64_e32 vcc_lo, 0, v[188:189]
	v_cmp_gt_f64_e64 s0, 0, v[186:187]
	ds_read2_b64 v[201:204], v195 offset1:1
	v_xor_b32_e32 v206, 0x80000000, v187
	v_xor_b32_e32 v208, 0x80000000, v189
	v_mov_b32_e32 v205, v186
	v_mov_b32_e32 v207, v188
	v_add_nc_u32_e32 v195, 16, v195
	s_waitcnt lgkmcnt(0)
	v_xor_b32_e32 v210, 0x80000000, v204
	v_cndmask_b32_e64 v206, v187, v206, s0
	v_cndmask_b32_e32 v208, v189, v208, vcc_lo
	v_cmp_gt_f64_e32 vcc_lo, 0, v[203:204]
	v_cmp_gt_f64_e64 s0, 0, v[201:202]
	v_mov_b32_e32 v209, v203
	v_add_f64 v[205:206], v[205:206], v[207:208]
	v_xor_b32_e32 v208, 0x80000000, v202
	v_mov_b32_e32 v207, v201
	v_cndmask_b32_e32 v210, v204, v210, vcc_lo
	v_cndmask_b32_e64 v208, v202, v208, s0
	v_add_f64 v[207:208], v[207:208], v[209:210]
	v_cmp_lt_f64_e32 vcc_lo, v[205:206], v[207:208]
	v_cndmask_b32_e32 v187, v187, v202, vcc_lo
	v_cndmask_b32_e32 v186, v186, v201, vcc_lo
	;; [unrolled: 1-line block ×4, first 2 shown]
	v_cndmask_b32_e64 v194, v194, s7, vcc_lo
	s_add_i32 s7, s7, 1
	s_cmp_lg_u32 s1, s7
	s_cbranch_scc1 .LBB90_820
.LBB90_821:
	s_inst_prefetch 0x2
	s_waitcnt lgkmcnt(0)
	v_cmp_eq_f64_e32 vcc_lo, 0, v[186:187]
	v_cmp_eq_f64_e64 s0, 0, v[188:189]
	s_and_b32 s0, vcc_lo, s0
	s_and_saveexec_b32 s7, s0
	s_xor_b32 s0, exec_lo, s7
; %bb.822:
	v_cmp_ne_u32_e32 vcc_lo, 0, v199
	v_cndmask_b32_e32 v199, 40, v199, vcc_lo
; %bb.823:
	s_andn2_saveexec_b32 s0, s0
	s_cbranch_execz .LBB90_829
; %bb.824:
	v_cmp_ngt_f64_e64 s7, |v[186:187]|, |v[188:189]|
	s_and_saveexec_b32 s8, s7
	s_xor_b32 s7, exec_lo, s8
	s_cbranch_execz .LBB90_826
; %bb.825:
	v_div_scale_f64 v[201:202], null, v[188:189], v[188:189], v[186:187]
	v_div_scale_f64 v[207:208], vcc_lo, v[186:187], v[188:189], v[186:187]
	v_rcp_f64_e32 v[203:204], v[201:202]
	v_fma_f64 v[205:206], -v[201:202], v[203:204], 1.0
	v_fma_f64 v[203:204], v[203:204], v[205:206], v[203:204]
	v_fma_f64 v[205:206], -v[201:202], v[203:204], 1.0
	v_fma_f64 v[203:204], v[203:204], v[205:206], v[203:204]
	v_mul_f64 v[205:206], v[207:208], v[203:204]
	v_fma_f64 v[201:202], -v[201:202], v[205:206], v[207:208]
	v_div_fmas_f64 v[201:202], v[201:202], v[203:204], v[205:206]
	v_div_fixup_f64 v[201:202], v[201:202], v[188:189], v[186:187]
	v_fma_f64 v[186:187], v[186:187], v[201:202], v[188:189]
	v_div_scale_f64 v[188:189], null, v[186:187], v[186:187], 1.0
	v_rcp_f64_e32 v[203:204], v[188:189]
	v_fma_f64 v[205:206], -v[188:189], v[203:204], 1.0
	v_fma_f64 v[203:204], v[203:204], v[205:206], v[203:204]
	v_fma_f64 v[205:206], -v[188:189], v[203:204], 1.0
	v_fma_f64 v[203:204], v[203:204], v[205:206], v[203:204]
	v_div_scale_f64 v[205:206], vcc_lo, 1.0, v[186:187], 1.0
	v_mul_f64 v[207:208], v[205:206], v[203:204]
	v_fma_f64 v[188:189], -v[188:189], v[207:208], v[205:206]
	v_div_fmas_f64 v[188:189], v[188:189], v[203:204], v[207:208]
	v_div_fixup_f64 v[188:189], v[188:189], v[186:187], 1.0
	v_mul_f64 v[186:187], v[201:202], v[188:189]
	v_xor_b32_e32 v189, 0x80000000, v189
.LBB90_826:
	s_andn2_saveexec_b32 s7, s7
	s_cbranch_execz .LBB90_828
; %bb.827:
	v_div_scale_f64 v[201:202], null, v[186:187], v[186:187], v[188:189]
	v_div_scale_f64 v[207:208], vcc_lo, v[188:189], v[186:187], v[188:189]
	v_rcp_f64_e32 v[203:204], v[201:202]
	v_fma_f64 v[205:206], -v[201:202], v[203:204], 1.0
	v_fma_f64 v[203:204], v[203:204], v[205:206], v[203:204]
	v_fma_f64 v[205:206], -v[201:202], v[203:204], 1.0
	v_fma_f64 v[203:204], v[203:204], v[205:206], v[203:204]
	v_mul_f64 v[205:206], v[207:208], v[203:204]
	v_fma_f64 v[201:202], -v[201:202], v[205:206], v[207:208]
	v_div_fmas_f64 v[201:202], v[201:202], v[203:204], v[205:206]
	v_div_fixup_f64 v[201:202], v[201:202], v[186:187], v[188:189]
	v_fma_f64 v[186:187], v[188:189], v[201:202], v[186:187]
	v_div_scale_f64 v[188:189], null, v[186:187], v[186:187], 1.0
	v_rcp_f64_e32 v[203:204], v[188:189]
	v_fma_f64 v[205:206], -v[188:189], v[203:204], 1.0
	v_fma_f64 v[203:204], v[203:204], v[205:206], v[203:204]
	v_fma_f64 v[205:206], -v[188:189], v[203:204], 1.0
	v_fma_f64 v[203:204], v[203:204], v[205:206], v[203:204]
	v_div_scale_f64 v[205:206], vcc_lo, 1.0, v[186:187], 1.0
	v_mul_f64 v[207:208], v[205:206], v[203:204]
	v_fma_f64 v[188:189], -v[188:189], v[207:208], v[205:206]
	v_div_fmas_f64 v[188:189], v[188:189], v[203:204], v[207:208]
	v_div_fixup_f64 v[186:187], v[188:189], v[186:187], 1.0
	v_mul_f64 v[188:189], v[201:202], -v[186:187]
.LBB90_828:
	s_or_b32 exec_lo, exec_lo, s7
.LBB90_829:
	s_or_b32 exec_lo, exec_lo, s0
	s_mov_b32 s0, exec_lo
	v_cmpx_ne_u32_e64 v200, v194
	s_xor_b32 s0, exec_lo, s0
	s_cbranch_execz .LBB90_835
; %bb.830:
	s_mov_b32 s7, exec_lo
	v_cmpx_eq_u32_e32 39, v200
	s_cbranch_execz .LBB90_834
; %bb.831:
	v_cmp_ne_u32_e32 vcc_lo, 39, v194
	s_xor_b32 s8, s16, -1
	s_and_b32 s9, s8, vcc_lo
	s_and_saveexec_b32 s8, s9
	s_cbranch_execz .LBB90_833
; %bb.832:
	v_ashrrev_i32_e32 v195, 31, v194
	v_lshlrev_b64 v[200:201], 2, v[194:195]
	v_add_co_u32 v200, vcc_lo, v192, v200
	v_add_co_ci_u32_e64 v201, null, v193, v201, vcc_lo
	s_clause 0x1
	global_load_dword v0, v[200:201], off
	global_load_dword v195, v[192:193], off offset:156
	s_waitcnt vmcnt(1)
	global_store_dword v[192:193], v0, off offset:156
	s_waitcnt vmcnt(0)
	global_store_dword v[200:201], v195, off
.LBB90_833:
	s_or_b32 exec_lo, exec_lo, s8
	v_mov_b32_e32 v200, v194
	v_mov_b32_e32 v0, v194
.LBB90_834:
	s_or_b32 exec_lo, exec_lo, s7
.LBB90_835:
	s_andn2_saveexec_b32 s0, s0
	s_cbranch_execz .LBB90_837
; %bb.836:
	v_mov_b32_e32 v200, 39
	ds_write2_b64 v1, v[22:23], v[24:25] offset0:80 offset1:81
	ds_write2_b64 v1, v[18:19], v[20:21] offset0:82 offset1:83
	;; [unrolled: 1-line block ×6, first 2 shown]
.LBB90_837:
	s_or_b32 exec_lo, exec_lo, s0
	s_mov_b32 s0, exec_lo
	s_waitcnt lgkmcnt(0)
	s_waitcnt_vscnt null, 0x0
	s_barrier
	buffer_gl0_inv
	v_cmpx_lt_i32_e32 39, v200
	s_cbranch_execz .LBB90_839
; %bb.838:
	v_mul_f64 v[194:195], v[186:187], v[28:29]
	v_mul_f64 v[28:29], v[188:189], v[28:29]
	ds_read2_b64 v[201:204], v1 offset0:80 offset1:81
	ds_read2_b64 v[205:208], v1 offset0:82 offset1:83
	;; [unrolled: 1-line block ×6, first 2 shown]
	v_fma_f64 v[188:189], v[188:189], v[26:27], v[194:195]
	v_fma_f64 v[26:27], v[186:187], v[26:27], -v[28:29]
	s_waitcnt lgkmcnt(5)
	v_mul_f64 v[28:29], v[203:204], v[188:189]
	v_mul_f64 v[186:187], v[201:202], v[188:189]
	s_waitcnt lgkmcnt(4)
	v_mul_f64 v[194:195], v[207:208], v[188:189]
	v_mul_f64 v[225:226], v[205:206], v[188:189]
	;; [unrolled: 3-line block ×6, first 2 shown]
	v_fma_f64 v[28:29], v[201:202], v[26:27], -v[28:29]
	v_fma_f64 v[186:187], v[203:204], v[26:27], v[186:187]
	v_fma_f64 v[194:195], v[205:206], v[26:27], -v[194:195]
	v_fma_f64 v[201:202], v[207:208], v[26:27], v[225:226]
	;; [unrolled: 2-line block ×6, first 2 shown]
	v_add_f64 v[22:23], v[22:23], -v[28:29]
	v_add_f64 v[24:25], v[24:25], -v[186:187]
	;; [unrolled: 1-line block ×12, first 2 shown]
	v_mov_b32_e32 v28, v188
	v_mov_b32_e32 v29, v189
.LBB90_839:
	s_or_b32 exec_lo, exec_lo, s0
	v_lshl_add_u32 v186, v200, 4, v1
	s_barrier
	buffer_gl0_inv
	v_mov_b32_e32 v194, 40
	ds_write2_b64 v186, v[22:23], v[24:25] offset1:1
	s_waitcnt lgkmcnt(0)
	s_barrier
	buffer_gl0_inv
	ds_read2_b64 v[186:189], v1 offset0:80 offset1:81
	s_cmp_lt_i32 s1, 42
	s_cbranch_scc1 .LBB90_842
; %bb.840:
	v_add3_u32 v195, v196, 0, 0x290
	v_mov_b32_e32 v194, 40
	s_mov_b32 s7, 41
	s_inst_prefetch 0x1
	.p2align	6
.LBB90_841:                             ; =>This Inner Loop Header: Depth=1
	s_waitcnt lgkmcnt(0)
	v_cmp_gt_f64_e32 vcc_lo, 0, v[188:189]
	v_cmp_gt_f64_e64 s0, 0, v[186:187]
	ds_read2_b64 v[201:204], v195 offset1:1
	v_xor_b32_e32 v206, 0x80000000, v187
	v_xor_b32_e32 v208, 0x80000000, v189
	v_mov_b32_e32 v205, v186
	v_mov_b32_e32 v207, v188
	v_add_nc_u32_e32 v195, 16, v195
	s_waitcnt lgkmcnt(0)
	v_xor_b32_e32 v210, 0x80000000, v204
	v_cndmask_b32_e64 v206, v187, v206, s0
	v_cndmask_b32_e32 v208, v189, v208, vcc_lo
	v_cmp_gt_f64_e32 vcc_lo, 0, v[203:204]
	v_cmp_gt_f64_e64 s0, 0, v[201:202]
	v_mov_b32_e32 v209, v203
	v_add_f64 v[205:206], v[205:206], v[207:208]
	v_xor_b32_e32 v208, 0x80000000, v202
	v_mov_b32_e32 v207, v201
	v_cndmask_b32_e32 v210, v204, v210, vcc_lo
	v_cndmask_b32_e64 v208, v202, v208, s0
	v_add_f64 v[207:208], v[207:208], v[209:210]
	v_cmp_lt_f64_e32 vcc_lo, v[205:206], v[207:208]
	v_cndmask_b32_e32 v187, v187, v202, vcc_lo
	v_cndmask_b32_e32 v186, v186, v201, vcc_lo
	;; [unrolled: 1-line block ×4, first 2 shown]
	v_cndmask_b32_e64 v194, v194, s7, vcc_lo
	s_add_i32 s7, s7, 1
	s_cmp_lg_u32 s1, s7
	s_cbranch_scc1 .LBB90_841
.LBB90_842:
	s_inst_prefetch 0x2
	s_waitcnt lgkmcnt(0)
	v_cmp_eq_f64_e32 vcc_lo, 0, v[186:187]
	v_cmp_eq_f64_e64 s0, 0, v[188:189]
	s_and_b32 s0, vcc_lo, s0
	s_and_saveexec_b32 s7, s0
	s_xor_b32 s0, exec_lo, s7
; %bb.843:
	v_cmp_ne_u32_e32 vcc_lo, 0, v199
	v_cndmask_b32_e32 v199, 41, v199, vcc_lo
; %bb.844:
	s_andn2_saveexec_b32 s0, s0
	s_cbranch_execz .LBB90_850
; %bb.845:
	v_cmp_ngt_f64_e64 s7, |v[186:187]|, |v[188:189]|
	s_and_saveexec_b32 s8, s7
	s_xor_b32 s7, exec_lo, s8
	s_cbranch_execz .LBB90_847
; %bb.846:
	v_div_scale_f64 v[201:202], null, v[188:189], v[188:189], v[186:187]
	v_div_scale_f64 v[207:208], vcc_lo, v[186:187], v[188:189], v[186:187]
	v_rcp_f64_e32 v[203:204], v[201:202]
	v_fma_f64 v[205:206], -v[201:202], v[203:204], 1.0
	v_fma_f64 v[203:204], v[203:204], v[205:206], v[203:204]
	v_fma_f64 v[205:206], -v[201:202], v[203:204], 1.0
	v_fma_f64 v[203:204], v[203:204], v[205:206], v[203:204]
	v_mul_f64 v[205:206], v[207:208], v[203:204]
	v_fma_f64 v[201:202], -v[201:202], v[205:206], v[207:208]
	v_div_fmas_f64 v[201:202], v[201:202], v[203:204], v[205:206]
	v_div_fixup_f64 v[201:202], v[201:202], v[188:189], v[186:187]
	v_fma_f64 v[186:187], v[186:187], v[201:202], v[188:189]
	v_div_scale_f64 v[188:189], null, v[186:187], v[186:187], 1.0
	v_rcp_f64_e32 v[203:204], v[188:189]
	v_fma_f64 v[205:206], -v[188:189], v[203:204], 1.0
	v_fma_f64 v[203:204], v[203:204], v[205:206], v[203:204]
	v_fma_f64 v[205:206], -v[188:189], v[203:204], 1.0
	v_fma_f64 v[203:204], v[203:204], v[205:206], v[203:204]
	v_div_scale_f64 v[205:206], vcc_lo, 1.0, v[186:187], 1.0
	v_mul_f64 v[207:208], v[205:206], v[203:204]
	v_fma_f64 v[188:189], -v[188:189], v[207:208], v[205:206]
	v_div_fmas_f64 v[188:189], v[188:189], v[203:204], v[207:208]
	v_div_fixup_f64 v[188:189], v[188:189], v[186:187], 1.0
	v_mul_f64 v[186:187], v[201:202], v[188:189]
	v_xor_b32_e32 v189, 0x80000000, v189
.LBB90_847:
	s_andn2_saveexec_b32 s7, s7
	s_cbranch_execz .LBB90_849
; %bb.848:
	v_div_scale_f64 v[201:202], null, v[186:187], v[186:187], v[188:189]
	v_div_scale_f64 v[207:208], vcc_lo, v[188:189], v[186:187], v[188:189]
	v_rcp_f64_e32 v[203:204], v[201:202]
	v_fma_f64 v[205:206], -v[201:202], v[203:204], 1.0
	v_fma_f64 v[203:204], v[203:204], v[205:206], v[203:204]
	v_fma_f64 v[205:206], -v[201:202], v[203:204], 1.0
	v_fma_f64 v[203:204], v[203:204], v[205:206], v[203:204]
	v_mul_f64 v[205:206], v[207:208], v[203:204]
	v_fma_f64 v[201:202], -v[201:202], v[205:206], v[207:208]
	v_div_fmas_f64 v[201:202], v[201:202], v[203:204], v[205:206]
	v_div_fixup_f64 v[201:202], v[201:202], v[186:187], v[188:189]
	v_fma_f64 v[186:187], v[188:189], v[201:202], v[186:187]
	v_div_scale_f64 v[188:189], null, v[186:187], v[186:187], 1.0
	v_rcp_f64_e32 v[203:204], v[188:189]
	v_fma_f64 v[205:206], -v[188:189], v[203:204], 1.0
	v_fma_f64 v[203:204], v[203:204], v[205:206], v[203:204]
	v_fma_f64 v[205:206], -v[188:189], v[203:204], 1.0
	v_fma_f64 v[203:204], v[203:204], v[205:206], v[203:204]
	v_div_scale_f64 v[205:206], vcc_lo, 1.0, v[186:187], 1.0
	v_mul_f64 v[207:208], v[205:206], v[203:204]
	v_fma_f64 v[188:189], -v[188:189], v[207:208], v[205:206]
	v_div_fmas_f64 v[188:189], v[188:189], v[203:204], v[207:208]
	v_div_fixup_f64 v[186:187], v[188:189], v[186:187], 1.0
	v_mul_f64 v[188:189], v[201:202], -v[186:187]
.LBB90_849:
	s_or_b32 exec_lo, exec_lo, s7
.LBB90_850:
	s_or_b32 exec_lo, exec_lo, s0
	s_mov_b32 s0, exec_lo
	v_cmpx_ne_u32_e64 v200, v194
	s_xor_b32 s0, exec_lo, s0
	s_cbranch_execz .LBB90_856
; %bb.851:
	s_mov_b32 s7, exec_lo
	v_cmpx_eq_u32_e32 40, v200
	s_cbranch_execz .LBB90_855
; %bb.852:
	v_cmp_ne_u32_e32 vcc_lo, 40, v194
	s_xor_b32 s8, s16, -1
	s_and_b32 s9, s8, vcc_lo
	s_and_saveexec_b32 s8, s9
	s_cbranch_execz .LBB90_854
; %bb.853:
	v_ashrrev_i32_e32 v195, 31, v194
	v_lshlrev_b64 v[200:201], 2, v[194:195]
	v_add_co_u32 v200, vcc_lo, v192, v200
	v_add_co_ci_u32_e64 v201, null, v193, v201, vcc_lo
	s_clause 0x1
	global_load_dword v0, v[200:201], off
	global_load_dword v195, v[192:193], off offset:160
	s_waitcnt vmcnt(1)
	global_store_dword v[192:193], v0, off offset:160
	s_waitcnt vmcnt(0)
	global_store_dword v[200:201], v195, off
.LBB90_854:
	s_or_b32 exec_lo, exec_lo, s8
	v_mov_b32_e32 v200, v194
	v_mov_b32_e32 v0, v194
.LBB90_855:
	s_or_b32 exec_lo, exec_lo, s7
.LBB90_856:
	s_andn2_saveexec_b32 s0, s0
	s_cbranch_execz .LBB90_858
; %bb.857:
	v_mov_b32_e32 v200, 40
	ds_write2_b64 v1, v[18:19], v[20:21] offset0:82 offset1:83
	ds_write2_b64 v1, v[14:15], v[16:17] offset0:84 offset1:85
	;; [unrolled: 1-line block ×5, first 2 shown]
.LBB90_858:
	s_or_b32 exec_lo, exec_lo, s0
	s_mov_b32 s0, exec_lo
	s_waitcnt lgkmcnt(0)
	s_waitcnt_vscnt null, 0x0
	s_barrier
	buffer_gl0_inv
	v_cmpx_lt_i32_e32 40, v200
	s_cbranch_execz .LBB90_860
; %bb.859:
	v_mul_f64 v[194:195], v[186:187], v[24:25]
	v_mul_f64 v[24:25], v[188:189], v[24:25]
	ds_read2_b64 v[201:204], v1 offset0:82 offset1:83
	ds_read2_b64 v[205:208], v1 offset0:84 offset1:85
	ds_read2_b64 v[209:212], v1 offset0:86 offset1:87
	ds_read2_b64 v[213:216], v1 offset0:88 offset1:89
	ds_read2_b64 v[217:220], v1 offset0:90 offset1:91
	v_fma_f64 v[188:189], v[188:189], v[22:23], v[194:195]
	v_fma_f64 v[22:23], v[186:187], v[22:23], -v[24:25]
	s_waitcnt lgkmcnt(4)
	v_mul_f64 v[24:25], v[203:204], v[188:189]
	v_mul_f64 v[186:187], v[201:202], v[188:189]
	s_waitcnt lgkmcnt(3)
	v_mul_f64 v[194:195], v[207:208], v[188:189]
	v_mul_f64 v[221:222], v[205:206], v[188:189]
	;; [unrolled: 3-line block ×5, first 2 shown]
	v_fma_f64 v[24:25], v[201:202], v[22:23], -v[24:25]
	v_fma_f64 v[186:187], v[203:204], v[22:23], v[186:187]
	v_fma_f64 v[194:195], v[205:206], v[22:23], -v[194:195]
	v_fma_f64 v[201:202], v[207:208], v[22:23], v[221:222]
	;; [unrolled: 2-line block ×5, first 2 shown]
	v_add_f64 v[18:19], v[18:19], -v[24:25]
	v_add_f64 v[20:21], v[20:21], -v[186:187]
	v_add_f64 v[14:15], v[14:15], -v[194:195]
	v_add_f64 v[16:17], v[16:17], -v[201:202]
	v_add_f64 v[10:11], v[10:11], -v[203:204]
	v_add_f64 v[12:13], v[12:13], -v[205:206]
	v_add_f64 v[6:7], v[6:7], -v[207:208]
	v_add_f64 v[8:9], v[8:9], -v[209:210]
	v_add_f64 v[2:3], v[2:3], -v[211:212]
	v_add_f64 v[4:5], v[4:5], -v[213:214]
	v_mov_b32_e32 v24, v188
	v_mov_b32_e32 v25, v189
.LBB90_860:
	s_or_b32 exec_lo, exec_lo, s0
	v_lshl_add_u32 v186, v200, 4, v1
	s_barrier
	buffer_gl0_inv
	v_mov_b32_e32 v194, 41
	ds_write2_b64 v186, v[18:19], v[20:21] offset1:1
	s_waitcnt lgkmcnt(0)
	s_barrier
	buffer_gl0_inv
	ds_read2_b64 v[186:189], v1 offset0:82 offset1:83
	s_cmp_lt_i32 s1, 43
	s_cbranch_scc1 .LBB90_863
; %bb.861:
	v_add3_u32 v195, v196, 0, 0x2a0
	v_mov_b32_e32 v194, 41
	s_mov_b32 s7, 42
	s_inst_prefetch 0x1
	.p2align	6
.LBB90_862:                             ; =>This Inner Loop Header: Depth=1
	s_waitcnt lgkmcnt(0)
	v_cmp_gt_f64_e32 vcc_lo, 0, v[188:189]
	v_cmp_gt_f64_e64 s0, 0, v[186:187]
	ds_read2_b64 v[201:204], v195 offset1:1
	v_xor_b32_e32 v206, 0x80000000, v187
	v_xor_b32_e32 v208, 0x80000000, v189
	v_mov_b32_e32 v205, v186
	v_mov_b32_e32 v207, v188
	v_add_nc_u32_e32 v195, 16, v195
	s_waitcnt lgkmcnt(0)
	v_xor_b32_e32 v210, 0x80000000, v204
	v_cndmask_b32_e64 v206, v187, v206, s0
	v_cndmask_b32_e32 v208, v189, v208, vcc_lo
	v_cmp_gt_f64_e32 vcc_lo, 0, v[203:204]
	v_cmp_gt_f64_e64 s0, 0, v[201:202]
	v_mov_b32_e32 v209, v203
	v_add_f64 v[205:206], v[205:206], v[207:208]
	v_xor_b32_e32 v208, 0x80000000, v202
	v_mov_b32_e32 v207, v201
	v_cndmask_b32_e32 v210, v204, v210, vcc_lo
	v_cndmask_b32_e64 v208, v202, v208, s0
	v_add_f64 v[207:208], v[207:208], v[209:210]
	v_cmp_lt_f64_e32 vcc_lo, v[205:206], v[207:208]
	v_cndmask_b32_e32 v187, v187, v202, vcc_lo
	v_cndmask_b32_e32 v186, v186, v201, vcc_lo
	;; [unrolled: 1-line block ×4, first 2 shown]
	v_cndmask_b32_e64 v194, v194, s7, vcc_lo
	s_add_i32 s7, s7, 1
	s_cmp_lg_u32 s1, s7
	s_cbranch_scc1 .LBB90_862
.LBB90_863:
	s_inst_prefetch 0x2
	s_waitcnt lgkmcnt(0)
	v_cmp_eq_f64_e32 vcc_lo, 0, v[186:187]
	v_cmp_eq_f64_e64 s0, 0, v[188:189]
	s_and_b32 s0, vcc_lo, s0
	s_and_saveexec_b32 s7, s0
	s_xor_b32 s0, exec_lo, s7
; %bb.864:
	v_cmp_ne_u32_e32 vcc_lo, 0, v199
	v_cndmask_b32_e32 v199, 42, v199, vcc_lo
; %bb.865:
	s_andn2_saveexec_b32 s0, s0
	s_cbranch_execz .LBB90_871
; %bb.866:
	v_cmp_ngt_f64_e64 s7, |v[186:187]|, |v[188:189]|
	s_and_saveexec_b32 s8, s7
	s_xor_b32 s7, exec_lo, s8
	s_cbranch_execz .LBB90_868
; %bb.867:
	v_div_scale_f64 v[201:202], null, v[188:189], v[188:189], v[186:187]
	v_div_scale_f64 v[207:208], vcc_lo, v[186:187], v[188:189], v[186:187]
	v_rcp_f64_e32 v[203:204], v[201:202]
	v_fma_f64 v[205:206], -v[201:202], v[203:204], 1.0
	v_fma_f64 v[203:204], v[203:204], v[205:206], v[203:204]
	v_fma_f64 v[205:206], -v[201:202], v[203:204], 1.0
	v_fma_f64 v[203:204], v[203:204], v[205:206], v[203:204]
	v_mul_f64 v[205:206], v[207:208], v[203:204]
	v_fma_f64 v[201:202], -v[201:202], v[205:206], v[207:208]
	v_div_fmas_f64 v[201:202], v[201:202], v[203:204], v[205:206]
	v_div_fixup_f64 v[201:202], v[201:202], v[188:189], v[186:187]
	v_fma_f64 v[186:187], v[186:187], v[201:202], v[188:189]
	v_div_scale_f64 v[188:189], null, v[186:187], v[186:187], 1.0
	v_rcp_f64_e32 v[203:204], v[188:189]
	v_fma_f64 v[205:206], -v[188:189], v[203:204], 1.0
	v_fma_f64 v[203:204], v[203:204], v[205:206], v[203:204]
	v_fma_f64 v[205:206], -v[188:189], v[203:204], 1.0
	v_fma_f64 v[203:204], v[203:204], v[205:206], v[203:204]
	v_div_scale_f64 v[205:206], vcc_lo, 1.0, v[186:187], 1.0
	v_mul_f64 v[207:208], v[205:206], v[203:204]
	v_fma_f64 v[188:189], -v[188:189], v[207:208], v[205:206]
	v_div_fmas_f64 v[188:189], v[188:189], v[203:204], v[207:208]
	v_div_fixup_f64 v[188:189], v[188:189], v[186:187], 1.0
	v_mul_f64 v[186:187], v[201:202], v[188:189]
	v_xor_b32_e32 v189, 0x80000000, v189
.LBB90_868:
	s_andn2_saveexec_b32 s7, s7
	s_cbranch_execz .LBB90_870
; %bb.869:
	v_div_scale_f64 v[201:202], null, v[186:187], v[186:187], v[188:189]
	v_div_scale_f64 v[207:208], vcc_lo, v[188:189], v[186:187], v[188:189]
	v_rcp_f64_e32 v[203:204], v[201:202]
	v_fma_f64 v[205:206], -v[201:202], v[203:204], 1.0
	v_fma_f64 v[203:204], v[203:204], v[205:206], v[203:204]
	v_fma_f64 v[205:206], -v[201:202], v[203:204], 1.0
	v_fma_f64 v[203:204], v[203:204], v[205:206], v[203:204]
	v_mul_f64 v[205:206], v[207:208], v[203:204]
	v_fma_f64 v[201:202], -v[201:202], v[205:206], v[207:208]
	v_div_fmas_f64 v[201:202], v[201:202], v[203:204], v[205:206]
	v_div_fixup_f64 v[201:202], v[201:202], v[186:187], v[188:189]
	v_fma_f64 v[186:187], v[188:189], v[201:202], v[186:187]
	v_div_scale_f64 v[188:189], null, v[186:187], v[186:187], 1.0
	v_rcp_f64_e32 v[203:204], v[188:189]
	v_fma_f64 v[205:206], -v[188:189], v[203:204], 1.0
	v_fma_f64 v[203:204], v[203:204], v[205:206], v[203:204]
	v_fma_f64 v[205:206], -v[188:189], v[203:204], 1.0
	v_fma_f64 v[203:204], v[203:204], v[205:206], v[203:204]
	v_div_scale_f64 v[205:206], vcc_lo, 1.0, v[186:187], 1.0
	v_mul_f64 v[207:208], v[205:206], v[203:204]
	v_fma_f64 v[188:189], -v[188:189], v[207:208], v[205:206]
	v_div_fmas_f64 v[188:189], v[188:189], v[203:204], v[207:208]
	v_div_fixup_f64 v[186:187], v[188:189], v[186:187], 1.0
	v_mul_f64 v[188:189], v[201:202], -v[186:187]
.LBB90_870:
	s_or_b32 exec_lo, exec_lo, s7
.LBB90_871:
	s_or_b32 exec_lo, exec_lo, s0
	s_mov_b32 s0, exec_lo
	v_cmpx_ne_u32_e64 v200, v194
	s_xor_b32 s0, exec_lo, s0
	s_cbranch_execz .LBB90_877
; %bb.872:
	s_mov_b32 s7, exec_lo
	v_cmpx_eq_u32_e32 41, v200
	s_cbranch_execz .LBB90_876
; %bb.873:
	v_cmp_ne_u32_e32 vcc_lo, 41, v194
	s_xor_b32 s8, s16, -1
	s_and_b32 s9, s8, vcc_lo
	s_and_saveexec_b32 s8, s9
	s_cbranch_execz .LBB90_875
; %bb.874:
	v_ashrrev_i32_e32 v195, 31, v194
	v_lshlrev_b64 v[200:201], 2, v[194:195]
	v_add_co_u32 v200, vcc_lo, v192, v200
	v_add_co_ci_u32_e64 v201, null, v193, v201, vcc_lo
	s_clause 0x1
	global_load_dword v0, v[200:201], off
	global_load_dword v195, v[192:193], off offset:164
	s_waitcnt vmcnt(1)
	global_store_dword v[192:193], v0, off offset:164
	s_waitcnt vmcnt(0)
	global_store_dword v[200:201], v195, off
.LBB90_875:
	s_or_b32 exec_lo, exec_lo, s8
	v_mov_b32_e32 v200, v194
	v_mov_b32_e32 v0, v194
.LBB90_876:
	s_or_b32 exec_lo, exec_lo, s7
.LBB90_877:
	s_andn2_saveexec_b32 s0, s0
	s_cbranch_execz .LBB90_879
; %bb.878:
	v_mov_b32_e32 v200, 41
	ds_write2_b64 v1, v[14:15], v[16:17] offset0:84 offset1:85
	ds_write2_b64 v1, v[10:11], v[12:13] offset0:86 offset1:87
	;; [unrolled: 1-line block ×4, first 2 shown]
.LBB90_879:
	s_or_b32 exec_lo, exec_lo, s0
	s_mov_b32 s0, exec_lo
	s_waitcnt lgkmcnt(0)
	s_waitcnt_vscnt null, 0x0
	s_barrier
	buffer_gl0_inv
	v_cmpx_lt_i32_e32 41, v200
	s_cbranch_execz .LBB90_881
; %bb.880:
	v_mul_f64 v[194:195], v[186:187], v[20:21]
	v_mul_f64 v[20:21], v[188:189], v[20:21]
	ds_read2_b64 v[201:204], v1 offset0:84 offset1:85
	ds_read2_b64 v[205:208], v1 offset0:86 offset1:87
	;; [unrolled: 1-line block ×4, first 2 shown]
	v_fma_f64 v[188:189], v[188:189], v[18:19], v[194:195]
	v_fma_f64 v[18:19], v[186:187], v[18:19], -v[20:21]
	s_waitcnt lgkmcnt(3)
	v_mul_f64 v[20:21], v[203:204], v[188:189]
	v_mul_f64 v[186:187], v[201:202], v[188:189]
	s_waitcnt lgkmcnt(2)
	v_mul_f64 v[194:195], v[207:208], v[188:189]
	v_mul_f64 v[217:218], v[205:206], v[188:189]
	;; [unrolled: 3-line block ×4, first 2 shown]
	v_fma_f64 v[20:21], v[201:202], v[18:19], -v[20:21]
	v_fma_f64 v[186:187], v[203:204], v[18:19], v[186:187]
	v_fma_f64 v[194:195], v[205:206], v[18:19], -v[194:195]
	v_fma_f64 v[201:202], v[207:208], v[18:19], v[217:218]
	v_fma_f64 v[203:204], v[209:210], v[18:19], -v[219:220]
	v_fma_f64 v[205:206], v[211:212], v[18:19], v[221:222]
	v_fma_f64 v[207:208], v[213:214], v[18:19], -v[223:224]
	v_fma_f64 v[209:210], v[215:216], v[18:19], v[225:226]
	v_add_f64 v[14:15], v[14:15], -v[20:21]
	v_add_f64 v[16:17], v[16:17], -v[186:187]
	;; [unrolled: 1-line block ×8, first 2 shown]
	v_mov_b32_e32 v20, v188
	v_mov_b32_e32 v21, v189
.LBB90_881:
	s_or_b32 exec_lo, exec_lo, s0
	v_lshl_add_u32 v186, v200, 4, v1
	s_barrier
	buffer_gl0_inv
	v_mov_b32_e32 v194, 42
	ds_write2_b64 v186, v[14:15], v[16:17] offset1:1
	s_waitcnt lgkmcnt(0)
	s_barrier
	buffer_gl0_inv
	ds_read2_b64 v[186:189], v1 offset0:84 offset1:85
	s_cmp_lt_i32 s1, 44
	s_cbranch_scc1 .LBB90_884
; %bb.882:
	v_add3_u32 v195, v196, 0, 0x2b0
	v_mov_b32_e32 v194, 42
	s_mov_b32 s7, 43
	s_inst_prefetch 0x1
	.p2align	6
.LBB90_883:                             ; =>This Inner Loop Header: Depth=1
	s_waitcnt lgkmcnt(0)
	v_cmp_gt_f64_e32 vcc_lo, 0, v[188:189]
	v_cmp_gt_f64_e64 s0, 0, v[186:187]
	ds_read2_b64 v[201:204], v195 offset1:1
	v_xor_b32_e32 v206, 0x80000000, v187
	v_xor_b32_e32 v208, 0x80000000, v189
	v_mov_b32_e32 v205, v186
	v_mov_b32_e32 v207, v188
	v_add_nc_u32_e32 v195, 16, v195
	s_waitcnt lgkmcnt(0)
	v_xor_b32_e32 v210, 0x80000000, v204
	v_cndmask_b32_e64 v206, v187, v206, s0
	v_cndmask_b32_e32 v208, v189, v208, vcc_lo
	v_cmp_gt_f64_e32 vcc_lo, 0, v[203:204]
	v_cmp_gt_f64_e64 s0, 0, v[201:202]
	v_mov_b32_e32 v209, v203
	v_add_f64 v[205:206], v[205:206], v[207:208]
	v_xor_b32_e32 v208, 0x80000000, v202
	v_mov_b32_e32 v207, v201
	v_cndmask_b32_e32 v210, v204, v210, vcc_lo
	v_cndmask_b32_e64 v208, v202, v208, s0
	v_add_f64 v[207:208], v[207:208], v[209:210]
	v_cmp_lt_f64_e32 vcc_lo, v[205:206], v[207:208]
	v_cndmask_b32_e32 v187, v187, v202, vcc_lo
	v_cndmask_b32_e32 v186, v186, v201, vcc_lo
	;; [unrolled: 1-line block ×4, first 2 shown]
	v_cndmask_b32_e64 v194, v194, s7, vcc_lo
	s_add_i32 s7, s7, 1
	s_cmp_lg_u32 s1, s7
	s_cbranch_scc1 .LBB90_883
.LBB90_884:
	s_inst_prefetch 0x2
	s_waitcnt lgkmcnt(0)
	v_cmp_eq_f64_e32 vcc_lo, 0, v[186:187]
	v_cmp_eq_f64_e64 s0, 0, v[188:189]
	s_and_b32 s0, vcc_lo, s0
	s_and_saveexec_b32 s7, s0
	s_xor_b32 s0, exec_lo, s7
; %bb.885:
	v_cmp_ne_u32_e32 vcc_lo, 0, v199
	v_cndmask_b32_e32 v199, 43, v199, vcc_lo
; %bb.886:
	s_andn2_saveexec_b32 s0, s0
	s_cbranch_execz .LBB90_892
; %bb.887:
	v_cmp_ngt_f64_e64 s7, |v[186:187]|, |v[188:189]|
	s_and_saveexec_b32 s8, s7
	s_xor_b32 s7, exec_lo, s8
	s_cbranch_execz .LBB90_889
; %bb.888:
	v_div_scale_f64 v[201:202], null, v[188:189], v[188:189], v[186:187]
	v_div_scale_f64 v[207:208], vcc_lo, v[186:187], v[188:189], v[186:187]
	v_rcp_f64_e32 v[203:204], v[201:202]
	v_fma_f64 v[205:206], -v[201:202], v[203:204], 1.0
	v_fma_f64 v[203:204], v[203:204], v[205:206], v[203:204]
	v_fma_f64 v[205:206], -v[201:202], v[203:204], 1.0
	v_fma_f64 v[203:204], v[203:204], v[205:206], v[203:204]
	v_mul_f64 v[205:206], v[207:208], v[203:204]
	v_fma_f64 v[201:202], -v[201:202], v[205:206], v[207:208]
	v_div_fmas_f64 v[201:202], v[201:202], v[203:204], v[205:206]
	v_div_fixup_f64 v[201:202], v[201:202], v[188:189], v[186:187]
	v_fma_f64 v[186:187], v[186:187], v[201:202], v[188:189]
	v_div_scale_f64 v[188:189], null, v[186:187], v[186:187], 1.0
	v_rcp_f64_e32 v[203:204], v[188:189]
	v_fma_f64 v[205:206], -v[188:189], v[203:204], 1.0
	v_fma_f64 v[203:204], v[203:204], v[205:206], v[203:204]
	v_fma_f64 v[205:206], -v[188:189], v[203:204], 1.0
	v_fma_f64 v[203:204], v[203:204], v[205:206], v[203:204]
	v_div_scale_f64 v[205:206], vcc_lo, 1.0, v[186:187], 1.0
	v_mul_f64 v[207:208], v[205:206], v[203:204]
	v_fma_f64 v[188:189], -v[188:189], v[207:208], v[205:206]
	v_div_fmas_f64 v[188:189], v[188:189], v[203:204], v[207:208]
	v_div_fixup_f64 v[188:189], v[188:189], v[186:187], 1.0
	v_mul_f64 v[186:187], v[201:202], v[188:189]
	v_xor_b32_e32 v189, 0x80000000, v189
.LBB90_889:
	s_andn2_saveexec_b32 s7, s7
	s_cbranch_execz .LBB90_891
; %bb.890:
	v_div_scale_f64 v[201:202], null, v[186:187], v[186:187], v[188:189]
	v_div_scale_f64 v[207:208], vcc_lo, v[188:189], v[186:187], v[188:189]
	v_rcp_f64_e32 v[203:204], v[201:202]
	v_fma_f64 v[205:206], -v[201:202], v[203:204], 1.0
	v_fma_f64 v[203:204], v[203:204], v[205:206], v[203:204]
	v_fma_f64 v[205:206], -v[201:202], v[203:204], 1.0
	v_fma_f64 v[203:204], v[203:204], v[205:206], v[203:204]
	v_mul_f64 v[205:206], v[207:208], v[203:204]
	v_fma_f64 v[201:202], -v[201:202], v[205:206], v[207:208]
	v_div_fmas_f64 v[201:202], v[201:202], v[203:204], v[205:206]
	v_div_fixup_f64 v[201:202], v[201:202], v[186:187], v[188:189]
	v_fma_f64 v[186:187], v[188:189], v[201:202], v[186:187]
	v_div_scale_f64 v[188:189], null, v[186:187], v[186:187], 1.0
	v_rcp_f64_e32 v[203:204], v[188:189]
	v_fma_f64 v[205:206], -v[188:189], v[203:204], 1.0
	v_fma_f64 v[203:204], v[203:204], v[205:206], v[203:204]
	v_fma_f64 v[205:206], -v[188:189], v[203:204], 1.0
	v_fma_f64 v[203:204], v[203:204], v[205:206], v[203:204]
	v_div_scale_f64 v[205:206], vcc_lo, 1.0, v[186:187], 1.0
	v_mul_f64 v[207:208], v[205:206], v[203:204]
	v_fma_f64 v[188:189], -v[188:189], v[207:208], v[205:206]
	v_div_fmas_f64 v[188:189], v[188:189], v[203:204], v[207:208]
	v_div_fixup_f64 v[186:187], v[188:189], v[186:187], 1.0
	v_mul_f64 v[188:189], v[201:202], -v[186:187]
.LBB90_891:
	s_or_b32 exec_lo, exec_lo, s7
.LBB90_892:
	s_or_b32 exec_lo, exec_lo, s0
	s_mov_b32 s0, exec_lo
	v_cmpx_ne_u32_e64 v200, v194
	s_xor_b32 s0, exec_lo, s0
	s_cbranch_execz .LBB90_898
; %bb.893:
	s_mov_b32 s7, exec_lo
	v_cmpx_eq_u32_e32 42, v200
	s_cbranch_execz .LBB90_897
; %bb.894:
	v_cmp_ne_u32_e32 vcc_lo, 42, v194
	s_xor_b32 s8, s16, -1
	s_and_b32 s9, s8, vcc_lo
	s_and_saveexec_b32 s8, s9
	s_cbranch_execz .LBB90_896
; %bb.895:
	v_ashrrev_i32_e32 v195, 31, v194
	v_lshlrev_b64 v[200:201], 2, v[194:195]
	v_add_co_u32 v200, vcc_lo, v192, v200
	v_add_co_ci_u32_e64 v201, null, v193, v201, vcc_lo
	s_clause 0x1
	global_load_dword v0, v[200:201], off
	global_load_dword v195, v[192:193], off offset:168
	s_waitcnt vmcnt(1)
	global_store_dword v[192:193], v0, off offset:168
	s_waitcnt vmcnt(0)
	global_store_dword v[200:201], v195, off
.LBB90_896:
	s_or_b32 exec_lo, exec_lo, s8
	v_mov_b32_e32 v200, v194
	v_mov_b32_e32 v0, v194
.LBB90_897:
	s_or_b32 exec_lo, exec_lo, s7
.LBB90_898:
	s_andn2_saveexec_b32 s0, s0
	s_cbranch_execz .LBB90_900
; %bb.899:
	v_mov_b32_e32 v200, 42
	ds_write2_b64 v1, v[10:11], v[12:13] offset0:86 offset1:87
	ds_write2_b64 v1, v[6:7], v[8:9] offset0:88 offset1:89
	;; [unrolled: 1-line block ×3, first 2 shown]
.LBB90_900:
	s_or_b32 exec_lo, exec_lo, s0
	s_mov_b32 s0, exec_lo
	s_waitcnt lgkmcnt(0)
	s_waitcnt_vscnt null, 0x0
	s_barrier
	buffer_gl0_inv
	v_cmpx_lt_i32_e32 42, v200
	s_cbranch_execz .LBB90_902
; %bb.901:
	v_mul_f64 v[194:195], v[186:187], v[16:17]
	v_mul_f64 v[16:17], v[188:189], v[16:17]
	ds_read2_b64 v[201:204], v1 offset0:86 offset1:87
	ds_read2_b64 v[205:208], v1 offset0:88 offset1:89
	;; [unrolled: 1-line block ×3, first 2 shown]
	v_fma_f64 v[188:189], v[188:189], v[14:15], v[194:195]
	v_fma_f64 v[14:15], v[186:187], v[14:15], -v[16:17]
	s_waitcnt lgkmcnt(2)
	v_mul_f64 v[16:17], v[203:204], v[188:189]
	v_mul_f64 v[186:187], v[201:202], v[188:189]
	s_waitcnt lgkmcnt(1)
	v_mul_f64 v[194:195], v[207:208], v[188:189]
	v_mul_f64 v[213:214], v[205:206], v[188:189]
	;; [unrolled: 3-line block ×3, first 2 shown]
	v_fma_f64 v[16:17], v[201:202], v[14:15], -v[16:17]
	v_fma_f64 v[186:187], v[203:204], v[14:15], v[186:187]
	v_fma_f64 v[194:195], v[205:206], v[14:15], -v[194:195]
	v_fma_f64 v[201:202], v[207:208], v[14:15], v[213:214]
	;; [unrolled: 2-line block ×3, first 2 shown]
	v_add_f64 v[10:11], v[10:11], -v[16:17]
	v_add_f64 v[12:13], v[12:13], -v[186:187]
	;; [unrolled: 1-line block ×6, first 2 shown]
	v_mov_b32_e32 v16, v188
	v_mov_b32_e32 v17, v189
.LBB90_902:
	s_or_b32 exec_lo, exec_lo, s0
	v_lshl_add_u32 v186, v200, 4, v1
	s_barrier
	buffer_gl0_inv
	v_mov_b32_e32 v194, 43
	ds_write2_b64 v186, v[10:11], v[12:13] offset1:1
	s_waitcnt lgkmcnt(0)
	s_barrier
	buffer_gl0_inv
	ds_read2_b64 v[186:189], v1 offset0:86 offset1:87
	s_cmp_lt_i32 s1, 45
	s_cbranch_scc1 .LBB90_905
; %bb.903:
	v_add3_u32 v195, v196, 0, 0x2c0
	v_mov_b32_e32 v194, 43
	s_mov_b32 s7, 44
	s_inst_prefetch 0x1
	.p2align	6
.LBB90_904:                             ; =>This Inner Loop Header: Depth=1
	s_waitcnt lgkmcnt(0)
	v_cmp_gt_f64_e32 vcc_lo, 0, v[188:189]
	v_cmp_gt_f64_e64 s0, 0, v[186:187]
	ds_read2_b64 v[201:204], v195 offset1:1
	v_xor_b32_e32 v206, 0x80000000, v187
	v_xor_b32_e32 v208, 0x80000000, v189
	v_mov_b32_e32 v205, v186
	v_mov_b32_e32 v207, v188
	v_add_nc_u32_e32 v195, 16, v195
	s_waitcnt lgkmcnt(0)
	v_xor_b32_e32 v210, 0x80000000, v204
	v_cndmask_b32_e64 v206, v187, v206, s0
	v_cndmask_b32_e32 v208, v189, v208, vcc_lo
	v_cmp_gt_f64_e32 vcc_lo, 0, v[203:204]
	v_cmp_gt_f64_e64 s0, 0, v[201:202]
	v_mov_b32_e32 v209, v203
	v_add_f64 v[205:206], v[205:206], v[207:208]
	v_xor_b32_e32 v208, 0x80000000, v202
	v_mov_b32_e32 v207, v201
	v_cndmask_b32_e32 v210, v204, v210, vcc_lo
	v_cndmask_b32_e64 v208, v202, v208, s0
	v_add_f64 v[207:208], v[207:208], v[209:210]
	v_cmp_lt_f64_e32 vcc_lo, v[205:206], v[207:208]
	v_cndmask_b32_e32 v187, v187, v202, vcc_lo
	v_cndmask_b32_e32 v186, v186, v201, vcc_lo
	;; [unrolled: 1-line block ×4, first 2 shown]
	v_cndmask_b32_e64 v194, v194, s7, vcc_lo
	s_add_i32 s7, s7, 1
	s_cmp_lg_u32 s1, s7
	s_cbranch_scc1 .LBB90_904
.LBB90_905:
	s_inst_prefetch 0x2
	s_waitcnt lgkmcnt(0)
	v_cmp_eq_f64_e32 vcc_lo, 0, v[186:187]
	v_cmp_eq_f64_e64 s0, 0, v[188:189]
	s_and_b32 s0, vcc_lo, s0
	s_and_saveexec_b32 s7, s0
	s_xor_b32 s0, exec_lo, s7
; %bb.906:
	v_cmp_ne_u32_e32 vcc_lo, 0, v199
	v_cndmask_b32_e32 v199, 44, v199, vcc_lo
; %bb.907:
	s_andn2_saveexec_b32 s0, s0
	s_cbranch_execz .LBB90_913
; %bb.908:
	v_cmp_ngt_f64_e64 s7, |v[186:187]|, |v[188:189]|
	s_and_saveexec_b32 s8, s7
	s_xor_b32 s7, exec_lo, s8
	s_cbranch_execz .LBB90_910
; %bb.909:
	v_div_scale_f64 v[201:202], null, v[188:189], v[188:189], v[186:187]
	v_div_scale_f64 v[207:208], vcc_lo, v[186:187], v[188:189], v[186:187]
	v_rcp_f64_e32 v[203:204], v[201:202]
	v_fma_f64 v[205:206], -v[201:202], v[203:204], 1.0
	v_fma_f64 v[203:204], v[203:204], v[205:206], v[203:204]
	v_fma_f64 v[205:206], -v[201:202], v[203:204], 1.0
	v_fma_f64 v[203:204], v[203:204], v[205:206], v[203:204]
	v_mul_f64 v[205:206], v[207:208], v[203:204]
	v_fma_f64 v[201:202], -v[201:202], v[205:206], v[207:208]
	v_div_fmas_f64 v[201:202], v[201:202], v[203:204], v[205:206]
	v_div_fixup_f64 v[201:202], v[201:202], v[188:189], v[186:187]
	v_fma_f64 v[186:187], v[186:187], v[201:202], v[188:189]
	v_div_scale_f64 v[188:189], null, v[186:187], v[186:187], 1.0
	v_rcp_f64_e32 v[203:204], v[188:189]
	v_fma_f64 v[205:206], -v[188:189], v[203:204], 1.0
	v_fma_f64 v[203:204], v[203:204], v[205:206], v[203:204]
	v_fma_f64 v[205:206], -v[188:189], v[203:204], 1.0
	v_fma_f64 v[203:204], v[203:204], v[205:206], v[203:204]
	v_div_scale_f64 v[205:206], vcc_lo, 1.0, v[186:187], 1.0
	v_mul_f64 v[207:208], v[205:206], v[203:204]
	v_fma_f64 v[188:189], -v[188:189], v[207:208], v[205:206]
	v_div_fmas_f64 v[188:189], v[188:189], v[203:204], v[207:208]
	v_div_fixup_f64 v[188:189], v[188:189], v[186:187], 1.0
	v_mul_f64 v[186:187], v[201:202], v[188:189]
	v_xor_b32_e32 v189, 0x80000000, v189
.LBB90_910:
	s_andn2_saveexec_b32 s7, s7
	s_cbranch_execz .LBB90_912
; %bb.911:
	v_div_scale_f64 v[201:202], null, v[186:187], v[186:187], v[188:189]
	v_div_scale_f64 v[207:208], vcc_lo, v[188:189], v[186:187], v[188:189]
	v_rcp_f64_e32 v[203:204], v[201:202]
	v_fma_f64 v[205:206], -v[201:202], v[203:204], 1.0
	v_fma_f64 v[203:204], v[203:204], v[205:206], v[203:204]
	v_fma_f64 v[205:206], -v[201:202], v[203:204], 1.0
	v_fma_f64 v[203:204], v[203:204], v[205:206], v[203:204]
	v_mul_f64 v[205:206], v[207:208], v[203:204]
	v_fma_f64 v[201:202], -v[201:202], v[205:206], v[207:208]
	v_div_fmas_f64 v[201:202], v[201:202], v[203:204], v[205:206]
	v_div_fixup_f64 v[201:202], v[201:202], v[186:187], v[188:189]
	v_fma_f64 v[186:187], v[188:189], v[201:202], v[186:187]
	v_div_scale_f64 v[188:189], null, v[186:187], v[186:187], 1.0
	v_rcp_f64_e32 v[203:204], v[188:189]
	v_fma_f64 v[205:206], -v[188:189], v[203:204], 1.0
	v_fma_f64 v[203:204], v[203:204], v[205:206], v[203:204]
	v_fma_f64 v[205:206], -v[188:189], v[203:204], 1.0
	v_fma_f64 v[203:204], v[203:204], v[205:206], v[203:204]
	v_div_scale_f64 v[205:206], vcc_lo, 1.0, v[186:187], 1.0
	v_mul_f64 v[207:208], v[205:206], v[203:204]
	v_fma_f64 v[188:189], -v[188:189], v[207:208], v[205:206]
	v_div_fmas_f64 v[188:189], v[188:189], v[203:204], v[207:208]
	v_div_fixup_f64 v[186:187], v[188:189], v[186:187], 1.0
	v_mul_f64 v[188:189], v[201:202], -v[186:187]
.LBB90_912:
	s_or_b32 exec_lo, exec_lo, s7
.LBB90_913:
	s_or_b32 exec_lo, exec_lo, s0
	s_mov_b32 s0, exec_lo
	v_cmpx_ne_u32_e64 v200, v194
	s_xor_b32 s0, exec_lo, s0
	s_cbranch_execz .LBB90_919
; %bb.914:
	s_mov_b32 s7, exec_lo
	v_cmpx_eq_u32_e32 43, v200
	s_cbranch_execz .LBB90_918
; %bb.915:
	v_cmp_ne_u32_e32 vcc_lo, 43, v194
	s_xor_b32 s8, s16, -1
	s_and_b32 s9, s8, vcc_lo
	s_and_saveexec_b32 s8, s9
	s_cbranch_execz .LBB90_917
; %bb.916:
	v_ashrrev_i32_e32 v195, 31, v194
	v_lshlrev_b64 v[200:201], 2, v[194:195]
	v_add_co_u32 v200, vcc_lo, v192, v200
	v_add_co_ci_u32_e64 v201, null, v193, v201, vcc_lo
	s_clause 0x1
	global_load_dword v0, v[200:201], off
	global_load_dword v195, v[192:193], off offset:172
	s_waitcnt vmcnt(1)
	global_store_dword v[192:193], v0, off offset:172
	s_waitcnt vmcnt(0)
	global_store_dword v[200:201], v195, off
.LBB90_917:
	s_or_b32 exec_lo, exec_lo, s8
	v_mov_b32_e32 v200, v194
	v_mov_b32_e32 v0, v194
.LBB90_918:
	s_or_b32 exec_lo, exec_lo, s7
.LBB90_919:
	s_andn2_saveexec_b32 s0, s0
	s_cbranch_execz .LBB90_921
; %bb.920:
	v_mov_b32_e32 v200, 43
	ds_write2_b64 v1, v[6:7], v[8:9] offset0:88 offset1:89
	ds_write2_b64 v1, v[2:3], v[4:5] offset0:90 offset1:91
.LBB90_921:
	s_or_b32 exec_lo, exec_lo, s0
	s_mov_b32 s0, exec_lo
	s_waitcnt lgkmcnt(0)
	s_waitcnt_vscnt null, 0x0
	s_barrier
	buffer_gl0_inv
	v_cmpx_lt_i32_e32 43, v200
	s_cbranch_execz .LBB90_923
; %bb.922:
	v_mul_f64 v[194:195], v[186:187], v[12:13]
	v_mul_f64 v[12:13], v[188:189], v[12:13]
	ds_read2_b64 v[201:204], v1 offset0:88 offset1:89
	ds_read2_b64 v[205:208], v1 offset0:90 offset1:91
	v_fma_f64 v[188:189], v[188:189], v[10:11], v[194:195]
	v_fma_f64 v[10:11], v[186:187], v[10:11], -v[12:13]
	s_waitcnt lgkmcnt(1)
	v_mul_f64 v[12:13], v[203:204], v[188:189]
	v_mul_f64 v[186:187], v[201:202], v[188:189]
	s_waitcnt lgkmcnt(0)
	v_mul_f64 v[194:195], v[207:208], v[188:189]
	v_mul_f64 v[209:210], v[205:206], v[188:189]
	v_fma_f64 v[12:13], v[201:202], v[10:11], -v[12:13]
	v_fma_f64 v[186:187], v[203:204], v[10:11], v[186:187]
	v_fma_f64 v[194:195], v[205:206], v[10:11], -v[194:195]
	v_fma_f64 v[201:202], v[207:208], v[10:11], v[209:210]
	v_add_f64 v[6:7], v[6:7], -v[12:13]
	v_add_f64 v[8:9], v[8:9], -v[186:187]
	;; [unrolled: 1-line block ×4, first 2 shown]
	v_mov_b32_e32 v12, v188
	v_mov_b32_e32 v13, v189
.LBB90_923:
	s_or_b32 exec_lo, exec_lo, s0
	v_lshl_add_u32 v186, v200, 4, v1
	s_barrier
	buffer_gl0_inv
	v_mov_b32_e32 v194, 44
	ds_write2_b64 v186, v[6:7], v[8:9] offset1:1
	s_waitcnt lgkmcnt(0)
	s_barrier
	buffer_gl0_inv
	ds_read2_b64 v[186:189], v1 offset0:88 offset1:89
	s_cmp_lt_i32 s1, 46
	s_cbranch_scc1 .LBB90_926
; %bb.924:
	v_add3_u32 v195, v196, 0, 0x2d0
	v_mov_b32_e32 v194, 44
	s_mov_b32 s7, 45
	s_inst_prefetch 0x1
	.p2align	6
.LBB90_925:                             ; =>This Inner Loop Header: Depth=1
	s_waitcnt lgkmcnt(0)
	v_cmp_gt_f64_e32 vcc_lo, 0, v[188:189]
	v_cmp_gt_f64_e64 s0, 0, v[186:187]
	ds_read2_b64 v[201:204], v195 offset1:1
	v_xor_b32_e32 v206, 0x80000000, v187
	v_xor_b32_e32 v208, 0x80000000, v189
	v_mov_b32_e32 v205, v186
	v_mov_b32_e32 v207, v188
	v_add_nc_u32_e32 v195, 16, v195
	s_waitcnt lgkmcnt(0)
	v_xor_b32_e32 v210, 0x80000000, v204
	v_cndmask_b32_e64 v206, v187, v206, s0
	v_cndmask_b32_e32 v208, v189, v208, vcc_lo
	v_cmp_gt_f64_e32 vcc_lo, 0, v[203:204]
	v_cmp_gt_f64_e64 s0, 0, v[201:202]
	v_mov_b32_e32 v209, v203
	v_add_f64 v[205:206], v[205:206], v[207:208]
	v_xor_b32_e32 v208, 0x80000000, v202
	v_mov_b32_e32 v207, v201
	v_cndmask_b32_e32 v210, v204, v210, vcc_lo
	v_cndmask_b32_e64 v208, v202, v208, s0
	v_add_f64 v[207:208], v[207:208], v[209:210]
	v_cmp_lt_f64_e32 vcc_lo, v[205:206], v[207:208]
	v_cndmask_b32_e32 v187, v187, v202, vcc_lo
	v_cndmask_b32_e32 v186, v186, v201, vcc_lo
	;; [unrolled: 1-line block ×4, first 2 shown]
	v_cndmask_b32_e64 v194, v194, s7, vcc_lo
	s_add_i32 s7, s7, 1
	s_cmp_lg_u32 s1, s7
	s_cbranch_scc1 .LBB90_925
.LBB90_926:
	s_inst_prefetch 0x2
	s_waitcnt lgkmcnt(0)
	v_cmp_eq_f64_e32 vcc_lo, 0, v[186:187]
	v_cmp_eq_f64_e64 s0, 0, v[188:189]
	s_and_b32 s0, vcc_lo, s0
	s_and_saveexec_b32 s7, s0
	s_xor_b32 s0, exec_lo, s7
; %bb.927:
	v_cmp_ne_u32_e32 vcc_lo, 0, v199
	v_cndmask_b32_e32 v199, 45, v199, vcc_lo
; %bb.928:
	s_andn2_saveexec_b32 s0, s0
	s_cbranch_execz .LBB90_934
; %bb.929:
	v_cmp_ngt_f64_e64 s7, |v[186:187]|, |v[188:189]|
	s_and_saveexec_b32 s8, s7
	s_xor_b32 s7, exec_lo, s8
	s_cbranch_execz .LBB90_931
; %bb.930:
	v_div_scale_f64 v[201:202], null, v[188:189], v[188:189], v[186:187]
	v_div_scale_f64 v[207:208], vcc_lo, v[186:187], v[188:189], v[186:187]
	v_rcp_f64_e32 v[203:204], v[201:202]
	v_fma_f64 v[205:206], -v[201:202], v[203:204], 1.0
	v_fma_f64 v[203:204], v[203:204], v[205:206], v[203:204]
	v_fma_f64 v[205:206], -v[201:202], v[203:204], 1.0
	v_fma_f64 v[203:204], v[203:204], v[205:206], v[203:204]
	v_mul_f64 v[205:206], v[207:208], v[203:204]
	v_fma_f64 v[201:202], -v[201:202], v[205:206], v[207:208]
	v_div_fmas_f64 v[201:202], v[201:202], v[203:204], v[205:206]
	v_div_fixup_f64 v[201:202], v[201:202], v[188:189], v[186:187]
	v_fma_f64 v[186:187], v[186:187], v[201:202], v[188:189]
	v_div_scale_f64 v[188:189], null, v[186:187], v[186:187], 1.0
	v_rcp_f64_e32 v[203:204], v[188:189]
	v_fma_f64 v[205:206], -v[188:189], v[203:204], 1.0
	v_fma_f64 v[203:204], v[203:204], v[205:206], v[203:204]
	v_fma_f64 v[205:206], -v[188:189], v[203:204], 1.0
	v_fma_f64 v[203:204], v[203:204], v[205:206], v[203:204]
	v_div_scale_f64 v[205:206], vcc_lo, 1.0, v[186:187], 1.0
	v_mul_f64 v[207:208], v[205:206], v[203:204]
	v_fma_f64 v[188:189], -v[188:189], v[207:208], v[205:206]
	v_div_fmas_f64 v[188:189], v[188:189], v[203:204], v[207:208]
	v_div_fixup_f64 v[188:189], v[188:189], v[186:187], 1.0
	v_mul_f64 v[186:187], v[201:202], v[188:189]
	v_xor_b32_e32 v189, 0x80000000, v189
.LBB90_931:
	s_andn2_saveexec_b32 s7, s7
	s_cbranch_execz .LBB90_933
; %bb.932:
	v_div_scale_f64 v[201:202], null, v[186:187], v[186:187], v[188:189]
	v_div_scale_f64 v[207:208], vcc_lo, v[188:189], v[186:187], v[188:189]
	v_rcp_f64_e32 v[203:204], v[201:202]
	v_fma_f64 v[205:206], -v[201:202], v[203:204], 1.0
	v_fma_f64 v[203:204], v[203:204], v[205:206], v[203:204]
	v_fma_f64 v[205:206], -v[201:202], v[203:204], 1.0
	v_fma_f64 v[203:204], v[203:204], v[205:206], v[203:204]
	v_mul_f64 v[205:206], v[207:208], v[203:204]
	v_fma_f64 v[201:202], -v[201:202], v[205:206], v[207:208]
	v_div_fmas_f64 v[201:202], v[201:202], v[203:204], v[205:206]
	v_div_fixup_f64 v[201:202], v[201:202], v[186:187], v[188:189]
	v_fma_f64 v[186:187], v[188:189], v[201:202], v[186:187]
	v_div_scale_f64 v[188:189], null, v[186:187], v[186:187], 1.0
	v_rcp_f64_e32 v[203:204], v[188:189]
	v_fma_f64 v[205:206], -v[188:189], v[203:204], 1.0
	v_fma_f64 v[203:204], v[203:204], v[205:206], v[203:204]
	v_fma_f64 v[205:206], -v[188:189], v[203:204], 1.0
	v_fma_f64 v[203:204], v[203:204], v[205:206], v[203:204]
	v_div_scale_f64 v[205:206], vcc_lo, 1.0, v[186:187], 1.0
	v_mul_f64 v[207:208], v[205:206], v[203:204]
	v_fma_f64 v[188:189], -v[188:189], v[207:208], v[205:206]
	v_div_fmas_f64 v[188:189], v[188:189], v[203:204], v[207:208]
	v_div_fixup_f64 v[186:187], v[188:189], v[186:187], 1.0
	v_mul_f64 v[188:189], v[201:202], -v[186:187]
.LBB90_933:
	s_or_b32 exec_lo, exec_lo, s7
.LBB90_934:
	s_or_b32 exec_lo, exec_lo, s0
	s_mov_b32 s0, exec_lo
	v_cmpx_ne_u32_e64 v200, v194
	s_xor_b32 s0, exec_lo, s0
	s_cbranch_execz .LBB90_940
; %bb.935:
	s_mov_b32 s7, exec_lo
	v_cmpx_eq_u32_e32 44, v200
	s_cbranch_execz .LBB90_939
; %bb.936:
	v_cmp_ne_u32_e32 vcc_lo, 44, v194
	s_xor_b32 s8, s16, -1
	s_and_b32 s9, s8, vcc_lo
	s_and_saveexec_b32 s8, s9
	s_cbranch_execz .LBB90_938
; %bb.937:
	v_ashrrev_i32_e32 v195, 31, v194
	v_lshlrev_b64 v[200:201], 2, v[194:195]
	v_add_co_u32 v200, vcc_lo, v192, v200
	v_add_co_ci_u32_e64 v201, null, v193, v201, vcc_lo
	s_clause 0x1
	global_load_dword v0, v[200:201], off
	global_load_dword v195, v[192:193], off offset:176
	s_waitcnt vmcnt(1)
	global_store_dword v[192:193], v0, off offset:176
	s_waitcnt vmcnt(0)
	global_store_dword v[200:201], v195, off
.LBB90_938:
	s_or_b32 exec_lo, exec_lo, s8
	v_mov_b32_e32 v200, v194
	v_mov_b32_e32 v0, v194
.LBB90_939:
	s_or_b32 exec_lo, exec_lo, s7
.LBB90_940:
	s_andn2_saveexec_b32 s0, s0
; %bb.941:
	v_mov_b32_e32 v200, 44
	ds_write2_b64 v1, v[2:3], v[4:5] offset0:90 offset1:91
; %bb.942:
	s_or_b32 exec_lo, exec_lo, s0
	s_mov_b32 s0, exec_lo
	s_waitcnt lgkmcnt(0)
	s_waitcnt_vscnt null, 0x0
	s_barrier
	buffer_gl0_inv
	v_cmpx_lt_i32_e32 44, v200
	s_cbranch_execz .LBB90_944
; %bb.943:
	v_mul_f64 v[194:195], v[186:187], v[8:9]
	v_mul_f64 v[8:9], v[188:189], v[8:9]
	ds_read2_b64 v[201:204], v1 offset0:90 offset1:91
	v_fma_f64 v[188:189], v[188:189], v[6:7], v[194:195]
	v_fma_f64 v[6:7], v[186:187], v[6:7], -v[8:9]
	s_waitcnt lgkmcnt(0)
	v_mul_f64 v[8:9], v[203:204], v[188:189]
	v_mul_f64 v[186:187], v[201:202], v[188:189]
	v_fma_f64 v[8:9], v[201:202], v[6:7], -v[8:9]
	v_fma_f64 v[186:187], v[203:204], v[6:7], v[186:187]
	v_add_f64 v[2:3], v[2:3], -v[8:9]
	v_add_f64 v[4:5], v[4:5], -v[186:187]
	v_mov_b32_e32 v8, v188
	v_mov_b32_e32 v9, v189
.LBB90_944:
	s_or_b32 exec_lo, exec_lo, s0
	v_lshl_add_u32 v186, v200, 4, v1
	s_barrier
	buffer_gl0_inv
	v_mov_b32_e32 v194, 45
	ds_write2_b64 v186, v[2:3], v[4:5] offset1:1
	s_waitcnt lgkmcnt(0)
	s_barrier
	buffer_gl0_inv
	ds_read2_b64 v[186:189], v1 offset0:90 offset1:91
	s_cmp_lt_i32 s1, 47
	s_cbranch_scc1 .LBB90_947
; %bb.945:
	v_add3_u32 v1, v196, 0, 0x2e0
	v_mov_b32_e32 v194, 45
	s_mov_b32 s7, 46
	s_inst_prefetch 0x1
	.p2align	6
.LBB90_946:                             ; =>This Inner Loop Header: Depth=1
	s_waitcnt lgkmcnt(0)
	v_cmp_gt_f64_e32 vcc_lo, 0, v[188:189]
	v_cmp_gt_f64_e64 s0, 0, v[186:187]
	ds_read2_b64 v[201:204], v1 offset1:1
	v_xor_b32_e32 v196, 0x80000000, v187
	v_xor_b32_e32 v206, 0x80000000, v189
	v_mov_b32_e32 v195, v186
	v_mov_b32_e32 v205, v188
	v_add_nc_u32_e32 v1, 16, v1
	s_waitcnt lgkmcnt(0)
	v_xor_b32_e32 v208, 0x80000000, v204
	v_cndmask_b32_e64 v196, v187, v196, s0
	v_cndmask_b32_e32 v206, v189, v206, vcc_lo
	v_cmp_gt_f64_e32 vcc_lo, 0, v[203:204]
	v_cmp_gt_f64_e64 s0, 0, v[201:202]
	v_mov_b32_e32 v207, v203
	v_add_f64 v[195:196], v[195:196], v[205:206]
	v_xor_b32_e32 v206, 0x80000000, v202
	v_mov_b32_e32 v205, v201
	v_cndmask_b32_e32 v208, v204, v208, vcc_lo
	v_cndmask_b32_e64 v206, v202, v206, s0
	v_add_f64 v[205:206], v[205:206], v[207:208]
	v_cmp_lt_f64_e32 vcc_lo, v[195:196], v[205:206]
	v_cndmask_b32_e32 v187, v187, v202, vcc_lo
	v_cndmask_b32_e32 v186, v186, v201, vcc_lo
	;; [unrolled: 1-line block ×4, first 2 shown]
	v_cndmask_b32_e64 v194, v194, s7, vcc_lo
	s_add_i32 s7, s7, 1
	s_cmp_lg_u32 s1, s7
	s_cbranch_scc1 .LBB90_946
.LBB90_947:
	s_inst_prefetch 0x2
	s_waitcnt lgkmcnt(0)
	v_cmp_eq_f64_e32 vcc_lo, 0, v[186:187]
	v_cmp_eq_f64_e64 s0, 0, v[188:189]
	s_and_b32 s0, vcc_lo, s0
	s_and_saveexec_b32 s1, s0
	s_xor_b32 s0, exec_lo, s1
; %bb.948:
	v_cmp_ne_u32_e32 vcc_lo, 0, v199
	v_cndmask_b32_e32 v199, 46, v199, vcc_lo
; %bb.949:
	s_andn2_saveexec_b32 s0, s0
	s_cbranch_execz .LBB90_955
; %bb.950:
	v_cmp_ngt_f64_e64 s1, |v[186:187]|, |v[188:189]|
	s_and_saveexec_b32 s7, s1
	s_xor_b32 s1, exec_lo, s7
	s_cbranch_execz .LBB90_952
; %bb.951:
	v_div_scale_f64 v[195:196], null, v[188:189], v[188:189], v[186:187]
	v_div_scale_f64 v[205:206], vcc_lo, v[186:187], v[188:189], v[186:187]
	v_rcp_f64_e32 v[201:202], v[195:196]
	v_fma_f64 v[203:204], -v[195:196], v[201:202], 1.0
	v_fma_f64 v[201:202], v[201:202], v[203:204], v[201:202]
	v_fma_f64 v[203:204], -v[195:196], v[201:202], 1.0
	v_fma_f64 v[201:202], v[201:202], v[203:204], v[201:202]
	v_mul_f64 v[203:204], v[205:206], v[201:202]
	v_fma_f64 v[195:196], -v[195:196], v[203:204], v[205:206]
	v_div_fmas_f64 v[195:196], v[195:196], v[201:202], v[203:204]
	v_div_fixup_f64 v[195:196], v[195:196], v[188:189], v[186:187]
	v_fma_f64 v[186:187], v[186:187], v[195:196], v[188:189]
	v_div_scale_f64 v[188:189], null, v[186:187], v[186:187], 1.0
	v_rcp_f64_e32 v[201:202], v[188:189]
	v_fma_f64 v[203:204], -v[188:189], v[201:202], 1.0
	v_fma_f64 v[201:202], v[201:202], v[203:204], v[201:202]
	v_fma_f64 v[203:204], -v[188:189], v[201:202], 1.0
	v_fma_f64 v[201:202], v[201:202], v[203:204], v[201:202]
	v_div_scale_f64 v[203:204], vcc_lo, 1.0, v[186:187], 1.0
	v_mul_f64 v[205:206], v[203:204], v[201:202]
	v_fma_f64 v[188:189], -v[188:189], v[205:206], v[203:204]
	v_div_fmas_f64 v[188:189], v[188:189], v[201:202], v[205:206]
	v_div_fixup_f64 v[188:189], v[188:189], v[186:187], 1.0
	v_mul_f64 v[186:187], v[195:196], v[188:189]
	v_xor_b32_e32 v189, 0x80000000, v189
.LBB90_952:
	s_andn2_saveexec_b32 s1, s1
	s_cbranch_execz .LBB90_954
; %bb.953:
	v_div_scale_f64 v[195:196], null, v[186:187], v[186:187], v[188:189]
	v_div_scale_f64 v[205:206], vcc_lo, v[188:189], v[186:187], v[188:189]
	v_rcp_f64_e32 v[201:202], v[195:196]
	v_fma_f64 v[203:204], -v[195:196], v[201:202], 1.0
	v_fma_f64 v[201:202], v[201:202], v[203:204], v[201:202]
	v_fma_f64 v[203:204], -v[195:196], v[201:202], 1.0
	v_fma_f64 v[201:202], v[201:202], v[203:204], v[201:202]
	v_mul_f64 v[203:204], v[205:206], v[201:202]
	v_fma_f64 v[195:196], -v[195:196], v[203:204], v[205:206]
	v_div_fmas_f64 v[195:196], v[195:196], v[201:202], v[203:204]
	v_div_fixup_f64 v[195:196], v[195:196], v[186:187], v[188:189]
	v_fma_f64 v[186:187], v[188:189], v[195:196], v[186:187]
	v_div_scale_f64 v[188:189], null, v[186:187], v[186:187], 1.0
	v_rcp_f64_e32 v[201:202], v[188:189]
	v_fma_f64 v[203:204], -v[188:189], v[201:202], 1.0
	v_fma_f64 v[201:202], v[201:202], v[203:204], v[201:202]
	v_fma_f64 v[203:204], -v[188:189], v[201:202], 1.0
	v_fma_f64 v[201:202], v[201:202], v[203:204], v[201:202]
	v_div_scale_f64 v[203:204], vcc_lo, 1.0, v[186:187], 1.0
	v_mul_f64 v[205:206], v[203:204], v[201:202]
	v_fma_f64 v[188:189], -v[188:189], v[205:206], v[203:204]
	v_div_fmas_f64 v[188:189], v[188:189], v[201:202], v[205:206]
	v_div_fixup_f64 v[186:187], v[188:189], v[186:187], 1.0
	v_mul_f64 v[188:189], v[195:196], -v[186:187]
.LBB90_954:
	s_or_b32 exec_lo, exec_lo, s1
.LBB90_955:
	s_or_b32 exec_lo, exec_lo, s0
	v_mov_b32_e32 v195, 45
	s_mov_b32 s0, exec_lo
	v_cmpx_ne_u32_e64 v200, v194
	s_cbranch_execz .LBB90_961
; %bb.956:
	s_mov_b32 s1, exec_lo
	v_cmpx_eq_u32_e32 45, v200
	s_cbranch_execz .LBB90_960
; %bb.957:
	v_cmp_ne_u32_e32 vcc_lo, 45, v194
	s_xor_b32 s7, s16, -1
	s_and_b32 s8, s7, vcc_lo
	s_and_saveexec_b32 s7, s8
	s_cbranch_execz .LBB90_959
; %bb.958:
	v_ashrrev_i32_e32 v195, 31, v194
	v_lshlrev_b64 v[0:1], 2, v[194:195]
	v_add_co_u32 v0, vcc_lo, v192, v0
	v_add_co_ci_u32_e64 v1, null, v193, v1, vcc_lo
	s_clause 0x1
	global_load_dword v195, v[0:1], off
	global_load_dword v196, v[192:193], off offset:180
	s_waitcnt vmcnt(1)
	global_store_dword v[192:193], v195, off offset:180
	s_waitcnt vmcnt(0)
	global_store_dword v[0:1], v196, off
.LBB90_959:
	s_or_b32 exec_lo, exec_lo, s7
	v_mov_b32_e32 v200, v194
	v_mov_b32_e32 v0, v194
.LBB90_960:
	s_or_b32 exec_lo, exec_lo, s1
	v_mov_b32_e32 v195, v200
.LBB90_961:
	s_or_b32 exec_lo, exec_lo, s0
	s_mov_b32 s0, exec_lo
	s_waitcnt_vscnt null, 0x0
	s_barrier
	buffer_gl0_inv
	v_cmpx_lt_i32_e32 45, v195
	s_cbranch_execz .LBB90_963
; %bb.962:
	v_mul_f64 v[192:193], v[188:189], v[4:5]
	v_mul_f64 v[4:5], v[186:187], v[4:5]
	v_fma_f64 v[186:187], v[186:187], v[2:3], -v[192:193]
	v_fma_f64 v[4:5], v[188:189], v[2:3], v[4:5]
	v_mov_b32_e32 v2, v186
	v_mov_b32_e32 v3, v187
.LBB90_963:
	s_or_b32 exec_lo, exec_lo, s0
	v_ashrrev_i32_e32 v196, 31, v195
	s_mov_b32 s0, exec_lo
	s_barrier
	buffer_gl0_inv
	v_cmpx_gt_i32_e32 46, v195
	s_cbranch_execz .LBB90_965
; %bb.964:
	v_mul_lo_u32 v1, s15, v190
	v_mul_lo_u32 v188, s14, v191
	v_mad_u64_u32 v[186:187], null, s14, v190, 0
	s_lshl_b64 s[8:9], s[12:13], 2
	v_add3_u32 v0, v0, s17, 1
	v_add3_u32 v187, v187, v188, v1
	v_lshlrev_b64 v[186:187], 2, v[186:187]
	v_add_co_u32 v1, vcc_lo, s10, v186
	v_add_co_ci_u32_e64 v188, null, s11, v187, vcc_lo
	v_lshlrev_b64 v[186:187], 2, v[195:196]
	v_add_co_u32 v1, vcc_lo, v1, s8
	v_add_co_ci_u32_e64 v188, null, s9, v188, vcc_lo
	v_add_co_u32 v186, vcc_lo, v1, v186
	v_add_co_ci_u32_e64 v187, null, v188, v187, vcc_lo
	global_store_dword v[186:187], v0, off
.LBB90_965:
	s_or_b32 exec_lo, exec_lo, s0
	s_mov_b32 s1, exec_lo
	v_cmpx_eq_u32_e32 0, v195
	s_cbranch_execz .LBB90_968
; %bb.966:
	v_lshlrev_b64 v[0:1], 2, v[190:191]
	v_cmp_ne_u32_e64 s0, 0, v199
	v_add_co_u32 v0, vcc_lo, s4, v0
	v_add_co_ci_u32_e64 v1, null, s5, v1, vcc_lo
	global_load_dword v186, v[0:1], off
	s_waitcnt vmcnt(0)
	v_cmp_eq_u32_e32 vcc_lo, 0, v186
	s_and_b32 s0, vcc_lo, s0
	s_and_b32 exec_lo, exec_lo, s0
	s_cbranch_execz .LBB90_968
; %bb.967:
	v_add_nc_u32_e32 v186, s17, v199
	global_store_dword v[0:1], v186, off
.LBB90_968:
	s_or_b32 exec_lo, exec_lo, s1
	v_add3_u32 v0, s6, s6, v195
	v_lshlrev_b64 v[186:187], 4, v[195:196]
	v_add_nc_u32_e32 v188, s6, v0
	v_ashrrev_i32_e32 v1, 31, v0
	v_add_co_u32 v186, vcc_lo, v197, v186
	v_add_co_ci_u32_e64 v187, null, v198, v187, vcc_lo
	v_ashrrev_i32_e32 v189, 31, v188
	v_lshlrev_b64 v[0:1], 4, v[0:1]
	global_store_dwordx4 v[186:187], v[182:185], off
	v_add_co_u32 v182, vcc_lo, v186, s2
	v_lshlrev_b64 v[184:185], 4, v[188:189]
	v_add_nc_u32_e32 v186, s6, v188
	v_add_co_ci_u32_e64 v183, null, s3, v187, vcc_lo
	v_add_co_u32 v0, vcc_lo, v197, v0
	v_add_co_ci_u32_e64 v1, null, v198, v1, vcc_lo
	v_add_co_u32 v184, vcc_lo, v197, v184
	v_add_nc_u32_e32 v188, s6, v186
	v_add_co_ci_u32_e64 v185, null, v198, v185, vcc_lo
	v_ashrrev_i32_e32 v187, 31, v186
	global_store_dwordx4 v[182:183], v[178:181], off
	global_store_dwordx4 v[0:1], v[174:177], off
	;; [unrolled: 1-line block ×3, first 2 shown]
	v_add_nc_u32_e32 v170, s6, v188
	v_ashrrev_i32_e32 v189, 31, v188
	v_lshlrev_b64 v[178:179], 4, v[186:187]
	v_add_nc_u32_e32 v174, s6, v170
	v_lshlrev_b64 v[0:1], 4, v[188:189]
	v_ashrrev_i32_e32 v171, 31, v170
	v_add_co_u32 v172, vcc_lo, v197, v178
	v_add_nc_u32_e32 v176, s6, v174
	v_add_co_ci_u32_e64 v173, null, v198, v179, vcc_lo
	v_add_co_u32 v0, vcc_lo, v197, v0
	v_ashrrev_i32_e32 v175, 31, v174
	v_add_co_ci_u32_e64 v1, null, v198, v1, vcc_lo
	v_ashrrev_i32_e32 v177, 31, v176
	v_lshlrev_b64 v[170:171], 4, v[170:171]
	global_store_dwordx4 v[172:173], v[166:169], off
	global_store_dwordx4 v[0:1], v[162:165], off
	v_lshlrev_b64 v[0:1], 4, v[174:175]
	v_add_nc_u32_e32 v166, s6, v176
	v_lshlrev_b64 v[164:165], 4, v[176:177]
	v_add_co_u32 v162, vcc_lo, v197, v170
	v_add_co_ci_u32_e64 v163, null, v198, v171, vcc_lo
	v_add_co_u32 v0, vcc_lo, v197, v0
	v_add_co_ci_u32_e64 v1, null, v198, v1, vcc_lo
	v_ashrrev_i32_e32 v167, 31, v166
	v_add_co_u32 v164, vcc_lo, v197, v164
	v_add_nc_u32_e32 v168, s6, v166
	v_add_co_ci_u32_e64 v165, null, v198, v165, vcc_lo
	global_store_dwordx4 v[162:163], v[154:157], off
	v_lshlrev_b64 v[154:155], 4, v[166:167]
	v_ashrrev_i32_e32 v169, 31, v168
	global_store_dwordx4 v[0:1], v[150:153], off
	global_store_dwordx4 v[164:165], v[158:161], off
	v_add_nc_u32_e32 v150, s6, v168
	v_lshlrev_b64 v[0:1], 4, v[168:169]
	v_add_co_u32 v152, vcc_lo, v197, v154
	v_add_nc_u32_e32 v154, s6, v150
	v_ashrrev_i32_e32 v151, 31, v150
	v_add_co_ci_u32_e64 v153, null, v198, v155, vcc_lo
	v_add_co_u32 v0, vcc_lo, v197, v0
	v_add_nc_u32_e32 v156, s6, v154
	v_add_co_ci_u32_e64 v1, null, v198, v1, vcc_lo
	v_ashrrev_i32_e32 v155, 31, v154
	v_lshlrev_b64 v[150:151], 4, v[150:151]
	v_ashrrev_i32_e32 v157, 31, v156
	global_store_dwordx4 v[152:153], v[142:145], off
	global_store_dwordx4 v[0:1], v[146:149], off
	v_add_nc_u32_e32 v146, s6, v156
	v_lshlrev_b64 v[0:1], 4, v[154:155]
	v_add_co_u32 v142, vcc_lo, v197, v150
	v_lshlrev_b64 v[144:145], 4, v[156:157]
	v_add_co_ci_u32_e64 v143, null, v198, v151, vcc_lo
	v_add_nc_u32_e32 v148, s6, v146
	v_add_co_u32 v0, vcc_lo, v197, v0
	v_add_co_ci_u32_e64 v1, null, v198, v1, vcc_lo
	v_ashrrev_i32_e32 v147, 31, v146
	v_add_co_u32 v144, vcc_lo, v197, v144
	global_store_dwordx4 v[142:143], v[130:133], off
	v_add_nc_u32_e32 v132, s6, v148
	v_add_co_ci_u32_e64 v145, null, v198, v145, vcc_lo
	v_ashrrev_i32_e32 v149, 31, v148
	v_lshlrev_b64 v[130:131], 4, v[146:147]
	global_store_dwordx4 v[0:1], v[138:141], off
	global_store_dwordx4 v[144:145], v[134:137], off
	v_add_nc_u32_e32 v134, s6, v132
	v_ashrrev_i32_e32 v133, 31, v132
	v_lshlrev_b64 v[0:1], 4, v[148:149]
	v_add_co_u32 v130, vcc_lo, v197, v130
	v_add_nc_u32_e32 v136, s6, v134
	v_add_co_ci_u32_e64 v131, null, v198, v131, vcc_lo
	v_add_co_u32 v0, vcc_lo, v197, v0
	v_ashrrev_i32_e32 v135, 31, v134
	v_add_co_ci_u32_e64 v1, null, v198, v1, vcc_lo
	v_ashrrev_i32_e32 v137, 31, v136
	v_lshlrev_b64 v[132:133], 4, v[132:133]
	global_store_dwordx4 v[130:131], v[126:129], off
	global_store_dwordx4 v[0:1], v[122:125], off
	v_lshlrev_b64 v[0:1], 4, v[134:135]
	v_add_nc_u32_e32 v126, s6, v136
	v_lshlrev_b64 v[124:125], 4, v[136:137]
	v_add_co_u32 v122, vcc_lo, v197, v132
	v_add_co_ci_u32_e64 v123, null, v198, v133, vcc_lo
	v_add_co_u32 v0, vcc_lo, v197, v0
	v_add_co_ci_u32_e64 v1, null, v198, v1, vcc_lo
	v_ashrrev_i32_e32 v127, 31, v126
	v_add_co_u32 v124, vcc_lo, v197, v124
	v_add_nc_u32_e32 v128, s6, v126
	v_add_co_ci_u32_e64 v125, null, v198, v125, vcc_lo
	global_store_dwordx4 v[122:123], v[114:117], off
	v_lshlrev_b64 v[114:115], 4, v[126:127]
	v_ashrrev_i32_e32 v129, 31, v128
	global_store_dwordx4 v[0:1], v[110:113], off
	global_store_dwordx4 v[124:125], v[118:121], off
	v_add_nc_u32_e32 v110, s6, v128
	v_lshlrev_b64 v[0:1], 4, v[128:129]
	v_add_co_u32 v112, vcc_lo, v197, v114
	v_add_nc_u32_e32 v114, s6, v110
	v_ashrrev_i32_e32 v111, 31, v110
	v_add_co_ci_u32_e64 v113, null, v198, v115, vcc_lo
	v_add_co_u32 v0, vcc_lo, v197, v0
	v_add_nc_u32_e32 v116, s6, v114
	v_add_co_ci_u32_e64 v1, null, v198, v1, vcc_lo
	v_ashrrev_i32_e32 v115, 31, v114
	v_lshlrev_b64 v[110:111], 4, v[110:111]
	v_ashrrev_i32_e32 v117, 31, v116
	global_store_dwordx4 v[112:113], v[102:105], off
	global_store_dwordx4 v[0:1], v[106:109], off
	v_add_nc_u32_e32 v106, s6, v116
	v_lshlrev_b64 v[0:1], 4, v[114:115]
	v_add_co_u32 v102, vcc_lo, v197, v110
	v_lshlrev_b64 v[104:105], 4, v[116:117]
	v_add_co_ci_u32_e64 v103, null, v198, v111, vcc_lo
	v_add_nc_u32_e32 v108, s6, v106
	v_add_co_u32 v0, vcc_lo, v197, v0
	v_add_co_ci_u32_e64 v1, null, v198, v1, vcc_lo
	v_ashrrev_i32_e32 v107, 31, v106
	v_add_co_u32 v104, vcc_lo, v197, v104
	global_store_dwordx4 v[102:103], v[90:93], off
	v_add_nc_u32_e32 v92, s6, v108
	v_add_co_ci_u32_e64 v105, null, v198, v105, vcc_lo
	v_ashrrev_i32_e32 v109, 31, v108
	v_lshlrev_b64 v[90:91], 4, v[106:107]
	global_store_dwordx4 v[0:1], v[98:101], off
	global_store_dwordx4 v[104:105], v[94:97], off
	v_add_nc_u32_e32 v94, s6, v92
	v_ashrrev_i32_e32 v93, 31, v92
	v_lshlrev_b64 v[0:1], 4, v[108:109]
	v_add_co_u32 v90, vcc_lo, v197, v90
	v_add_nc_u32_e32 v96, s6, v94
	v_add_co_ci_u32_e64 v91, null, v198, v91, vcc_lo
	v_add_co_u32 v0, vcc_lo, v197, v0
	v_ashrrev_i32_e32 v95, 31, v94
	v_add_co_ci_u32_e64 v1, null, v198, v1, vcc_lo
	v_ashrrev_i32_e32 v97, 31, v96
	v_lshlrev_b64 v[92:93], 4, v[92:93]
	global_store_dwordx4 v[90:91], v[86:89], off
	global_store_dwordx4 v[0:1], v[82:85], off
	v_lshlrev_b64 v[0:1], 4, v[94:95]
	v_add_nc_u32_e32 v86, s6, v96
	v_lshlrev_b64 v[84:85], 4, v[96:97]
	v_add_co_u32 v82, vcc_lo, v197, v92
	v_add_co_ci_u32_e64 v83, null, v198, v93, vcc_lo
	v_add_co_u32 v0, vcc_lo, v197, v0
	v_add_co_ci_u32_e64 v1, null, v198, v1, vcc_lo
	v_ashrrev_i32_e32 v87, 31, v86
	v_add_nc_u32_e32 v88, s6, v86
	v_add_co_u32 v84, vcc_lo, v197, v84
	v_add_co_ci_u32_e64 v85, null, v198, v85, vcc_lo
	v_ashrrev_i32_e32 v89, 31, v88
	global_store_dwordx4 v[82:83], v[74:77], off
	v_lshlrev_b64 v[74:75], 4, v[86:87]
	global_store_dwordx4 v[0:1], v[70:73], off
	global_store_dwordx4 v[84:85], v[78:81], off
	v_add_nc_u32_e32 v70, s6, v88
	v_lshlrev_b64 v[0:1], 4, v[88:89]
	v_add_co_u32 v72, vcc_lo, v197, v74
	v_add_nc_u32_e32 v74, s6, v70
	v_ashrrev_i32_e32 v71, 31, v70
	v_add_co_ci_u32_e64 v73, null, v198, v75, vcc_lo
	v_add_co_u32 v0, vcc_lo, v197, v0
	v_add_nc_u32_e32 v76, s6, v74
	v_add_co_ci_u32_e64 v1, null, v198, v1, vcc_lo
	v_ashrrev_i32_e32 v75, 31, v74
	v_lshlrev_b64 v[70:71], 4, v[70:71]
	v_ashrrev_i32_e32 v77, 31, v76
	global_store_dwordx4 v[72:73], v[54:57], off
	global_store_dwordx4 v[0:1], v[58:61], off
	v_add_nc_u32_e32 v58, s6, v76
	v_lshlrev_b64 v[0:1], 4, v[74:75]
	v_add_co_u32 v54, vcc_lo, v197, v70
	v_lshlrev_b64 v[56:57], 4, v[76:77]
	v_add_co_ci_u32_e64 v55, null, v198, v71, vcc_lo
	v_add_nc_u32_e32 v60, s6, v58
	v_add_co_u32 v0, vcc_lo, v197, v0
	v_ashrrev_i32_e32 v59, 31, v58
	v_add_co_ci_u32_e64 v1, null, v198, v1, vcc_lo
	v_add_co_u32 v56, vcc_lo, v197, v56
	global_store_dwordx4 v[54:55], v[42:45], off
	v_add_nc_u32_e32 v44, s6, v60
	v_ashrrev_i32_e32 v61, 31, v60
	v_add_co_ci_u32_e64 v57, null, v198, v57, vcc_lo
	v_lshlrev_b64 v[42:43], 4, v[58:59]
	v_add_nc_u32_e32 v54, s6, v44
	global_store_dwordx4 v[0:1], v[62:65], off
	global_store_dwordx4 v[56:57], v[66:69], off
	v_lshlrev_b64 v[0:1], 4, v[60:61]
	v_ashrrev_i32_e32 v45, 31, v44
	v_add_co_u32 v42, vcc_lo, v197, v42
	v_add_nc_u32_e32 v56, s6, v54
	v_add_co_ci_u32_e64 v43, null, v198, v43, vcc_lo
	v_add_co_u32 v0, vcc_lo, v197, v0
	v_lshlrev_b64 v[44:45], 4, v[44:45]
	v_ashrrev_i32_e32 v55, 31, v54
	v_add_co_ci_u32_e64 v1, null, v198, v1, vcc_lo
	v_ashrrev_i32_e32 v57, 31, v56
	global_store_dwordx4 v[42:43], v[50:53], off
	global_store_dwordx4 v[0:1], v[46:49], off
	v_lshlrev_b64 v[0:1], 4, v[54:55]
	v_add_co_u32 v42, vcc_lo, v197, v44
	v_add_nc_u32_e32 v46, s6, v56
	v_add_co_ci_u32_e64 v43, null, v198, v45, vcc_lo
	v_lshlrev_b64 v[44:45], 4, v[56:57]
	v_add_co_u32 v0, vcc_lo, v197, v0
	v_add_nc_u32_e32 v48, s6, v46
	v_add_co_ci_u32_e64 v1, null, v198, v1, vcc_lo
	v_add_co_u32 v44, vcc_lo, v197, v44
	v_ashrrev_i32_e32 v47, 31, v46
	v_add_co_ci_u32_e64 v45, null, v198, v45, vcc_lo
	v_ashrrev_i32_e32 v49, 31, v48
	global_store_dwordx4 v[42:43], v[38:41], off
	v_lshlrev_b64 v[38:39], 4, v[46:47]
	global_store_dwordx4 v[0:1], v[34:37], off
	global_store_dwordx4 v[44:45], v[30:33], off
	v_add_nc_u32_e32 v30, s6, v48
	v_lshlrev_b64 v[0:1], 4, v[48:49]
	v_add_co_u32 v32, vcc_lo, v197, v38
	v_add_nc_u32_e32 v34, s6, v30
	v_add_co_ci_u32_e64 v33, null, v198, v39, vcc_lo
	v_add_co_u32 v0, vcc_lo, v197, v0
	v_add_co_ci_u32_e64 v1, null, v198, v1, vcc_lo
	v_add_nc_u32_e32 v36, s6, v34
	v_ashrrev_i32_e32 v31, 31, v30
	global_store_dwordx4 v[32:33], v[26:29], off
	global_store_dwordx4 v[0:1], v[22:25], off
	v_ashrrev_i32_e32 v35, 31, v34
	v_add_nc_u32_e32 v22, s6, v36
	v_lshlrev_b64 v[26:27], 4, v[30:31]
	v_ashrrev_i32_e32 v37, 31, v36
	v_lshlrev_b64 v[0:1], 4, v[34:35]
	v_add_nc_u32_e32 v28, s6, v22
	v_ashrrev_i32_e32 v23, 31, v22
	v_add_co_u32 v24, vcc_lo, v197, v26
	v_add_co_ci_u32_e64 v25, null, v198, v27, vcc_lo
	v_ashrrev_i32_e32 v29, 31, v28
	v_lshlrev_b64 v[26:27], 4, v[36:37]
	v_lshlrev_b64 v[22:23], 4, v[22:23]
	v_add_co_u32 v0, vcc_lo, v197, v0
	v_lshlrev_b64 v[28:29], 4, v[28:29]
	v_add_co_ci_u32_e64 v1, null, v198, v1, vcc_lo
	v_add_co_u32 v26, vcc_lo, v197, v26
	v_add_co_ci_u32_e64 v27, null, v198, v27, vcc_lo
	v_add_co_u32 v22, vcc_lo, v197, v22
	;; [unrolled: 2-line block ×3, first 2 shown]
	v_add_co_ci_u32_e64 v29, null, v198, v29, vcc_lo
	global_store_dwordx4 v[24:25], v[18:21], off
	global_store_dwordx4 v[0:1], v[14:17], off
	;; [unrolled: 1-line block ×5, first 2 shown]
.LBB90_969:
	s_endpgm
	.section	.rodata,"a",@progbits
	.p2align	6, 0x0
	.amdhsa_kernel _ZN9rocsolver6v33100L18getf2_small_kernelILi46E19rocblas_complex_numIdEiiPS3_EEvT1_T3_lS5_lPS5_llPT2_S5_S5_S7_l
		.amdhsa_group_segment_fixed_size 0
		.amdhsa_private_segment_fixed_size 0
		.amdhsa_kernarg_size 352
		.amdhsa_user_sgpr_count 6
		.amdhsa_user_sgpr_private_segment_buffer 1
		.amdhsa_user_sgpr_dispatch_ptr 0
		.amdhsa_user_sgpr_queue_ptr 0
		.amdhsa_user_sgpr_kernarg_segment_ptr 1
		.amdhsa_user_sgpr_dispatch_id 0
		.amdhsa_user_sgpr_flat_scratch_init 0
		.amdhsa_user_sgpr_private_segment_size 0
		.amdhsa_wavefront_size32 1
		.amdhsa_uses_dynamic_stack 0
		.amdhsa_system_sgpr_private_segment_wavefront_offset 0
		.amdhsa_system_sgpr_workgroup_id_x 1
		.amdhsa_system_sgpr_workgroup_id_y 1
		.amdhsa_system_sgpr_workgroup_id_z 0
		.amdhsa_system_sgpr_workgroup_info 0
		.amdhsa_system_vgpr_workitem_id 1
		.amdhsa_next_free_vgpr 251
		.amdhsa_next_free_sgpr 18
		.amdhsa_reserve_vcc 1
		.amdhsa_reserve_flat_scratch 0
		.amdhsa_float_round_mode_32 0
		.amdhsa_float_round_mode_16_64 0
		.amdhsa_float_denorm_mode_32 3
		.amdhsa_float_denorm_mode_16_64 3
		.amdhsa_dx10_clamp 1
		.amdhsa_ieee_mode 1
		.amdhsa_fp16_overflow 0
		.amdhsa_workgroup_processor_mode 1
		.amdhsa_memory_ordered 1
		.amdhsa_forward_progress 1
		.amdhsa_shared_vgpr_count 0
		.amdhsa_exception_fp_ieee_invalid_op 0
		.amdhsa_exception_fp_denorm_src 0
		.amdhsa_exception_fp_ieee_div_zero 0
		.amdhsa_exception_fp_ieee_overflow 0
		.amdhsa_exception_fp_ieee_underflow 0
		.amdhsa_exception_fp_ieee_inexact 0
		.amdhsa_exception_int_div_zero 0
	.end_amdhsa_kernel
	.section	.text._ZN9rocsolver6v33100L18getf2_small_kernelILi46E19rocblas_complex_numIdEiiPS3_EEvT1_T3_lS5_lPS5_llPT2_S5_S5_S7_l,"axG",@progbits,_ZN9rocsolver6v33100L18getf2_small_kernelILi46E19rocblas_complex_numIdEiiPS3_EEvT1_T3_lS5_lPS5_llPT2_S5_S5_S7_l,comdat
.Lfunc_end90:
	.size	_ZN9rocsolver6v33100L18getf2_small_kernelILi46E19rocblas_complex_numIdEiiPS3_EEvT1_T3_lS5_lPS5_llPT2_S5_S5_S7_l, .Lfunc_end90-_ZN9rocsolver6v33100L18getf2_small_kernelILi46E19rocblas_complex_numIdEiiPS3_EEvT1_T3_lS5_lPS5_llPT2_S5_S5_S7_l
                                        ; -- End function
	.set _ZN9rocsolver6v33100L18getf2_small_kernelILi46E19rocblas_complex_numIdEiiPS3_EEvT1_T3_lS5_lPS5_llPT2_S5_S5_S7_l.num_vgpr, 251
	.set _ZN9rocsolver6v33100L18getf2_small_kernelILi46E19rocblas_complex_numIdEiiPS3_EEvT1_T3_lS5_lPS5_llPT2_S5_S5_S7_l.num_agpr, 0
	.set _ZN9rocsolver6v33100L18getf2_small_kernelILi46E19rocblas_complex_numIdEiiPS3_EEvT1_T3_lS5_lPS5_llPT2_S5_S5_S7_l.numbered_sgpr, 18
	.set _ZN9rocsolver6v33100L18getf2_small_kernelILi46E19rocblas_complex_numIdEiiPS3_EEvT1_T3_lS5_lPS5_llPT2_S5_S5_S7_l.num_named_barrier, 0
	.set _ZN9rocsolver6v33100L18getf2_small_kernelILi46E19rocblas_complex_numIdEiiPS3_EEvT1_T3_lS5_lPS5_llPT2_S5_S5_S7_l.private_seg_size, 0
	.set _ZN9rocsolver6v33100L18getf2_small_kernelILi46E19rocblas_complex_numIdEiiPS3_EEvT1_T3_lS5_lPS5_llPT2_S5_S5_S7_l.uses_vcc, 1
	.set _ZN9rocsolver6v33100L18getf2_small_kernelILi46E19rocblas_complex_numIdEiiPS3_EEvT1_T3_lS5_lPS5_llPT2_S5_S5_S7_l.uses_flat_scratch, 0
	.set _ZN9rocsolver6v33100L18getf2_small_kernelILi46E19rocblas_complex_numIdEiiPS3_EEvT1_T3_lS5_lPS5_llPT2_S5_S5_S7_l.has_dyn_sized_stack, 0
	.set _ZN9rocsolver6v33100L18getf2_small_kernelILi46E19rocblas_complex_numIdEiiPS3_EEvT1_T3_lS5_lPS5_llPT2_S5_S5_S7_l.has_recursion, 0
	.set _ZN9rocsolver6v33100L18getf2_small_kernelILi46E19rocblas_complex_numIdEiiPS3_EEvT1_T3_lS5_lPS5_llPT2_S5_S5_S7_l.has_indirect_call, 0
	.section	.AMDGPU.csdata,"",@progbits
; Kernel info:
; codeLenInByte = 119840
; TotalNumSgprs: 20
; NumVgprs: 251
; ScratchSize: 0
; MemoryBound: 0
; FloatMode: 240
; IeeeMode: 1
; LDSByteSize: 0 bytes/workgroup (compile time only)
; SGPRBlocks: 0
; VGPRBlocks: 31
; NumSGPRsForWavesPerEU: 20
; NumVGPRsForWavesPerEU: 251
; Occupancy: 4
; WaveLimiterHint : 0
; COMPUTE_PGM_RSRC2:SCRATCH_EN: 0
; COMPUTE_PGM_RSRC2:USER_SGPR: 6
; COMPUTE_PGM_RSRC2:TRAP_HANDLER: 0
; COMPUTE_PGM_RSRC2:TGID_X_EN: 1
; COMPUTE_PGM_RSRC2:TGID_Y_EN: 1
; COMPUTE_PGM_RSRC2:TGID_Z_EN: 0
; COMPUTE_PGM_RSRC2:TIDIG_COMP_CNT: 1
	.section	.text._ZN9rocsolver6v33100L23getf2_npvt_small_kernelILi46E19rocblas_complex_numIdEiiPS3_EEvT1_T3_lS5_lPT2_S5_S5_,"axG",@progbits,_ZN9rocsolver6v33100L23getf2_npvt_small_kernelILi46E19rocblas_complex_numIdEiiPS3_EEvT1_T3_lS5_lPT2_S5_S5_,comdat
	.globl	_ZN9rocsolver6v33100L23getf2_npvt_small_kernelILi46E19rocblas_complex_numIdEiiPS3_EEvT1_T3_lS5_lPT2_S5_S5_ ; -- Begin function _ZN9rocsolver6v33100L23getf2_npvt_small_kernelILi46E19rocblas_complex_numIdEiiPS3_EEvT1_T3_lS5_lPT2_S5_S5_
	.p2align	8
	.type	_ZN9rocsolver6v33100L23getf2_npvt_small_kernelILi46E19rocblas_complex_numIdEiiPS3_EEvT1_T3_lS5_lPT2_S5_S5_,@function
_ZN9rocsolver6v33100L23getf2_npvt_small_kernelILi46E19rocblas_complex_numIdEiiPS3_EEvT1_T3_lS5_lPT2_S5_S5_: ; @_ZN9rocsolver6v33100L23getf2_npvt_small_kernelILi46E19rocblas_complex_numIdEiiPS3_EEvT1_T3_lS5_lPT2_S5_S5_
; %bb.0:
	s_mov_b64 s[18:19], s[2:3]
	s_mov_b64 s[16:17], s[0:1]
	s_clause 0x1
	s_load_dword s0, s[4:5], 0x44
	s_load_dwordx2 s[12:13], s[4:5], 0x30
	s_add_u32 s16, s16, s8
	s_addc_u32 s17, s17, 0
	s_waitcnt lgkmcnt(0)
	s_lshr_b32 s14, s0, 16
	s_mov_b32 s0, exec_lo
	v_mad_u64_u32 v[2:3], null, s7, s14, v[1:2]
	v_cmpx_gt_i32_e64 s12, v2
	s_cbranch_execz .LBB91_419
; %bb.1:
	s_clause 0x2
	s_load_dwordx4 s[8:11], s[4:5], 0x20
	s_load_dword s6, s[4:5], 0x18
	s_load_dwordx4 s[0:3], s[4:5], 0x8
	v_ashrrev_i32_e32 v3, 31, v2
	v_mad_u32_u24 v253, 0x2e0, v1, 0
	v_lshlrev_b32_e32 v1, 4, v1
	s_mulk_i32 s14, 0x2e0
	v_add3_u32 v255, 0, s14, v1
	s_waitcnt lgkmcnt(0)
	v_mul_lo_u32 v5, s9, v2
	v_mul_lo_u32 v7, s8, v3
	buffer_store_dword v2, off, s[16:19], 0 offset:856 ; 4-byte Folded Spill
	buffer_store_dword v3, off, s[16:19], 0 offset:860 ; 4-byte Folded Spill
	v_add3_u32 v4, s6, s6, v0
	s_lshl_b64 s[2:3], s[2:3], 4
	s_ashr_i32 s7, s6, 31
	v_add_nc_u32_e32 v6, s6, v4
	v_add_nc_u32_e32 v8, s6, v6
	;; [unrolled: 1-line block ×3, first 2 shown]
	v_ashrrev_i32_e32 v9, 31, v8
	v_add_nc_u32_e32 v12, s6, v10
	v_ashrrev_i32_e32 v11, 31, v10
	v_lshlrev_b64 v[8:9], 4, v[8:9]
	v_add_nc_u32_e32 v14, s6, v12
	v_ashrrev_i32_e32 v13, 31, v12
	v_lshlrev_b64 v[10:11], 4, v[10:11]
	v_ashrrev_i32_e32 v15, 31, v14
	v_mad_u64_u32 v[2:3], null, s8, v2, 0
	v_add3_u32 v3, v3, v7, v5
	v_ashrrev_i32_e32 v5, 31, v4
	v_ashrrev_i32_e32 v7, 31, v6
	v_lshlrev_b64 v[2:3], 4, v[2:3]
	v_lshlrev_b64 v[4:5], 4, v[4:5]
	;; [unrolled: 1-line block ×3, first 2 shown]
	v_add_co_u32 v2, vcc_lo, s0, v2
	v_add_co_ci_u32_e64 v3, null, s1, v3, vcc_lo
	s_lshl_b64 s[0:1], s[6:7], 4
	v_add_co_u32 v2, vcc_lo, v2, s2
	v_add_co_ci_u32_e64 v3, null, s3, v3, vcc_lo
	v_add_co_u32 v243, vcc_lo, v2, v4
	v_add_co_ci_u32_e64 v244, null, v3, v5, vcc_lo
	v_add_co_u32 v237, vcc_lo, v2, v6
	v_add_nc_u32_e32 v6, s6, v14
	v_lshlrev_b64 v[4:5], 4, v[12:13]
	v_add_co_ci_u32_e64 v238, null, v3, v7, vcc_lo
	v_add_co_u32 v239, vcc_lo, v2, v8
	v_add_co_ci_u32_e64 v240, null, v3, v9, vcc_lo
	v_add_co_u32 v241, vcc_lo, v2, v10
	v_ashrrev_i32_e32 v7, 31, v6
	v_add_nc_u32_e32 v10, s6, v6
	v_lshlrev_b64 v[8:9], 4, v[14:15]
	v_add_co_ci_u32_e64 v242, null, v3, v11, vcc_lo
	v_add_co_u32 v247, vcc_lo, v2, v4
	v_add_co_ci_u32_e64 v248, null, v3, v5, vcc_lo
	v_lshlrev_b64 v[4:5], 4, v[6:7]
	v_ashrrev_i32_e32 v11, 31, v10
	v_add_nc_u32_e32 v6, s6, v10
	v_add_co_u32 v245, vcc_lo, v2, v8
	v_add_co_ci_u32_e64 v246, null, v3, v9, vcc_lo
	v_lshlrev_b64 v[8:9], 4, v[10:11]
	v_ashrrev_i32_e32 v7, 31, v6
	v_add_nc_u32_e32 v10, s6, v6
	;; [unrolled: 5-line block ×35, first 2 shown]
	v_add_co_u32 v201, vcc_lo, v2, v8
	v_add_co_ci_u32_e64 v202, null, v3, v9, vcc_lo
	v_lshlrev_b64 v[8:9], 4, v[10:11]
	v_add_nc_u32_e32 v10, s6, v6
	v_ashrrev_i32_e32 v7, 31, v6
	v_add_co_u32 v207, vcc_lo, v2, v4
	v_add_co_ci_u32_e64 v208, null, v3, v5, vcc_lo
	v_ashrrev_i32_e32 v11, 31, v10
	v_lshlrev_b64 v[4:5], 4, v[6:7]
	v_add_co_u32 v8, vcc_lo, v2, v8
	v_add_co_ci_u32_e64 v9, null, v3, v9, vcc_lo
	v_lshlrev_b64 v[6:7], 4, v[10:11]
	v_add_co_u32 v203, vcc_lo, v2, v4
	v_lshlrev_b32_e32 v4, 4, v0
	v_add_co_ci_u32_e64 v204, null, v3, v5, vcc_lo
	v_add_co_u32 v205, vcc_lo, v2, v6
	v_add_co_ci_u32_e64 v206, null, v3, v7, vcc_lo
	v_add_co_u32 v2, vcc_lo, v2, v4
	;; [unrolled: 2-line block ×3, first 2 shown]
	v_add_co_ci_u32_e64 v5, null, s1, v3, vcc_lo
	buffer_store_dword v2, off, s[16:19], 0 offset:280 ; 4-byte Folded Spill
	buffer_store_dword v3, off, s[16:19], 0 offset:284 ; 4-byte Folded Spill
	v_cmp_ne_u32_e64 s1, 0, v0
	v_cmp_eq_u32_e64 s0, 0, v0
	global_load_dwordx4 v[181:184], v[2:3], off
	buffer_store_dword v4, off, s[16:19], 0 offset:288 ; 4-byte Folded Spill
	buffer_store_dword v5, off, s[16:19], 0 offset:292 ; 4-byte Folded Spill
	s_clause 0x9
	global_load_dwordx4 v[177:180], v[4:5], off
	global_load_dwordx4 v[173:176], v[243:244], off
	global_load_dwordx4 v[169:172], v[237:238], off
	global_load_dwordx4 v[165:168], v[239:240], off
	global_load_dwordx4 v[161:164], v[241:242], off
	global_load_dwordx4 v[157:160], v[247:248], off
	global_load_dwordx4 v[153:156], v[245:246], off
	global_load_dwordx4 v[149:152], v[251:252], off
	global_load_dwordx4 v[145:148], v[249:250], off
	global_load_dwordx4 v[141:144], v[235:236], off
	buffer_store_dword v12, off, s[16:19], 0 ; 4-byte Folded Spill
	buffer_store_dword v13, off, s[16:19], 0 offset:4 ; 4-byte Folded Spill
	global_load_dwordx4 v[137:140], v[12:13], off
	buffer_store_dword v14, off, s[16:19], 0 offset:8 ; 4-byte Folded Spill
	buffer_store_dword v15, off, s[16:19], 0 offset:12 ; 4-byte Folded Spill
	global_load_dwordx4 v[133:136], v[14:15], off
	buffer_store_dword v16, off, s[16:19], 0 offset:16 ; 4-byte Folded Spill
	buffer_store_dword v17, off, s[16:19], 0 offset:20 ; 4-byte Folded Spill
	global_load_dwordx4 v[129:132], v[16:17], off
	buffer_store_dword v18, off, s[16:19], 0 offset:24 ; 4-byte Folded Spill
	buffer_store_dword v19, off, s[16:19], 0 offset:28 ; 4-byte Folded Spill
	global_load_dwordx4 v[125:128], v[18:19], off
	buffer_store_dword v20, off, s[16:19], 0 offset:32 ; 4-byte Folded Spill
	buffer_store_dword v21, off, s[16:19], 0 offset:36 ; 4-byte Folded Spill
	global_load_dwordx4 v[121:124], v[20:21], off
	buffer_store_dword v22, off, s[16:19], 0 offset:40 ; 4-byte Folded Spill
	buffer_store_dword v23, off, s[16:19], 0 offset:44 ; 4-byte Folded Spill
	global_load_dwordx4 v[117:120], v[22:23], off
	buffer_store_dword v24, off, s[16:19], 0 offset:48 ; 4-byte Folded Spill
	buffer_store_dword v25, off, s[16:19], 0 offset:52 ; 4-byte Folded Spill
	global_load_dwordx4 v[113:116], v[24:25], off
	buffer_store_dword v26, off, s[16:19], 0 offset:56 ; 4-byte Folded Spill
	buffer_store_dword v27, off, s[16:19], 0 offset:60 ; 4-byte Folded Spill
	global_load_dwordx4 v[109:112], v[26:27], off
	buffer_store_dword v28, off, s[16:19], 0 offset:64 ; 4-byte Folded Spill
	buffer_store_dword v29, off, s[16:19], 0 offset:68 ; 4-byte Folded Spill
	global_load_dwordx4 v[105:108], v[28:29], off
	buffer_store_dword v30, off, s[16:19], 0 offset:72 ; 4-byte Folded Spill
	buffer_store_dword v31, off, s[16:19], 0 offset:76 ; 4-byte Folded Spill
	global_load_dwordx4 v[101:104], v[30:31], off
	buffer_store_dword v32, off, s[16:19], 0 offset:80 ; 4-byte Folded Spill
	buffer_store_dword v33, off, s[16:19], 0 offset:84 ; 4-byte Folded Spill
	global_load_dwordx4 v[97:100], v[32:33], off
	buffer_store_dword v34, off, s[16:19], 0 offset:88 ; 4-byte Folded Spill
	buffer_store_dword v35, off, s[16:19], 0 offset:92 ; 4-byte Folded Spill
	global_load_dwordx4 v[93:96], v[34:35], off
	buffer_store_dword v36, off, s[16:19], 0 offset:96 ; 4-byte Folded Spill
	buffer_store_dword v37, off, s[16:19], 0 offset:100 ; 4-byte Folded Spill
	global_load_dwordx4 v[89:92], v[36:37], off
	buffer_store_dword v38, off, s[16:19], 0 offset:104 ; 4-byte Folded Spill
	buffer_store_dword v39, off, s[16:19], 0 offset:108 ; 4-byte Folded Spill
	global_load_dwordx4 v[85:88], v[38:39], off
	buffer_store_dword v40, off, s[16:19], 0 offset:112 ; 4-byte Folded Spill
	buffer_store_dword v41, off, s[16:19], 0 offset:116 ; 4-byte Folded Spill
	global_load_dwordx4 v[81:84], v[40:41], off
	buffer_store_dword v42, off, s[16:19], 0 offset:120 ; 4-byte Folded Spill
	buffer_store_dword v43, off, s[16:19], 0 offset:124 ; 4-byte Folded Spill
	global_load_dwordx4 v[77:80], v[42:43], off
	buffer_store_dword v44, off, s[16:19], 0 offset:128 ; 4-byte Folded Spill
	buffer_store_dword v45, off, s[16:19], 0 offset:132 ; 4-byte Folded Spill
	global_load_dwordx4 v[73:76], v[44:45], off
	buffer_store_dword v46, off, s[16:19], 0 offset:136 ; 4-byte Folded Spill
	buffer_store_dword v47, off, s[16:19], 0 offset:140 ; 4-byte Folded Spill
	global_load_dwordx4 v[69:72], v[46:47], off
	buffer_store_dword v48, off, s[16:19], 0 offset:144 ; 4-byte Folded Spill
	buffer_store_dword v49, off, s[16:19], 0 offset:148 ; 4-byte Folded Spill
	global_load_dwordx4 v[65:68], v[48:49], off
	buffer_store_dword v50, off, s[16:19], 0 offset:152 ; 4-byte Folded Spill
	buffer_store_dword v51, off, s[16:19], 0 offset:156 ; 4-byte Folded Spill
	global_load_dwordx4 v[61:64], v[50:51], off
	buffer_store_dword v52, off, s[16:19], 0 offset:160 ; 4-byte Folded Spill
	buffer_store_dword v53, off, s[16:19], 0 offset:164 ; 4-byte Folded Spill
	global_load_dwordx4 v[57:60], v[52:53], off
	buffer_store_dword v54, off, s[16:19], 0 offset:168 ; 4-byte Folded Spill
	buffer_store_dword v55, off, s[16:19], 0 offset:172 ; 4-byte Folded Spill
	global_load_dwordx4 v[53:56], v[54:55], off
	buffer_store_dword v185, off, s[16:19], 0 offset:176 ; 4-byte Folded Spill
	buffer_store_dword v186, off, s[16:19], 0 offset:180 ; 4-byte Folded Spill
	global_load_dwordx4 v[49:52], v[185:186], off
	buffer_store_dword v187, off, s[16:19], 0 offset:184 ; 4-byte Folded Spill
	buffer_store_dword v188, off, s[16:19], 0 offset:188 ; 4-byte Folded Spill
	global_load_dwordx4 v[45:48], v[187:188], off
	buffer_store_dword v189, off, s[16:19], 0 offset:192 ; 4-byte Folded Spill
	buffer_store_dword v190, off, s[16:19], 0 offset:196 ; 4-byte Folded Spill
	global_load_dwordx4 v[41:44], v[189:190], off
	buffer_store_dword v191, off, s[16:19], 0 offset:200 ; 4-byte Folded Spill
	buffer_store_dword v192, off, s[16:19], 0 offset:204 ; 4-byte Folded Spill
	global_load_dwordx4 v[37:40], v[191:192], off
	buffer_store_dword v193, off, s[16:19], 0 offset:208 ; 4-byte Folded Spill
	buffer_store_dword v194, off, s[16:19], 0 offset:212 ; 4-byte Folded Spill
	global_load_dwordx4 v[33:36], v[193:194], off
	buffer_store_dword v195, off, s[16:19], 0 offset:216 ; 4-byte Folded Spill
	buffer_store_dword v196, off, s[16:19], 0 offset:220 ; 4-byte Folded Spill
	global_load_dwordx4 v[29:32], v[195:196], off
	buffer_store_dword v197, off, s[16:19], 0 offset:224 ; 4-byte Folded Spill
	buffer_store_dword v198, off, s[16:19], 0 offset:228 ; 4-byte Folded Spill
	global_load_dwordx4 v[25:28], v[197:198], off
	buffer_store_dword v199, off, s[16:19], 0 offset:232 ; 4-byte Folded Spill
	buffer_store_dword v200, off, s[16:19], 0 offset:236 ; 4-byte Folded Spill
	global_load_dwordx4 v[21:24], v[199:200], off
	buffer_store_dword v201, off, s[16:19], 0 offset:240 ; 4-byte Folded Spill
	buffer_store_dword v202, off, s[16:19], 0 offset:244 ; 4-byte Folded Spill
	global_load_dwordx4 v[17:20], v[201:202], off
	buffer_store_dword v207, off, s[16:19], 0 offset:272 ; 4-byte Folded Spill
	buffer_store_dword v208, off, s[16:19], 0 offset:276 ; 4-byte Folded Spill
	global_load_dwordx4 v[13:16], v[207:208], off
	buffer_store_dword v8, off, s[16:19], 0 offset:248 ; 4-byte Folded Spill
	buffer_store_dword v9, off, s[16:19], 0 offset:252 ; 4-byte Folded Spill
	global_load_dwordx4 v[9:12], v[8:9], off
	buffer_store_dword v203, off, s[16:19], 0 offset:256 ; 4-byte Folded Spill
	buffer_store_dword v204, off, s[16:19], 0 offset:260 ; 4-byte Folded Spill
	global_load_dwordx4 v[5:8], v[203:204], off
	buffer_store_dword v205, off, s[16:19], 0 offset:264 ; 4-byte Folded Spill
	buffer_store_dword v206, off, s[16:19], 0 offset:268 ; 4-byte Folded Spill
	global_load_dwordx4 v[1:4], v[205:206], off
	s_and_saveexec_b32 s3, s0
	s_cbranch_execz .LBB91_8
; %bb.2:
	s_waitcnt vmcnt(45)
	ds_write2_b64 v255, v[181:182], v[183:184] offset1:1
	s_waitcnt vmcnt(44)
	ds_write2_b64 v253, v[177:178], v[179:180] offset0:2 offset1:3
	s_waitcnt vmcnt(43)
	ds_write2_b64 v253, v[173:174], v[175:176] offset0:4 offset1:5
	;; [unrolled: 2-line block ×45, first 2 shown]
	ds_read2_b64 v[185:188], v255 offset1:1
	s_waitcnt lgkmcnt(0)
	v_cmp_neq_f64_e32 vcc_lo, 0, v[185:186]
	v_cmp_neq_f64_e64 s2, 0, v[187:188]
	s_or_b32 s2, vcc_lo, s2
	s_and_b32 exec_lo, exec_lo, s2
	s_cbranch_execz .LBB91_8
; %bb.3:
	v_cmp_ngt_f64_e64 s2, |v[185:186]|, |v[187:188]|
                                        ; implicit-def: $vgpr189_vgpr190
	s_and_saveexec_b32 s4, s2
	s_xor_b32 s2, exec_lo, s4
                                        ; implicit-def: $vgpr191_vgpr192
	s_cbranch_execz .LBB91_5
; %bb.4:
	v_div_scale_f64 v[189:190], null, v[187:188], v[187:188], v[185:186]
	v_div_scale_f64 v[195:196], vcc_lo, v[185:186], v[187:188], v[185:186]
	v_rcp_f64_e32 v[191:192], v[189:190]
	v_fma_f64 v[193:194], -v[189:190], v[191:192], 1.0
	v_fma_f64 v[191:192], v[191:192], v[193:194], v[191:192]
	v_fma_f64 v[193:194], -v[189:190], v[191:192], 1.0
	v_fma_f64 v[191:192], v[191:192], v[193:194], v[191:192]
	v_mul_f64 v[193:194], v[195:196], v[191:192]
	v_fma_f64 v[189:190], -v[189:190], v[193:194], v[195:196]
	v_div_fmas_f64 v[189:190], v[189:190], v[191:192], v[193:194]
	v_div_fixup_f64 v[189:190], v[189:190], v[187:188], v[185:186]
	v_fma_f64 v[185:186], v[185:186], v[189:190], v[187:188]
	v_div_scale_f64 v[187:188], null, v[185:186], v[185:186], 1.0
	v_rcp_f64_e32 v[191:192], v[187:188]
	v_fma_f64 v[193:194], -v[187:188], v[191:192], 1.0
	v_fma_f64 v[191:192], v[191:192], v[193:194], v[191:192]
	v_fma_f64 v[193:194], -v[187:188], v[191:192], 1.0
	v_fma_f64 v[191:192], v[191:192], v[193:194], v[191:192]
	v_div_scale_f64 v[193:194], vcc_lo, 1.0, v[185:186], 1.0
	v_mul_f64 v[195:196], v[193:194], v[191:192]
	v_fma_f64 v[187:188], -v[187:188], v[195:196], v[193:194]
	v_div_fmas_f64 v[187:188], v[187:188], v[191:192], v[195:196]
	v_div_fixup_f64 v[191:192], v[187:188], v[185:186], 1.0
                                        ; implicit-def: $vgpr185_vgpr186
	v_mul_f64 v[189:190], v[189:190], v[191:192]
	v_xor_b32_e32 v192, 0x80000000, v192
.LBB91_5:
	s_andn2_saveexec_b32 s2, s2
	s_cbranch_execz .LBB91_7
; %bb.6:
	v_div_scale_f64 v[189:190], null, v[185:186], v[185:186], v[187:188]
	v_div_scale_f64 v[195:196], vcc_lo, v[187:188], v[185:186], v[187:188]
	v_rcp_f64_e32 v[191:192], v[189:190]
	v_fma_f64 v[193:194], -v[189:190], v[191:192], 1.0
	v_fma_f64 v[191:192], v[191:192], v[193:194], v[191:192]
	v_fma_f64 v[193:194], -v[189:190], v[191:192], 1.0
	v_fma_f64 v[191:192], v[191:192], v[193:194], v[191:192]
	v_mul_f64 v[193:194], v[195:196], v[191:192]
	v_fma_f64 v[189:190], -v[189:190], v[193:194], v[195:196]
	v_div_fmas_f64 v[189:190], v[189:190], v[191:192], v[193:194]
	v_div_fixup_f64 v[191:192], v[189:190], v[185:186], v[187:188]
	v_fma_f64 v[185:186], v[187:188], v[191:192], v[185:186]
	v_div_scale_f64 v[187:188], null, v[185:186], v[185:186], 1.0
	v_rcp_f64_e32 v[189:190], v[187:188]
	v_fma_f64 v[193:194], -v[187:188], v[189:190], 1.0
	v_fma_f64 v[189:190], v[189:190], v[193:194], v[189:190]
	v_fma_f64 v[193:194], -v[187:188], v[189:190], 1.0
	v_fma_f64 v[189:190], v[189:190], v[193:194], v[189:190]
	v_div_scale_f64 v[193:194], vcc_lo, 1.0, v[185:186], 1.0
	v_mul_f64 v[195:196], v[193:194], v[189:190]
	v_fma_f64 v[187:188], -v[187:188], v[195:196], v[193:194]
	v_div_fmas_f64 v[187:188], v[187:188], v[189:190], v[195:196]
	v_div_fixup_f64 v[189:190], v[187:188], v[185:186], 1.0
	v_mul_f64 v[191:192], v[191:192], -v[189:190]
.LBB91_7:
	s_or_b32 exec_lo, exec_lo, s2
	ds_write2_b64 v255, v[189:190], v[191:192] offset1:1
.LBB91_8:
	s_or_b32 exec_lo, exec_lo, s3
	s_waitcnt vmcnt(0) lgkmcnt(0)
	s_waitcnt_vscnt null, 0x0
	s_barrier
	buffer_gl0_inv
	ds_read2_b64 v[185:188], v255 offset1:1
	s_waitcnt lgkmcnt(0)
	buffer_store_dword v185, off, s[16:19], 0 offset:296 ; 4-byte Folded Spill
	buffer_store_dword v186, off, s[16:19], 0 offset:300 ; 4-byte Folded Spill
	;; [unrolled: 1-line block ×4, first 2 shown]
	s_and_saveexec_b32 s2, s1
	s_cbranch_execz .LBB91_10
; %bb.9:
	s_clause 0x3
	buffer_load_dword v187, off, s[16:19], 0 offset:296
	buffer_load_dword v188, off, s[16:19], 0 offset:300
	;; [unrolled: 1-line block ×4, first 2 shown]
	s_waitcnt vmcnt(0)
	v_mul_f64 v[185:186], v[189:190], v[183:184]
	v_mul_f64 v[183:184], v[187:188], v[183:184]
	v_fma_f64 v[185:186], v[187:188], v[181:182], -v[185:186]
	v_fma_f64 v[183:184], v[189:190], v[181:182], v[183:184]
	ds_read2_b64 v[187:190], v253 offset0:2 offset1:3
	s_waitcnt lgkmcnt(0)
	v_mul_f64 v[181:182], v[189:190], v[183:184]
	v_fma_f64 v[181:182], v[187:188], v[185:186], -v[181:182]
	v_mul_f64 v[187:188], v[187:188], v[183:184]
	v_add_f64 v[177:178], v[177:178], -v[181:182]
	v_fma_f64 v[187:188], v[189:190], v[185:186], v[187:188]
	v_add_f64 v[179:180], v[179:180], -v[187:188]
	ds_read2_b64 v[187:190], v253 offset0:4 offset1:5
	s_waitcnt lgkmcnt(0)
	v_mul_f64 v[181:182], v[189:190], v[183:184]
	v_fma_f64 v[181:182], v[187:188], v[185:186], -v[181:182]
	v_mul_f64 v[187:188], v[187:188], v[183:184]
	v_add_f64 v[173:174], v[173:174], -v[181:182]
	v_fma_f64 v[187:188], v[189:190], v[185:186], v[187:188]
	v_add_f64 v[175:176], v[175:176], -v[187:188]
	;; [unrolled: 8-line block ×44, first 2 shown]
	ds_read2_b64 v[187:190], v253 offset0:90 offset1:91
	s_waitcnt lgkmcnt(0)
	v_mul_f64 v[181:182], v[189:190], v[183:184]
	v_fma_f64 v[181:182], v[187:188], v[185:186], -v[181:182]
	v_mul_f64 v[187:188], v[187:188], v[183:184]
	v_add_f64 v[1:2], v[1:2], -v[181:182]
	v_fma_f64 v[187:188], v[189:190], v[185:186], v[187:188]
	v_mov_b32_e32 v181, v185
	v_mov_b32_e32 v182, v186
	v_add_f64 v[3:4], v[3:4], -v[187:188]
.LBB91_10:
	s_or_b32 exec_lo, exec_lo, s2
	s_mov_b32 s2, exec_lo
	s_waitcnt_vscnt null, 0x0
	s_barrier
	buffer_gl0_inv
	v_cmpx_eq_u32_e32 1, v0
	s_cbranch_execz .LBB91_17
; %bb.11:
	ds_write2_b64 v255, v[177:178], v[179:180] offset1:1
	ds_write2_b64 v253, v[173:174], v[175:176] offset0:4 offset1:5
	ds_write2_b64 v253, v[169:170], v[171:172] offset0:6 offset1:7
	;; [unrolled: 1-line block ×44, first 2 shown]
	ds_read2_b64 v[185:188], v255 offset1:1
	s_waitcnt lgkmcnt(0)
	v_cmp_neq_f64_e32 vcc_lo, 0, v[185:186]
	v_cmp_neq_f64_e64 s1, 0, v[187:188]
	s_or_b32 s1, vcc_lo, s1
	s_and_b32 exec_lo, exec_lo, s1
	s_cbranch_execz .LBB91_17
; %bb.12:
	v_cmp_ngt_f64_e64 s1, |v[185:186]|, |v[187:188]|
                                        ; implicit-def: $vgpr189_vgpr190
	s_and_saveexec_b32 s3, s1
	s_xor_b32 s1, exec_lo, s3
                                        ; implicit-def: $vgpr191_vgpr192
	s_cbranch_execz .LBB91_14
; %bb.13:
	v_div_scale_f64 v[189:190], null, v[187:188], v[187:188], v[185:186]
	v_div_scale_f64 v[195:196], vcc_lo, v[185:186], v[187:188], v[185:186]
	v_rcp_f64_e32 v[191:192], v[189:190]
	v_fma_f64 v[193:194], -v[189:190], v[191:192], 1.0
	v_fma_f64 v[191:192], v[191:192], v[193:194], v[191:192]
	v_fma_f64 v[193:194], -v[189:190], v[191:192], 1.0
	v_fma_f64 v[191:192], v[191:192], v[193:194], v[191:192]
	v_mul_f64 v[193:194], v[195:196], v[191:192]
	v_fma_f64 v[189:190], -v[189:190], v[193:194], v[195:196]
	v_div_fmas_f64 v[189:190], v[189:190], v[191:192], v[193:194]
	v_div_fixup_f64 v[189:190], v[189:190], v[187:188], v[185:186]
	v_fma_f64 v[185:186], v[185:186], v[189:190], v[187:188]
	v_div_scale_f64 v[187:188], null, v[185:186], v[185:186], 1.0
	v_rcp_f64_e32 v[191:192], v[187:188]
	v_fma_f64 v[193:194], -v[187:188], v[191:192], 1.0
	v_fma_f64 v[191:192], v[191:192], v[193:194], v[191:192]
	v_fma_f64 v[193:194], -v[187:188], v[191:192], 1.0
	v_fma_f64 v[191:192], v[191:192], v[193:194], v[191:192]
	v_div_scale_f64 v[193:194], vcc_lo, 1.0, v[185:186], 1.0
	v_mul_f64 v[195:196], v[193:194], v[191:192]
	v_fma_f64 v[187:188], -v[187:188], v[195:196], v[193:194]
	v_div_fmas_f64 v[187:188], v[187:188], v[191:192], v[195:196]
	v_div_fixup_f64 v[191:192], v[187:188], v[185:186], 1.0
                                        ; implicit-def: $vgpr185_vgpr186
	v_mul_f64 v[189:190], v[189:190], v[191:192]
	v_xor_b32_e32 v192, 0x80000000, v192
.LBB91_14:
	s_andn2_saveexec_b32 s1, s1
	s_cbranch_execz .LBB91_16
; %bb.15:
	v_div_scale_f64 v[189:190], null, v[185:186], v[185:186], v[187:188]
	v_div_scale_f64 v[195:196], vcc_lo, v[187:188], v[185:186], v[187:188]
	v_rcp_f64_e32 v[191:192], v[189:190]
	v_fma_f64 v[193:194], -v[189:190], v[191:192], 1.0
	v_fma_f64 v[191:192], v[191:192], v[193:194], v[191:192]
	v_fma_f64 v[193:194], -v[189:190], v[191:192], 1.0
	v_fma_f64 v[191:192], v[191:192], v[193:194], v[191:192]
	v_mul_f64 v[193:194], v[195:196], v[191:192]
	v_fma_f64 v[189:190], -v[189:190], v[193:194], v[195:196]
	v_div_fmas_f64 v[189:190], v[189:190], v[191:192], v[193:194]
	v_div_fixup_f64 v[191:192], v[189:190], v[185:186], v[187:188]
	v_fma_f64 v[185:186], v[187:188], v[191:192], v[185:186]
	v_div_scale_f64 v[187:188], null, v[185:186], v[185:186], 1.0
	v_rcp_f64_e32 v[189:190], v[187:188]
	v_fma_f64 v[193:194], -v[187:188], v[189:190], 1.0
	v_fma_f64 v[189:190], v[189:190], v[193:194], v[189:190]
	v_fma_f64 v[193:194], -v[187:188], v[189:190], 1.0
	v_fma_f64 v[189:190], v[189:190], v[193:194], v[189:190]
	v_div_scale_f64 v[193:194], vcc_lo, 1.0, v[185:186], 1.0
	v_mul_f64 v[195:196], v[193:194], v[189:190]
	v_fma_f64 v[187:188], -v[187:188], v[195:196], v[193:194]
	v_div_fmas_f64 v[187:188], v[187:188], v[189:190], v[195:196]
	v_div_fixup_f64 v[189:190], v[187:188], v[185:186], 1.0
	v_mul_f64 v[191:192], v[191:192], -v[189:190]
.LBB91_16:
	s_or_b32 exec_lo, exec_lo, s1
	ds_write2_b64 v255, v[189:190], v[191:192] offset1:1
.LBB91_17:
	s_or_b32 exec_lo, exec_lo, s2
	s_waitcnt lgkmcnt(0)
	s_barrier
	buffer_gl0_inv
	ds_read2_b64 v[185:188], v255 offset1:1
	s_mov_b32 s1, exec_lo
	s_waitcnt lgkmcnt(0)
	buffer_store_dword v185, off, s[16:19], 0 offset:312 ; 4-byte Folded Spill
	buffer_store_dword v186, off, s[16:19], 0 offset:316 ; 4-byte Folded Spill
	;; [unrolled: 1-line block ×4, first 2 shown]
	v_cmpx_lt_u32_e32 1, v0
	s_cbranch_execz .LBB91_19
; %bb.18:
	s_clause 0x3
	buffer_load_dword v187, off, s[16:19], 0 offset:312
	buffer_load_dword v188, off, s[16:19], 0 offset:316
	buffer_load_dword v189, off, s[16:19], 0 offset:320
	buffer_load_dword v190, off, s[16:19], 0 offset:324
	s_waitcnt vmcnt(0)
	v_mul_f64 v[185:186], v[189:190], v[179:180]
	v_mul_f64 v[179:180], v[187:188], v[179:180]
	v_fma_f64 v[185:186], v[187:188], v[177:178], -v[185:186]
	v_fma_f64 v[179:180], v[189:190], v[177:178], v[179:180]
	ds_read2_b64 v[187:190], v253 offset0:4 offset1:5
	s_waitcnt lgkmcnt(0)
	v_mul_f64 v[177:178], v[189:190], v[179:180]
	v_fma_f64 v[177:178], v[187:188], v[185:186], -v[177:178]
	v_mul_f64 v[187:188], v[187:188], v[179:180]
	v_add_f64 v[173:174], v[173:174], -v[177:178]
	v_fma_f64 v[187:188], v[189:190], v[185:186], v[187:188]
	v_add_f64 v[175:176], v[175:176], -v[187:188]
	ds_read2_b64 v[187:190], v253 offset0:6 offset1:7
	s_waitcnt lgkmcnt(0)
	v_mul_f64 v[177:178], v[189:190], v[179:180]
	v_fma_f64 v[177:178], v[187:188], v[185:186], -v[177:178]
	v_mul_f64 v[187:188], v[187:188], v[179:180]
	v_add_f64 v[169:170], v[169:170], -v[177:178]
	v_fma_f64 v[187:188], v[189:190], v[185:186], v[187:188]
	v_add_f64 v[171:172], v[171:172], -v[187:188]
	ds_read2_b64 v[187:190], v253 offset0:8 offset1:9
	s_waitcnt lgkmcnt(0)
	v_mul_f64 v[177:178], v[189:190], v[179:180]
	v_fma_f64 v[177:178], v[187:188], v[185:186], -v[177:178]
	v_mul_f64 v[187:188], v[187:188], v[179:180]
	v_add_f64 v[165:166], v[165:166], -v[177:178]
	v_fma_f64 v[187:188], v[189:190], v[185:186], v[187:188]
	v_add_f64 v[167:168], v[167:168], -v[187:188]
	ds_read2_b64 v[187:190], v253 offset0:10 offset1:11
	s_waitcnt lgkmcnt(0)
	v_mul_f64 v[177:178], v[189:190], v[179:180]
	v_fma_f64 v[177:178], v[187:188], v[185:186], -v[177:178]
	v_mul_f64 v[187:188], v[187:188], v[179:180]
	v_add_f64 v[161:162], v[161:162], -v[177:178]
	v_fma_f64 v[187:188], v[189:190], v[185:186], v[187:188]
	v_add_f64 v[163:164], v[163:164], -v[187:188]
	ds_read2_b64 v[187:190], v253 offset0:12 offset1:13
	s_waitcnt lgkmcnt(0)
	v_mul_f64 v[177:178], v[189:190], v[179:180]
	v_fma_f64 v[177:178], v[187:188], v[185:186], -v[177:178]
	v_mul_f64 v[187:188], v[187:188], v[179:180]
	v_add_f64 v[157:158], v[157:158], -v[177:178]
	v_fma_f64 v[187:188], v[189:190], v[185:186], v[187:188]
	v_add_f64 v[159:160], v[159:160], -v[187:188]
	ds_read2_b64 v[187:190], v253 offset0:14 offset1:15
	s_waitcnt lgkmcnt(0)
	v_mul_f64 v[177:178], v[189:190], v[179:180]
	v_fma_f64 v[177:178], v[187:188], v[185:186], -v[177:178]
	v_mul_f64 v[187:188], v[187:188], v[179:180]
	v_add_f64 v[153:154], v[153:154], -v[177:178]
	v_fma_f64 v[187:188], v[189:190], v[185:186], v[187:188]
	v_add_f64 v[155:156], v[155:156], -v[187:188]
	ds_read2_b64 v[187:190], v253 offset0:16 offset1:17
	s_waitcnt lgkmcnt(0)
	v_mul_f64 v[177:178], v[189:190], v[179:180]
	v_fma_f64 v[177:178], v[187:188], v[185:186], -v[177:178]
	v_mul_f64 v[187:188], v[187:188], v[179:180]
	v_add_f64 v[149:150], v[149:150], -v[177:178]
	v_fma_f64 v[187:188], v[189:190], v[185:186], v[187:188]
	v_add_f64 v[151:152], v[151:152], -v[187:188]
	ds_read2_b64 v[187:190], v253 offset0:18 offset1:19
	s_waitcnt lgkmcnt(0)
	v_mul_f64 v[177:178], v[189:190], v[179:180]
	v_fma_f64 v[177:178], v[187:188], v[185:186], -v[177:178]
	v_mul_f64 v[187:188], v[187:188], v[179:180]
	v_add_f64 v[145:146], v[145:146], -v[177:178]
	v_fma_f64 v[187:188], v[189:190], v[185:186], v[187:188]
	v_add_f64 v[147:148], v[147:148], -v[187:188]
	ds_read2_b64 v[187:190], v253 offset0:20 offset1:21
	s_waitcnt lgkmcnt(0)
	v_mul_f64 v[177:178], v[189:190], v[179:180]
	v_fma_f64 v[177:178], v[187:188], v[185:186], -v[177:178]
	v_mul_f64 v[187:188], v[187:188], v[179:180]
	v_add_f64 v[141:142], v[141:142], -v[177:178]
	v_fma_f64 v[187:188], v[189:190], v[185:186], v[187:188]
	v_add_f64 v[143:144], v[143:144], -v[187:188]
	ds_read2_b64 v[187:190], v253 offset0:22 offset1:23
	s_waitcnt lgkmcnt(0)
	v_mul_f64 v[177:178], v[189:190], v[179:180]
	v_fma_f64 v[177:178], v[187:188], v[185:186], -v[177:178]
	v_mul_f64 v[187:188], v[187:188], v[179:180]
	v_add_f64 v[137:138], v[137:138], -v[177:178]
	v_fma_f64 v[187:188], v[189:190], v[185:186], v[187:188]
	v_add_f64 v[139:140], v[139:140], -v[187:188]
	ds_read2_b64 v[187:190], v253 offset0:24 offset1:25
	s_waitcnt lgkmcnt(0)
	v_mul_f64 v[177:178], v[189:190], v[179:180]
	v_fma_f64 v[177:178], v[187:188], v[185:186], -v[177:178]
	v_mul_f64 v[187:188], v[187:188], v[179:180]
	v_add_f64 v[133:134], v[133:134], -v[177:178]
	v_fma_f64 v[187:188], v[189:190], v[185:186], v[187:188]
	v_add_f64 v[135:136], v[135:136], -v[187:188]
	ds_read2_b64 v[187:190], v253 offset0:26 offset1:27
	s_waitcnt lgkmcnt(0)
	v_mul_f64 v[177:178], v[189:190], v[179:180]
	v_fma_f64 v[177:178], v[187:188], v[185:186], -v[177:178]
	v_mul_f64 v[187:188], v[187:188], v[179:180]
	v_add_f64 v[129:130], v[129:130], -v[177:178]
	v_fma_f64 v[187:188], v[189:190], v[185:186], v[187:188]
	v_add_f64 v[131:132], v[131:132], -v[187:188]
	ds_read2_b64 v[187:190], v253 offset0:28 offset1:29
	s_waitcnt lgkmcnt(0)
	v_mul_f64 v[177:178], v[189:190], v[179:180]
	v_fma_f64 v[177:178], v[187:188], v[185:186], -v[177:178]
	v_mul_f64 v[187:188], v[187:188], v[179:180]
	v_add_f64 v[125:126], v[125:126], -v[177:178]
	v_fma_f64 v[187:188], v[189:190], v[185:186], v[187:188]
	v_add_f64 v[127:128], v[127:128], -v[187:188]
	ds_read2_b64 v[187:190], v253 offset0:30 offset1:31
	s_waitcnt lgkmcnt(0)
	v_mul_f64 v[177:178], v[189:190], v[179:180]
	v_fma_f64 v[177:178], v[187:188], v[185:186], -v[177:178]
	v_mul_f64 v[187:188], v[187:188], v[179:180]
	v_add_f64 v[121:122], v[121:122], -v[177:178]
	v_fma_f64 v[187:188], v[189:190], v[185:186], v[187:188]
	v_add_f64 v[123:124], v[123:124], -v[187:188]
	ds_read2_b64 v[187:190], v253 offset0:32 offset1:33
	s_waitcnt lgkmcnt(0)
	v_mul_f64 v[177:178], v[189:190], v[179:180]
	v_fma_f64 v[177:178], v[187:188], v[185:186], -v[177:178]
	v_mul_f64 v[187:188], v[187:188], v[179:180]
	v_add_f64 v[117:118], v[117:118], -v[177:178]
	v_fma_f64 v[187:188], v[189:190], v[185:186], v[187:188]
	v_add_f64 v[119:120], v[119:120], -v[187:188]
	ds_read2_b64 v[187:190], v253 offset0:34 offset1:35
	s_waitcnt lgkmcnt(0)
	v_mul_f64 v[177:178], v[189:190], v[179:180]
	v_fma_f64 v[177:178], v[187:188], v[185:186], -v[177:178]
	v_mul_f64 v[187:188], v[187:188], v[179:180]
	v_add_f64 v[113:114], v[113:114], -v[177:178]
	v_fma_f64 v[187:188], v[189:190], v[185:186], v[187:188]
	v_add_f64 v[115:116], v[115:116], -v[187:188]
	ds_read2_b64 v[187:190], v253 offset0:36 offset1:37
	s_waitcnt lgkmcnt(0)
	v_mul_f64 v[177:178], v[189:190], v[179:180]
	v_fma_f64 v[177:178], v[187:188], v[185:186], -v[177:178]
	v_mul_f64 v[187:188], v[187:188], v[179:180]
	v_add_f64 v[109:110], v[109:110], -v[177:178]
	v_fma_f64 v[187:188], v[189:190], v[185:186], v[187:188]
	v_add_f64 v[111:112], v[111:112], -v[187:188]
	ds_read2_b64 v[187:190], v253 offset0:38 offset1:39
	s_waitcnt lgkmcnt(0)
	v_mul_f64 v[177:178], v[189:190], v[179:180]
	v_fma_f64 v[177:178], v[187:188], v[185:186], -v[177:178]
	v_mul_f64 v[187:188], v[187:188], v[179:180]
	v_add_f64 v[105:106], v[105:106], -v[177:178]
	v_fma_f64 v[187:188], v[189:190], v[185:186], v[187:188]
	v_add_f64 v[107:108], v[107:108], -v[187:188]
	ds_read2_b64 v[187:190], v253 offset0:40 offset1:41
	s_waitcnt lgkmcnt(0)
	v_mul_f64 v[177:178], v[189:190], v[179:180]
	v_fma_f64 v[177:178], v[187:188], v[185:186], -v[177:178]
	v_mul_f64 v[187:188], v[187:188], v[179:180]
	v_add_f64 v[101:102], v[101:102], -v[177:178]
	v_fma_f64 v[187:188], v[189:190], v[185:186], v[187:188]
	v_add_f64 v[103:104], v[103:104], -v[187:188]
	ds_read2_b64 v[187:190], v253 offset0:42 offset1:43
	s_waitcnt lgkmcnt(0)
	v_mul_f64 v[177:178], v[189:190], v[179:180]
	v_fma_f64 v[177:178], v[187:188], v[185:186], -v[177:178]
	v_mul_f64 v[187:188], v[187:188], v[179:180]
	v_add_f64 v[97:98], v[97:98], -v[177:178]
	v_fma_f64 v[187:188], v[189:190], v[185:186], v[187:188]
	v_add_f64 v[99:100], v[99:100], -v[187:188]
	ds_read2_b64 v[187:190], v253 offset0:44 offset1:45
	s_waitcnt lgkmcnt(0)
	v_mul_f64 v[177:178], v[189:190], v[179:180]
	v_fma_f64 v[177:178], v[187:188], v[185:186], -v[177:178]
	v_mul_f64 v[187:188], v[187:188], v[179:180]
	v_add_f64 v[93:94], v[93:94], -v[177:178]
	v_fma_f64 v[187:188], v[189:190], v[185:186], v[187:188]
	v_add_f64 v[95:96], v[95:96], -v[187:188]
	ds_read2_b64 v[187:190], v253 offset0:46 offset1:47
	s_waitcnt lgkmcnt(0)
	v_mul_f64 v[177:178], v[189:190], v[179:180]
	v_fma_f64 v[177:178], v[187:188], v[185:186], -v[177:178]
	v_mul_f64 v[187:188], v[187:188], v[179:180]
	v_add_f64 v[89:90], v[89:90], -v[177:178]
	v_fma_f64 v[187:188], v[189:190], v[185:186], v[187:188]
	v_add_f64 v[91:92], v[91:92], -v[187:188]
	ds_read2_b64 v[187:190], v253 offset0:48 offset1:49
	s_waitcnt lgkmcnt(0)
	v_mul_f64 v[177:178], v[189:190], v[179:180]
	v_fma_f64 v[177:178], v[187:188], v[185:186], -v[177:178]
	v_mul_f64 v[187:188], v[187:188], v[179:180]
	v_add_f64 v[85:86], v[85:86], -v[177:178]
	v_fma_f64 v[187:188], v[189:190], v[185:186], v[187:188]
	v_add_f64 v[87:88], v[87:88], -v[187:188]
	ds_read2_b64 v[187:190], v253 offset0:50 offset1:51
	s_waitcnt lgkmcnt(0)
	v_mul_f64 v[177:178], v[189:190], v[179:180]
	v_fma_f64 v[177:178], v[187:188], v[185:186], -v[177:178]
	v_mul_f64 v[187:188], v[187:188], v[179:180]
	v_add_f64 v[81:82], v[81:82], -v[177:178]
	v_fma_f64 v[187:188], v[189:190], v[185:186], v[187:188]
	v_add_f64 v[83:84], v[83:84], -v[187:188]
	ds_read2_b64 v[187:190], v253 offset0:52 offset1:53
	s_waitcnt lgkmcnt(0)
	v_mul_f64 v[177:178], v[189:190], v[179:180]
	v_fma_f64 v[177:178], v[187:188], v[185:186], -v[177:178]
	v_mul_f64 v[187:188], v[187:188], v[179:180]
	v_add_f64 v[77:78], v[77:78], -v[177:178]
	v_fma_f64 v[187:188], v[189:190], v[185:186], v[187:188]
	v_add_f64 v[79:80], v[79:80], -v[187:188]
	ds_read2_b64 v[187:190], v253 offset0:54 offset1:55
	s_waitcnt lgkmcnt(0)
	v_mul_f64 v[177:178], v[189:190], v[179:180]
	v_fma_f64 v[177:178], v[187:188], v[185:186], -v[177:178]
	v_mul_f64 v[187:188], v[187:188], v[179:180]
	v_add_f64 v[73:74], v[73:74], -v[177:178]
	v_fma_f64 v[187:188], v[189:190], v[185:186], v[187:188]
	v_add_f64 v[75:76], v[75:76], -v[187:188]
	ds_read2_b64 v[187:190], v253 offset0:56 offset1:57
	s_waitcnt lgkmcnt(0)
	v_mul_f64 v[177:178], v[189:190], v[179:180]
	v_fma_f64 v[177:178], v[187:188], v[185:186], -v[177:178]
	v_mul_f64 v[187:188], v[187:188], v[179:180]
	v_add_f64 v[69:70], v[69:70], -v[177:178]
	v_fma_f64 v[187:188], v[189:190], v[185:186], v[187:188]
	v_add_f64 v[71:72], v[71:72], -v[187:188]
	ds_read2_b64 v[187:190], v253 offset0:58 offset1:59
	s_waitcnt lgkmcnt(0)
	v_mul_f64 v[177:178], v[189:190], v[179:180]
	v_fma_f64 v[177:178], v[187:188], v[185:186], -v[177:178]
	v_mul_f64 v[187:188], v[187:188], v[179:180]
	v_add_f64 v[65:66], v[65:66], -v[177:178]
	v_fma_f64 v[187:188], v[189:190], v[185:186], v[187:188]
	v_add_f64 v[67:68], v[67:68], -v[187:188]
	ds_read2_b64 v[187:190], v253 offset0:60 offset1:61
	s_waitcnt lgkmcnt(0)
	v_mul_f64 v[177:178], v[189:190], v[179:180]
	v_fma_f64 v[177:178], v[187:188], v[185:186], -v[177:178]
	v_mul_f64 v[187:188], v[187:188], v[179:180]
	v_add_f64 v[61:62], v[61:62], -v[177:178]
	v_fma_f64 v[187:188], v[189:190], v[185:186], v[187:188]
	v_add_f64 v[63:64], v[63:64], -v[187:188]
	ds_read2_b64 v[187:190], v253 offset0:62 offset1:63
	s_waitcnt lgkmcnt(0)
	v_mul_f64 v[177:178], v[189:190], v[179:180]
	v_fma_f64 v[177:178], v[187:188], v[185:186], -v[177:178]
	v_mul_f64 v[187:188], v[187:188], v[179:180]
	v_add_f64 v[57:58], v[57:58], -v[177:178]
	v_fma_f64 v[187:188], v[189:190], v[185:186], v[187:188]
	v_add_f64 v[59:60], v[59:60], -v[187:188]
	ds_read2_b64 v[187:190], v253 offset0:64 offset1:65
	s_waitcnt lgkmcnt(0)
	v_mul_f64 v[177:178], v[189:190], v[179:180]
	v_fma_f64 v[177:178], v[187:188], v[185:186], -v[177:178]
	v_mul_f64 v[187:188], v[187:188], v[179:180]
	v_add_f64 v[53:54], v[53:54], -v[177:178]
	v_fma_f64 v[187:188], v[189:190], v[185:186], v[187:188]
	v_add_f64 v[55:56], v[55:56], -v[187:188]
	ds_read2_b64 v[187:190], v253 offset0:66 offset1:67
	s_waitcnt lgkmcnt(0)
	v_mul_f64 v[177:178], v[189:190], v[179:180]
	v_fma_f64 v[177:178], v[187:188], v[185:186], -v[177:178]
	v_mul_f64 v[187:188], v[187:188], v[179:180]
	v_add_f64 v[49:50], v[49:50], -v[177:178]
	v_fma_f64 v[187:188], v[189:190], v[185:186], v[187:188]
	v_add_f64 v[51:52], v[51:52], -v[187:188]
	ds_read2_b64 v[187:190], v253 offset0:68 offset1:69
	s_waitcnt lgkmcnt(0)
	v_mul_f64 v[177:178], v[189:190], v[179:180]
	v_fma_f64 v[177:178], v[187:188], v[185:186], -v[177:178]
	v_mul_f64 v[187:188], v[187:188], v[179:180]
	v_add_f64 v[45:46], v[45:46], -v[177:178]
	v_fma_f64 v[187:188], v[189:190], v[185:186], v[187:188]
	v_add_f64 v[47:48], v[47:48], -v[187:188]
	ds_read2_b64 v[187:190], v253 offset0:70 offset1:71
	s_waitcnt lgkmcnt(0)
	v_mul_f64 v[177:178], v[189:190], v[179:180]
	v_fma_f64 v[177:178], v[187:188], v[185:186], -v[177:178]
	v_mul_f64 v[187:188], v[187:188], v[179:180]
	v_add_f64 v[41:42], v[41:42], -v[177:178]
	v_fma_f64 v[187:188], v[189:190], v[185:186], v[187:188]
	v_add_f64 v[43:44], v[43:44], -v[187:188]
	ds_read2_b64 v[187:190], v253 offset0:72 offset1:73
	s_waitcnt lgkmcnt(0)
	v_mul_f64 v[177:178], v[189:190], v[179:180]
	v_fma_f64 v[177:178], v[187:188], v[185:186], -v[177:178]
	v_mul_f64 v[187:188], v[187:188], v[179:180]
	v_add_f64 v[37:38], v[37:38], -v[177:178]
	v_fma_f64 v[187:188], v[189:190], v[185:186], v[187:188]
	v_add_f64 v[39:40], v[39:40], -v[187:188]
	ds_read2_b64 v[187:190], v253 offset0:74 offset1:75
	s_waitcnt lgkmcnt(0)
	v_mul_f64 v[177:178], v[189:190], v[179:180]
	v_fma_f64 v[177:178], v[187:188], v[185:186], -v[177:178]
	v_mul_f64 v[187:188], v[187:188], v[179:180]
	v_add_f64 v[33:34], v[33:34], -v[177:178]
	v_fma_f64 v[187:188], v[189:190], v[185:186], v[187:188]
	v_add_f64 v[35:36], v[35:36], -v[187:188]
	ds_read2_b64 v[187:190], v253 offset0:76 offset1:77
	s_waitcnt lgkmcnt(0)
	v_mul_f64 v[177:178], v[189:190], v[179:180]
	v_fma_f64 v[177:178], v[187:188], v[185:186], -v[177:178]
	v_mul_f64 v[187:188], v[187:188], v[179:180]
	v_add_f64 v[29:30], v[29:30], -v[177:178]
	v_fma_f64 v[187:188], v[189:190], v[185:186], v[187:188]
	v_add_f64 v[31:32], v[31:32], -v[187:188]
	ds_read2_b64 v[187:190], v253 offset0:78 offset1:79
	s_waitcnt lgkmcnt(0)
	v_mul_f64 v[177:178], v[189:190], v[179:180]
	v_fma_f64 v[177:178], v[187:188], v[185:186], -v[177:178]
	v_mul_f64 v[187:188], v[187:188], v[179:180]
	v_add_f64 v[25:26], v[25:26], -v[177:178]
	v_fma_f64 v[187:188], v[189:190], v[185:186], v[187:188]
	v_add_f64 v[27:28], v[27:28], -v[187:188]
	ds_read2_b64 v[187:190], v253 offset0:80 offset1:81
	s_waitcnt lgkmcnt(0)
	v_mul_f64 v[177:178], v[189:190], v[179:180]
	v_fma_f64 v[177:178], v[187:188], v[185:186], -v[177:178]
	v_mul_f64 v[187:188], v[187:188], v[179:180]
	v_add_f64 v[21:22], v[21:22], -v[177:178]
	v_fma_f64 v[187:188], v[189:190], v[185:186], v[187:188]
	v_add_f64 v[23:24], v[23:24], -v[187:188]
	ds_read2_b64 v[187:190], v253 offset0:82 offset1:83
	s_waitcnt lgkmcnt(0)
	v_mul_f64 v[177:178], v[189:190], v[179:180]
	v_fma_f64 v[177:178], v[187:188], v[185:186], -v[177:178]
	v_mul_f64 v[187:188], v[187:188], v[179:180]
	v_add_f64 v[17:18], v[17:18], -v[177:178]
	v_fma_f64 v[187:188], v[189:190], v[185:186], v[187:188]
	v_add_f64 v[19:20], v[19:20], -v[187:188]
	ds_read2_b64 v[187:190], v253 offset0:84 offset1:85
	s_waitcnt lgkmcnt(0)
	v_mul_f64 v[177:178], v[189:190], v[179:180]
	v_fma_f64 v[177:178], v[187:188], v[185:186], -v[177:178]
	v_mul_f64 v[187:188], v[187:188], v[179:180]
	v_add_f64 v[13:14], v[13:14], -v[177:178]
	v_fma_f64 v[187:188], v[189:190], v[185:186], v[187:188]
	v_add_f64 v[15:16], v[15:16], -v[187:188]
	ds_read2_b64 v[187:190], v253 offset0:86 offset1:87
	s_waitcnt lgkmcnt(0)
	v_mul_f64 v[177:178], v[189:190], v[179:180]
	v_fma_f64 v[177:178], v[187:188], v[185:186], -v[177:178]
	v_mul_f64 v[187:188], v[187:188], v[179:180]
	v_add_f64 v[9:10], v[9:10], -v[177:178]
	v_fma_f64 v[187:188], v[189:190], v[185:186], v[187:188]
	v_add_f64 v[11:12], v[11:12], -v[187:188]
	ds_read2_b64 v[187:190], v253 offset0:88 offset1:89
	s_waitcnt lgkmcnt(0)
	v_mul_f64 v[177:178], v[189:190], v[179:180]
	v_fma_f64 v[177:178], v[187:188], v[185:186], -v[177:178]
	v_mul_f64 v[187:188], v[187:188], v[179:180]
	v_add_f64 v[5:6], v[5:6], -v[177:178]
	v_fma_f64 v[187:188], v[189:190], v[185:186], v[187:188]
	v_add_f64 v[7:8], v[7:8], -v[187:188]
	ds_read2_b64 v[187:190], v253 offset0:90 offset1:91
	s_waitcnt lgkmcnt(0)
	v_mul_f64 v[177:178], v[189:190], v[179:180]
	v_fma_f64 v[177:178], v[187:188], v[185:186], -v[177:178]
	v_mul_f64 v[187:188], v[187:188], v[179:180]
	v_add_f64 v[1:2], v[1:2], -v[177:178]
	v_fma_f64 v[187:188], v[189:190], v[185:186], v[187:188]
	v_mov_b32_e32 v177, v185
	v_mov_b32_e32 v178, v186
	v_add_f64 v[3:4], v[3:4], -v[187:188]
.LBB91_19:
	s_or_b32 exec_lo, exec_lo, s1
	s_mov_b32 s2, exec_lo
	s_waitcnt_vscnt null, 0x0
	s_barrier
	buffer_gl0_inv
	v_cmpx_eq_u32_e32 2, v0
	s_cbranch_execz .LBB91_26
; %bb.20:
	ds_write2_b64 v255, v[173:174], v[175:176] offset1:1
	ds_write2_b64 v253, v[169:170], v[171:172] offset0:6 offset1:7
	ds_write2_b64 v253, v[165:166], v[167:168] offset0:8 offset1:9
	;; [unrolled: 1-line block ×43, first 2 shown]
	ds_read2_b64 v[185:188], v255 offset1:1
	s_waitcnt lgkmcnt(0)
	v_cmp_neq_f64_e32 vcc_lo, 0, v[185:186]
	v_cmp_neq_f64_e64 s1, 0, v[187:188]
	s_or_b32 s1, vcc_lo, s1
	s_and_b32 exec_lo, exec_lo, s1
	s_cbranch_execz .LBB91_26
; %bb.21:
	v_cmp_ngt_f64_e64 s1, |v[185:186]|, |v[187:188]|
                                        ; implicit-def: $vgpr189_vgpr190
	s_and_saveexec_b32 s3, s1
	s_xor_b32 s1, exec_lo, s3
                                        ; implicit-def: $vgpr191_vgpr192
	s_cbranch_execz .LBB91_23
; %bb.22:
	v_div_scale_f64 v[189:190], null, v[187:188], v[187:188], v[185:186]
	v_div_scale_f64 v[195:196], vcc_lo, v[185:186], v[187:188], v[185:186]
	v_rcp_f64_e32 v[191:192], v[189:190]
	v_fma_f64 v[193:194], -v[189:190], v[191:192], 1.0
	v_fma_f64 v[191:192], v[191:192], v[193:194], v[191:192]
	v_fma_f64 v[193:194], -v[189:190], v[191:192], 1.0
	v_fma_f64 v[191:192], v[191:192], v[193:194], v[191:192]
	v_mul_f64 v[193:194], v[195:196], v[191:192]
	v_fma_f64 v[189:190], -v[189:190], v[193:194], v[195:196]
	v_div_fmas_f64 v[189:190], v[189:190], v[191:192], v[193:194]
	v_div_fixup_f64 v[189:190], v[189:190], v[187:188], v[185:186]
	v_fma_f64 v[185:186], v[185:186], v[189:190], v[187:188]
	v_div_scale_f64 v[187:188], null, v[185:186], v[185:186], 1.0
	v_rcp_f64_e32 v[191:192], v[187:188]
	v_fma_f64 v[193:194], -v[187:188], v[191:192], 1.0
	v_fma_f64 v[191:192], v[191:192], v[193:194], v[191:192]
	v_fma_f64 v[193:194], -v[187:188], v[191:192], 1.0
	v_fma_f64 v[191:192], v[191:192], v[193:194], v[191:192]
	v_div_scale_f64 v[193:194], vcc_lo, 1.0, v[185:186], 1.0
	v_mul_f64 v[195:196], v[193:194], v[191:192]
	v_fma_f64 v[187:188], -v[187:188], v[195:196], v[193:194]
	v_div_fmas_f64 v[187:188], v[187:188], v[191:192], v[195:196]
	v_div_fixup_f64 v[191:192], v[187:188], v[185:186], 1.0
                                        ; implicit-def: $vgpr185_vgpr186
	v_mul_f64 v[189:190], v[189:190], v[191:192]
	v_xor_b32_e32 v192, 0x80000000, v192
.LBB91_23:
	s_andn2_saveexec_b32 s1, s1
	s_cbranch_execz .LBB91_25
; %bb.24:
	v_div_scale_f64 v[189:190], null, v[185:186], v[185:186], v[187:188]
	v_div_scale_f64 v[195:196], vcc_lo, v[187:188], v[185:186], v[187:188]
	v_rcp_f64_e32 v[191:192], v[189:190]
	v_fma_f64 v[193:194], -v[189:190], v[191:192], 1.0
	v_fma_f64 v[191:192], v[191:192], v[193:194], v[191:192]
	v_fma_f64 v[193:194], -v[189:190], v[191:192], 1.0
	v_fma_f64 v[191:192], v[191:192], v[193:194], v[191:192]
	v_mul_f64 v[193:194], v[195:196], v[191:192]
	v_fma_f64 v[189:190], -v[189:190], v[193:194], v[195:196]
	v_div_fmas_f64 v[189:190], v[189:190], v[191:192], v[193:194]
	v_div_fixup_f64 v[191:192], v[189:190], v[185:186], v[187:188]
	v_fma_f64 v[185:186], v[187:188], v[191:192], v[185:186]
	v_div_scale_f64 v[187:188], null, v[185:186], v[185:186], 1.0
	v_rcp_f64_e32 v[189:190], v[187:188]
	v_fma_f64 v[193:194], -v[187:188], v[189:190], 1.0
	v_fma_f64 v[189:190], v[189:190], v[193:194], v[189:190]
	v_fma_f64 v[193:194], -v[187:188], v[189:190], 1.0
	v_fma_f64 v[189:190], v[189:190], v[193:194], v[189:190]
	v_div_scale_f64 v[193:194], vcc_lo, 1.0, v[185:186], 1.0
	v_mul_f64 v[195:196], v[193:194], v[189:190]
	v_fma_f64 v[187:188], -v[187:188], v[195:196], v[193:194]
	v_div_fmas_f64 v[187:188], v[187:188], v[189:190], v[195:196]
	v_div_fixup_f64 v[189:190], v[187:188], v[185:186], 1.0
	v_mul_f64 v[191:192], v[191:192], -v[189:190]
.LBB91_25:
	s_or_b32 exec_lo, exec_lo, s1
	ds_write2_b64 v255, v[189:190], v[191:192] offset1:1
.LBB91_26:
	s_or_b32 exec_lo, exec_lo, s2
	s_waitcnt lgkmcnt(0)
	s_barrier
	buffer_gl0_inv
	ds_read2_b64 v[185:188], v255 offset1:1
	s_mov_b32 s1, exec_lo
	s_waitcnt lgkmcnt(0)
	buffer_store_dword v185, off, s[16:19], 0 offset:328 ; 4-byte Folded Spill
	buffer_store_dword v186, off, s[16:19], 0 offset:332 ; 4-byte Folded Spill
	;; [unrolled: 1-line block ×4, first 2 shown]
	v_cmpx_lt_u32_e32 2, v0
	s_cbranch_execz .LBB91_28
; %bb.27:
	s_clause 0x3
	buffer_load_dword v187, off, s[16:19], 0 offset:328
	buffer_load_dword v188, off, s[16:19], 0 offset:332
	;; [unrolled: 1-line block ×4, first 2 shown]
	s_waitcnt vmcnt(0)
	v_mul_f64 v[185:186], v[189:190], v[175:176]
	v_mul_f64 v[175:176], v[187:188], v[175:176]
	v_fma_f64 v[185:186], v[187:188], v[173:174], -v[185:186]
	v_fma_f64 v[175:176], v[189:190], v[173:174], v[175:176]
	ds_read2_b64 v[187:190], v253 offset0:6 offset1:7
	s_waitcnt lgkmcnt(0)
	v_mul_f64 v[173:174], v[189:190], v[175:176]
	v_fma_f64 v[173:174], v[187:188], v[185:186], -v[173:174]
	v_mul_f64 v[187:188], v[187:188], v[175:176]
	v_add_f64 v[169:170], v[169:170], -v[173:174]
	v_fma_f64 v[187:188], v[189:190], v[185:186], v[187:188]
	v_add_f64 v[171:172], v[171:172], -v[187:188]
	ds_read2_b64 v[187:190], v253 offset0:8 offset1:9
	s_waitcnt lgkmcnt(0)
	v_mul_f64 v[173:174], v[189:190], v[175:176]
	v_fma_f64 v[173:174], v[187:188], v[185:186], -v[173:174]
	v_mul_f64 v[187:188], v[187:188], v[175:176]
	v_add_f64 v[165:166], v[165:166], -v[173:174]
	v_fma_f64 v[187:188], v[189:190], v[185:186], v[187:188]
	v_add_f64 v[167:168], v[167:168], -v[187:188]
	;; [unrolled: 8-line block ×42, first 2 shown]
	ds_read2_b64 v[187:190], v253 offset0:90 offset1:91
	s_waitcnt lgkmcnt(0)
	v_mul_f64 v[173:174], v[189:190], v[175:176]
	v_fma_f64 v[173:174], v[187:188], v[185:186], -v[173:174]
	v_mul_f64 v[187:188], v[187:188], v[175:176]
	v_add_f64 v[1:2], v[1:2], -v[173:174]
	v_fma_f64 v[187:188], v[189:190], v[185:186], v[187:188]
	v_mov_b32_e32 v173, v185
	v_mov_b32_e32 v174, v186
	v_add_f64 v[3:4], v[3:4], -v[187:188]
.LBB91_28:
	s_or_b32 exec_lo, exec_lo, s1
	s_mov_b32 s2, exec_lo
	s_waitcnt_vscnt null, 0x0
	s_barrier
	buffer_gl0_inv
	v_cmpx_eq_u32_e32 3, v0
	s_cbranch_execz .LBB91_35
; %bb.29:
	ds_write2_b64 v255, v[169:170], v[171:172] offset1:1
	ds_write2_b64 v253, v[165:166], v[167:168] offset0:8 offset1:9
	ds_write2_b64 v253, v[161:162], v[163:164] offset0:10 offset1:11
	;; [unrolled: 1-line block ×42, first 2 shown]
	ds_read2_b64 v[185:188], v255 offset1:1
	s_waitcnt lgkmcnt(0)
	v_cmp_neq_f64_e32 vcc_lo, 0, v[185:186]
	v_cmp_neq_f64_e64 s1, 0, v[187:188]
	s_or_b32 s1, vcc_lo, s1
	s_and_b32 exec_lo, exec_lo, s1
	s_cbranch_execz .LBB91_35
; %bb.30:
	v_cmp_ngt_f64_e64 s1, |v[185:186]|, |v[187:188]|
                                        ; implicit-def: $vgpr189_vgpr190
	s_and_saveexec_b32 s3, s1
	s_xor_b32 s1, exec_lo, s3
                                        ; implicit-def: $vgpr191_vgpr192
	s_cbranch_execz .LBB91_32
; %bb.31:
	v_div_scale_f64 v[189:190], null, v[187:188], v[187:188], v[185:186]
	v_div_scale_f64 v[195:196], vcc_lo, v[185:186], v[187:188], v[185:186]
	v_rcp_f64_e32 v[191:192], v[189:190]
	v_fma_f64 v[193:194], -v[189:190], v[191:192], 1.0
	v_fma_f64 v[191:192], v[191:192], v[193:194], v[191:192]
	v_fma_f64 v[193:194], -v[189:190], v[191:192], 1.0
	v_fma_f64 v[191:192], v[191:192], v[193:194], v[191:192]
	v_mul_f64 v[193:194], v[195:196], v[191:192]
	v_fma_f64 v[189:190], -v[189:190], v[193:194], v[195:196]
	v_div_fmas_f64 v[189:190], v[189:190], v[191:192], v[193:194]
	v_div_fixup_f64 v[189:190], v[189:190], v[187:188], v[185:186]
	v_fma_f64 v[185:186], v[185:186], v[189:190], v[187:188]
	v_div_scale_f64 v[187:188], null, v[185:186], v[185:186], 1.0
	v_rcp_f64_e32 v[191:192], v[187:188]
	v_fma_f64 v[193:194], -v[187:188], v[191:192], 1.0
	v_fma_f64 v[191:192], v[191:192], v[193:194], v[191:192]
	v_fma_f64 v[193:194], -v[187:188], v[191:192], 1.0
	v_fma_f64 v[191:192], v[191:192], v[193:194], v[191:192]
	v_div_scale_f64 v[193:194], vcc_lo, 1.0, v[185:186], 1.0
	v_mul_f64 v[195:196], v[193:194], v[191:192]
	v_fma_f64 v[187:188], -v[187:188], v[195:196], v[193:194]
	v_div_fmas_f64 v[187:188], v[187:188], v[191:192], v[195:196]
	v_div_fixup_f64 v[191:192], v[187:188], v[185:186], 1.0
                                        ; implicit-def: $vgpr185_vgpr186
	v_mul_f64 v[189:190], v[189:190], v[191:192]
	v_xor_b32_e32 v192, 0x80000000, v192
.LBB91_32:
	s_andn2_saveexec_b32 s1, s1
	s_cbranch_execz .LBB91_34
; %bb.33:
	v_div_scale_f64 v[189:190], null, v[185:186], v[185:186], v[187:188]
	v_div_scale_f64 v[195:196], vcc_lo, v[187:188], v[185:186], v[187:188]
	v_rcp_f64_e32 v[191:192], v[189:190]
	v_fma_f64 v[193:194], -v[189:190], v[191:192], 1.0
	v_fma_f64 v[191:192], v[191:192], v[193:194], v[191:192]
	v_fma_f64 v[193:194], -v[189:190], v[191:192], 1.0
	v_fma_f64 v[191:192], v[191:192], v[193:194], v[191:192]
	v_mul_f64 v[193:194], v[195:196], v[191:192]
	v_fma_f64 v[189:190], -v[189:190], v[193:194], v[195:196]
	v_div_fmas_f64 v[189:190], v[189:190], v[191:192], v[193:194]
	v_div_fixup_f64 v[191:192], v[189:190], v[185:186], v[187:188]
	v_fma_f64 v[185:186], v[187:188], v[191:192], v[185:186]
	v_div_scale_f64 v[187:188], null, v[185:186], v[185:186], 1.0
	v_rcp_f64_e32 v[189:190], v[187:188]
	v_fma_f64 v[193:194], -v[187:188], v[189:190], 1.0
	v_fma_f64 v[189:190], v[189:190], v[193:194], v[189:190]
	v_fma_f64 v[193:194], -v[187:188], v[189:190], 1.0
	v_fma_f64 v[189:190], v[189:190], v[193:194], v[189:190]
	v_div_scale_f64 v[193:194], vcc_lo, 1.0, v[185:186], 1.0
	v_mul_f64 v[195:196], v[193:194], v[189:190]
	v_fma_f64 v[187:188], -v[187:188], v[195:196], v[193:194]
	v_div_fmas_f64 v[187:188], v[187:188], v[189:190], v[195:196]
	v_div_fixup_f64 v[189:190], v[187:188], v[185:186], 1.0
	v_mul_f64 v[191:192], v[191:192], -v[189:190]
.LBB91_34:
	s_or_b32 exec_lo, exec_lo, s1
	ds_write2_b64 v255, v[189:190], v[191:192] offset1:1
.LBB91_35:
	s_or_b32 exec_lo, exec_lo, s2
	s_waitcnt lgkmcnt(0)
	s_barrier
	buffer_gl0_inv
	ds_read2_b64 v[185:188], v255 offset1:1
	s_mov_b32 s1, exec_lo
	s_waitcnt lgkmcnt(0)
	buffer_store_dword v185, off, s[16:19], 0 offset:344 ; 4-byte Folded Spill
	buffer_store_dword v186, off, s[16:19], 0 offset:348 ; 4-byte Folded Spill
	;; [unrolled: 1-line block ×4, first 2 shown]
	v_cmpx_lt_u32_e32 3, v0
	s_cbranch_execz .LBB91_37
; %bb.36:
	s_clause 0x3
	buffer_load_dword v187, off, s[16:19], 0 offset:344
	buffer_load_dword v188, off, s[16:19], 0 offset:348
	;; [unrolled: 1-line block ×4, first 2 shown]
	s_waitcnt vmcnt(0)
	v_mul_f64 v[185:186], v[189:190], v[171:172]
	v_mul_f64 v[171:172], v[187:188], v[171:172]
	v_fma_f64 v[185:186], v[187:188], v[169:170], -v[185:186]
	v_fma_f64 v[171:172], v[189:190], v[169:170], v[171:172]
	ds_read2_b64 v[187:190], v253 offset0:8 offset1:9
	s_waitcnt lgkmcnt(0)
	v_mul_f64 v[169:170], v[189:190], v[171:172]
	v_fma_f64 v[169:170], v[187:188], v[185:186], -v[169:170]
	v_mul_f64 v[187:188], v[187:188], v[171:172]
	v_add_f64 v[165:166], v[165:166], -v[169:170]
	v_fma_f64 v[187:188], v[189:190], v[185:186], v[187:188]
	v_add_f64 v[167:168], v[167:168], -v[187:188]
	ds_read2_b64 v[187:190], v253 offset0:10 offset1:11
	s_waitcnt lgkmcnt(0)
	v_mul_f64 v[169:170], v[189:190], v[171:172]
	v_fma_f64 v[169:170], v[187:188], v[185:186], -v[169:170]
	v_mul_f64 v[187:188], v[187:188], v[171:172]
	v_add_f64 v[161:162], v[161:162], -v[169:170]
	v_fma_f64 v[187:188], v[189:190], v[185:186], v[187:188]
	v_add_f64 v[163:164], v[163:164], -v[187:188]
	;; [unrolled: 8-line block ×41, first 2 shown]
	ds_read2_b64 v[187:190], v253 offset0:90 offset1:91
	s_waitcnt lgkmcnt(0)
	v_mul_f64 v[169:170], v[189:190], v[171:172]
	v_fma_f64 v[169:170], v[187:188], v[185:186], -v[169:170]
	v_mul_f64 v[187:188], v[187:188], v[171:172]
	v_add_f64 v[1:2], v[1:2], -v[169:170]
	v_fma_f64 v[187:188], v[189:190], v[185:186], v[187:188]
	v_mov_b32_e32 v169, v185
	v_mov_b32_e32 v170, v186
	v_add_f64 v[3:4], v[3:4], -v[187:188]
.LBB91_37:
	s_or_b32 exec_lo, exec_lo, s1
	s_mov_b32 s2, exec_lo
	s_waitcnt_vscnt null, 0x0
	s_barrier
	buffer_gl0_inv
	v_cmpx_eq_u32_e32 4, v0
	s_cbranch_execz .LBB91_44
; %bb.38:
	ds_write2_b64 v255, v[165:166], v[167:168] offset1:1
	ds_write2_b64 v253, v[161:162], v[163:164] offset0:10 offset1:11
	ds_write2_b64 v253, v[157:158], v[159:160] offset0:12 offset1:13
	;; [unrolled: 1-line block ×41, first 2 shown]
	ds_read2_b64 v[185:188], v255 offset1:1
	s_waitcnt lgkmcnt(0)
	v_cmp_neq_f64_e32 vcc_lo, 0, v[185:186]
	v_cmp_neq_f64_e64 s1, 0, v[187:188]
	s_or_b32 s1, vcc_lo, s1
	s_and_b32 exec_lo, exec_lo, s1
	s_cbranch_execz .LBB91_44
; %bb.39:
	v_cmp_ngt_f64_e64 s1, |v[185:186]|, |v[187:188]|
                                        ; implicit-def: $vgpr189_vgpr190
	s_and_saveexec_b32 s3, s1
	s_xor_b32 s1, exec_lo, s3
                                        ; implicit-def: $vgpr191_vgpr192
	s_cbranch_execz .LBB91_41
; %bb.40:
	v_div_scale_f64 v[189:190], null, v[187:188], v[187:188], v[185:186]
	v_div_scale_f64 v[195:196], vcc_lo, v[185:186], v[187:188], v[185:186]
	v_rcp_f64_e32 v[191:192], v[189:190]
	v_fma_f64 v[193:194], -v[189:190], v[191:192], 1.0
	v_fma_f64 v[191:192], v[191:192], v[193:194], v[191:192]
	v_fma_f64 v[193:194], -v[189:190], v[191:192], 1.0
	v_fma_f64 v[191:192], v[191:192], v[193:194], v[191:192]
	v_mul_f64 v[193:194], v[195:196], v[191:192]
	v_fma_f64 v[189:190], -v[189:190], v[193:194], v[195:196]
	v_div_fmas_f64 v[189:190], v[189:190], v[191:192], v[193:194]
	v_div_fixup_f64 v[189:190], v[189:190], v[187:188], v[185:186]
	v_fma_f64 v[185:186], v[185:186], v[189:190], v[187:188]
	v_div_scale_f64 v[187:188], null, v[185:186], v[185:186], 1.0
	v_rcp_f64_e32 v[191:192], v[187:188]
	v_fma_f64 v[193:194], -v[187:188], v[191:192], 1.0
	v_fma_f64 v[191:192], v[191:192], v[193:194], v[191:192]
	v_fma_f64 v[193:194], -v[187:188], v[191:192], 1.0
	v_fma_f64 v[191:192], v[191:192], v[193:194], v[191:192]
	v_div_scale_f64 v[193:194], vcc_lo, 1.0, v[185:186], 1.0
	v_mul_f64 v[195:196], v[193:194], v[191:192]
	v_fma_f64 v[187:188], -v[187:188], v[195:196], v[193:194]
	v_div_fmas_f64 v[187:188], v[187:188], v[191:192], v[195:196]
	v_div_fixup_f64 v[191:192], v[187:188], v[185:186], 1.0
                                        ; implicit-def: $vgpr185_vgpr186
	v_mul_f64 v[189:190], v[189:190], v[191:192]
	v_xor_b32_e32 v192, 0x80000000, v192
.LBB91_41:
	s_andn2_saveexec_b32 s1, s1
	s_cbranch_execz .LBB91_43
; %bb.42:
	v_div_scale_f64 v[189:190], null, v[185:186], v[185:186], v[187:188]
	v_div_scale_f64 v[195:196], vcc_lo, v[187:188], v[185:186], v[187:188]
	v_rcp_f64_e32 v[191:192], v[189:190]
	v_fma_f64 v[193:194], -v[189:190], v[191:192], 1.0
	v_fma_f64 v[191:192], v[191:192], v[193:194], v[191:192]
	v_fma_f64 v[193:194], -v[189:190], v[191:192], 1.0
	v_fma_f64 v[191:192], v[191:192], v[193:194], v[191:192]
	v_mul_f64 v[193:194], v[195:196], v[191:192]
	v_fma_f64 v[189:190], -v[189:190], v[193:194], v[195:196]
	v_div_fmas_f64 v[189:190], v[189:190], v[191:192], v[193:194]
	v_div_fixup_f64 v[191:192], v[189:190], v[185:186], v[187:188]
	v_fma_f64 v[185:186], v[187:188], v[191:192], v[185:186]
	v_div_scale_f64 v[187:188], null, v[185:186], v[185:186], 1.0
	v_rcp_f64_e32 v[189:190], v[187:188]
	v_fma_f64 v[193:194], -v[187:188], v[189:190], 1.0
	v_fma_f64 v[189:190], v[189:190], v[193:194], v[189:190]
	v_fma_f64 v[193:194], -v[187:188], v[189:190], 1.0
	v_fma_f64 v[189:190], v[189:190], v[193:194], v[189:190]
	v_div_scale_f64 v[193:194], vcc_lo, 1.0, v[185:186], 1.0
	v_mul_f64 v[195:196], v[193:194], v[189:190]
	v_fma_f64 v[187:188], -v[187:188], v[195:196], v[193:194]
	v_div_fmas_f64 v[187:188], v[187:188], v[189:190], v[195:196]
	v_div_fixup_f64 v[189:190], v[187:188], v[185:186], 1.0
	v_mul_f64 v[191:192], v[191:192], -v[189:190]
.LBB91_43:
	s_or_b32 exec_lo, exec_lo, s1
	ds_write2_b64 v255, v[189:190], v[191:192] offset1:1
.LBB91_44:
	s_or_b32 exec_lo, exec_lo, s2
	s_waitcnt lgkmcnt(0)
	s_barrier
	buffer_gl0_inv
	ds_read2_b64 v[185:188], v255 offset1:1
	s_mov_b32 s1, exec_lo
	s_waitcnt lgkmcnt(0)
	buffer_store_dword v185, off, s[16:19], 0 offset:360 ; 4-byte Folded Spill
	buffer_store_dword v186, off, s[16:19], 0 offset:364 ; 4-byte Folded Spill
	;; [unrolled: 1-line block ×4, first 2 shown]
	v_cmpx_lt_u32_e32 4, v0
	s_cbranch_execz .LBB91_46
; %bb.45:
	s_clause 0x3
	buffer_load_dword v187, off, s[16:19], 0 offset:360
	buffer_load_dword v188, off, s[16:19], 0 offset:364
	;; [unrolled: 1-line block ×4, first 2 shown]
	s_waitcnt vmcnt(0)
	v_mul_f64 v[185:186], v[189:190], v[167:168]
	v_mul_f64 v[167:168], v[187:188], v[167:168]
	v_fma_f64 v[185:186], v[187:188], v[165:166], -v[185:186]
	v_fma_f64 v[167:168], v[189:190], v[165:166], v[167:168]
	ds_read2_b64 v[187:190], v253 offset0:10 offset1:11
	s_waitcnt lgkmcnt(0)
	v_mul_f64 v[165:166], v[189:190], v[167:168]
	v_fma_f64 v[165:166], v[187:188], v[185:186], -v[165:166]
	v_mul_f64 v[187:188], v[187:188], v[167:168]
	v_add_f64 v[161:162], v[161:162], -v[165:166]
	v_fma_f64 v[187:188], v[189:190], v[185:186], v[187:188]
	v_add_f64 v[163:164], v[163:164], -v[187:188]
	ds_read2_b64 v[187:190], v253 offset0:12 offset1:13
	s_waitcnt lgkmcnt(0)
	v_mul_f64 v[165:166], v[189:190], v[167:168]
	v_fma_f64 v[165:166], v[187:188], v[185:186], -v[165:166]
	v_mul_f64 v[187:188], v[187:188], v[167:168]
	v_add_f64 v[157:158], v[157:158], -v[165:166]
	v_fma_f64 v[187:188], v[189:190], v[185:186], v[187:188]
	v_add_f64 v[159:160], v[159:160], -v[187:188]
	;; [unrolled: 8-line block ×40, first 2 shown]
	ds_read2_b64 v[187:190], v253 offset0:90 offset1:91
	s_waitcnt lgkmcnt(0)
	v_mul_f64 v[165:166], v[189:190], v[167:168]
	v_fma_f64 v[165:166], v[187:188], v[185:186], -v[165:166]
	v_mul_f64 v[187:188], v[187:188], v[167:168]
	v_add_f64 v[1:2], v[1:2], -v[165:166]
	v_fma_f64 v[187:188], v[189:190], v[185:186], v[187:188]
	v_mov_b32_e32 v165, v185
	v_mov_b32_e32 v166, v186
	v_add_f64 v[3:4], v[3:4], -v[187:188]
.LBB91_46:
	s_or_b32 exec_lo, exec_lo, s1
	s_mov_b32 s2, exec_lo
	s_waitcnt_vscnt null, 0x0
	s_barrier
	buffer_gl0_inv
	v_cmpx_eq_u32_e32 5, v0
	s_cbranch_execz .LBB91_53
; %bb.47:
	ds_write2_b64 v255, v[161:162], v[163:164] offset1:1
	ds_write2_b64 v253, v[157:158], v[159:160] offset0:12 offset1:13
	ds_write2_b64 v253, v[153:154], v[155:156] offset0:14 offset1:15
	;; [unrolled: 1-line block ×40, first 2 shown]
	ds_read2_b64 v[185:188], v255 offset1:1
	s_waitcnt lgkmcnt(0)
	v_cmp_neq_f64_e32 vcc_lo, 0, v[185:186]
	v_cmp_neq_f64_e64 s1, 0, v[187:188]
	s_or_b32 s1, vcc_lo, s1
	s_and_b32 exec_lo, exec_lo, s1
	s_cbranch_execz .LBB91_53
; %bb.48:
	v_cmp_ngt_f64_e64 s1, |v[185:186]|, |v[187:188]|
                                        ; implicit-def: $vgpr189_vgpr190
	s_and_saveexec_b32 s3, s1
	s_xor_b32 s1, exec_lo, s3
                                        ; implicit-def: $vgpr191_vgpr192
	s_cbranch_execz .LBB91_50
; %bb.49:
	v_div_scale_f64 v[189:190], null, v[187:188], v[187:188], v[185:186]
	v_div_scale_f64 v[195:196], vcc_lo, v[185:186], v[187:188], v[185:186]
	v_rcp_f64_e32 v[191:192], v[189:190]
	v_fma_f64 v[193:194], -v[189:190], v[191:192], 1.0
	v_fma_f64 v[191:192], v[191:192], v[193:194], v[191:192]
	v_fma_f64 v[193:194], -v[189:190], v[191:192], 1.0
	v_fma_f64 v[191:192], v[191:192], v[193:194], v[191:192]
	v_mul_f64 v[193:194], v[195:196], v[191:192]
	v_fma_f64 v[189:190], -v[189:190], v[193:194], v[195:196]
	v_div_fmas_f64 v[189:190], v[189:190], v[191:192], v[193:194]
	v_div_fixup_f64 v[189:190], v[189:190], v[187:188], v[185:186]
	v_fma_f64 v[185:186], v[185:186], v[189:190], v[187:188]
	v_div_scale_f64 v[187:188], null, v[185:186], v[185:186], 1.0
	v_rcp_f64_e32 v[191:192], v[187:188]
	v_fma_f64 v[193:194], -v[187:188], v[191:192], 1.0
	v_fma_f64 v[191:192], v[191:192], v[193:194], v[191:192]
	v_fma_f64 v[193:194], -v[187:188], v[191:192], 1.0
	v_fma_f64 v[191:192], v[191:192], v[193:194], v[191:192]
	v_div_scale_f64 v[193:194], vcc_lo, 1.0, v[185:186], 1.0
	v_mul_f64 v[195:196], v[193:194], v[191:192]
	v_fma_f64 v[187:188], -v[187:188], v[195:196], v[193:194]
	v_div_fmas_f64 v[187:188], v[187:188], v[191:192], v[195:196]
	v_div_fixup_f64 v[191:192], v[187:188], v[185:186], 1.0
                                        ; implicit-def: $vgpr185_vgpr186
	v_mul_f64 v[189:190], v[189:190], v[191:192]
	v_xor_b32_e32 v192, 0x80000000, v192
.LBB91_50:
	s_andn2_saveexec_b32 s1, s1
	s_cbranch_execz .LBB91_52
; %bb.51:
	v_div_scale_f64 v[189:190], null, v[185:186], v[185:186], v[187:188]
	v_div_scale_f64 v[195:196], vcc_lo, v[187:188], v[185:186], v[187:188]
	v_rcp_f64_e32 v[191:192], v[189:190]
	v_fma_f64 v[193:194], -v[189:190], v[191:192], 1.0
	v_fma_f64 v[191:192], v[191:192], v[193:194], v[191:192]
	v_fma_f64 v[193:194], -v[189:190], v[191:192], 1.0
	v_fma_f64 v[191:192], v[191:192], v[193:194], v[191:192]
	v_mul_f64 v[193:194], v[195:196], v[191:192]
	v_fma_f64 v[189:190], -v[189:190], v[193:194], v[195:196]
	v_div_fmas_f64 v[189:190], v[189:190], v[191:192], v[193:194]
	v_div_fixup_f64 v[191:192], v[189:190], v[185:186], v[187:188]
	v_fma_f64 v[185:186], v[187:188], v[191:192], v[185:186]
	v_div_scale_f64 v[187:188], null, v[185:186], v[185:186], 1.0
	v_rcp_f64_e32 v[189:190], v[187:188]
	v_fma_f64 v[193:194], -v[187:188], v[189:190], 1.0
	v_fma_f64 v[189:190], v[189:190], v[193:194], v[189:190]
	v_fma_f64 v[193:194], -v[187:188], v[189:190], 1.0
	v_fma_f64 v[189:190], v[189:190], v[193:194], v[189:190]
	v_div_scale_f64 v[193:194], vcc_lo, 1.0, v[185:186], 1.0
	v_mul_f64 v[195:196], v[193:194], v[189:190]
	v_fma_f64 v[187:188], -v[187:188], v[195:196], v[193:194]
	v_div_fmas_f64 v[187:188], v[187:188], v[189:190], v[195:196]
	v_div_fixup_f64 v[189:190], v[187:188], v[185:186], 1.0
	v_mul_f64 v[191:192], v[191:192], -v[189:190]
.LBB91_52:
	s_or_b32 exec_lo, exec_lo, s1
	ds_write2_b64 v255, v[189:190], v[191:192] offset1:1
.LBB91_53:
	s_or_b32 exec_lo, exec_lo, s2
	s_waitcnt lgkmcnt(0)
	s_barrier
	buffer_gl0_inv
	ds_read2_b64 v[185:188], v255 offset1:1
	s_mov_b32 s1, exec_lo
	s_waitcnt lgkmcnt(0)
	buffer_store_dword v185, off, s[16:19], 0 offset:376 ; 4-byte Folded Spill
	buffer_store_dword v186, off, s[16:19], 0 offset:380 ; 4-byte Folded Spill
	;; [unrolled: 1-line block ×4, first 2 shown]
	v_cmpx_lt_u32_e32 5, v0
	s_cbranch_execz .LBB91_55
; %bb.54:
	s_clause 0x3
	buffer_load_dword v187, off, s[16:19], 0 offset:376
	buffer_load_dword v188, off, s[16:19], 0 offset:380
	;; [unrolled: 1-line block ×4, first 2 shown]
	s_waitcnt vmcnt(0)
	v_mul_f64 v[185:186], v[189:190], v[163:164]
	v_mul_f64 v[163:164], v[187:188], v[163:164]
	v_fma_f64 v[185:186], v[187:188], v[161:162], -v[185:186]
	v_fma_f64 v[163:164], v[189:190], v[161:162], v[163:164]
	ds_read2_b64 v[187:190], v253 offset0:12 offset1:13
	s_waitcnt lgkmcnt(0)
	v_mul_f64 v[161:162], v[189:190], v[163:164]
	v_fma_f64 v[161:162], v[187:188], v[185:186], -v[161:162]
	v_mul_f64 v[187:188], v[187:188], v[163:164]
	v_add_f64 v[157:158], v[157:158], -v[161:162]
	v_fma_f64 v[187:188], v[189:190], v[185:186], v[187:188]
	v_add_f64 v[159:160], v[159:160], -v[187:188]
	ds_read2_b64 v[187:190], v253 offset0:14 offset1:15
	s_waitcnt lgkmcnt(0)
	v_mul_f64 v[161:162], v[189:190], v[163:164]
	v_fma_f64 v[161:162], v[187:188], v[185:186], -v[161:162]
	v_mul_f64 v[187:188], v[187:188], v[163:164]
	v_add_f64 v[153:154], v[153:154], -v[161:162]
	v_fma_f64 v[187:188], v[189:190], v[185:186], v[187:188]
	v_add_f64 v[155:156], v[155:156], -v[187:188]
	;; [unrolled: 8-line block ×39, first 2 shown]
	ds_read2_b64 v[187:190], v253 offset0:90 offset1:91
	s_waitcnt lgkmcnt(0)
	v_mul_f64 v[161:162], v[189:190], v[163:164]
	v_fma_f64 v[161:162], v[187:188], v[185:186], -v[161:162]
	v_mul_f64 v[187:188], v[187:188], v[163:164]
	v_add_f64 v[1:2], v[1:2], -v[161:162]
	v_fma_f64 v[187:188], v[189:190], v[185:186], v[187:188]
	v_mov_b32_e32 v161, v185
	v_mov_b32_e32 v162, v186
	v_add_f64 v[3:4], v[3:4], -v[187:188]
.LBB91_55:
	s_or_b32 exec_lo, exec_lo, s1
	s_mov_b32 s2, exec_lo
	s_waitcnt_vscnt null, 0x0
	s_barrier
	buffer_gl0_inv
	v_cmpx_eq_u32_e32 6, v0
	s_cbranch_execz .LBB91_62
; %bb.56:
	ds_write2_b64 v255, v[157:158], v[159:160] offset1:1
	ds_write2_b64 v253, v[153:154], v[155:156] offset0:14 offset1:15
	ds_write2_b64 v253, v[149:150], v[151:152] offset0:16 offset1:17
	;; [unrolled: 1-line block ×39, first 2 shown]
	ds_read2_b64 v[185:188], v255 offset1:1
	s_waitcnt lgkmcnt(0)
	v_cmp_neq_f64_e32 vcc_lo, 0, v[185:186]
	v_cmp_neq_f64_e64 s1, 0, v[187:188]
	s_or_b32 s1, vcc_lo, s1
	s_and_b32 exec_lo, exec_lo, s1
	s_cbranch_execz .LBB91_62
; %bb.57:
	v_cmp_ngt_f64_e64 s1, |v[185:186]|, |v[187:188]|
                                        ; implicit-def: $vgpr189_vgpr190
	s_and_saveexec_b32 s3, s1
	s_xor_b32 s1, exec_lo, s3
                                        ; implicit-def: $vgpr191_vgpr192
	s_cbranch_execz .LBB91_59
; %bb.58:
	v_div_scale_f64 v[189:190], null, v[187:188], v[187:188], v[185:186]
	v_div_scale_f64 v[195:196], vcc_lo, v[185:186], v[187:188], v[185:186]
	v_rcp_f64_e32 v[191:192], v[189:190]
	v_fma_f64 v[193:194], -v[189:190], v[191:192], 1.0
	v_fma_f64 v[191:192], v[191:192], v[193:194], v[191:192]
	v_fma_f64 v[193:194], -v[189:190], v[191:192], 1.0
	v_fma_f64 v[191:192], v[191:192], v[193:194], v[191:192]
	v_mul_f64 v[193:194], v[195:196], v[191:192]
	v_fma_f64 v[189:190], -v[189:190], v[193:194], v[195:196]
	v_div_fmas_f64 v[189:190], v[189:190], v[191:192], v[193:194]
	v_div_fixup_f64 v[189:190], v[189:190], v[187:188], v[185:186]
	v_fma_f64 v[185:186], v[185:186], v[189:190], v[187:188]
	v_div_scale_f64 v[187:188], null, v[185:186], v[185:186], 1.0
	v_rcp_f64_e32 v[191:192], v[187:188]
	v_fma_f64 v[193:194], -v[187:188], v[191:192], 1.0
	v_fma_f64 v[191:192], v[191:192], v[193:194], v[191:192]
	v_fma_f64 v[193:194], -v[187:188], v[191:192], 1.0
	v_fma_f64 v[191:192], v[191:192], v[193:194], v[191:192]
	v_div_scale_f64 v[193:194], vcc_lo, 1.0, v[185:186], 1.0
	v_mul_f64 v[195:196], v[193:194], v[191:192]
	v_fma_f64 v[187:188], -v[187:188], v[195:196], v[193:194]
	v_div_fmas_f64 v[187:188], v[187:188], v[191:192], v[195:196]
	v_div_fixup_f64 v[191:192], v[187:188], v[185:186], 1.0
                                        ; implicit-def: $vgpr185_vgpr186
	v_mul_f64 v[189:190], v[189:190], v[191:192]
	v_xor_b32_e32 v192, 0x80000000, v192
.LBB91_59:
	s_andn2_saveexec_b32 s1, s1
	s_cbranch_execz .LBB91_61
; %bb.60:
	v_div_scale_f64 v[189:190], null, v[185:186], v[185:186], v[187:188]
	v_div_scale_f64 v[195:196], vcc_lo, v[187:188], v[185:186], v[187:188]
	v_rcp_f64_e32 v[191:192], v[189:190]
	v_fma_f64 v[193:194], -v[189:190], v[191:192], 1.0
	v_fma_f64 v[191:192], v[191:192], v[193:194], v[191:192]
	v_fma_f64 v[193:194], -v[189:190], v[191:192], 1.0
	v_fma_f64 v[191:192], v[191:192], v[193:194], v[191:192]
	v_mul_f64 v[193:194], v[195:196], v[191:192]
	v_fma_f64 v[189:190], -v[189:190], v[193:194], v[195:196]
	v_div_fmas_f64 v[189:190], v[189:190], v[191:192], v[193:194]
	v_div_fixup_f64 v[191:192], v[189:190], v[185:186], v[187:188]
	v_fma_f64 v[185:186], v[187:188], v[191:192], v[185:186]
	v_div_scale_f64 v[187:188], null, v[185:186], v[185:186], 1.0
	v_rcp_f64_e32 v[189:190], v[187:188]
	v_fma_f64 v[193:194], -v[187:188], v[189:190], 1.0
	v_fma_f64 v[189:190], v[189:190], v[193:194], v[189:190]
	v_fma_f64 v[193:194], -v[187:188], v[189:190], 1.0
	v_fma_f64 v[189:190], v[189:190], v[193:194], v[189:190]
	v_div_scale_f64 v[193:194], vcc_lo, 1.0, v[185:186], 1.0
	v_mul_f64 v[195:196], v[193:194], v[189:190]
	v_fma_f64 v[187:188], -v[187:188], v[195:196], v[193:194]
	v_div_fmas_f64 v[187:188], v[187:188], v[189:190], v[195:196]
	v_div_fixup_f64 v[189:190], v[187:188], v[185:186], 1.0
	v_mul_f64 v[191:192], v[191:192], -v[189:190]
.LBB91_61:
	s_or_b32 exec_lo, exec_lo, s1
	ds_write2_b64 v255, v[189:190], v[191:192] offset1:1
.LBB91_62:
	s_or_b32 exec_lo, exec_lo, s2
	s_waitcnt lgkmcnt(0)
	s_barrier
	buffer_gl0_inv
	ds_read2_b64 v[185:188], v255 offset1:1
	s_mov_b32 s1, exec_lo
	s_waitcnt lgkmcnt(0)
	buffer_store_dword v185, off, s[16:19], 0 offset:392 ; 4-byte Folded Spill
	buffer_store_dword v186, off, s[16:19], 0 offset:396 ; 4-byte Folded Spill
	;; [unrolled: 1-line block ×4, first 2 shown]
	v_cmpx_lt_u32_e32 6, v0
	s_cbranch_execz .LBB91_64
; %bb.63:
	s_clause 0x3
	buffer_load_dword v187, off, s[16:19], 0 offset:392
	buffer_load_dword v188, off, s[16:19], 0 offset:396
	;; [unrolled: 1-line block ×4, first 2 shown]
	s_waitcnt vmcnt(0)
	v_mul_f64 v[185:186], v[189:190], v[159:160]
	v_mul_f64 v[159:160], v[187:188], v[159:160]
	v_fma_f64 v[185:186], v[187:188], v[157:158], -v[185:186]
	v_fma_f64 v[159:160], v[189:190], v[157:158], v[159:160]
	ds_read2_b64 v[187:190], v253 offset0:14 offset1:15
	s_waitcnt lgkmcnt(0)
	v_mul_f64 v[157:158], v[189:190], v[159:160]
	v_fma_f64 v[157:158], v[187:188], v[185:186], -v[157:158]
	v_mul_f64 v[187:188], v[187:188], v[159:160]
	v_add_f64 v[153:154], v[153:154], -v[157:158]
	v_fma_f64 v[187:188], v[189:190], v[185:186], v[187:188]
	v_add_f64 v[155:156], v[155:156], -v[187:188]
	ds_read2_b64 v[187:190], v253 offset0:16 offset1:17
	s_waitcnt lgkmcnt(0)
	v_mul_f64 v[157:158], v[189:190], v[159:160]
	v_fma_f64 v[157:158], v[187:188], v[185:186], -v[157:158]
	v_mul_f64 v[187:188], v[187:188], v[159:160]
	v_add_f64 v[149:150], v[149:150], -v[157:158]
	v_fma_f64 v[187:188], v[189:190], v[185:186], v[187:188]
	v_add_f64 v[151:152], v[151:152], -v[187:188]
	;; [unrolled: 8-line block ×38, first 2 shown]
	ds_read2_b64 v[187:190], v253 offset0:90 offset1:91
	s_waitcnt lgkmcnt(0)
	v_mul_f64 v[157:158], v[189:190], v[159:160]
	v_fma_f64 v[157:158], v[187:188], v[185:186], -v[157:158]
	v_mul_f64 v[187:188], v[187:188], v[159:160]
	v_add_f64 v[1:2], v[1:2], -v[157:158]
	v_fma_f64 v[187:188], v[189:190], v[185:186], v[187:188]
	v_mov_b32_e32 v157, v185
	v_mov_b32_e32 v158, v186
	v_add_f64 v[3:4], v[3:4], -v[187:188]
.LBB91_64:
	s_or_b32 exec_lo, exec_lo, s1
	s_mov_b32 s2, exec_lo
	s_waitcnt_vscnt null, 0x0
	s_barrier
	buffer_gl0_inv
	v_cmpx_eq_u32_e32 7, v0
	s_cbranch_execz .LBB91_71
; %bb.65:
	ds_write2_b64 v255, v[153:154], v[155:156] offset1:1
	ds_write2_b64 v253, v[149:150], v[151:152] offset0:16 offset1:17
	ds_write2_b64 v253, v[145:146], v[147:148] offset0:18 offset1:19
	;; [unrolled: 1-line block ×38, first 2 shown]
	ds_read2_b64 v[185:188], v255 offset1:1
	s_waitcnt lgkmcnt(0)
	v_cmp_neq_f64_e32 vcc_lo, 0, v[185:186]
	v_cmp_neq_f64_e64 s1, 0, v[187:188]
	s_or_b32 s1, vcc_lo, s1
	s_and_b32 exec_lo, exec_lo, s1
	s_cbranch_execz .LBB91_71
; %bb.66:
	v_cmp_ngt_f64_e64 s1, |v[185:186]|, |v[187:188]|
                                        ; implicit-def: $vgpr189_vgpr190
	s_and_saveexec_b32 s3, s1
	s_xor_b32 s1, exec_lo, s3
                                        ; implicit-def: $vgpr191_vgpr192
	s_cbranch_execz .LBB91_68
; %bb.67:
	v_div_scale_f64 v[189:190], null, v[187:188], v[187:188], v[185:186]
	v_div_scale_f64 v[195:196], vcc_lo, v[185:186], v[187:188], v[185:186]
	v_rcp_f64_e32 v[191:192], v[189:190]
	v_fma_f64 v[193:194], -v[189:190], v[191:192], 1.0
	v_fma_f64 v[191:192], v[191:192], v[193:194], v[191:192]
	v_fma_f64 v[193:194], -v[189:190], v[191:192], 1.0
	v_fma_f64 v[191:192], v[191:192], v[193:194], v[191:192]
	v_mul_f64 v[193:194], v[195:196], v[191:192]
	v_fma_f64 v[189:190], -v[189:190], v[193:194], v[195:196]
	v_div_fmas_f64 v[189:190], v[189:190], v[191:192], v[193:194]
	v_div_fixup_f64 v[189:190], v[189:190], v[187:188], v[185:186]
	v_fma_f64 v[185:186], v[185:186], v[189:190], v[187:188]
	v_div_scale_f64 v[187:188], null, v[185:186], v[185:186], 1.0
	v_rcp_f64_e32 v[191:192], v[187:188]
	v_fma_f64 v[193:194], -v[187:188], v[191:192], 1.0
	v_fma_f64 v[191:192], v[191:192], v[193:194], v[191:192]
	v_fma_f64 v[193:194], -v[187:188], v[191:192], 1.0
	v_fma_f64 v[191:192], v[191:192], v[193:194], v[191:192]
	v_div_scale_f64 v[193:194], vcc_lo, 1.0, v[185:186], 1.0
	v_mul_f64 v[195:196], v[193:194], v[191:192]
	v_fma_f64 v[187:188], -v[187:188], v[195:196], v[193:194]
	v_div_fmas_f64 v[187:188], v[187:188], v[191:192], v[195:196]
	v_div_fixup_f64 v[191:192], v[187:188], v[185:186], 1.0
                                        ; implicit-def: $vgpr185_vgpr186
	v_mul_f64 v[189:190], v[189:190], v[191:192]
	v_xor_b32_e32 v192, 0x80000000, v192
.LBB91_68:
	s_andn2_saveexec_b32 s1, s1
	s_cbranch_execz .LBB91_70
; %bb.69:
	v_div_scale_f64 v[189:190], null, v[185:186], v[185:186], v[187:188]
	v_div_scale_f64 v[195:196], vcc_lo, v[187:188], v[185:186], v[187:188]
	v_rcp_f64_e32 v[191:192], v[189:190]
	v_fma_f64 v[193:194], -v[189:190], v[191:192], 1.0
	v_fma_f64 v[191:192], v[191:192], v[193:194], v[191:192]
	v_fma_f64 v[193:194], -v[189:190], v[191:192], 1.0
	v_fma_f64 v[191:192], v[191:192], v[193:194], v[191:192]
	v_mul_f64 v[193:194], v[195:196], v[191:192]
	v_fma_f64 v[189:190], -v[189:190], v[193:194], v[195:196]
	v_div_fmas_f64 v[189:190], v[189:190], v[191:192], v[193:194]
	v_div_fixup_f64 v[191:192], v[189:190], v[185:186], v[187:188]
	v_fma_f64 v[185:186], v[187:188], v[191:192], v[185:186]
	v_div_scale_f64 v[187:188], null, v[185:186], v[185:186], 1.0
	v_rcp_f64_e32 v[189:190], v[187:188]
	v_fma_f64 v[193:194], -v[187:188], v[189:190], 1.0
	v_fma_f64 v[189:190], v[189:190], v[193:194], v[189:190]
	v_fma_f64 v[193:194], -v[187:188], v[189:190], 1.0
	v_fma_f64 v[189:190], v[189:190], v[193:194], v[189:190]
	v_div_scale_f64 v[193:194], vcc_lo, 1.0, v[185:186], 1.0
	v_mul_f64 v[195:196], v[193:194], v[189:190]
	v_fma_f64 v[187:188], -v[187:188], v[195:196], v[193:194]
	v_div_fmas_f64 v[187:188], v[187:188], v[189:190], v[195:196]
	v_div_fixup_f64 v[189:190], v[187:188], v[185:186], 1.0
	v_mul_f64 v[191:192], v[191:192], -v[189:190]
.LBB91_70:
	s_or_b32 exec_lo, exec_lo, s1
	ds_write2_b64 v255, v[189:190], v[191:192] offset1:1
.LBB91_71:
	s_or_b32 exec_lo, exec_lo, s2
	s_waitcnt lgkmcnt(0)
	s_barrier
	buffer_gl0_inv
	ds_read2_b64 v[185:188], v255 offset1:1
	s_mov_b32 s1, exec_lo
	s_waitcnt lgkmcnt(0)
	buffer_store_dword v185, off, s[16:19], 0 offset:408 ; 4-byte Folded Spill
	buffer_store_dword v186, off, s[16:19], 0 offset:412 ; 4-byte Folded Spill
	;; [unrolled: 1-line block ×4, first 2 shown]
	v_cmpx_lt_u32_e32 7, v0
	s_cbranch_execz .LBB91_73
; %bb.72:
	s_clause 0x3
	buffer_load_dword v187, off, s[16:19], 0 offset:408
	buffer_load_dword v188, off, s[16:19], 0 offset:412
	;; [unrolled: 1-line block ×4, first 2 shown]
	s_waitcnt vmcnt(0)
	v_mul_f64 v[185:186], v[189:190], v[155:156]
	v_mul_f64 v[155:156], v[187:188], v[155:156]
	v_fma_f64 v[185:186], v[187:188], v[153:154], -v[185:186]
	v_fma_f64 v[155:156], v[189:190], v[153:154], v[155:156]
	ds_read2_b64 v[187:190], v253 offset0:16 offset1:17
	s_waitcnt lgkmcnt(0)
	v_mul_f64 v[153:154], v[189:190], v[155:156]
	v_fma_f64 v[153:154], v[187:188], v[185:186], -v[153:154]
	v_mul_f64 v[187:188], v[187:188], v[155:156]
	v_add_f64 v[149:150], v[149:150], -v[153:154]
	v_fma_f64 v[187:188], v[189:190], v[185:186], v[187:188]
	v_add_f64 v[151:152], v[151:152], -v[187:188]
	ds_read2_b64 v[187:190], v253 offset0:18 offset1:19
	s_waitcnt lgkmcnt(0)
	v_mul_f64 v[153:154], v[189:190], v[155:156]
	v_fma_f64 v[153:154], v[187:188], v[185:186], -v[153:154]
	v_mul_f64 v[187:188], v[187:188], v[155:156]
	v_add_f64 v[145:146], v[145:146], -v[153:154]
	v_fma_f64 v[187:188], v[189:190], v[185:186], v[187:188]
	v_add_f64 v[147:148], v[147:148], -v[187:188]
	;; [unrolled: 8-line block ×37, first 2 shown]
	ds_read2_b64 v[187:190], v253 offset0:90 offset1:91
	s_waitcnt lgkmcnt(0)
	v_mul_f64 v[153:154], v[189:190], v[155:156]
	v_fma_f64 v[153:154], v[187:188], v[185:186], -v[153:154]
	v_mul_f64 v[187:188], v[187:188], v[155:156]
	v_add_f64 v[1:2], v[1:2], -v[153:154]
	v_fma_f64 v[187:188], v[189:190], v[185:186], v[187:188]
	v_mov_b32_e32 v153, v185
	v_mov_b32_e32 v154, v186
	v_add_f64 v[3:4], v[3:4], -v[187:188]
.LBB91_73:
	s_or_b32 exec_lo, exec_lo, s1
	s_mov_b32 s2, exec_lo
	s_waitcnt_vscnt null, 0x0
	s_barrier
	buffer_gl0_inv
	v_cmpx_eq_u32_e32 8, v0
	s_cbranch_execz .LBB91_80
; %bb.74:
	ds_write2_b64 v255, v[149:150], v[151:152] offset1:1
	ds_write2_b64 v253, v[145:146], v[147:148] offset0:18 offset1:19
	ds_write2_b64 v253, v[141:142], v[143:144] offset0:20 offset1:21
	;; [unrolled: 1-line block ×37, first 2 shown]
	ds_read2_b64 v[185:188], v255 offset1:1
	s_waitcnt lgkmcnt(0)
	v_cmp_neq_f64_e32 vcc_lo, 0, v[185:186]
	v_cmp_neq_f64_e64 s1, 0, v[187:188]
	s_or_b32 s1, vcc_lo, s1
	s_and_b32 exec_lo, exec_lo, s1
	s_cbranch_execz .LBB91_80
; %bb.75:
	v_cmp_ngt_f64_e64 s1, |v[185:186]|, |v[187:188]|
                                        ; implicit-def: $vgpr189_vgpr190
	s_and_saveexec_b32 s3, s1
	s_xor_b32 s1, exec_lo, s3
                                        ; implicit-def: $vgpr191_vgpr192
	s_cbranch_execz .LBB91_77
; %bb.76:
	v_div_scale_f64 v[189:190], null, v[187:188], v[187:188], v[185:186]
	v_div_scale_f64 v[195:196], vcc_lo, v[185:186], v[187:188], v[185:186]
	v_rcp_f64_e32 v[191:192], v[189:190]
	v_fma_f64 v[193:194], -v[189:190], v[191:192], 1.0
	v_fma_f64 v[191:192], v[191:192], v[193:194], v[191:192]
	v_fma_f64 v[193:194], -v[189:190], v[191:192], 1.0
	v_fma_f64 v[191:192], v[191:192], v[193:194], v[191:192]
	v_mul_f64 v[193:194], v[195:196], v[191:192]
	v_fma_f64 v[189:190], -v[189:190], v[193:194], v[195:196]
	v_div_fmas_f64 v[189:190], v[189:190], v[191:192], v[193:194]
	v_div_fixup_f64 v[189:190], v[189:190], v[187:188], v[185:186]
	v_fma_f64 v[185:186], v[185:186], v[189:190], v[187:188]
	v_div_scale_f64 v[187:188], null, v[185:186], v[185:186], 1.0
	v_rcp_f64_e32 v[191:192], v[187:188]
	v_fma_f64 v[193:194], -v[187:188], v[191:192], 1.0
	v_fma_f64 v[191:192], v[191:192], v[193:194], v[191:192]
	v_fma_f64 v[193:194], -v[187:188], v[191:192], 1.0
	v_fma_f64 v[191:192], v[191:192], v[193:194], v[191:192]
	v_div_scale_f64 v[193:194], vcc_lo, 1.0, v[185:186], 1.0
	v_mul_f64 v[195:196], v[193:194], v[191:192]
	v_fma_f64 v[187:188], -v[187:188], v[195:196], v[193:194]
	v_div_fmas_f64 v[187:188], v[187:188], v[191:192], v[195:196]
	v_div_fixup_f64 v[191:192], v[187:188], v[185:186], 1.0
                                        ; implicit-def: $vgpr185_vgpr186
	v_mul_f64 v[189:190], v[189:190], v[191:192]
	v_xor_b32_e32 v192, 0x80000000, v192
.LBB91_77:
	s_andn2_saveexec_b32 s1, s1
	s_cbranch_execz .LBB91_79
; %bb.78:
	v_div_scale_f64 v[189:190], null, v[185:186], v[185:186], v[187:188]
	v_div_scale_f64 v[195:196], vcc_lo, v[187:188], v[185:186], v[187:188]
	v_rcp_f64_e32 v[191:192], v[189:190]
	v_fma_f64 v[193:194], -v[189:190], v[191:192], 1.0
	v_fma_f64 v[191:192], v[191:192], v[193:194], v[191:192]
	v_fma_f64 v[193:194], -v[189:190], v[191:192], 1.0
	v_fma_f64 v[191:192], v[191:192], v[193:194], v[191:192]
	v_mul_f64 v[193:194], v[195:196], v[191:192]
	v_fma_f64 v[189:190], -v[189:190], v[193:194], v[195:196]
	v_div_fmas_f64 v[189:190], v[189:190], v[191:192], v[193:194]
	v_div_fixup_f64 v[191:192], v[189:190], v[185:186], v[187:188]
	v_fma_f64 v[185:186], v[187:188], v[191:192], v[185:186]
	v_div_scale_f64 v[187:188], null, v[185:186], v[185:186], 1.0
	v_rcp_f64_e32 v[189:190], v[187:188]
	v_fma_f64 v[193:194], -v[187:188], v[189:190], 1.0
	v_fma_f64 v[189:190], v[189:190], v[193:194], v[189:190]
	v_fma_f64 v[193:194], -v[187:188], v[189:190], 1.0
	v_fma_f64 v[189:190], v[189:190], v[193:194], v[189:190]
	v_div_scale_f64 v[193:194], vcc_lo, 1.0, v[185:186], 1.0
	v_mul_f64 v[195:196], v[193:194], v[189:190]
	v_fma_f64 v[187:188], -v[187:188], v[195:196], v[193:194]
	v_div_fmas_f64 v[187:188], v[187:188], v[189:190], v[195:196]
	v_div_fixup_f64 v[189:190], v[187:188], v[185:186], 1.0
	v_mul_f64 v[191:192], v[191:192], -v[189:190]
.LBB91_79:
	s_or_b32 exec_lo, exec_lo, s1
	ds_write2_b64 v255, v[189:190], v[191:192] offset1:1
.LBB91_80:
	s_or_b32 exec_lo, exec_lo, s2
	s_waitcnt lgkmcnt(0)
	s_barrier
	buffer_gl0_inv
	ds_read2_b64 v[185:188], v255 offset1:1
	s_mov_b32 s1, exec_lo
	s_waitcnt lgkmcnt(0)
	buffer_store_dword v185, off, s[16:19], 0 offset:424 ; 4-byte Folded Spill
	buffer_store_dword v186, off, s[16:19], 0 offset:428 ; 4-byte Folded Spill
	;; [unrolled: 1-line block ×4, first 2 shown]
	v_cmpx_lt_u32_e32 8, v0
	s_cbranch_execz .LBB91_82
; %bb.81:
	s_clause 0x3
	buffer_load_dword v187, off, s[16:19], 0 offset:424
	buffer_load_dword v188, off, s[16:19], 0 offset:428
	;; [unrolled: 1-line block ×4, first 2 shown]
	s_waitcnt vmcnt(0)
	v_mul_f64 v[185:186], v[189:190], v[151:152]
	v_mul_f64 v[151:152], v[187:188], v[151:152]
	v_fma_f64 v[185:186], v[187:188], v[149:150], -v[185:186]
	v_fma_f64 v[151:152], v[189:190], v[149:150], v[151:152]
	ds_read2_b64 v[187:190], v253 offset0:18 offset1:19
	s_waitcnt lgkmcnt(0)
	v_mul_f64 v[149:150], v[189:190], v[151:152]
	v_fma_f64 v[149:150], v[187:188], v[185:186], -v[149:150]
	v_mul_f64 v[187:188], v[187:188], v[151:152]
	v_add_f64 v[145:146], v[145:146], -v[149:150]
	v_fma_f64 v[187:188], v[189:190], v[185:186], v[187:188]
	v_add_f64 v[147:148], v[147:148], -v[187:188]
	ds_read2_b64 v[187:190], v253 offset0:20 offset1:21
	s_waitcnt lgkmcnt(0)
	v_mul_f64 v[149:150], v[189:190], v[151:152]
	v_fma_f64 v[149:150], v[187:188], v[185:186], -v[149:150]
	v_mul_f64 v[187:188], v[187:188], v[151:152]
	v_add_f64 v[141:142], v[141:142], -v[149:150]
	v_fma_f64 v[187:188], v[189:190], v[185:186], v[187:188]
	v_add_f64 v[143:144], v[143:144], -v[187:188]
	;; [unrolled: 8-line block ×36, first 2 shown]
	ds_read2_b64 v[187:190], v253 offset0:90 offset1:91
	s_waitcnt lgkmcnt(0)
	v_mul_f64 v[149:150], v[189:190], v[151:152]
	v_fma_f64 v[149:150], v[187:188], v[185:186], -v[149:150]
	v_mul_f64 v[187:188], v[187:188], v[151:152]
	v_add_f64 v[1:2], v[1:2], -v[149:150]
	v_fma_f64 v[187:188], v[189:190], v[185:186], v[187:188]
	v_mov_b32_e32 v149, v185
	v_mov_b32_e32 v150, v186
	v_add_f64 v[3:4], v[3:4], -v[187:188]
.LBB91_82:
	s_or_b32 exec_lo, exec_lo, s1
	s_mov_b32 s2, exec_lo
	s_waitcnt_vscnt null, 0x0
	s_barrier
	buffer_gl0_inv
	v_cmpx_eq_u32_e32 9, v0
	s_cbranch_execz .LBB91_89
; %bb.83:
	ds_write2_b64 v255, v[145:146], v[147:148] offset1:1
	ds_write2_b64 v253, v[141:142], v[143:144] offset0:20 offset1:21
	ds_write2_b64 v253, v[137:138], v[139:140] offset0:22 offset1:23
	;; [unrolled: 1-line block ×36, first 2 shown]
	ds_read2_b64 v[185:188], v255 offset1:1
	s_waitcnt lgkmcnt(0)
	v_cmp_neq_f64_e32 vcc_lo, 0, v[185:186]
	v_cmp_neq_f64_e64 s1, 0, v[187:188]
	s_or_b32 s1, vcc_lo, s1
	s_and_b32 exec_lo, exec_lo, s1
	s_cbranch_execz .LBB91_89
; %bb.84:
	v_cmp_ngt_f64_e64 s1, |v[185:186]|, |v[187:188]|
                                        ; implicit-def: $vgpr189_vgpr190
	s_and_saveexec_b32 s3, s1
	s_xor_b32 s1, exec_lo, s3
                                        ; implicit-def: $vgpr191_vgpr192
	s_cbranch_execz .LBB91_86
; %bb.85:
	v_div_scale_f64 v[189:190], null, v[187:188], v[187:188], v[185:186]
	v_div_scale_f64 v[195:196], vcc_lo, v[185:186], v[187:188], v[185:186]
	v_rcp_f64_e32 v[191:192], v[189:190]
	v_fma_f64 v[193:194], -v[189:190], v[191:192], 1.0
	v_fma_f64 v[191:192], v[191:192], v[193:194], v[191:192]
	v_fma_f64 v[193:194], -v[189:190], v[191:192], 1.0
	v_fma_f64 v[191:192], v[191:192], v[193:194], v[191:192]
	v_mul_f64 v[193:194], v[195:196], v[191:192]
	v_fma_f64 v[189:190], -v[189:190], v[193:194], v[195:196]
	v_div_fmas_f64 v[189:190], v[189:190], v[191:192], v[193:194]
	v_div_fixup_f64 v[189:190], v[189:190], v[187:188], v[185:186]
	v_fma_f64 v[185:186], v[185:186], v[189:190], v[187:188]
	v_div_scale_f64 v[187:188], null, v[185:186], v[185:186], 1.0
	v_rcp_f64_e32 v[191:192], v[187:188]
	v_fma_f64 v[193:194], -v[187:188], v[191:192], 1.0
	v_fma_f64 v[191:192], v[191:192], v[193:194], v[191:192]
	v_fma_f64 v[193:194], -v[187:188], v[191:192], 1.0
	v_fma_f64 v[191:192], v[191:192], v[193:194], v[191:192]
	v_div_scale_f64 v[193:194], vcc_lo, 1.0, v[185:186], 1.0
	v_mul_f64 v[195:196], v[193:194], v[191:192]
	v_fma_f64 v[187:188], -v[187:188], v[195:196], v[193:194]
	v_div_fmas_f64 v[187:188], v[187:188], v[191:192], v[195:196]
	v_div_fixup_f64 v[191:192], v[187:188], v[185:186], 1.0
                                        ; implicit-def: $vgpr185_vgpr186
	v_mul_f64 v[189:190], v[189:190], v[191:192]
	v_xor_b32_e32 v192, 0x80000000, v192
.LBB91_86:
	s_andn2_saveexec_b32 s1, s1
	s_cbranch_execz .LBB91_88
; %bb.87:
	v_div_scale_f64 v[189:190], null, v[185:186], v[185:186], v[187:188]
	v_div_scale_f64 v[195:196], vcc_lo, v[187:188], v[185:186], v[187:188]
	v_rcp_f64_e32 v[191:192], v[189:190]
	v_fma_f64 v[193:194], -v[189:190], v[191:192], 1.0
	v_fma_f64 v[191:192], v[191:192], v[193:194], v[191:192]
	v_fma_f64 v[193:194], -v[189:190], v[191:192], 1.0
	v_fma_f64 v[191:192], v[191:192], v[193:194], v[191:192]
	v_mul_f64 v[193:194], v[195:196], v[191:192]
	v_fma_f64 v[189:190], -v[189:190], v[193:194], v[195:196]
	v_div_fmas_f64 v[189:190], v[189:190], v[191:192], v[193:194]
	v_div_fixup_f64 v[191:192], v[189:190], v[185:186], v[187:188]
	v_fma_f64 v[185:186], v[187:188], v[191:192], v[185:186]
	v_div_scale_f64 v[187:188], null, v[185:186], v[185:186], 1.0
	v_rcp_f64_e32 v[189:190], v[187:188]
	v_fma_f64 v[193:194], -v[187:188], v[189:190], 1.0
	v_fma_f64 v[189:190], v[189:190], v[193:194], v[189:190]
	v_fma_f64 v[193:194], -v[187:188], v[189:190], 1.0
	v_fma_f64 v[189:190], v[189:190], v[193:194], v[189:190]
	v_div_scale_f64 v[193:194], vcc_lo, 1.0, v[185:186], 1.0
	v_mul_f64 v[195:196], v[193:194], v[189:190]
	v_fma_f64 v[187:188], -v[187:188], v[195:196], v[193:194]
	v_div_fmas_f64 v[187:188], v[187:188], v[189:190], v[195:196]
	v_div_fixup_f64 v[189:190], v[187:188], v[185:186], 1.0
	v_mul_f64 v[191:192], v[191:192], -v[189:190]
.LBB91_88:
	s_or_b32 exec_lo, exec_lo, s1
	ds_write2_b64 v255, v[189:190], v[191:192] offset1:1
.LBB91_89:
	s_or_b32 exec_lo, exec_lo, s2
	s_waitcnt lgkmcnt(0)
	s_barrier
	buffer_gl0_inv
	ds_read2_b64 v[185:188], v255 offset1:1
	s_mov_b32 s1, exec_lo
	s_waitcnt lgkmcnt(0)
	buffer_store_dword v185, off, s[16:19], 0 offset:440 ; 4-byte Folded Spill
	buffer_store_dword v186, off, s[16:19], 0 offset:444 ; 4-byte Folded Spill
	;; [unrolled: 1-line block ×4, first 2 shown]
	v_cmpx_lt_u32_e32 9, v0
	s_cbranch_execz .LBB91_91
; %bb.90:
	s_clause 0x3
	buffer_load_dword v187, off, s[16:19], 0 offset:440
	buffer_load_dword v188, off, s[16:19], 0 offset:444
	;; [unrolled: 1-line block ×4, first 2 shown]
	s_waitcnt vmcnt(0)
	v_mul_f64 v[185:186], v[189:190], v[147:148]
	v_mul_f64 v[147:148], v[187:188], v[147:148]
	v_fma_f64 v[185:186], v[187:188], v[145:146], -v[185:186]
	v_fma_f64 v[147:148], v[189:190], v[145:146], v[147:148]
	ds_read2_b64 v[187:190], v253 offset0:20 offset1:21
	s_waitcnt lgkmcnt(0)
	v_mul_f64 v[145:146], v[189:190], v[147:148]
	v_fma_f64 v[145:146], v[187:188], v[185:186], -v[145:146]
	v_mul_f64 v[187:188], v[187:188], v[147:148]
	v_add_f64 v[141:142], v[141:142], -v[145:146]
	v_fma_f64 v[187:188], v[189:190], v[185:186], v[187:188]
	v_add_f64 v[143:144], v[143:144], -v[187:188]
	ds_read2_b64 v[187:190], v253 offset0:22 offset1:23
	s_waitcnt lgkmcnt(0)
	v_mul_f64 v[145:146], v[189:190], v[147:148]
	v_fma_f64 v[145:146], v[187:188], v[185:186], -v[145:146]
	v_mul_f64 v[187:188], v[187:188], v[147:148]
	v_add_f64 v[137:138], v[137:138], -v[145:146]
	v_fma_f64 v[187:188], v[189:190], v[185:186], v[187:188]
	v_add_f64 v[139:140], v[139:140], -v[187:188]
	;; [unrolled: 8-line block ×35, first 2 shown]
	ds_read2_b64 v[187:190], v253 offset0:90 offset1:91
	s_waitcnt lgkmcnt(0)
	v_mul_f64 v[145:146], v[189:190], v[147:148]
	v_fma_f64 v[145:146], v[187:188], v[185:186], -v[145:146]
	v_mul_f64 v[187:188], v[187:188], v[147:148]
	v_add_f64 v[1:2], v[1:2], -v[145:146]
	v_fma_f64 v[187:188], v[189:190], v[185:186], v[187:188]
	v_mov_b32_e32 v145, v185
	v_mov_b32_e32 v146, v186
	v_add_f64 v[3:4], v[3:4], -v[187:188]
.LBB91_91:
	s_or_b32 exec_lo, exec_lo, s1
	s_mov_b32 s2, exec_lo
	s_waitcnt_vscnt null, 0x0
	s_barrier
	buffer_gl0_inv
	v_cmpx_eq_u32_e32 10, v0
	s_cbranch_execz .LBB91_98
; %bb.92:
	ds_write2_b64 v255, v[141:142], v[143:144] offset1:1
	ds_write2_b64 v253, v[137:138], v[139:140] offset0:22 offset1:23
	ds_write2_b64 v253, v[133:134], v[135:136] offset0:24 offset1:25
	;; [unrolled: 1-line block ×35, first 2 shown]
	ds_read2_b64 v[185:188], v255 offset1:1
	s_waitcnt lgkmcnt(0)
	v_cmp_neq_f64_e32 vcc_lo, 0, v[185:186]
	v_cmp_neq_f64_e64 s1, 0, v[187:188]
	s_or_b32 s1, vcc_lo, s1
	s_and_b32 exec_lo, exec_lo, s1
	s_cbranch_execz .LBB91_98
; %bb.93:
	v_cmp_ngt_f64_e64 s1, |v[185:186]|, |v[187:188]|
                                        ; implicit-def: $vgpr189_vgpr190
	s_and_saveexec_b32 s3, s1
	s_xor_b32 s1, exec_lo, s3
                                        ; implicit-def: $vgpr191_vgpr192
	s_cbranch_execz .LBB91_95
; %bb.94:
	v_div_scale_f64 v[189:190], null, v[187:188], v[187:188], v[185:186]
	v_div_scale_f64 v[195:196], vcc_lo, v[185:186], v[187:188], v[185:186]
	v_rcp_f64_e32 v[191:192], v[189:190]
	v_fma_f64 v[193:194], -v[189:190], v[191:192], 1.0
	v_fma_f64 v[191:192], v[191:192], v[193:194], v[191:192]
	v_fma_f64 v[193:194], -v[189:190], v[191:192], 1.0
	v_fma_f64 v[191:192], v[191:192], v[193:194], v[191:192]
	v_mul_f64 v[193:194], v[195:196], v[191:192]
	v_fma_f64 v[189:190], -v[189:190], v[193:194], v[195:196]
	v_div_fmas_f64 v[189:190], v[189:190], v[191:192], v[193:194]
	v_div_fixup_f64 v[189:190], v[189:190], v[187:188], v[185:186]
	v_fma_f64 v[185:186], v[185:186], v[189:190], v[187:188]
	v_div_scale_f64 v[187:188], null, v[185:186], v[185:186], 1.0
	v_rcp_f64_e32 v[191:192], v[187:188]
	v_fma_f64 v[193:194], -v[187:188], v[191:192], 1.0
	v_fma_f64 v[191:192], v[191:192], v[193:194], v[191:192]
	v_fma_f64 v[193:194], -v[187:188], v[191:192], 1.0
	v_fma_f64 v[191:192], v[191:192], v[193:194], v[191:192]
	v_div_scale_f64 v[193:194], vcc_lo, 1.0, v[185:186], 1.0
	v_mul_f64 v[195:196], v[193:194], v[191:192]
	v_fma_f64 v[187:188], -v[187:188], v[195:196], v[193:194]
	v_div_fmas_f64 v[187:188], v[187:188], v[191:192], v[195:196]
	v_div_fixup_f64 v[191:192], v[187:188], v[185:186], 1.0
                                        ; implicit-def: $vgpr185_vgpr186
	v_mul_f64 v[189:190], v[189:190], v[191:192]
	v_xor_b32_e32 v192, 0x80000000, v192
.LBB91_95:
	s_andn2_saveexec_b32 s1, s1
	s_cbranch_execz .LBB91_97
; %bb.96:
	v_div_scale_f64 v[189:190], null, v[185:186], v[185:186], v[187:188]
	v_div_scale_f64 v[195:196], vcc_lo, v[187:188], v[185:186], v[187:188]
	v_rcp_f64_e32 v[191:192], v[189:190]
	v_fma_f64 v[193:194], -v[189:190], v[191:192], 1.0
	v_fma_f64 v[191:192], v[191:192], v[193:194], v[191:192]
	v_fma_f64 v[193:194], -v[189:190], v[191:192], 1.0
	v_fma_f64 v[191:192], v[191:192], v[193:194], v[191:192]
	v_mul_f64 v[193:194], v[195:196], v[191:192]
	v_fma_f64 v[189:190], -v[189:190], v[193:194], v[195:196]
	v_div_fmas_f64 v[189:190], v[189:190], v[191:192], v[193:194]
	v_div_fixup_f64 v[191:192], v[189:190], v[185:186], v[187:188]
	v_fma_f64 v[185:186], v[187:188], v[191:192], v[185:186]
	v_div_scale_f64 v[187:188], null, v[185:186], v[185:186], 1.0
	v_rcp_f64_e32 v[189:190], v[187:188]
	v_fma_f64 v[193:194], -v[187:188], v[189:190], 1.0
	v_fma_f64 v[189:190], v[189:190], v[193:194], v[189:190]
	v_fma_f64 v[193:194], -v[187:188], v[189:190], 1.0
	v_fma_f64 v[189:190], v[189:190], v[193:194], v[189:190]
	v_div_scale_f64 v[193:194], vcc_lo, 1.0, v[185:186], 1.0
	v_mul_f64 v[195:196], v[193:194], v[189:190]
	v_fma_f64 v[187:188], -v[187:188], v[195:196], v[193:194]
	v_div_fmas_f64 v[187:188], v[187:188], v[189:190], v[195:196]
	v_div_fixup_f64 v[189:190], v[187:188], v[185:186], 1.0
	v_mul_f64 v[191:192], v[191:192], -v[189:190]
.LBB91_97:
	s_or_b32 exec_lo, exec_lo, s1
	ds_write2_b64 v255, v[189:190], v[191:192] offset1:1
.LBB91_98:
	s_or_b32 exec_lo, exec_lo, s2
	s_waitcnt lgkmcnt(0)
	s_barrier
	buffer_gl0_inv
	ds_read2_b64 v[185:188], v255 offset1:1
	s_mov_b32 s1, exec_lo
	s_waitcnt lgkmcnt(0)
	buffer_store_dword v185, off, s[16:19], 0 offset:456 ; 4-byte Folded Spill
	buffer_store_dword v186, off, s[16:19], 0 offset:460 ; 4-byte Folded Spill
	buffer_store_dword v187, off, s[16:19], 0 offset:464 ; 4-byte Folded Spill
	buffer_store_dword v188, off, s[16:19], 0 offset:468 ; 4-byte Folded Spill
	v_cmpx_lt_u32_e32 10, v0
	s_cbranch_execz .LBB91_100
; %bb.99:
	s_clause 0x3
	buffer_load_dword v187, off, s[16:19], 0 offset:456
	buffer_load_dword v188, off, s[16:19], 0 offset:460
	;; [unrolled: 1-line block ×4, first 2 shown]
	s_waitcnt vmcnt(0)
	v_mul_f64 v[185:186], v[189:190], v[143:144]
	v_mul_f64 v[143:144], v[187:188], v[143:144]
	v_fma_f64 v[185:186], v[187:188], v[141:142], -v[185:186]
	v_fma_f64 v[143:144], v[189:190], v[141:142], v[143:144]
	ds_read2_b64 v[187:190], v253 offset0:22 offset1:23
	s_waitcnt lgkmcnt(0)
	v_mul_f64 v[141:142], v[189:190], v[143:144]
	v_fma_f64 v[141:142], v[187:188], v[185:186], -v[141:142]
	v_mul_f64 v[187:188], v[187:188], v[143:144]
	v_add_f64 v[137:138], v[137:138], -v[141:142]
	v_fma_f64 v[187:188], v[189:190], v[185:186], v[187:188]
	v_add_f64 v[139:140], v[139:140], -v[187:188]
	ds_read2_b64 v[187:190], v253 offset0:24 offset1:25
	s_waitcnt lgkmcnt(0)
	v_mul_f64 v[141:142], v[189:190], v[143:144]
	v_fma_f64 v[141:142], v[187:188], v[185:186], -v[141:142]
	v_mul_f64 v[187:188], v[187:188], v[143:144]
	v_add_f64 v[133:134], v[133:134], -v[141:142]
	v_fma_f64 v[187:188], v[189:190], v[185:186], v[187:188]
	v_add_f64 v[135:136], v[135:136], -v[187:188]
	;; [unrolled: 8-line block ×34, first 2 shown]
	ds_read2_b64 v[187:190], v253 offset0:90 offset1:91
	s_waitcnt lgkmcnt(0)
	v_mul_f64 v[141:142], v[189:190], v[143:144]
	v_fma_f64 v[141:142], v[187:188], v[185:186], -v[141:142]
	v_mul_f64 v[187:188], v[187:188], v[143:144]
	v_add_f64 v[1:2], v[1:2], -v[141:142]
	v_fma_f64 v[187:188], v[189:190], v[185:186], v[187:188]
	v_mov_b32_e32 v141, v185
	v_mov_b32_e32 v142, v186
	v_add_f64 v[3:4], v[3:4], -v[187:188]
.LBB91_100:
	s_or_b32 exec_lo, exec_lo, s1
	s_mov_b32 s2, exec_lo
	s_waitcnt_vscnt null, 0x0
	s_barrier
	buffer_gl0_inv
	v_cmpx_eq_u32_e32 11, v0
	s_cbranch_execz .LBB91_107
; %bb.101:
	ds_write2_b64 v255, v[137:138], v[139:140] offset1:1
	ds_write2_b64 v253, v[133:134], v[135:136] offset0:24 offset1:25
	ds_write2_b64 v253, v[129:130], v[131:132] offset0:26 offset1:27
	;; [unrolled: 1-line block ×34, first 2 shown]
	ds_read2_b64 v[185:188], v255 offset1:1
	s_waitcnt lgkmcnt(0)
	v_cmp_neq_f64_e32 vcc_lo, 0, v[185:186]
	v_cmp_neq_f64_e64 s1, 0, v[187:188]
	s_or_b32 s1, vcc_lo, s1
	s_and_b32 exec_lo, exec_lo, s1
	s_cbranch_execz .LBB91_107
; %bb.102:
	v_cmp_ngt_f64_e64 s1, |v[185:186]|, |v[187:188]|
                                        ; implicit-def: $vgpr189_vgpr190
	s_and_saveexec_b32 s3, s1
	s_xor_b32 s1, exec_lo, s3
                                        ; implicit-def: $vgpr191_vgpr192
	s_cbranch_execz .LBB91_104
; %bb.103:
	v_div_scale_f64 v[189:190], null, v[187:188], v[187:188], v[185:186]
	v_div_scale_f64 v[195:196], vcc_lo, v[185:186], v[187:188], v[185:186]
	v_rcp_f64_e32 v[191:192], v[189:190]
	v_fma_f64 v[193:194], -v[189:190], v[191:192], 1.0
	v_fma_f64 v[191:192], v[191:192], v[193:194], v[191:192]
	v_fma_f64 v[193:194], -v[189:190], v[191:192], 1.0
	v_fma_f64 v[191:192], v[191:192], v[193:194], v[191:192]
	v_mul_f64 v[193:194], v[195:196], v[191:192]
	v_fma_f64 v[189:190], -v[189:190], v[193:194], v[195:196]
	v_div_fmas_f64 v[189:190], v[189:190], v[191:192], v[193:194]
	v_div_fixup_f64 v[189:190], v[189:190], v[187:188], v[185:186]
	v_fma_f64 v[185:186], v[185:186], v[189:190], v[187:188]
	v_div_scale_f64 v[187:188], null, v[185:186], v[185:186], 1.0
	v_rcp_f64_e32 v[191:192], v[187:188]
	v_fma_f64 v[193:194], -v[187:188], v[191:192], 1.0
	v_fma_f64 v[191:192], v[191:192], v[193:194], v[191:192]
	v_fma_f64 v[193:194], -v[187:188], v[191:192], 1.0
	v_fma_f64 v[191:192], v[191:192], v[193:194], v[191:192]
	v_div_scale_f64 v[193:194], vcc_lo, 1.0, v[185:186], 1.0
	v_mul_f64 v[195:196], v[193:194], v[191:192]
	v_fma_f64 v[187:188], -v[187:188], v[195:196], v[193:194]
	v_div_fmas_f64 v[187:188], v[187:188], v[191:192], v[195:196]
	v_div_fixup_f64 v[191:192], v[187:188], v[185:186], 1.0
                                        ; implicit-def: $vgpr185_vgpr186
	v_mul_f64 v[189:190], v[189:190], v[191:192]
	v_xor_b32_e32 v192, 0x80000000, v192
.LBB91_104:
	s_andn2_saveexec_b32 s1, s1
	s_cbranch_execz .LBB91_106
; %bb.105:
	v_div_scale_f64 v[189:190], null, v[185:186], v[185:186], v[187:188]
	v_div_scale_f64 v[195:196], vcc_lo, v[187:188], v[185:186], v[187:188]
	v_rcp_f64_e32 v[191:192], v[189:190]
	v_fma_f64 v[193:194], -v[189:190], v[191:192], 1.0
	v_fma_f64 v[191:192], v[191:192], v[193:194], v[191:192]
	v_fma_f64 v[193:194], -v[189:190], v[191:192], 1.0
	v_fma_f64 v[191:192], v[191:192], v[193:194], v[191:192]
	v_mul_f64 v[193:194], v[195:196], v[191:192]
	v_fma_f64 v[189:190], -v[189:190], v[193:194], v[195:196]
	v_div_fmas_f64 v[189:190], v[189:190], v[191:192], v[193:194]
	v_div_fixup_f64 v[191:192], v[189:190], v[185:186], v[187:188]
	v_fma_f64 v[185:186], v[187:188], v[191:192], v[185:186]
	v_div_scale_f64 v[187:188], null, v[185:186], v[185:186], 1.0
	v_rcp_f64_e32 v[189:190], v[187:188]
	v_fma_f64 v[193:194], -v[187:188], v[189:190], 1.0
	v_fma_f64 v[189:190], v[189:190], v[193:194], v[189:190]
	v_fma_f64 v[193:194], -v[187:188], v[189:190], 1.0
	v_fma_f64 v[189:190], v[189:190], v[193:194], v[189:190]
	v_div_scale_f64 v[193:194], vcc_lo, 1.0, v[185:186], 1.0
	v_mul_f64 v[195:196], v[193:194], v[189:190]
	v_fma_f64 v[187:188], -v[187:188], v[195:196], v[193:194]
	v_div_fmas_f64 v[187:188], v[187:188], v[189:190], v[195:196]
	v_div_fixup_f64 v[189:190], v[187:188], v[185:186], 1.0
	v_mul_f64 v[191:192], v[191:192], -v[189:190]
.LBB91_106:
	s_or_b32 exec_lo, exec_lo, s1
	ds_write2_b64 v255, v[189:190], v[191:192] offset1:1
.LBB91_107:
	s_or_b32 exec_lo, exec_lo, s2
	s_waitcnt lgkmcnt(0)
	s_barrier
	buffer_gl0_inv
	ds_read2_b64 v[185:188], v255 offset1:1
	s_mov_b32 s1, exec_lo
	s_waitcnt lgkmcnt(0)
	buffer_store_dword v185, off, s[16:19], 0 offset:472 ; 4-byte Folded Spill
	buffer_store_dword v186, off, s[16:19], 0 offset:476 ; 4-byte Folded Spill
	;; [unrolled: 1-line block ×4, first 2 shown]
	v_cmpx_lt_u32_e32 11, v0
	s_cbranch_execz .LBB91_109
; %bb.108:
	s_clause 0x3
	buffer_load_dword v187, off, s[16:19], 0 offset:472
	buffer_load_dword v188, off, s[16:19], 0 offset:476
	;; [unrolled: 1-line block ×4, first 2 shown]
	s_waitcnt vmcnt(0)
	v_mul_f64 v[185:186], v[189:190], v[139:140]
	v_mul_f64 v[139:140], v[187:188], v[139:140]
	v_fma_f64 v[185:186], v[187:188], v[137:138], -v[185:186]
	v_fma_f64 v[139:140], v[189:190], v[137:138], v[139:140]
	ds_read2_b64 v[187:190], v253 offset0:24 offset1:25
	s_waitcnt lgkmcnt(0)
	v_mul_f64 v[137:138], v[189:190], v[139:140]
	v_fma_f64 v[137:138], v[187:188], v[185:186], -v[137:138]
	v_mul_f64 v[187:188], v[187:188], v[139:140]
	v_add_f64 v[133:134], v[133:134], -v[137:138]
	v_fma_f64 v[187:188], v[189:190], v[185:186], v[187:188]
	v_add_f64 v[135:136], v[135:136], -v[187:188]
	ds_read2_b64 v[187:190], v253 offset0:26 offset1:27
	s_waitcnt lgkmcnt(0)
	v_mul_f64 v[137:138], v[189:190], v[139:140]
	v_fma_f64 v[137:138], v[187:188], v[185:186], -v[137:138]
	v_mul_f64 v[187:188], v[187:188], v[139:140]
	v_add_f64 v[129:130], v[129:130], -v[137:138]
	v_fma_f64 v[187:188], v[189:190], v[185:186], v[187:188]
	v_add_f64 v[131:132], v[131:132], -v[187:188]
	ds_read2_b64 v[187:190], v253 offset0:28 offset1:29
	s_waitcnt lgkmcnt(0)
	v_mul_f64 v[137:138], v[189:190], v[139:140]
	v_fma_f64 v[137:138], v[187:188], v[185:186], -v[137:138]
	v_mul_f64 v[187:188], v[187:188], v[139:140]
	v_add_f64 v[125:126], v[125:126], -v[137:138]
	v_fma_f64 v[187:188], v[189:190], v[185:186], v[187:188]
	v_add_f64 v[127:128], v[127:128], -v[187:188]
	ds_read2_b64 v[187:190], v253 offset0:30 offset1:31
	s_waitcnt lgkmcnt(0)
	v_mul_f64 v[137:138], v[189:190], v[139:140]
	v_fma_f64 v[137:138], v[187:188], v[185:186], -v[137:138]
	v_mul_f64 v[187:188], v[187:188], v[139:140]
	v_add_f64 v[121:122], v[121:122], -v[137:138]
	v_fma_f64 v[187:188], v[189:190], v[185:186], v[187:188]
	v_add_f64 v[123:124], v[123:124], -v[187:188]
	ds_read2_b64 v[187:190], v253 offset0:32 offset1:33
	s_waitcnt lgkmcnt(0)
	v_mul_f64 v[137:138], v[189:190], v[139:140]
	v_fma_f64 v[137:138], v[187:188], v[185:186], -v[137:138]
	v_mul_f64 v[187:188], v[187:188], v[139:140]
	v_add_f64 v[117:118], v[117:118], -v[137:138]
	v_fma_f64 v[187:188], v[189:190], v[185:186], v[187:188]
	v_add_f64 v[119:120], v[119:120], -v[187:188]
	ds_read2_b64 v[187:190], v253 offset0:34 offset1:35
	s_waitcnt lgkmcnt(0)
	v_mul_f64 v[137:138], v[189:190], v[139:140]
	v_fma_f64 v[137:138], v[187:188], v[185:186], -v[137:138]
	v_mul_f64 v[187:188], v[187:188], v[139:140]
	v_add_f64 v[113:114], v[113:114], -v[137:138]
	v_fma_f64 v[187:188], v[189:190], v[185:186], v[187:188]
	v_add_f64 v[115:116], v[115:116], -v[187:188]
	ds_read2_b64 v[187:190], v253 offset0:36 offset1:37
	s_waitcnt lgkmcnt(0)
	v_mul_f64 v[137:138], v[189:190], v[139:140]
	v_fma_f64 v[137:138], v[187:188], v[185:186], -v[137:138]
	v_mul_f64 v[187:188], v[187:188], v[139:140]
	v_add_f64 v[109:110], v[109:110], -v[137:138]
	v_fma_f64 v[187:188], v[189:190], v[185:186], v[187:188]
	v_add_f64 v[111:112], v[111:112], -v[187:188]
	ds_read2_b64 v[187:190], v253 offset0:38 offset1:39
	s_waitcnt lgkmcnt(0)
	v_mul_f64 v[137:138], v[189:190], v[139:140]
	v_fma_f64 v[137:138], v[187:188], v[185:186], -v[137:138]
	v_mul_f64 v[187:188], v[187:188], v[139:140]
	v_add_f64 v[105:106], v[105:106], -v[137:138]
	v_fma_f64 v[187:188], v[189:190], v[185:186], v[187:188]
	v_add_f64 v[107:108], v[107:108], -v[187:188]
	ds_read2_b64 v[187:190], v253 offset0:40 offset1:41
	s_waitcnt lgkmcnt(0)
	v_mul_f64 v[137:138], v[189:190], v[139:140]
	v_fma_f64 v[137:138], v[187:188], v[185:186], -v[137:138]
	v_mul_f64 v[187:188], v[187:188], v[139:140]
	v_add_f64 v[101:102], v[101:102], -v[137:138]
	v_fma_f64 v[187:188], v[189:190], v[185:186], v[187:188]
	v_add_f64 v[103:104], v[103:104], -v[187:188]
	ds_read2_b64 v[187:190], v253 offset0:42 offset1:43
	s_waitcnt lgkmcnt(0)
	v_mul_f64 v[137:138], v[189:190], v[139:140]
	v_fma_f64 v[137:138], v[187:188], v[185:186], -v[137:138]
	v_mul_f64 v[187:188], v[187:188], v[139:140]
	v_add_f64 v[97:98], v[97:98], -v[137:138]
	v_fma_f64 v[187:188], v[189:190], v[185:186], v[187:188]
	v_add_f64 v[99:100], v[99:100], -v[187:188]
	ds_read2_b64 v[187:190], v253 offset0:44 offset1:45
	s_waitcnt lgkmcnt(0)
	v_mul_f64 v[137:138], v[189:190], v[139:140]
	v_fma_f64 v[137:138], v[187:188], v[185:186], -v[137:138]
	v_mul_f64 v[187:188], v[187:188], v[139:140]
	v_add_f64 v[93:94], v[93:94], -v[137:138]
	v_fma_f64 v[187:188], v[189:190], v[185:186], v[187:188]
	v_add_f64 v[95:96], v[95:96], -v[187:188]
	ds_read2_b64 v[187:190], v253 offset0:46 offset1:47
	s_waitcnt lgkmcnt(0)
	v_mul_f64 v[137:138], v[189:190], v[139:140]
	v_fma_f64 v[137:138], v[187:188], v[185:186], -v[137:138]
	v_mul_f64 v[187:188], v[187:188], v[139:140]
	v_add_f64 v[89:90], v[89:90], -v[137:138]
	v_fma_f64 v[187:188], v[189:190], v[185:186], v[187:188]
	v_add_f64 v[91:92], v[91:92], -v[187:188]
	ds_read2_b64 v[187:190], v253 offset0:48 offset1:49
	s_waitcnt lgkmcnt(0)
	v_mul_f64 v[137:138], v[189:190], v[139:140]
	v_fma_f64 v[137:138], v[187:188], v[185:186], -v[137:138]
	v_mul_f64 v[187:188], v[187:188], v[139:140]
	v_add_f64 v[85:86], v[85:86], -v[137:138]
	v_fma_f64 v[187:188], v[189:190], v[185:186], v[187:188]
	v_add_f64 v[87:88], v[87:88], -v[187:188]
	ds_read2_b64 v[187:190], v253 offset0:50 offset1:51
	s_waitcnt lgkmcnt(0)
	v_mul_f64 v[137:138], v[189:190], v[139:140]
	v_fma_f64 v[137:138], v[187:188], v[185:186], -v[137:138]
	v_mul_f64 v[187:188], v[187:188], v[139:140]
	v_add_f64 v[81:82], v[81:82], -v[137:138]
	v_fma_f64 v[187:188], v[189:190], v[185:186], v[187:188]
	v_add_f64 v[83:84], v[83:84], -v[187:188]
	ds_read2_b64 v[187:190], v253 offset0:52 offset1:53
	s_waitcnt lgkmcnt(0)
	v_mul_f64 v[137:138], v[189:190], v[139:140]
	v_fma_f64 v[137:138], v[187:188], v[185:186], -v[137:138]
	v_mul_f64 v[187:188], v[187:188], v[139:140]
	v_add_f64 v[77:78], v[77:78], -v[137:138]
	v_fma_f64 v[187:188], v[189:190], v[185:186], v[187:188]
	v_add_f64 v[79:80], v[79:80], -v[187:188]
	ds_read2_b64 v[187:190], v253 offset0:54 offset1:55
	s_waitcnt lgkmcnt(0)
	v_mul_f64 v[137:138], v[189:190], v[139:140]
	v_fma_f64 v[137:138], v[187:188], v[185:186], -v[137:138]
	v_mul_f64 v[187:188], v[187:188], v[139:140]
	v_add_f64 v[73:74], v[73:74], -v[137:138]
	v_fma_f64 v[187:188], v[189:190], v[185:186], v[187:188]
	v_add_f64 v[75:76], v[75:76], -v[187:188]
	ds_read2_b64 v[187:190], v253 offset0:56 offset1:57
	s_waitcnt lgkmcnt(0)
	v_mul_f64 v[137:138], v[189:190], v[139:140]
	v_fma_f64 v[137:138], v[187:188], v[185:186], -v[137:138]
	v_mul_f64 v[187:188], v[187:188], v[139:140]
	v_add_f64 v[69:70], v[69:70], -v[137:138]
	v_fma_f64 v[187:188], v[189:190], v[185:186], v[187:188]
	v_add_f64 v[71:72], v[71:72], -v[187:188]
	ds_read2_b64 v[187:190], v253 offset0:58 offset1:59
	s_waitcnt lgkmcnt(0)
	v_mul_f64 v[137:138], v[189:190], v[139:140]
	v_fma_f64 v[137:138], v[187:188], v[185:186], -v[137:138]
	v_mul_f64 v[187:188], v[187:188], v[139:140]
	v_add_f64 v[65:66], v[65:66], -v[137:138]
	v_fma_f64 v[187:188], v[189:190], v[185:186], v[187:188]
	v_add_f64 v[67:68], v[67:68], -v[187:188]
	ds_read2_b64 v[187:190], v253 offset0:60 offset1:61
	s_waitcnt lgkmcnt(0)
	v_mul_f64 v[137:138], v[189:190], v[139:140]
	v_fma_f64 v[137:138], v[187:188], v[185:186], -v[137:138]
	v_mul_f64 v[187:188], v[187:188], v[139:140]
	v_add_f64 v[61:62], v[61:62], -v[137:138]
	v_fma_f64 v[187:188], v[189:190], v[185:186], v[187:188]
	v_add_f64 v[63:64], v[63:64], -v[187:188]
	ds_read2_b64 v[187:190], v253 offset0:62 offset1:63
	s_waitcnt lgkmcnt(0)
	v_mul_f64 v[137:138], v[189:190], v[139:140]
	v_fma_f64 v[137:138], v[187:188], v[185:186], -v[137:138]
	v_mul_f64 v[187:188], v[187:188], v[139:140]
	v_add_f64 v[57:58], v[57:58], -v[137:138]
	v_fma_f64 v[187:188], v[189:190], v[185:186], v[187:188]
	v_add_f64 v[59:60], v[59:60], -v[187:188]
	ds_read2_b64 v[187:190], v253 offset0:64 offset1:65
	s_waitcnt lgkmcnt(0)
	v_mul_f64 v[137:138], v[189:190], v[139:140]
	v_fma_f64 v[137:138], v[187:188], v[185:186], -v[137:138]
	v_mul_f64 v[187:188], v[187:188], v[139:140]
	v_add_f64 v[53:54], v[53:54], -v[137:138]
	v_fma_f64 v[187:188], v[189:190], v[185:186], v[187:188]
	v_add_f64 v[55:56], v[55:56], -v[187:188]
	ds_read2_b64 v[187:190], v253 offset0:66 offset1:67
	s_waitcnt lgkmcnt(0)
	v_mul_f64 v[137:138], v[189:190], v[139:140]
	v_fma_f64 v[137:138], v[187:188], v[185:186], -v[137:138]
	v_mul_f64 v[187:188], v[187:188], v[139:140]
	v_add_f64 v[49:50], v[49:50], -v[137:138]
	v_fma_f64 v[187:188], v[189:190], v[185:186], v[187:188]
	v_add_f64 v[51:52], v[51:52], -v[187:188]
	ds_read2_b64 v[187:190], v253 offset0:68 offset1:69
	s_waitcnt lgkmcnt(0)
	v_mul_f64 v[137:138], v[189:190], v[139:140]
	v_fma_f64 v[137:138], v[187:188], v[185:186], -v[137:138]
	v_mul_f64 v[187:188], v[187:188], v[139:140]
	v_add_f64 v[45:46], v[45:46], -v[137:138]
	v_fma_f64 v[187:188], v[189:190], v[185:186], v[187:188]
	v_add_f64 v[47:48], v[47:48], -v[187:188]
	ds_read2_b64 v[187:190], v253 offset0:70 offset1:71
	s_waitcnt lgkmcnt(0)
	v_mul_f64 v[137:138], v[189:190], v[139:140]
	v_fma_f64 v[137:138], v[187:188], v[185:186], -v[137:138]
	v_mul_f64 v[187:188], v[187:188], v[139:140]
	v_add_f64 v[41:42], v[41:42], -v[137:138]
	v_fma_f64 v[187:188], v[189:190], v[185:186], v[187:188]
	v_add_f64 v[43:44], v[43:44], -v[187:188]
	ds_read2_b64 v[187:190], v253 offset0:72 offset1:73
	s_waitcnt lgkmcnt(0)
	v_mul_f64 v[137:138], v[189:190], v[139:140]
	v_fma_f64 v[137:138], v[187:188], v[185:186], -v[137:138]
	v_mul_f64 v[187:188], v[187:188], v[139:140]
	v_add_f64 v[37:38], v[37:38], -v[137:138]
	v_fma_f64 v[187:188], v[189:190], v[185:186], v[187:188]
	v_add_f64 v[39:40], v[39:40], -v[187:188]
	ds_read2_b64 v[187:190], v253 offset0:74 offset1:75
	s_waitcnt lgkmcnt(0)
	v_mul_f64 v[137:138], v[189:190], v[139:140]
	v_fma_f64 v[137:138], v[187:188], v[185:186], -v[137:138]
	v_mul_f64 v[187:188], v[187:188], v[139:140]
	v_add_f64 v[33:34], v[33:34], -v[137:138]
	v_fma_f64 v[187:188], v[189:190], v[185:186], v[187:188]
	v_add_f64 v[35:36], v[35:36], -v[187:188]
	ds_read2_b64 v[187:190], v253 offset0:76 offset1:77
	s_waitcnt lgkmcnt(0)
	v_mul_f64 v[137:138], v[189:190], v[139:140]
	v_fma_f64 v[137:138], v[187:188], v[185:186], -v[137:138]
	v_mul_f64 v[187:188], v[187:188], v[139:140]
	v_add_f64 v[29:30], v[29:30], -v[137:138]
	v_fma_f64 v[187:188], v[189:190], v[185:186], v[187:188]
	v_add_f64 v[31:32], v[31:32], -v[187:188]
	ds_read2_b64 v[187:190], v253 offset0:78 offset1:79
	s_waitcnt lgkmcnt(0)
	v_mul_f64 v[137:138], v[189:190], v[139:140]
	v_fma_f64 v[137:138], v[187:188], v[185:186], -v[137:138]
	v_mul_f64 v[187:188], v[187:188], v[139:140]
	v_add_f64 v[25:26], v[25:26], -v[137:138]
	v_fma_f64 v[187:188], v[189:190], v[185:186], v[187:188]
	v_add_f64 v[27:28], v[27:28], -v[187:188]
	ds_read2_b64 v[187:190], v253 offset0:80 offset1:81
	s_waitcnt lgkmcnt(0)
	v_mul_f64 v[137:138], v[189:190], v[139:140]
	v_fma_f64 v[137:138], v[187:188], v[185:186], -v[137:138]
	v_mul_f64 v[187:188], v[187:188], v[139:140]
	v_add_f64 v[21:22], v[21:22], -v[137:138]
	v_fma_f64 v[187:188], v[189:190], v[185:186], v[187:188]
	v_add_f64 v[23:24], v[23:24], -v[187:188]
	ds_read2_b64 v[187:190], v253 offset0:82 offset1:83
	s_waitcnt lgkmcnt(0)
	v_mul_f64 v[137:138], v[189:190], v[139:140]
	v_fma_f64 v[137:138], v[187:188], v[185:186], -v[137:138]
	v_mul_f64 v[187:188], v[187:188], v[139:140]
	v_add_f64 v[17:18], v[17:18], -v[137:138]
	v_fma_f64 v[187:188], v[189:190], v[185:186], v[187:188]
	v_add_f64 v[19:20], v[19:20], -v[187:188]
	ds_read2_b64 v[187:190], v253 offset0:84 offset1:85
	s_waitcnt lgkmcnt(0)
	v_mul_f64 v[137:138], v[189:190], v[139:140]
	v_fma_f64 v[137:138], v[187:188], v[185:186], -v[137:138]
	v_mul_f64 v[187:188], v[187:188], v[139:140]
	v_add_f64 v[13:14], v[13:14], -v[137:138]
	v_fma_f64 v[187:188], v[189:190], v[185:186], v[187:188]
	v_add_f64 v[15:16], v[15:16], -v[187:188]
	ds_read2_b64 v[187:190], v253 offset0:86 offset1:87
	s_waitcnt lgkmcnt(0)
	v_mul_f64 v[137:138], v[189:190], v[139:140]
	v_fma_f64 v[137:138], v[187:188], v[185:186], -v[137:138]
	v_mul_f64 v[187:188], v[187:188], v[139:140]
	v_add_f64 v[9:10], v[9:10], -v[137:138]
	v_fma_f64 v[187:188], v[189:190], v[185:186], v[187:188]
	v_add_f64 v[11:12], v[11:12], -v[187:188]
	ds_read2_b64 v[187:190], v253 offset0:88 offset1:89
	s_waitcnt lgkmcnt(0)
	v_mul_f64 v[137:138], v[189:190], v[139:140]
	v_fma_f64 v[137:138], v[187:188], v[185:186], -v[137:138]
	v_mul_f64 v[187:188], v[187:188], v[139:140]
	v_add_f64 v[5:6], v[5:6], -v[137:138]
	v_fma_f64 v[187:188], v[189:190], v[185:186], v[187:188]
	v_add_f64 v[7:8], v[7:8], -v[187:188]
	ds_read2_b64 v[187:190], v253 offset0:90 offset1:91
	s_waitcnt lgkmcnt(0)
	v_mul_f64 v[137:138], v[189:190], v[139:140]
	v_fma_f64 v[137:138], v[187:188], v[185:186], -v[137:138]
	v_mul_f64 v[187:188], v[187:188], v[139:140]
	v_add_f64 v[1:2], v[1:2], -v[137:138]
	v_fma_f64 v[187:188], v[189:190], v[185:186], v[187:188]
	v_mov_b32_e32 v137, v185
	v_mov_b32_e32 v138, v186
	v_add_f64 v[3:4], v[3:4], -v[187:188]
.LBB91_109:
	s_or_b32 exec_lo, exec_lo, s1
	s_mov_b32 s2, exec_lo
	s_waitcnt_vscnt null, 0x0
	s_barrier
	buffer_gl0_inv
	v_cmpx_eq_u32_e32 12, v0
	s_cbranch_execz .LBB91_116
; %bb.110:
	ds_write2_b64 v255, v[133:134], v[135:136] offset1:1
	ds_write2_b64 v253, v[129:130], v[131:132] offset0:26 offset1:27
	ds_write2_b64 v253, v[125:126], v[127:128] offset0:28 offset1:29
	;; [unrolled: 1-line block ×33, first 2 shown]
	ds_read2_b64 v[185:188], v255 offset1:1
	s_waitcnt lgkmcnt(0)
	v_cmp_neq_f64_e32 vcc_lo, 0, v[185:186]
	v_cmp_neq_f64_e64 s1, 0, v[187:188]
	s_or_b32 s1, vcc_lo, s1
	s_and_b32 exec_lo, exec_lo, s1
	s_cbranch_execz .LBB91_116
; %bb.111:
	v_cmp_ngt_f64_e64 s1, |v[185:186]|, |v[187:188]|
                                        ; implicit-def: $vgpr189_vgpr190
	s_and_saveexec_b32 s3, s1
	s_xor_b32 s1, exec_lo, s3
                                        ; implicit-def: $vgpr191_vgpr192
	s_cbranch_execz .LBB91_113
; %bb.112:
	v_div_scale_f64 v[189:190], null, v[187:188], v[187:188], v[185:186]
	v_div_scale_f64 v[195:196], vcc_lo, v[185:186], v[187:188], v[185:186]
	v_rcp_f64_e32 v[191:192], v[189:190]
	v_fma_f64 v[193:194], -v[189:190], v[191:192], 1.0
	v_fma_f64 v[191:192], v[191:192], v[193:194], v[191:192]
	v_fma_f64 v[193:194], -v[189:190], v[191:192], 1.0
	v_fma_f64 v[191:192], v[191:192], v[193:194], v[191:192]
	v_mul_f64 v[193:194], v[195:196], v[191:192]
	v_fma_f64 v[189:190], -v[189:190], v[193:194], v[195:196]
	v_div_fmas_f64 v[189:190], v[189:190], v[191:192], v[193:194]
	v_div_fixup_f64 v[189:190], v[189:190], v[187:188], v[185:186]
	v_fma_f64 v[185:186], v[185:186], v[189:190], v[187:188]
	v_div_scale_f64 v[187:188], null, v[185:186], v[185:186], 1.0
	v_rcp_f64_e32 v[191:192], v[187:188]
	v_fma_f64 v[193:194], -v[187:188], v[191:192], 1.0
	v_fma_f64 v[191:192], v[191:192], v[193:194], v[191:192]
	v_fma_f64 v[193:194], -v[187:188], v[191:192], 1.0
	v_fma_f64 v[191:192], v[191:192], v[193:194], v[191:192]
	v_div_scale_f64 v[193:194], vcc_lo, 1.0, v[185:186], 1.0
	v_mul_f64 v[195:196], v[193:194], v[191:192]
	v_fma_f64 v[187:188], -v[187:188], v[195:196], v[193:194]
	v_div_fmas_f64 v[187:188], v[187:188], v[191:192], v[195:196]
	v_div_fixup_f64 v[191:192], v[187:188], v[185:186], 1.0
                                        ; implicit-def: $vgpr185_vgpr186
	v_mul_f64 v[189:190], v[189:190], v[191:192]
	v_xor_b32_e32 v192, 0x80000000, v192
.LBB91_113:
	s_andn2_saveexec_b32 s1, s1
	s_cbranch_execz .LBB91_115
; %bb.114:
	v_div_scale_f64 v[189:190], null, v[185:186], v[185:186], v[187:188]
	v_div_scale_f64 v[195:196], vcc_lo, v[187:188], v[185:186], v[187:188]
	v_rcp_f64_e32 v[191:192], v[189:190]
	v_fma_f64 v[193:194], -v[189:190], v[191:192], 1.0
	v_fma_f64 v[191:192], v[191:192], v[193:194], v[191:192]
	v_fma_f64 v[193:194], -v[189:190], v[191:192], 1.0
	v_fma_f64 v[191:192], v[191:192], v[193:194], v[191:192]
	v_mul_f64 v[193:194], v[195:196], v[191:192]
	v_fma_f64 v[189:190], -v[189:190], v[193:194], v[195:196]
	v_div_fmas_f64 v[189:190], v[189:190], v[191:192], v[193:194]
	v_div_fixup_f64 v[191:192], v[189:190], v[185:186], v[187:188]
	v_fma_f64 v[185:186], v[187:188], v[191:192], v[185:186]
	v_div_scale_f64 v[187:188], null, v[185:186], v[185:186], 1.0
	v_rcp_f64_e32 v[189:190], v[187:188]
	v_fma_f64 v[193:194], -v[187:188], v[189:190], 1.0
	v_fma_f64 v[189:190], v[189:190], v[193:194], v[189:190]
	v_fma_f64 v[193:194], -v[187:188], v[189:190], 1.0
	v_fma_f64 v[189:190], v[189:190], v[193:194], v[189:190]
	v_div_scale_f64 v[193:194], vcc_lo, 1.0, v[185:186], 1.0
	v_mul_f64 v[195:196], v[193:194], v[189:190]
	v_fma_f64 v[187:188], -v[187:188], v[195:196], v[193:194]
	v_div_fmas_f64 v[187:188], v[187:188], v[189:190], v[195:196]
	v_div_fixup_f64 v[189:190], v[187:188], v[185:186], 1.0
	v_mul_f64 v[191:192], v[191:192], -v[189:190]
.LBB91_115:
	s_or_b32 exec_lo, exec_lo, s1
	ds_write2_b64 v255, v[189:190], v[191:192] offset1:1
.LBB91_116:
	s_or_b32 exec_lo, exec_lo, s2
	s_waitcnt lgkmcnt(0)
	s_barrier
	buffer_gl0_inv
	ds_read2_b64 v[185:188], v255 offset1:1
	s_mov_b32 s1, exec_lo
	s_waitcnt lgkmcnt(0)
	buffer_store_dword v185, off, s[16:19], 0 offset:488 ; 4-byte Folded Spill
	buffer_store_dword v186, off, s[16:19], 0 offset:492 ; 4-byte Folded Spill
	;; [unrolled: 1-line block ×4, first 2 shown]
	v_cmpx_lt_u32_e32 12, v0
	s_cbranch_execz .LBB91_118
; %bb.117:
	s_clause 0x3
	buffer_load_dword v187, off, s[16:19], 0 offset:488
	buffer_load_dword v188, off, s[16:19], 0 offset:492
	;; [unrolled: 1-line block ×4, first 2 shown]
	s_waitcnt vmcnt(0)
	v_mul_f64 v[185:186], v[189:190], v[135:136]
	v_mul_f64 v[135:136], v[187:188], v[135:136]
	v_fma_f64 v[185:186], v[187:188], v[133:134], -v[185:186]
	v_fma_f64 v[135:136], v[189:190], v[133:134], v[135:136]
	ds_read2_b64 v[187:190], v253 offset0:26 offset1:27
	s_waitcnt lgkmcnt(0)
	v_mul_f64 v[133:134], v[189:190], v[135:136]
	v_fma_f64 v[133:134], v[187:188], v[185:186], -v[133:134]
	v_mul_f64 v[187:188], v[187:188], v[135:136]
	v_add_f64 v[129:130], v[129:130], -v[133:134]
	v_fma_f64 v[187:188], v[189:190], v[185:186], v[187:188]
	v_add_f64 v[131:132], v[131:132], -v[187:188]
	ds_read2_b64 v[187:190], v253 offset0:28 offset1:29
	s_waitcnt lgkmcnt(0)
	v_mul_f64 v[133:134], v[189:190], v[135:136]
	v_fma_f64 v[133:134], v[187:188], v[185:186], -v[133:134]
	v_mul_f64 v[187:188], v[187:188], v[135:136]
	v_add_f64 v[125:126], v[125:126], -v[133:134]
	v_fma_f64 v[187:188], v[189:190], v[185:186], v[187:188]
	v_add_f64 v[127:128], v[127:128], -v[187:188]
	;; [unrolled: 8-line block ×32, first 2 shown]
	ds_read2_b64 v[187:190], v253 offset0:90 offset1:91
	s_waitcnt lgkmcnt(0)
	v_mul_f64 v[133:134], v[189:190], v[135:136]
	v_fma_f64 v[133:134], v[187:188], v[185:186], -v[133:134]
	v_mul_f64 v[187:188], v[187:188], v[135:136]
	v_add_f64 v[1:2], v[1:2], -v[133:134]
	v_fma_f64 v[187:188], v[189:190], v[185:186], v[187:188]
	v_mov_b32_e32 v133, v185
	v_mov_b32_e32 v134, v186
	v_add_f64 v[3:4], v[3:4], -v[187:188]
.LBB91_118:
	s_or_b32 exec_lo, exec_lo, s1
	s_mov_b32 s2, exec_lo
	s_waitcnt_vscnt null, 0x0
	s_barrier
	buffer_gl0_inv
	v_cmpx_eq_u32_e32 13, v0
	s_cbranch_execz .LBB91_125
; %bb.119:
	ds_write2_b64 v255, v[129:130], v[131:132] offset1:1
	ds_write2_b64 v253, v[125:126], v[127:128] offset0:28 offset1:29
	ds_write2_b64 v253, v[121:122], v[123:124] offset0:30 offset1:31
	;; [unrolled: 1-line block ×32, first 2 shown]
	ds_read2_b64 v[185:188], v255 offset1:1
	s_waitcnt lgkmcnt(0)
	v_cmp_neq_f64_e32 vcc_lo, 0, v[185:186]
	v_cmp_neq_f64_e64 s1, 0, v[187:188]
	s_or_b32 s1, vcc_lo, s1
	s_and_b32 exec_lo, exec_lo, s1
	s_cbranch_execz .LBB91_125
; %bb.120:
	v_cmp_ngt_f64_e64 s1, |v[185:186]|, |v[187:188]|
                                        ; implicit-def: $vgpr189_vgpr190
	s_and_saveexec_b32 s3, s1
	s_xor_b32 s1, exec_lo, s3
                                        ; implicit-def: $vgpr191_vgpr192
	s_cbranch_execz .LBB91_122
; %bb.121:
	v_div_scale_f64 v[189:190], null, v[187:188], v[187:188], v[185:186]
	v_div_scale_f64 v[195:196], vcc_lo, v[185:186], v[187:188], v[185:186]
	v_rcp_f64_e32 v[191:192], v[189:190]
	v_fma_f64 v[193:194], -v[189:190], v[191:192], 1.0
	v_fma_f64 v[191:192], v[191:192], v[193:194], v[191:192]
	v_fma_f64 v[193:194], -v[189:190], v[191:192], 1.0
	v_fma_f64 v[191:192], v[191:192], v[193:194], v[191:192]
	v_mul_f64 v[193:194], v[195:196], v[191:192]
	v_fma_f64 v[189:190], -v[189:190], v[193:194], v[195:196]
	v_div_fmas_f64 v[189:190], v[189:190], v[191:192], v[193:194]
	v_div_fixup_f64 v[189:190], v[189:190], v[187:188], v[185:186]
	v_fma_f64 v[185:186], v[185:186], v[189:190], v[187:188]
	v_div_scale_f64 v[187:188], null, v[185:186], v[185:186], 1.0
	v_rcp_f64_e32 v[191:192], v[187:188]
	v_fma_f64 v[193:194], -v[187:188], v[191:192], 1.0
	v_fma_f64 v[191:192], v[191:192], v[193:194], v[191:192]
	v_fma_f64 v[193:194], -v[187:188], v[191:192], 1.0
	v_fma_f64 v[191:192], v[191:192], v[193:194], v[191:192]
	v_div_scale_f64 v[193:194], vcc_lo, 1.0, v[185:186], 1.0
	v_mul_f64 v[195:196], v[193:194], v[191:192]
	v_fma_f64 v[187:188], -v[187:188], v[195:196], v[193:194]
	v_div_fmas_f64 v[187:188], v[187:188], v[191:192], v[195:196]
	v_div_fixup_f64 v[191:192], v[187:188], v[185:186], 1.0
                                        ; implicit-def: $vgpr185_vgpr186
	v_mul_f64 v[189:190], v[189:190], v[191:192]
	v_xor_b32_e32 v192, 0x80000000, v192
.LBB91_122:
	s_andn2_saveexec_b32 s1, s1
	s_cbranch_execz .LBB91_124
; %bb.123:
	v_div_scale_f64 v[189:190], null, v[185:186], v[185:186], v[187:188]
	v_div_scale_f64 v[195:196], vcc_lo, v[187:188], v[185:186], v[187:188]
	v_rcp_f64_e32 v[191:192], v[189:190]
	v_fma_f64 v[193:194], -v[189:190], v[191:192], 1.0
	v_fma_f64 v[191:192], v[191:192], v[193:194], v[191:192]
	v_fma_f64 v[193:194], -v[189:190], v[191:192], 1.0
	v_fma_f64 v[191:192], v[191:192], v[193:194], v[191:192]
	v_mul_f64 v[193:194], v[195:196], v[191:192]
	v_fma_f64 v[189:190], -v[189:190], v[193:194], v[195:196]
	v_div_fmas_f64 v[189:190], v[189:190], v[191:192], v[193:194]
	v_div_fixup_f64 v[191:192], v[189:190], v[185:186], v[187:188]
	v_fma_f64 v[185:186], v[187:188], v[191:192], v[185:186]
	v_div_scale_f64 v[187:188], null, v[185:186], v[185:186], 1.0
	v_rcp_f64_e32 v[189:190], v[187:188]
	v_fma_f64 v[193:194], -v[187:188], v[189:190], 1.0
	v_fma_f64 v[189:190], v[189:190], v[193:194], v[189:190]
	v_fma_f64 v[193:194], -v[187:188], v[189:190], 1.0
	v_fma_f64 v[189:190], v[189:190], v[193:194], v[189:190]
	v_div_scale_f64 v[193:194], vcc_lo, 1.0, v[185:186], 1.0
	v_mul_f64 v[195:196], v[193:194], v[189:190]
	v_fma_f64 v[187:188], -v[187:188], v[195:196], v[193:194]
	v_div_fmas_f64 v[187:188], v[187:188], v[189:190], v[195:196]
	v_div_fixup_f64 v[189:190], v[187:188], v[185:186], 1.0
	v_mul_f64 v[191:192], v[191:192], -v[189:190]
.LBB91_124:
	s_or_b32 exec_lo, exec_lo, s1
	ds_write2_b64 v255, v[189:190], v[191:192] offset1:1
.LBB91_125:
	s_or_b32 exec_lo, exec_lo, s2
	s_waitcnt lgkmcnt(0)
	s_barrier
	buffer_gl0_inv
	ds_read2_b64 v[185:188], v255 offset1:1
	s_mov_b32 s1, exec_lo
	s_waitcnt lgkmcnt(0)
	buffer_store_dword v185, off, s[16:19], 0 offset:504 ; 4-byte Folded Spill
	buffer_store_dword v186, off, s[16:19], 0 offset:508 ; 4-byte Folded Spill
	;; [unrolled: 1-line block ×4, first 2 shown]
	v_cmpx_lt_u32_e32 13, v0
	s_cbranch_execz .LBB91_127
; %bb.126:
	s_clause 0x3
	buffer_load_dword v187, off, s[16:19], 0 offset:504
	buffer_load_dword v188, off, s[16:19], 0 offset:508
	;; [unrolled: 1-line block ×4, first 2 shown]
	s_waitcnt vmcnt(0)
	v_mul_f64 v[185:186], v[189:190], v[131:132]
	v_mul_f64 v[131:132], v[187:188], v[131:132]
	v_fma_f64 v[185:186], v[187:188], v[129:130], -v[185:186]
	v_fma_f64 v[131:132], v[189:190], v[129:130], v[131:132]
	ds_read2_b64 v[187:190], v253 offset0:28 offset1:29
	s_waitcnt lgkmcnt(0)
	v_mul_f64 v[129:130], v[189:190], v[131:132]
	v_fma_f64 v[129:130], v[187:188], v[185:186], -v[129:130]
	v_mul_f64 v[187:188], v[187:188], v[131:132]
	v_add_f64 v[125:126], v[125:126], -v[129:130]
	v_fma_f64 v[187:188], v[189:190], v[185:186], v[187:188]
	v_add_f64 v[127:128], v[127:128], -v[187:188]
	ds_read2_b64 v[187:190], v253 offset0:30 offset1:31
	s_waitcnt lgkmcnt(0)
	v_mul_f64 v[129:130], v[189:190], v[131:132]
	v_fma_f64 v[129:130], v[187:188], v[185:186], -v[129:130]
	v_mul_f64 v[187:188], v[187:188], v[131:132]
	v_add_f64 v[121:122], v[121:122], -v[129:130]
	v_fma_f64 v[187:188], v[189:190], v[185:186], v[187:188]
	v_add_f64 v[123:124], v[123:124], -v[187:188]
	;; [unrolled: 8-line block ×31, first 2 shown]
	ds_read2_b64 v[187:190], v253 offset0:90 offset1:91
	s_waitcnt lgkmcnt(0)
	v_mul_f64 v[129:130], v[189:190], v[131:132]
	v_fma_f64 v[129:130], v[187:188], v[185:186], -v[129:130]
	v_mul_f64 v[187:188], v[187:188], v[131:132]
	v_add_f64 v[1:2], v[1:2], -v[129:130]
	v_fma_f64 v[187:188], v[189:190], v[185:186], v[187:188]
	v_mov_b32_e32 v129, v185
	v_mov_b32_e32 v130, v186
	v_add_f64 v[3:4], v[3:4], -v[187:188]
.LBB91_127:
	s_or_b32 exec_lo, exec_lo, s1
	s_mov_b32 s2, exec_lo
	s_waitcnt_vscnt null, 0x0
	s_barrier
	buffer_gl0_inv
	v_cmpx_eq_u32_e32 14, v0
	s_cbranch_execz .LBB91_134
; %bb.128:
	ds_write2_b64 v255, v[125:126], v[127:128] offset1:1
	ds_write2_b64 v253, v[121:122], v[123:124] offset0:30 offset1:31
	ds_write2_b64 v253, v[117:118], v[119:120] offset0:32 offset1:33
	;; [unrolled: 1-line block ×31, first 2 shown]
	ds_read2_b64 v[185:188], v255 offset1:1
	s_waitcnt lgkmcnt(0)
	v_cmp_neq_f64_e32 vcc_lo, 0, v[185:186]
	v_cmp_neq_f64_e64 s1, 0, v[187:188]
	s_or_b32 s1, vcc_lo, s1
	s_and_b32 exec_lo, exec_lo, s1
	s_cbranch_execz .LBB91_134
; %bb.129:
	v_cmp_ngt_f64_e64 s1, |v[185:186]|, |v[187:188]|
                                        ; implicit-def: $vgpr189_vgpr190
	s_and_saveexec_b32 s3, s1
	s_xor_b32 s1, exec_lo, s3
                                        ; implicit-def: $vgpr191_vgpr192
	s_cbranch_execz .LBB91_131
; %bb.130:
	v_div_scale_f64 v[189:190], null, v[187:188], v[187:188], v[185:186]
	v_div_scale_f64 v[195:196], vcc_lo, v[185:186], v[187:188], v[185:186]
	v_rcp_f64_e32 v[191:192], v[189:190]
	v_fma_f64 v[193:194], -v[189:190], v[191:192], 1.0
	v_fma_f64 v[191:192], v[191:192], v[193:194], v[191:192]
	v_fma_f64 v[193:194], -v[189:190], v[191:192], 1.0
	v_fma_f64 v[191:192], v[191:192], v[193:194], v[191:192]
	v_mul_f64 v[193:194], v[195:196], v[191:192]
	v_fma_f64 v[189:190], -v[189:190], v[193:194], v[195:196]
	v_div_fmas_f64 v[189:190], v[189:190], v[191:192], v[193:194]
	v_div_fixup_f64 v[189:190], v[189:190], v[187:188], v[185:186]
	v_fma_f64 v[185:186], v[185:186], v[189:190], v[187:188]
	v_div_scale_f64 v[187:188], null, v[185:186], v[185:186], 1.0
	v_rcp_f64_e32 v[191:192], v[187:188]
	v_fma_f64 v[193:194], -v[187:188], v[191:192], 1.0
	v_fma_f64 v[191:192], v[191:192], v[193:194], v[191:192]
	v_fma_f64 v[193:194], -v[187:188], v[191:192], 1.0
	v_fma_f64 v[191:192], v[191:192], v[193:194], v[191:192]
	v_div_scale_f64 v[193:194], vcc_lo, 1.0, v[185:186], 1.0
	v_mul_f64 v[195:196], v[193:194], v[191:192]
	v_fma_f64 v[187:188], -v[187:188], v[195:196], v[193:194]
	v_div_fmas_f64 v[187:188], v[187:188], v[191:192], v[195:196]
	v_div_fixup_f64 v[191:192], v[187:188], v[185:186], 1.0
                                        ; implicit-def: $vgpr185_vgpr186
	v_mul_f64 v[189:190], v[189:190], v[191:192]
	v_xor_b32_e32 v192, 0x80000000, v192
.LBB91_131:
	s_andn2_saveexec_b32 s1, s1
	s_cbranch_execz .LBB91_133
; %bb.132:
	v_div_scale_f64 v[189:190], null, v[185:186], v[185:186], v[187:188]
	v_div_scale_f64 v[195:196], vcc_lo, v[187:188], v[185:186], v[187:188]
	v_rcp_f64_e32 v[191:192], v[189:190]
	v_fma_f64 v[193:194], -v[189:190], v[191:192], 1.0
	v_fma_f64 v[191:192], v[191:192], v[193:194], v[191:192]
	v_fma_f64 v[193:194], -v[189:190], v[191:192], 1.0
	v_fma_f64 v[191:192], v[191:192], v[193:194], v[191:192]
	v_mul_f64 v[193:194], v[195:196], v[191:192]
	v_fma_f64 v[189:190], -v[189:190], v[193:194], v[195:196]
	v_div_fmas_f64 v[189:190], v[189:190], v[191:192], v[193:194]
	v_div_fixup_f64 v[191:192], v[189:190], v[185:186], v[187:188]
	v_fma_f64 v[185:186], v[187:188], v[191:192], v[185:186]
	v_div_scale_f64 v[187:188], null, v[185:186], v[185:186], 1.0
	v_rcp_f64_e32 v[189:190], v[187:188]
	v_fma_f64 v[193:194], -v[187:188], v[189:190], 1.0
	v_fma_f64 v[189:190], v[189:190], v[193:194], v[189:190]
	v_fma_f64 v[193:194], -v[187:188], v[189:190], 1.0
	v_fma_f64 v[189:190], v[189:190], v[193:194], v[189:190]
	v_div_scale_f64 v[193:194], vcc_lo, 1.0, v[185:186], 1.0
	v_mul_f64 v[195:196], v[193:194], v[189:190]
	v_fma_f64 v[187:188], -v[187:188], v[195:196], v[193:194]
	v_div_fmas_f64 v[187:188], v[187:188], v[189:190], v[195:196]
	v_div_fixup_f64 v[189:190], v[187:188], v[185:186], 1.0
	v_mul_f64 v[191:192], v[191:192], -v[189:190]
.LBB91_133:
	s_or_b32 exec_lo, exec_lo, s1
	ds_write2_b64 v255, v[189:190], v[191:192] offset1:1
.LBB91_134:
	s_or_b32 exec_lo, exec_lo, s2
	s_waitcnt lgkmcnt(0)
	s_barrier
	buffer_gl0_inv
	ds_read2_b64 v[185:188], v255 offset1:1
	s_mov_b32 s1, exec_lo
	s_waitcnt lgkmcnt(0)
	buffer_store_dword v185, off, s[16:19], 0 offset:520 ; 4-byte Folded Spill
	buffer_store_dword v186, off, s[16:19], 0 offset:524 ; 4-byte Folded Spill
	;; [unrolled: 1-line block ×4, first 2 shown]
	v_cmpx_lt_u32_e32 14, v0
	s_cbranch_execz .LBB91_136
; %bb.135:
	s_clause 0x3
	buffer_load_dword v187, off, s[16:19], 0 offset:520
	buffer_load_dword v188, off, s[16:19], 0 offset:524
	;; [unrolled: 1-line block ×4, first 2 shown]
	s_waitcnt vmcnt(0)
	v_mul_f64 v[185:186], v[189:190], v[127:128]
	v_mul_f64 v[127:128], v[187:188], v[127:128]
	v_fma_f64 v[185:186], v[187:188], v[125:126], -v[185:186]
	v_fma_f64 v[127:128], v[189:190], v[125:126], v[127:128]
	ds_read2_b64 v[187:190], v253 offset0:30 offset1:31
	s_waitcnt lgkmcnt(0)
	v_mul_f64 v[125:126], v[189:190], v[127:128]
	v_fma_f64 v[125:126], v[187:188], v[185:186], -v[125:126]
	v_mul_f64 v[187:188], v[187:188], v[127:128]
	v_add_f64 v[121:122], v[121:122], -v[125:126]
	v_fma_f64 v[187:188], v[189:190], v[185:186], v[187:188]
	v_add_f64 v[123:124], v[123:124], -v[187:188]
	ds_read2_b64 v[187:190], v253 offset0:32 offset1:33
	s_waitcnt lgkmcnt(0)
	v_mul_f64 v[125:126], v[189:190], v[127:128]
	v_fma_f64 v[125:126], v[187:188], v[185:186], -v[125:126]
	v_mul_f64 v[187:188], v[187:188], v[127:128]
	v_add_f64 v[117:118], v[117:118], -v[125:126]
	v_fma_f64 v[187:188], v[189:190], v[185:186], v[187:188]
	v_add_f64 v[119:120], v[119:120], -v[187:188]
	ds_read2_b64 v[187:190], v253 offset0:34 offset1:35
	s_waitcnt lgkmcnt(0)
	v_mul_f64 v[125:126], v[189:190], v[127:128]
	v_fma_f64 v[125:126], v[187:188], v[185:186], -v[125:126]
	v_mul_f64 v[187:188], v[187:188], v[127:128]
	v_add_f64 v[113:114], v[113:114], -v[125:126]
	v_fma_f64 v[187:188], v[189:190], v[185:186], v[187:188]
	v_add_f64 v[115:116], v[115:116], -v[187:188]
	ds_read2_b64 v[187:190], v253 offset0:36 offset1:37
	s_waitcnt lgkmcnt(0)
	v_mul_f64 v[125:126], v[189:190], v[127:128]
	v_fma_f64 v[125:126], v[187:188], v[185:186], -v[125:126]
	v_mul_f64 v[187:188], v[187:188], v[127:128]
	v_add_f64 v[109:110], v[109:110], -v[125:126]
	v_fma_f64 v[187:188], v[189:190], v[185:186], v[187:188]
	v_add_f64 v[111:112], v[111:112], -v[187:188]
	ds_read2_b64 v[187:190], v253 offset0:38 offset1:39
	s_waitcnt lgkmcnt(0)
	v_mul_f64 v[125:126], v[189:190], v[127:128]
	v_fma_f64 v[125:126], v[187:188], v[185:186], -v[125:126]
	v_mul_f64 v[187:188], v[187:188], v[127:128]
	v_add_f64 v[105:106], v[105:106], -v[125:126]
	v_fma_f64 v[187:188], v[189:190], v[185:186], v[187:188]
	v_add_f64 v[107:108], v[107:108], -v[187:188]
	ds_read2_b64 v[187:190], v253 offset0:40 offset1:41
	s_waitcnt lgkmcnt(0)
	v_mul_f64 v[125:126], v[189:190], v[127:128]
	v_fma_f64 v[125:126], v[187:188], v[185:186], -v[125:126]
	v_mul_f64 v[187:188], v[187:188], v[127:128]
	v_add_f64 v[101:102], v[101:102], -v[125:126]
	v_fma_f64 v[187:188], v[189:190], v[185:186], v[187:188]
	v_add_f64 v[103:104], v[103:104], -v[187:188]
	ds_read2_b64 v[187:190], v253 offset0:42 offset1:43
	s_waitcnt lgkmcnt(0)
	v_mul_f64 v[125:126], v[189:190], v[127:128]
	v_fma_f64 v[125:126], v[187:188], v[185:186], -v[125:126]
	v_mul_f64 v[187:188], v[187:188], v[127:128]
	v_add_f64 v[97:98], v[97:98], -v[125:126]
	v_fma_f64 v[187:188], v[189:190], v[185:186], v[187:188]
	v_add_f64 v[99:100], v[99:100], -v[187:188]
	ds_read2_b64 v[187:190], v253 offset0:44 offset1:45
	s_waitcnt lgkmcnt(0)
	v_mul_f64 v[125:126], v[189:190], v[127:128]
	v_fma_f64 v[125:126], v[187:188], v[185:186], -v[125:126]
	v_mul_f64 v[187:188], v[187:188], v[127:128]
	v_add_f64 v[93:94], v[93:94], -v[125:126]
	v_fma_f64 v[187:188], v[189:190], v[185:186], v[187:188]
	v_add_f64 v[95:96], v[95:96], -v[187:188]
	ds_read2_b64 v[187:190], v253 offset0:46 offset1:47
	s_waitcnt lgkmcnt(0)
	v_mul_f64 v[125:126], v[189:190], v[127:128]
	v_fma_f64 v[125:126], v[187:188], v[185:186], -v[125:126]
	v_mul_f64 v[187:188], v[187:188], v[127:128]
	v_add_f64 v[89:90], v[89:90], -v[125:126]
	v_fma_f64 v[187:188], v[189:190], v[185:186], v[187:188]
	v_add_f64 v[91:92], v[91:92], -v[187:188]
	ds_read2_b64 v[187:190], v253 offset0:48 offset1:49
	s_waitcnt lgkmcnt(0)
	v_mul_f64 v[125:126], v[189:190], v[127:128]
	v_fma_f64 v[125:126], v[187:188], v[185:186], -v[125:126]
	v_mul_f64 v[187:188], v[187:188], v[127:128]
	v_add_f64 v[85:86], v[85:86], -v[125:126]
	v_fma_f64 v[187:188], v[189:190], v[185:186], v[187:188]
	v_add_f64 v[87:88], v[87:88], -v[187:188]
	ds_read2_b64 v[187:190], v253 offset0:50 offset1:51
	s_waitcnt lgkmcnt(0)
	v_mul_f64 v[125:126], v[189:190], v[127:128]
	v_fma_f64 v[125:126], v[187:188], v[185:186], -v[125:126]
	v_mul_f64 v[187:188], v[187:188], v[127:128]
	v_add_f64 v[81:82], v[81:82], -v[125:126]
	v_fma_f64 v[187:188], v[189:190], v[185:186], v[187:188]
	v_add_f64 v[83:84], v[83:84], -v[187:188]
	ds_read2_b64 v[187:190], v253 offset0:52 offset1:53
	s_waitcnt lgkmcnt(0)
	v_mul_f64 v[125:126], v[189:190], v[127:128]
	v_fma_f64 v[125:126], v[187:188], v[185:186], -v[125:126]
	v_mul_f64 v[187:188], v[187:188], v[127:128]
	v_add_f64 v[77:78], v[77:78], -v[125:126]
	v_fma_f64 v[187:188], v[189:190], v[185:186], v[187:188]
	v_add_f64 v[79:80], v[79:80], -v[187:188]
	ds_read2_b64 v[187:190], v253 offset0:54 offset1:55
	s_waitcnt lgkmcnt(0)
	v_mul_f64 v[125:126], v[189:190], v[127:128]
	v_fma_f64 v[125:126], v[187:188], v[185:186], -v[125:126]
	v_mul_f64 v[187:188], v[187:188], v[127:128]
	v_add_f64 v[73:74], v[73:74], -v[125:126]
	v_fma_f64 v[187:188], v[189:190], v[185:186], v[187:188]
	v_add_f64 v[75:76], v[75:76], -v[187:188]
	ds_read2_b64 v[187:190], v253 offset0:56 offset1:57
	s_waitcnt lgkmcnt(0)
	v_mul_f64 v[125:126], v[189:190], v[127:128]
	v_fma_f64 v[125:126], v[187:188], v[185:186], -v[125:126]
	v_mul_f64 v[187:188], v[187:188], v[127:128]
	v_add_f64 v[69:70], v[69:70], -v[125:126]
	v_fma_f64 v[187:188], v[189:190], v[185:186], v[187:188]
	v_add_f64 v[71:72], v[71:72], -v[187:188]
	ds_read2_b64 v[187:190], v253 offset0:58 offset1:59
	s_waitcnt lgkmcnt(0)
	v_mul_f64 v[125:126], v[189:190], v[127:128]
	v_fma_f64 v[125:126], v[187:188], v[185:186], -v[125:126]
	v_mul_f64 v[187:188], v[187:188], v[127:128]
	v_add_f64 v[65:66], v[65:66], -v[125:126]
	v_fma_f64 v[187:188], v[189:190], v[185:186], v[187:188]
	v_add_f64 v[67:68], v[67:68], -v[187:188]
	ds_read2_b64 v[187:190], v253 offset0:60 offset1:61
	s_waitcnt lgkmcnt(0)
	v_mul_f64 v[125:126], v[189:190], v[127:128]
	v_fma_f64 v[125:126], v[187:188], v[185:186], -v[125:126]
	v_mul_f64 v[187:188], v[187:188], v[127:128]
	v_add_f64 v[61:62], v[61:62], -v[125:126]
	v_fma_f64 v[187:188], v[189:190], v[185:186], v[187:188]
	v_add_f64 v[63:64], v[63:64], -v[187:188]
	ds_read2_b64 v[187:190], v253 offset0:62 offset1:63
	s_waitcnt lgkmcnt(0)
	v_mul_f64 v[125:126], v[189:190], v[127:128]
	v_fma_f64 v[125:126], v[187:188], v[185:186], -v[125:126]
	v_mul_f64 v[187:188], v[187:188], v[127:128]
	v_add_f64 v[57:58], v[57:58], -v[125:126]
	v_fma_f64 v[187:188], v[189:190], v[185:186], v[187:188]
	v_add_f64 v[59:60], v[59:60], -v[187:188]
	ds_read2_b64 v[187:190], v253 offset0:64 offset1:65
	s_waitcnt lgkmcnt(0)
	v_mul_f64 v[125:126], v[189:190], v[127:128]
	v_fma_f64 v[125:126], v[187:188], v[185:186], -v[125:126]
	v_mul_f64 v[187:188], v[187:188], v[127:128]
	v_add_f64 v[53:54], v[53:54], -v[125:126]
	v_fma_f64 v[187:188], v[189:190], v[185:186], v[187:188]
	v_add_f64 v[55:56], v[55:56], -v[187:188]
	ds_read2_b64 v[187:190], v253 offset0:66 offset1:67
	s_waitcnt lgkmcnt(0)
	v_mul_f64 v[125:126], v[189:190], v[127:128]
	v_fma_f64 v[125:126], v[187:188], v[185:186], -v[125:126]
	v_mul_f64 v[187:188], v[187:188], v[127:128]
	v_add_f64 v[49:50], v[49:50], -v[125:126]
	v_fma_f64 v[187:188], v[189:190], v[185:186], v[187:188]
	v_add_f64 v[51:52], v[51:52], -v[187:188]
	ds_read2_b64 v[187:190], v253 offset0:68 offset1:69
	s_waitcnt lgkmcnt(0)
	v_mul_f64 v[125:126], v[189:190], v[127:128]
	v_fma_f64 v[125:126], v[187:188], v[185:186], -v[125:126]
	v_mul_f64 v[187:188], v[187:188], v[127:128]
	v_add_f64 v[45:46], v[45:46], -v[125:126]
	v_fma_f64 v[187:188], v[189:190], v[185:186], v[187:188]
	v_add_f64 v[47:48], v[47:48], -v[187:188]
	ds_read2_b64 v[187:190], v253 offset0:70 offset1:71
	s_waitcnt lgkmcnt(0)
	v_mul_f64 v[125:126], v[189:190], v[127:128]
	v_fma_f64 v[125:126], v[187:188], v[185:186], -v[125:126]
	v_mul_f64 v[187:188], v[187:188], v[127:128]
	v_add_f64 v[41:42], v[41:42], -v[125:126]
	v_fma_f64 v[187:188], v[189:190], v[185:186], v[187:188]
	v_add_f64 v[43:44], v[43:44], -v[187:188]
	ds_read2_b64 v[187:190], v253 offset0:72 offset1:73
	s_waitcnt lgkmcnt(0)
	v_mul_f64 v[125:126], v[189:190], v[127:128]
	v_fma_f64 v[125:126], v[187:188], v[185:186], -v[125:126]
	v_mul_f64 v[187:188], v[187:188], v[127:128]
	v_add_f64 v[37:38], v[37:38], -v[125:126]
	v_fma_f64 v[187:188], v[189:190], v[185:186], v[187:188]
	v_add_f64 v[39:40], v[39:40], -v[187:188]
	ds_read2_b64 v[187:190], v253 offset0:74 offset1:75
	s_waitcnt lgkmcnt(0)
	v_mul_f64 v[125:126], v[189:190], v[127:128]
	v_fma_f64 v[125:126], v[187:188], v[185:186], -v[125:126]
	v_mul_f64 v[187:188], v[187:188], v[127:128]
	v_add_f64 v[33:34], v[33:34], -v[125:126]
	v_fma_f64 v[187:188], v[189:190], v[185:186], v[187:188]
	v_add_f64 v[35:36], v[35:36], -v[187:188]
	ds_read2_b64 v[187:190], v253 offset0:76 offset1:77
	s_waitcnt lgkmcnt(0)
	v_mul_f64 v[125:126], v[189:190], v[127:128]
	v_fma_f64 v[125:126], v[187:188], v[185:186], -v[125:126]
	v_mul_f64 v[187:188], v[187:188], v[127:128]
	v_add_f64 v[29:30], v[29:30], -v[125:126]
	v_fma_f64 v[187:188], v[189:190], v[185:186], v[187:188]
	v_add_f64 v[31:32], v[31:32], -v[187:188]
	ds_read2_b64 v[187:190], v253 offset0:78 offset1:79
	s_waitcnt lgkmcnt(0)
	v_mul_f64 v[125:126], v[189:190], v[127:128]
	v_fma_f64 v[125:126], v[187:188], v[185:186], -v[125:126]
	v_mul_f64 v[187:188], v[187:188], v[127:128]
	v_add_f64 v[25:26], v[25:26], -v[125:126]
	v_fma_f64 v[187:188], v[189:190], v[185:186], v[187:188]
	v_add_f64 v[27:28], v[27:28], -v[187:188]
	ds_read2_b64 v[187:190], v253 offset0:80 offset1:81
	s_waitcnt lgkmcnt(0)
	v_mul_f64 v[125:126], v[189:190], v[127:128]
	v_fma_f64 v[125:126], v[187:188], v[185:186], -v[125:126]
	v_mul_f64 v[187:188], v[187:188], v[127:128]
	v_add_f64 v[21:22], v[21:22], -v[125:126]
	v_fma_f64 v[187:188], v[189:190], v[185:186], v[187:188]
	v_add_f64 v[23:24], v[23:24], -v[187:188]
	ds_read2_b64 v[187:190], v253 offset0:82 offset1:83
	s_waitcnt lgkmcnt(0)
	v_mul_f64 v[125:126], v[189:190], v[127:128]
	v_fma_f64 v[125:126], v[187:188], v[185:186], -v[125:126]
	v_mul_f64 v[187:188], v[187:188], v[127:128]
	v_add_f64 v[17:18], v[17:18], -v[125:126]
	v_fma_f64 v[187:188], v[189:190], v[185:186], v[187:188]
	v_add_f64 v[19:20], v[19:20], -v[187:188]
	ds_read2_b64 v[187:190], v253 offset0:84 offset1:85
	s_waitcnt lgkmcnt(0)
	v_mul_f64 v[125:126], v[189:190], v[127:128]
	v_fma_f64 v[125:126], v[187:188], v[185:186], -v[125:126]
	v_mul_f64 v[187:188], v[187:188], v[127:128]
	v_add_f64 v[13:14], v[13:14], -v[125:126]
	v_fma_f64 v[187:188], v[189:190], v[185:186], v[187:188]
	v_add_f64 v[15:16], v[15:16], -v[187:188]
	ds_read2_b64 v[187:190], v253 offset0:86 offset1:87
	s_waitcnt lgkmcnt(0)
	v_mul_f64 v[125:126], v[189:190], v[127:128]
	v_fma_f64 v[125:126], v[187:188], v[185:186], -v[125:126]
	v_mul_f64 v[187:188], v[187:188], v[127:128]
	v_add_f64 v[9:10], v[9:10], -v[125:126]
	v_fma_f64 v[187:188], v[189:190], v[185:186], v[187:188]
	v_add_f64 v[11:12], v[11:12], -v[187:188]
	ds_read2_b64 v[187:190], v253 offset0:88 offset1:89
	s_waitcnt lgkmcnt(0)
	v_mul_f64 v[125:126], v[189:190], v[127:128]
	v_fma_f64 v[125:126], v[187:188], v[185:186], -v[125:126]
	v_mul_f64 v[187:188], v[187:188], v[127:128]
	v_add_f64 v[5:6], v[5:6], -v[125:126]
	v_fma_f64 v[187:188], v[189:190], v[185:186], v[187:188]
	v_add_f64 v[7:8], v[7:8], -v[187:188]
	ds_read2_b64 v[187:190], v253 offset0:90 offset1:91
	s_waitcnt lgkmcnt(0)
	v_mul_f64 v[125:126], v[189:190], v[127:128]
	v_fma_f64 v[125:126], v[187:188], v[185:186], -v[125:126]
	v_mul_f64 v[187:188], v[187:188], v[127:128]
	v_add_f64 v[1:2], v[1:2], -v[125:126]
	v_fma_f64 v[187:188], v[189:190], v[185:186], v[187:188]
	v_mov_b32_e32 v125, v185
	v_mov_b32_e32 v126, v186
	v_add_f64 v[3:4], v[3:4], -v[187:188]
.LBB91_136:
	s_or_b32 exec_lo, exec_lo, s1
	s_mov_b32 s2, exec_lo
	s_waitcnt_vscnt null, 0x0
	s_barrier
	buffer_gl0_inv
	v_cmpx_eq_u32_e32 15, v0
	s_cbranch_execz .LBB91_143
; %bb.137:
	ds_write2_b64 v255, v[121:122], v[123:124] offset1:1
	ds_write2_b64 v253, v[117:118], v[119:120] offset0:32 offset1:33
	ds_write2_b64 v253, v[113:114], v[115:116] offset0:34 offset1:35
	ds_write2_b64 v253, v[109:110], v[111:112] offset0:36 offset1:37
	ds_write2_b64 v253, v[105:106], v[107:108] offset0:38 offset1:39
	ds_write2_b64 v253, v[101:102], v[103:104] offset0:40 offset1:41
	ds_write2_b64 v253, v[97:98], v[99:100] offset0:42 offset1:43
	ds_write2_b64 v253, v[93:94], v[95:96] offset0:44 offset1:45
	ds_write2_b64 v253, v[89:90], v[91:92] offset0:46 offset1:47
	ds_write2_b64 v253, v[85:86], v[87:88] offset0:48 offset1:49
	ds_write2_b64 v253, v[81:82], v[83:84] offset0:50 offset1:51
	ds_write2_b64 v253, v[77:78], v[79:80] offset0:52 offset1:53
	ds_write2_b64 v253, v[73:74], v[75:76] offset0:54 offset1:55
	ds_write2_b64 v253, v[69:70], v[71:72] offset0:56 offset1:57
	ds_write2_b64 v253, v[65:66], v[67:68] offset0:58 offset1:59
	ds_write2_b64 v253, v[61:62], v[63:64] offset0:60 offset1:61
	ds_write2_b64 v253, v[57:58], v[59:60] offset0:62 offset1:63
	ds_write2_b64 v253, v[53:54], v[55:56] offset0:64 offset1:65
	ds_write2_b64 v253, v[49:50], v[51:52] offset0:66 offset1:67
	ds_write2_b64 v253, v[45:46], v[47:48] offset0:68 offset1:69
	ds_write2_b64 v253, v[41:42], v[43:44] offset0:70 offset1:71
	ds_write2_b64 v253, v[37:38], v[39:40] offset0:72 offset1:73
	ds_write2_b64 v253, v[33:34], v[35:36] offset0:74 offset1:75
	ds_write2_b64 v253, v[29:30], v[31:32] offset0:76 offset1:77
	ds_write2_b64 v253, v[25:26], v[27:28] offset0:78 offset1:79
	ds_write2_b64 v253, v[21:22], v[23:24] offset0:80 offset1:81
	ds_write2_b64 v253, v[17:18], v[19:20] offset0:82 offset1:83
	ds_write2_b64 v253, v[13:14], v[15:16] offset0:84 offset1:85
	ds_write2_b64 v253, v[9:10], v[11:12] offset0:86 offset1:87
	ds_write2_b64 v253, v[5:6], v[7:8] offset0:88 offset1:89
	ds_write2_b64 v253, v[1:2], v[3:4] offset0:90 offset1:91
	ds_read2_b64 v[185:188], v255 offset1:1
	s_waitcnt lgkmcnt(0)
	v_cmp_neq_f64_e32 vcc_lo, 0, v[185:186]
	v_cmp_neq_f64_e64 s1, 0, v[187:188]
	s_or_b32 s1, vcc_lo, s1
	s_and_b32 exec_lo, exec_lo, s1
	s_cbranch_execz .LBB91_143
; %bb.138:
	v_cmp_ngt_f64_e64 s1, |v[185:186]|, |v[187:188]|
                                        ; implicit-def: $vgpr189_vgpr190
	s_and_saveexec_b32 s3, s1
	s_xor_b32 s1, exec_lo, s3
                                        ; implicit-def: $vgpr191_vgpr192
	s_cbranch_execz .LBB91_140
; %bb.139:
	v_div_scale_f64 v[189:190], null, v[187:188], v[187:188], v[185:186]
	v_div_scale_f64 v[195:196], vcc_lo, v[185:186], v[187:188], v[185:186]
	v_rcp_f64_e32 v[191:192], v[189:190]
	v_fma_f64 v[193:194], -v[189:190], v[191:192], 1.0
	v_fma_f64 v[191:192], v[191:192], v[193:194], v[191:192]
	v_fma_f64 v[193:194], -v[189:190], v[191:192], 1.0
	v_fma_f64 v[191:192], v[191:192], v[193:194], v[191:192]
	v_mul_f64 v[193:194], v[195:196], v[191:192]
	v_fma_f64 v[189:190], -v[189:190], v[193:194], v[195:196]
	v_div_fmas_f64 v[189:190], v[189:190], v[191:192], v[193:194]
	v_div_fixup_f64 v[189:190], v[189:190], v[187:188], v[185:186]
	v_fma_f64 v[185:186], v[185:186], v[189:190], v[187:188]
	v_div_scale_f64 v[187:188], null, v[185:186], v[185:186], 1.0
	v_rcp_f64_e32 v[191:192], v[187:188]
	v_fma_f64 v[193:194], -v[187:188], v[191:192], 1.0
	v_fma_f64 v[191:192], v[191:192], v[193:194], v[191:192]
	v_fma_f64 v[193:194], -v[187:188], v[191:192], 1.0
	v_fma_f64 v[191:192], v[191:192], v[193:194], v[191:192]
	v_div_scale_f64 v[193:194], vcc_lo, 1.0, v[185:186], 1.0
	v_mul_f64 v[195:196], v[193:194], v[191:192]
	v_fma_f64 v[187:188], -v[187:188], v[195:196], v[193:194]
	v_div_fmas_f64 v[187:188], v[187:188], v[191:192], v[195:196]
	v_div_fixup_f64 v[191:192], v[187:188], v[185:186], 1.0
                                        ; implicit-def: $vgpr185_vgpr186
	v_mul_f64 v[189:190], v[189:190], v[191:192]
	v_xor_b32_e32 v192, 0x80000000, v192
.LBB91_140:
	s_andn2_saveexec_b32 s1, s1
	s_cbranch_execz .LBB91_142
; %bb.141:
	v_div_scale_f64 v[189:190], null, v[185:186], v[185:186], v[187:188]
	v_div_scale_f64 v[195:196], vcc_lo, v[187:188], v[185:186], v[187:188]
	v_rcp_f64_e32 v[191:192], v[189:190]
	v_fma_f64 v[193:194], -v[189:190], v[191:192], 1.0
	v_fma_f64 v[191:192], v[191:192], v[193:194], v[191:192]
	v_fma_f64 v[193:194], -v[189:190], v[191:192], 1.0
	v_fma_f64 v[191:192], v[191:192], v[193:194], v[191:192]
	v_mul_f64 v[193:194], v[195:196], v[191:192]
	v_fma_f64 v[189:190], -v[189:190], v[193:194], v[195:196]
	v_div_fmas_f64 v[189:190], v[189:190], v[191:192], v[193:194]
	v_div_fixup_f64 v[191:192], v[189:190], v[185:186], v[187:188]
	v_fma_f64 v[185:186], v[187:188], v[191:192], v[185:186]
	v_div_scale_f64 v[187:188], null, v[185:186], v[185:186], 1.0
	v_rcp_f64_e32 v[189:190], v[187:188]
	v_fma_f64 v[193:194], -v[187:188], v[189:190], 1.0
	v_fma_f64 v[189:190], v[189:190], v[193:194], v[189:190]
	v_fma_f64 v[193:194], -v[187:188], v[189:190], 1.0
	v_fma_f64 v[189:190], v[189:190], v[193:194], v[189:190]
	v_div_scale_f64 v[193:194], vcc_lo, 1.0, v[185:186], 1.0
	v_mul_f64 v[195:196], v[193:194], v[189:190]
	v_fma_f64 v[187:188], -v[187:188], v[195:196], v[193:194]
	v_div_fmas_f64 v[187:188], v[187:188], v[189:190], v[195:196]
	v_div_fixup_f64 v[189:190], v[187:188], v[185:186], 1.0
	v_mul_f64 v[191:192], v[191:192], -v[189:190]
.LBB91_142:
	s_or_b32 exec_lo, exec_lo, s1
	ds_write2_b64 v255, v[189:190], v[191:192] offset1:1
.LBB91_143:
	s_or_b32 exec_lo, exec_lo, s2
	s_waitcnt lgkmcnt(0)
	s_barrier
	buffer_gl0_inv
	ds_read2_b64 v[185:188], v255 offset1:1
	s_mov_b32 s1, exec_lo
	s_waitcnt lgkmcnt(0)
	buffer_store_dword v185, off, s[16:19], 0 offset:536 ; 4-byte Folded Spill
	buffer_store_dword v186, off, s[16:19], 0 offset:540 ; 4-byte Folded Spill
	;; [unrolled: 1-line block ×4, first 2 shown]
	v_cmpx_lt_u32_e32 15, v0
	s_cbranch_execz .LBB91_145
; %bb.144:
	s_clause 0x3
	buffer_load_dword v187, off, s[16:19], 0 offset:536
	buffer_load_dword v188, off, s[16:19], 0 offset:540
	;; [unrolled: 1-line block ×4, first 2 shown]
	s_waitcnt vmcnt(0)
	v_mul_f64 v[185:186], v[189:190], v[123:124]
	v_mul_f64 v[123:124], v[187:188], v[123:124]
	v_fma_f64 v[185:186], v[187:188], v[121:122], -v[185:186]
	v_fma_f64 v[123:124], v[189:190], v[121:122], v[123:124]
	ds_read2_b64 v[187:190], v253 offset0:32 offset1:33
	s_waitcnt lgkmcnt(0)
	v_mul_f64 v[121:122], v[189:190], v[123:124]
	v_fma_f64 v[121:122], v[187:188], v[185:186], -v[121:122]
	v_mul_f64 v[187:188], v[187:188], v[123:124]
	v_add_f64 v[117:118], v[117:118], -v[121:122]
	v_fma_f64 v[187:188], v[189:190], v[185:186], v[187:188]
	v_add_f64 v[119:120], v[119:120], -v[187:188]
	ds_read2_b64 v[187:190], v253 offset0:34 offset1:35
	s_waitcnt lgkmcnt(0)
	v_mul_f64 v[121:122], v[189:190], v[123:124]
	v_fma_f64 v[121:122], v[187:188], v[185:186], -v[121:122]
	v_mul_f64 v[187:188], v[187:188], v[123:124]
	v_add_f64 v[113:114], v[113:114], -v[121:122]
	v_fma_f64 v[187:188], v[189:190], v[185:186], v[187:188]
	v_add_f64 v[115:116], v[115:116], -v[187:188]
	;; [unrolled: 8-line block ×29, first 2 shown]
	ds_read2_b64 v[187:190], v253 offset0:90 offset1:91
	s_waitcnt lgkmcnt(0)
	v_mul_f64 v[121:122], v[189:190], v[123:124]
	v_fma_f64 v[121:122], v[187:188], v[185:186], -v[121:122]
	v_mul_f64 v[187:188], v[187:188], v[123:124]
	v_add_f64 v[1:2], v[1:2], -v[121:122]
	v_fma_f64 v[187:188], v[189:190], v[185:186], v[187:188]
	v_mov_b32_e32 v121, v185
	v_mov_b32_e32 v122, v186
	v_add_f64 v[3:4], v[3:4], -v[187:188]
.LBB91_145:
	s_or_b32 exec_lo, exec_lo, s1
	s_mov_b32 s2, exec_lo
	s_waitcnt_vscnt null, 0x0
	s_barrier
	buffer_gl0_inv
	v_cmpx_eq_u32_e32 16, v0
	s_cbranch_execz .LBB91_152
; %bb.146:
	ds_write2_b64 v255, v[117:118], v[119:120] offset1:1
	ds_write2_b64 v253, v[113:114], v[115:116] offset0:34 offset1:35
	ds_write2_b64 v253, v[109:110], v[111:112] offset0:36 offset1:37
	;; [unrolled: 1-line block ×29, first 2 shown]
	ds_read2_b64 v[185:188], v255 offset1:1
	s_waitcnt lgkmcnt(0)
	v_cmp_neq_f64_e32 vcc_lo, 0, v[185:186]
	v_cmp_neq_f64_e64 s1, 0, v[187:188]
	s_or_b32 s1, vcc_lo, s1
	s_and_b32 exec_lo, exec_lo, s1
	s_cbranch_execz .LBB91_152
; %bb.147:
	v_cmp_ngt_f64_e64 s1, |v[185:186]|, |v[187:188]|
                                        ; implicit-def: $vgpr189_vgpr190
	s_and_saveexec_b32 s3, s1
	s_xor_b32 s1, exec_lo, s3
                                        ; implicit-def: $vgpr191_vgpr192
	s_cbranch_execz .LBB91_149
; %bb.148:
	v_div_scale_f64 v[189:190], null, v[187:188], v[187:188], v[185:186]
	v_div_scale_f64 v[195:196], vcc_lo, v[185:186], v[187:188], v[185:186]
	v_rcp_f64_e32 v[191:192], v[189:190]
	v_fma_f64 v[193:194], -v[189:190], v[191:192], 1.0
	v_fma_f64 v[191:192], v[191:192], v[193:194], v[191:192]
	v_fma_f64 v[193:194], -v[189:190], v[191:192], 1.0
	v_fma_f64 v[191:192], v[191:192], v[193:194], v[191:192]
	v_mul_f64 v[193:194], v[195:196], v[191:192]
	v_fma_f64 v[189:190], -v[189:190], v[193:194], v[195:196]
	v_div_fmas_f64 v[189:190], v[189:190], v[191:192], v[193:194]
	v_div_fixup_f64 v[189:190], v[189:190], v[187:188], v[185:186]
	v_fma_f64 v[185:186], v[185:186], v[189:190], v[187:188]
	v_div_scale_f64 v[187:188], null, v[185:186], v[185:186], 1.0
	v_rcp_f64_e32 v[191:192], v[187:188]
	v_fma_f64 v[193:194], -v[187:188], v[191:192], 1.0
	v_fma_f64 v[191:192], v[191:192], v[193:194], v[191:192]
	v_fma_f64 v[193:194], -v[187:188], v[191:192], 1.0
	v_fma_f64 v[191:192], v[191:192], v[193:194], v[191:192]
	v_div_scale_f64 v[193:194], vcc_lo, 1.0, v[185:186], 1.0
	v_mul_f64 v[195:196], v[193:194], v[191:192]
	v_fma_f64 v[187:188], -v[187:188], v[195:196], v[193:194]
	v_div_fmas_f64 v[187:188], v[187:188], v[191:192], v[195:196]
	v_div_fixup_f64 v[191:192], v[187:188], v[185:186], 1.0
                                        ; implicit-def: $vgpr185_vgpr186
	v_mul_f64 v[189:190], v[189:190], v[191:192]
	v_xor_b32_e32 v192, 0x80000000, v192
.LBB91_149:
	s_andn2_saveexec_b32 s1, s1
	s_cbranch_execz .LBB91_151
; %bb.150:
	v_div_scale_f64 v[189:190], null, v[185:186], v[185:186], v[187:188]
	v_div_scale_f64 v[195:196], vcc_lo, v[187:188], v[185:186], v[187:188]
	v_rcp_f64_e32 v[191:192], v[189:190]
	v_fma_f64 v[193:194], -v[189:190], v[191:192], 1.0
	v_fma_f64 v[191:192], v[191:192], v[193:194], v[191:192]
	v_fma_f64 v[193:194], -v[189:190], v[191:192], 1.0
	v_fma_f64 v[191:192], v[191:192], v[193:194], v[191:192]
	v_mul_f64 v[193:194], v[195:196], v[191:192]
	v_fma_f64 v[189:190], -v[189:190], v[193:194], v[195:196]
	v_div_fmas_f64 v[189:190], v[189:190], v[191:192], v[193:194]
	v_div_fixup_f64 v[191:192], v[189:190], v[185:186], v[187:188]
	v_fma_f64 v[185:186], v[187:188], v[191:192], v[185:186]
	v_div_scale_f64 v[187:188], null, v[185:186], v[185:186], 1.0
	v_rcp_f64_e32 v[189:190], v[187:188]
	v_fma_f64 v[193:194], -v[187:188], v[189:190], 1.0
	v_fma_f64 v[189:190], v[189:190], v[193:194], v[189:190]
	v_fma_f64 v[193:194], -v[187:188], v[189:190], 1.0
	v_fma_f64 v[189:190], v[189:190], v[193:194], v[189:190]
	v_div_scale_f64 v[193:194], vcc_lo, 1.0, v[185:186], 1.0
	v_mul_f64 v[195:196], v[193:194], v[189:190]
	v_fma_f64 v[187:188], -v[187:188], v[195:196], v[193:194]
	v_div_fmas_f64 v[187:188], v[187:188], v[189:190], v[195:196]
	v_div_fixup_f64 v[189:190], v[187:188], v[185:186], 1.0
	v_mul_f64 v[191:192], v[191:192], -v[189:190]
.LBB91_151:
	s_or_b32 exec_lo, exec_lo, s1
	ds_write2_b64 v255, v[189:190], v[191:192] offset1:1
.LBB91_152:
	s_or_b32 exec_lo, exec_lo, s2
	s_waitcnt lgkmcnt(0)
	s_barrier
	buffer_gl0_inv
	ds_read2_b64 v[185:188], v255 offset1:1
	s_mov_b32 s1, exec_lo
	s_waitcnt lgkmcnt(0)
	buffer_store_dword v185, off, s[16:19], 0 offset:552 ; 4-byte Folded Spill
	buffer_store_dword v186, off, s[16:19], 0 offset:556 ; 4-byte Folded Spill
	;; [unrolled: 1-line block ×4, first 2 shown]
	v_cmpx_lt_u32_e32 16, v0
	s_cbranch_execz .LBB91_154
; %bb.153:
	s_clause 0x3
	buffer_load_dword v187, off, s[16:19], 0 offset:552
	buffer_load_dword v188, off, s[16:19], 0 offset:556
	;; [unrolled: 1-line block ×4, first 2 shown]
	s_waitcnt vmcnt(0)
	v_mul_f64 v[185:186], v[189:190], v[119:120]
	v_mul_f64 v[119:120], v[187:188], v[119:120]
	v_fma_f64 v[185:186], v[187:188], v[117:118], -v[185:186]
	v_fma_f64 v[119:120], v[189:190], v[117:118], v[119:120]
	ds_read2_b64 v[187:190], v253 offset0:34 offset1:35
	s_waitcnt lgkmcnt(0)
	v_mul_f64 v[117:118], v[189:190], v[119:120]
	v_fma_f64 v[117:118], v[187:188], v[185:186], -v[117:118]
	v_mul_f64 v[187:188], v[187:188], v[119:120]
	v_add_f64 v[113:114], v[113:114], -v[117:118]
	v_fma_f64 v[187:188], v[189:190], v[185:186], v[187:188]
	v_add_f64 v[115:116], v[115:116], -v[187:188]
	ds_read2_b64 v[187:190], v253 offset0:36 offset1:37
	s_waitcnt lgkmcnt(0)
	v_mul_f64 v[117:118], v[189:190], v[119:120]
	v_fma_f64 v[117:118], v[187:188], v[185:186], -v[117:118]
	v_mul_f64 v[187:188], v[187:188], v[119:120]
	v_add_f64 v[109:110], v[109:110], -v[117:118]
	v_fma_f64 v[187:188], v[189:190], v[185:186], v[187:188]
	v_add_f64 v[111:112], v[111:112], -v[187:188]
	;; [unrolled: 8-line block ×28, first 2 shown]
	ds_read2_b64 v[187:190], v253 offset0:90 offset1:91
	s_waitcnt lgkmcnt(0)
	v_mul_f64 v[117:118], v[189:190], v[119:120]
	v_fma_f64 v[117:118], v[187:188], v[185:186], -v[117:118]
	v_mul_f64 v[187:188], v[187:188], v[119:120]
	v_add_f64 v[1:2], v[1:2], -v[117:118]
	v_fma_f64 v[187:188], v[189:190], v[185:186], v[187:188]
	v_mov_b32_e32 v117, v185
	v_mov_b32_e32 v118, v186
	v_add_f64 v[3:4], v[3:4], -v[187:188]
.LBB91_154:
	s_or_b32 exec_lo, exec_lo, s1
	s_mov_b32 s2, exec_lo
	s_waitcnt_vscnt null, 0x0
	s_barrier
	buffer_gl0_inv
	v_cmpx_eq_u32_e32 17, v0
	s_cbranch_execz .LBB91_161
; %bb.155:
	ds_write2_b64 v255, v[113:114], v[115:116] offset1:1
	ds_write2_b64 v253, v[109:110], v[111:112] offset0:36 offset1:37
	ds_write2_b64 v253, v[105:106], v[107:108] offset0:38 offset1:39
	;; [unrolled: 1-line block ×28, first 2 shown]
	ds_read2_b64 v[185:188], v255 offset1:1
	s_waitcnt lgkmcnt(0)
	v_cmp_neq_f64_e32 vcc_lo, 0, v[185:186]
	v_cmp_neq_f64_e64 s1, 0, v[187:188]
	s_or_b32 s1, vcc_lo, s1
	s_and_b32 exec_lo, exec_lo, s1
	s_cbranch_execz .LBB91_161
; %bb.156:
	v_cmp_ngt_f64_e64 s1, |v[185:186]|, |v[187:188]|
                                        ; implicit-def: $vgpr189_vgpr190
	s_and_saveexec_b32 s3, s1
	s_xor_b32 s1, exec_lo, s3
                                        ; implicit-def: $vgpr191_vgpr192
	s_cbranch_execz .LBB91_158
; %bb.157:
	v_div_scale_f64 v[189:190], null, v[187:188], v[187:188], v[185:186]
	v_div_scale_f64 v[195:196], vcc_lo, v[185:186], v[187:188], v[185:186]
	v_rcp_f64_e32 v[191:192], v[189:190]
	v_fma_f64 v[193:194], -v[189:190], v[191:192], 1.0
	v_fma_f64 v[191:192], v[191:192], v[193:194], v[191:192]
	v_fma_f64 v[193:194], -v[189:190], v[191:192], 1.0
	v_fma_f64 v[191:192], v[191:192], v[193:194], v[191:192]
	v_mul_f64 v[193:194], v[195:196], v[191:192]
	v_fma_f64 v[189:190], -v[189:190], v[193:194], v[195:196]
	v_div_fmas_f64 v[189:190], v[189:190], v[191:192], v[193:194]
	v_div_fixup_f64 v[189:190], v[189:190], v[187:188], v[185:186]
	v_fma_f64 v[185:186], v[185:186], v[189:190], v[187:188]
	v_div_scale_f64 v[187:188], null, v[185:186], v[185:186], 1.0
	v_rcp_f64_e32 v[191:192], v[187:188]
	v_fma_f64 v[193:194], -v[187:188], v[191:192], 1.0
	v_fma_f64 v[191:192], v[191:192], v[193:194], v[191:192]
	v_fma_f64 v[193:194], -v[187:188], v[191:192], 1.0
	v_fma_f64 v[191:192], v[191:192], v[193:194], v[191:192]
	v_div_scale_f64 v[193:194], vcc_lo, 1.0, v[185:186], 1.0
	v_mul_f64 v[195:196], v[193:194], v[191:192]
	v_fma_f64 v[187:188], -v[187:188], v[195:196], v[193:194]
	v_div_fmas_f64 v[187:188], v[187:188], v[191:192], v[195:196]
	v_div_fixup_f64 v[191:192], v[187:188], v[185:186], 1.0
                                        ; implicit-def: $vgpr185_vgpr186
	v_mul_f64 v[189:190], v[189:190], v[191:192]
	v_xor_b32_e32 v192, 0x80000000, v192
.LBB91_158:
	s_andn2_saveexec_b32 s1, s1
	s_cbranch_execz .LBB91_160
; %bb.159:
	v_div_scale_f64 v[189:190], null, v[185:186], v[185:186], v[187:188]
	v_div_scale_f64 v[195:196], vcc_lo, v[187:188], v[185:186], v[187:188]
	v_rcp_f64_e32 v[191:192], v[189:190]
	v_fma_f64 v[193:194], -v[189:190], v[191:192], 1.0
	v_fma_f64 v[191:192], v[191:192], v[193:194], v[191:192]
	v_fma_f64 v[193:194], -v[189:190], v[191:192], 1.0
	v_fma_f64 v[191:192], v[191:192], v[193:194], v[191:192]
	v_mul_f64 v[193:194], v[195:196], v[191:192]
	v_fma_f64 v[189:190], -v[189:190], v[193:194], v[195:196]
	v_div_fmas_f64 v[189:190], v[189:190], v[191:192], v[193:194]
	v_div_fixup_f64 v[191:192], v[189:190], v[185:186], v[187:188]
	v_fma_f64 v[185:186], v[187:188], v[191:192], v[185:186]
	v_div_scale_f64 v[187:188], null, v[185:186], v[185:186], 1.0
	v_rcp_f64_e32 v[189:190], v[187:188]
	v_fma_f64 v[193:194], -v[187:188], v[189:190], 1.0
	v_fma_f64 v[189:190], v[189:190], v[193:194], v[189:190]
	v_fma_f64 v[193:194], -v[187:188], v[189:190], 1.0
	v_fma_f64 v[189:190], v[189:190], v[193:194], v[189:190]
	v_div_scale_f64 v[193:194], vcc_lo, 1.0, v[185:186], 1.0
	v_mul_f64 v[195:196], v[193:194], v[189:190]
	v_fma_f64 v[187:188], -v[187:188], v[195:196], v[193:194]
	v_div_fmas_f64 v[187:188], v[187:188], v[189:190], v[195:196]
	v_div_fixup_f64 v[189:190], v[187:188], v[185:186], 1.0
	v_mul_f64 v[191:192], v[191:192], -v[189:190]
.LBB91_160:
	s_or_b32 exec_lo, exec_lo, s1
	ds_write2_b64 v255, v[189:190], v[191:192] offset1:1
.LBB91_161:
	s_or_b32 exec_lo, exec_lo, s2
	s_waitcnt lgkmcnt(0)
	s_barrier
	buffer_gl0_inv
	ds_read2_b64 v[185:188], v255 offset1:1
	s_mov_b32 s1, exec_lo
	s_waitcnt lgkmcnt(0)
	buffer_store_dword v185, off, s[16:19], 0 offset:568 ; 4-byte Folded Spill
	buffer_store_dword v186, off, s[16:19], 0 offset:572 ; 4-byte Folded Spill
	;; [unrolled: 1-line block ×4, first 2 shown]
	v_cmpx_lt_u32_e32 17, v0
	s_cbranch_execz .LBB91_163
; %bb.162:
	s_clause 0x3
	buffer_load_dword v187, off, s[16:19], 0 offset:568
	buffer_load_dword v188, off, s[16:19], 0 offset:572
	;; [unrolled: 1-line block ×4, first 2 shown]
	s_waitcnt vmcnt(0)
	v_mul_f64 v[185:186], v[189:190], v[115:116]
	v_mul_f64 v[115:116], v[187:188], v[115:116]
	v_fma_f64 v[185:186], v[187:188], v[113:114], -v[185:186]
	v_fma_f64 v[115:116], v[189:190], v[113:114], v[115:116]
	ds_read2_b64 v[187:190], v253 offset0:36 offset1:37
	s_waitcnt lgkmcnt(0)
	v_mul_f64 v[113:114], v[189:190], v[115:116]
	v_fma_f64 v[113:114], v[187:188], v[185:186], -v[113:114]
	v_mul_f64 v[187:188], v[187:188], v[115:116]
	v_add_f64 v[109:110], v[109:110], -v[113:114]
	v_fma_f64 v[187:188], v[189:190], v[185:186], v[187:188]
	v_add_f64 v[111:112], v[111:112], -v[187:188]
	ds_read2_b64 v[187:190], v253 offset0:38 offset1:39
	s_waitcnt lgkmcnt(0)
	v_mul_f64 v[113:114], v[189:190], v[115:116]
	v_fma_f64 v[113:114], v[187:188], v[185:186], -v[113:114]
	v_mul_f64 v[187:188], v[187:188], v[115:116]
	v_add_f64 v[105:106], v[105:106], -v[113:114]
	v_fma_f64 v[187:188], v[189:190], v[185:186], v[187:188]
	v_add_f64 v[107:108], v[107:108], -v[187:188]
	;; [unrolled: 8-line block ×27, first 2 shown]
	ds_read2_b64 v[187:190], v253 offset0:90 offset1:91
	s_waitcnt lgkmcnt(0)
	v_mul_f64 v[113:114], v[189:190], v[115:116]
	v_fma_f64 v[113:114], v[187:188], v[185:186], -v[113:114]
	v_mul_f64 v[187:188], v[187:188], v[115:116]
	v_add_f64 v[1:2], v[1:2], -v[113:114]
	v_fma_f64 v[187:188], v[189:190], v[185:186], v[187:188]
	v_mov_b32_e32 v113, v185
	v_mov_b32_e32 v114, v186
	v_add_f64 v[3:4], v[3:4], -v[187:188]
.LBB91_163:
	s_or_b32 exec_lo, exec_lo, s1
	s_mov_b32 s2, exec_lo
	s_waitcnt_vscnt null, 0x0
	s_barrier
	buffer_gl0_inv
	v_cmpx_eq_u32_e32 18, v0
	s_cbranch_execz .LBB91_170
; %bb.164:
	ds_write2_b64 v255, v[109:110], v[111:112] offset1:1
	ds_write2_b64 v253, v[105:106], v[107:108] offset0:38 offset1:39
	ds_write2_b64 v253, v[101:102], v[103:104] offset0:40 offset1:41
	;; [unrolled: 1-line block ×27, first 2 shown]
	ds_read2_b64 v[185:188], v255 offset1:1
	s_waitcnt lgkmcnt(0)
	v_cmp_neq_f64_e32 vcc_lo, 0, v[185:186]
	v_cmp_neq_f64_e64 s1, 0, v[187:188]
	s_or_b32 s1, vcc_lo, s1
	s_and_b32 exec_lo, exec_lo, s1
	s_cbranch_execz .LBB91_170
; %bb.165:
	v_cmp_ngt_f64_e64 s1, |v[185:186]|, |v[187:188]|
                                        ; implicit-def: $vgpr189_vgpr190
	s_and_saveexec_b32 s3, s1
	s_xor_b32 s1, exec_lo, s3
                                        ; implicit-def: $vgpr191_vgpr192
	s_cbranch_execz .LBB91_167
; %bb.166:
	v_div_scale_f64 v[189:190], null, v[187:188], v[187:188], v[185:186]
	v_div_scale_f64 v[195:196], vcc_lo, v[185:186], v[187:188], v[185:186]
	v_rcp_f64_e32 v[191:192], v[189:190]
	v_fma_f64 v[193:194], -v[189:190], v[191:192], 1.0
	v_fma_f64 v[191:192], v[191:192], v[193:194], v[191:192]
	v_fma_f64 v[193:194], -v[189:190], v[191:192], 1.0
	v_fma_f64 v[191:192], v[191:192], v[193:194], v[191:192]
	v_mul_f64 v[193:194], v[195:196], v[191:192]
	v_fma_f64 v[189:190], -v[189:190], v[193:194], v[195:196]
	v_div_fmas_f64 v[189:190], v[189:190], v[191:192], v[193:194]
	v_div_fixup_f64 v[189:190], v[189:190], v[187:188], v[185:186]
	v_fma_f64 v[185:186], v[185:186], v[189:190], v[187:188]
	v_div_scale_f64 v[187:188], null, v[185:186], v[185:186], 1.0
	v_rcp_f64_e32 v[191:192], v[187:188]
	v_fma_f64 v[193:194], -v[187:188], v[191:192], 1.0
	v_fma_f64 v[191:192], v[191:192], v[193:194], v[191:192]
	v_fma_f64 v[193:194], -v[187:188], v[191:192], 1.0
	v_fma_f64 v[191:192], v[191:192], v[193:194], v[191:192]
	v_div_scale_f64 v[193:194], vcc_lo, 1.0, v[185:186], 1.0
	v_mul_f64 v[195:196], v[193:194], v[191:192]
	v_fma_f64 v[187:188], -v[187:188], v[195:196], v[193:194]
	v_div_fmas_f64 v[187:188], v[187:188], v[191:192], v[195:196]
	v_div_fixup_f64 v[191:192], v[187:188], v[185:186], 1.0
                                        ; implicit-def: $vgpr185_vgpr186
	v_mul_f64 v[189:190], v[189:190], v[191:192]
	v_xor_b32_e32 v192, 0x80000000, v192
.LBB91_167:
	s_andn2_saveexec_b32 s1, s1
	s_cbranch_execz .LBB91_169
; %bb.168:
	v_div_scale_f64 v[189:190], null, v[185:186], v[185:186], v[187:188]
	v_div_scale_f64 v[195:196], vcc_lo, v[187:188], v[185:186], v[187:188]
	v_rcp_f64_e32 v[191:192], v[189:190]
	v_fma_f64 v[193:194], -v[189:190], v[191:192], 1.0
	v_fma_f64 v[191:192], v[191:192], v[193:194], v[191:192]
	v_fma_f64 v[193:194], -v[189:190], v[191:192], 1.0
	v_fma_f64 v[191:192], v[191:192], v[193:194], v[191:192]
	v_mul_f64 v[193:194], v[195:196], v[191:192]
	v_fma_f64 v[189:190], -v[189:190], v[193:194], v[195:196]
	v_div_fmas_f64 v[189:190], v[189:190], v[191:192], v[193:194]
	v_div_fixup_f64 v[191:192], v[189:190], v[185:186], v[187:188]
	v_fma_f64 v[185:186], v[187:188], v[191:192], v[185:186]
	v_div_scale_f64 v[187:188], null, v[185:186], v[185:186], 1.0
	v_rcp_f64_e32 v[189:190], v[187:188]
	v_fma_f64 v[193:194], -v[187:188], v[189:190], 1.0
	v_fma_f64 v[189:190], v[189:190], v[193:194], v[189:190]
	v_fma_f64 v[193:194], -v[187:188], v[189:190], 1.0
	v_fma_f64 v[189:190], v[189:190], v[193:194], v[189:190]
	v_div_scale_f64 v[193:194], vcc_lo, 1.0, v[185:186], 1.0
	v_mul_f64 v[195:196], v[193:194], v[189:190]
	v_fma_f64 v[187:188], -v[187:188], v[195:196], v[193:194]
	v_div_fmas_f64 v[187:188], v[187:188], v[189:190], v[195:196]
	v_div_fixup_f64 v[189:190], v[187:188], v[185:186], 1.0
	v_mul_f64 v[191:192], v[191:192], -v[189:190]
.LBB91_169:
	s_or_b32 exec_lo, exec_lo, s1
	ds_write2_b64 v255, v[189:190], v[191:192] offset1:1
.LBB91_170:
	s_or_b32 exec_lo, exec_lo, s2
	s_waitcnt lgkmcnt(0)
	s_barrier
	buffer_gl0_inv
	ds_read2_b64 v[185:188], v255 offset1:1
	s_mov_b32 s1, exec_lo
	s_waitcnt lgkmcnt(0)
	buffer_store_dword v185, off, s[16:19], 0 offset:584 ; 4-byte Folded Spill
	buffer_store_dword v186, off, s[16:19], 0 offset:588 ; 4-byte Folded Spill
	;; [unrolled: 1-line block ×4, first 2 shown]
	v_cmpx_lt_u32_e32 18, v0
	s_cbranch_execz .LBB91_172
; %bb.171:
	s_clause 0x3
	buffer_load_dword v187, off, s[16:19], 0 offset:584
	buffer_load_dword v188, off, s[16:19], 0 offset:588
	;; [unrolled: 1-line block ×4, first 2 shown]
	s_waitcnt vmcnt(0)
	v_mul_f64 v[185:186], v[189:190], v[111:112]
	v_mul_f64 v[111:112], v[187:188], v[111:112]
	v_fma_f64 v[185:186], v[187:188], v[109:110], -v[185:186]
	v_fma_f64 v[111:112], v[189:190], v[109:110], v[111:112]
	ds_read2_b64 v[187:190], v253 offset0:38 offset1:39
	s_waitcnt lgkmcnt(0)
	v_mul_f64 v[109:110], v[189:190], v[111:112]
	v_fma_f64 v[109:110], v[187:188], v[185:186], -v[109:110]
	v_mul_f64 v[187:188], v[187:188], v[111:112]
	v_add_f64 v[105:106], v[105:106], -v[109:110]
	v_fma_f64 v[187:188], v[189:190], v[185:186], v[187:188]
	v_add_f64 v[107:108], v[107:108], -v[187:188]
	ds_read2_b64 v[187:190], v253 offset0:40 offset1:41
	s_waitcnt lgkmcnt(0)
	v_mul_f64 v[109:110], v[189:190], v[111:112]
	v_fma_f64 v[109:110], v[187:188], v[185:186], -v[109:110]
	v_mul_f64 v[187:188], v[187:188], v[111:112]
	v_add_f64 v[101:102], v[101:102], -v[109:110]
	v_fma_f64 v[187:188], v[189:190], v[185:186], v[187:188]
	v_add_f64 v[103:104], v[103:104], -v[187:188]
	;; [unrolled: 8-line block ×26, first 2 shown]
	ds_read2_b64 v[187:190], v253 offset0:90 offset1:91
	s_waitcnt lgkmcnt(0)
	v_mul_f64 v[109:110], v[189:190], v[111:112]
	v_fma_f64 v[109:110], v[187:188], v[185:186], -v[109:110]
	v_mul_f64 v[187:188], v[187:188], v[111:112]
	v_add_f64 v[1:2], v[1:2], -v[109:110]
	v_fma_f64 v[187:188], v[189:190], v[185:186], v[187:188]
	v_mov_b32_e32 v109, v185
	v_mov_b32_e32 v110, v186
	v_add_f64 v[3:4], v[3:4], -v[187:188]
.LBB91_172:
	s_or_b32 exec_lo, exec_lo, s1
	s_mov_b32 s2, exec_lo
	s_waitcnt_vscnt null, 0x0
	s_barrier
	buffer_gl0_inv
	v_cmpx_eq_u32_e32 19, v0
	s_cbranch_execz .LBB91_179
; %bb.173:
	ds_write2_b64 v255, v[105:106], v[107:108] offset1:1
	ds_write2_b64 v253, v[101:102], v[103:104] offset0:40 offset1:41
	ds_write2_b64 v253, v[97:98], v[99:100] offset0:42 offset1:43
	ds_write2_b64 v253, v[93:94], v[95:96] offset0:44 offset1:45
	ds_write2_b64 v253, v[89:90], v[91:92] offset0:46 offset1:47
	ds_write2_b64 v253, v[85:86], v[87:88] offset0:48 offset1:49
	ds_write2_b64 v253, v[81:82], v[83:84] offset0:50 offset1:51
	ds_write2_b64 v253, v[77:78], v[79:80] offset0:52 offset1:53
	ds_write2_b64 v253, v[73:74], v[75:76] offset0:54 offset1:55
	ds_write2_b64 v253, v[69:70], v[71:72] offset0:56 offset1:57
	ds_write2_b64 v253, v[65:66], v[67:68] offset0:58 offset1:59
	ds_write2_b64 v253, v[61:62], v[63:64] offset0:60 offset1:61
	ds_write2_b64 v253, v[57:58], v[59:60] offset0:62 offset1:63
	ds_write2_b64 v253, v[53:54], v[55:56] offset0:64 offset1:65
	ds_write2_b64 v253, v[49:50], v[51:52] offset0:66 offset1:67
	ds_write2_b64 v253, v[45:46], v[47:48] offset0:68 offset1:69
	ds_write2_b64 v253, v[41:42], v[43:44] offset0:70 offset1:71
	ds_write2_b64 v253, v[37:38], v[39:40] offset0:72 offset1:73
	ds_write2_b64 v253, v[33:34], v[35:36] offset0:74 offset1:75
	ds_write2_b64 v253, v[29:30], v[31:32] offset0:76 offset1:77
	ds_write2_b64 v253, v[25:26], v[27:28] offset0:78 offset1:79
	ds_write2_b64 v253, v[21:22], v[23:24] offset0:80 offset1:81
	ds_write2_b64 v253, v[17:18], v[19:20] offset0:82 offset1:83
	ds_write2_b64 v253, v[13:14], v[15:16] offset0:84 offset1:85
	ds_write2_b64 v253, v[9:10], v[11:12] offset0:86 offset1:87
	ds_write2_b64 v253, v[5:6], v[7:8] offset0:88 offset1:89
	ds_write2_b64 v253, v[1:2], v[3:4] offset0:90 offset1:91
	ds_read2_b64 v[185:188], v255 offset1:1
	s_waitcnt lgkmcnt(0)
	v_cmp_neq_f64_e32 vcc_lo, 0, v[185:186]
	v_cmp_neq_f64_e64 s1, 0, v[187:188]
	s_or_b32 s1, vcc_lo, s1
	s_and_b32 exec_lo, exec_lo, s1
	s_cbranch_execz .LBB91_179
; %bb.174:
	v_cmp_ngt_f64_e64 s1, |v[185:186]|, |v[187:188]|
                                        ; implicit-def: $vgpr189_vgpr190
	s_and_saveexec_b32 s3, s1
	s_xor_b32 s1, exec_lo, s3
                                        ; implicit-def: $vgpr191_vgpr192
	s_cbranch_execz .LBB91_176
; %bb.175:
	v_div_scale_f64 v[189:190], null, v[187:188], v[187:188], v[185:186]
	v_div_scale_f64 v[195:196], vcc_lo, v[185:186], v[187:188], v[185:186]
	v_rcp_f64_e32 v[191:192], v[189:190]
	v_fma_f64 v[193:194], -v[189:190], v[191:192], 1.0
	v_fma_f64 v[191:192], v[191:192], v[193:194], v[191:192]
	v_fma_f64 v[193:194], -v[189:190], v[191:192], 1.0
	v_fma_f64 v[191:192], v[191:192], v[193:194], v[191:192]
	v_mul_f64 v[193:194], v[195:196], v[191:192]
	v_fma_f64 v[189:190], -v[189:190], v[193:194], v[195:196]
	v_div_fmas_f64 v[189:190], v[189:190], v[191:192], v[193:194]
	v_div_fixup_f64 v[189:190], v[189:190], v[187:188], v[185:186]
	v_fma_f64 v[185:186], v[185:186], v[189:190], v[187:188]
	v_div_scale_f64 v[187:188], null, v[185:186], v[185:186], 1.0
	v_rcp_f64_e32 v[191:192], v[187:188]
	v_fma_f64 v[193:194], -v[187:188], v[191:192], 1.0
	v_fma_f64 v[191:192], v[191:192], v[193:194], v[191:192]
	v_fma_f64 v[193:194], -v[187:188], v[191:192], 1.0
	v_fma_f64 v[191:192], v[191:192], v[193:194], v[191:192]
	v_div_scale_f64 v[193:194], vcc_lo, 1.0, v[185:186], 1.0
	v_mul_f64 v[195:196], v[193:194], v[191:192]
	v_fma_f64 v[187:188], -v[187:188], v[195:196], v[193:194]
	v_div_fmas_f64 v[187:188], v[187:188], v[191:192], v[195:196]
	v_div_fixup_f64 v[191:192], v[187:188], v[185:186], 1.0
                                        ; implicit-def: $vgpr185_vgpr186
	v_mul_f64 v[189:190], v[189:190], v[191:192]
	v_xor_b32_e32 v192, 0x80000000, v192
.LBB91_176:
	s_andn2_saveexec_b32 s1, s1
	s_cbranch_execz .LBB91_178
; %bb.177:
	v_div_scale_f64 v[189:190], null, v[185:186], v[185:186], v[187:188]
	v_div_scale_f64 v[195:196], vcc_lo, v[187:188], v[185:186], v[187:188]
	v_rcp_f64_e32 v[191:192], v[189:190]
	v_fma_f64 v[193:194], -v[189:190], v[191:192], 1.0
	v_fma_f64 v[191:192], v[191:192], v[193:194], v[191:192]
	v_fma_f64 v[193:194], -v[189:190], v[191:192], 1.0
	v_fma_f64 v[191:192], v[191:192], v[193:194], v[191:192]
	v_mul_f64 v[193:194], v[195:196], v[191:192]
	v_fma_f64 v[189:190], -v[189:190], v[193:194], v[195:196]
	v_div_fmas_f64 v[189:190], v[189:190], v[191:192], v[193:194]
	v_div_fixup_f64 v[191:192], v[189:190], v[185:186], v[187:188]
	v_fma_f64 v[185:186], v[187:188], v[191:192], v[185:186]
	v_div_scale_f64 v[187:188], null, v[185:186], v[185:186], 1.0
	v_rcp_f64_e32 v[189:190], v[187:188]
	v_fma_f64 v[193:194], -v[187:188], v[189:190], 1.0
	v_fma_f64 v[189:190], v[189:190], v[193:194], v[189:190]
	v_fma_f64 v[193:194], -v[187:188], v[189:190], 1.0
	v_fma_f64 v[189:190], v[189:190], v[193:194], v[189:190]
	v_div_scale_f64 v[193:194], vcc_lo, 1.0, v[185:186], 1.0
	v_mul_f64 v[195:196], v[193:194], v[189:190]
	v_fma_f64 v[187:188], -v[187:188], v[195:196], v[193:194]
	v_div_fmas_f64 v[187:188], v[187:188], v[189:190], v[195:196]
	v_div_fixup_f64 v[189:190], v[187:188], v[185:186], 1.0
	v_mul_f64 v[191:192], v[191:192], -v[189:190]
.LBB91_178:
	s_or_b32 exec_lo, exec_lo, s1
	ds_write2_b64 v255, v[189:190], v[191:192] offset1:1
.LBB91_179:
	s_or_b32 exec_lo, exec_lo, s2
	s_waitcnt lgkmcnt(0)
	s_barrier
	buffer_gl0_inv
	ds_read2_b64 v[185:188], v255 offset1:1
	s_mov_b32 s1, exec_lo
	s_waitcnt lgkmcnt(0)
	buffer_store_dword v185, off, s[16:19], 0 offset:600 ; 4-byte Folded Spill
	buffer_store_dword v186, off, s[16:19], 0 offset:604 ; 4-byte Folded Spill
	;; [unrolled: 1-line block ×4, first 2 shown]
	v_cmpx_lt_u32_e32 19, v0
	s_cbranch_execz .LBB91_181
; %bb.180:
	s_clause 0x3
	buffer_load_dword v187, off, s[16:19], 0 offset:600
	buffer_load_dword v188, off, s[16:19], 0 offset:604
	;; [unrolled: 1-line block ×4, first 2 shown]
	s_waitcnt vmcnt(0)
	v_mul_f64 v[185:186], v[189:190], v[107:108]
	v_mul_f64 v[107:108], v[187:188], v[107:108]
	v_fma_f64 v[185:186], v[187:188], v[105:106], -v[185:186]
	v_fma_f64 v[107:108], v[189:190], v[105:106], v[107:108]
	ds_read2_b64 v[187:190], v253 offset0:40 offset1:41
	s_waitcnt lgkmcnt(0)
	v_mul_f64 v[105:106], v[189:190], v[107:108]
	v_fma_f64 v[105:106], v[187:188], v[185:186], -v[105:106]
	v_mul_f64 v[187:188], v[187:188], v[107:108]
	v_add_f64 v[101:102], v[101:102], -v[105:106]
	v_fma_f64 v[187:188], v[189:190], v[185:186], v[187:188]
	v_add_f64 v[103:104], v[103:104], -v[187:188]
	ds_read2_b64 v[187:190], v253 offset0:42 offset1:43
	s_waitcnt lgkmcnt(0)
	v_mul_f64 v[105:106], v[189:190], v[107:108]
	v_fma_f64 v[105:106], v[187:188], v[185:186], -v[105:106]
	v_mul_f64 v[187:188], v[187:188], v[107:108]
	v_add_f64 v[97:98], v[97:98], -v[105:106]
	v_fma_f64 v[187:188], v[189:190], v[185:186], v[187:188]
	v_add_f64 v[99:100], v[99:100], -v[187:188]
	;; [unrolled: 8-line block ×25, first 2 shown]
	ds_read2_b64 v[187:190], v253 offset0:90 offset1:91
	s_waitcnt lgkmcnt(0)
	v_mul_f64 v[105:106], v[189:190], v[107:108]
	v_fma_f64 v[105:106], v[187:188], v[185:186], -v[105:106]
	v_mul_f64 v[187:188], v[187:188], v[107:108]
	v_add_f64 v[1:2], v[1:2], -v[105:106]
	v_fma_f64 v[187:188], v[189:190], v[185:186], v[187:188]
	v_mov_b32_e32 v105, v185
	v_mov_b32_e32 v106, v186
	v_add_f64 v[3:4], v[3:4], -v[187:188]
.LBB91_181:
	s_or_b32 exec_lo, exec_lo, s1
	s_mov_b32 s2, exec_lo
	s_waitcnt_vscnt null, 0x0
	s_barrier
	buffer_gl0_inv
	v_cmpx_eq_u32_e32 20, v0
	s_cbranch_execz .LBB91_188
; %bb.182:
	ds_write2_b64 v255, v[101:102], v[103:104] offset1:1
	ds_write2_b64 v253, v[97:98], v[99:100] offset0:42 offset1:43
	ds_write2_b64 v253, v[93:94], v[95:96] offset0:44 offset1:45
	ds_write2_b64 v253, v[89:90], v[91:92] offset0:46 offset1:47
	ds_write2_b64 v253, v[85:86], v[87:88] offset0:48 offset1:49
	ds_write2_b64 v253, v[81:82], v[83:84] offset0:50 offset1:51
	ds_write2_b64 v253, v[77:78], v[79:80] offset0:52 offset1:53
	ds_write2_b64 v253, v[73:74], v[75:76] offset0:54 offset1:55
	ds_write2_b64 v253, v[69:70], v[71:72] offset0:56 offset1:57
	ds_write2_b64 v253, v[65:66], v[67:68] offset0:58 offset1:59
	ds_write2_b64 v253, v[61:62], v[63:64] offset0:60 offset1:61
	ds_write2_b64 v253, v[57:58], v[59:60] offset0:62 offset1:63
	ds_write2_b64 v253, v[53:54], v[55:56] offset0:64 offset1:65
	ds_write2_b64 v253, v[49:50], v[51:52] offset0:66 offset1:67
	ds_write2_b64 v253, v[45:46], v[47:48] offset0:68 offset1:69
	ds_write2_b64 v253, v[41:42], v[43:44] offset0:70 offset1:71
	ds_write2_b64 v253, v[37:38], v[39:40] offset0:72 offset1:73
	ds_write2_b64 v253, v[33:34], v[35:36] offset0:74 offset1:75
	ds_write2_b64 v253, v[29:30], v[31:32] offset0:76 offset1:77
	ds_write2_b64 v253, v[25:26], v[27:28] offset0:78 offset1:79
	ds_write2_b64 v253, v[21:22], v[23:24] offset0:80 offset1:81
	ds_write2_b64 v253, v[17:18], v[19:20] offset0:82 offset1:83
	ds_write2_b64 v253, v[13:14], v[15:16] offset0:84 offset1:85
	ds_write2_b64 v253, v[9:10], v[11:12] offset0:86 offset1:87
	ds_write2_b64 v253, v[5:6], v[7:8] offset0:88 offset1:89
	ds_write2_b64 v253, v[1:2], v[3:4] offset0:90 offset1:91
	ds_read2_b64 v[185:188], v255 offset1:1
	s_waitcnt lgkmcnt(0)
	v_cmp_neq_f64_e32 vcc_lo, 0, v[185:186]
	v_cmp_neq_f64_e64 s1, 0, v[187:188]
	s_or_b32 s1, vcc_lo, s1
	s_and_b32 exec_lo, exec_lo, s1
	s_cbranch_execz .LBB91_188
; %bb.183:
	v_cmp_ngt_f64_e64 s1, |v[185:186]|, |v[187:188]|
                                        ; implicit-def: $vgpr189_vgpr190
	s_and_saveexec_b32 s3, s1
	s_xor_b32 s1, exec_lo, s3
                                        ; implicit-def: $vgpr191_vgpr192
	s_cbranch_execz .LBB91_185
; %bb.184:
	v_div_scale_f64 v[189:190], null, v[187:188], v[187:188], v[185:186]
	v_div_scale_f64 v[195:196], vcc_lo, v[185:186], v[187:188], v[185:186]
	v_rcp_f64_e32 v[191:192], v[189:190]
	v_fma_f64 v[193:194], -v[189:190], v[191:192], 1.0
	v_fma_f64 v[191:192], v[191:192], v[193:194], v[191:192]
	v_fma_f64 v[193:194], -v[189:190], v[191:192], 1.0
	v_fma_f64 v[191:192], v[191:192], v[193:194], v[191:192]
	v_mul_f64 v[193:194], v[195:196], v[191:192]
	v_fma_f64 v[189:190], -v[189:190], v[193:194], v[195:196]
	v_div_fmas_f64 v[189:190], v[189:190], v[191:192], v[193:194]
	v_div_fixup_f64 v[189:190], v[189:190], v[187:188], v[185:186]
	v_fma_f64 v[185:186], v[185:186], v[189:190], v[187:188]
	v_div_scale_f64 v[187:188], null, v[185:186], v[185:186], 1.0
	v_rcp_f64_e32 v[191:192], v[187:188]
	v_fma_f64 v[193:194], -v[187:188], v[191:192], 1.0
	v_fma_f64 v[191:192], v[191:192], v[193:194], v[191:192]
	v_fma_f64 v[193:194], -v[187:188], v[191:192], 1.0
	v_fma_f64 v[191:192], v[191:192], v[193:194], v[191:192]
	v_div_scale_f64 v[193:194], vcc_lo, 1.0, v[185:186], 1.0
	v_mul_f64 v[195:196], v[193:194], v[191:192]
	v_fma_f64 v[187:188], -v[187:188], v[195:196], v[193:194]
	v_div_fmas_f64 v[187:188], v[187:188], v[191:192], v[195:196]
	v_div_fixup_f64 v[191:192], v[187:188], v[185:186], 1.0
                                        ; implicit-def: $vgpr185_vgpr186
	v_mul_f64 v[189:190], v[189:190], v[191:192]
	v_xor_b32_e32 v192, 0x80000000, v192
.LBB91_185:
	s_andn2_saveexec_b32 s1, s1
	s_cbranch_execz .LBB91_187
; %bb.186:
	v_div_scale_f64 v[189:190], null, v[185:186], v[185:186], v[187:188]
	v_div_scale_f64 v[195:196], vcc_lo, v[187:188], v[185:186], v[187:188]
	v_rcp_f64_e32 v[191:192], v[189:190]
	v_fma_f64 v[193:194], -v[189:190], v[191:192], 1.0
	v_fma_f64 v[191:192], v[191:192], v[193:194], v[191:192]
	v_fma_f64 v[193:194], -v[189:190], v[191:192], 1.0
	v_fma_f64 v[191:192], v[191:192], v[193:194], v[191:192]
	v_mul_f64 v[193:194], v[195:196], v[191:192]
	v_fma_f64 v[189:190], -v[189:190], v[193:194], v[195:196]
	v_div_fmas_f64 v[189:190], v[189:190], v[191:192], v[193:194]
	v_div_fixup_f64 v[191:192], v[189:190], v[185:186], v[187:188]
	v_fma_f64 v[185:186], v[187:188], v[191:192], v[185:186]
	v_div_scale_f64 v[187:188], null, v[185:186], v[185:186], 1.0
	v_rcp_f64_e32 v[189:190], v[187:188]
	v_fma_f64 v[193:194], -v[187:188], v[189:190], 1.0
	v_fma_f64 v[189:190], v[189:190], v[193:194], v[189:190]
	v_fma_f64 v[193:194], -v[187:188], v[189:190], 1.0
	v_fma_f64 v[189:190], v[189:190], v[193:194], v[189:190]
	v_div_scale_f64 v[193:194], vcc_lo, 1.0, v[185:186], 1.0
	v_mul_f64 v[195:196], v[193:194], v[189:190]
	v_fma_f64 v[187:188], -v[187:188], v[195:196], v[193:194]
	v_div_fmas_f64 v[187:188], v[187:188], v[189:190], v[195:196]
	v_div_fixup_f64 v[189:190], v[187:188], v[185:186], 1.0
	v_mul_f64 v[191:192], v[191:192], -v[189:190]
.LBB91_187:
	s_or_b32 exec_lo, exec_lo, s1
	ds_write2_b64 v255, v[189:190], v[191:192] offset1:1
.LBB91_188:
	s_or_b32 exec_lo, exec_lo, s2
	s_waitcnt lgkmcnt(0)
	s_barrier
	buffer_gl0_inv
	ds_read2_b64 v[185:188], v255 offset1:1
	s_mov_b32 s1, exec_lo
	s_waitcnt lgkmcnt(0)
	buffer_store_dword v185, off, s[16:19], 0 offset:616 ; 4-byte Folded Spill
	buffer_store_dword v186, off, s[16:19], 0 offset:620 ; 4-byte Folded Spill
	;; [unrolled: 1-line block ×4, first 2 shown]
	v_cmpx_lt_u32_e32 20, v0
	s_cbranch_execz .LBB91_190
; %bb.189:
	s_clause 0x3
	buffer_load_dword v187, off, s[16:19], 0 offset:616
	buffer_load_dword v188, off, s[16:19], 0 offset:620
	;; [unrolled: 1-line block ×4, first 2 shown]
	s_waitcnt vmcnt(0)
	v_mul_f64 v[185:186], v[189:190], v[103:104]
	v_mul_f64 v[103:104], v[187:188], v[103:104]
	v_fma_f64 v[185:186], v[187:188], v[101:102], -v[185:186]
	v_fma_f64 v[103:104], v[189:190], v[101:102], v[103:104]
	ds_read2_b64 v[187:190], v253 offset0:42 offset1:43
	s_waitcnt lgkmcnt(0)
	v_mul_f64 v[101:102], v[189:190], v[103:104]
	v_fma_f64 v[101:102], v[187:188], v[185:186], -v[101:102]
	v_mul_f64 v[187:188], v[187:188], v[103:104]
	v_add_f64 v[97:98], v[97:98], -v[101:102]
	v_fma_f64 v[187:188], v[189:190], v[185:186], v[187:188]
	v_add_f64 v[99:100], v[99:100], -v[187:188]
	ds_read2_b64 v[187:190], v253 offset0:44 offset1:45
	s_waitcnt lgkmcnt(0)
	v_mul_f64 v[101:102], v[189:190], v[103:104]
	v_fma_f64 v[101:102], v[187:188], v[185:186], -v[101:102]
	v_mul_f64 v[187:188], v[187:188], v[103:104]
	v_add_f64 v[93:94], v[93:94], -v[101:102]
	v_fma_f64 v[187:188], v[189:190], v[185:186], v[187:188]
	v_add_f64 v[95:96], v[95:96], -v[187:188]
	;; [unrolled: 8-line block ×24, first 2 shown]
	ds_read2_b64 v[187:190], v253 offset0:90 offset1:91
	s_waitcnt lgkmcnt(0)
	v_mul_f64 v[101:102], v[189:190], v[103:104]
	v_fma_f64 v[101:102], v[187:188], v[185:186], -v[101:102]
	v_mul_f64 v[187:188], v[187:188], v[103:104]
	v_add_f64 v[1:2], v[1:2], -v[101:102]
	v_fma_f64 v[187:188], v[189:190], v[185:186], v[187:188]
	v_mov_b32_e32 v101, v185
	v_mov_b32_e32 v102, v186
	v_add_f64 v[3:4], v[3:4], -v[187:188]
.LBB91_190:
	s_or_b32 exec_lo, exec_lo, s1
	s_mov_b32 s2, exec_lo
	s_waitcnt_vscnt null, 0x0
	s_barrier
	buffer_gl0_inv
	v_cmpx_eq_u32_e32 21, v0
	s_cbranch_execz .LBB91_197
; %bb.191:
	ds_write2_b64 v255, v[97:98], v[99:100] offset1:1
	ds_write2_b64 v253, v[93:94], v[95:96] offset0:44 offset1:45
	ds_write2_b64 v253, v[89:90], v[91:92] offset0:46 offset1:47
	;; [unrolled: 1-line block ×24, first 2 shown]
	ds_read2_b64 v[185:188], v255 offset1:1
	s_waitcnt lgkmcnt(0)
	v_cmp_neq_f64_e32 vcc_lo, 0, v[185:186]
	v_cmp_neq_f64_e64 s1, 0, v[187:188]
	s_or_b32 s1, vcc_lo, s1
	s_and_b32 exec_lo, exec_lo, s1
	s_cbranch_execz .LBB91_197
; %bb.192:
	v_cmp_ngt_f64_e64 s1, |v[185:186]|, |v[187:188]|
                                        ; implicit-def: $vgpr189_vgpr190
	s_and_saveexec_b32 s3, s1
	s_xor_b32 s1, exec_lo, s3
                                        ; implicit-def: $vgpr191_vgpr192
	s_cbranch_execz .LBB91_194
; %bb.193:
	v_div_scale_f64 v[189:190], null, v[187:188], v[187:188], v[185:186]
	v_div_scale_f64 v[195:196], vcc_lo, v[185:186], v[187:188], v[185:186]
	v_rcp_f64_e32 v[191:192], v[189:190]
	v_fma_f64 v[193:194], -v[189:190], v[191:192], 1.0
	v_fma_f64 v[191:192], v[191:192], v[193:194], v[191:192]
	v_fma_f64 v[193:194], -v[189:190], v[191:192], 1.0
	v_fma_f64 v[191:192], v[191:192], v[193:194], v[191:192]
	v_mul_f64 v[193:194], v[195:196], v[191:192]
	v_fma_f64 v[189:190], -v[189:190], v[193:194], v[195:196]
	v_div_fmas_f64 v[189:190], v[189:190], v[191:192], v[193:194]
	v_div_fixup_f64 v[189:190], v[189:190], v[187:188], v[185:186]
	v_fma_f64 v[185:186], v[185:186], v[189:190], v[187:188]
	v_div_scale_f64 v[187:188], null, v[185:186], v[185:186], 1.0
	v_rcp_f64_e32 v[191:192], v[187:188]
	v_fma_f64 v[193:194], -v[187:188], v[191:192], 1.0
	v_fma_f64 v[191:192], v[191:192], v[193:194], v[191:192]
	v_fma_f64 v[193:194], -v[187:188], v[191:192], 1.0
	v_fma_f64 v[191:192], v[191:192], v[193:194], v[191:192]
	v_div_scale_f64 v[193:194], vcc_lo, 1.0, v[185:186], 1.0
	v_mul_f64 v[195:196], v[193:194], v[191:192]
	v_fma_f64 v[187:188], -v[187:188], v[195:196], v[193:194]
	v_div_fmas_f64 v[187:188], v[187:188], v[191:192], v[195:196]
	v_div_fixup_f64 v[191:192], v[187:188], v[185:186], 1.0
                                        ; implicit-def: $vgpr185_vgpr186
	v_mul_f64 v[189:190], v[189:190], v[191:192]
	v_xor_b32_e32 v192, 0x80000000, v192
.LBB91_194:
	s_andn2_saveexec_b32 s1, s1
	s_cbranch_execz .LBB91_196
; %bb.195:
	v_div_scale_f64 v[189:190], null, v[185:186], v[185:186], v[187:188]
	v_div_scale_f64 v[195:196], vcc_lo, v[187:188], v[185:186], v[187:188]
	v_rcp_f64_e32 v[191:192], v[189:190]
	v_fma_f64 v[193:194], -v[189:190], v[191:192], 1.0
	v_fma_f64 v[191:192], v[191:192], v[193:194], v[191:192]
	v_fma_f64 v[193:194], -v[189:190], v[191:192], 1.0
	v_fma_f64 v[191:192], v[191:192], v[193:194], v[191:192]
	v_mul_f64 v[193:194], v[195:196], v[191:192]
	v_fma_f64 v[189:190], -v[189:190], v[193:194], v[195:196]
	v_div_fmas_f64 v[189:190], v[189:190], v[191:192], v[193:194]
	v_div_fixup_f64 v[191:192], v[189:190], v[185:186], v[187:188]
	v_fma_f64 v[185:186], v[187:188], v[191:192], v[185:186]
	v_div_scale_f64 v[187:188], null, v[185:186], v[185:186], 1.0
	v_rcp_f64_e32 v[189:190], v[187:188]
	v_fma_f64 v[193:194], -v[187:188], v[189:190], 1.0
	v_fma_f64 v[189:190], v[189:190], v[193:194], v[189:190]
	v_fma_f64 v[193:194], -v[187:188], v[189:190], 1.0
	v_fma_f64 v[189:190], v[189:190], v[193:194], v[189:190]
	v_div_scale_f64 v[193:194], vcc_lo, 1.0, v[185:186], 1.0
	v_mul_f64 v[195:196], v[193:194], v[189:190]
	v_fma_f64 v[187:188], -v[187:188], v[195:196], v[193:194]
	v_div_fmas_f64 v[187:188], v[187:188], v[189:190], v[195:196]
	v_div_fixup_f64 v[189:190], v[187:188], v[185:186], 1.0
	v_mul_f64 v[191:192], v[191:192], -v[189:190]
.LBB91_196:
	s_or_b32 exec_lo, exec_lo, s1
	ds_write2_b64 v255, v[189:190], v[191:192] offset1:1
.LBB91_197:
	s_or_b32 exec_lo, exec_lo, s2
	s_waitcnt lgkmcnt(0)
	s_barrier
	buffer_gl0_inv
	ds_read2_b64 v[185:188], v255 offset1:1
	s_mov_b32 s1, exec_lo
	s_waitcnt lgkmcnt(0)
	buffer_store_dword v185, off, s[16:19], 0 offset:632 ; 4-byte Folded Spill
	buffer_store_dword v186, off, s[16:19], 0 offset:636 ; 4-byte Folded Spill
	;; [unrolled: 1-line block ×4, first 2 shown]
	v_cmpx_lt_u32_e32 21, v0
	s_cbranch_execz .LBB91_199
; %bb.198:
	s_clause 0x3
	buffer_load_dword v187, off, s[16:19], 0 offset:632
	buffer_load_dword v188, off, s[16:19], 0 offset:636
	buffer_load_dword v189, off, s[16:19], 0 offset:640
	buffer_load_dword v190, off, s[16:19], 0 offset:644
	s_waitcnt vmcnt(0)
	v_mul_f64 v[185:186], v[189:190], v[99:100]
	v_mul_f64 v[99:100], v[187:188], v[99:100]
	v_fma_f64 v[185:186], v[187:188], v[97:98], -v[185:186]
	v_fma_f64 v[99:100], v[189:190], v[97:98], v[99:100]
	ds_read2_b64 v[187:190], v253 offset0:44 offset1:45
	s_waitcnt lgkmcnt(0)
	v_mul_f64 v[97:98], v[189:190], v[99:100]
	v_fma_f64 v[97:98], v[187:188], v[185:186], -v[97:98]
	v_mul_f64 v[187:188], v[187:188], v[99:100]
	v_add_f64 v[93:94], v[93:94], -v[97:98]
	v_fma_f64 v[187:188], v[189:190], v[185:186], v[187:188]
	v_add_f64 v[95:96], v[95:96], -v[187:188]
	ds_read2_b64 v[187:190], v253 offset0:46 offset1:47
	s_waitcnt lgkmcnt(0)
	v_mul_f64 v[97:98], v[189:190], v[99:100]
	v_fma_f64 v[97:98], v[187:188], v[185:186], -v[97:98]
	v_mul_f64 v[187:188], v[187:188], v[99:100]
	v_add_f64 v[89:90], v[89:90], -v[97:98]
	v_fma_f64 v[187:188], v[189:190], v[185:186], v[187:188]
	v_add_f64 v[91:92], v[91:92], -v[187:188]
	ds_read2_b64 v[187:190], v253 offset0:48 offset1:49
	s_waitcnt lgkmcnt(0)
	v_mul_f64 v[97:98], v[189:190], v[99:100]
	v_fma_f64 v[97:98], v[187:188], v[185:186], -v[97:98]
	v_mul_f64 v[187:188], v[187:188], v[99:100]
	v_add_f64 v[85:86], v[85:86], -v[97:98]
	v_fma_f64 v[187:188], v[189:190], v[185:186], v[187:188]
	v_add_f64 v[87:88], v[87:88], -v[187:188]
	ds_read2_b64 v[187:190], v253 offset0:50 offset1:51
	s_waitcnt lgkmcnt(0)
	v_mul_f64 v[97:98], v[189:190], v[99:100]
	v_fma_f64 v[97:98], v[187:188], v[185:186], -v[97:98]
	v_mul_f64 v[187:188], v[187:188], v[99:100]
	v_add_f64 v[81:82], v[81:82], -v[97:98]
	v_fma_f64 v[187:188], v[189:190], v[185:186], v[187:188]
	v_add_f64 v[83:84], v[83:84], -v[187:188]
	ds_read2_b64 v[187:190], v253 offset0:52 offset1:53
	s_waitcnt lgkmcnt(0)
	v_mul_f64 v[97:98], v[189:190], v[99:100]
	v_fma_f64 v[97:98], v[187:188], v[185:186], -v[97:98]
	v_mul_f64 v[187:188], v[187:188], v[99:100]
	v_add_f64 v[77:78], v[77:78], -v[97:98]
	v_fma_f64 v[187:188], v[189:190], v[185:186], v[187:188]
	v_add_f64 v[79:80], v[79:80], -v[187:188]
	ds_read2_b64 v[187:190], v253 offset0:54 offset1:55
	s_waitcnt lgkmcnt(0)
	v_mul_f64 v[97:98], v[189:190], v[99:100]
	v_fma_f64 v[97:98], v[187:188], v[185:186], -v[97:98]
	v_mul_f64 v[187:188], v[187:188], v[99:100]
	v_add_f64 v[73:74], v[73:74], -v[97:98]
	v_fma_f64 v[187:188], v[189:190], v[185:186], v[187:188]
	v_add_f64 v[75:76], v[75:76], -v[187:188]
	ds_read2_b64 v[187:190], v253 offset0:56 offset1:57
	s_waitcnt lgkmcnt(0)
	v_mul_f64 v[97:98], v[189:190], v[99:100]
	v_fma_f64 v[97:98], v[187:188], v[185:186], -v[97:98]
	v_mul_f64 v[187:188], v[187:188], v[99:100]
	v_add_f64 v[69:70], v[69:70], -v[97:98]
	v_fma_f64 v[187:188], v[189:190], v[185:186], v[187:188]
	v_add_f64 v[71:72], v[71:72], -v[187:188]
	ds_read2_b64 v[187:190], v253 offset0:58 offset1:59
	s_waitcnt lgkmcnt(0)
	v_mul_f64 v[97:98], v[189:190], v[99:100]
	v_fma_f64 v[97:98], v[187:188], v[185:186], -v[97:98]
	v_mul_f64 v[187:188], v[187:188], v[99:100]
	v_add_f64 v[65:66], v[65:66], -v[97:98]
	v_fma_f64 v[187:188], v[189:190], v[185:186], v[187:188]
	v_add_f64 v[67:68], v[67:68], -v[187:188]
	ds_read2_b64 v[187:190], v253 offset0:60 offset1:61
	s_waitcnt lgkmcnt(0)
	v_mul_f64 v[97:98], v[189:190], v[99:100]
	v_fma_f64 v[97:98], v[187:188], v[185:186], -v[97:98]
	v_mul_f64 v[187:188], v[187:188], v[99:100]
	v_add_f64 v[61:62], v[61:62], -v[97:98]
	v_fma_f64 v[187:188], v[189:190], v[185:186], v[187:188]
	v_add_f64 v[63:64], v[63:64], -v[187:188]
	ds_read2_b64 v[187:190], v253 offset0:62 offset1:63
	s_waitcnt lgkmcnt(0)
	v_mul_f64 v[97:98], v[189:190], v[99:100]
	v_fma_f64 v[97:98], v[187:188], v[185:186], -v[97:98]
	v_mul_f64 v[187:188], v[187:188], v[99:100]
	v_add_f64 v[57:58], v[57:58], -v[97:98]
	v_fma_f64 v[187:188], v[189:190], v[185:186], v[187:188]
	v_add_f64 v[59:60], v[59:60], -v[187:188]
	ds_read2_b64 v[187:190], v253 offset0:64 offset1:65
	s_waitcnt lgkmcnt(0)
	v_mul_f64 v[97:98], v[189:190], v[99:100]
	v_fma_f64 v[97:98], v[187:188], v[185:186], -v[97:98]
	v_mul_f64 v[187:188], v[187:188], v[99:100]
	v_add_f64 v[53:54], v[53:54], -v[97:98]
	v_fma_f64 v[187:188], v[189:190], v[185:186], v[187:188]
	v_add_f64 v[55:56], v[55:56], -v[187:188]
	ds_read2_b64 v[187:190], v253 offset0:66 offset1:67
	s_waitcnt lgkmcnt(0)
	v_mul_f64 v[97:98], v[189:190], v[99:100]
	v_fma_f64 v[97:98], v[187:188], v[185:186], -v[97:98]
	v_mul_f64 v[187:188], v[187:188], v[99:100]
	v_add_f64 v[49:50], v[49:50], -v[97:98]
	v_fma_f64 v[187:188], v[189:190], v[185:186], v[187:188]
	v_add_f64 v[51:52], v[51:52], -v[187:188]
	ds_read2_b64 v[187:190], v253 offset0:68 offset1:69
	s_waitcnt lgkmcnt(0)
	v_mul_f64 v[97:98], v[189:190], v[99:100]
	v_fma_f64 v[97:98], v[187:188], v[185:186], -v[97:98]
	v_mul_f64 v[187:188], v[187:188], v[99:100]
	v_add_f64 v[45:46], v[45:46], -v[97:98]
	v_fma_f64 v[187:188], v[189:190], v[185:186], v[187:188]
	v_add_f64 v[47:48], v[47:48], -v[187:188]
	ds_read2_b64 v[187:190], v253 offset0:70 offset1:71
	s_waitcnt lgkmcnt(0)
	v_mul_f64 v[97:98], v[189:190], v[99:100]
	v_fma_f64 v[97:98], v[187:188], v[185:186], -v[97:98]
	v_mul_f64 v[187:188], v[187:188], v[99:100]
	v_add_f64 v[41:42], v[41:42], -v[97:98]
	v_fma_f64 v[187:188], v[189:190], v[185:186], v[187:188]
	v_add_f64 v[43:44], v[43:44], -v[187:188]
	ds_read2_b64 v[187:190], v253 offset0:72 offset1:73
	s_waitcnt lgkmcnt(0)
	v_mul_f64 v[97:98], v[189:190], v[99:100]
	v_fma_f64 v[97:98], v[187:188], v[185:186], -v[97:98]
	v_mul_f64 v[187:188], v[187:188], v[99:100]
	v_add_f64 v[37:38], v[37:38], -v[97:98]
	v_fma_f64 v[187:188], v[189:190], v[185:186], v[187:188]
	v_add_f64 v[39:40], v[39:40], -v[187:188]
	ds_read2_b64 v[187:190], v253 offset0:74 offset1:75
	s_waitcnt lgkmcnt(0)
	v_mul_f64 v[97:98], v[189:190], v[99:100]
	v_fma_f64 v[97:98], v[187:188], v[185:186], -v[97:98]
	v_mul_f64 v[187:188], v[187:188], v[99:100]
	v_add_f64 v[33:34], v[33:34], -v[97:98]
	v_fma_f64 v[187:188], v[189:190], v[185:186], v[187:188]
	v_add_f64 v[35:36], v[35:36], -v[187:188]
	ds_read2_b64 v[187:190], v253 offset0:76 offset1:77
	s_waitcnt lgkmcnt(0)
	v_mul_f64 v[97:98], v[189:190], v[99:100]
	v_fma_f64 v[97:98], v[187:188], v[185:186], -v[97:98]
	v_mul_f64 v[187:188], v[187:188], v[99:100]
	v_add_f64 v[29:30], v[29:30], -v[97:98]
	v_fma_f64 v[187:188], v[189:190], v[185:186], v[187:188]
	v_add_f64 v[31:32], v[31:32], -v[187:188]
	ds_read2_b64 v[187:190], v253 offset0:78 offset1:79
	s_waitcnt lgkmcnt(0)
	v_mul_f64 v[97:98], v[189:190], v[99:100]
	v_fma_f64 v[97:98], v[187:188], v[185:186], -v[97:98]
	v_mul_f64 v[187:188], v[187:188], v[99:100]
	v_add_f64 v[25:26], v[25:26], -v[97:98]
	v_fma_f64 v[187:188], v[189:190], v[185:186], v[187:188]
	v_add_f64 v[27:28], v[27:28], -v[187:188]
	ds_read2_b64 v[187:190], v253 offset0:80 offset1:81
	s_waitcnt lgkmcnt(0)
	v_mul_f64 v[97:98], v[189:190], v[99:100]
	v_fma_f64 v[97:98], v[187:188], v[185:186], -v[97:98]
	v_mul_f64 v[187:188], v[187:188], v[99:100]
	v_add_f64 v[21:22], v[21:22], -v[97:98]
	v_fma_f64 v[187:188], v[189:190], v[185:186], v[187:188]
	v_add_f64 v[23:24], v[23:24], -v[187:188]
	ds_read2_b64 v[187:190], v253 offset0:82 offset1:83
	s_waitcnt lgkmcnt(0)
	v_mul_f64 v[97:98], v[189:190], v[99:100]
	v_fma_f64 v[97:98], v[187:188], v[185:186], -v[97:98]
	v_mul_f64 v[187:188], v[187:188], v[99:100]
	v_add_f64 v[17:18], v[17:18], -v[97:98]
	v_fma_f64 v[187:188], v[189:190], v[185:186], v[187:188]
	v_add_f64 v[19:20], v[19:20], -v[187:188]
	ds_read2_b64 v[187:190], v253 offset0:84 offset1:85
	s_waitcnt lgkmcnt(0)
	v_mul_f64 v[97:98], v[189:190], v[99:100]
	v_fma_f64 v[97:98], v[187:188], v[185:186], -v[97:98]
	v_mul_f64 v[187:188], v[187:188], v[99:100]
	v_add_f64 v[13:14], v[13:14], -v[97:98]
	v_fma_f64 v[187:188], v[189:190], v[185:186], v[187:188]
	v_add_f64 v[15:16], v[15:16], -v[187:188]
	ds_read2_b64 v[187:190], v253 offset0:86 offset1:87
	s_waitcnt lgkmcnt(0)
	v_mul_f64 v[97:98], v[189:190], v[99:100]
	v_fma_f64 v[97:98], v[187:188], v[185:186], -v[97:98]
	v_mul_f64 v[187:188], v[187:188], v[99:100]
	v_add_f64 v[9:10], v[9:10], -v[97:98]
	v_fma_f64 v[187:188], v[189:190], v[185:186], v[187:188]
	v_add_f64 v[11:12], v[11:12], -v[187:188]
	ds_read2_b64 v[187:190], v253 offset0:88 offset1:89
	s_waitcnt lgkmcnt(0)
	v_mul_f64 v[97:98], v[189:190], v[99:100]
	v_fma_f64 v[97:98], v[187:188], v[185:186], -v[97:98]
	v_mul_f64 v[187:188], v[187:188], v[99:100]
	v_add_f64 v[5:6], v[5:6], -v[97:98]
	v_fma_f64 v[187:188], v[189:190], v[185:186], v[187:188]
	v_add_f64 v[7:8], v[7:8], -v[187:188]
	ds_read2_b64 v[187:190], v253 offset0:90 offset1:91
	s_waitcnt lgkmcnt(0)
	v_mul_f64 v[97:98], v[189:190], v[99:100]
	v_fma_f64 v[97:98], v[187:188], v[185:186], -v[97:98]
	v_mul_f64 v[187:188], v[187:188], v[99:100]
	v_add_f64 v[1:2], v[1:2], -v[97:98]
	v_fma_f64 v[187:188], v[189:190], v[185:186], v[187:188]
	v_mov_b32_e32 v97, v185
	v_mov_b32_e32 v98, v186
	v_add_f64 v[3:4], v[3:4], -v[187:188]
.LBB91_199:
	s_or_b32 exec_lo, exec_lo, s1
	s_mov_b32 s2, exec_lo
	s_waitcnt_vscnt null, 0x0
	s_barrier
	buffer_gl0_inv
	v_cmpx_eq_u32_e32 22, v0
	s_cbranch_execz .LBB91_206
; %bb.200:
	ds_write2_b64 v255, v[93:94], v[95:96] offset1:1
	ds_write2_b64 v253, v[89:90], v[91:92] offset0:46 offset1:47
	ds_write2_b64 v253, v[85:86], v[87:88] offset0:48 offset1:49
	;; [unrolled: 1-line block ×23, first 2 shown]
	ds_read2_b64 v[185:188], v255 offset1:1
	s_waitcnt lgkmcnt(0)
	v_cmp_neq_f64_e32 vcc_lo, 0, v[185:186]
	v_cmp_neq_f64_e64 s1, 0, v[187:188]
	s_or_b32 s1, vcc_lo, s1
	s_and_b32 exec_lo, exec_lo, s1
	s_cbranch_execz .LBB91_206
; %bb.201:
	v_cmp_ngt_f64_e64 s1, |v[185:186]|, |v[187:188]|
                                        ; implicit-def: $vgpr189_vgpr190
	s_and_saveexec_b32 s3, s1
	s_xor_b32 s1, exec_lo, s3
                                        ; implicit-def: $vgpr191_vgpr192
	s_cbranch_execz .LBB91_203
; %bb.202:
	v_div_scale_f64 v[189:190], null, v[187:188], v[187:188], v[185:186]
	v_div_scale_f64 v[195:196], vcc_lo, v[185:186], v[187:188], v[185:186]
	v_rcp_f64_e32 v[191:192], v[189:190]
	v_fma_f64 v[193:194], -v[189:190], v[191:192], 1.0
	v_fma_f64 v[191:192], v[191:192], v[193:194], v[191:192]
	v_fma_f64 v[193:194], -v[189:190], v[191:192], 1.0
	v_fma_f64 v[191:192], v[191:192], v[193:194], v[191:192]
	v_mul_f64 v[193:194], v[195:196], v[191:192]
	v_fma_f64 v[189:190], -v[189:190], v[193:194], v[195:196]
	v_div_fmas_f64 v[189:190], v[189:190], v[191:192], v[193:194]
	v_div_fixup_f64 v[189:190], v[189:190], v[187:188], v[185:186]
	v_fma_f64 v[185:186], v[185:186], v[189:190], v[187:188]
	v_div_scale_f64 v[187:188], null, v[185:186], v[185:186], 1.0
	v_rcp_f64_e32 v[191:192], v[187:188]
	v_fma_f64 v[193:194], -v[187:188], v[191:192], 1.0
	v_fma_f64 v[191:192], v[191:192], v[193:194], v[191:192]
	v_fma_f64 v[193:194], -v[187:188], v[191:192], 1.0
	v_fma_f64 v[191:192], v[191:192], v[193:194], v[191:192]
	v_div_scale_f64 v[193:194], vcc_lo, 1.0, v[185:186], 1.0
	v_mul_f64 v[195:196], v[193:194], v[191:192]
	v_fma_f64 v[187:188], -v[187:188], v[195:196], v[193:194]
	v_div_fmas_f64 v[187:188], v[187:188], v[191:192], v[195:196]
	v_div_fixup_f64 v[191:192], v[187:188], v[185:186], 1.0
                                        ; implicit-def: $vgpr185_vgpr186
	v_mul_f64 v[189:190], v[189:190], v[191:192]
	v_xor_b32_e32 v192, 0x80000000, v192
.LBB91_203:
	s_andn2_saveexec_b32 s1, s1
	s_cbranch_execz .LBB91_205
; %bb.204:
	v_div_scale_f64 v[189:190], null, v[185:186], v[185:186], v[187:188]
	v_div_scale_f64 v[195:196], vcc_lo, v[187:188], v[185:186], v[187:188]
	v_rcp_f64_e32 v[191:192], v[189:190]
	v_fma_f64 v[193:194], -v[189:190], v[191:192], 1.0
	v_fma_f64 v[191:192], v[191:192], v[193:194], v[191:192]
	v_fma_f64 v[193:194], -v[189:190], v[191:192], 1.0
	v_fma_f64 v[191:192], v[191:192], v[193:194], v[191:192]
	v_mul_f64 v[193:194], v[195:196], v[191:192]
	v_fma_f64 v[189:190], -v[189:190], v[193:194], v[195:196]
	v_div_fmas_f64 v[189:190], v[189:190], v[191:192], v[193:194]
	v_div_fixup_f64 v[191:192], v[189:190], v[185:186], v[187:188]
	v_fma_f64 v[185:186], v[187:188], v[191:192], v[185:186]
	v_div_scale_f64 v[187:188], null, v[185:186], v[185:186], 1.0
	v_rcp_f64_e32 v[189:190], v[187:188]
	v_fma_f64 v[193:194], -v[187:188], v[189:190], 1.0
	v_fma_f64 v[189:190], v[189:190], v[193:194], v[189:190]
	v_fma_f64 v[193:194], -v[187:188], v[189:190], 1.0
	v_fma_f64 v[189:190], v[189:190], v[193:194], v[189:190]
	v_div_scale_f64 v[193:194], vcc_lo, 1.0, v[185:186], 1.0
	v_mul_f64 v[195:196], v[193:194], v[189:190]
	v_fma_f64 v[187:188], -v[187:188], v[195:196], v[193:194]
	v_div_fmas_f64 v[187:188], v[187:188], v[189:190], v[195:196]
	v_div_fixup_f64 v[189:190], v[187:188], v[185:186], 1.0
	v_mul_f64 v[191:192], v[191:192], -v[189:190]
.LBB91_205:
	s_or_b32 exec_lo, exec_lo, s1
	ds_write2_b64 v255, v[189:190], v[191:192] offset1:1
.LBB91_206:
	s_or_b32 exec_lo, exec_lo, s2
	s_waitcnt lgkmcnt(0)
	s_barrier
	buffer_gl0_inv
	ds_read2_b64 v[185:188], v255 offset1:1
	s_mov_b32 s1, exec_lo
	s_waitcnt lgkmcnt(0)
	buffer_store_dword v185, off, s[16:19], 0 offset:648 ; 4-byte Folded Spill
	buffer_store_dword v186, off, s[16:19], 0 offset:652 ; 4-byte Folded Spill
	;; [unrolled: 1-line block ×4, first 2 shown]
	v_cmpx_lt_u32_e32 22, v0
	s_cbranch_execz .LBB91_208
; %bb.207:
	s_clause 0x3
	buffer_load_dword v187, off, s[16:19], 0 offset:648
	buffer_load_dword v188, off, s[16:19], 0 offset:652
	;; [unrolled: 1-line block ×4, first 2 shown]
	s_waitcnt vmcnt(0)
	v_mul_f64 v[185:186], v[189:190], v[95:96]
	v_mul_f64 v[95:96], v[187:188], v[95:96]
	v_fma_f64 v[185:186], v[187:188], v[93:94], -v[185:186]
	v_fma_f64 v[95:96], v[189:190], v[93:94], v[95:96]
	ds_read2_b64 v[187:190], v253 offset0:46 offset1:47
	s_waitcnt lgkmcnt(0)
	v_mul_f64 v[93:94], v[189:190], v[95:96]
	v_fma_f64 v[93:94], v[187:188], v[185:186], -v[93:94]
	v_mul_f64 v[187:188], v[187:188], v[95:96]
	v_add_f64 v[89:90], v[89:90], -v[93:94]
	v_fma_f64 v[187:188], v[189:190], v[185:186], v[187:188]
	v_add_f64 v[91:92], v[91:92], -v[187:188]
	ds_read2_b64 v[187:190], v253 offset0:48 offset1:49
	s_waitcnt lgkmcnt(0)
	v_mul_f64 v[93:94], v[189:190], v[95:96]
	v_fma_f64 v[93:94], v[187:188], v[185:186], -v[93:94]
	v_mul_f64 v[187:188], v[187:188], v[95:96]
	v_add_f64 v[85:86], v[85:86], -v[93:94]
	v_fma_f64 v[187:188], v[189:190], v[185:186], v[187:188]
	v_add_f64 v[87:88], v[87:88], -v[187:188]
	;; [unrolled: 8-line block ×22, first 2 shown]
	ds_read2_b64 v[187:190], v253 offset0:90 offset1:91
	s_waitcnt lgkmcnt(0)
	v_mul_f64 v[93:94], v[189:190], v[95:96]
	v_fma_f64 v[93:94], v[187:188], v[185:186], -v[93:94]
	v_mul_f64 v[187:188], v[187:188], v[95:96]
	v_add_f64 v[1:2], v[1:2], -v[93:94]
	v_fma_f64 v[187:188], v[189:190], v[185:186], v[187:188]
	v_mov_b32_e32 v93, v185
	v_mov_b32_e32 v94, v186
	v_add_f64 v[3:4], v[3:4], -v[187:188]
.LBB91_208:
	s_or_b32 exec_lo, exec_lo, s1
	s_mov_b32 s2, exec_lo
	s_waitcnt_vscnt null, 0x0
	s_barrier
	buffer_gl0_inv
	v_cmpx_eq_u32_e32 23, v0
	s_cbranch_execz .LBB91_215
; %bb.209:
	ds_write2_b64 v255, v[89:90], v[91:92] offset1:1
	ds_write2_b64 v253, v[85:86], v[87:88] offset0:48 offset1:49
	ds_write2_b64 v253, v[81:82], v[83:84] offset0:50 offset1:51
	;; [unrolled: 1-line block ×22, first 2 shown]
	ds_read2_b64 v[185:188], v255 offset1:1
	s_waitcnt lgkmcnt(0)
	v_cmp_neq_f64_e32 vcc_lo, 0, v[185:186]
	v_cmp_neq_f64_e64 s1, 0, v[187:188]
	s_or_b32 s1, vcc_lo, s1
	s_and_b32 exec_lo, exec_lo, s1
	s_cbranch_execz .LBB91_215
; %bb.210:
	v_cmp_ngt_f64_e64 s1, |v[185:186]|, |v[187:188]|
                                        ; implicit-def: $vgpr189_vgpr190
	s_and_saveexec_b32 s3, s1
	s_xor_b32 s1, exec_lo, s3
                                        ; implicit-def: $vgpr191_vgpr192
	s_cbranch_execz .LBB91_212
; %bb.211:
	v_div_scale_f64 v[189:190], null, v[187:188], v[187:188], v[185:186]
	v_div_scale_f64 v[195:196], vcc_lo, v[185:186], v[187:188], v[185:186]
	v_rcp_f64_e32 v[191:192], v[189:190]
	v_fma_f64 v[193:194], -v[189:190], v[191:192], 1.0
	v_fma_f64 v[191:192], v[191:192], v[193:194], v[191:192]
	v_fma_f64 v[193:194], -v[189:190], v[191:192], 1.0
	v_fma_f64 v[191:192], v[191:192], v[193:194], v[191:192]
	v_mul_f64 v[193:194], v[195:196], v[191:192]
	v_fma_f64 v[189:190], -v[189:190], v[193:194], v[195:196]
	v_div_fmas_f64 v[189:190], v[189:190], v[191:192], v[193:194]
	v_div_fixup_f64 v[189:190], v[189:190], v[187:188], v[185:186]
	v_fma_f64 v[185:186], v[185:186], v[189:190], v[187:188]
	v_div_scale_f64 v[187:188], null, v[185:186], v[185:186], 1.0
	v_rcp_f64_e32 v[191:192], v[187:188]
	v_fma_f64 v[193:194], -v[187:188], v[191:192], 1.0
	v_fma_f64 v[191:192], v[191:192], v[193:194], v[191:192]
	v_fma_f64 v[193:194], -v[187:188], v[191:192], 1.0
	v_fma_f64 v[191:192], v[191:192], v[193:194], v[191:192]
	v_div_scale_f64 v[193:194], vcc_lo, 1.0, v[185:186], 1.0
	v_mul_f64 v[195:196], v[193:194], v[191:192]
	v_fma_f64 v[187:188], -v[187:188], v[195:196], v[193:194]
	v_div_fmas_f64 v[187:188], v[187:188], v[191:192], v[195:196]
	v_div_fixup_f64 v[191:192], v[187:188], v[185:186], 1.0
                                        ; implicit-def: $vgpr185_vgpr186
	v_mul_f64 v[189:190], v[189:190], v[191:192]
	v_xor_b32_e32 v192, 0x80000000, v192
.LBB91_212:
	s_andn2_saveexec_b32 s1, s1
	s_cbranch_execz .LBB91_214
; %bb.213:
	v_div_scale_f64 v[189:190], null, v[185:186], v[185:186], v[187:188]
	v_div_scale_f64 v[195:196], vcc_lo, v[187:188], v[185:186], v[187:188]
	v_rcp_f64_e32 v[191:192], v[189:190]
	v_fma_f64 v[193:194], -v[189:190], v[191:192], 1.0
	v_fma_f64 v[191:192], v[191:192], v[193:194], v[191:192]
	v_fma_f64 v[193:194], -v[189:190], v[191:192], 1.0
	v_fma_f64 v[191:192], v[191:192], v[193:194], v[191:192]
	v_mul_f64 v[193:194], v[195:196], v[191:192]
	v_fma_f64 v[189:190], -v[189:190], v[193:194], v[195:196]
	v_div_fmas_f64 v[189:190], v[189:190], v[191:192], v[193:194]
	v_div_fixup_f64 v[191:192], v[189:190], v[185:186], v[187:188]
	v_fma_f64 v[185:186], v[187:188], v[191:192], v[185:186]
	v_div_scale_f64 v[187:188], null, v[185:186], v[185:186], 1.0
	v_rcp_f64_e32 v[189:190], v[187:188]
	v_fma_f64 v[193:194], -v[187:188], v[189:190], 1.0
	v_fma_f64 v[189:190], v[189:190], v[193:194], v[189:190]
	v_fma_f64 v[193:194], -v[187:188], v[189:190], 1.0
	v_fma_f64 v[189:190], v[189:190], v[193:194], v[189:190]
	v_div_scale_f64 v[193:194], vcc_lo, 1.0, v[185:186], 1.0
	v_mul_f64 v[195:196], v[193:194], v[189:190]
	v_fma_f64 v[187:188], -v[187:188], v[195:196], v[193:194]
	v_div_fmas_f64 v[187:188], v[187:188], v[189:190], v[195:196]
	v_div_fixup_f64 v[189:190], v[187:188], v[185:186], 1.0
	v_mul_f64 v[191:192], v[191:192], -v[189:190]
.LBB91_214:
	s_or_b32 exec_lo, exec_lo, s1
	ds_write2_b64 v255, v[189:190], v[191:192] offset1:1
.LBB91_215:
	s_or_b32 exec_lo, exec_lo, s2
	s_waitcnt lgkmcnt(0)
	s_barrier
	buffer_gl0_inv
	ds_read2_b64 v[185:188], v255 offset1:1
	s_mov_b32 s1, exec_lo
	s_waitcnt lgkmcnt(0)
	buffer_store_dword v185, off, s[16:19], 0 offset:664 ; 4-byte Folded Spill
	buffer_store_dword v186, off, s[16:19], 0 offset:668 ; 4-byte Folded Spill
	;; [unrolled: 1-line block ×4, first 2 shown]
	v_cmpx_lt_u32_e32 23, v0
	s_cbranch_execz .LBB91_217
; %bb.216:
	s_clause 0x3
	buffer_load_dword v187, off, s[16:19], 0 offset:664
	buffer_load_dword v188, off, s[16:19], 0 offset:668
	;; [unrolled: 1-line block ×4, first 2 shown]
	s_waitcnt vmcnt(0)
	v_mul_f64 v[185:186], v[189:190], v[91:92]
	v_mul_f64 v[91:92], v[187:188], v[91:92]
	v_fma_f64 v[185:186], v[187:188], v[89:90], -v[185:186]
	v_fma_f64 v[91:92], v[189:190], v[89:90], v[91:92]
	ds_read2_b64 v[187:190], v253 offset0:48 offset1:49
	s_waitcnt lgkmcnt(0)
	v_mul_f64 v[89:90], v[189:190], v[91:92]
	v_fma_f64 v[89:90], v[187:188], v[185:186], -v[89:90]
	v_mul_f64 v[187:188], v[187:188], v[91:92]
	v_add_f64 v[85:86], v[85:86], -v[89:90]
	v_fma_f64 v[187:188], v[189:190], v[185:186], v[187:188]
	v_add_f64 v[87:88], v[87:88], -v[187:188]
	ds_read2_b64 v[187:190], v253 offset0:50 offset1:51
	s_waitcnt lgkmcnt(0)
	v_mul_f64 v[89:90], v[189:190], v[91:92]
	v_fma_f64 v[89:90], v[187:188], v[185:186], -v[89:90]
	v_mul_f64 v[187:188], v[187:188], v[91:92]
	v_add_f64 v[81:82], v[81:82], -v[89:90]
	v_fma_f64 v[187:188], v[189:190], v[185:186], v[187:188]
	v_add_f64 v[83:84], v[83:84], -v[187:188]
	;; [unrolled: 8-line block ×21, first 2 shown]
	ds_read2_b64 v[187:190], v253 offset0:90 offset1:91
	s_waitcnt lgkmcnt(0)
	v_mul_f64 v[89:90], v[189:190], v[91:92]
	v_fma_f64 v[89:90], v[187:188], v[185:186], -v[89:90]
	v_mul_f64 v[187:188], v[187:188], v[91:92]
	v_add_f64 v[1:2], v[1:2], -v[89:90]
	v_fma_f64 v[187:188], v[189:190], v[185:186], v[187:188]
	v_mov_b32_e32 v89, v185
	v_mov_b32_e32 v90, v186
	v_add_f64 v[3:4], v[3:4], -v[187:188]
.LBB91_217:
	s_or_b32 exec_lo, exec_lo, s1
	s_mov_b32 s2, exec_lo
	s_waitcnt_vscnt null, 0x0
	s_barrier
	buffer_gl0_inv
	v_cmpx_eq_u32_e32 24, v0
	s_cbranch_execz .LBB91_224
; %bb.218:
	ds_write2_b64 v255, v[85:86], v[87:88] offset1:1
	ds_write2_b64 v253, v[81:82], v[83:84] offset0:50 offset1:51
	ds_write2_b64 v253, v[77:78], v[79:80] offset0:52 offset1:53
	;; [unrolled: 1-line block ×21, first 2 shown]
	ds_read2_b64 v[185:188], v255 offset1:1
	s_waitcnt lgkmcnt(0)
	v_cmp_neq_f64_e32 vcc_lo, 0, v[185:186]
	v_cmp_neq_f64_e64 s1, 0, v[187:188]
	s_or_b32 s1, vcc_lo, s1
	s_and_b32 exec_lo, exec_lo, s1
	s_cbranch_execz .LBB91_224
; %bb.219:
	v_cmp_ngt_f64_e64 s1, |v[185:186]|, |v[187:188]|
                                        ; implicit-def: $vgpr189_vgpr190
	s_and_saveexec_b32 s3, s1
	s_xor_b32 s1, exec_lo, s3
                                        ; implicit-def: $vgpr191_vgpr192
	s_cbranch_execz .LBB91_221
; %bb.220:
	v_div_scale_f64 v[189:190], null, v[187:188], v[187:188], v[185:186]
	v_div_scale_f64 v[195:196], vcc_lo, v[185:186], v[187:188], v[185:186]
	v_rcp_f64_e32 v[191:192], v[189:190]
	v_fma_f64 v[193:194], -v[189:190], v[191:192], 1.0
	v_fma_f64 v[191:192], v[191:192], v[193:194], v[191:192]
	v_fma_f64 v[193:194], -v[189:190], v[191:192], 1.0
	v_fma_f64 v[191:192], v[191:192], v[193:194], v[191:192]
	v_mul_f64 v[193:194], v[195:196], v[191:192]
	v_fma_f64 v[189:190], -v[189:190], v[193:194], v[195:196]
	v_div_fmas_f64 v[189:190], v[189:190], v[191:192], v[193:194]
	v_div_fixup_f64 v[189:190], v[189:190], v[187:188], v[185:186]
	v_fma_f64 v[185:186], v[185:186], v[189:190], v[187:188]
	v_div_scale_f64 v[187:188], null, v[185:186], v[185:186], 1.0
	v_rcp_f64_e32 v[191:192], v[187:188]
	v_fma_f64 v[193:194], -v[187:188], v[191:192], 1.0
	v_fma_f64 v[191:192], v[191:192], v[193:194], v[191:192]
	v_fma_f64 v[193:194], -v[187:188], v[191:192], 1.0
	v_fma_f64 v[191:192], v[191:192], v[193:194], v[191:192]
	v_div_scale_f64 v[193:194], vcc_lo, 1.0, v[185:186], 1.0
	v_mul_f64 v[195:196], v[193:194], v[191:192]
	v_fma_f64 v[187:188], -v[187:188], v[195:196], v[193:194]
	v_div_fmas_f64 v[187:188], v[187:188], v[191:192], v[195:196]
	v_div_fixup_f64 v[191:192], v[187:188], v[185:186], 1.0
                                        ; implicit-def: $vgpr185_vgpr186
	v_mul_f64 v[189:190], v[189:190], v[191:192]
	v_xor_b32_e32 v192, 0x80000000, v192
.LBB91_221:
	s_andn2_saveexec_b32 s1, s1
	s_cbranch_execz .LBB91_223
; %bb.222:
	v_div_scale_f64 v[189:190], null, v[185:186], v[185:186], v[187:188]
	v_div_scale_f64 v[195:196], vcc_lo, v[187:188], v[185:186], v[187:188]
	v_rcp_f64_e32 v[191:192], v[189:190]
	v_fma_f64 v[193:194], -v[189:190], v[191:192], 1.0
	v_fma_f64 v[191:192], v[191:192], v[193:194], v[191:192]
	v_fma_f64 v[193:194], -v[189:190], v[191:192], 1.0
	v_fma_f64 v[191:192], v[191:192], v[193:194], v[191:192]
	v_mul_f64 v[193:194], v[195:196], v[191:192]
	v_fma_f64 v[189:190], -v[189:190], v[193:194], v[195:196]
	v_div_fmas_f64 v[189:190], v[189:190], v[191:192], v[193:194]
	v_div_fixup_f64 v[191:192], v[189:190], v[185:186], v[187:188]
	v_fma_f64 v[185:186], v[187:188], v[191:192], v[185:186]
	v_div_scale_f64 v[187:188], null, v[185:186], v[185:186], 1.0
	v_rcp_f64_e32 v[189:190], v[187:188]
	v_fma_f64 v[193:194], -v[187:188], v[189:190], 1.0
	v_fma_f64 v[189:190], v[189:190], v[193:194], v[189:190]
	v_fma_f64 v[193:194], -v[187:188], v[189:190], 1.0
	v_fma_f64 v[189:190], v[189:190], v[193:194], v[189:190]
	v_div_scale_f64 v[193:194], vcc_lo, 1.0, v[185:186], 1.0
	v_mul_f64 v[195:196], v[193:194], v[189:190]
	v_fma_f64 v[187:188], -v[187:188], v[195:196], v[193:194]
	v_div_fmas_f64 v[187:188], v[187:188], v[189:190], v[195:196]
	v_div_fixup_f64 v[189:190], v[187:188], v[185:186], 1.0
	v_mul_f64 v[191:192], v[191:192], -v[189:190]
.LBB91_223:
	s_or_b32 exec_lo, exec_lo, s1
	ds_write2_b64 v255, v[189:190], v[191:192] offset1:1
.LBB91_224:
	s_or_b32 exec_lo, exec_lo, s2
	s_waitcnt lgkmcnt(0)
	s_barrier
	buffer_gl0_inv
	ds_read2_b64 v[185:188], v255 offset1:1
	s_mov_b32 s1, exec_lo
	s_waitcnt lgkmcnt(0)
	buffer_store_dword v185, off, s[16:19], 0 offset:680 ; 4-byte Folded Spill
	buffer_store_dword v186, off, s[16:19], 0 offset:684 ; 4-byte Folded Spill
	;; [unrolled: 1-line block ×4, first 2 shown]
	v_cmpx_lt_u32_e32 24, v0
	s_cbranch_execz .LBB91_226
; %bb.225:
	s_clause 0x3
	buffer_load_dword v187, off, s[16:19], 0 offset:680
	buffer_load_dword v188, off, s[16:19], 0 offset:684
	;; [unrolled: 1-line block ×4, first 2 shown]
	s_waitcnt vmcnt(0)
	v_mul_f64 v[185:186], v[189:190], v[87:88]
	v_mul_f64 v[87:88], v[187:188], v[87:88]
	v_fma_f64 v[185:186], v[187:188], v[85:86], -v[185:186]
	v_fma_f64 v[87:88], v[189:190], v[85:86], v[87:88]
	ds_read2_b64 v[187:190], v253 offset0:50 offset1:51
	s_waitcnt lgkmcnt(0)
	v_mul_f64 v[85:86], v[189:190], v[87:88]
	v_fma_f64 v[85:86], v[187:188], v[185:186], -v[85:86]
	v_mul_f64 v[187:188], v[187:188], v[87:88]
	v_add_f64 v[81:82], v[81:82], -v[85:86]
	v_fma_f64 v[187:188], v[189:190], v[185:186], v[187:188]
	v_add_f64 v[83:84], v[83:84], -v[187:188]
	ds_read2_b64 v[187:190], v253 offset0:52 offset1:53
	s_waitcnt lgkmcnt(0)
	v_mul_f64 v[85:86], v[189:190], v[87:88]
	v_fma_f64 v[85:86], v[187:188], v[185:186], -v[85:86]
	v_mul_f64 v[187:188], v[187:188], v[87:88]
	v_add_f64 v[77:78], v[77:78], -v[85:86]
	v_fma_f64 v[187:188], v[189:190], v[185:186], v[187:188]
	v_add_f64 v[79:80], v[79:80], -v[187:188]
	;; [unrolled: 8-line block ×20, first 2 shown]
	ds_read2_b64 v[187:190], v253 offset0:90 offset1:91
	s_waitcnt lgkmcnt(0)
	v_mul_f64 v[85:86], v[189:190], v[87:88]
	v_fma_f64 v[85:86], v[187:188], v[185:186], -v[85:86]
	v_mul_f64 v[187:188], v[187:188], v[87:88]
	v_add_f64 v[1:2], v[1:2], -v[85:86]
	v_fma_f64 v[187:188], v[189:190], v[185:186], v[187:188]
	v_mov_b32_e32 v85, v185
	v_mov_b32_e32 v86, v186
	v_add_f64 v[3:4], v[3:4], -v[187:188]
.LBB91_226:
	s_or_b32 exec_lo, exec_lo, s1
	s_mov_b32 s2, exec_lo
	s_waitcnt_vscnt null, 0x0
	s_barrier
	buffer_gl0_inv
	v_cmpx_eq_u32_e32 25, v0
	s_cbranch_execz .LBB91_233
; %bb.227:
	ds_write2_b64 v255, v[81:82], v[83:84] offset1:1
	ds_write2_b64 v253, v[77:78], v[79:80] offset0:52 offset1:53
	ds_write2_b64 v253, v[73:74], v[75:76] offset0:54 offset1:55
	;; [unrolled: 1-line block ×20, first 2 shown]
	ds_read2_b64 v[185:188], v255 offset1:1
	s_waitcnt lgkmcnt(0)
	v_cmp_neq_f64_e32 vcc_lo, 0, v[185:186]
	v_cmp_neq_f64_e64 s1, 0, v[187:188]
	s_or_b32 s1, vcc_lo, s1
	s_and_b32 exec_lo, exec_lo, s1
	s_cbranch_execz .LBB91_233
; %bb.228:
	v_cmp_ngt_f64_e64 s1, |v[185:186]|, |v[187:188]|
                                        ; implicit-def: $vgpr189_vgpr190
	s_and_saveexec_b32 s3, s1
	s_xor_b32 s1, exec_lo, s3
                                        ; implicit-def: $vgpr191_vgpr192
	s_cbranch_execz .LBB91_230
; %bb.229:
	v_div_scale_f64 v[189:190], null, v[187:188], v[187:188], v[185:186]
	v_div_scale_f64 v[195:196], vcc_lo, v[185:186], v[187:188], v[185:186]
	v_rcp_f64_e32 v[191:192], v[189:190]
	v_fma_f64 v[193:194], -v[189:190], v[191:192], 1.0
	v_fma_f64 v[191:192], v[191:192], v[193:194], v[191:192]
	v_fma_f64 v[193:194], -v[189:190], v[191:192], 1.0
	v_fma_f64 v[191:192], v[191:192], v[193:194], v[191:192]
	v_mul_f64 v[193:194], v[195:196], v[191:192]
	v_fma_f64 v[189:190], -v[189:190], v[193:194], v[195:196]
	v_div_fmas_f64 v[189:190], v[189:190], v[191:192], v[193:194]
	v_div_fixup_f64 v[189:190], v[189:190], v[187:188], v[185:186]
	v_fma_f64 v[185:186], v[185:186], v[189:190], v[187:188]
	v_div_scale_f64 v[187:188], null, v[185:186], v[185:186], 1.0
	v_rcp_f64_e32 v[191:192], v[187:188]
	v_fma_f64 v[193:194], -v[187:188], v[191:192], 1.0
	v_fma_f64 v[191:192], v[191:192], v[193:194], v[191:192]
	v_fma_f64 v[193:194], -v[187:188], v[191:192], 1.0
	v_fma_f64 v[191:192], v[191:192], v[193:194], v[191:192]
	v_div_scale_f64 v[193:194], vcc_lo, 1.0, v[185:186], 1.0
	v_mul_f64 v[195:196], v[193:194], v[191:192]
	v_fma_f64 v[187:188], -v[187:188], v[195:196], v[193:194]
	v_div_fmas_f64 v[187:188], v[187:188], v[191:192], v[195:196]
	v_div_fixup_f64 v[191:192], v[187:188], v[185:186], 1.0
                                        ; implicit-def: $vgpr185_vgpr186
	v_mul_f64 v[189:190], v[189:190], v[191:192]
	v_xor_b32_e32 v192, 0x80000000, v192
.LBB91_230:
	s_andn2_saveexec_b32 s1, s1
	s_cbranch_execz .LBB91_232
; %bb.231:
	v_div_scale_f64 v[189:190], null, v[185:186], v[185:186], v[187:188]
	v_div_scale_f64 v[195:196], vcc_lo, v[187:188], v[185:186], v[187:188]
	v_rcp_f64_e32 v[191:192], v[189:190]
	v_fma_f64 v[193:194], -v[189:190], v[191:192], 1.0
	v_fma_f64 v[191:192], v[191:192], v[193:194], v[191:192]
	v_fma_f64 v[193:194], -v[189:190], v[191:192], 1.0
	v_fma_f64 v[191:192], v[191:192], v[193:194], v[191:192]
	v_mul_f64 v[193:194], v[195:196], v[191:192]
	v_fma_f64 v[189:190], -v[189:190], v[193:194], v[195:196]
	v_div_fmas_f64 v[189:190], v[189:190], v[191:192], v[193:194]
	v_div_fixup_f64 v[191:192], v[189:190], v[185:186], v[187:188]
	v_fma_f64 v[185:186], v[187:188], v[191:192], v[185:186]
	v_div_scale_f64 v[187:188], null, v[185:186], v[185:186], 1.0
	v_rcp_f64_e32 v[189:190], v[187:188]
	v_fma_f64 v[193:194], -v[187:188], v[189:190], 1.0
	v_fma_f64 v[189:190], v[189:190], v[193:194], v[189:190]
	v_fma_f64 v[193:194], -v[187:188], v[189:190], 1.0
	v_fma_f64 v[189:190], v[189:190], v[193:194], v[189:190]
	v_div_scale_f64 v[193:194], vcc_lo, 1.0, v[185:186], 1.0
	v_mul_f64 v[195:196], v[193:194], v[189:190]
	v_fma_f64 v[187:188], -v[187:188], v[195:196], v[193:194]
	v_div_fmas_f64 v[187:188], v[187:188], v[189:190], v[195:196]
	v_div_fixup_f64 v[189:190], v[187:188], v[185:186], 1.0
	v_mul_f64 v[191:192], v[191:192], -v[189:190]
.LBB91_232:
	s_or_b32 exec_lo, exec_lo, s1
	ds_write2_b64 v255, v[189:190], v[191:192] offset1:1
.LBB91_233:
	s_or_b32 exec_lo, exec_lo, s2
	s_waitcnt lgkmcnt(0)
	s_barrier
	buffer_gl0_inv
	ds_read2_b64 v[185:188], v255 offset1:1
	s_mov_b32 s1, exec_lo
	s_waitcnt lgkmcnt(0)
	buffer_store_dword v185, off, s[16:19], 0 offset:696 ; 4-byte Folded Spill
	buffer_store_dword v186, off, s[16:19], 0 offset:700 ; 4-byte Folded Spill
	;; [unrolled: 1-line block ×4, first 2 shown]
	v_cmpx_lt_u32_e32 25, v0
	s_cbranch_execz .LBB91_235
; %bb.234:
	s_clause 0x3
	buffer_load_dword v187, off, s[16:19], 0 offset:696
	buffer_load_dword v188, off, s[16:19], 0 offset:700
	;; [unrolled: 1-line block ×4, first 2 shown]
	s_waitcnt vmcnt(0)
	v_mul_f64 v[185:186], v[189:190], v[83:84]
	v_mul_f64 v[83:84], v[187:188], v[83:84]
	v_fma_f64 v[185:186], v[187:188], v[81:82], -v[185:186]
	v_fma_f64 v[83:84], v[189:190], v[81:82], v[83:84]
	ds_read2_b64 v[187:190], v253 offset0:52 offset1:53
	s_waitcnt lgkmcnt(0)
	v_mul_f64 v[81:82], v[189:190], v[83:84]
	v_fma_f64 v[81:82], v[187:188], v[185:186], -v[81:82]
	v_mul_f64 v[187:188], v[187:188], v[83:84]
	v_add_f64 v[77:78], v[77:78], -v[81:82]
	v_fma_f64 v[187:188], v[189:190], v[185:186], v[187:188]
	v_add_f64 v[79:80], v[79:80], -v[187:188]
	ds_read2_b64 v[187:190], v253 offset0:54 offset1:55
	s_waitcnt lgkmcnt(0)
	v_mul_f64 v[81:82], v[189:190], v[83:84]
	v_fma_f64 v[81:82], v[187:188], v[185:186], -v[81:82]
	v_mul_f64 v[187:188], v[187:188], v[83:84]
	v_add_f64 v[73:74], v[73:74], -v[81:82]
	v_fma_f64 v[187:188], v[189:190], v[185:186], v[187:188]
	v_add_f64 v[75:76], v[75:76], -v[187:188]
	;; [unrolled: 8-line block ×19, first 2 shown]
	ds_read2_b64 v[187:190], v253 offset0:90 offset1:91
	s_waitcnt lgkmcnt(0)
	v_mul_f64 v[81:82], v[189:190], v[83:84]
	v_fma_f64 v[81:82], v[187:188], v[185:186], -v[81:82]
	v_mul_f64 v[187:188], v[187:188], v[83:84]
	v_add_f64 v[1:2], v[1:2], -v[81:82]
	v_fma_f64 v[187:188], v[189:190], v[185:186], v[187:188]
	v_mov_b32_e32 v81, v185
	v_mov_b32_e32 v82, v186
	v_add_f64 v[3:4], v[3:4], -v[187:188]
.LBB91_235:
	s_or_b32 exec_lo, exec_lo, s1
	s_mov_b32 s2, exec_lo
	s_waitcnt_vscnt null, 0x0
	s_barrier
	buffer_gl0_inv
	v_cmpx_eq_u32_e32 26, v0
	s_cbranch_execz .LBB91_242
; %bb.236:
	ds_write2_b64 v255, v[77:78], v[79:80] offset1:1
	ds_write2_b64 v253, v[73:74], v[75:76] offset0:54 offset1:55
	ds_write2_b64 v253, v[69:70], v[71:72] offset0:56 offset1:57
	;; [unrolled: 1-line block ×19, first 2 shown]
	ds_read2_b64 v[185:188], v255 offset1:1
	s_waitcnt lgkmcnt(0)
	v_cmp_neq_f64_e32 vcc_lo, 0, v[185:186]
	v_cmp_neq_f64_e64 s1, 0, v[187:188]
	s_or_b32 s1, vcc_lo, s1
	s_and_b32 exec_lo, exec_lo, s1
	s_cbranch_execz .LBB91_242
; %bb.237:
	v_cmp_ngt_f64_e64 s1, |v[185:186]|, |v[187:188]|
                                        ; implicit-def: $vgpr189_vgpr190
	s_and_saveexec_b32 s3, s1
	s_xor_b32 s1, exec_lo, s3
                                        ; implicit-def: $vgpr191_vgpr192
	s_cbranch_execz .LBB91_239
; %bb.238:
	v_div_scale_f64 v[189:190], null, v[187:188], v[187:188], v[185:186]
	v_div_scale_f64 v[195:196], vcc_lo, v[185:186], v[187:188], v[185:186]
	v_rcp_f64_e32 v[191:192], v[189:190]
	v_fma_f64 v[193:194], -v[189:190], v[191:192], 1.0
	v_fma_f64 v[191:192], v[191:192], v[193:194], v[191:192]
	v_fma_f64 v[193:194], -v[189:190], v[191:192], 1.0
	v_fma_f64 v[191:192], v[191:192], v[193:194], v[191:192]
	v_mul_f64 v[193:194], v[195:196], v[191:192]
	v_fma_f64 v[189:190], -v[189:190], v[193:194], v[195:196]
	v_div_fmas_f64 v[189:190], v[189:190], v[191:192], v[193:194]
	v_div_fixup_f64 v[189:190], v[189:190], v[187:188], v[185:186]
	v_fma_f64 v[185:186], v[185:186], v[189:190], v[187:188]
	v_div_scale_f64 v[187:188], null, v[185:186], v[185:186], 1.0
	v_rcp_f64_e32 v[191:192], v[187:188]
	v_fma_f64 v[193:194], -v[187:188], v[191:192], 1.0
	v_fma_f64 v[191:192], v[191:192], v[193:194], v[191:192]
	v_fma_f64 v[193:194], -v[187:188], v[191:192], 1.0
	v_fma_f64 v[191:192], v[191:192], v[193:194], v[191:192]
	v_div_scale_f64 v[193:194], vcc_lo, 1.0, v[185:186], 1.0
	v_mul_f64 v[195:196], v[193:194], v[191:192]
	v_fma_f64 v[187:188], -v[187:188], v[195:196], v[193:194]
	v_div_fmas_f64 v[187:188], v[187:188], v[191:192], v[195:196]
	v_div_fixup_f64 v[191:192], v[187:188], v[185:186], 1.0
                                        ; implicit-def: $vgpr185_vgpr186
	v_mul_f64 v[189:190], v[189:190], v[191:192]
	v_xor_b32_e32 v192, 0x80000000, v192
.LBB91_239:
	s_andn2_saveexec_b32 s1, s1
	s_cbranch_execz .LBB91_241
; %bb.240:
	v_div_scale_f64 v[189:190], null, v[185:186], v[185:186], v[187:188]
	v_div_scale_f64 v[195:196], vcc_lo, v[187:188], v[185:186], v[187:188]
	v_rcp_f64_e32 v[191:192], v[189:190]
	v_fma_f64 v[193:194], -v[189:190], v[191:192], 1.0
	v_fma_f64 v[191:192], v[191:192], v[193:194], v[191:192]
	v_fma_f64 v[193:194], -v[189:190], v[191:192], 1.0
	v_fma_f64 v[191:192], v[191:192], v[193:194], v[191:192]
	v_mul_f64 v[193:194], v[195:196], v[191:192]
	v_fma_f64 v[189:190], -v[189:190], v[193:194], v[195:196]
	v_div_fmas_f64 v[189:190], v[189:190], v[191:192], v[193:194]
	v_div_fixup_f64 v[191:192], v[189:190], v[185:186], v[187:188]
	v_fma_f64 v[185:186], v[187:188], v[191:192], v[185:186]
	v_div_scale_f64 v[187:188], null, v[185:186], v[185:186], 1.0
	v_rcp_f64_e32 v[189:190], v[187:188]
	v_fma_f64 v[193:194], -v[187:188], v[189:190], 1.0
	v_fma_f64 v[189:190], v[189:190], v[193:194], v[189:190]
	v_fma_f64 v[193:194], -v[187:188], v[189:190], 1.0
	v_fma_f64 v[189:190], v[189:190], v[193:194], v[189:190]
	v_div_scale_f64 v[193:194], vcc_lo, 1.0, v[185:186], 1.0
	v_mul_f64 v[195:196], v[193:194], v[189:190]
	v_fma_f64 v[187:188], -v[187:188], v[195:196], v[193:194]
	v_div_fmas_f64 v[187:188], v[187:188], v[189:190], v[195:196]
	v_div_fixup_f64 v[189:190], v[187:188], v[185:186], 1.0
	v_mul_f64 v[191:192], v[191:192], -v[189:190]
.LBB91_241:
	s_or_b32 exec_lo, exec_lo, s1
	ds_write2_b64 v255, v[189:190], v[191:192] offset1:1
.LBB91_242:
	s_or_b32 exec_lo, exec_lo, s2
	s_waitcnt lgkmcnt(0)
	s_barrier
	buffer_gl0_inv
	ds_read2_b64 v[185:188], v255 offset1:1
	s_mov_b32 s1, exec_lo
	s_waitcnt lgkmcnt(0)
	buffer_store_dword v185, off, s[16:19], 0 offset:712 ; 4-byte Folded Spill
	buffer_store_dword v186, off, s[16:19], 0 offset:716 ; 4-byte Folded Spill
	;; [unrolled: 1-line block ×4, first 2 shown]
	v_cmpx_lt_u32_e32 26, v0
	s_cbranch_execz .LBB91_244
; %bb.243:
	s_clause 0x3
	buffer_load_dword v187, off, s[16:19], 0 offset:712
	buffer_load_dword v188, off, s[16:19], 0 offset:716
	;; [unrolled: 1-line block ×4, first 2 shown]
	s_waitcnt vmcnt(0)
	v_mul_f64 v[185:186], v[189:190], v[79:80]
	v_mul_f64 v[79:80], v[187:188], v[79:80]
	v_fma_f64 v[185:186], v[187:188], v[77:78], -v[185:186]
	v_fma_f64 v[79:80], v[189:190], v[77:78], v[79:80]
	ds_read2_b64 v[187:190], v253 offset0:54 offset1:55
	s_waitcnt lgkmcnt(0)
	v_mul_f64 v[77:78], v[189:190], v[79:80]
	v_fma_f64 v[77:78], v[187:188], v[185:186], -v[77:78]
	v_mul_f64 v[187:188], v[187:188], v[79:80]
	v_add_f64 v[73:74], v[73:74], -v[77:78]
	v_fma_f64 v[187:188], v[189:190], v[185:186], v[187:188]
	v_add_f64 v[75:76], v[75:76], -v[187:188]
	ds_read2_b64 v[187:190], v253 offset0:56 offset1:57
	s_waitcnt lgkmcnt(0)
	v_mul_f64 v[77:78], v[189:190], v[79:80]
	v_fma_f64 v[77:78], v[187:188], v[185:186], -v[77:78]
	v_mul_f64 v[187:188], v[187:188], v[79:80]
	v_add_f64 v[69:70], v[69:70], -v[77:78]
	v_fma_f64 v[187:188], v[189:190], v[185:186], v[187:188]
	v_add_f64 v[71:72], v[71:72], -v[187:188]
	;; [unrolled: 8-line block ×18, first 2 shown]
	ds_read2_b64 v[187:190], v253 offset0:90 offset1:91
	s_waitcnt lgkmcnt(0)
	v_mul_f64 v[77:78], v[189:190], v[79:80]
	v_fma_f64 v[77:78], v[187:188], v[185:186], -v[77:78]
	v_mul_f64 v[187:188], v[187:188], v[79:80]
	v_add_f64 v[1:2], v[1:2], -v[77:78]
	v_fma_f64 v[187:188], v[189:190], v[185:186], v[187:188]
	v_mov_b32_e32 v77, v185
	v_mov_b32_e32 v78, v186
	v_add_f64 v[3:4], v[3:4], -v[187:188]
.LBB91_244:
	s_or_b32 exec_lo, exec_lo, s1
	s_mov_b32 s2, exec_lo
	s_waitcnt_vscnt null, 0x0
	s_barrier
	buffer_gl0_inv
	v_cmpx_eq_u32_e32 27, v0
	s_cbranch_execz .LBB91_251
; %bb.245:
	ds_write2_b64 v255, v[73:74], v[75:76] offset1:1
	ds_write2_b64 v253, v[69:70], v[71:72] offset0:56 offset1:57
	ds_write2_b64 v253, v[65:66], v[67:68] offset0:58 offset1:59
	;; [unrolled: 1-line block ×18, first 2 shown]
	ds_read2_b64 v[185:188], v255 offset1:1
	s_waitcnt lgkmcnt(0)
	v_cmp_neq_f64_e32 vcc_lo, 0, v[185:186]
	v_cmp_neq_f64_e64 s1, 0, v[187:188]
	s_or_b32 s1, vcc_lo, s1
	s_and_b32 exec_lo, exec_lo, s1
	s_cbranch_execz .LBB91_251
; %bb.246:
	v_cmp_ngt_f64_e64 s1, |v[185:186]|, |v[187:188]|
                                        ; implicit-def: $vgpr189_vgpr190
	s_and_saveexec_b32 s3, s1
	s_xor_b32 s1, exec_lo, s3
                                        ; implicit-def: $vgpr191_vgpr192
	s_cbranch_execz .LBB91_248
; %bb.247:
	v_div_scale_f64 v[189:190], null, v[187:188], v[187:188], v[185:186]
	v_div_scale_f64 v[195:196], vcc_lo, v[185:186], v[187:188], v[185:186]
	v_rcp_f64_e32 v[191:192], v[189:190]
	v_fma_f64 v[193:194], -v[189:190], v[191:192], 1.0
	v_fma_f64 v[191:192], v[191:192], v[193:194], v[191:192]
	v_fma_f64 v[193:194], -v[189:190], v[191:192], 1.0
	v_fma_f64 v[191:192], v[191:192], v[193:194], v[191:192]
	v_mul_f64 v[193:194], v[195:196], v[191:192]
	v_fma_f64 v[189:190], -v[189:190], v[193:194], v[195:196]
	v_div_fmas_f64 v[189:190], v[189:190], v[191:192], v[193:194]
	v_div_fixup_f64 v[189:190], v[189:190], v[187:188], v[185:186]
	v_fma_f64 v[185:186], v[185:186], v[189:190], v[187:188]
	v_div_scale_f64 v[187:188], null, v[185:186], v[185:186], 1.0
	v_rcp_f64_e32 v[191:192], v[187:188]
	v_fma_f64 v[193:194], -v[187:188], v[191:192], 1.0
	v_fma_f64 v[191:192], v[191:192], v[193:194], v[191:192]
	v_fma_f64 v[193:194], -v[187:188], v[191:192], 1.0
	v_fma_f64 v[191:192], v[191:192], v[193:194], v[191:192]
	v_div_scale_f64 v[193:194], vcc_lo, 1.0, v[185:186], 1.0
	v_mul_f64 v[195:196], v[193:194], v[191:192]
	v_fma_f64 v[187:188], -v[187:188], v[195:196], v[193:194]
	v_div_fmas_f64 v[187:188], v[187:188], v[191:192], v[195:196]
	v_div_fixup_f64 v[191:192], v[187:188], v[185:186], 1.0
                                        ; implicit-def: $vgpr185_vgpr186
	v_mul_f64 v[189:190], v[189:190], v[191:192]
	v_xor_b32_e32 v192, 0x80000000, v192
.LBB91_248:
	s_andn2_saveexec_b32 s1, s1
	s_cbranch_execz .LBB91_250
; %bb.249:
	v_div_scale_f64 v[189:190], null, v[185:186], v[185:186], v[187:188]
	v_div_scale_f64 v[195:196], vcc_lo, v[187:188], v[185:186], v[187:188]
	v_rcp_f64_e32 v[191:192], v[189:190]
	v_fma_f64 v[193:194], -v[189:190], v[191:192], 1.0
	v_fma_f64 v[191:192], v[191:192], v[193:194], v[191:192]
	v_fma_f64 v[193:194], -v[189:190], v[191:192], 1.0
	v_fma_f64 v[191:192], v[191:192], v[193:194], v[191:192]
	v_mul_f64 v[193:194], v[195:196], v[191:192]
	v_fma_f64 v[189:190], -v[189:190], v[193:194], v[195:196]
	v_div_fmas_f64 v[189:190], v[189:190], v[191:192], v[193:194]
	v_div_fixup_f64 v[191:192], v[189:190], v[185:186], v[187:188]
	v_fma_f64 v[185:186], v[187:188], v[191:192], v[185:186]
	v_div_scale_f64 v[187:188], null, v[185:186], v[185:186], 1.0
	v_rcp_f64_e32 v[189:190], v[187:188]
	v_fma_f64 v[193:194], -v[187:188], v[189:190], 1.0
	v_fma_f64 v[189:190], v[189:190], v[193:194], v[189:190]
	v_fma_f64 v[193:194], -v[187:188], v[189:190], 1.0
	v_fma_f64 v[189:190], v[189:190], v[193:194], v[189:190]
	v_div_scale_f64 v[193:194], vcc_lo, 1.0, v[185:186], 1.0
	v_mul_f64 v[195:196], v[193:194], v[189:190]
	v_fma_f64 v[187:188], -v[187:188], v[195:196], v[193:194]
	v_div_fmas_f64 v[187:188], v[187:188], v[189:190], v[195:196]
	v_div_fixup_f64 v[189:190], v[187:188], v[185:186], 1.0
	v_mul_f64 v[191:192], v[191:192], -v[189:190]
.LBB91_250:
	s_or_b32 exec_lo, exec_lo, s1
	ds_write2_b64 v255, v[189:190], v[191:192] offset1:1
.LBB91_251:
	s_or_b32 exec_lo, exec_lo, s2
	s_waitcnt lgkmcnt(0)
	s_barrier
	buffer_gl0_inv
	ds_read2_b64 v[185:188], v255 offset1:1
	s_mov_b32 s1, exec_lo
	s_waitcnt lgkmcnt(0)
	buffer_store_dword v185, off, s[16:19], 0 offset:728 ; 4-byte Folded Spill
	buffer_store_dword v186, off, s[16:19], 0 offset:732 ; 4-byte Folded Spill
	;; [unrolled: 1-line block ×4, first 2 shown]
	v_cmpx_lt_u32_e32 27, v0
	s_cbranch_execz .LBB91_253
; %bb.252:
	s_clause 0x3
	buffer_load_dword v187, off, s[16:19], 0 offset:728
	buffer_load_dword v188, off, s[16:19], 0 offset:732
	;; [unrolled: 1-line block ×4, first 2 shown]
	s_waitcnt vmcnt(0)
	v_mul_f64 v[185:186], v[189:190], v[75:76]
	v_mul_f64 v[75:76], v[187:188], v[75:76]
	v_fma_f64 v[185:186], v[187:188], v[73:74], -v[185:186]
	v_fma_f64 v[75:76], v[189:190], v[73:74], v[75:76]
	ds_read2_b64 v[187:190], v253 offset0:56 offset1:57
	s_waitcnt lgkmcnt(0)
	v_mul_f64 v[73:74], v[189:190], v[75:76]
	v_fma_f64 v[73:74], v[187:188], v[185:186], -v[73:74]
	v_mul_f64 v[187:188], v[187:188], v[75:76]
	v_add_f64 v[69:70], v[69:70], -v[73:74]
	v_fma_f64 v[187:188], v[189:190], v[185:186], v[187:188]
	v_add_f64 v[71:72], v[71:72], -v[187:188]
	ds_read2_b64 v[187:190], v253 offset0:58 offset1:59
	s_waitcnt lgkmcnt(0)
	v_mul_f64 v[73:74], v[189:190], v[75:76]
	v_fma_f64 v[73:74], v[187:188], v[185:186], -v[73:74]
	v_mul_f64 v[187:188], v[187:188], v[75:76]
	v_add_f64 v[65:66], v[65:66], -v[73:74]
	v_fma_f64 v[187:188], v[189:190], v[185:186], v[187:188]
	v_add_f64 v[67:68], v[67:68], -v[187:188]
	;; [unrolled: 8-line block ×17, first 2 shown]
	ds_read2_b64 v[187:190], v253 offset0:90 offset1:91
	s_waitcnt lgkmcnt(0)
	v_mul_f64 v[73:74], v[189:190], v[75:76]
	v_fma_f64 v[73:74], v[187:188], v[185:186], -v[73:74]
	v_mul_f64 v[187:188], v[187:188], v[75:76]
	v_add_f64 v[1:2], v[1:2], -v[73:74]
	v_fma_f64 v[187:188], v[189:190], v[185:186], v[187:188]
	v_mov_b32_e32 v73, v185
	v_mov_b32_e32 v74, v186
	v_add_f64 v[3:4], v[3:4], -v[187:188]
.LBB91_253:
	s_or_b32 exec_lo, exec_lo, s1
	s_mov_b32 s2, exec_lo
	s_waitcnt_vscnt null, 0x0
	s_barrier
	buffer_gl0_inv
	v_cmpx_eq_u32_e32 28, v0
	s_cbranch_execz .LBB91_260
; %bb.254:
	ds_write2_b64 v255, v[69:70], v[71:72] offset1:1
	ds_write2_b64 v253, v[65:66], v[67:68] offset0:58 offset1:59
	ds_write2_b64 v253, v[61:62], v[63:64] offset0:60 offset1:61
	;; [unrolled: 1-line block ×17, first 2 shown]
	ds_read2_b64 v[185:188], v255 offset1:1
	s_waitcnt lgkmcnt(0)
	v_cmp_neq_f64_e32 vcc_lo, 0, v[185:186]
	v_cmp_neq_f64_e64 s1, 0, v[187:188]
	s_or_b32 s1, vcc_lo, s1
	s_and_b32 exec_lo, exec_lo, s1
	s_cbranch_execz .LBB91_260
; %bb.255:
	v_cmp_ngt_f64_e64 s1, |v[185:186]|, |v[187:188]|
                                        ; implicit-def: $vgpr189_vgpr190
	s_and_saveexec_b32 s3, s1
	s_xor_b32 s1, exec_lo, s3
                                        ; implicit-def: $vgpr191_vgpr192
	s_cbranch_execz .LBB91_257
; %bb.256:
	v_div_scale_f64 v[189:190], null, v[187:188], v[187:188], v[185:186]
	v_div_scale_f64 v[195:196], vcc_lo, v[185:186], v[187:188], v[185:186]
	v_rcp_f64_e32 v[191:192], v[189:190]
	v_fma_f64 v[193:194], -v[189:190], v[191:192], 1.0
	v_fma_f64 v[191:192], v[191:192], v[193:194], v[191:192]
	v_fma_f64 v[193:194], -v[189:190], v[191:192], 1.0
	v_fma_f64 v[191:192], v[191:192], v[193:194], v[191:192]
	v_mul_f64 v[193:194], v[195:196], v[191:192]
	v_fma_f64 v[189:190], -v[189:190], v[193:194], v[195:196]
	v_div_fmas_f64 v[189:190], v[189:190], v[191:192], v[193:194]
	v_div_fixup_f64 v[189:190], v[189:190], v[187:188], v[185:186]
	v_fma_f64 v[185:186], v[185:186], v[189:190], v[187:188]
	v_div_scale_f64 v[187:188], null, v[185:186], v[185:186], 1.0
	v_rcp_f64_e32 v[191:192], v[187:188]
	v_fma_f64 v[193:194], -v[187:188], v[191:192], 1.0
	v_fma_f64 v[191:192], v[191:192], v[193:194], v[191:192]
	v_fma_f64 v[193:194], -v[187:188], v[191:192], 1.0
	v_fma_f64 v[191:192], v[191:192], v[193:194], v[191:192]
	v_div_scale_f64 v[193:194], vcc_lo, 1.0, v[185:186], 1.0
	v_mul_f64 v[195:196], v[193:194], v[191:192]
	v_fma_f64 v[187:188], -v[187:188], v[195:196], v[193:194]
	v_div_fmas_f64 v[187:188], v[187:188], v[191:192], v[195:196]
	v_div_fixup_f64 v[191:192], v[187:188], v[185:186], 1.0
                                        ; implicit-def: $vgpr185_vgpr186
	v_mul_f64 v[189:190], v[189:190], v[191:192]
	v_xor_b32_e32 v192, 0x80000000, v192
.LBB91_257:
	s_andn2_saveexec_b32 s1, s1
	s_cbranch_execz .LBB91_259
; %bb.258:
	v_div_scale_f64 v[189:190], null, v[185:186], v[185:186], v[187:188]
	v_div_scale_f64 v[195:196], vcc_lo, v[187:188], v[185:186], v[187:188]
	v_rcp_f64_e32 v[191:192], v[189:190]
	v_fma_f64 v[193:194], -v[189:190], v[191:192], 1.0
	v_fma_f64 v[191:192], v[191:192], v[193:194], v[191:192]
	v_fma_f64 v[193:194], -v[189:190], v[191:192], 1.0
	v_fma_f64 v[191:192], v[191:192], v[193:194], v[191:192]
	v_mul_f64 v[193:194], v[195:196], v[191:192]
	v_fma_f64 v[189:190], -v[189:190], v[193:194], v[195:196]
	v_div_fmas_f64 v[189:190], v[189:190], v[191:192], v[193:194]
	v_div_fixup_f64 v[191:192], v[189:190], v[185:186], v[187:188]
	v_fma_f64 v[185:186], v[187:188], v[191:192], v[185:186]
	v_div_scale_f64 v[187:188], null, v[185:186], v[185:186], 1.0
	v_rcp_f64_e32 v[189:190], v[187:188]
	v_fma_f64 v[193:194], -v[187:188], v[189:190], 1.0
	v_fma_f64 v[189:190], v[189:190], v[193:194], v[189:190]
	v_fma_f64 v[193:194], -v[187:188], v[189:190], 1.0
	v_fma_f64 v[189:190], v[189:190], v[193:194], v[189:190]
	v_div_scale_f64 v[193:194], vcc_lo, 1.0, v[185:186], 1.0
	v_mul_f64 v[195:196], v[193:194], v[189:190]
	v_fma_f64 v[187:188], -v[187:188], v[195:196], v[193:194]
	v_div_fmas_f64 v[187:188], v[187:188], v[189:190], v[195:196]
	v_div_fixup_f64 v[189:190], v[187:188], v[185:186], 1.0
	v_mul_f64 v[191:192], v[191:192], -v[189:190]
.LBB91_259:
	s_or_b32 exec_lo, exec_lo, s1
	ds_write2_b64 v255, v[189:190], v[191:192] offset1:1
.LBB91_260:
	s_or_b32 exec_lo, exec_lo, s2
	s_waitcnt lgkmcnt(0)
	s_barrier
	buffer_gl0_inv
	ds_read2_b64 v[185:188], v255 offset1:1
	s_mov_b32 s1, exec_lo
	s_waitcnt lgkmcnt(0)
	buffer_store_dword v185, off, s[16:19], 0 offset:744 ; 4-byte Folded Spill
	buffer_store_dword v186, off, s[16:19], 0 offset:748 ; 4-byte Folded Spill
	;; [unrolled: 1-line block ×4, first 2 shown]
	v_cmpx_lt_u32_e32 28, v0
	s_cbranch_execz .LBB91_262
; %bb.261:
	s_clause 0x3
	buffer_load_dword v187, off, s[16:19], 0 offset:744
	buffer_load_dword v188, off, s[16:19], 0 offset:748
	;; [unrolled: 1-line block ×4, first 2 shown]
	s_waitcnt vmcnt(0)
	v_mul_f64 v[185:186], v[189:190], v[71:72]
	v_mul_f64 v[71:72], v[187:188], v[71:72]
	v_fma_f64 v[185:186], v[187:188], v[69:70], -v[185:186]
	v_fma_f64 v[71:72], v[189:190], v[69:70], v[71:72]
	ds_read2_b64 v[187:190], v253 offset0:58 offset1:59
	s_waitcnt lgkmcnt(0)
	v_mul_f64 v[69:70], v[189:190], v[71:72]
	v_fma_f64 v[69:70], v[187:188], v[185:186], -v[69:70]
	v_mul_f64 v[187:188], v[187:188], v[71:72]
	v_add_f64 v[65:66], v[65:66], -v[69:70]
	v_fma_f64 v[187:188], v[189:190], v[185:186], v[187:188]
	v_add_f64 v[67:68], v[67:68], -v[187:188]
	ds_read2_b64 v[187:190], v253 offset0:60 offset1:61
	s_waitcnt lgkmcnt(0)
	v_mul_f64 v[69:70], v[189:190], v[71:72]
	v_fma_f64 v[69:70], v[187:188], v[185:186], -v[69:70]
	v_mul_f64 v[187:188], v[187:188], v[71:72]
	v_add_f64 v[61:62], v[61:62], -v[69:70]
	v_fma_f64 v[187:188], v[189:190], v[185:186], v[187:188]
	v_add_f64 v[63:64], v[63:64], -v[187:188]
	;; [unrolled: 8-line block ×16, first 2 shown]
	ds_read2_b64 v[187:190], v253 offset0:90 offset1:91
	s_waitcnt lgkmcnt(0)
	v_mul_f64 v[69:70], v[189:190], v[71:72]
	v_fma_f64 v[69:70], v[187:188], v[185:186], -v[69:70]
	v_mul_f64 v[187:188], v[187:188], v[71:72]
	v_add_f64 v[1:2], v[1:2], -v[69:70]
	v_fma_f64 v[187:188], v[189:190], v[185:186], v[187:188]
	v_mov_b32_e32 v69, v185
	v_mov_b32_e32 v70, v186
	v_add_f64 v[3:4], v[3:4], -v[187:188]
.LBB91_262:
	s_or_b32 exec_lo, exec_lo, s1
	s_mov_b32 s2, exec_lo
	s_waitcnt_vscnt null, 0x0
	s_barrier
	buffer_gl0_inv
	v_cmpx_eq_u32_e32 29, v0
	s_cbranch_execz .LBB91_269
; %bb.263:
	ds_write2_b64 v255, v[65:66], v[67:68] offset1:1
	ds_write2_b64 v253, v[61:62], v[63:64] offset0:60 offset1:61
	ds_write2_b64 v253, v[57:58], v[59:60] offset0:62 offset1:63
	;; [unrolled: 1-line block ×16, first 2 shown]
	ds_read2_b64 v[185:188], v255 offset1:1
	s_waitcnt lgkmcnt(0)
	v_cmp_neq_f64_e32 vcc_lo, 0, v[185:186]
	v_cmp_neq_f64_e64 s1, 0, v[187:188]
	s_or_b32 s1, vcc_lo, s1
	s_and_b32 exec_lo, exec_lo, s1
	s_cbranch_execz .LBB91_269
; %bb.264:
	v_cmp_ngt_f64_e64 s1, |v[185:186]|, |v[187:188]|
                                        ; implicit-def: $vgpr189_vgpr190
	s_and_saveexec_b32 s3, s1
	s_xor_b32 s1, exec_lo, s3
                                        ; implicit-def: $vgpr191_vgpr192
	s_cbranch_execz .LBB91_266
; %bb.265:
	v_div_scale_f64 v[189:190], null, v[187:188], v[187:188], v[185:186]
	v_div_scale_f64 v[195:196], vcc_lo, v[185:186], v[187:188], v[185:186]
	v_rcp_f64_e32 v[191:192], v[189:190]
	v_fma_f64 v[193:194], -v[189:190], v[191:192], 1.0
	v_fma_f64 v[191:192], v[191:192], v[193:194], v[191:192]
	v_fma_f64 v[193:194], -v[189:190], v[191:192], 1.0
	v_fma_f64 v[191:192], v[191:192], v[193:194], v[191:192]
	v_mul_f64 v[193:194], v[195:196], v[191:192]
	v_fma_f64 v[189:190], -v[189:190], v[193:194], v[195:196]
	v_div_fmas_f64 v[189:190], v[189:190], v[191:192], v[193:194]
	v_div_fixup_f64 v[189:190], v[189:190], v[187:188], v[185:186]
	v_fma_f64 v[185:186], v[185:186], v[189:190], v[187:188]
	v_div_scale_f64 v[187:188], null, v[185:186], v[185:186], 1.0
	v_rcp_f64_e32 v[191:192], v[187:188]
	v_fma_f64 v[193:194], -v[187:188], v[191:192], 1.0
	v_fma_f64 v[191:192], v[191:192], v[193:194], v[191:192]
	v_fma_f64 v[193:194], -v[187:188], v[191:192], 1.0
	v_fma_f64 v[191:192], v[191:192], v[193:194], v[191:192]
	v_div_scale_f64 v[193:194], vcc_lo, 1.0, v[185:186], 1.0
	v_mul_f64 v[195:196], v[193:194], v[191:192]
	v_fma_f64 v[187:188], -v[187:188], v[195:196], v[193:194]
	v_div_fmas_f64 v[187:188], v[187:188], v[191:192], v[195:196]
	v_div_fixup_f64 v[191:192], v[187:188], v[185:186], 1.0
                                        ; implicit-def: $vgpr185_vgpr186
	v_mul_f64 v[189:190], v[189:190], v[191:192]
	v_xor_b32_e32 v192, 0x80000000, v192
.LBB91_266:
	s_andn2_saveexec_b32 s1, s1
	s_cbranch_execz .LBB91_268
; %bb.267:
	v_div_scale_f64 v[189:190], null, v[185:186], v[185:186], v[187:188]
	v_div_scale_f64 v[195:196], vcc_lo, v[187:188], v[185:186], v[187:188]
	v_rcp_f64_e32 v[191:192], v[189:190]
	v_fma_f64 v[193:194], -v[189:190], v[191:192], 1.0
	v_fma_f64 v[191:192], v[191:192], v[193:194], v[191:192]
	v_fma_f64 v[193:194], -v[189:190], v[191:192], 1.0
	v_fma_f64 v[191:192], v[191:192], v[193:194], v[191:192]
	v_mul_f64 v[193:194], v[195:196], v[191:192]
	v_fma_f64 v[189:190], -v[189:190], v[193:194], v[195:196]
	v_div_fmas_f64 v[189:190], v[189:190], v[191:192], v[193:194]
	v_div_fixup_f64 v[191:192], v[189:190], v[185:186], v[187:188]
	v_fma_f64 v[185:186], v[187:188], v[191:192], v[185:186]
	v_div_scale_f64 v[187:188], null, v[185:186], v[185:186], 1.0
	v_rcp_f64_e32 v[189:190], v[187:188]
	v_fma_f64 v[193:194], -v[187:188], v[189:190], 1.0
	v_fma_f64 v[189:190], v[189:190], v[193:194], v[189:190]
	v_fma_f64 v[193:194], -v[187:188], v[189:190], 1.0
	v_fma_f64 v[189:190], v[189:190], v[193:194], v[189:190]
	v_div_scale_f64 v[193:194], vcc_lo, 1.0, v[185:186], 1.0
	v_mul_f64 v[195:196], v[193:194], v[189:190]
	v_fma_f64 v[187:188], -v[187:188], v[195:196], v[193:194]
	v_div_fmas_f64 v[187:188], v[187:188], v[189:190], v[195:196]
	v_div_fixup_f64 v[189:190], v[187:188], v[185:186], 1.0
	v_mul_f64 v[191:192], v[191:192], -v[189:190]
.LBB91_268:
	s_or_b32 exec_lo, exec_lo, s1
	ds_write2_b64 v255, v[189:190], v[191:192] offset1:1
.LBB91_269:
	s_or_b32 exec_lo, exec_lo, s2
	s_waitcnt lgkmcnt(0)
	s_barrier
	buffer_gl0_inv
	ds_read2_b64 v[185:188], v255 offset1:1
	s_mov_b32 s1, exec_lo
	s_waitcnt lgkmcnt(0)
	buffer_store_dword v185, off, s[16:19], 0 offset:760 ; 4-byte Folded Spill
	buffer_store_dword v186, off, s[16:19], 0 offset:764 ; 4-byte Folded Spill
	;; [unrolled: 1-line block ×4, first 2 shown]
	v_cmpx_lt_u32_e32 29, v0
	s_cbranch_execz .LBB91_271
; %bb.270:
	s_clause 0x3
	buffer_load_dword v187, off, s[16:19], 0 offset:760
	buffer_load_dword v188, off, s[16:19], 0 offset:764
	;; [unrolled: 1-line block ×4, first 2 shown]
	s_waitcnt vmcnt(2)
	v_mul_f64 v[185:186], v[187:188], v[67:68]
	s_waitcnt vmcnt(0)
	v_mul_f64 v[67:68], v[189:190], v[67:68]
	v_fma_f64 v[185:186], v[189:190], v[65:66], v[185:186]
	v_fma_f64 v[65:66], v[187:188], v[65:66], -v[67:68]
	ds_read2_b64 v[187:190], v253 offset0:60 offset1:61
	s_waitcnt lgkmcnt(0)
	v_mul_f64 v[67:68], v[189:190], v[185:186]
	v_fma_f64 v[67:68], v[187:188], v[65:66], -v[67:68]
	v_mul_f64 v[187:188], v[187:188], v[185:186]
	v_add_f64 v[61:62], v[61:62], -v[67:68]
	v_fma_f64 v[187:188], v[189:190], v[65:66], v[187:188]
	v_add_f64 v[63:64], v[63:64], -v[187:188]
	ds_read2_b64 v[187:190], v253 offset0:62 offset1:63
	s_waitcnt lgkmcnt(0)
	v_mul_f64 v[67:68], v[189:190], v[185:186]
	v_fma_f64 v[67:68], v[187:188], v[65:66], -v[67:68]
	v_mul_f64 v[187:188], v[187:188], v[185:186]
	v_add_f64 v[57:58], v[57:58], -v[67:68]
	v_fma_f64 v[187:188], v[189:190], v[65:66], v[187:188]
	v_add_f64 v[59:60], v[59:60], -v[187:188]
	;; [unrolled: 8-line block ×15, first 2 shown]
	ds_read2_b64 v[187:190], v253 offset0:90 offset1:91
	s_waitcnt lgkmcnt(0)
	v_mul_f64 v[67:68], v[189:190], v[185:186]
	v_fma_f64 v[67:68], v[187:188], v[65:66], -v[67:68]
	v_mul_f64 v[187:188], v[187:188], v[185:186]
	v_add_f64 v[1:2], v[1:2], -v[67:68]
	v_fma_f64 v[187:188], v[189:190], v[65:66], v[187:188]
	v_mov_b32_e32 v67, v185
	v_mov_b32_e32 v68, v186
	v_add_f64 v[3:4], v[3:4], -v[187:188]
.LBB91_271:
	s_or_b32 exec_lo, exec_lo, s1
	s_mov_b32 s2, exec_lo
	s_waitcnt_vscnt null, 0x0
	s_barrier
	buffer_gl0_inv
	v_cmpx_eq_u32_e32 30, v0
	s_cbranch_execz .LBB91_278
; %bb.272:
	ds_write2_b64 v255, v[61:62], v[63:64] offset1:1
	ds_write2_b64 v253, v[57:58], v[59:60] offset0:62 offset1:63
	ds_write2_b64 v253, v[53:54], v[55:56] offset0:64 offset1:65
	;; [unrolled: 1-line block ×15, first 2 shown]
	ds_read2_b64 v[185:188], v255 offset1:1
	s_waitcnt lgkmcnt(0)
	v_cmp_neq_f64_e32 vcc_lo, 0, v[185:186]
	v_cmp_neq_f64_e64 s1, 0, v[187:188]
	s_or_b32 s1, vcc_lo, s1
	s_and_b32 exec_lo, exec_lo, s1
	s_cbranch_execz .LBB91_278
; %bb.273:
	v_cmp_ngt_f64_e64 s1, |v[185:186]|, |v[187:188]|
                                        ; implicit-def: $vgpr189_vgpr190
	s_and_saveexec_b32 s3, s1
	s_xor_b32 s1, exec_lo, s3
                                        ; implicit-def: $vgpr191_vgpr192
	s_cbranch_execz .LBB91_275
; %bb.274:
	v_div_scale_f64 v[189:190], null, v[187:188], v[187:188], v[185:186]
	v_div_scale_f64 v[195:196], vcc_lo, v[185:186], v[187:188], v[185:186]
	v_rcp_f64_e32 v[191:192], v[189:190]
	v_fma_f64 v[193:194], -v[189:190], v[191:192], 1.0
	v_fma_f64 v[191:192], v[191:192], v[193:194], v[191:192]
	v_fma_f64 v[193:194], -v[189:190], v[191:192], 1.0
	v_fma_f64 v[191:192], v[191:192], v[193:194], v[191:192]
	v_mul_f64 v[193:194], v[195:196], v[191:192]
	v_fma_f64 v[189:190], -v[189:190], v[193:194], v[195:196]
	v_div_fmas_f64 v[189:190], v[189:190], v[191:192], v[193:194]
	v_div_fixup_f64 v[189:190], v[189:190], v[187:188], v[185:186]
	v_fma_f64 v[185:186], v[185:186], v[189:190], v[187:188]
	v_div_scale_f64 v[187:188], null, v[185:186], v[185:186], 1.0
	v_rcp_f64_e32 v[191:192], v[187:188]
	v_fma_f64 v[193:194], -v[187:188], v[191:192], 1.0
	v_fma_f64 v[191:192], v[191:192], v[193:194], v[191:192]
	v_fma_f64 v[193:194], -v[187:188], v[191:192], 1.0
	v_fma_f64 v[191:192], v[191:192], v[193:194], v[191:192]
	v_div_scale_f64 v[193:194], vcc_lo, 1.0, v[185:186], 1.0
	v_mul_f64 v[195:196], v[193:194], v[191:192]
	v_fma_f64 v[187:188], -v[187:188], v[195:196], v[193:194]
	v_div_fmas_f64 v[187:188], v[187:188], v[191:192], v[195:196]
	v_div_fixup_f64 v[191:192], v[187:188], v[185:186], 1.0
                                        ; implicit-def: $vgpr185_vgpr186
	v_mul_f64 v[189:190], v[189:190], v[191:192]
	v_xor_b32_e32 v192, 0x80000000, v192
.LBB91_275:
	s_andn2_saveexec_b32 s1, s1
	s_cbranch_execz .LBB91_277
; %bb.276:
	v_div_scale_f64 v[189:190], null, v[185:186], v[185:186], v[187:188]
	v_div_scale_f64 v[195:196], vcc_lo, v[187:188], v[185:186], v[187:188]
	v_rcp_f64_e32 v[191:192], v[189:190]
	v_fma_f64 v[193:194], -v[189:190], v[191:192], 1.0
	v_fma_f64 v[191:192], v[191:192], v[193:194], v[191:192]
	v_fma_f64 v[193:194], -v[189:190], v[191:192], 1.0
	v_fma_f64 v[191:192], v[191:192], v[193:194], v[191:192]
	v_mul_f64 v[193:194], v[195:196], v[191:192]
	v_fma_f64 v[189:190], -v[189:190], v[193:194], v[195:196]
	v_div_fmas_f64 v[189:190], v[189:190], v[191:192], v[193:194]
	v_div_fixup_f64 v[191:192], v[189:190], v[185:186], v[187:188]
	v_fma_f64 v[185:186], v[187:188], v[191:192], v[185:186]
	v_div_scale_f64 v[187:188], null, v[185:186], v[185:186], 1.0
	v_rcp_f64_e32 v[189:190], v[187:188]
	v_fma_f64 v[193:194], -v[187:188], v[189:190], 1.0
	v_fma_f64 v[189:190], v[189:190], v[193:194], v[189:190]
	v_fma_f64 v[193:194], -v[187:188], v[189:190], 1.0
	v_fma_f64 v[189:190], v[189:190], v[193:194], v[189:190]
	v_div_scale_f64 v[193:194], vcc_lo, 1.0, v[185:186], 1.0
	v_mul_f64 v[195:196], v[193:194], v[189:190]
	v_fma_f64 v[187:188], -v[187:188], v[195:196], v[193:194]
	v_div_fmas_f64 v[187:188], v[187:188], v[189:190], v[195:196]
	v_div_fixup_f64 v[189:190], v[187:188], v[185:186], 1.0
	v_mul_f64 v[191:192], v[191:192], -v[189:190]
.LBB91_277:
	s_or_b32 exec_lo, exec_lo, s1
	ds_write2_b64 v255, v[189:190], v[191:192] offset1:1
.LBB91_278:
	s_or_b32 exec_lo, exec_lo, s2
	s_waitcnt lgkmcnt(0)
	s_barrier
	buffer_gl0_inv
	ds_read2_b64 v[185:188], v255 offset1:1
	s_mov_b32 s1, exec_lo
	s_waitcnt lgkmcnt(0)
	buffer_store_dword v185, off, s[16:19], 0 offset:776 ; 4-byte Folded Spill
	buffer_store_dword v186, off, s[16:19], 0 offset:780 ; 4-byte Folded Spill
	;; [unrolled: 1-line block ×4, first 2 shown]
	v_cmpx_lt_u32_e32 30, v0
	s_cbranch_execz .LBB91_280
; %bb.279:
	s_clause 0x3
	buffer_load_dword v187, off, s[16:19], 0 offset:776
	buffer_load_dword v188, off, s[16:19], 0 offset:780
	;; [unrolled: 1-line block ×4, first 2 shown]
	s_waitcnt vmcnt(2)
	v_mul_f64 v[185:186], v[187:188], v[63:64]
	s_waitcnt vmcnt(0)
	v_mul_f64 v[63:64], v[189:190], v[63:64]
	v_fma_f64 v[185:186], v[189:190], v[61:62], v[185:186]
	v_fma_f64 v[61:62], v[187:188], v[61:62], -v[63:64]
	ds_read2_b64 v[187:190], v253 offset0:62 offset1:63
	s_waitcnt lgkmcnt(0)
	v_mul_f64 v[63:64], v[189:190], v[185:186]
	v_fma_f64 v[63:64], v[187:188], v[61:62], -v[63:64]
	v_mul_f64 v[187:188], v[187:188], v[185:186]
	v_add_f64 v[57:58], v[57:58], -v[63:64]
	v_fma_f64 v[187:188], v[189:190], v[61:62], v[187:188]
	v_add_f64 v[59:60], v[59:60], -v[187:188]
	ds_read2_b64 v[187:190], v253 offset0:64 offset1:65
	s_waitcnt lgkmcnt(0)
	v_mul_f64 v[63:64], v[189:190], v[185:186]
	v_fma_f64 v[63:64], v[187:188], v[61:62], -v[63:64]
	v_mul_f64 v[187:188], v[187:188], v[185:186]
	v_add_f64 v[53:54], v[53:54], -v[63:64]
	v_fma_f64 v[187:188], v[189:190], v[61:62], v[187:188]
	v_add_f64 v[55:56], v[55:56], -v[187:188]
	;; [unrolled: 8-line block ×14, first 2 shown]
	ds_read2_b64 v[187:190], v253 offset0:90 offset1:91
	s_waitcnt lgkmcnt(0)
	v_mul_f64 v[63:64], v[189:190], v[185:186]
	v_fma_f64 v[63:64], v[187:188], v[61:62], -v[63:64]
	v_mul_f64 v[187:188], v[187:188], v[185:186]
	v_add_f64 v[1:2], v[1:2], -v[63:64]
	v_fma_f64 v[187:188], v[189:190], v[61:62], v[187:188]
	v_mov_b32_e32 v63, v185
	v_mov_b32_e32 v64, v186
	v_add_f64 v[3:4], v[3:4], -v[187:188]
.LBB91_280:
	s_or_b32 exec_lo, exec_lo, s1
	s_mov_b32 s2, exec_lo
	s_waitcnt_vscnt null, 0x0
	s_barrier
	buffer_gl0_inv
	v_cmpx_eq_u32_e32 31, v0
	s_cbranch_execz .LBB91_287
; %bb.281:
	ds_write2_b64 v255, v[57:58], v[59:60] offset1:1
	ds_write2_b64 v253, v[53:54], v[55:56] offset0:64 offset1:65
	ds_write2_b64 v253, v[49:50], v[51:52] offset0:66 offset1:67
	ds_write2_b64 v253, v[45:46], v[47:48] offset0:68 offset1:69
	ds_write2_b64 v253, v[41:42], v[43:44] offset0:70 offset1:71
	ds_write2_b64 v253, v[37:38], v[39:40] offset0:72 offset1:73
	ds_write2_b64 v253, v[33:34], v[35:36] offset0:74 offset1:75
	ds_write2_b64 v253, v[29:30], v[31:32] offset0:76 offset1:77
	ds_write2_b64 v253, v[25:26], v[27:28] offset0:78 offset1:79
	ds_write2_b64 v253, v[21:22], v[23:24] offset0:80 offset1:81
	ds_write2_b64 v253, v[17:18], v[19:20] offset0:82 offset1:83
	ds_write2_b64 v253, v[13:14], v[15:16] offset0:84 offset1:85
	ds_write2_b64 v253, v[9:10], v[11:12] offset0:86 offset1:87
	ds_write2_b64 v253, v[5:6], v[7:8] offset0:88 offset1:89
	ds_write2_b64 v253, v[1:2], v[3:4] offset0:90 offset1:91
	ds_read2_b64 v[185:188], v255 offset1:1
	s_waitcnt lgkmcnt(0)
	v_cmp_neq_f64_e32 vcc_lo, 0, v[185:186]
	v_cmp_neq_f64_e64 s1, 0, v[187:188]
	s_or_b32 s1, vcc_lo, s1
	s_and_b32 exec_lo, exec_lo, s1
	s_cbranch_execz .LBB91_287
; %bb.282:
	v_cmp_ngt_f64_e64 s1, |v[185:186]|, |v[187:188]|
                                        ; implicit-def: $vgpr189_vgpr190
	s_and_saveexec_b32 s3, s1
	s_xor_b32 s1, exec_lo, s3
                                        ; implicit-def: $vgpr191_vgpr192
	s_cbranch_execz .LBB91_284
; %bb.283:
	v_div_scale_f64 v[189:190], null, v[187:188], v[187:188], v[185:186]
	v_div_scale_f64 v[195:196], vcc_lo, v[185:186], v[187:188], v[185:186]
	v_rcp_f64_e32 v[191:192], v[189:190]
	v_fma_f64 v[193:194], -v[189:190], v[191:192], 1.0
	v_fma_f64 v[191:192], v[191:192], v[193:194], v[191:192]
	v_fma_f64 v[193:194], -v[189:190], v[191:192], 1.0
	v_fma_f64 v[191:192], v[191:192], v[193:194], v[191:192]
	v_mul_f64 v[193:194], v[195:196], v[191:192]
	v_fma_f64 v[189:190], -v[189:190], v[193:194], v[195:196]
	v_div_fmas_f64 v[189:190], v[189:190], v[191:192], v[193:194]
	v_div_fixup_f64 v[189:190], v[189:190], v[187:188], v[185:186]
	v_fma_f64 v[185:186], v[185:186], v[189:190], v[187:188]
	v_div_scale_f64 v[187:188], null, v[185:186], v[185:186], 1.0
	v_rcp_f64_e32 v[191:192], v[187:188]
	v_fma_f64 v[193:194], -v[187:188], v[191:192], 1.0
	v_fma_f64 v[191:192], v[191:192], v[193:194], v[191:192]
	v_fma_f64 v[193:194], -v[187:188], v[191:192], 1.0
	v_fma_f64 v[191:192], v[191:192], v[193:194], v[191:192]
	v_div_scale_f64 v[193:194], vcc_lo, 1.0, v[185:186], 1.0
	v_mul_f64 v[195:196], v[193:194], v[191:192]
	v_fma_f64 v[187:188], -v[187:188], v[195:196], v[193:194]
	v_div_fmas_f64 v[187:188], v[187:188], v[191:192], v[195:196]
	v_div_fixup_f64 v[191:192], v[187:188], v[185:186], 1.0
                                        ; implicit-def: $vgpr185_vgpr186
	v_mul_f64 v[189:190], v[189:190], v[191:192]
	v_xor_b32_e32 v192, 0x80000000, v192
.LBB91_284:
	s_andn2_saveexec_b32 s1, s1
	s_cbranch_execz .LBB91_286
; %bb.285:
	v_div_scale_f64 v[189:190], null, v[185:186], v[185:186], v[187:188]
	v_div_scale_f64 v[195:196], vcc_lo, v[187:188], v[185:186], v[187:188]
	v_rcp_f64_e32 v[191:192], v[189:190]
	v_fma_f64 v[193:194], -v[189:190], v[191:192], 1.0
	v_fma_f64 v[191:192], v[191:192], v[193:194], v[191:192]
	v_fma_f64 v[193:194], -v[189:190], v[191:192], 1.0
	v_fma_f64 v[191:192], v[191:192], v[193:194], v[191:192]
	v_mul_f64 v[193:194], v[195:196], v[191:192]
	v_fma_f64 v[189:190], -v[189:190], v[193:194], v[195:196]
	v_div_fmas_f64 v[189:190], v[189:190], v[191:192], v[193:194]
	v_div_fixup_f64 v[191:192], v[189:190], v[185:186], v[187:188]
	v_fma_f64 v[185:186], v[187:188], v[191:192], v[185:186]
	v_div_scale_f64 v[187:188], null, v[185:186], v[185:186], 1.0
	v_rcp_f64_e32 v[189:190], v[187:188]
	v_fma_f64 v[193:194], -v[187:188], v[189:190], 1.0
	v_fma_f64 v[189:190], v[189:190], v[193:194], v[189:190]
	v_fma_f64 v[193:194], -v[187:188], v[189:190], 1.0
	v_fma_f64 v[189:190], v[189:190], v[193:194], v[189:190]
	v_div_scale_f64 v[193:194], vcc_lo, 1.0, v[185:186], 1.0
	v_mul_f64 v[195:196], v[193:194], v[189:190]
	v_fma_f64 v[187:188], -v[187:188], v[195:196], v[193:194]
	v_div_fmas_f64 v[187:188], v[187:188], v[189:190], v[195:196]
	v_div_fixup_f64 v[189:190], v[187:188], v[185:186], 1.0
	v_mul_f64 v[191:192], v[191:192], -v[189:190]
.LBB91_286:
	s_or_b32 exec_lo, exec_lo, s1
	ds_write2_b64 v255, v[189:190], v[191:192] offset1:1
.LBB91_287:
	s_or_b32 exec_lo, exec_lo, s2
	s_waitcnt lgkmcnt(0)
	s_barrier
	buffer_gl0_inv
	ds_read2_b64 v[185:188], v255 offset1:1
	s_mov_b32 s1, exec_lo
	s_waitcnt lgkmcnt(0)
	buffer_store_dword v185, off, s[16:19], 0 offset:792 ; 4-byte Folded Spill
	buffer_store_dword v186, off, s[16:19], 0 offset:796 ; 4-byte Folded Spill
	;; [unrolled: 1-line block ×4, first 2 shown]
	v_cmpx_lt_u32_e32 31, v0
	s_cbranch_execz .LBB91_289
; %bb.288:
	s_clause 0x3
	buffer_load_dword v187, off, s[16:19], 0 offset:792
	buffer_load_dword v188, off, s[16:19], 0 offset:796
	;; [unrolled: 1-line block ×4, first 2 shown]
	s_waitcnt vmcnt(2)
	v_mul_f64 v[185:186], v[187:188], v[59:60]
	s_waitcnt vmcnt(0)
	v_mul_f64 v[59:60], v[189:190], v[59:60]
	v_fma_f64 v[185:186], v[189:190], v[57:58], v[185:186]
	v_fma_f64 v[57:58], v[187:188], v[57:58], -v[59:60]
	ds_read2_b64 v[187:190], v253 offset0:64 offset1:65
	s_waitcnt lgkmcnt(0)
	v_mul_f64 v[59:60], v[189:190], v[185:186]
	v_fma_f64 v[59:60], v[187:188], v[57:58], -v[59:60]
	v_mul_f64 v[187:188], v[187:188], v[185:186]
	v_add_f64 v[53:54], v[53:54], -v[59:60]
	v_fma_f64 v[187:188], v[189:190], v[57:58], v[187:188]
	v_add_f64 v[55:56], v[55:56], -v[187:188]
	ds_read2_b64 v[187:190], v253 offset0:66 offset1:67
	s_waitcnt lgkmcnt(0)
	v_mul_f64 v[59:60], v[189:190], v[185:186]
	v_fma_f64 v[59:60], v[187:188], v[57:58], -v[59:60]
	v_mul_f64 v[187:188], v[187:188], v[185:186]
	v_add_f64 v[49:50], v[49:50], -v[59:60]
	v_fma_f64 v[187:188], v[189:190], v[57:58], v[187:188]
	v_add_f64 v[51:52], v[51:52], -v[187:188]
	;; [unrolled: 8-line block ×13, first 2 shown]
	ds_read2_b64 v[187:190], v253 offset0:90 offset1:91
	s_waitcnt lgkmcnt(0)
	v_mul_f64 v[59:60], v[189:190], v[185:186]
	v_fma_f64 v[59:60], v[187:188], v[57:58], -v[59:60]
	v_mul_f64 v[187:188], v[187:188], v[185:186]
	v_add_f64 v[1:2], v[1:2], -v[59:60]
	v_fma_f64 v[187:188], v[189:190], v[57:58], v[187:188]
	v_mov_b32_e32 v59, v185
	v_mov_b32_e32 v60, v186
	v_add_f64 v[3:4], v[3:4], -v[187:188]
.LBB91_289:
	s_or_b32 exec_lo, exec_lo, s1
	s_mov_b32 s2, exec_lo
	s_waitcnt_vscnt null, 0x0
	s_barrier
	buffer_gl0_inv
	v_cmpx_eq_u32_e32 32, v0
	s_cbranch_execz .LBB91_296
; %bb.290:
	ds_write2_b64 v255, v[53:54], v[55:56] offset1:1
	ds_write2_b64 v253, v[49:50], v[51:52] offset0:66 offset1:67
	ds_write2_b64 v253, v[45:46], v[47:48] offset0:68 offset1:69
	;; [unrolled: 1-line block ×13, first 2 shown]
	ds_read2_b64 v[185:188], v255 offset1:1
	s_waitcnt lgkmcnt(0)
	v_cmp_neq_f64_e32 vcc_lo, 0, v[185:186]
	v_cmp_neq_f64_e64 s1, 0, v[187:188]
	s_or_b32 s1, vcc_lo, s1
	s_and_b32 exec_lo, exec_lo, s1
	s_cbranch_execz .LBB91_296
; %bb.291:
	v_cmp_ngt_f64_e64 s1, |v[185:186]|, |v[187:188]|
                                        ; implicit-def: $vgpr189_vgpr190
	s_and_saveexec_b32 s3, s1
	s_xor_b32 s1, exec_lo, s3
                                        ; implicit-def: $vgpr191_vgpr192
	s_cbranch_execz .LBB91_293
; %bb.292:
	v_div_scale_f64 v[189:190], null, v[187:188], v[187:188], v[185:186]
	v_div_scale_f64 v[195:196], vcc_lo, v[185:186], v[187:188], v[185:186]
	v_rcp_f64_e32 v[191:192], v[189:190]
	v_fma_f64 v[193:194], -v[189:190], v[191:192], 1.0
	v_fma_f64 v[191:192], v[191:192], v[193:194], v[191:192]
	v_fma_f64 v[193:194], -v[189:190], v[191:192], 1.0
	v_fma_f64 v[191:192], v[191:192], v[193:194], v[191:192]
	v_mul_f64 v[193:194], v[195:196], v[191:192]
	v_fma_f64 v[189:190], -v[189:190], v[193:194], v[195:196]
	v_div_fmas_f64 v[189:190], v[189:190], v[191:192], v[193:194]
	v_div_fixup_f64 v[189:190], v[189:190], v[187:188], v[185:186]
	v_fma_f64 v[185:186], v[185:186], v[189:190], v[187:188]
	v_div_scale_f64 v[187:188], null, v[185:186], v[185:186], 1.0
	v_rcp_f64_e32 v[191:192], v[187:188]
	v_fma_f64 v[193:194], -v[187:188], v[191:192], 1.0
	v_fma_f64 v[191:192], v[191:192], v[193:194], v[191:192]
	v_fma_f64 v[193:194], -v[187:188], v[191:192], 1.0
	v_fma_f64 v[191:192], v[191:192], v[193:194], v[191:192]
	v_div_scale_f64 v[193:194], vcc_lo, 1.0, v[185:186], 1.0
	v_mul_f64 v[195:196], v[193:194], v[191:192]
	v_fma_f64 v[187:188], -v[187:188], v[195:196], v[193:194]
	v_div_fmas_f64 v[187:188], v[187:188], v[191:192], v[195:196]
	v_div_fixup_f64 v[191:192], v[187:188], v[185:186], 1.0
                                        ; implicit-def: $vgpr185_vgpr186
	v_mul_f64 v[189:190], v[189:190], v[191:192]
	v_xor_b32_e32 v192, 0x80000000, v192
.LBB91_293:
	s_andn2_saveexec_b32 s1, s1
	s_cbranch_execz .LBB91_295
; %bb.294:
	v_div_scale_f64 v[189:190], null, v[185:186], v[185:186], v[187:188]
	v_div_scale_f64 v[195:196], vcc_lo, v[187:188], v[185:186], v[187:188]
	v_rcp_f64_e32 v[191:192], v[189:190]
	v_fma_f64 v[193:194], -v[189:190], v[191:192], 1.0
	v_fma_f64 v[191:192], v[191:192], v[193:194], v[191:192]
	v_fma_f64 v[193:194], -v[189:190], v[191:192], 1.0
	v_fma_f64 v[191:192], v[191:192], v[193:194], v[191:192]
	v_mul_f64 v[193:194], v[195:196], v[191:192]
	v_fma_f64 v[189:190], -v[189:190], v[193:194], v[195:196]
	v_div_fmas_f64 v[189:190], v[189:190], v[191:192], v[193:194]
	v_div_fixup_f64 v[191:192], v[189:190], v[185:186], v[187:188]
	v_fma_f64 v[185:186], v[187:188], v[191:192], v[185:186]
	v_div_scale_f64 v[187:188], null, v[185:186], v[185:186], 1.0
	v_rcp_f64_e32 v[189:190], v[187:188]
	v_fma_f64 v[193:194], -v[187:188], v[189:190], 1.0
	v_fma_f64 v[189:190], v[189:190], v[193:194], v[189:190]
	v_fma_f64 v[193:194], -v[187:188], v[189:190], 1.0
	v_fma_f64 v[189:190], v[189:190], v[193:194], v[189:190]
	v_div_scale_f64 v[193:194], vcc_lo, 1.0, v[185:186], 1.0
	v_mul_f64 v[195:196], v[193:194], v[189:190]
	v_fma_f64 v[187:188], -v[187:188], v[195:196], v[193:194]
	v_div_fmas_f64 v[187:188], v[187:188], v[189:190], v[195:196]
	v_div_fixup_f64 v[189:190], v[187:188], v[185:186], 1.0
	v_mul_f64 v[191:192], v[191:192], -v[189:190]
.LBB91_295:
	s_or_b32 exec_lo, exec_lo, s1
	ds_write2_b64 v255, v[189:190], v[191:192] offset1:1
.LBB91_296:
	s_or_b32 exec_lo, exec_lo, s2
	s_waitcnt lgkmcnt(0)
	s_barrier
	buffer_gl0_inv
	ds_read2_b64 v[185:188], v255 offset1:1
	s_mov_b32 s1, exec_lo
	s_waitcnt lgkmcnt(0)
	buffer_store_dword v185, off, s[16:19], 0 offset:808 ; 4-byte Folded Spill
	buffer_store_dword v186, off, s[16:19], 0 offset:812 ; 4-byte Folded Spill
	buffer_store_dword v187, off, s[16:19], 0 offset:816 ; 4-byte Folded Spill
	buffer_store_dword v188, off, s[16:19], 0 offset:820 ; 4-byte Folded Spill
	v_cmpx_lt_u32_e32 32, v0
	s_cbranch_execz .LBB91_298
; %bb.297:
	s_clause 0x3
	buffer_load_dword v187, off, s[16:19], 0 offset:808
	buffer_load_dword v188, off, s[16:19], 0 offset:812
	;; [unrolled: 1-line block ×4, first 2 shown]
	s_waitcnt vmcnt(2)
	v_mul_f64 v[185:186], v[187:188], v[55:56]
	s_waitcnt vmcnt(0)
	v_mul_f64 v[55:56], v[189:190], v[55:56]
	v_fma_f64 v[185:186], v[189:190], v[53:54], v[185:186]
	v_fma_f64 v[53:54], v[187:188], v[53:54], -v[55:56]
	ds_read2_b64 v[187:190], v253 offset0:66 offset1:67
	s_waitcnt lgkmcnt(0)
	v_mul_f64 v[55:56], v[189:190], v[185:186]
	v_fma_f64 v[55:56], v[187:188], v[53:54], -v[55:56]
	v_mul_f64 v[187:188], v[187:188], v[185:186]
	v_add_f64 v[49:50], v[49:50], -v[55:56]
	v_fma_f64 v[187:188], v[189:190], v[53:54], v[187:188]
	v_add_f64 v[51:52], v[51:52], -v[187:188]
	ds_read2_b64 v[187:190], v253 offset0:68 offset1:69
	s_waitcnt lgkmcnt(0)
	v_mul_f64 v[55:56], v[189:190], v[185:186]
	v_fma_f64 v[55:56], v[187:188], v[53:54], -v[55:56]
	v_mul_f64 v[187:188], v[187:188], v[185:186]
	v_add_f64 v[45:46], v[45:46], -v[55:56]
	v_fma_f64 v[187:188], v[189:190], v[53:54], v[187:188]
	v_add_f64 v[47:48], v[47:48], -v[187:188]
	;; [unrolled: 8-line block ×12, first 2 shown]
	ds_read2_b64 v[187:190], v253 offset0:90 offset1:91
	s_waitcnt lgkmcnt(0)
	v_mul_f64 v[55:56], v[189:190], v[185:186]
	v_fma_f64 v[55:56], v[187:188], v[53:54], -v[55:56]
	v_mul_f64 v[187:188], v[187:188], v[185:186]
	v_add_f64 v[1:2], v[1:2], -v[55:56]
	v_fma_f64 v[187:188], v[189:190], v[53:54], v[187:188]
	v_mov_b32_e32 v55, v185
	v_mov_b32_e32 v56, v186
	v_add_f64 v[3:4], v[3:4], -v[187:188]
.LBB91_298:
	s_or_b32 exec_lo, exec_lo, s1
	s_mov_b32 s2, exec_lo
	s_waitcnt_vscnt null, 0x0
	s_barrier
	buffer_gl0_inv
	v_cmpx_eq_u32_e32 33, v0
	s_cbranch_execz .LBB91_305
; %bb.299:
	ds_write2_b64 v255, v[49:50], v[51:52] offset1:1
	ds_write2_b64 v253, v[45:46], v[47:48] offset0:68 offset1:69
	ds_write2_b64 v253, v[41:42], v[43:44] offset0:70 offset1:71
	;; [unrolled: 1-line block ×12, first 2 shown]
	ds_read2_b64 v[185:188], v255 offset1:1
	s_waitcnt lgkmcnt(0)
	v_cmp_neq_f64_e32 vcc_lo, 0, v[185:186]
	v_cmp_neq_f64_e64 s1, 0, v[187:188]
	s_or_b32 s1, vcc_lo, s1
	s_and_b32 exec_lo, exec_lo, s1
	s_cbranch_execz .LBB91_305
; %bb.300:
	v_cmp_ngt_f64_e64 s1, |v[185:186]|, |v[187:188]|
                                        ; implicit-def: $vgpr189_vgpr190
	s_and_saveexec_b32 s3, s1
	s_xor_b32 s1, exec_lo, s3
                                        ; implicit-def: $vgpr191_vgpr192
	s_cbranch_execz .LBB91_302
; %bb.301:
	v_div_scale_f64 v[189:190], null, v[187:188], v[187:188], v[185:186]
	v_div_scale_f64 v[195:196], vcc_lo, v[185:186], v[187:188], v[185:186]
	v_rcp_f64_e32 v[191:192], v[189:190]
	v_fma_f64 v[193:194], -v[189:190], v[191:192], 1.0
	v_fma_f64 v[191:192], v[191:192], v[193:194], v[191:192]
	v_fma_f64 v[193:194], -v[189:190], v[191:192], 1.0
	v_fma_f64 v[191:192], v[191:192], v[193:194], v[191:192]
	v_mul_f64 v[193:194], v[195:196], v[191:192]
	v_fma_f64 v[189:190], -v[189:190], v[193:194], v[195:196]
	v_div_fmas_f64 v[189:190], v[189:190], v[191:192], v[193:194]
	v_div_fixup_f64 v[189:190], v[189:190], v[187:188], v[185:186]
	v_fma_f64 v[185:186], v[185:186], v[189:190], v[187:188]
	v_div_scale_f64 v[187:188], null, v[185:186], v[185:186], 1.0
	v_rcp_f64_e32 v[191:192], v[187:188]
	v_fma_f64 v[193:194], -v[187:188], v[191:192], 1.0
	v_fma_f64 v[191:192], v[191:192], v[193:194], v[191:192]
	v_fma_f64 v[193:194], -v[187:188], v[191:192], 1.0
	v_fma_f64 v[191:192], v[191:192], v[193:194], v[191:192]
	v_div_scale_f64 v[193:194], vcc_lo, 1.0, v[185:186], 1.0
	v_mul_f64 v[195:196], v[193:194], v[191:192]
	v_fma_f64 v[187:188], -v[187:188], v[195:196], v[193:194]
	v_div_fmas_f64 v[187:188], v[187:188], v[191:192], v[195:196]
	v_div_fixup_f64 v[191:192], v[187:188], v[185:186], 1.0
                                        ; implicit-def: $vgpr185_vgpr186
	v_mul_f64 v[189:190], v[189:190], v[191:192]
	v_xor_b32_e32 v192, 0x80000000, v192
.LBB91_302:
	s_andn2_saveexec_b32 s1, s1
	s_cbranch_execz .LBB91_304
; %bb.303:
	v_div_scale_f64 v[189:190], null, v[185:186], v[185:186], v[187:188]
	v_div_scale_f64 v[195:196], vcc_lo, v[187:188], v[185:186], v[187:188]
	v_rcp_f64_e32 v[191:192], v[189:190]
	v_fma_f64 v[193:194], -v[189:190], v[191:192], 1.0
	v_fma_f64 v[191:192], v[191:192], v[193:194], v[191:192]
	v_fma_f64 v[193:194], -v[189:190], v[191:192], 1.0
	v_fma_f64 v[191:192], v[191:192], v[193:194], v[191:192]
	v_mul_f64 v[193:194], v[195:196], v[191:192]
	v_fma_f64 v[189:190], -v[189:190], v[193:194], v[195:196]
	v_div_fmas_f64 v[189:190], v[189:190], v[191:192], v[193:194]
	v_div_fixup_f64 v[191:192], v[189:190], v[185:186], v[187:188]
	v_fma_f64 v[185:186], v[187:188], v[191:192], v[185:186]
	v_div_scale_f64 v[187:188], null, v[185:186], v[185:186], 1.0
	v_rcp_f64_e32 v[189:190], v[187:188]
	v_fma_f64 v[193:194], -v[187:188], v[189:190], 1.0
	v_fma_f64 v[189:190], v[189:190], v[193:194], v[189:190]
	v_fma_f64 v[193:194], -v[187:188], v[189:190], 1.0
	v_fma_f64 v[189:190], v[189:190], v[193:194], v[189:190]
	v_div_scale_f64 v[193:194], vcc_lo, 1.0, v[185:186], 1.0
	v_mul_f64 v[195:196], v[193:194], v[189:190]
	v_fma_f64 v[187:188], -v[187:188], v[195:196], v[193:194]
	v_div_fmas_f64 v[187:188], v[187:188], v[189:190], v[195:196]
	v_div_fixup_f64 v[189:190], v[187:188], v[185:186], 1.0
	v_mul_f64 v[191:192], v[191:192], -v[189:190]
.LBB91_304:
	s_or_b32 exec_lo, exec_lo, s1
	ds_write2_b64 v255, v[189:190], v[191:192] offset1:1
.LBB91_305:
	s_or_b32 exec_lo, exec_lo, s2
	s_waitcnt lgkmcnt(0)
	s_barrier
	buffer_gl0_inv
	ds_read2_b64 v[185:188], v255 offset1:1
	s_mov_b32 s1, exec_lo
	s_waitcnt lgkmcnt(0)
	buffer_store_dword v185, off, s[16:19], 0 offset:824 ; 4-byte Folded Spill
	buffer_store_dword v186, off, s[16:19], 0 offset:828 ; 4-byte Folded Spill
	;; [unrolled: 1-line block ×4, first 2 shown]
	v_cmpx_lt_u32_e32 33, v0
	s_cbranch_execz .LBB91_307
; %bb.306:
	s_clause 0x3
	buffer_load_dword v187, off, s[16:19], 0 offset:824
	buffer_load_dword v188, off, s[16:19], 0 offset:828
	;; [unrolled: 1-line block ×4, first 2 shown]
	s_waitcnt vmcnt(2)
	v_mul_f64 v[185:186], v[187:188], v[51:52]
	s_waitcnt vmcnt(0)
	v_mul_f64 v[51:52], v[189:190], v[51:52]
	v_fma_f64 v[185:186], v[189:190], v[49:50], v[185:186]
	v_fma_f64 v[49:50], v[187:188], v[49:50], -v[51:52]
	ds_read2_b64 v[187:190], v253 offset0:68 offset1:69
	s_waitcnt lgkmcnt(0)
	v_mul_f64 v[51:52], v[189:190], v[185:186]
	v_fma_f64 v[51:52], v[187:188], v[49:50], -v[51:52]
	v_mul_f64 v[187:188], v[187:188], v[185:186]
	v_add_f64 v[45:46], v[45:46], -v[51:52]
	v_fma_f64 v[187:188], v[189:190], v[49:50], v[187:188]
	v_add_f64 v[47:48], v[47:48], -v[187:188]
	ds_read2_b64 v[187:190], v253 offset0:70 offset1:71
	s_waitcnt lgkmcnt(0)
	v_mul_f64 v[51:52], v[189:190], v[185:186]
	v_fma_f64 v[51:52], v[187:188], v[49:50], -v[51:52]
	v_mul_f64 v[187:188], v[187:188], v[185:186]
	v_add_f64 v[41:42], v[41:42], -v[51:52]
	v_fma_f64 v[187:188], v[189:190], v[49:50], v[187:188]
	v_add_f64 v[43:44], v[43:44], -v[187:188]
	;; [unrolled: 8-line block ×11, first 2 shown]
	ds_read2_b64 v[187:190], v253 offset0:90 offset1:91
	s_waitcnt lgkmcnt(0)
	v_mul_f64 v[51:52], v[189:190], v[185:186]
	v_fma_f64 v[51:52], v[187:188], v[49:50], -v[51:52]
	v_mul_f64 v[187:188], v[187:188], v[185:186]
	v_add_f64 v[1:2], v[1:2], -v[51:52]
	v_fma_f64 v[187:188], v[189:190], v[49:50], v[187:188]
	v_mov_b32_e32 v51, v185
	v_mov_b32_e32 v52, v186
	v_add_f64 v[3:4], v[3:4], -v[187:188]
.LBB91_307:
	s_or_b32 exec_lo, exec_lo, s1
	s_mov_b32 s2, exec_lo
	s_waitcnt_vscnt null, 0x0
	s_barrier
	buffer_gl0_inv
	v_cmpx_eq_u32_e32 34, v0
	s_cbranch_execz .LBB91_314
; %bb.308:
	ds_write2_b64 v255, v[45:46], v[47:48] offset1:1
	ds_write2_b64 v253, v[41:42], v[43:44] offset0:70 offset1:71
	ds_write2_b64 v253, v[37:38], v[39:40] offset0:72 offset1:73
	;; [unrolled: 1-line block ×11, first 2 shown]
	ds_read2_b64 v[185:188], v255 offset1:1
	s_waitcnt lgkmcnt(0)
	v_cmp_neq_f64_e32 vcc_lo, 0, v[185:186]
	v_cmp_neq_f64_e64 s1, 0, v[187:188]
	s_or_b32 s1, vcc_lo, s1
	s_and_b32 exec_lo, exec_lo, s1
	s_cbranch_execz .LBB91_314
; %bb.309:
	v_cmp_ngt_f64_e64 s1, |v[185:186]|, |v[187:188]|
                                        ; implicit-def: $vgpr189_vgpr190
	s_and_saveexec_b32 s3, s1
	s_xor_b32 s1, exec_lo, s3
                                        ; implicit-def: $vgpr191_vgpr192
	s_cbranch_execz .LBB91_311
; %bb.310:
	v_div_scale_f64 v[189:190], null, v[187:188], v[187:188], v[185:186]
	v_div_scale_f64 v[195:196], vcc_lo, v[185:186], v[187:188], v[185:186]
	v_rcp_f64_e32 v[191:192], v[189:190]
	v_fma_f64 v[193:194], -v[189:190], v[191:192], 1.0
	v_fma_f64 v[191:192], v[191:192], v[193:194], v[191:192]
	v_fma_f64 v[193:194], -v[189:190], v[191:192], 1.0
	v_fma_f64 v[191:192], v[191:192], v[193:194], v[191:192]
	v_mul_f64 v[193:194], v[195:196], v[191:192]
	v_fma_f64 v[189:190], -v[189:190], v[193:194], v[195:196]
	v_div_fmas_f64 v[189:190], v[189:190], v[191:192], v[193:194]
	v_div_fixup_f64 v[189:190], v[189:190], v[187:188], v[185:186]
	v_fma_f64 v[185:186], v[185:186], v[189:190], v[187:188]
	v_div_scale_f64 v[187:188], null, v[185:186], v[185:186], 1.0
	v_rcp_f64_e32 v[191:192], v[187:188]
	v_fma_f64 v[193:194], -v[187:188], v[191:192], 1.0
	v_fma_f64 v[191:192], v[191:192], v[193:194], v[191:192]
	v_fma_f64 v[193:194], -v[187:188], v[191:192], 1.0
	v_fma_f64 v[191:192], v[191:192], v[193:194], v[191:192]
	v_div_scale_f64 v[193:194], vcc_lo, 1.0, v[185:186], 1.0
	v_mul_f64 v[195:196], v[193:194], v[191:192]
	v_fma_f64 v[187:188], -v[187:188], v[195:196], v[193:194]
	v_div_fmas_f64 v[187:188], v[187:188], v[191:192], v[195:196]
	v_div_fixup_f64 v[191:192], v[187:188], v[185:186], 1.0
                                        ; implicit-def: $vgpr185_vgpr186
	v_mul_f64 v[189:190], v[189:190], v[191:192]
	v_xor_b32_e32 v192, 0x80000000, v192
.LBB91_311:
	s_andn2_saveexec_b32 s1, s1
	s_cbranch_execz .LBB91_313
; %bb.312:
	v_div_scale_f64 v[189:190], null, v[185:186], v[185:186], v[187:188]
	v_div_scale_f64 v[195:196], vcc_lo, v[187:188], v[185:186], v[187:188]
	v_rcp_f64_e32 v[191:192], v[189:190]
	v_fma_f64 v[193:194], -v[189:190], v[191:192], 1.0
	v_fma_f64 v[191:192], v[191:192], v[193:194], v[191:192]
	v_fma_f64 v[193:194], -v[189:190], v[191:192], 1.0
	v_fma_f64 v[191:192], v[191:192], v[193:194], v[191:192]
	v_mul_f64 v[193:194], v[195:196], v[191:192]
	v_fma_f64 v[189:190], -v[189:190], v[193:194], v[195:196]
	v_div_fmas_f64 v[189:190], v[189:190], v[191:192], v[193:194]
	v_div_fixup_f64 v[191:192], v[189:190], v[185:186], v[187:188]
	v_fma_f64 v[185:186], v[187:188], v[191:192], v[185:186]
	v_div_scale_f64 v[187:188], null, v[185:186], v[185:186], 1.0
	v_rcp_f64_e32 v[189:190], v[187:188]
	v_fma_f64 v[193:194], -v[187:188], v[189:190], 1.0
	v_fma_f64 v[189:190], v[189:190], v[193:194], v[189:190]
	v_fma_f64 v[193:194], -v[187:188], v[189:190], 1.0
	v_fma_f64 v[189:190], v[189:190], v[193:194], v[189:190]
	v_div_scale_f64 v[193:194], vcc_lo, 1.0, v[185:186], 1.0
	v_mul_f64 v[195:196], v[193:194], v[189:190]
	v_fma_f64 v[187:188], -v[187:188], v[195:196], v[193:194]
	v_div_fmas_f64 v[187:188], v[187:188], v[189:190], v[195:196]
	v_div_fixup_f64 v[189:190], v[187:188], v[185:186], 1.0
	v_mul_f64 v[191:192], v[191:192], -v[189:190]
.LBB91_313:
	s_or_b32 exec_lo, exec_lo, s1
	ds_write2_b64 v255, v[189:190], v[191:192] offset1:1
.LBB91_314:
	s_or_b32 exec_lo, exec_lo, s2
	s_waitcnt lgkmcnt(0)
	s_barrier
	buffer_gl0_inv
	ds_read2_b64 v[185:188], v255 offset1:1
	s_mov_b32 s1, exec_lo
	s_waitcnt lgkmcnt(0)
	buffer_store_dword v185, off, s[16:19], 0 offset:840 ; 4-byte Folded Spill
	buffer_store_dword v186, off, s[16:19], 0 offset:844 ; 4-byte Folded Spill
	;; [unrolled: 1-line block ×4, first 2 shown]
	v_cmpx_lt_u32_e32 34, v0
	s_cbranch_execz .LBB91_316
; %bb.315:
	s_clause 0x3
	buffer_load_dword v185, off, s[16:19], 0 offset:840
	buffer_load_dword v186, off, s[16:19], 0 offset:844
	;; [unrolled: 1-line block ×4, first 2 shown]
	ds_read2_b64 v[191:194], v253 offset0:70 offset1:71
	s_waitcnt vmcnt(2)
	v_mul_f64 v[189:190], v[185:186], v[47:48]
	s_waitcnt vmcnt(0)
	v_mul_f64 v[47:48], v[187:188], v[47:48]
	v_fma_f64 v[189:190], v[187:188], v[45:46], v[189:190]
	v_fma_f64 v[45:46], v[185:186], v[45:46], -v[47:48]
	s_waitcnt lgkmcnt(0)
	v_mul_f64 v[47:48], v[193:194], v[189:190]
	v_fma_f64 v[47:48], v[191:192], v[45:46], -v[47:48]
	v_mul_f64 v[191:192], v[191:192], v[189:190]
	v_add_f64 v[41:42], v[41:42], -v[47:48]
	v_fma_f64 v[191:192], v[193:194], v[45:46], v[191:192]
	v_add_f64 v[43:44], v[43:44], -v[191:192]
	ds_read2_b64 v[191:194], v253 offset0:72 offset1:73
	s_waitcnt lgkmcnt(0)
	v_mul_f64 v[47:48], v[193:194], v[189:190]
	v_fma_f64 v[47:48], v[191:192], v[45:46], -v[47:48]
	v_mul_f64 v[191:192], v[191:192], v[189:190]
	v_add_f64 v[37:38], v[37:38], -v[47:48]
	v_fma_f64 v[191:192], v[193:194], v[45:46], v[191:192]
	v_add_f64 v[39:40], v[39:40], -v[191:192]
	ds_read2_b64 v[191:194], v253 offset0:74 offset1:75
	s_waitcnt lgkmcnt(0)
	v_mul_f64 v[47:48], v[193:194], v[189:190]
	v_fma_f64 v[47:48], v[191:192], v[45:46], -v[47:48]
	v_mul_f64 v[191:192], v[191:192], v[189:190]
	v_add_f64 v[33:34], v[33:34], -v[47:48]
	v_fma_f64 v[191:192], v[193:194], v[45:46], v[191:192]
	v_add_f64 v[35:36], v[35:36], -v[191:192]
	ds_read2_b64 v[191:194], v253 offset0:76 offset1:77
	s_waitcnt lgkmcnt(0)
	v_mul_f64 v[47:48], v[193:194], v[189:190]
	v_fma_f64 v[47:48], v[191:192], v[45:46], -v[47:48]
	v_mul_f64 v[191:192], v[191:192], v[189:190]
	v_add_f64 v[29:30], v[29:30], -v[47:48]
	v_fma_f64 v[191:192], v[193:194], v[45:46], v[191:192]
	v_add_f64 v[31:32], v[31:32], -v[191:192]
	ds_read2_b64 v[191:194], v253 offset0:78 offset1:79
	s_waitcnt lgkmcnt(0)
	v_mul_f64 v[47:48], v[193:194], v[189:190]
	v_fma_f64 v[47:48], v[191:192], v[45:46], -v[47:48]
	v_mul_f64 v[191:192], v[191:192], v[189:190]
	v_add_f64 v[25:26], v[25:26], -v[47:48]
	v_fma_f64 v[191:192], v[193:194], v[45:46], v[191:192]
	v_add_f64 v[27:28], v[27:28], -v[191:192]
	ds_read2_b64 v[191:194], v253 offset0:80 offset1:81
	s_waitcnt lgkmcnt(0)
	v_mul_f64 v[47:48], v[193:194], v[189:190]
	v_fma_f64 v[47:48], v[191:192], v[45:46], -v[47:48]
	v_mul_f64 v[191:192], v[191:192], v[189:190]
	v_add_f64 v[21:22], v[21:22], -v[47:48]
	v_fma_f64 v[191:192], v[193:194], v[45:46], v[191:192]
	v_add_f64 v[23:24], v[23:24], -v[191:192]
	ds_read2_b64 v[191:194], v253 offset0:82 offset1:83
	s_waitcnt lgkmcnt(0)
	v_mul_f64 v[47:48], v[193:194], v[189:190]
	v_fma_f64 v[47:48], v[191:192], v[45:46], -v[47:48]
	v_mul_f64 v[191:192], v[191:192], v[189:190]
	v_add_f64 v[17:18], v[17:18], -v[47:48]
	v_fma_f64 v[191:192], v[193:194], v[45:46], v[191:192]
	v_add_f64 v[19:20], v[19:20], -v[191:192]
	ds_read2_b64 v[191:194], v253 offset0:84 offset1:85
	s_waitcnt lgkmcnt(0)
	v_mul_f64 v[47:48], v[193:194], v[189:190]
	v_fma_f64 v[47:48], v[191:192], v[45:46], -v[47:48]
	v_mul_f64 v[191:192], v[191:192], v[189:190]
	v_add_f64 v[13:14], v[13:14], -v[47:48]
	v_fma_f64 v[191:192], v[193:194], v[45:46], v[191:192]
	v_add_f64 v[15:16], v[15:16], -v[191:192]
	ds_read2_b64 v[191:194], v253 offset0:86 offset1:87
	s_waitcnt lgkmcnt(0)
	v_mul_f64 v[47:48], v[193:194], v[189:190]
	v_fma_f64 v[47:48], v[191:192], v[45:46], -v[47:48]
	v_mul_f64 v[191:192], v[191:192], v[189:190]
	v_add_f64 v[9:10], v[9:10], -v[47:48]
	v_fma_f64 v[191:192], v[193:194], v[45:46], v[191:192]
	v_add_f64 v[11:12], v[11:12], -v[191:192]
	ds_read2_b64 v[191:194], v253 offset0:88 offset1:89
	s_waitcnt lgkmcnt(0)
	v_mul_f64 v[47:48], v[193:194], v[189:190]
	v_fma_f64 v[47:48], v[191:192], v[45:46], -v[47:48]
	v_mul_f64 v[191:192], v[191:192], v[189:190]
	v_add_f64 v[5:6], v[5:6], -v[47:48]
	v_fma_f64 v[191:192], v[193:194], v[45:46], v[191:192]
	v_add_f64 v[7:8], v[7:8], -v[191:192]
	ds_read2_b64 v[191:194], v253 offset0:90 offset1:91
	s_waitcnt lgkmcnt(0)
	v_mul_f64 v[47:48], v[193:194], v[189:190]
	v_fma_f64 v[47:48], v[191:192], v[45:46], -v[47:48]
	v_mul_f64 v[191:192], v[191:192], v[189:190]
	v_add_f64 v[1:2], v[1:2], -v[47:48]
	v_fma_f64 v[191:192], v[193:194], v[45:46], v[191:192]
	v_mov_b32_e32 v47, v189
	v_mov_b32_e32 v48, v190
	v_add_f64 v[3:4], v[3:4], -v[191:192]
.LBB91_316:
	s_or_b32 exec_lo, exec_lo, s1
	s_mov_b32 s2, exec_lo
	s_waitcnt_vscnt null, 0x0
	s_barrier
	buffer_gl0_inv
	v_cmpx_eq_u32_e32 35, v0
	s_cbranch_execz .LBB91_323
; %bb.317:
	ds_write2_b64 v255, v[41:42], v[43:44] offset1:1
	ds_write2_b64 v253, v[37:38], v[39:40] offset0:72 offset1:73
	ds_write2_b64 v253, v[33:34], v[35:36] offset0:74 offset1:75
	;; [unrolled: 1-line block ×10, first 2 shown]
	ds_read2_b64 v[189:192], v255 offset1:1
	s_waitcnt lgkmcnt(0)
	v_cmp_neq_f64_e32 vcc_lo, 0, v[189:190]
	v_cmp_neq_f64_e64 s1, 0, v[191:192]
	s_or_b32 s1, vcc_lo, s1
	s_and_b32 exec_lo, exec_lo, s1
	s_cbranch_execz .LBB91_323
; %bb.318:
	v_cmp_ngt_f64_e64 s1, |v[189:190]|, |v[191:192]|
                                        ; implicit-def: $vgpr193_vgpr194
	s_and_saveexec_b32 s3, s1
	s_xor_b32 s1, exec_lo, s3
                                        ; implicit-def: $vgpr195_vgpr196
	s_cbranch_execz .LBB91_320
; %bb.319:
	v_div_scale_f64 v[193:194], null, v[191:192], v[191:192], v[189:190]
	v_div_scale_f64 v[199:200], vcc_lo, v[189:190], v[191:192], v[189:190]
	v_rcp_f64_e32 v[195:196], v[193:194]
	v_fma_f64 v[197:198], -v[193:194], v[195:196], 1.0
	v_fma_f64 v[195:196], v[195:196], v[197:198], v[195:196]
	v_fma_f64 v[197:198], -v[193:194], v[195:196], 1.0
	v_fma_f64 v[195:196], v[195:196], v[197:198], v[195:196]
	v_mul_f64 v[197:198], v[199:200], v[195:196]
	v_fma_f64 v[193:194], -v[193:194], v[197:198], v[199:200]
	v_div_fmas_f64 v[193:194], v[193:194], v[195:196], v[197:198]
	v_div_fixup_f64 v[193:194], v[193:194], v[191:192], v[189:190]
	v_fma_f64 v[189:190], v[189:190], v[193:194], v[191:192]
	v_div_scale_f64 v[191:192], null, v[189:190], v[189:190], 1.0
	v_rcp_f64_e32 v[195:196], v[191:192]
	v_fma_f64 v[197:198], -v[191:192], v[195:196], 1.0
	v_fma_f64 v[195:196], v[195:196], v[197:198], v[195:196]
	v_fma_f64 v[197:198], -v[191:192], v[195:196], 1.0
	v_fma_f64 v[195:196], v[195:196], v[197:198], v[195:196]
	v_div_scale_f64 v[197:198], vcc_lo, 1.0, v[189:190], 1.0
	v_mul_f64 v[199:200], v[197:198], v[195:196]
	v_fma_f64 v[191:192], -v[191:192], v[199:200], v[197:198]
	v_div_fmas_f64 v[191:192], v[191:192], v[195:196], v[199:200]
	v_div_fixup_f64 v[195:196], v[191:192], v[189:190], 1.0
                                        ; implicit-def: $vgpr189_vgpr190
	v_mul_f64 v[193:194], v[193:194], v[195:196]
	v_xor_b32_e32 v196, 0x80000000, v196
.LBB91_320:
	s_andn2_saveexec_b32 s1, s1
	s_cbranch_execz .LBB91_322
; %bb.321:
	v_div_scale_f64 v[193:194], null, v[189:190], v[189:190], v[191:192]
	v_div_scale_f64 v[199:200], vcc_lo, v[191:192], v[189:190], v[191:192]
	v_rcp_f64_e32 v[195:196], v[193:194]
	v_fma_f64 v[197:198], -v[193:194], v[195:196], 1.0
	v_fma_f64 v[195:196], v[195:196], v[197:198], v[195:196]
	v_fma_f64 v[197:198], -v[193:194], v[195:196], 1.0
	v_fma_f64 v[195:196], v[195:196], v[197:198], v[195:196]
	v_mul_f64 v[197:198], v[199:200], v[195:196]
	v_fma_f64 v[193:194], -v[193:194], v[197:198], v[199:200]
	v_div_fmas_f64 v[193:194], v[193:194], v[195:196], v[197:198]
	v_div_fixup_f64 v[195:196], v[193:194], v[189:190], v[191:192]
	v_fma_f64 v[189:190], v[191:192], v[195:196], v[189:190]
	v_div_scale_f64 v[191:192], null, v[189:190], v[189:190], 1.0
	v_rcp_f64_e32 v[193:194], v[191:192]
	v_fma_f64 v[197:198], -v[191:192], v[193:194], 1.0
	v_fma_f64 v[193:194], v[193:194], v[197:198], v[193:194]
	v_fma_f64 v[197:198], -v[191:192], v[193:194], 1.0
	v_fma_f64 v[193:194], v[193:194], v[197:198], v[193:194]
	v_div_scale_f64 v[197:198], vcc_lo, 1.0, v[189:190], 1.0
	v_mul_f64 v[199:200], v[197:198], v[193:194]
	v_fma_f64 v[191:192], -v[191:192], v[199:200], v[197:198]
	v_div_fmas_f64 v[191:192], v[191:192], v[193:194], v[199:200]
	v_div_fixup_f64 v[193:194], v[191:192], v[189:190], 1.0
	v_mul_f64 v[195:196], v[195:196], -v[193:194]
.LBB91_322:
	s_or_b32 exec_lo, exec_lo, s1
	ds_write2_b64 v255, v[193:194], v[195:196] offset1:1
.LBB91_323:
	s_or_b32 exec_lo, exec_lo, s2
	s_waitcnt lgkmcnt(0)
	s_barrier
	buffer_gl0_inv
	ds_read2_b64 v[189:192], v255 offset1:1
	s_mov_b32 s1, exec_lo
	v_cmpx_lt_u32_e32 35, v0
	s_cbranch_execz .LBB91_325
; %bb.324:
	s_waitcnt lgkmcnt(0)
	v_mul_f64 v[193:194], v[189:190], v[43:44]
	v_mul_f64 v[43:44], v[191:192], v[43:44]
	v_fma_f64 v[197:198], v[191:192], v[41:42], v[193:194]
	ds_read2_b64 v[193:196], v253 offset0:72 offset1:73
	v_fma_f64 v[41:42], v[189:190], v[41:42], -v[43:44]
	s_waitcnt lgkmcnt(0)
	v_mul_f64 v[43:44], v[195:196], v[197:198]
	v_fma_f64 v[43:44], v[193:194], v[41:42], -v[43:44]
	v_mul_f64 v[193:194], v[193:194], v[197:198]
	v_add_f64 v[37:38], v[37:38], -v[43:44]
	v_fma_f64 v[193:194], v[195:196], v[41:42], v[193:194]
	v_add_f64 v[39:40], v[39:40], -v[193:194]
	ds_read2_b64 v[193:196], v253 offset0:74 offset1:75
	s_waitcnt lgkmcnt(0)
	v_mul_f64 v[43:44], v[195:196], v[197:198]
	v_fma_f64 v[43:44], v[193:194], v[41:42], -v[43:44]
	v_mul_f64 v[193:194], v[193:194], v[197:198]
	v_add_f64 v[33:34], v[33:34], -v[43:44]
	v_fma_f64 v[193:194], v[195:196], v[41:42], v[193:194]
	v_add_f64 v[35:36], v[35:36], -v[193:194]
	ds_read2_b64 v[193:196], v253 offset0:76 offset1:77
	;; [unrolled: 8-line block ×9, first 2 shown]
	s_waitcnt lgkmcnt(0)
	v_mul_f64 v[43:44], v[195:196], v[197:198]
	v_fma_f64 v[43:44], v[193:194], v[41:42], -v[43:44]
	v_mul_f64 v[193:194], v[193:194], v[197:198]
	v_add_f64 v[1:2], v[1:2], -v[43:44]
	v_fma_f64 v[193:194], v[195:196], v[41:42], v[193:194]
	v_mov_b32_e32 v43, v197
	v_mov_b32_e32 v44, v198
	v_add_f64 v[3:4], v[3:4], -v[193:194]
.LBB91_325:
	s_or_b32 exec_lo, exec_lo, s1
	s_mov_b32 s2, exec_lo
	s_waitcnt lgkmcnt(0)
	s_barrier
	buffer_gl0_inv
	v_cmpx_eq_u32_e32 36, v0
	s_cbranch_execz .LBB91_332
; %bb.326:
	ds_write2_b64 v255, v[37:38], v[39:40] offset1:1
	ds_write2_b64 v253, v[33:34], v[35:36] offset0:74 offset1:75
	ds_write2_b64 v253, v[29:30], v[31:32] offset0:76 offset1:77
	;; [unrolled: 1-line block ×9, first 2 shown]
	ds_read2_b64 v[193:196], v255 offset1:1
	s_waitcnt lgkmcnt(0)
	v_cmp_neq_f64_e32 vcc_lo, 0, v[193:194]
	v_cmp_neq_f64_e64 s1, 0, v[195:196]
	s_or_b32 s1, vcc_lo, s1
	s_and_b32 exec_lo, exec_lo, s1
	s_cbranch_execz .LBB91_332
; %bb.327:
	v_cmp_ngt_f64_e64 s1, |v[193:194]|, |v[195:196]|
                                        ; implicit-def: $vgpr197_vgpr198
	s_and_saveexec_b32 s3, s1
	s_xor_b32 s1, exec_lo, s3
                                        ; implicit-def: $vgpr199_vgpr200
	s_cbranch_execz .LBB91_329
; %bb.328:
	v_div_scale_f64 v[197:198], null, v[195:196], v[195:196], v[193:194]
	v_div_scale_f64 v[203:204], vcc_lo, v[193:194], v[195:196], v[193:194]
	v_rcp_f64_e32 v[199:200], v[197:198]
	v_fma_f64 v[201:202], -v[197:198], v[199:200], 1.0
	v_fma_f64 v[199:200], v[199:200], v[201:202], v[199:200]
	v_fma_f64 v[201:202], -v[197:198], v[199:200], 1.0
	v_fma_f64 v[199:200], v[199:200], v[201:202], v[199:200]
	v_mul_f64 v[201:202], v[203:204], v[199:200]
	v_fma_f64 v[197:198], -v[197:198], v[201:202], v[203:204]
	v_div_fmas_f64 v[197:198], v[197:198], v[199:200], v[201:202]
	v_div_fixup_f64 v[197:198], v[197:198], v[195:196], v[193:194]
	v_fma_f64 v[193:194], v[193:194], v[197:198], v[195:196]
	v_div_scale_f64 v[195:196], null, v[193:194], v[193:194], 1.0
	v_rcp_f64_e32 v[199:200], v[195:196]
	v_fma_f64 v[201:202], -v[195:196], v[199:200], 1.0
	v_fma_f64 v[199:200], v[199:200], v[201:202], v[199:200]
	v_fma_f64 v[201:202], -v[195:196], v[199:200], 1.0
	v_fma_f64 v[199:200], v[199:200], v[201:202], v[199:200]
	v_div_scale_f64 v[201:202], vcc_lo, 1.0, v[193:194], 1.0
	v_mul_f64 v[203:204], v[201:202], v[199:200]
	v_fma_f64 v[195:196], -v[195:196], v[203:204], v[201:202]
	v_div_fmas_f64 v[195:196], v[195:196], v[199:200], v[203:204]
	v_div_fixup_f64 v[199:200], v[195:196], v[193:194], 1.0
                                        ; implicit-def: $vgpr193_vgpr194
	v_mul_f64 v[197:198], v[197:198], v[199:200]
	v_xor_b32_e32 v200, 0x80000000, v200
.LBB91_329:
	s_andn2_saveexec_b32 s1, s1
	s_cbranch_execz .LBB91_331
; %bb.330:
	v_div_scale_f64 v[197:198], null, v[193:194], v[193:194], v[195:196]
	v_div_scale_f64 v[203:204], vcc_lo, v[195:196], v[193:194], v[195:196]
	v_rcp_f64_e32 v[199:200], v[197:198]
	v_fma_f64 v[201:202], -v[197:198], v[199:200], 1.0
	v_fma_f64 v[199:200], v[199:200], v[201:202], v[199:200]
	v_fma_f64 v[201:202], -v[197:198], v[199:200], 1.0
	v_fma_f64 v[199:200], v[199:200], v[201:202], v[199:200]
	v_mul_f64 v[201:202], v[203:204], v[199:200]
	v_fma_f64 v[197:198], -v[197:198], v[201:202], v[203:204]
	v_div_fmas_f64 v[197:198], v[197:198], v[199:200], v[201:202]
	v_div_fixup_f64 v[199:200], v[197:198], v[193:194], v[195:196]
	v_fma_f64 v[193:194], v[195:196], v[199:200], v[193:194]
	v_div_scale_f64 v[195:196], null, v[193:194], v[193:194], 1.0
	v_rcp_f64_e32 v[197:198], v[195:196]
	v_fma_f64 v[201:202], -v[195:196], v[197:198], 1.0
	v_fma_f64 v[197:198], v[197:198], v[201:202], v[197:198]
	v_fma_f64 v[201:202], -v[195:196], v[197:198], 1.0
	v_fma_f64 v[197:198], v[197:198], v[201:202], v[197:198]
	v_div_scale_f64 v[201:202], vcc_lo, 1.0, v[193:194], 1.0
	v_mul_f64 v[203:204], v[201:202], v[197:198]
	v_fma_f64 v[195:196], -v[195:196], v[203:204], v[201:202]
	v_div_fmas_f64 v[195:196], v[195:196], v[197:198], v[203:204]
	v_div_fixup_f64 v[197:198], v[195:196], v[193:194], 1.0
	v_mul_f64 v[199:200], v[199:200], -v[197:198]
.LBB91_331:
	s_or_b32 exec_lo, exec_lo, s1
	ds_write2_b64 v255, v[197:198], v[199:200] offset1:1
.LBB91_332:
	s_or_b32 exec_lo, exec_lo, s2
	s_waitcnt lgkmcnt(0)
	s_barrier
	buffer_gl0_inv
	ds_read2_b64 v[193:196], v255 offset1:1
	s_mov_b32 s1, exec_lo
	v_cmpx_lt_u32_e32 36, v0
	s_cbranch_execz .LBB91_334
; %bb.333:
	s_waitcnt lgkmcnt(0)
	v_mul_f64 v[197:198], v[193:194], v[39:40]
	v_mul_f64 v[39:40], v[195:196], v[39:40]
	v_fma_f64 v[201:202], v[195:196], v[37:38], v[197:198]
	ds_read2_b64 v[197:200], v253 offset0:74 offset1:75
	v_fma_f64 v[37:38], v[193:194], v[37:38], -v[39:40]
	s_waitcnt lgkmcnt(0)
	v_mul_f64 v[39:40], v[199:200], v[201:202]
	v_fma_f64 v[39:40], v[197:198], v[37:38], -v[39:40]
	v_mul_f64 v[197:198], v[197:198], v[201:202]
	v_add_f64 v[33:34], v[33:34], -v[39:40]
	v_fma_f64 v[197:198], v[199:200], v[37:38], v[197:198]
	v_add_f64 v[35:36], v[35:36], -v[197:198]
	ds_read2_b64 v[197:200], v253 offset0:76 offset1:77
	s_waitcnt lgkmcnt(0)
	v_mul_f64 v[39:40], v[199:200], v[201:202]
	v_fma_f64 v[39:40], v[197:198], v[37:38], -v[39:40]
	v_mul_f64 v[197:198], v[197:198], v[201:202]
	v_add_f64 v[29:30], v[29:30], -v[39:40]
	v_fma_f64 v[197:198], v[199:200], v[37:38], v[197:198]
	v_add_f64 v[31:32], v[31:32], -v[197:198]
	ds_read2_b64 v[197:200], v253 offset0:78 offset1:79
	;; [unrolled: 8-line block ×8, first 2 shown]
	s_waitcnt lgkmcnt(0)
	v_mul_f64 v[39:40], v[199:200], v[201:202]
	v_fma_f64 v[39:40], v[197:198], v[37:38], -v[39:40]
	v_mul_f64 v[197:198], v[197:198], v[201:202]
	v_add_f64 v[1:2], v[1:2], -v[39:40]
	v_fma_f64 v[197:198], v[199:200], v[37:38], v[197:198]
	v_mov_b32_e32 v39, v201
	v_mov_b32_e32 v40, v202
	v_add_f64 v[3:4], v[3:4], -v[197:198]
.LBB91_334:
	s_or_b32 exec_lo, exec_lo, s1
	s_mov_b32 s2, exec_lo
	s_waitcnt lgkmcnt(0)
	s_barrier
	buffer_gl0_inv
	v_cmpx_eq_u32_e32 37, v0
	s_cbranch_execz .LBB91_341
; %bb.335:
	ds_write2_b64 v255, v[33:34], v[35:36] offset1:1
	ds_write2_b64 v253, v[29:30], v[31:32] offset0:76 offset1:77
	ds_write2_b64 v253, v[25:26], v[27:28] offset0:78 offset1:79
	;; [unrolled: 1-line block ×8, first 2 shown]
	ds_read2_b64 v[197:200], v255 offset1:1
	s_waitcnt lgkmcnt(0)
	v_cmp_neq_f64_e32 vcc_lo, 0, v[197:198]
	v_cmp_neq_f64_e64 s1, 0, v[199:200]
	s_or_b32 s1, vcc_lo, s1
	s_and_b32 exec_lo, exec_lo, s1
	s_cbranch_execz .LBB91_341
; %bb.336:
	v_cmp_ngt_f64_e64 s1, |v[197:198]|, |v[199:200]|
                                        ; implicit-def: $vgpr201_vgpr202
	s_and_saveexec_b32 s3, s1
	s_xor_b32 s1, exec_lo, s3
                                        ; implicit-def: $vgpr203_vgpr204
	s_cbranch_execz .LBB91_338
; %bb.337:
	v_div_scale_f64 v[201:202], null, v[199:200], v[199:200], v[197:198]
	v_div_scale_f64 v[207:208], vcc_lo, v[197:198], v[199:200], v[197:198]
	v_rcp_f64_e32 v[203:204], v[201:202]
	v_fma_f64 v[205:206], -v[201:202], v[203:204], 1.0
	v_fma_f64 v[203:204], v[203:204], v[205:206], v[203:204]
	v_fma_f64 v[205:206], -v[201:202], v[203:204], 1.0
	v_fma_f64 v[203:204], v[203:204], v[205:206], v[203:204]
	v_mul_f64 v[205:206], v[207:208], v[203:204]
	v_fma_f64 v[201:202], -v[201:202], v[205:206], v[207:208]
	v_div_fmas_f64 v[201:202], v[201:202], v[203:204], v[205:206]
	v_div_fixup_f64 v[201:202], v[201:202], v[199:200], v[197:198]
	v_fma_f64 v[197:198], v[197:198], v[201:202], v[199:200]
	v_div_scale_f64 v[199:200], null, v[197:198], v[197:198], 1.0
	v_rcp_f64_e32 v[203:204], v[199:200]
	v_fma_f64 v[205:206], -v[199:200], v[203:204], 1.0
	v_fma_f64 v[203:204], v[203:204], v[205:206], v[203:204]
	v_fma_f64 v[205:206], -v[199:200], v[203:204], 1.0
	v_fma_f64 v[203:204], v[203:204], v[205:206], v[203:204]
	v_div_scale_f64 v[205:206], vcc_lo, 1.0, v[197:198], 1.0
	v_mul_f64 v[207:208], v[205:206], v[203:204]
	v_fma_f64 v[199:200], -v[199:200], v[207:208], v[205:206]
	v_div_fmas_f64 v[199:200], v[199:200], v[203:204], v[207:208]
	v_div_fixup_f64 v[203:204], v[199:200], v[197:198], 1.0
                                        ; implicit-def: $vgpr197_vgpr198
	v_mul_f64 v[201:202], v[201:202], v[203:204]
	v_xor_b32_e32 v204, 0x80000000, v204
.LBB91_338:
	s_andn2_saveexec_b32 s1, s1
	s_cbranch_execz .LBB91_340
; %bb.339:
	v_div_scale_f64 v[201:202], null, v[197:198], v[197:198], v[199:200]
	v_div_scale_f64 v[207:208], vcc_lo, v[199:200], v[197:198], v[199:200]
	v_rcp_f64_e32 v[203:204], v[201:202]
	v_fma_f64 v[205:206], -v[201:202], v[203:204], 1.0
	v_fma_f64 v[203:204], v[203:204], v[205:206], v[203:204]
	v_fma_f64 v[205:206], -v[201:202], v[203:204], 1.0
	v_fma_f64 v[203:204], v[203:204], v[205:206], v[203:204]
	v_mul_f64 v[205:206], v[207:208], v[203:204]
	v_fma_f64 v[201:202], -v[201:202], v[205:206], v[207:208]
	v_div_fmas_f64 v[201:202], v[201:202], v[203:204], v[205:206]
	v_div_fixup_f64 v[203:204], v[201:202], v[197:198], v[199:200]
	v_fma_f64 v[197:198], v[199:200], v[203:204], v[197:198]
	v_div_scale_f64 v[199:200], null, v[197:198], v[197:198], 1.0
	v_rcp_f64_e32 v[201:202], v[199:200]
	v_fma_f64 v[205:206], -v[199:200], v[201:202], 1.0
	v_fma_f64 v[201:202], v[201:202], v[205:206], v[201:202]
	v_fma_f64 v[205:206], -v[199:200], v[201:202], 1.0
	v_fma_f64 v[201:202], v[201:202], v[205:206], v[201:202]
	v_div_scale_f64 v[205:206], vcc_lo, 1.0, v[197:198], 1.0
	v_mul_f64 v[207:208], v[205:206], v[201:202]
	v_fma_f64 v[199:200], -v[199:200], v[207:208], v[205:206]
	v_div_fmas_f64 v[199:200], v[199:200], v[201:202], v[207:208]
	v_div_fixup_f64 v[201:202], v[199:200], v[197:198], 1.0
	v_mul_f64 v[203:204], v[203:204], -v[201:202]
.LBB91_340:
	s_or_b32 exec_lo, exec_lo, s1
	ds_write2_b64 v255, v[201:202], v[203:204] offset1:1
.LBB91_341:
	s_or_b32 exec_lo, exec_lo, s2
	s_waitcnt lgkmcnt(0)
	s_barrier
	buffer_gl0_inv
	ds_read2_b64 v[197:200], v255 offset1:1
	s_mov_b32 s1, exec_lo
	v_cmpx_lt_u32_e32 37, v0
	s_cbranch_execz .LBB91_343
; %bb.342:
	s_waitcnt lgkmcnt(0)
	v_mul_f64 v[201:202], v[197:198], v[35:36]
	v_mul_f64 v[35:36], v[199:200], v[35:36]
	v_fma_f64 v[205:206], v[199:200], v[33:34], v[201:202]
	ds_read2_b64 v[201:204], v253 offset0:76 offset1:77
	v_fma_f64 v[33:34], v[197:198], v[33:34], -v[35:36]
	s_waitcnt lgkmcnt(0)
	v_mul_f64 v[35:36], v[203:204], v[205:206]
	v_fma_f64 v[35:36], v[201:202], v[33:34], -v[35:36]
	v_mul_f64 v[201:202], v[201:202], v[205:206]
	v_add_f64 v[29:30], v[29:30], -v[35:36]
	v_fma_f64 v[201:202], v[203:204], v[33:34], v[201:202]
	v_add_f64 v[31:32], v[31:32], -v[201:202]
	ds_read2_b64 v[201:204], v253 offset0:78 offset1:79
	s_waitcnt lgkmcnt(0)
	v_mul_f64 v[35:36], v[203:204], v[205:206]
	v_fma_f64 v[35:36], v[201:202], v[33:34], -v[35:36]
	v_mul_f64 v[201:202], v[201:202], v[205:206]
	v_add_f64 v[25:26], v[25:26], -v[35:36]
	v_fma_f64 v[201:202], v[203:204], v[33:34], v[201:202]
	v_add_f64 v[27:28], v[27:28], -v[201:202]
	ds_read2_b64 v[201:204], v253 offset0:80 offset1:81
	;; [unrolled: 8-line block ×7, first 2 shown]
	s_waitcnt lgkmcnt(0)
	v_mul_f64 v[35:36], v[203:204], v[205:206]
	v_fma_f64 v[35:36], v[201:202], v[33:34], -v[35:36]
	v_mul_f64 v[201:202], v[201:202], v[205:206]
	v_add_f64 v[1:2], v[1:2], -v[35:36]
	v_fma_f64 v[201:202], v[203:204], v[33:34], v[201:202]
	v_mov_b32_e32 v35, v205
	v_mov_b32_e32 v36, v206
	v_add_f64 v[3:4], v[3:4], -v[201:202]
.LBB91_343:
	s_or_b32 exec_lo, exec_lo, s1
	s_mov_b32 s2, exec_lo
	s_waitcnt lgkmcnt(0)
	s_barrier
	buffer_gl0_inv
	v_cmpx_eq_u32_e32 38, v0
	s_cbranch_execz .LBB91_350
; %bb.344:
	ds_write2_b64 v255, v[29:30], v[31:32] offset1:1
	ds_write2_b64 v253, v[25:26], v[27:28] offset0:78 offset1:79
	ds_write2_b64 v253, v[21:22], v[23:24] offset0:80 offset1:81
	;; [unrolled: 1-line block ×7, first 2 shown]
	ds_read2_b64 v[201:204], v255 offset1:1
	s_waitcnt lgkmcnt(0)
	v_cmp_neq_f64_e32 vcc_lo, 0, v[201:202]
	v_cmp_neq_f64_e64 s1, 0, v[203:204]
	s_or_b32 s1, vcc_lo, s1
	s_and_b32 exec_lo, exec_lo, s1
	s_cbranch_execz .LBB91_350
; %bb.345:
	v_cmp_ngt_f64_e64 s1, |v[201:202]|, |v[203:204]|
                                        ; implicit-def: $vgpr205_vgpr206
	s_and_saveexec_b32 s3, s1
	s_xor_b32 s1, exec_lo, s3
                                        ; implicit-def: $vgpr207_vgpr208
	s_cbranch_execz .LBB91_347
; %bb.346:
	v_div_scale_f64 v[205:206], null, v[203:204], v[203:204], v[201:202]
	v_div_scale_f64 v[211:212], vcc_lo, v[201:202], v[203:204], v[201:202]
	v_rcp_f64_e32 v[207:208], v[205:206]
	v_fma_f64 v[209:210], -v[205:206], v[207:208], 1.0
	v_fma_f64 v[207:208], v[207:208], v[209:210], v[207:208]
	v_fma_f64 v[209:210], -v[205:206], v[207:208], 1.0
	v_fma_f64 v[207:208], v[207:208], v[209:210], v[207:208]
	v_mul_f64 v[209:210], v[211:212], v[207:208]
	v_fma_f64 v[205:206], -v[205:206], v[209:210], v[211:212]
	v_div_fmas_f64 v[205:206], v[205:206], v[207:208], v[209:210]
	v_div_fixup_f64 v[205:206], v[205:206], v[203:204], v[201:202]
	v_fma_f64 v[201:202], v[201:202], v[205:206], v[203:204]
	v_div_scale_f64 v[203:204], null, v[201:202], v[201:202], 1.0
	v_rcp_f64_e32 v[207:208], v[203:204]
	v_fma_f64 v[209:210], -v[203:204], v[207:208], 1.0
	v_fma_f64 v[207:208], v[207:208], v[209:210], v[207:208]
	v_fma_f64 v[209:210], -v[203:204], v[207:208], 1.0
	v_fma_f64 v[207:208], v[207:208], v[209:210], v[207:208]
	v_div_scale_f64 v[209:210], vcc_lo, 1.0, v[201:202], 1.0
	v_mul_f64 v[211:212], v[209:210], v[207:208]
	v_fma_f64 v[203:204], -v[203:204], v[211:212], v[209:210]
	v_div_fmas_f64 v[203:204], v[203:204], v[207:208], v[211:212]
	v_div_fixup_f64 v[207:208], v[203:204], v[201:202], 1.0
                                        ; implicit-def: $vgpr201_vgpr202
	v_mul_f64 v[205:206], v[205:206], v[207:208]
	v_xor_b32_e32 v208, 0x80000000, v208
.LBB91_347:
	s_andn2_saveexec_b32 s1, s1
	s_cbranch_execz .LBB91_349
; %bb.348:
	v_div_scale_f64 v[205:206], null, v[201:202], v[201:202], v[203:204]
	v_div_scale_f64 v[211:212], vcc_lo, v[203:204], v[201:202], v[203:204]
	v_rcp_f64_e32 v[207:208], v[205:206]
	v_fma_f64 v[209:210], -v[205:206], v[207:208], 1.0
	v_fma_f64 v[207:208], v[207:208], v[209:210], v[207:208]
	v_fma_f64 v[209:210], -v[205:206], v[207:208], 1.0
	v_fma_f64 v[207:208], v[207:208], v[209:210], v[207:208]
	v_mul_f64 v[209:210], v[211:212], v[207:208]
	v_fma_f64 v[205:206], -v[205:206], v[209:210], v[211:212]
	v_div_fmas_f64 v[205:206], v[205:206], v[207:208], v[209:210]
	v_div_fixup_f64 v[207:208], v[205:206], v[201:202], v[203:204]
	v_fma_f64 v[201:202], v[203:204], v[207:208], v[201:202]
	v_div_scale_f64 v[203:204], null, v[201:202], v[201:202], 1.0
	v_rcp_f64_e32 v[205:206], v[203:204]
	v_fma_f64 v[209:210], -v[203:204], v[205:206], 1.0
	v_fma_f64 v[205:206], v[205:206], v[209:210], v[205:206]
	v_fma_f64 v[209:210], -v[203:204], v[205:206], 1.0
	v_fma_f64 v[205:206], v[205:206], v[209:210], v[205:206]
	v_div_scale_f64 v[209:210], vcc_lo, 1.0, v[201:202], 1.0
	v_mul_f64 v[211:212], v[209:210], v[205:206]
	v_fma_f64 v[203:204], -v[203:204], v[211:212], v[209:210]
	v_div_fmas_f64 v[203:204], v[203:204], v[205:206], v[211:212]
	v_div_fixup_f64 v[205:206], v[203:204], v[201:202], 1.0
	v_mul_f64 v[207:208], v[207:208], -v[205:206]
.LBB91_349:
	s_or_b32 exec_lo, exec_lo, s1
	ds_write2_b64 v255, v[205:206], v[207:208] offset1:1
.LBB91_350:
	s_or_b32 exec_lo, exec_lo, s2
	s_waitcnt lgkmcnt(0)
	s_barrier
	buffer_gl0_inv
	ds_read2_b64 v[201:204], v255 offset1:1
	s_mov_b32 s1, exec_lo
	v_cmpx_lt_u32_e32 38, v0
	s_cbranch_execz .LBB91_352
; %bb.351:
	s_waitcnt lgkmcnt(0)
	v_mul_f64 v[205:206], v[201:202], v[31:32]
	v_mul_f64 v[31:32], v[203:204], v[31:32]
	v_fma_f64 v[209:210], v[203:204], v[29:30], v[205:206]
	ds_read2_b64 v[205:208], v253 offset0:78 offset1:79
	v_fma_f64 v[29:30], v[201:202], v[29:30], -v[31:32]
	s_waitcnt lgkmcnt(0)
	v_mul_f64 v[31:32], v[207:208], v[209:210]
	v_fma_f64 v[31:32], v[205:206], v[29:30], -v[31:32]
	v_mul_f64 v[205:206], v[205:206], v[209:210]
	v_add_f64 v[25:26], v[25:26], -v[31:32]
	v_fma_f64 v[205:206], v[207:208], v[29:30], v[205:206]
	v_add_f64 v[27:28], v[27:28], -v[205:206]
	ds_read2_b64 v[205:208], v253 offset0:80 offset1:81
	s_waitcnt lgkmcnt(0)
	v_mul_f64 v[31:32], v[207:208], v[209:210]
	v_fma_f64 v[31:32], v[205:206], v[29:30], -v[31:32]
	v_mul_f64 v[205:206], v[205:206], v[209:210]
	v_add_f64 v[21:22], v[21:22], -v[31:32]
	v_fma_f64 v[205:206], v[207:208], v[29:30], v[205:206]
	v_add_f64 v[23:24], v[23:24], -v[205:206]
	ds_read2_b64 v[205:208], v253 offset0:82 offset1:83
	;; [unrolled: 8-line block ×6, first 2 shown]
	s_waitcnt lgkmcnt(0)
	v_mul_f64 v[31:32], v[207:208], v[209:210]
	v_fma_f64 v[31:32], v[205:206], v[29:30], -v[31:32]
	v_mul_f64 v[205:206], v[205:206], v[209:210]
	v_add_f64 v[1:2], v[1:2], -v[31:32]
	v_fma_f64 v[205:206], v[207:208], v[29:30], v[205:206]
	v_mov_b32_e32 v31, v209
	v_mov_b32_e32 v32, v210
	v_add_f64 v[3:4], v[3:4], -v[205:206]
.LBB91_352:
	s_or_b32 exec_lo, exec_lo, s1
	s_mov_b32 s2, exec_lo
	s_waitcnt lgkmcnt(0)
	s_barrier
	buffer_gl0_inv
	v_cmpx_eq_u32_e32 39, v0
	s_cbranch_execz .LBB91_359
; %bb.353:
	ds_write2_b64 v255, v[25:26], v[27:28] offset1:1
	ds_write2_b64 v253, v[21:22], v[23:24] offset0:80 offset1:81
	ds_write2_b64 v253, v[17:18], v[19:20] offset0:82 offset1:83
	;; [unrolled: 1-line block ×6, first 2 shown]
	ds_read2_b64 v[205:208], v255 offset1:1
	s_waitcnt lgkmcnt(0)
	v_cmp_neq_f64_e32 vcc_lo, 0, v[205:206]
	v_cmp_neq_f64_e64 s1, 0, v[207:208]
	s_or_b32 s1, vcc_lo, s1
	s_and_b32 exec_lo, exec_lo, s1
	s_cbranch_execz .LBB91_359
; %bb.354:
	v_cmp_ngt_f64_e64 s1, |v[205:206]|, |v[207:208]|
                                        ; implicit-def: $vgpr209_vgpr210
	s_and_saveexec_b32 s3, s1
	s_xor_b32 s1, exec_lo, s3
                                        ; implicit-def: $vgpr211_vgpr212
	s_cbranch_execz .LBB91_356
; %bb.355:
	v_div_scale_f64 v[209:210], null, v[207:208], v[207:208], v[205:206]
	v_div_scale_f64 v[215:216], vcc_lo, v[205:206], v[207:208], v[205:206]
	v_rcp_f64_e32 v[211:212], v[209:210]
	v_fma_f64 v[213:214], -v[209:210], v[211:212], 1.0
	v_fma_f64 v[211:212], v[211:212], v[213:214], v[211:212]
	v_fma_f64 v[213:214], -v[209:210], v[211:212], 1.0
	v_fma_f64 v[211:212], v[211:212], v[213:214], v[211:212]
	v_mul_f64 v[213:214], v[215:216], v[211:212]
	v_fma_f64 v[209:210], -v[209:210], v[213:214], v[215:216]
	v_div_fmas_f64 v[209:210], v[209:210], v[211:212], v[213:214]
	v_div_fixup_f64 v[209:210], v[209:210], v[207:208], v[205:206]
	v_fma_f64 v[205:206], v[205:206], v[209:210], v[207:208]
	v_div_scale_f64 v[207:208], null, v[205:206], v[205:206], 1.0
	v_rcp_f64_e32 v[211:212], v[207:208]
	v_fma_f64 v[213:214], -v[207:208], v[211:212], 1.0
	v_fma_f64 v[211:212], v[211:212], v[213:214], v[211:212]
	v_fma_f64 v[213:214], -v[207:208], v[211:212], 1.0
	v_fma_f64 v[211:212], v[211:212], v[213:214], v[211:212]
	v_div_scale_f64 v[213:214], vcc_lo, 1.0, v[205:206], 1.0
	v_mul_f64 v[215:216], v[213:214], v[211:212]
	v_fma_f64 v[207:208], -v[207:208], v[215:216], v[213:214]
	v_div_fmas_f64 v[207:208], v[207:208], v[211:212], v[215:216]
	v_div_fixup_f64 v[211:212], v[207:208], v[205:206], 1.0
                                        ; implicit-def: $vgpr205_vgpr206
	v_mul_f64 v[209:210], v[209:210], v[211:212]
	v_xor_b32_e32 v212, 0x80000000, v212
.LBB91_356:
	s_andn2_saveexec_b32 s1, s1
	s_cbranch_execz .LBB91_358
; %bb.357:
	v_div_scale_f64 v[209:210], null, v[205:206], v[205:206], v[207:208]
	v_div_scale_f64 v[215:216], vcc_lo, v[207:208], v[205:206], v[207:208]
	v_rcp_f64_e32 v[211:212], v[209:210]
	v_fma_f64 v[213:214], -v[209:210], v[211:212], 1.0
	v_fma_f64 v[211:212], v[211:212], v[213:214], v[211:212]
	v_fma_f64 v[213:214], -v[209:210], v[211:212], 1.0
	v_fma_f64 v[211:212], v[211:212], v[213:214], v[211:212]
	v_mul_f64 v[213:214], v[215:216], v[211:212]
	v_fma_f64 v[209:210], -v[209:210], v[213:214], v[215:216]
	v_div_fmas_f64 v[209:210], v[209:210], v[211:212], v[213:214]
	v_div_fixup_f64 v[211:212], v[209:210], v[205:206], v[207:208]
	v_fma_f64 v[205:206], v[207:208], v[211:212], v[205:206]
	v_div_scale_f64 v[207:208], null, v[205:206], v[205:206], 1.0
	v_rcp_f64_e32 v[209:210], v[207:208]
	v_fma_f64 v[213:214], -v[207:208], v[209:210], 1.0
	v_fma_f64 v[209:210], v[209:210], v[213:214], v[209:210]
	v_fma_f64 v[213:214], -v[207:208], v[209:210], 1.0
	v_fma_f64 v[209:210], v[209:210], v[213:214], v[209:210]
	v_div_scale_f64 v[213:214], vcc_lo, 1.0, v[205:206], 1.0
	v_mul_f64 v[215:216], v[213:214], v[209:210]
	v_fma_f64 v[207:208], -v[207:208], v[215:216], v[213:214]
	v_div_fmas_f64 v[207:208], v[207:208], v[209:210], v[215:216]
	v_div_fixup_f64 v[209:210], v[207:208], v[205:206], 1.0
	v_mul_f64 v[211:212], v[211:212], -v[209:210]
.LBB91_358:
	s_or_b32 exec_lo, exec_lo, s1
	ds_write2_b64 v255, v[209:210], v[211:212] offset1:1
.LBB91_359:
	s_or_b32 exec_lo, exec_lo, s2
	s_waitcnt lgkmcnt(0)
	s_barrier
	buffer_gl0_inv
	ds_read2_b64 v[205:208], v255 offset1:1
	s_mov_b32 s1, exec_lo
	v_cmpx_lt_u32_e32 39, v0
	s_cbranch_execz .LBB91_361
; %bb.360:
	s_waitcnt lgkmcnt(0)
	v_mul_f64 v[209:210], v[205:206], v[27:28]
	v_mul_f64 v[27:28], v[207:208], v[27:28]
	v_fma_f64 v[213:214], v[207:208], v[25:26], v[209:210]
	ds_read2_b64 v[209:212], v253 offset0:80 offset1:81
	v_fma_f64 v[25:26], v[205:206], v[25:26], -v[27:28]
	s_waitcnt lgkmcnt(0)
	v_mul_f64 v[27:28], v[211:212], v[213:214]
	v_fma_f64 v[27:28], v[209:210], v[25:26], -v[27:28]
	v_mul_f64 v[209:210], v[209:210], v[213:214]
	v_add_f64 v[21:22], v[21:22], -v[27:28]
	v_fma_f64 v[209:210], v[211:212], v[25:26], v[209:210]
	v_add_f64 v[23:24], v[23:24], -v[209:210]
	ds_read2_b64 v[209:212], v253 offset0:82 offset1:83
	s_waitcnt lgkmcnt(0)
	v_mul_f64 v[27:28], v[211:212], v[213:214]
	v_fma_f64 v[27:28], v[209:210], v[25:26], -v[27:28]
	v_mul_f64 v[209:210], v[209:210], v[213:214]
	v_add_f64 v[17:18], v[17:18], -v[27:28]
	v_fma_f64 v[209:210], v[211:212], v[25:26], v[209:210]
	v_add_f64 v[19:20], v[19:20], -v[209:210]
	ds_read2_b64 v[209:212], v253 offset0:84 offset1:85
	;; [unrolled: 8-line block ×5, first 2 shown]
	s_waitcnt lgkmcnt(0)
	v_mul_f64 v[27:28], v[211:212], v[213:214]
	v_fma_f64 v[27:28], v[209:210], v[25:26], -v[27:28]
	v_mul_f64 v[209:210], v[209:210], v[213:214]
	v_add_f64 v[1:2], v[1:2], -v[27:28]
	v_fma_f64 v[209:210], v[211:212], v[25:26], v[209:210]
	v_mov_b32_e32 v27, v213
	v_mov_b32_e32 v28, v214
	v_add_f64 v[3:4], v[3:4], -v[209:210]
.LBB91_361:
	s_or_b32 exec_lo, exec_lo, s1
	s_mov_b32 s2, exec_lo
	s_waitcnt lgkmcnt(0)
	s_barrier
	buffer_gl0_inv
	v_cmpx_eq_u32_e32 40, v0
	s_cbranch_execz .LBB91_368
; %bb.362:
	ds_write2_b64 v255, v[21:22], v[23:24] offset1:1
	ds_write2_b64 v253, v[17:18], v[19:20] offset0:82 offset1:83
	ds_write2_b64 v253, v[13:14], v[15:16] offset0:84 offset1:85
	;; [unrolled: 1-line block ×5, first 2 shown]
	ds_read2_b64 v[209:212], v255 offset1:1
	s_waitcnt lgkmcnt(0)
	v_cmp_neq_f64_e32 vcc_lo, 0, v[209:210]
	v_cmp_neq_f64_e64 s1, 0, v[211:212]
	s_or_b32 s1, vcc_lo, s1
	s_and_b32 exec_lo, exec_lo, s1
	s_cbranch_execz .LBB91_368
; %bb.363:
	v_cmp_ngt_f64_e64 s1, |v[209:210]|, |v[211:212]|
                                        ; implicit-def: $vgpr213_vgpr214
	s_and_saveexec_b32 s3, s1
	s_xor_b32 s1, exec_lo, s3
                                        ; implicit-def: $vgpr215_vgpr216
	s_cbranch_execz .LBB91_365
; %bb.364:
	v_div_scale_f64 v[213:214], null, v[211:212], v[211:212], v[209:210]
	v_div_scale_f64 v[219:220], vcc_lo, v[209:210], v[211:212], v[209:210]
	v_rcp_f64_e32 v[215:216], v[213:214]
	v_fma_f64 v[217:218], -v[213:214], v[215:216], 1.0
	v_fma_f64 v[215:216], v[215:216], v[217:218], v[215:216]
	v_fma_f64 v[217:218], -v[213:214], v[215:216], 1.0
	v_fma_f64 v[215:216], v[215:216], v[217:218], v[215:216]
	v_mul_f64 v[217:218], v[219:220], v[215:216]
	v_fma_f64 v[213:214], -v[213:214], v[217:218], v[219:220]
	v_div_fmas_f64 v[213:214], v[213:214], v[215:216], v[217:218]
	v_div_fixup_f64 v[213:214], v[213:214], v[211:212], v[209:210]
	v_fma_f64 v[209:210], v[209:210], v[213:214], v[211:212]
	v_div_scale_f64 v[211:212], null, v[209:210], v[209:210], 1.0
	v_rcp_f64_e32 v[215:216], v[211:212]
	v_fma_f64 v[217:218], -v[211:212], v[215:216], 1.0
	v_fma_f64 v[215:216], v[215:216], v[217:218], v[215:216]
	v_fma_f64 v[217:218], -v[211:212], v[215:216], 1.0
	v_fma_f64 v[215:216], v[215:216], v[217:218], v[215:216]
	v_div_scale_f64 v[217:218], vcc_lo, 1.0, v[209:210], 1.0
	v_mul_f64 v[219:220], v[217:218], v[215:216]
	v_fma_f64 v[211:212], -v[211:212], v[219:220], v[217:218]
	v_div_fmas_f64 v[211:212], v[211:212], v[215:216], v[219:220]
	v_div_fixup_f64 v[215:216], v[211:212], v[209:210], 1.0
                                        ; implicit-def: $vgpr209_vgpr210
	v_mul_f64 v[213:214], v[213:214], v[215:216]
	v_xor_b32_e32 v216, 0x80000000, v216
.LBB91_365:
	s_andn2_saveexec_b32 s1, s1
	s_cbranch_execz .LBB91_367
; %bb.366:
	v_div_scale_f64 v[213:214], null, v[209:210], v[209:210], v[211:212]
	v_div_scale_f64 v[219:220], vcc_lo, v[211:212], v[209:210], v[211:212]
	v_rcp_f64_e32 v[215:216], v[213:214]
	v_fma_f64 v[217:218], -v[213:214], v[215:216], 1.0
	v_fma_f64 v[215:216], v[215:216], v[217:218], v[215:216]
	v_fma_f64 v[217:218], -v[213:214], v[215:216], 1.0
	v_fma_f64 v[215:216], v[215:216], v[217:218], v[215:216]
	v_mul_f64 v[217:218], v[219:220], v[215:216]
	v_fma_f64 v[213:214], -v[213:214], v[217:218], v[219:220]
	v_div_fmas_f64 v[213:214], v[213:214], v[215:216], v[217:218]
	v_div_fixup_f64 v[215:216], v[213:214], v[209:210], v[211:212]
	v_fma_f64 v[209:210], v[211:212], v[215:216], v[209:210]
	v_div_scale_f64 v[211:212], null, v[209:210], v[209:210], 1.0
	v_rcp_f64_e32 v[213:214], v[211:212]
	v_fma_f64 v[217:218], -v[211:212], v[213:214], 1.0
	v_fma_f64 v[213:214], v[213:214], v[217:218], v[213:214]
	v_fma_f64 v[217:218], -v[211:212], v[213:214], 1.0
	v_fma_f64 v[213:214], v[213:214], v[217:218], v[213:214]
	v_div_scale_f64 v[217:218], vcc_lo, 1.0, v[209:210], 1.0
	v_mul_f64 v[219:220], v[217:218], v[213:214]
	v_fma_f64 v[211:212], -v[211:212], v[219:220], v[217:218]
	v_div_fmas_f64 v[211:212], v[211:212], v[213:214], v[219:220]
	v_div_fixup_f64 v[213:214], v[211:212], v[209:210], 1.0
	v_mul_f64 v[215:216], v[215:216], -v[213:214]
.LBB91_367:
	s_or_b32 exec_lo, exec_lo, s1
	ds_write2_b64 v255, v[213:214], v[215:216] offset1:1
.LBB91_368:
	s_or_b32 exec_lo, exec_lo, s2
	s_waitcnt lgkmcnt(0)
	s_barrier
	buffer_gl0_inv
	ds_read2_b64 v[209:212], v255 offset1:1
	s_mov_b32 s1, exec_lo
	v_cmpx_lt_u32_e32 40, v0
	s_cbranch_execz .LBB91_370
; %bb.369:
	s_waitcnt lgkmcnt(0)
	v_mul_f64 v[213:214], v[209:210], v[23:24]
	v_mul_f64 v[23:24], v[211:212], v[23:24]
	v_fma_f64 v[217:218], v[211:212], v[21:22], v[213:214]
	ds_read2_b64 v[213:216], v253 offset0:82 offset1:83
	v_fma_f64 v[21:22], v[209:210], v[21:22], -v[23:24]
	s_waitcnt lgkmcnt(0)
	v_mul_f64 v[23:24], v[215:216], v[217:218]
	v_fma_f64 v[23:24], v[213:214], v[21:22], -v[23:24]
	v_mul_f64 v[213:214], v[213:214], v[217:218]
	v_add_f64 v[17:18], v[17:18], -v[23:24]
	v_fma_f64 v[213:214], v[215:216], v[21:22], v[213:214]
	v_add_f64 v[19:20], v[19:20], -v[213:214]
	ds_read2_b64 v[213:216], v253 offset0:84 offset1:85
	s_waitcnt lgkmcnt(0)
	v_mul_f64 v[23:24], v[215:216], v[217:218]
	v_fma_f64 v[23:24], v[213:214], v[21:22], -v[23:24]
	v_mul_f64 v[213:214], v[213:214], v[217:218]
	v_add_f64 v[13:14], v[13:14], -v[23:24]
	v_fma_f64 v[213:214], v[215:216], v[21:22], v[213:214]
	v_add_f64 v[15:16], v[15:16], -v[213:214]
	ds_read2_b64 v[213:216], v253 offset0:86 offset1:87
	;; [unrolled: 8-line block ×4, first 2 shown]
	s_waitcnt lgkmcnt(0)
	v_mul_f64 v[23:24], v[215:216], v[217:218]
	v_fma_f64 v[23:24], v[213:214], v[21:22], -v[23:24]
	v_mul_f64 v[213:214], v[213:214], v[217:218]
	v_add_f64 v[1:2], v[1:2], -v[23:24]
	v_fma_f64 v[213:214], v[215:216], v[21:22], v[213:214]
	v_mov_b32_e32 v23, v217
	v_mov_b32_e32 v24, v218
	v_add_f64 v[3:4], v[3:4], -v[213:214]
.LBB91_370:
	s_or_b32 exec_lo, exec_lo, s1
	s_mov_b32 s2, exec_lo
	s_waitcnt lgkmcnt(0)
	s_barrier
	buffer_gl0_inv
	v_cmpx_eq_u32_e32 41, v0
	s_cbranch_execz .LBB91_377
; %bb.371:
	ds_write2_b64 v255, v[17:18], v[19:20] offset1:1
	ds_write2_b64 v253, v[13:14], v[15:16] offset0:84 offset1:85
	ds_write2_b64 v253, v[9:10], v[11:12] offset0:86 offset1:87
	;; [unrolled: 1-line block ×4, first 2 shown]
	ds_read2_b64 v[213:216], v255 offset1:1
	s_waitcnt lgkmcnt(0)
	v_cmp_neq_f64_e32 vcc_lo, 0, v[213:214]
	v_cmp_neq_f64_e64 s1, 0, v[215:216]
	s_or_b32 s1, vcc_lo, s1
	s_and_b32 exec_lo, exec_lo, s1
	s_cbranch_execz .LBB91_377
; %bb.372:
	v_cmp_ngt_f64_e64 s1, |v[213:214]|, |v[215:216]|
                                        ; implicit-def: $vgpr217_vgpr218
	s_and_saveexec_b32 s3, s1
	s_xor_b32 s1, exec_lo, s3
                                        ; implicit-def: $vgpr219_vgpr220
	s_cbranch_execz .LBB91_374
; %bb.373:
	v_div_scale_f64 v[217:218], null, v[215:216], v[215:216], v[213:214]
	v_div_scale_f64 v[223:224], vcc_lo, v[213:214], v[215:216], v[213:214]
	v_rcp_f64_e32 v[219:220], v[217:218]
	v_fma_f64 v[221:222], -v[217:218], v[219:220], 1.0
	v_fma_f64 v[219:220], v[219:220], v[221:222], v[219:220]
	v_fma_f64 v[221:222], -v[217:218], v[219:220], 1.0
	v_fma_f64 v[219:220], v[219:220], v[221:222], v[219:220]
	v_mul_f64 v[221:222], v[223:224], v[219:220]
	v_fma_f64 v[217:218], -v[217:218], v[221:222], v[223:224]
	v_div_fmas_f64 v[217:218], v[217:218], v[219:220], v[221:222]
	v_div_fixup_f64 v[217:218], v[217:218], v[215:216], v[213:214]
	v_fma_f64 v[213:214], v[213:214], v[217:218], v[215:216]
	v_div_scale_f64 v[215:216], null, v[213:214], v[213:214], 1.0
	v_rcp_f64_e32 v[219:220], v[215:216]
	v_fma_f64 v[221:222], -v[215:216], v[219:220], 1.0
	v_fma_f64 v[219:220], v[219:220], v[221:222], v[219:220]
	v_fma_f64 v[221:222], -v[215:216], v[219:220], 1.0
	v_fma_f64 v[219:220], v[219:220], v[221:222], v[219:220]
	v_div_scale_f64 v[221:222], vcc_lo, 1.0, v[213:214], 1.0
	v_mul_f64 v[223:224], v[221:222], v[219:220]
	v_fma_f64 v[215:216], -v[215:216], v[223:224], v[221:222]
	v_div_fmas_f64 v[215:216], v[215:216], v[219:220], v[223:224]
	v_div_fixup_f64 v[219:220], v[215:216], v[213:214], 1.0
                                        ; implicit-def: $vgpr213_vgpr214
	v_mul_f64 v[217:218], v[217:218], v[219:220]
	v_xor_b32_e32 v220, 0x80000000, v220
.LBB91_374:
	s_andn2_saveexec_b32 s1, s1
	s_cbranch_execz .LBB91_376
; %bb.375:
	v_div_scale_f64 v[217:218], null, v[213:214], v[213:214], v[215:216]
	v_div_scale_f64 v[223:224], vcc_lo, v[215:216], v[213:214], v[215:216]
	v_rcp_f64_e32 v[219:220], v[217:218]
	v_fma_f64 v[221:222], -v[217:218], v[219:220], 1.0
	v_fma_f64 v[219:220], v[219:220], v[221:222], v[219:220]
	v_fma_f64 v[221:222], -v[217:218], v[219:220], 1.0
	v_fma_f64 v[219:220], v[219:220], v[221:222], v[219:220]
	v_mul_f64 v[221:222], v[223:224], v[219:220]
	v_fma_f64 v[217:218], -v[217:218], v[221:222], v[223:224]
	v_div_fmas_f64 v[217:218], v[217:218], v[219:220], v[221:222]
	v_div_fixup_f64 v[219:220], v[217:218], v[213:214], v[215:216]
	v_fma_f64 v[213:214], v[215:216], v[219:220], v[213:214]
	v_div_scale_f64 v[215:216], null, v[213:214], v[213:214], 1.0
	v_rcp_f64_e32 v[217:218], v[215:216]
	v_fma_f64 v[221:222], -v[215:216], v[217:218], 1.0
	v_fma_f64 v[217:218], v[217:218], v[221:222], v[217:218]
	v_fma_f64 v[221:222], -v[215:216], v[217:218], 1.0
	v_fma_f64 v[217:218], v[217:218], v[221:222], v[217:218]
	v_div_scale_f64 v[221:222], vcc_lo, 1.0, v[213:214], 1.0
	v_mul_f64 v[223:224], v[221:222], v[217:218]
	v_fma_f64 v[215:216], -v[215:216], v[223:224], v[221:222]
	v_div_fmas_f64 v[215:216], v[215:216], v[217:218], v[223:224]
	v_div_fixup_f64 v[217:218], v[215:216], v[213:214], 1.0
	v_mul_f64 v[219:220], v[219:220], -v[217:218]
.LBB91_376:
	s_or_b32 exec_lo, exec_lo, s1
	ds_write2_b64 v255, v[217:218], v[219:220] offset1:1
.LBB91_377:
	s_or_b32 exec_lo, exec_lo, s2
	s_waitcnt lgkmcnt(0)
	s_barrier
	buffer_gl0_inv
	ds_read2_b64 v[213:216], v255 offset1:1
	s_mov_b32 s1, exec_lo
	v_cmpx_lt_u32_e32 41, v0
	s_cbranch_execz .LBB91_379
; %bb.378:
	s_waitcnt lgkmcnt(0)
	v_mul_f64 v[217:218], v[213:214], v[19:20]
	v_mul_f64 v[19:20], v[215:216], v[19:20]
	v_fma_f64 v[221:222], v[215:216], v[17:18], v[217:218]
	ds_read2_b64 v[217:220], v253 offset0:84 offset1:85
	v_fma_f64 v[17:18], v[213:214], v[17:18], -v[19:20]
	s_waitcnt lgkmcnt(0)
	v_mul_f64 v[19:20], v[219:220], v[221:222]
	v_fma_f64 v[19:20], v[217:218], v[17:18], -v[19:20]
	v_mul_f64 v[217:218], v[217:218], v[221:222]
	v_add_f64 v[13:14], v[13:14], -v[19:20]
	v_fma_f64 v[217:218], v[219:220], v[17:18], v[217:218]
	v_add_f64 v[15:16], v[15:16], -v[217:218]
	ds_read2_b64 v[217:220], v253 offset0:86 offset1:87
	s_waitcnt lgkmcnt(0)
	v_mul_f64 v[19:20], v[219:220], v[221:222]
	v_fma_f64 v[19:20], v[217:218], v[17:18], -v[19:20]
	v_mul_f64 v[217:218], v[217:218], v[221:222]
	v_add_f64 v[9:10], v[9:10], -v[19:20]
	v_fma_f64 v[217:218], v[219:220], v[17:18], v[217:218]
	v_add_f64 v[11:12], v[11:12], -v[217:218]
	ds_read2_b64 v[217:220], v253 offset0:88 offset1:89
	;; [unrolled: 8-line block ×3, first 2 shown]
	s_waitcnt lgkmcnt(0)
	v_mul_f64 v[19:20], v[219:220], v[221:222]
	v_fma_f64 v[19:20], v[217:218], v[17:18], -v[19:20]
	v_mul_f64 v[217:218], v[217:218], v[221:222]
	v_add_f64 v[1:2], v[1:2], -v[19:20]
	v_fma_f64 v[217:218], v[219:220], v[17:18], v[217:218]
	v_mov_b32_e32 v19, v221
	v_mov_b32_e32 v20, v222
	v_add_f64 v[3:4], v[3:4], -v[217:218]
.LBB91_379:
	s_or_b32 exec_lo, exec_lo, s1
	s_mov_b32 s2, exec_lo
	s_waitcnt lgkmcnt(0)
	s_barrier
	buffer_gl0_inv
	v_cmpx_eq_u32_e32 42, v0
	s_cbranch_execz .LBB91_386
; %bb.380:
	ds_write2_b64 v255, v[13:14], v[15:16] offset1:1
	ds_write2_b64 v253, v[9:10], v[11:12] offset0:86 offset1:87
	ds_write2_b64 v253, v[5:6], v[7:8] offset0:88 offset1:89
	ds_write2_b64 v253, v[1:2], v[3:4] offset0:90 offset1:91
	ds_read2_b64 v[217:220], v255 offset1:1
	s_waitcnt lgkmcnt(0)
	v_cmp_neq_f64_e32 vcc_lo, 0, v[217:218]
	v_cmp_neq_f64_e64 s1, 0, v[219:220]
	s_or_b32 s1, vcc_lo, s1
	s_and_b32 exec_lo, exec_lo, s1
	s_cbranch_execz .LBB91_386
; %bb.381:
	v_cmp_ngt_f64_e64 s1, |v[217:218]|, |v[219:220]|
                                        ; implicit-def: $vgpr221_vgpr222
	s_and_saveexec_b32 s3, s1
	s_xor_b32 s1, exec_lo, s3
                                        ; implicit-def: $vgpr223_vgpr224
	s_cbranch_execz .LBB91_383
; %bb.382:
	v_div_scale_f64 v[221:222], null, v[219:220], v[219:220], v[217:218]
	v_div_scale_f64 v[227:228], vcc_lo, v[217:218], v[219:220], v[217:218]
	v_rcp_f64_e32 v[223:224], v[221:222]
	v_fma_f64 v[225:226], -v[221:222], v[223:224], 1.0
	v_fma_f64 v[223:224], v[223:224], v[225:226], v[223:224]
	v_fma_f64 v[225:226], -v[221:222], v[223:224], 1.0
	v_fma_f64 v[223:224], v[223:224], v[225:226], v[223:224]
	v_mul_f64 v[225:226], v[227:228], v[223:224]
	v_fma_f64 v[221:222], -v[221:222], v[225:226], v[227:228]
	v_div_fmas_f64 v[221:222], v[221:222], v[223:224], v[225:226]
	v_div_fixup_f64 v[221:222], v[221:222], v[219:220], v[217:218]
	v_fma_f64 v[217:218], v[217:218], v[221:222], v[219:220]
	v_div_scale_f64 v[219:220], null, v[217:218], v[217:218], 1.0
	v_rcp_f64_e32 v[223:224], v[219:220]
	v_fma_f64 v[225:226], -v[219:220], v[223:224], 1.0
	v_fma_f64 v[223:224], v[223:224], v[225:226], v[223:224]
	v_fma_f64 v[225:226], -v[219:220], v[223:224], 1.0
	v_fma_f64 v[223:224], v[223:224], v[225:226], v[223:224]
	v_div_scale_f64 v[225:226], vcc_lo, 1.0, v[217:218], 1.0
	v_mul_f64 v[227:228], v[225:226], v[223:224]
	v_fma_f64 v[219:220], -v[219:220], v[227:228], v[225:226]
	v_div_fmas_f64 v[219:220], v[219:220], v[223:224], v[227:228]
	v_div_fixup_f64 v[223:224], v[219:220], v[217:218], 1.0
                                        ; implicit-def: $vgpr217_vgpr218
	v_mul_f64 v[221:222], v[221:222], v[223:224]
	v_xor_b32_e32 v224, 0x80000000, v224
.LBB91_383:
	s_andn2_saveexec_b32 s1, s1
	s_cbranch_execz .LBB91_385
; %bb.384:
	v_div_scale_f64 v[221:222], null, v[217:218], v[217:218], v[219:220]
	v_div_scale_f64 v[227:228], vcc_lo, v[219:220], v[217:218], v[219:220]
	v_rcp_f64_e32 v[223:224], v[221:222]
	v_fma_f64 v[225:226], -v[221:222], v[223:224], 1.0
	v_fma_f64 v[223:224], v[223:224], v[225:226], v[223:224]
	v_fma_f64 v[225:226], -v[221:222], v[223:224], 1.0
	v_fma_f64 v[223:224], v[223:224], v[225:226], v[223:224]
	v_mul_f64 v[225:226], v[227:228], v[223:224]
	v_fma_f64 v[221:222], -v[221:222], v[225:226], v[227:228]
	v_div_fmas_f64 v[221:222], v[221:222], v[223:224], v[225:226]
	v_div_fixup_f64 v[223:224], v[221:222], v[217:218], v[219:220]
	v_fma_f64 v[217:218], v[219:220], v[223:224], v[217:218]
	v_div_scale_f64 v[219:220], null, v[217:218], v[217:218], 1.0
	v_rcp_f64_e32 v[221:222], v[219:220]
	v_fma_f64 v[225:226], -v[219:220], v[221:222], 1.0
	v_fma_f64 v[221:222], v[221:222], v[225:226], v[221:222]
	v_fma_f64 v[225:226], -v[219:220], v[221:222], 1.0
	v_fma_f64 v[221:222], v[221:222], v[225:226], v[221:222]
	v_div_scale_f64 v[225:226], vcc_lo, 1.0, v[217:218], 1.0
	v_mul_f64 v[227:228], v[225:226], v[221:222]
	v_fma_f64 v[219:220], -v[219:220], v[227:228], v[225:226]
	v_div_fmas_f64 v[219:220], v[219:220], v[221:222], v[227:228]
	v_div_fixup_f64 v[221:222], v[219:220], v[217:218], 1.0
	v_mul_f64 v[223:224], v[223:224], -v[221:222]
.LBB91_385:
	s_or_b32 exec_lo, exec_lo, s1
	ds_write2_b64 v255, v[221:222], v[223:224] offset1:1
.LBB91_386:
	s_or_b32 exec_lo, exec_lo, s2
	s_waitcnt lgkmcnt(0)
	s_barrier
	buffer_gl0_inv
	ds_read2_b64 v[217:220], v255 offset1:1
	s_mov_b32 s1, exec_lo
	v_cmpx_lt_u32_e32 42, v0
	s_cbranch_execz .LBB91_388
; %bb.387:
	s_waitcnt lgkmcnt(0)
	v_mul_f64 v[221:222], v[217:218], v[15:16]
	v_mul_f64 v[15:16], v[219:220], v[15:16]
	v_fma_f64 v[225:226], v[219:220], v[13:14], v[221:222]
	ds_read2_b64 v[221:224], v253 offset0:86 offset1:87
	v_fma_f64 v[13:14], v[217:218], v[13:14], -v[15:16]
	s_waitcnt lgkmcnt(0)
	v_mul_f64 v[15:16], v[223:224], v[225:226]
	v_fma_f64 v[15:16], v[221:222], v[13:14], -v[15:16]
	v_mul_f64 v[221:222], v[221:222], v[225:226]
	v_add_f64 v[9:10], v[9:10], -v[15:16]
	v_fma_f64 v[221:222], v[223:224], v[13:14], v[221:222]
	v_add_f64 v[11:12], v[11:12], -v[221:222]
	ds_read2_b64 v[221:224], v253 offset0:88 offset1:89
	s_waitcnt lgkmcnt(0)
	v_mul_f64 v[15:16], v[223:224], v[225:226]
	v_fma_f64 v[15:16], v[221:222], v[13:14], -v[15:16]
	v_mul_f64 v[221:222], v[221:222], v[225:226]
	v_add_f64 v[5:6], v[5:6], -v[15:16]
	v_fma_f64 v[221:222], v[223:224], v[13:14], v[221:222]
	v_add_f64 v[7:8], v[7:8], -v[221:222]
	ds_read2_b64 v[221:224], v253 offset0:90 offset1:91
	s_waitcnt lgkmcnt(0)
	v_mul_f64 v[15:16], v[223:224], v[225:226]
	v_fma_f64 v[15:16], v[221:222], v[13:14], -v[15:16]
	v_mul_f64 v[221:222], v[221:222], v[225:226]
	v_add_f64 v[1:2], v[1:2], -v[15:16]
	v_fma_f64 v[221:222], v[223:224], v[13:14], v[221:222]
	v_mov_b32_e32 v15, v225
	v_mov_b32_e32 v16, v226
	v_add_f64 v[3:4], v[3:4], -v[221:222]
.LBB91_388:
	s_or_b32 exec_lo, exec_lo, s1
	s_mov_b32 s2, exec_lo
	s_waitcnt lgkmcnt(0)
	s_barrier
	buffer_gl0_inv
	v_cmpx_eq_u32_e32 43, v0
	s_cbranch_execz .LBB91_395
; %bb.389:
	ds_write2_b64 v255, v[9:10], v[11:12] offset1:1
	ds_write2_b64 v253, v[5:6], v[7:8] offset0:88 offset1:89
	ds_write2_b64 v253, v[1:2], v[3:4] offset0:90 offset1:91
	ds_read2_b64 v[221:224], v255 offset1:1
	s_waitcnt lgkmcnt(0)
	v_cmp_neq_f64_e32 vcc_lo, 0, v[221:222]
	v_cmp_neq_f64_e64 s1, 0, v[223:224]
	s_or_b32 s1, vcc_lo, s1
	s_and_b32 exec_lo, exec_lo, s1
	s_cbranch_execz .LBB91_395
; %bb.390:
	v_cmp_ngt_f64_e64 s1, |v[221:222]|, |v[223:224]|
                                        ; implicit-def: $vgpr225_vgpr226
	s_and_saveexec_b32 s3, s1
	s_xor_b32 s1, exec_lo, s3
                                        ; implicit-def: $vgpr227_vgpr228
	s_cbranch_execz .LBB91_392
; %bb.391:
	v_div_scale_f64 v[225:226], null, v[223:224], v[223:224], v[221:222]
	v_div_scale_f64 v[231:232], vcc_lo, v[221:222], v[223:224], v[221:222]
	v_rcp_f64_e32 v[227:228], v[225:226]
	v_fma_f64 v[229:230], -v[225:226], v[227:228], 1.0
	v_fma_f64 v[227:228], v[227:228], v[229:230], v[227:228]
	v_fma_f64 v[229:230], -v[225:226], v[227:228], 1.0
	v_fma_f64 v[227:228], v[227:228], v[229:230], v[227:228]
	v_mul_f64 v[229:230], v[231:232], v[227:228]
	v_fma_f64 v[225:226], -v[225:226], v[229:230], v[231:232]
	v_div_fmas_f64 v[225:226], v[225:226], v[227:228], v[229:230]
	v_div_fixup_f64 v[225:226], v[225:226], v[223:224], v[221:222]
	v_fma_f64 v[221:222], v[221:222], v[225:226], v[223:224]
	v_div_scale_f64 v[223:224], null, v[221:222], v[221:222], 1.0
	v_rcp_f64_e32 v[227:228], v[223:224]
	v_fma_f64 v[229:230], -v[223:224], v[227:228], 1.0
	v_fma_f64 v[227:228], v[227:228], v[229:230], v[227:228]
	v_fma_f64 v[229:230], -v[223:224], v[227:228], 1.0
	v_fma_f64 v[227:228], v[227:228], v[229:230], v[227:228]
	v_div_scale_f64 v[229:230], vcc_lo, 1.0, v[221:222], 1.0
	v_mul_f64 v[231:232], v[229:230], v[227:228]
	v_fma_f64 v[223:224], -v[223:224], v[231:232], v[229:230]
	v_div_fmas_f64 v[223:224], v[223:224], v[227:228], v[231:232]
	v_div_fixup_f64 v[227:228], v[223:224], v[221:222], 1.0
                                        ; implicit-def: $vgpr221_vgpr222
	v_mul_f64 v[225:226], v[225:226], v[227:228]
	v_xor_b32_e32 v228, 0x80000000, v228
.LBB91_392:
	s_andn2_saveexec_b32 s1, s1
	s_cbranch_execz .LBB91_394
; %bb.393:
	v_div_scale_f64 v[225:226], null, v[221:222], v[221:222], v[223:224]
	v_div_scale_f64 v[231:232], vcc_lo, v[223:224], v[221:222], v[223:224]
	v_rcp_f64_e32 v[227:228], v[225:226]
	v_fma_f64 v[229:230], -v[225:226], v[227:228], 1.0
	v_fma_f64 v[227:228], v[227:228], v[229:230], v[227:228]
	v_fma_f64 v[229:230], -v[225:226], v[227:228], 1.0
	v_fma_f64 v[227:228], v[227:228], v[229:230], v[227:228]
	v_mul_f64 v[229:230], v[231:232], v[227:228]
	v_fma_f64 v[225:226], -v[225:226], v[229:230], v[231:232]
	v_div_fmas_f64 v[225:226], v[225:226], v[227:228], v[229:230]
	v_div_fixup_f64 v[227:228], v[225:226], v[221:222], v[223:224]
	v_fma_f64 v[221:222], v[223:224], v[227:228], v[221:222]
	v_div_scale_f64 v[223:224], null, v[221:222], v[221:222], 1.0
	v_rcp_f64_e32 v[225:226], v[223:224]
	v_fma_f64 v[229:230], -v[223:224], v[225:226], 1.0
	v_fma_f64 v[225:226], v[225:226], v[229:230], v[225:226]
	v_fma_f64 v[229:230], -v[223:224], v[225:226], 1.0
	v_fma_f64 v[225:226], v[225:226], v[229:230], v[225:226]
	v_div_scale_f64 v[229:230], vcc_lo, 1.0, v[221:222], 1.0
	v_mul_f64 v[231:232], v[229:230], v[225:226]
	v_fma_f64 v[223:224], -v[223:224], v[231:232], v[229:230]
	v_div_fmas_f64 v[223:224], v[223:224], v[225:226], v[231:232]
	v_div_fixup_f64 v[225:226], v[223:224], v[221:222], 1.0
	v_mul_f64 v[227:228], v[227:228], -v[225:226]
.LBB91_394:
	s_or_b32 exec_lo, exec_lo, s1
	ds_write2_b64 v255, v[225:226], v[227:228] offset1:1
.LBB91_395:
	s_or_b32 exec_lo, exec_lo, s2
	s_waitcnt lgkmcnt(0)
	s_barrier
	buffer_gl0_inv
	ds_read2_b64 v[221:224], v255 offset1:1
	s_mov_b32 s1, exec_lo
	v_cmpx_lt_u32_e32 43, v0
	s_cbranch_execz .LBB91_397
; %bb.396:
	s_waitcnt lgkmcnt(0)
	v_mul_f64 v[225:226], v[221:222], v[11:12]
	v_mul_f64 v[11:12], v[223:224], v[11:12]
	v_fma_f64 v[229:230], v[223:224], v[9:10], v[225:226]
	ds_read2_b64 v[225:228], v253 offset0:88 offset1:89
	v_fma_f64 v[9:10], v[221:222], v[9:10], -v[11:12]
	s_waitcnt lgkmcnt(0)
	v_mul_f64 v[11:12], v[227:228], v[229:230]
	v_fma_f64 v[11:12], v[225:226], v[9:10], -v[11:12]
	v_mul_f64 v[225:226], v[225:226], v[229:230]
	v_add_f64 v[5:6], v[5:6], -v[11:12]
	v_fma_f64 v[225:226], v[227:228], v[9:10], v[225:226]
	v_add_f64 v[7:8], v[7:8], -v[225:226]
	ds_read2_b64 v[225:228], v253 offset0:90 offset1:91
	s_waitcnt lgkmcnt(0)
	v_mul_f64 v[11:12], v[227:228], v[229:230]
	v_fma_f64 v[11:12], v[225:226], v[9:10], -v[11:12]
	v_mul_f64 v[225:226], v[225:226], v[229:230]
	v_add_f64 v[1:2], v[1:2], -v[11:12]
	v_fma_f64 v[225:226], v[227:228], v[9:10], v[225:226]
	v_mov_b32_e32 v11, v229
	v_mov_b32_e32 v12, v230
	v_add_f64 v[3:4], v[3:4], -v[225:226]
.LBB91_397:
	s_or_b32 exec_lo, exec_lo, s1
	s_mov_b32 s2, exec_lo
	s_waitcnt lgkmcnt(0)
	s_barrier
	buffer_gl0_inv
	v_cmpx_eq_u32_e32 44, v0
	s_cbranch_execz .LBB91_404
; %bb.398:
	ds_write2_b64 v255, v[5:6], v[7:8] offset1:1
	ds_write2_b64 v253, v[1:2], v[3:4] offset0:90 offset1:91
	ds_read2_b64 v[225:228], v255 offset1:1
	s_waitcnt lgkmcnt(0)
	v_cmp_neq_f64_e32 vcc_lo, 0, v[225:226]
	v_cmp_neq_f64_e64 s1, 0, v[227:228]
	s_or_b32 s1, vcc_lo, s1
	s_and_b32 exec_lo, exec_lo, s1
	s_cbranch_execz .LBB91_404
; %bb.399:
	v_cmp_ngt_f64_e64 s1, |v[225:226]|, |v[227:228]|
                                        ; implicit-def: $vgpr229_vgpr230
	s_and_saveexec_b32 s3, s1
	s_xor_b32 s1, exec_lo, s3
                                        ; implicit-def: $vgpr231_vgpr232
	s_cbranch_execz .LBB91_401
; %bb.400:
	v_div_scale_f64 v[229:230], null, v[227:228], v[227:228], v[225:226]
	v_mov_b32_e32 v185, v235
	v_mov_b32_e32 v186, v236
	v_div_scale_f64 v[235:236], vcc_lo, v[225:226], v[227:228], v[225:226]
	v_rcp_f64_e32 v[231:232], v[229:230]
	v_fma_f64 v[233:234], -v[229:230], v[231:232], 1.0
	v_fma_f64 v[231:232], v[231:232], v[233:234], v[231:232]
	v_fma_f64 v[233:234], -v[229:230], v[231:232], 1.0
	v_fma_f64 v[231:232], v[231:232], v[233:234], v[231:232]
	v_mul_f64 v[233:234], v[235:236], v[231:232]
	v_fma_f64 v[229:230], -v[229:230], v[233:234], v[235:236]
	v_div_fmas_f64 v[229:230], v[229:230], v[231:232], v[233:234]
	v_div_fixup_f64 v[229:230], v[229:230], v[227:228], v[225:226]
	v_fma_f64 v[225:226], v[225:226], v[229:230], v[227:228]
	v_div_scale_f64 v[227:228], null, v[225:226], v[225:226], 1.0
	v_rcp_f64_e32 v[231:232], v[227:228]
	v_fma_f64 v[233:234], -v[227:228], v[231:232], 1.0
	v_fma_f64 v[231:232], v[231:232], v[233:234], v[231:232]
	v_fma_f64 v[233:234], -v[227:228], v[231:232], 1.0
	v_fma_f64 v[231:232], v[231:232], v[233:234], v[231:232]
	v_div_scale_f64 v[233:234], vcc_lo, 1.0, v[225:226], 1.0
	v_mul_f64 v[235:236], v[233:234], v[231:232]
	v_fma_f64 v[227:228], -v[227:228], v[235:236], v[233:234]
	v_div_fmas_f64 v[227:228], v[227:228], v[231:232], v[235:236]
	v_mov_b32_e32 v236, v186
	v_mov_b32_e32 v235, v185
	v_div_fixup_f64 v[231:232], v[227:228], v[225:226], 1.0
                                        ; implicit-def: $vgpr225_vgpr226
	v_mul_f64 v[229:230], v[229:230], v[231:232]
	v_xor_b32_e32 v232, 0x80000000, v232
.LBB91_401:
	s_andn2_saveexec_b32 s1, s1
	s_cbranch_execz .LBB91_403
; %bb.402:
	v_div_scale_f64 v[229:230], null, v[225:226], v[225:226], v[227:228]
	v_mov_b32_e32 v185, v235
	v_mov_b32_e32 v186, v236
	v_div_scale_f64 v[235:236], vcc_lo, v[227:228], v[225:226], v[227:228]
	v_rcp_f64_e32 v[231:232], v[229:230]
	v_fma_f64 v[233:234], -v[229:230], v[231:232], 1.0
	v_fma_f64 v[231:232], v[231:232], v[233:234], v[231:232]
	v_fma_f64 v[233:234], -v[229:230], v[231:232], 1.0
	v_fma_f64 v[231:232], v[231:232], v[233:234], v[231:232]
	v_mul_f64 v[233:234], v[235:236], v[231:232]
	v_fma_f64 v[229:230], -v[229:230], v[233:234], v[235:236]
	v_div_fmas_f64 v[229:230], v[229:230], v[231:232], v[233:234]
	v_div_fixup_f64 v[231:232], v[229:230], v[225:226], v[227:228]
	v_fma_f64 v[225:226], v[227:228], v[231:232], v[225:226]
	v_div_scale_f64 v[227:228], null, v[225:226], v[225:226], 1.0
	v_rcp_f64_e32 v[229:230], v[227:228]
	v_fma_f64 v[233:234], -v[227:228], v[229:230], 1.0
	v_fma_f64 v[229:230], v[229:230], v[233:234], v[229:230]
	v_fma_f64 v[233:234], -v[227:228], v[229:230], 1.0
	v_fma_f64 v[229:230], v[229:230], v[233:234], v[229:230]
	v_div_scale_f64 v[233:234], vcc_lo, 1.0, v[225:226], 1.0
	v_mul_f64 v[235:236], v[233:234], v[229:230]
	v_fma_f64 v[227:228], -v[227:228], v[235:236], v[233:234]
	v_div_fmas_f64 v[227:228], v[227:228], v[229:230], v[235:236]
	v_mov_b32_e32 v236, v186
	v_mov_b32_e32 v235, v185
	v_div_fixup_f64 v[229:230], v[227:228], v[225:226], 1.0
	v_mul_f64 v[231:232], v[231:232], -v[229:230]
.LBB91_403:
	s_or_b32 exec_lo, exec_lo, s1
	ds_write2_b64 v255, v[229:230], v[231:232] offset1:1
.LBB91_404:
	s_or_b32 exec_lo, exec_lo, s2
	s_waitcnt lgkmcnt(0)
	s_barrier
	buffer_gl0_inv
	ds_read2_b64 v[225:228], v255 offset1:1
	s_mov_b32 s1, exec_lo
	v_cmpx_lt_u32_e32 44, v0
	s_cbranch_execz .LBB91_406
; %bb.405:
	s_waitcnt lgkmcnt(0)
	v_mul_f64 v[229:230], v[225:226], v[7:8]
	v_mul_f64 v[7:8], v[227:228], v[7:8]
	v_fma_f64 v[233:234], v[227:228], v[5:6], v[229:230]
	ds_read2_b64 v[229:232], v253 offset0:90 offset1:91
	v_fma_f64 v[5:6], v[225:226], v[5:6], -v[7:8]
	s_waitcnt lgkmcnt(0)
	v_mul_f64 v[7:8], v[231:232], v[233:234]
	v_fma_f64 v[7:8], v[229:230], v[5:6], -v[7:8]
	v_mul_f64 v[229:230], v[229:230], v[233:234]
	v_add_f64 v[1:2], v[1:2], -v[7:8]
	v_fma_f64 v[229:230], v[231:232], v[5:6], v[229:230]
	v_mov_b32_e32 v7, v233
	v_mov_b32_e32 v8, v234
	v_add_f64 v[3:4], v[3:4], -v[229:230]
.LBB91_406:
	s_or_b32 exec_lo, exec_lo, s1
	s_mov_b32 s2, exec_lo
	s_waitcnt lgkmcnt(0)
	s_barrier
	buffer_gl0_inv
	v_cmpx_eq_u32_e32 45, v0
	s_cbranch_execz .LBB91_413
; %bb.407:
	v_cmp_neq_f64_e32 vcc_lo, 0, v[1:2]
	v_cmp_neq_f64_e64 s1, 0, v[3:4]
	ds_write2_b64 v255, v[1:2], v[3:4] offset1:1
	s_or_b32 s1, vcc_lo, s1
	s_and_b32 exec_lo, exec_lo, s1
	s_cbranch_execz .LBB91_413
; %bb.408:
	v_cmp_ngt_f64_e64 s1, |v[1:2]|, |v[3:4]|
                                        ; implicit-def: $vgpr229_vgpr230
	s_and_saveexec_b32 s3, s1
	s_xor_b32 s1, exec_lo, s3
                                        ; implicit-def: $vgpr231_vgpr232
	s_cbranch_execz .LBB91_410
; %bb.409:
	v_div_scale_f64 v[229:230], null, v[3:4], v[3:4], v[1:2]
	v_mov_b32_e32 v187, v235
	v_mov_b32_e32 v188, v236
	v_div_scale_f64 v[235:236], vcc_lo, v[1:2], v[3:4], v[1:2]
	v_mov_b32_e32 v185, v251
	v_mov_b32_e32 v186, v252
	;; [unrolled: 1-line block ×14, first 2 shown]
	v_rcp_f64_e32 v[231:232], v[229:230]
	v_fma_f64 v[233:234], -v[229:230], v[231:232], 1.0
	v_fma_f64 v[231:232], v[231:232], v[233:234], v[231:232]
	v_fma_f64 v[233:234], -v[229:230], v[231:232], 1.0
	v_fma_f64 v[231:232], v[231:232], v[233:234], v[231:232]
	v_mul_f64 v[233:234], v[235:236], v[231:232]
	v_fma_f64 v[229:230], -v[229:230], v[233:234], v[235:236]
	v_div_fmas_f64 v[229:230], v[229:230], v[231:232], v[233:234]
	v_div_fixup_f64 v[229:230], v[229:230], v[3:4], v[1:2]
	v_fma_f64 v[231:232], v[1:2], v[229:230], v[3:4]
	v_div_scale_f64 v[233:234], null, v[231:232], v[231:232], 1.0
	v_rcp_f64_e32 v[235:236], v[233:234]
	v_fma_f64 v[253:254], -v[233:234], v[235:236], 1.0
	v_fma_f64 v[235:236], v[235:236], v[253:254], v[235:236]
	v_fma_f64 v[253:254], -v[233:234], v[235:236], 1.0
	v_fma_f64 v[235:236], v[235:236], v[253:254], v[235:236]
	v_div_scale_f64 v[253:254], vcc_lo, 1.0, v[231:232], 1.0
	v_mul_f64 v[237:238], v[253:254], v[235:236]
	v_fma_f64 v[233:234], -v[233:234], v[237:238], v[253:254]
	v_div_fmas_f64 v[233:234], v[233:234], v[235:236], v[237:238]
	v_mov_b32_e32 v237, v241
	v_mov_b32_e32 v238, v242
	;; [unrolled: 1-line block ×16, first 2 shown]
	v_div_fixup_f64 v[231:232], v[233:234], v[231:232], 1.0
	v_mul_f64 v[229:230], v[229:230], v[231:232]
	v_xor_b32_e32 v232, 0x80000000, v232
.LBB91_410:
	s_andn2_saveexec_b32 s1, s1
	s_cbranch_execz .LBB91_412
; %bb.411:
	v_div_scale_f64 v[229:230], null, v[1:2], v[1:2], v[3:4]
	v_mov_b32_e32 v187, v235
	v_mov_b32_e32 v188, v236
	v_div_scale_f64 v[235:236], vcc_lo, v[3:4], v[1:2], v[3:4]
	v_mov_b32_e32 v185, v251
	v_mov_b32_e32 v186, v252
	;; [unrolled: 1-line block ×16, first 2 shown]
	v_rcp_f64_e32 v[231:232], v[229:230]
	v_fma_f64 v[233:234], -v[229:230], v[231:232], 1.0
	v_fma_f64 v[231:232], v[231:232], v[233:234], v[231:232]
	v_fma_f64 v[233:234], -v[229:230], v[231:232], 1.0
	v_fma_f64 v[231:232], v[231:232], v[233:234], v[231:232]
	v_mul_f64 v[233:234], v[235:236], v[231:232]
	v_fma_f64 v[229:230], -v[229:230], v[233:234], v[235:236]
	v_div_fmas_f64 v[229:230], v[229:230], v[231:232], v[233:234]
	v_div_fixup_f64 v[231:232], v[229:230], v[1:2], v[3:4]
	v_fma_f64 v[229:230], v[3:4], v[231:232], v[1:2]
	v_div_scale_f64 v[233:234], null, v[229:230], v[229:230], 1.0
	v_rcp_f64_e32 v[235:236], v[233:234]
	v_fma_f64 v[237:238], -v[233:234], v[235:236], 1.0
	v_fma_f64 v[235:236], v[235:236], v[237:238], v[235:236]
	v_fma_f64 v[237:238], -v[233:234], v[235:236], 1.0
	v_fma_f64 v[235:236], v[235:236], v[237:238], v[235:236]
	v_div_scale_f64 v[237:238], vcc_lo, 1.0, v[229:230], 1.0
	v_mul_f64 v[239:240], v[237:238], v[235:236]
	v_fma_f64 v[233:234], -v[233:234], v[239:240], v[237:238]
	v_mov_b32_e32 v237, v241
	v_mov_b32_e32 v238, v242
	;; [unrolled: 1-line block ×14, first 2 shown]
	v_div_fmas_f64 v[233:234], v[233:234], v[235:236], v[239:240]
	v_mov_b32_e32 v236, v188
	v_mov_b32_e32 v239, v253
	;; [unrolled: 1-line block ×4, first 2 shown]
	v_div_fixup_f64 v[229:230], v[233:234], v[229:230], 1.0
	v_mul_f64 v[231:232], v[231:232], -v[229:230]
.LBB91_412:
	s_or_b32 exec_lo, exec_lo, s1
	ds_write2_b64 v255, v[229:230], v[231:232] offset1:1
.LBB91_413:
	s_or_b32 exec_lo, exec_lo, s2
	s_waitcnt lgkmcnt(0)
	s_barrier
	buffer_gl0_inv
	ds_read2_b64 v[229:232], v255 offset1:1
	s_mov_b32 s1, exec_lo
	v_cmpx_lt_u32_e32 45, v0
	s_cbranch_execz .LBB91_415
; %bb.414:
	s_waitcnt lgkmcnt(0)
	v_mul_f64 v[233:234], v[231:232], v[3:4]
	v_mul_f64 v[3:4], v[229:230], v[3:4]
	v_fma_f64 v[233:234], v[229:230], v[1:2], -v[233:234]
	v_fma_f64 v[3:4], v[231:232], v[1:2], v[3:4]
	v_mov_b32_e32 v1, v233
	v_mov_b32_e32 v2, v234
.LBB91_415:
	s_or_b32 exec_lo, exec_lo, s1
	s_waitcnt lgkmcnt(0)
	s_barrier
	buffer_gl0_inv
	s_and_saveexec_b32 s7, s0
	s_cbranch_execz .LBB91_418
; %bb.416:
	s_clause 0x3
	buffer_load_dword v185, off, s[16:19], 0 offset:296
	buffer_load_dword v186, off, s[16:19], 0 offset:300
	;; [unrolled: 1-line block ×4, first 2 shown]
	s_waitcnt vmcnt(2)
	v_cmp_eq_f64_e32 vcc_lo, 0, v[185:186]
	s_waitcnt vmcnt(0)
	v_cmp_eq_f64_e64 s0, 0, v[187:188]
	s_clause 0x3
	buffer_load_dword v185, off, s[16:19], 0 offset:312
	buffer_load_dword v186, off, s[16:19], 0 offset:316
	;; [unrolled: 1-line block ×4, first 2 shown]
	s_and_b32 s0, vcc_lo, s0
	v_cndmask_b32_e64 v0, 0, 1, s0
	s_waitcnt vmcnt(2)
	v_cmp_neq_f64_e64 s1, 0, v[185:186]
	s_waitcnt vmcnt(0)
	v_cmp_neq_f64_e64 s2, 0, v[187:188]
	s_clause 0x3
	buffer_load_dword v185, off, s[16:19], 0 offset:328
	buffer_load_dword v186, off, s[16:19], 0 offset:332
	;; [unrolled: 1-line block ×4, first 2 shown]
	s_or_b32 s1, s1, s2
	s_or_b32 s0, s1, s0
	v_cndmask_b32_e64 v0, 2, v0, s0
	v_cmp_eq_u32_e64 s0, 0, v0
	s_waitcnt vmcnt(2)
	v_cmp_eq_f64_e64 s3, 0, v[185:186]
	s_waitcnt vmcnt(0)
	v_cmp_eq_f64_e64 s4, 0, v[187:188]
	s_clause 0x3
	buffer_load_dword v185, off, s[16:19], 0 offset:344
	buffer_load_dword v186, off, s[16:19], 0 offset:348
	;; [unrolled: 1-line block ×4, first 2 shown]
	s_and_b32 s3, s3, s4
	s_and_b32 s0, s3, s0
	v_cndmask_b32_e64 v0, v0, 3, s0
	v_cmp_eq_u32_e64 s0, 0, v0
	s_waitcnt vmcnt(2)
	v_cmp_eq_f64_e64 s5, 0, v[185:186]
	s_waitcnt vmcnt(0)
	v_cmp_eq_f64_e32 vcc_lo, 0, v[187:188]
	s_clause 0x3
	buffer_load_dword v185, off, s[16:19], 0 offset:360
	buffer_load_dword v186, off, s[16:19], 0 offset:364
	;; [unrolled: 1-line block ×4, first 2 shown]
	s_and_b32 s5, s5, vcc_lo
	s_and_b32 s0, s5, s0
	v_cndmask_b32_e64 v0, v0, 4, s0
	v_cmp_eq_u32_e32 vcc_lo, 0, v0
	s_waitcnt vmcnt(2)
	v_cmp_eq_f64_e64 s1, 0, v[185:186]
	s_waitcnt vmcnt(0)
	v_cmp_eq_f64_e64 s2, 0, v[187:188]
	s_clause 0x3
	buffer_load_dword v185, off, s[16:19], 0 offset:376
	buffer_load_dword v186, off, s[16:19], 0 offset:380
	buffer_load_dword v187, off, s[16:19], 0 offset:384
	buffer_load_dword v188, off, s[16:19], 0 offset:388
	s_and_b32 s1, s1, s2
	s_and_b32 s1, s1, vcc_lo
	v_cndmask_b32_e64 v0, v0, 5, s1
	v_cmp_eq_u32_e32 vcc_lo, 0, v0
	s_waitcnt vmcnt(2)
	v_cmp_eq_f64_e64 s3, 0, v[185:186]
	s_waitcnt vmcnt(0)
	v_cmp_eq_f64_e64 s4, 0, v[187:188]
	s_clause 0x3
	buffer_load_dword v185, off, s[16:19], 0 offset:392
	buffer_load_dword v186, off, s[16:19], 0 offset:396
	buffer_load_dword v187, off, s[16:19], 0 offset:400
	buffer_load_dword v188, off, s[16:19], 0 offset:404
	s_and_b32 s3, s3, s4
	s_and_b32 s3, s3, vcc_lo
	;; [unrolled: 13-line block ×11, first 2 shown]
	v_cndmask_b32_e64 v0, v0, 15, s0
	v_cmp_eq_u32_e64 s3, 0, v0
	s_waitcnt vmcnt(2)
	v_cmp_eq_f64_e64 s5, 0, v[185:186]
	s_waitcnt vmcnt(0)
	v_cmp_eq_f64_e64 s6, 0, v[187:188]
	s_clause 0x3
	buffer_load_dword v185, off, s[16:19], 0 offset:552
	buffer_load_dword v186, off, s[16:19], 0 offset:556
	;; [unrolled: 1-line block ×4, first 2 shown]
	s_and_b32 s4, s5, s6
	s_and_b32 s3, s4, s3
	v_cndmask_b32_e64 v0, v0, 16, s3
	s_waitcnt vmcnt(2)
	v_cmp_eq_f64_e64 s1, 0, v[185:186]
	s_waitcnt vmcnt(0)
	v_cmp_eq_f64_e64 s2, 0, v[187:188]
	s_clause 0x3
	buffer_load_dword v185, off, s[16:19], 0 offset:568
	buffer_load_dword v186, off, s[16:19], 0 offset:572
	;; [unrolled: 1-line block ×4, first 2 shown]
	s_and_b32 s5, s1, s2
	v_cmp_eq_u32_e64 s1, 0, v0
	s_and_b32 s1, s5, s1
	v_cndmask_b32_e64 v0, v0, 17, s1
	v_cmp_eq_u32_e64 s1, 0, v0
	s_waitcnt vmcnt(2)
	v_cmp_eq_f64_e32 vcc_lo, 0, v[185:186]
	s_clause 0x1
	buffer_load_dword v185, off, s[16:19], 0 offset:856
	buffer_load_dword v186, off, s[16:19], 0 offset:860
	s_waitcnt vmcnt(2)
	v_cmp_eq_f64_e64 s0, 0, v[187:188]
	s_and_b32 s0, vcc_lo, s0
	s_and_b32 s0, s0, s1
	v_cndmask_b32_e64 v0, v0, 18, s0
	v_cmp_eq_u32_e32 vcc_lo, 0, v0
	s_waitcnt vmcnt(0)
	v_lshlrev_b64 v[233:234], 2, v[185:186]
	s_clause 0x3
	buffer_load_dword v185, off, s[16:19], 0 offset:584
	buffer_load_dword v186, off, s[16:19], 0 offset:588
	buffer_load_dword v187, off, s[16:19], 0 offset:592
	buffer_load_dword v188, off, s[16:19], 0 offset:596
	v_add_co_u32 v253, s2, s10, v233
	v_add_co_ci_u32_e64 v254, null, s11, v234, s2
	global_load_dword v233, v[253:254], off
	s_waitcnt vmcnt(3)
	v_cmp_eq_f64_e64 s3, 0, v[185:186]
	s_waitcnt vmcnt(1)
	v_cmp_eq_f64_e64 s4, 0, v[187:188]
	s_clause 0x3
	buffer_load_dword v185, off, s[16:19], 0 offset:600
	buffer_load_dword v186, off, s[16:19], 0 offset:604
	buffer_load_dword v187, off, s[16:19], 0 offset:608
	buffer_load_dword v188, off, s[16:19], 0 offset:612
	s_and_b32 s3, s3, s4
	s_and_b32 s3, s3, vcc_lo
	v_cndmask_b32_e64 v0, v0, 19, s3
	v_cmp_eq_u32_e32 vcc_lo, 0, v0
	s_waitcnt vmcnt(2)
	v_cmp_eq_f64_e64 s2, 0, v[185:186]
	s_waitcnt vmcnt(0)
	v_cmp_eq_f64_e64 s5, 0, v[187:188]
	s_clause 0x3
	buffer_load_dword v185, off, s[16:19], 0 offset:616
	buffer_load_dword v186, off, s[16:19], 0 offset:620
	buffer_load_dword v187, off, s[16:19], 0 offset:624
	buffer_load_dword v188, off, s[16:19], 0 offset:628
	s_and_b32 s2, s2, s5
	s_and_b32 s2, s2, vcc_lo
	v_cndmask_b32_e64 v0, v0, 20, s2
	v_cmp_eq_u32_e32 vcc_lo, 0, v0
	s_waitcnt vmcnt(2)
	v_cmp_eq_f64_e64 s0, 0, v[185:186]
	s_waitcnt vmcnt(0)
	v_cmp_eq_f64_e64 s1, 0, v[187:188]
	s_clause 0x3
	buffer_load_dword v185, off, s[16:19], 0 offset:632
	buffer_load_dword v186, off, s[16:19], 0 offset:636
	buffer_load_dword v187, off, s[16:19], 0 offset:640
	buffer_load_dword v188, off, s[16:19], 0 offset:644
	s_and_b32 s0, s0, s1
	s_and_b32 s0, s0, vcc_lo
	v_cndmask_b32_e64 v0, v0, 21, s0
	v_cmp_eq_u32_e32 vcc_lo, 0, v0
	s_waitcnt vmcnt(2)
	v_cmp_eq_f64_e64 s3, 0, v[185:186]
	s_waitcnt vmcnt(0)
	v_cmp_eq_f64_e64 s4, 0, v[187:188]
	s_clause 0x3
	buffer_load_dword v185, off, s[16:19], 0 offset:648
	buffer_load_dword v186, off, s[16:19], 0 offset:652
	buffer_load_dword v187, off, s[16:19], 0 offset:656
	buffer_load_dword v188, off, s[16:19], 0 offset:660
	s_and_b32 s3, s3, s4
	s_and_b32 s3, s3, vcc_lo
	v_cndmask_b32_e64 v0, v0, 22, s3
	v_cmp_eq_u32_e32 vcc_lo, 0, v0
	s_waitcnt vmcnt(2)
	v_cmp_eq_f64_e64 s2, 0, v[185:186]
	s_waitcnt vmcnt(0)
	v_cmp_eq_f64_e64 s5, 0, v[187:188]
	s_clause 0x3
	buffer_load_dword v185, off, s[16:19], 0 offset:664
	buffer_load_dword v186, off, s[16:19], 0 offset:668
	buffer_load_dword v187, off, s[16:19], 0 offset:672
	buffer_load_dword v188, off, s[16:19], 0 offset:676
	s_and_b32 s2, s2, s5
	s_and_b32 s2, s2, vcc_lo
	v_cndmask_b32_e64 v0, v0, 23, s2
	v_cmp_eq_u32_e32 vcc_lo, 0, v0
	s_waitcnt vmcnt(2)
	v_cmp_eq_f64_e64 s0, 0, v[185:186]
	s_waitcnt vmcnt(0)
	v_cmp_eq_f64_e64 s1, 0, v[187:188]
	s_clause 0x3
	buffer_load_dword v185, off, s[16:19], 0 offset:680
	buffer_load_dword v186, off, s[16:19], 0 offset:684
	buffer_load_dword v187, off, s[16:19], 0 offset:688
	buffer_load_dword v188, off, s[16:19], 0 offset:692
	s_and_b32 s0, s0, s1
	s_and_b32 s0, s0, vcc_lo
	v_cndmask_b32_e64 v0, v0, 24, s0
	v_cmp_eq_u32_e32 vcc_lo, 0, v0
	s_waitcnt vmcnt(2)
	v_cmp_eq_f64_e64 s3, 0, v[185:186]
	s_waitcnt vmcnt(0)
	v_cmp_eq_f64_e64 s4, 0, v[187:188]
	s_clause 0x3
	buffer_load_dword v185, off, s[16:19], 0 offset:696
	buffer_load_dword v186, off, s[16:19], 0 offset:700
	buffer_load_dword v187, off, s[16:19], 0 offset:704
	buffer_load_dword v188, off, s[16:19], 0 offset:708
	s_and_b32 s3, s3, s4
	s_and_b32 s3, s3, vcc_lo
	v_cndmask_b32_e64 v0, v0, 25, s3
	v_cmp_eq_u32_e32 vcc_lo, 0, v0
	s_waitcnt vmcnt(2)
	v_cmp_eq_f64_e64 s2, 0, v[185:186]
	s_waitcnt vmcnt(0)
	v_cmp_eq_f64_e64 s5, 0, v[187:188]
	s_clause 0x3
	buffer_load_dword v185, off, s[16:19], 0 offset:712
	buffer_load_dword v186, off, s[16:19], 0 offset:716
	buffer_load_dword v187, off, s[16:19], 0 offset:720
	buffer_load_dword v188, off, s[16:19], 0 offset:724
	s_and_b32 s2, s2, s5
	s_and_b32 s2, s2, vcc_lo
	v_cndmask_b32_e64 v0, v0, 26, s2
	v_cmp_eq_u32_e32 vcc_lo, 0, v0
	s_waitcnt vmcnt(2)
	v_cmp_eq_f64_e64 s0, 0, v[185:186]
	s_waitcnt vmcnt(0)
	v_cmp_eq_f64_e64 s1, 0, v[187:188]
	s_clause 0x3
	buffer_load_dword v185, off, s[16:19], 0 offset:728
	buffer_load_dword v186, off, s[16:19], 0 offset:732
	buffer_load_dword v187, off, s[16:19], 0 offset:736
	buffer_load_dword v188, off, s[16:19], 0 offset:740
	s_and_b32 s0, s0, s1
	s_and_b32 s0, s0, vcc_lo
	v_cndmask_b32_e64 v0, v0, 27, s0
	v_cmp_eq_u32_e32 vcc_lo, 0, v0
	s_waitcnt vmcnt(2)
	v_cmp_eq_f64_e64 s3, 0, v[185:186]
	s_waitcnt vmcnt(0)
	v_cmp_eq_f64_e64 s4, 0, v[187:188]
	s_clause 0x3
	buffer_load_dword v185, off, s[16:19], 0 offset:744
	buffer_load_dword v186, off, s[16:19], 0 offset:748
	buffer_load_dword v187, off, s[16:19], 0 offset:752
	buffer_load_dword v188, off, s[16:19], 0 offset:756
	s_and_b32 s3, s3, s4
	s_and_b32 s3, s3, vcc_lo
	v_cndmask_b32_e64 v0, v0, 28, s3
	v_cmp_eq_u32_e32 vcc_lo, 0, v0
	s_waitcnt vmcnt(2)
	v_cmp_eq_f64_e64 s2, 0, v[185:186]
	s_waitcnt vmcnt(0)
	v_cmp_eq_f64_e64 s5, 0, v[187:188]
	s_clause 0x3
	buffer_load_dword v185, off, s[16:19], 0 offset:760
	buffer_load_dword v186, off, s[16:19], 0 offset:764
	buffer_load_dword v187, off, s[16:19], 0 offset:768
	buffer_load_dword v188, off, s[16:19], 0 offset:772
	s_and_b32 s2, s2, s5
	s_and_b32 s2, s2, vcc_lo
	v_cndmask_b32_e64 v0, v0, 29, s2
	v_cmp_eq_u32_e32 vcc_lo, 0, v0
	s_waitcnt vmcnt(2)
	v_cmp_eq_f64_e64 s0, 0, v[185:186]
	s_waitcnt vmcnt(0)
	v_cmp_eq_f64_e64 s1, 0, v[187:188]
	s_clause 0x3
	buffer_load_dword v185, off, s[16:19], 0 offset:776
	buffer_load_dword v186, off, s[16:19], 0 offset:780
	buffer_load_dword v187, off, s[16:19], 0 offset:784
	buffer_load_dword v188, off, s[16:19], 0 offset:788
	s_and_b32 s0, s0, s1
	s_and_b32 s0, s0, vcc_lo
	v_cndmask_b32_e64 v0, v0, 30, s0
	v_cmp_eq_u32_e32 vcc_lo, 0, v0
	s_waitcnt vmcnt(2)
	v_cmp_eq_f64_e64 s3, 0, v[185:186]
	s_waitcnt vmcnt(0)
	v_cmp_eq_f64_e64 s4, 0, v[187:188]
	s_clause 0x3
	buffer_load_dword v185, off, s[16:19], 0 offset:792
	buffer_load_dword v186, off, s[16:19], 0 offset:796
	buffer_load_dword v187, off, s[16:19], 0 offset:800
	buffer_load_dword v188, off, s[16:19], 0 offset:804
	s_and_b32 s3, s3, s4
	s_and_b32 s3, s3, vcc_lo
	v_cndmask_b32_e64 v0, v0, 31, s3
	v_cmp_eq_u32_e32 vcc_lo, 0, v0
	s_waitcnt vmcnt(2)
	v_cmp_eq_f64_e64 s2, 0, v[185:186]
	s_waitcnt vmcnt(0)
	v_cmp_eq_f64_e64 s5, 0, v[187:188]
	s_clause 0x3
	buffer_load_dword v185, off, s[16:19], 0 offset:808
	buffer_load_dword v186, off, s[16:19], 0 offset:812
	buffer_load_dword v187, off, s[16:19], 0 offset:816
	buffer_load_dword v188, off, s[16:19], 0 offset:820
	s_and_b32 s2, s2, s5
	s_and_b32 s2, s2, vcc_lo
	v_cndmask_b32_e64 v0, v0, 32, s2
	v_cmp_eq_u32_e32 vcc_lo, 0, v0
	s_waitcnt vmcnt(2)
	v_cmp_eq_f64_e64 s0, 0, v[185:186]
	s_waitcnt vmcnt(0)
	v_cmp_eq_f64_e64 s1, 0, v[187:188]
	s_clause 0x3
	buffer_load_dword v185, off, s[16:19], 0 offset:824
	buffer_load_dword v186, off, s[16:19], 0 offset:828
	;; [unrolled: 1-line block ×4, first 2 shown]
	s_and_b32 s0, s0, s1
	v_cmp_eq_f64_e64 s1, 0, v[191:192]
	s_and_b32 s0, s0, vcc_lo
	v_cndmask_b32_e64 v0, v0, 33, s0
	v_cmp_eq_f64_e64 s0, 0, v[189:190]
	v_cmp_eq_u32_e32 vcc_lo, 0, v0
	s_and_b32 s0, s0, s1
	v_cmp_eq_f64_e64 s1, 0, v[203:204]
	s_waitcnt vmcnt(2)
	v_cmp_eq_f64_e64 s3, 0, v[185:186]
	s_waitcnt vmcnt(0)
	v_cmp_eq_f64_e64 s4, 0, v[187:188]
	s_clause 0x3
	buffer_load_dword v185, off, s[16:19], 0 offset:840
	buffer_load_dword v186, off, s[16:19], 0 offset:844
	buffer_load_dword v187, off, s[16:19], 0 offset:848
	buffer_load_dword v188, off, s[16:19], 0 offset:852
	s_and_b32 s3, s3, s4
	v_cmp_eq_f64_e64 s4, 0, v[195:196]
	s_and_b32 s3, s3, vcc_lo
	v_cndmask_b32_e64 v0, v0, 34, s3
	v_cmp_eq_f64_e64 s3, 0, v[193:194]
	v_cmp_eq_u32_e32 vcc_lo, 0, v0
	s_and_b32 s3, s3, s4
	v_cmp_eq_f64_e64 s4, 0, v[207:208]
	s_waitcnt vmcnt(2)
	v_cmp_eq_f64_e64 s2, 0, v[185:186]
	s_waitcnt vmcnt(0)
	v_cmp_eq_f64_e64 s5, 0, v[187:188]
	s_and_b32 s2, s2, s5
	v_cmp_eq_f64_e64 s5, 0, v[199:200]
	s_and_b32 s2, s2, vcc_lo
	v_cndmask_b32_e64 v0, v0, 35, s2
	v_cmp_eq_f64_e64 s2, 0, v[197:198]
	v_cmp_eq_u32_e32 vcc_lo, 0, v0
	s_and_b32 s0, s0, vcc_lo
	v_cndmask_b32_e64 v0, v0, 36, s0
	v_cmp_eq_f64_e64 s0, 0, v[201:202]
	v_cmp_eq_u32_e32 vcc_lo, 0, v0
	s_and_b32 s3, s3, vcc_lo
	s_and_b32 s2, s2, s5
	v_cndmask_b32_e64 v0, v0, 37, s3
	v_cmp_eq_f64_e64 s3, 0, v[205:206]
	v_cmp_eq_f64_e64 s5, 0, v[211:212]
	v_cmp_eq_u32_e32 vcc_lo, 0, v0
	s_and_b32 s2, s2, vcc_lo
	s_and_b32 s0, s0, s1
	v_cndmask_b32_e64 v0, v0, 38, s2
	v_cmp_eq_f64_e64 s2, 0, v[209:210]
	;; [unrolled: 6-line block ×7, first 2 shown]
	v_cmp_eq_u32_e32 vcc_lo, 0, v0
	s_and_b32 s2, s2, vcc_lo
	s_and_b32 s0, s0, s1
	v_cndmask_b32_e64 v0, v0, 44, s2
	v_cmp_eq_u32_e32 vcc_lo, 0, v0
	s_and_b32 s0, s0, vcc_lo
	v_cndmask_b32_e64 v0, v0, 45, s0
	s_and_b32 s0, s3, s4
	v_cmp_eq_u32_e32 vcc_lo, 0, v0
	s_and_b32 s0, s0, vcc_lo
	v_cmp_eq_u32_e32 vcc_lo, 0, v233
	v_cndmask_b32_e64 v0, v0, 46, s0
	v_cmp_ne_u32_e64 s0, 0, v0
	s_and_b32 s0, vcc_lo, s0
	s_and_b32 exec_lo, exec_lo, s0
	s_cbranch_execz .LBB91_418
; %bb.417:
	v_add_nc_u32_e32 v0, s13, v0
	global_store_dword v[253:254], v0, off
.LBB91_418:
	s_or_b32 exec_lo, exec_lo, s7
	s_clause 0x1
	buffer_load_dword v185, off, s[16:19], 0 offset:280
	buffer_load_dword v186, off, s[16:19], 0 offset:284
	s_waitcnt vmcnt(0)
	global_store_dwordx4 v[185:186], v[181:184], off
	s_clause 0x1
	buffer_load_dword v181, off, s[16:19], 0 offset:288
	buffer_load_dword v182, off, s[16:19], 0 offset:292
	s_waitcnt vmcnt(0)
	global_store_dwordx4 v[181:182], v[177:180], off
	global_store_dwordx4 v[243:244], v[173:176], off
	;; [unrolled: 1-line block ×10, first 2 shown]
	s_clause 0x1
	buffer_load_dword v141, off, s[16:19], 0
	buffer_load_dword v142, off, s[16:19], 0 offset:4
	s_waitcnt vmcnt(0)
	global_store_dwordx4 v[141:142], v[137:140], off
	s_clause 0x1
	buffer_load_dword v137, off, s[16:19], 0 offset:8
	buffer_load_dword v138, off, s[16:19], 0 offset:12
	s_waitcnt vmcnt(0)
	global_store_dwordx4 v[137:138], v[133:136], off
	s_clause 0x1
	buffer_load_dword v133, off, s[16:19], 0 offset:16
	;; [unrolled: 5-line block ×34, first 2 shown]
	buffer_load_dword v6, off, s[16:19], 0 offset:268
	s_waitcnt vmcnt(0)
	global_store_dwordx4 v[5:6], v[1:4], off
.LBB91_419:
	s_endpgm
	.section	.rodata,"a",@progbits
	.p2align	6, 0x0
	.amdhsa_kernel _ZN9rocsolver6v33100L23getf2_npvt_small_kernelILi46E19rocblas_complex_numIdEiiPS3_EEvT1_T3_lS5_lPT2_S5_S5_
		.amdhsa_group_segment_fixed_size 0
		.amdhsa_private_segment_fixed_size 868
		.amdhsa_kernarg_size 312
		.amdhsa_user_sgpr_count 6
		.amdhsa_user_sgpr_private_segment_buffer 1
		.amdhsa_user_sgpr_dispatch_ptr 0
		.amdhsa_user_sgpr_queue_ptr 0
		.amdhsa_user_sgpr_kernarg_segment_ptr 1
		.amdhsa_user_sgpr_dispatch_id 0
		.amdhsa_user_sgpr_flat_scratch_init 0
		.amdhsa_user_sgpr_private_segment_size 0
		.amdhsa_wavefront_size32 1
		.amdhsa_uses_dynamic_stack 0
		.amdhsa_system_sgpr_private_segment_wavefront_offset 1
		.amdhsa_system_sgpr_workgroup_id_x 1
		.amdhsa_system_sgpr_workgroup_id_y 1
		.amdhsa_system_sgpr_workgroup_id_z 0
		.amdhsa_system_sgpr_workgroup_info 0
		.amdhsa_system_vgpr_workitem_id 1
		.amdhsa_next_free_vgpr 256
		.amdhsa_next_free_sgpr 20
		.amdhsa_reserve_vcc 1
		.amdhsa_reserve_flat_scratch 0
		.amdhsa_float_round_mode_32 0
		.amdhsa_float_round_mode_16_64 0
		.amdhsa_float_denorm_mode_32 3
		.amdhsa_float_denorm_mode_16_64 3
		.amdhsa_dx10_clamp 1
		.amdhsa_ieee_mode 1
		.amdhsa_fp16_overflow 0
		.amdhsa_workgroup_processor_mode 1
		.amdhsa_memory_ordered 1
		.amdhsa_forward_progress 1
		.amdhsa_shared_vgpr_count 0
		.amdhsa_exception_fp_ieee_invalid_op 0
		.amdhsa_exception_fp_denorm_src 0
		.amdhsa_exception_fp_ieee_div_zero 0
		.amdhsa_exception_fp_ieee_overflow 0
		.amdhsa_exception_fp_ieee_underflow 0
		.amdhsa_exception_fp_ieee_inexact 0
		.amdhsa_exception_int_div_zero 0
	.end_amdhsa_kernel
	.section	.text._ZN9rocsolver6v33100L23getf2_npvt_small_kernelILi46E19rocblas_complex_numIdEiiPS3_EEvT1_T3_lS5_lPT2_S5_S5_,"axG",@progbits,_ZN9rocsolver6v33100L23getf2_npvt_small_kernelILi46E19rocblas_complex_numIdEiiPS3_EEvT1_T3_lS5_lPT2_S5_S5_,comdat
.Lfunc_end91:
	.size	_ZN9rocsolver6v33100L23getf2_npvt_small_kernelILi46E19rocblas_complex_numIdEiiPS3_EEvT1_T3_lS5_lPT2_S5_S5_, .Lfunc_end91-_ZN9rocsolver6v33100L23getf2_npvt_small_kernelILi46E19rocblas_complex_numIdEiiPS3_EEvT1_T3_lS5_lPT2_S5_S5_
                                        ; -- End function
	.set _ZN9rocsolver6v33100L23getf2_npvt_small_kernelILi46E19rocblas_complex_numIdEiiPS3_EEvT1_T3_lS5_lPT2_S5_S5_.num_vgpr, 256
	.set _ZN9rocsolver6v33100L23getf2_npvt_small_kernelILi46E19rocblas_complex_numIdEiiPS3_EEvT1_T3_lS5_lPT2_S5_S5_.num_agpr, 0
	.set _ZN9rocsolver6v33100L23getf2_npvt_small_kernelILi46E19rocblas_complex_numIdEiiPS3_EEvT1_T3_lS5_lPT2_S5_S5_.numbered_sgpr, 20
	.set _ZN9rocsolver6v33100L23getf2_npvt_small_kernelILi46E19rocblas_complex_numIdEiiPS3_EEvT1_T3_lS5_lPT2_S5_S5_.num_named_barrier, 0
	.set _ZN9rocsolver6v33100L23getf2_npvt_small_kernelILi46E19rocblas_complex_numIdEiiPS3_EEvT1_T3_lS5_lPT2_S5_S5_.private_seg_size, 868
	.set _ZN9rocsolver6v33100L23getf2_npvt_small_kernelILi46E19rocblas_complex_numIdEiiPS3_EEvT1_T3_lS5_lPT2_S5_S5_.uses_vcc, 1
	.set _ZN9rocsolver6v33100L23getf2_npvt_small_kernelILi46E19rocblas_complex_numIdEiiPS3_EEvT1_T3_lS5_lPT2_S5_S5_.uses_flat_scratch, 0
	.set _ZN9rocsolver6v33100L23getf2_npvt_small_kernelILi46E19rocblas_complex_numIdEiiPS3_EEvT1_T3_lS5_lPT2_S5_S5_.has_dyn_sized_stack, 0
	.set _ZN9rocsolver6v33100L23getf2_npvt_small_kernelILi46E19rocblas_complex_numIdEiiPS3_EEvT1_T3_lS5_lPT2_S5_S5_.has_recursion, 0
	.set _ZN9rocsolver6v33100L23getf2_npvt_small_kernelILi46E19rocblas_complex_numIdEiiPS3_EEvT1_T3_lS5_lPT2_S5_S5_.has_indirect_call, 0
	.section	.AMDGPU.csdata,"",@progbits
; Kernel info:
; codeLenInByte = 107108
; TotalNumSgprs: 22
; NumVgprs: 256
; ScratchSize: 868
; MemoryBound: 1
; FloatMode: 240
; IeeeMode: 1
; LDSByteSize: 0 bytes/workgroup (compile time only)
; SGPRBlocks: 0
; VGPRBlocks: 31
; NumSGPRsForWavesPerEU: 22
; NumVGPRsForWavesPerEU: 256
; Occupancy: 4
; WaveLimiterHint : 0
; COMPUTE_PGM_RSRC2:SCRATCH_EN: 1
; COMPUTE_PGM_RSRC2:USER_SGPR: 6
; COMPUTE_PGM_RSRC2:TRAP_HANDLER: 0
; COMPUTE_PGM_RSRC2:TGID_X_EN: 1
; COMPUTE_PGM_RSRC2:TGID_Y_EN: 1
; COMPUTE_PGM_RSRC2:TGID_Z_EN: 0
; COMPUTE_PGM_RSRC2:TIDIG_COMP_CNT: 1
	.section	.text._ZN9rocsolver6v33100L18getf2_small_kernelILi47E19rocblas_complex_numIdEiiPS3_EEvT1_T3_lS5_lPS5_llPT2_S5_S5_S7_l,"axG",@progbits,_ZN9rocsolver6v33100L18getf2_small_kernelILi47E19rocblas_complex_numIdEiiPS3_EEvT1_T3_lS5_lPS5_llPT2_S5_S5_S7_l,comdat
	.globl	_ZN9rocsolver6v33100L18getf2_small_kernelILi47E19rocblas_complex_numIdEiiPS3_EEvT1_T3_lS5_lPS5_llPT2_S5_S5_S7_l ; -- Begin function _ZN9rocsolver6v33100L18getf2_small_kernelILi47E19rocblas_complex_numIdEiiPS3_EEvT1_T3_lS5_lPS5_llPT2_S5_S5_S7_l
	.p2align	8
	.type	_ZN9rocsolver6v33100L18getf2_small_kernelILi47E19rocblas_complex_numIdEiiPS3_EEvT1_T3_lS5_lPS5_llPT2_S5_S5_S7_l,@function
_ZN9rocsolver6v33100L18getf2_small_kernelILi47E19rocblas_complex_numIdEiiPS3_EEvT1_T3_lS5_lPS5_llPT2_S5_S5_S7_l: ; @_ZN9rocsolver6v33100L18getf2_small_kernelILi47E19rocblas_complex_numIdEiiPS3_EEvT1_T3_lS5_lPS5_llPT2_S5_S5_S7_l
; %bb.0:
	s_clause 0x1
	s_load_dword s0, s[4:5], 0x6c
	s_load_dwordx2 s[16:17], s[4:5], 0x48
	s_waitcnt lgkmcnt(0)
	s_lshr_b32 s0, s0, 16
	v_mad_u64_u32 v[194:195], null, s7, s0, v[1:2]
	s_mov_b32 s0, exec_lo
	v_cmpx_gt_i32_e64 s16, v194
	s_cbranch_execz .LBB92_990
; %bb.1:
	s_load_dwordx4 s[0:3], s[4:5], 0x50
	v_mov_b32_e32 v196, 0
	v_ashrrev_i32_e32 v195, 31, v194
	v_mov_b32_e32 v197, 0
	s_waitcnt lgkmcnt(0)
	s_cmp_eq_u64 s[0:1], 0
	s_cselect_b32 s16, -1, 0
	s_and_b32 vcc_lo, exec_lo, s16
	s_cbranch_vccnz .LBB92_3
; %bb.2:
	v_mul_lo_u32 v4, s3, v194
	v_mul_lo_u32 v5, s2, v195
	v_mad_u64_u32 v[2:3], null, s2, v194, 0
	v_add3_u32 v3, v3, v5, v4
	v_lshlrev_b64 v[2:3], 2, v[2:3]
	v_add_co_u32 v196, vcc_lo, s0, v2
	v_add_co_ci_u32_e64 v197, null, s1, v3, vcc_lo
.LBB92_3:
	s_clause 0x2
	s_load_dwordx8 s[8:15], s[4:5], 0x20
	s_load_dword s6, s[4:5], 0x18
	s_load_dwordx4 s[0:3], s[4:5], 0x8
	v_lshlrev_b32_e32 v200, 4, v0
	s_waitcnt lgkmcnt(0)
	v_mul_lo_u32 v3, s9, v194
	v_mul_lo_u32 v7, s8, v195
	v_mad_u64_u32 v[4:5], null, s8, v194, 0
	v_add3_u32 v2, s6, s6, v0
	s_lshl_b64 s[8:9], s[2:3], 4
	s_ashr_i32 s7, s6, 31
	s_lshl_b64 s[2:3], s[6:7], 4
	v_add_nc_u32_e32 v6, s6, v2
	v_add3_u32 v5, v5, v7, v3
	v_ashrrev_i32_e32 v3, 31, v2
	v_add_nc_u32_e32 v8, s6, v6
	v_lshlrev_b64 v[4:5], 4, v[4:5]
	v_ashrrev_i32_e32 v7, 31, v6
	v_lshlrev_b64 v[2:3], 4, v[2:3]
	v_ashrrev_i32_e32 v9, 31, v8
	v_add_nc_u32_e32 v10, s6, v8
	v_add_co_u32 v12, vcc_lo, s0, v4
	v_add_co_ci_u32_e64 v13, null, s1, v5, vcc_lo
	v_lshlrev_b64 v[4:5], 4, v[8:9]
	v_add_nc_u32_e32 v8, s6, v10
	v_add_co_u32 v201, vcc_lo, v12, s8
	v_ashrrev_i32_e32 v11, 31, v10
	v_add_co_ci_u32_e64 v202, null, s9, v13, vcc_lo
	v_add_nc_u32_e32 v12, s6, v8
	v_lshlrev_b64 v[6:7], 4, v[6:7]
	v_add_co_u32 v14, vcc_lo, v201, v200
	v_ashrrev_i32_e32 v9, 31, v8
	v_add_nc_u32_e32 v16, s6, v12
	v_lshlrev_b64 v[10:11], 4, v[10:11]
	v_add_co_ci_u32_e64 v15, null, 0, v202, vcc_lo
	v_add_co_u32 v2, vcc_lo, v201, v2
	v_ashrrev_i32_e32 v13, 31, v12
	v_add_co_ci_u32_e64 v3, null, v202, v3, vcc_lo
	v_add_co_u32 v6, vcc_lo, v201, v6
	v_add_nc_u32_e32 v18, s6, v16
	v_add_co_ci_u32_e64 v7, null, v202, v7, vcc_lo
	v_lshlrev_b64 v[8:9], 4, v[8:9]
	v_add_co_u32 v4, vcc_lo, v201, v4
	v_add_co_ci_u32_e64 v5, null, v202, v5, vcc_lo
	v_add_co_u32 v10, vcc_lo, v201, v10
	v_lshlrev_b64 v[12:13], 4, v[12:13]
	v_add_co_ci_u32_e64 v11, null, v202, v11, vcc_lo
	v_ashrrev_i32_e32 v17, 31, v16
	v_add_co_u32 v20, vcc_lo, v14, s2
	s_clause 0x1
	global_load_dwordx4 v[174:177], v[2:3], off
	global_load_dwordx4 v[170:173], v[6:7], off
	v_add_nc_u32_e32 v6, s6, v18
	v_add_co_ci_u32_e64 v21, null, s3, v15, vcc_lo
	v_add_co_u32 v2, vcc_lo, v201, v8
	v_ashrrev_i32_e32 v19, 31, v18
	v_add_co_ci_u32_e64 v3, null, v202, v9, vcc_lo
	v_add_co_u32 v8, vcc_lo, v201, v12
	s_clause 0x1
	global_load_dwordx4 v[178:181], v[4:5], off
	global_load_dwordx4 v[162:165], v[10:11], off
	v_lshlrev_b64 v[4:5], 4, v[16:17]
	v_ashrrev_i32_e32 v7, 31, v6
	v_add_nc_u32_e32 v12, s6, v6
	v_add_co_ci_u32_e64 v9, null, v202, v13, vcc_lo
	v_lshlrev_b64 v[10:11], 4, v[18:19]
	s_clause 0x3
	global_load_dwordx4 v[182:185], v[14:15], off
	global_load_dwordx4 v[186:189], v[20:21], off
	;; [unrolled: 1-line block ×4, first 2 shown]
	v_lshlrev_b64 v[2:3], 4, v[6:7]
	v_ashrrev_i32_e32 v13, 31, v12
	v_add_nc_u32_e32 v6, s6, v12
	v_add_co_u32 v4, vcc_lo, v201, v4
	v_add_co_ci_u32_e64 v5, null, v202, v5, vcc_lo
	v_add_co_u32 v8, vcc_lo, v201, v10
	v_add_co_ci_u32_e64 v9, null, v202, v11, vcc_lo
	v_lshlrev_b64 v[10:11], 4, v[12:13]
	v_ashrrev_i32_e32 v7, 31, v6
	v_add_nc_u32_e32 v12, s6, v6
	s_clause 0x1
	global_load_dwordx4 v[158:161], v[4:5], off
	global_load_dwordx4 v[154:157], v[8:9], off
	v_add_co_u32 v2, vcc_lo, v201, v2
	v_lshlrev_b64 v[4:5], 4, v[6:7]
	v_ashrrev_i32_e32 v13, 31, v12
	v_add_nc_u32_e32 v6, s6, v12
	v_add_co_ci_u32_e64 v3, null, v202, v3, vcc_lo
	v_add_co_u32 v8, vcc_lo, v201, v10
	v_add_co_ci_u32_e64 v9, null, v202, v11, vcc_lo
	v_lshlrev_b64 v[10:11], 4, v[12:13]
	v_ashrrev_i32_e32 v7, 31, v6
	v_add_nc_u32_e32 v12, s6, v6
	s_clause 0x1
	global_load_dwordx4 v[146:149], v[2:3], off
	global_load_dwordx4 v[142:145], v[8:9], off
	v_add_co_u32 v4, vcc_lo, v201, v4
	v_lshlrev_b64 v[2:3], 4, v[6:7]
	v_ashrrev_i32_e32 v13, 31, v12
	v_add_nc_u32_e32 v6, s6, v12
	;; [unrolled: 13-line block ×9, first 2 shown]
	v_add_co_ci_u32_e64 v3, null, v202, v3, vcc_lo
	v_add_co_u32 v8, vcc_lo, v201, v10
	v_add_co_ci_u32_e64 v9, null, v202, v11, vcc_lo
	v_lshlrev_b64 v[10:11], 4, v[12:13]
	v_add_nc_u32_e32 v12, s6, v6
	v_ashrrev_i32_e32 v7, 31, v6
	v_add_co_u32 v4, vcc_lo, v201, v4
	v_add_co_ci_u32_e64 v5, null, v202, v5, vcc_lo
	v_add_nc_u32_e32 v14, s6, v12
	v_ashrrev_i32_e32 v13, 31, v12
	v_lshlrev_b64 v[6:7], 4, v[6:7]
	v_add_co_u32 v10, vcc_lo, v201, v10
	v_add_nc_u32_e32 v16, s6, v14
	v_ashrrev_i32_e32 v15, 31, v14
	v_lshlrev_b64 v[12:13], 4, v[12:13]
	v_add_co_ci_u32_e64 v11, null, v202, v11, vcc_lo
	v_add_nc_u32_e32 v18, s6, v16
	v_ashrrev_i32_e32 v17, 31, v16
	v_lshlrev_b64 v[14:15], 4, v[14:15]
	v_add_co_u32 v6, vcc_lo, v201, v6
	v_add_nc_u32_e32 v20, s6, v18
	v_ashrrev_i32_e32 v19, 31, v18
	v_lshlrev_b64 v[16:17], 4, v[16:17]
	v_add_co_ci_u32_e64 v7, null, v202, v7, vcc_lo
	v_add_nc_u32_e32 v22, s6, v20
	v_ashrrev_i32_e32 v21, 31, v20
	v_add_co_u32 v12, vcc_lo, v201, v12
	v_lshlrev_b64 v[18:19], 4, v[18:19]
	v_add_nc_u32_e32 v24, s6, v22
	v_ashrrev_i32_e32 v23, 31, v22
	v_add_co_ci_u32_e64 v13, null, v202, v13, vcc_lo
	v_add_co_u32 v14, vcc_lo, v201, v14
	v_add_nc_u32_e32 v26, s6, v24
	v_ashrrev_i32_e32 v25, 31, v24
	v_lshlrev_b64 v[20:21], 4, v[20:21]
	v_add_co_ci_u32_e64 v15, null, v202, v15, vcc_lo
	v_add_nc_u32_e32 v28, s6, v26
	v_ashrrev_i32_e32 v27, 31, v26
	v_add_co_u32 v16, vcc_lo, v201, v16
	v_lshlrev_b64 v[22:23], 4, v[22:23]
	v_add_nc_u32_e32 v30, s6, v28
	v_ashrrev_i32_e32 v29, 31, v28
	v_add_co_ci_u32_e64 v17, null, v202, v17, vcc_lo
	v_add_co_u32 v18, vcc_lo, v201, v18
	v_add_nc_u32_e32 v32, s6, v30
	v_lshlrev_b64 v[24:25], 4, v[24:25]
	v_ashrrev_i32_e32 v31, 31, v30
	v_add_co_ci_u32_e64 v19, null, v202, v19, vcc_lo
	v_add_co_u32 v20, vcc_lo, v201, v20
	v_lshlrev_b64 v[26:27], 4, v[26:27]
	v_add_co_ci_u32_e64 v21, null, v202, v21, vcc_lo
	v_add_co_u32 v22, vcc_lo, v201, v22
	v_lshlrev_b64 v[28:29], 4, v[28:29]
	v_add_nc_u32_e32 v34, s6, v32
	v_add_co_ci_u32_e64 v23, null, v202, v23, vcc_lo
	v_add_co_u32 v24, vcc_lo, v201, v24
	v_lshlrev_b64 v[30:31], 4, v[30:31]
	v_ashrrev_i32_e32 v33, 31, v32
	v_add_co_ci_u32_e64 v25, null, v202, v25, vcc_lo
	v_add_co_u32 v26, vcc_lo, v201, v26
	v_ashrrev_i32_e32 v35, 31, v34
	v_add_nc_u32_e32 v36, s6, v34
	v_add_co_ci_u32_e64 v27, null, v202, v27, vcc_lo
	v_add_co_u32 v28, vcc_lo, v201, v28
	v_lshlrev_b64 v[32:33], 4, v[32:33]
	v_add_co_ci_u32_e64 v29, null, v202, v29, vcc_lo
	v_add_co_u32 v190, vcc_lo, v201, v30
	v_add_co_ci_u32_e64 v191, null, v202, v31, vcc_lo
	v_lshlrev_b64 v[30:31], 4, v[34:35]
	v_ashrrev_i32_e32 v37, 31, v36
	v_add_nc_u32_e32 v34, s6, v36
	v_add_co_u32 v192, vcc_lo, v201, v32
	v_add_co_ci_u32_e64 v193, null, v202, v33, vcc_lo
	v_lshlrev_b64 v[32:33], 4, v[36:37]
	v_ashrrev_i32_e32 v35, 31, v34
	v_add_nc_u32_e32 v36, s6, v34
	v_add_co_u32 v198, vcc_lo, v201, v30
	v_add_co_ci_u32_e64 v199, null, v202, v31, vcc_lo
	v_lshlrev_b64 v[30:31], 4, v[34:35]
	v_add_nc_u32_e32 v34, s6, v36
	v_ashrrev_i32_e32 v37, 31, v36
	v_add_co_u32 v203, vcc_lo, v201, v32
	v_add_co_ci_u32_e64 v204, null, v202, v33, vcc_lo
	v_ashrrev_i32_e32 v35, 31, v34
	v_lshlrev_b64 v[32:33], 4, v[36:37]
	v_add_co_u32 v205, vcc_lo, v201, v30
	v_add_co_ci_u32_e64 v206, null, v202, v31, vcc_lo
	v_lshlrev_b64 v[30:31], 4, v[34:35]
	v_add_co_u32 v207, vcc_lo, v201, v32
	v_add_co_ci_u32_e64 v208, null, v202, v33, vcc_lo
	s_load_dword s1, s[4:5], 0x0
	v_add_co_u32 v209, vcc_lo, v201, v30
	v_add_co_ci_u32_e64 v210, null, v202, v31, vcc_lo
	s_clause 0x14
	global_load_dwordx4 v[110:113], v[2:3], off
	global_load_dwordx4 v[94:97], v[8:9], off
	;; [unrolled: 1-line block ×21, first 2 shown]
	s_load_dwordx2 s[4:5], s[4:5], 0x40
	s_waitcnt lgkmcnt(0)
	s_max_i32 s0, s1, 47
	s_cmp_lt_i32 s1, 2
	v_mul_lo_u32 v198, s0, v1
	v_lshl_add_u32 v1, v198, 4, 0
	v_add_nc_u32_e32 v190, v1, v200
	v_lshlrev_b32_e32 v200, 4, v198
	v_mov_b32_e32 v198, 0
	s_waitcnt vmcnt(42)
	ds_write2_b64 v190, v[182:183], v[184:185] offset1:1
	s_waitcnt vmcnt(0) lgkmcnt(0)
	s_barrier
	buffer_gl0_inv
	ds_read2_b64 v[190:193], v1 offset1:1
	s_cbranch_scc1 .LBB92_6
; %bb.4:
	v_add3_u32 v199, v200, 0, 16
	v_mov_b32_e32 v198, 0
	s_mov_b32 s7, 1
	s_inst_prefetch 0x1
	.p2align	6
.LBB92_5:                               ; =>This Inner Loop Header: Depth=1
	s_waitcnt lgkmcnt(0)
	v_cmp_gt_f64_e32 vcc_lo, 0, v[192:193]
	v_cmp_gt_f64_e64 s0, 0, v[190:191]
	ds_read2_b64 v[203:206], v199 offset1:1
	v_xor_b32_e32 v208, 0x80000000, v191
	v_xor_b32_e32 v210, 0x80000000, v193
	v_mov_b32_e32 v207, v190
	v_mov_b32_e32 v209, v192
	v_add_nc_u32_e32 v199, 16, v199
	s_waitcnt lgkmcnt(0)
	v_xor_b32_e32 v212, 0x80000000, v206
	v_cndmask_b32_e64 v208, v191, v208, s0
	v_cndmask_b32_e32 v210, v193, v210, vcc_lo
	v_cmp_gt_f64_e32 vcc_lo, 0, v[205:206]
	v_cmp_gt_f64_e64 s0, 0, v[203:204]
	v_mov_b32_e32 v211, v205
	v_add_f64 v[207:208], v[207:208], v[209:210]
	v_xor_b32_e32 v210, 0x80000000, v204
	v_mov_b32_e32 v209, v203
	v_cndmask_b32_e32 v212, v206, v212, vcc_lo
	v_cndmask_b32_e64 v210, v204, v210, s0
	v_add_f64 v[209:210], v[209:210], v[211:212]
	v_cmp_lt_f64_e32 vcc_lo, v[207:208], v[209:210]
	v_cndmask_b32_e32 v191, v191, v204, vcc_lo
	v_cndmask_b32_e32 v190, v190, v203, vcc_lo
	;; [unrolled: 1-line block ×4, first 2 shown]
	v_cndmask_b32_e64 v198, v198, s7, vcc_lo
	s_add_i32 s7, s7, 1
	s_cmp_eq_u32 s1, s7
	s_cbranch_scc0 .LBB92_5
.LBB92_6:
	s_inst_prefetch 0x2
	s_waitcnt lgkmcnt(0)
	v_cmp_neq_f64_e32 vcc_lo, 0, v[190:191]
	v_cmp_neq_f64_e64 s0, 0, v[192:193]
	v_mov_b32_e32 v203, 1
	v_mov_b32_e32 v205, 1
	s_or_b32 s7, vcc_lo, s0
	s_and_saveexec_b32 s0, s7
	s_cbranch_execz .LBB92_12
; %bb.7:
	v_cmp_ngt_f64_e64 s7, |v[190:191]|, |v[192:193]|
	s_and_saveexec_b32 s8, s7
	s_xor_b32 s7, exec_lo, s8
	s_cbranch_execz .LBB92_9
; %bb.8:
	v_div_scale_f64 v[203:204], null, v[192:193], v[192:193], v[190:191]
	v_div_scale_f64 v[209:210], vcc_lo, v[190:191], v[192:193], v[190:191]
	v_rcp_f64_e32 v[205:206], v[203:204]
	v_fma_f64 v[207:208], -v[203:204], v[205:206], 1.0
	v_fma_f64 v[205:206], v[205:206], v[207:208], v[205:206]
	v_fma_f64 v[207:208], -v[203:204], v[205:206], 1.0
	v_fma_f64 v[205:206], v[205:206], v[207:208], v[205:206]
	v_mul_f64 v[207:208], v[209:210], v[205:206]
	v_fma_f64 v[203:204], -v[203:204], v[207:208], v[209:210]
	v_div_fmas_f64 v[203:204], v[203:204], v[205:206], v[207:208]
	v_div_fixup_f64 v[203:204], v[203:204], v[192:193], v[190:191]
	v_fma_f64 v[190:191], v[190:191], v[203:204], v[192:193]
	v_div_scale_f64 v[192:193], null, v[190:191], v[190:191], 1.0
	v_rcp_f64_e32 v[205:206], v[192:193]
	v_fma_f64 v[207:208], -v[192:193], v[205:206], 1.0
	v_fma_f64 v[205:206], v[205:206], v[207:208], v[205:206]
	v_fma_f64 v[207:208], -v[192:193], v[205:206], 1.0
	v_fma_f64 v[205:206], v[205:206], v[207:208], v[205:206]
	v_div_scale_f64 v[207:208], vcc_lo, 1.0, v[190:191], 1.0
	v_mul_f64 v[209:210], v[207:208], v[205:206]
	v_fma_f64 v[192:193], -v[192:193], v[209:210], v[207:208]
	v_div_fmas_f64 v[192:193], v[192:193], v[205:206], v[209:210]
	v_div_fixup_f64 v[192:193], v[192:193], v[190:191], 1.0
	v_mul_f64 v[190:191], v[203:204], v[192:193]
	v_xor_b32_e32 v193, 0x80000000, v193
.LBB92_9:
	s_andn2_saveexec_b32 s7, s7
	s_cbranch_execz .LBB92_11
; %bb.10:
	v_div_scale_f64 v[203:204], null, v[190:191], v[190:191], v[192:193]
	v_div_scale_f64 v[209:210], vcc_lo, v[192:193], v[190:191], v[192:193]
	v_rcp_f64_e32 v[205:206], v[203:204]
	v_fma_f64 v[207:208], -v[203:204], v[205:206], 1.0
	v_fma_f64 v[205:206], v[205:206], v[207:208], v[205:206]
	v_fma_f64 v[207:208], -v[203:204], v[205:206], 1.0
	v_fma_f64 v[205:206], v[205:206], v[207:208], v[205:206]
	v_mul_f64 v[207:208], v[209:210], v[205:206]
	v_fma_f64 v[203:204], -v[203:204], v[207:208], v[209:210]
	v_div_fmas_f64 v[203:204], v[203:204], v[205:206], v[207:208]
	v_div_fixup_f64 v[203:204], v[203:204], v[190:191], v[192:193]
	v_fma_f64 v[190:191], v[192:193], v[203:204], v[190:191]
	v_div_scale_f64 v[192:193], null, v[190:191], v[190:191], 1.0
	v_rcp_f64_e32 v[205:206], v[192:193]
	v_fma_f64 v[207:208], -v[192:193], v[205:206], 1.0
	v_fma_f64 v[205:206], v[205:206], v[207:208], v[205:206]
	v_fma_f64 v[207:208], -v[192:193], v[205:206], 1.0
	v_fma_f64 v[205:206], v[205:206], v[207:208], v[205:206]
	v_div_scale_f64 v[207:208], vcc_lo, 1.0, v[190:191], 1.0
	v_mul_f64 v[209:210], v[207:208], v[205:206]
	v_fma_f64 v[192:193], -v[192:193], v[209:210], v[207:208]
	v_div_fmas_f64 v[192:193], v[192:193], v[205:206], v[209:210]
	v_div_fixup_f64 v[190:191], v[192:193], v[190:191], 1.0
	v_mul_f64 v[192:193], v[203:204], -v[190:191]
.LBB92_11:
	s_or_b32 exec_lo, exec_lo, s7
	v_mov_b32_e32 v205, 0
	v_mov_b32_e32 v203, 2
.LBB92_12:
	s_or_b32 exec_lo, exec_lo, s0
	s_mov_b32 s0, exec_lo
	v_cmpx_ne_u32_e64 v0, v198
	s_xor_b32 s0, exec_lo, s0
	s_cbranch_execz .LBB92_18
; %bb.13:
	s_mov_b32 s7, exec_lo
	v_cmpx_eq_u32_e32 0, v0
	s_cbranch_execz .LBB92_17
; %bb.14:
	v_cmp_ne_u32_e32 vcc_lo, 0, v198
	s_xor_b32 s8, s16, -1
	s_and_b32 s9, s8, vcc_lo
	s_and_saveexec_b32 s8, s9
	s_cbranch_execz .LBB92_16
; %bb.15:
	v_ashrrev_i32_e32 v199, 31, v198
	v_lshlrev_b64 v[206:207], 2, v[198:199]
	v_add_co_u32 v206, vcc_lo, v196, v206
	v_add_co_ci_u32_e64 v207, null, v197, v207, vcc_lo
	s_clause 0x1
	global_load_dword v0, v[206:207], off
	global_load_dword v199, v[196:197], off
	s_waitcnt vmcnt(1)
	global_store_dword v[196:197], v0, off
	s_waitcnt vmcnt(0)
	global_store_dword v[206:207], v199, off
.LBB92_16:
	s_or_b32 exec_lo, exec_lo, s8
	v_mov_b32_e32 v0, v198
.LBB92_17:
	s_or_b32 exec_lo, exec_lo, s7
.LBB92_18:
	s_or_saveexec_b32 s0, s0
	v_mov_b32_e32 v204, v0
	s_xor_b32 exec_lo, exec_lo, s0
	s_cbranch_execz .LBB92_20
; %bb.19:
	v_mov_b32_e32 v204, 0
	ds_write2_b64 v1, v[186:187], v[188:189] offset0:2 offset1:3
	ds_write2_b64 v1, v[174:175], v[176:177] offset0:4 offset1:5
	;; [unrolled: 1-line block ×46, first 2 shown]
.LBB92_20:
	s_or_b32 exec_lo, exec_lo, s0
	s_mov_b32 s0, exec_lo
	s_waitcnt lgkmcnt(0)
	s_waitcnt_vscnt null, 0x0
	s_barrier
	buffer_gl0_inv
	v_cmpx_lt_i32_e32 0, v204
	s_cbranch_execz .LBB92_22
; %bb.21:
	v_mul_f64 v[198:199], v[192:193], v[184:185]
	v_mul_f64 v[184:185], v[190:191], v[184:185]
	v_fma_f64 v[198:199], v[190:191], v[182:183], -v[198:199]
	v_fma_f64 v[184:185], v[192:193], v[182:183], v[184:185]
	ds_read2_b64 v[190:193], v1 offset0:2 offset1:3
	s_waitcnt lgkmcnt(0)
	v_mul_f64 v[182:183], v[192:193], v[184:185]
	v_fma_f64 v[182:183], v[190:191], v[198:199], -v[182:183]
	v_mul_f64 v[190:191], v[190:191], v[184:185]
	v_add_f64 v[186:187], v[186:187], -v[182:183]
	v_fma_f64 v[190:191], v[192:193], v[198:199], v[190:191]
	v_add_f64 v[188:189], v[188:189], -v[190:191]
	ds_read2_b64 v[190:193], v1 offset0:4 offset1:5
	s_waitcnt lgkmcnt(0)
	v_mul_f64 v[182:183], v[192:193], v[184:185]
	v_fma_f64 v[182:183], v[190:191], v[198:199], -v[182:183]
	v_mul_f64 v[190:191], v[190:191], v[184:185]
	v_add_f64 v[174:175], v[174:175], -v[182:183]
	v_fma_f64 v[190:191], v[192:193], v[198:199], v[190:191]
	v_add_f64 v[176:177], v[176:177], -v[190:191]
	;; [unrolled: 8-line block ×45, first 2 shown]
	ds_read2_b64 v[190:193], v1 offset0:92 offset1:93
	s_waitcnt lgkmcnt(0)
	v_mul_f64 v[182:183], v[192:193], v[184:185]
	v_fma_f64 v[182:183], v[190:191], v[198:199], -v[182:183]
	v_mul_f64 v[190:191], v[190:191], v[184:185]
	v_add_f64 v[2:3], v[2:3], -v[182:183]
	v_fma_f64 v[190:191], v[192:193], v[198:199], v[190:191]
	v_mov_b32_e32 v182, v198
	v_mov_b32_e32 v183, v199
	v_add_f64 v[4:5], v[4:5], -v[190:191]
.LBB92_22:
	s_or_b32 exec_lo, exec_lo, s0
	v_lshl_add_u32 v190, v204, 4, v1
	s_barrier
	buffer_gl0_inv
	v_mov_b32_e32 v198, 1
	ds_write2_b64 v190, v[186:187], v[188:189] offset1:1
	s_waitcnt lgkmcnt(0)
	s_barrier
	buffer_gl0_inv
	ds_read2_b64 v[190:193], v1 offset0:2 offset1:3
	s_cmp_lt_i32 s1, 3
	s_cbranch_scc1 .LBB92_25
; %bb.23:
	v_add3_u32 v199, v200, 0, 32
	v_mov_b32_e32 v198, 1
	s_mov_b32 s7, 2
	s_inst_prefetch 0x1
	.p2align	6
.LBB92_24:                              ; =>This Inner Loop Header: Depth=1
	s_waitcnt lgkmcnt(0)
	v_cmp_gt_f64_e32 vcc_lo, 0, v[192:193]
	v_cmp_gt_f64_e64 s0, 0, v[190:191]
	ds_read2_b64 v[206:209], v199 offset1:1
	v_xor_b32_e32 v211, 0x80000000, v191
	v_xor_b32_e32 v213, 0x80000000, v193
	v_mov_b32_e32 v210, v190
	v_mov_b32_e32 v212, v192
	v_add_nc_u32_e32 v199, 16, v199
	s_waitcnt lgkmcnt(0)
	v_xor_b32_e32 v215, 0x80000000, v209
	v_cndmask_b32_e64 v211, v191, v211, s0
	v_cndmask_b32_e32 v213, v193, v213, vcc_lo
	v_cmp_gt_f64_e32 vcc_lo, 0, v[208:209]
	v_cmp_gt_f64_e64 s0, 0, v[206:207]
	v_mov_b32_e32 v214, v208
	v_add_f64 v[210:211], v[210:211], v[212:213]
	v_xor_b32_e32 v213, 0x80000000, v207
	v_mov_b32_e32 v212, v206
	v_cndmask_b32_e32 v215, v209, v215, vcc_lo
	v_cndmask_b32_e64 v213, v207, v213, s0
	v_add_f64 v[212:213], v[212:213], v[214:215]
	v_cmp_lt_f64_e32 vcc_lo, v[210:211], v[212:213]
	v_cndmask_b32_e32 v191, v191, v207, vcc_lo
	v_cndmask_b32_e32 v190, v190, v206, vcc_lo
	;; [unrolled: 1-line block ×4, first 2 shown]
	v_cndmask_b32_e64 v198, v198, s7, vcc_lo
	s_add_i32 s7, s7, 1
	s_cmp_lg_u32 s1, s7
	s_cbranch_scc1 .LBB92_24
.LBB92_25:
	s_inst_prefetch 0x2
	s_waitcnt lgkmcnt(0)
	v_cmp_neq_f64_e32 vcc_lo, 0, v[190:191]
	v_cmp_neq_f64_e64 s0, 0, v[192:193]
	s_or_b32 s7, vcc_lo, s0
	s_and_saveexec_b32 s0, s7
	s_cbranch_execz .LBB92_31
; %bb.26:
	v_cmp_ngt_f64_e64 s7, |v[190:191]|, |v[192:193]|
	s_and_saveexec_b32 s8, s7
	s_xor_b32 s7, exec_lo, s8
	s_cbranch_execz .LBB92_28
; %bb.27:
	v_div_scale_f64 v[206:207], null, v[192:193], v[192:193], v[190:191]
	v_div_scale_f64 v[212:213], vcc_lo, v[190:191], v[192:193], v[190:191]
	v_rcp_f64_e32 v[208:209], v[206:207]
	v_fma_f64 v[210:211], -v[206:207], v[208:209], 1.0
	v_fma_f64 v[208:209], v[208:209], v[210:211], v[208:209]
	v_fma_f64 v[210:211], -v[206:207], v[208:209], 1.0
	v_fma_f64 v[208:209], v[208:209], v[210:211], v[208:209]
	v_mul_f64 v[210:211], v[212:213], v[208:209]
	v_fma_f64 v[206:207], -v[206:207], v[210:211], v[212:213]
	v_div_fmas_f64 v[206:207], v[206:207], v[208:209], v[210:211]
	v_div_fixup_f64 v[206:207], v[206:207], v[192:193], v[190:191]
	v_fma_f64 v[190:191], v[190:191], v[206:207], v[192:193]
	v_div_scale_f64 v[192:193], null, v[190:191], v[190:191], 1.0
	v_rcp_f64_e32 v[208:209], v[192:193]
	v_fma_f64 v[210:211], -v[192:193], v[208:209], 1.0
	v_fma_f64 v[208:209], v[208:209], v[210:211], v[208:209]
	v_fma_f64 v[210:211], -v[192:193], v[208:209], 1.0
	v_fma_f64 v[208:209], v[208:209], v[210:211], v[208:209]
	v_div_scale_f64 v[210:211], vcc_lo, 1.0, v[190:191], 1.0
	v_mul_f64 v[212:213], v[210:211], v[208:209]
	v_fma_f64 v[192:193], -v[192:193], v[212:213], v[210:211]
	v_div_fmas_f64 v[192:193], v[192:193], v[208:209], v[212:213]
	v_div_fixup_f64 v[192:193], v[192:193], v[190:191], 1.0
	v_mul_f64 v[190:191], v[206:207], v[192:193]
	v_xor_b32_e32 v193, 0x80000000, v193
.LBB92_28:
	s_andn2_saveexec_b32 s7, s7
	s_cbranch_execz .LBB92_30
; %bb.29:
	v_div_scale_f64 v[206:207], null, v[190:191], v[190:191], v[192:193]
	v_div_scale_f64 v[212:213], vcc_lo, v[192:193], v[190:191], v[192:193]
	v_rcp_f64_e32 v[208:209], v[206:207]
	v_fma_f64 v[210:211], -v[206:207], v[208:209], 1.0
	v_fma_f64 v[208:209], v[208:209], v[210:211], v[208:209]
	v_fma_f64 v[210:211], -v[206:207], v[208:209], 1.0
	v_fma_f64 v[208:209], v[208:209], v[210:211], v[208:209]
	v_mul_f64 v[210:211], v[212:213], v[208:209]
	v_fma_f64 v[206:207], -v[206:207], v[210:211], v[212:213]
	v_div_fmas_f64 v[206:207], v[206:207], v[208:209], v[210:211]
	v_div_fixup_f64 v[206:207], v[206:207], v[190:191], v[192:193]
	v_fma_f64 v[190:191], v[192:193], v[206:207], v[190:191]
	v_div_scale_f64 v[192:193], null, v[190:191], v[190:191], 1.0
	v_rcp_f64_e32 v[208:209], v[192:193]
	v_fma_f64 v[210:211], -v[192:193], v[208:209], 1.0
	v_fma_f64 v[208:209], v[208:209], v[210:211], v[208:209]
	v_fma_f64 v[210:211], -v[192:193], v[208:209], 1.0
	v_fma_f64 v[208:209], v[208:209], v[210:211], v[208:209]
	v_div_scale_f64 v[210:211], vcc_lo, 1.0, v[190:191], 1.0
	v_mul_f64 v[212:213], v[210:211], v[208:209]
	v_fma_f64 v[192:193], -v[192:193], v[212:213], v[210:211]
	v_div_fmas_f64 v[192:193], v[192:193], v[208:209], v[212:213]
	v_div_fixup_f64 v[190:191], v[192:193], v[190:191], 1.0
	v_mul_f64 v[192:193], v[206:207], -v[190:191]
.LBB92_30:
	s_or_b32 exec_lo, exec_lo, s7
	v_mov_b32_e32 v203, v205
.LBB92_31:
	s_or_b32 exec_lo, exec_lo, s0
	s_mov_b32 s0, exec_lo
	v_cmpx_ne_u32_e64 v204, v198
	s_xor_b32 s0, exec_lo, s0
	s_cbranch_execz .LBB92_37
; %bb.32:
	s_mov_b32 s7, exec_lo
	v_cmpx_eq_u32_e32 1, v204
	s_cbranch_execz .LBB92_36
; %bb.33:
	v_cmp_ne_u32_e32 vcc_lo, 1, v198
	s_xor_b32 s8, s16, -1
	s_and_b32 s9, s8, vcc_lo
	s_and_saveexec_b32 s8, s9
	s_cbranch_execz .LBB92_35
; %bb.34:
	v_ashrrev_i32_e32 v199, 31, v198
	v_lshlrev_b64 v[204:205], 2, v[198:199]
	v_add_co_u32 v204, vcc_lo, v196, v204
	v_add_co_ci_u32_e64 v205, null, v197, v205, vcc_lo
	s_clause 0x1
	global_load_dword v0, v[204:205], off
	global_load_dword v199, v[196:197], off offset:4
	s_waitcnt vmcnt(1)
	global_store_dword v[196:197], v0, off offset:4
	s_waitcnt vmcnt(0)
	global_store_dword v[204:205], v199, off
.LBB92_35:
	s_or_b32 exec_lo, exec_lo, s8
	v_mov_b32_e32 v204, v198
	v_mov_b32_e32 v0, v198
.LBB92_36:
	s_or_b32 exec_lo, exec_lo, s7
.LBB92_37:
	s_andn2_saveexec_b32 s0, s0
	s_cbranch_execz .LBB92_39
; %bb.38:
	v_mov_b32_e32 v204, 1
	ds_write2_b64 v1, v[174:175], v[176:177] offset0:4 offset1:5
	ds_write2_b64 v1, v[170:171], v[172:173] offset0:6 offset1:7
	;; [unrolled: 1-line block ×45, first 2 shown]
.LBB92_39:
	s_or_b32 exec_lo, exec_lo, s0
	s_mov_b32 s0, exec_lo
	s_waitcnt lgkmcnt(0)
	s_waitcnt_vscnt null, 0x0
	s_barrier
	buffer_gl0_inv
	v_cmpx_lt_i32_e32 1, v204
	s_cbranch_execz .LBB92_41
; %bb.40:
	v_mul_f64 v[198:199], v[192:193], v[188:189]
	v_mul_f64 v[188:189], v[190:191], v[188:189]
	v_fma_f64 v[198:199], v[190:191], v[186:187], -v[198:199]
	v_fma_f64 v[188:189], v[192:193], v[186:187], v[188:189]
	ds_read2_b64 v[190:193], v1 offset0:4 offset1:5
	s_waitcnt lgkmcnt(0)
	v_mul_f64 v[186:187], v[192:193], v[188:189]
	v_fma_f64 v[186:187], v[190:191], v[198:199], -v[186:187]
	v_mul_f64 v[190:191], v[190:191], v[188:189]
	v_add_f64 v[174:175], v[174:175], -v[186:187]
	v_fma_f64 v[190:191], v[192:193], v[198:199], v[190:191]
	v_add_f64 v[176:177], v[176:177], -v[190:191]
	ds_read2_b64 v[190:193], v1 offset0:6 offset1:7
	s_waitcnt lgkmcnt(0)
	v_mul_f64 v[186:187], v[192:193], v[188:189]
	v_fma_f64 v[186:187], v[190:191], v[198:199], -v[186:187]
	v_mul_f64 v[190:191], v[190:191], v[188:189]
	v_add_f64 v[170:171], v[170:171], -v[186:187]
	v_fma_f64 v[190:191], v[192:193], v[198:199], v[190:191]
	v_add_f64 v[172:173], v[172:173], -v[190:191]
	;; [unrolled: 8-line block ×44, first 2 shown]
	ds_read2_b64 v[190:193], v1 offset0:92 offset1:93
	s_waitcnt lgkmcnt(0)
	v_mul_f64 v[186:187], v[192:193], v[188:189]
	v_fma_f64 v[186:187], v[190:191], v[198:199], -v[186:187]
	v_mul_f64 v[190:191], v[190:191], v[188:189]
	v_add_f64 v[2:3], v[2:3], -v[186:187]
	v_fma_f64 v[190:191], v[192:193], v[198:199], v[190:191]
	v_mov_b32_e32 v186, v198
	v_mov_b32_e32 v187, v199
	v_add_f64 v[4:5], v[4:5], -v[190:191]
.LBB92_41:
	s_or_b32 exec_lo, exec_lo, s0
	v_lshl_add_u32 v190, v204, 4, v1
	s_barrier
	buffer_gl0_inv
	v_mov_b32_e32 v198, 2
	ds_write2_b64 v190, v[174:175], v[176:177] offset1:1
	s_waitcnt lgkmcnt(0)
	s_barrier
	buffer_gl0_inv
	ds_read2_b64 v[190:193], v1 offset0:4 offset1:5
	s_cmp_lt_i32 s1, 4
	s_cbranch_scc1 .LBB92_44
; %bb.42:
	v_add3_u32 v199, v200, 0, 48
	v_mov_b32_e32 v198, 2
	s_mov_b32 s7, 3
	s_inst_prefetch 0x1
	.p2align	6
.LBB92_43:                              ; =>This Inner Loop Header: Depth=1
	s_waitcnt lgkmcnt(0)
	v_cmp_gt_f64_e32 vcc_lo, 0, v[192:193]
	v_cmp_gt_f64_e64 s0, 0, v[190:191]
	ds_read2_b64 v[205:208], v199 offset1:1
	v_xor_b32_e32 v210, 0x80000000, v191
	v_xor_b32_e32 v212, 0x80000000, v193
	v_mov_b32_e32 v209, v190
	v_mov_b32_e32 v211, v192
	v_add_nc_u32_e32 v199, 16, v199
	s_waitcnt lgkmcnt(0)
	v_xor_b32_e32 v214, 0x80000000, v208
	v_cndmask_b32_e64 v210, v191, v210, s0
	v_cndmask_b32_e32 v212, v193, v212, vcc_lo
	v_cmp_gt_f64_e32 vcc_lo, 0, v[207:208]
	v_cmp_gt_f64_e64 s0, 0, v[205:206]
	v_mov_b32_e32 v213, v207
	v_add_f64 v[209:210], v[209:210], v[211:212]
	v_xor_b32_e32 v212, 0x80000000, v206
	v_mov_b32_e32 v211, v205
	v_cndmask_b32_e32 v214, v208, v214, vcc_lo
	v_cndmask_b32_e64 v212, v206, v212, s0
	v_add_f64 v[211:212], v[211:212], v[213:214]
	v_cmp_lt_f64_e32 vcc_lo, v[209:210], v[211:212]
	v_cndmask_b32_e32 v191, v191, v206, vcc_lo
	v_cndmask_b32_e32 v190, v190, v205, vcc_lo
	;; [unrolled: 1-line block ×4, first 2 shown]
	v_cndmask_b32_e64 v198, v198, s7, vcc_lo
	s_add_i32 s7, s7, 1
	s_cmp_lg_u32 s1, s7
	s_cbranch_scc1 .LBB92_43
.LBB92_44:
	s_inst_prefetch 0x2
	s_waitcnt lgkmcnt(0)
	v_cmp_eq_f64_e32 vcc_lo, 0, v[190:191]
	v_cmp_eq_f64_e64 s0, 0, v[192:193]
	s_and_b32 s0, vcc_lo, s0
	s_and_saveexec_b32 s7, s0
	s_xor_b32 s0, exec_lo, s7
; %bb.45:
	v_cmp_ne_u32_e32 vcc_lo, 0, v203
	v_cndmask_b32_e32 v203, 3, v203, vcc_lo
; %bb.46:
	s_andn2_saveexec_b32 s0, s0
	s_cbranch_execz .LBB92_52
; %bb.47:
	v_cmp_ngt_f64_e64 s7, |v[190:191]|, |v[192:193]|
	s_and_saveexec_b32 s8, s7
	s_xor_b32 s7, exec_lo, s8
	s_cbranch_execz .LBB92_49
; %bb.48:
	v_div_scale_f64 v[205:206], null, v[192:193], v[192:193], v[190:191]
	v_div_scale_f64 v[211:212], vcc_lo, v[190:191], v[192:193], v[190:191]
	v_rcp_f64_e32 v[207:208], v[205:206]
	v_fma_f64 v[209:210], -v[205:206], v[207:208], 1.0
	v_fma_f64 v[207:208], v[207:208], v[209:210], v[207:208]
	v_fma_f64 v[209:210], -v[205:206], v[207:208], 1.0
	v_fma_f64 v[207:208], v[207:208], v[209:210], v[207:208]
	v_mul_f64 v[209:210], v[211:212], v[207:208]
	v_fma_f64 v[205:206], -v[205:206], v[209:210], v[211:212]
	v_div_fmas_f64 v[205:206], v[205:206], v[207:208], v[209:210]
	v_div_fixup_f64 v[205:206], v[205:206], v[192:193], v[190:191]
	v_fma_f64 v[190:191], v[190:191], v[205:206], v[192:193]
	v_div_scale_f64 v[192:193], null, v[190:191], v[190:191], 1.0
	v_rcp_f64_e32 v[207:208], v[192:193]
	v_fma_f64 v[209:210], -v[192:193], v[207:208], 1.0
	v_fma_f64 v[207:208], v[207:208], v[209:210], v[207:208]
	v_fma_f64 v[209:210], -v[192:193], v[207:208], 1.0
	v_fma_f64 v[207:208], v[207:208], v[209:210], v[207:208]
	v_div_scale_f64 v[209:210], vcc_lo, 1.0, v[190:191], 1.0
	v_mul_f64 v[211:212], v[209:210], v[207:208]
	v_fma_f64 v[192:193], -v[192:193], v[211:212], v[209:210]
	v_div_fmas_f64 v[192:193], v[192:193], v[207:208], v[211:212]
	v_div_fixup_f64 v[192:193], v[192:193], v[190:191], 1.0
	v_mul_f64 v[190:191], v[205:206], v[192:193]
	v_xor_b32_e32 v193, 0x80000000, v193
.LBB92_49:
	s_andn2_saveexec_b32 s7, s7
	s_cbranch_execz .LBB92_51
; %bb.50:
	v_div_scale_f64 v[205:206], null, v[190:191], v[190:191], v[192:193]
	v_div_scale_f64 v[211:212], vcc_lo, v[192:193], v[190:191], v[192:193]
	v_rcp_f64_e32 v[207:208], v[205:206]
	v_fma_f64 v[209:210], -v[205:206], v[207:208], 1.0
	v_fma_f64 v[207:208], v[207:208], v[209:210], v[207:208]
	v_fma_f64 v[209:210], -v[205:206], v[207:208], 1.0
	v_fma_f64 v[207:208], v[207:208], v[209:210], v[207:208]
	v_mul_f64 v[209:210], v[211:212], v[207:208]
	v_fma_f64 v[205:206], -v[205:206], v[209:210], v[211:212]
	v_div_fmas_f64 v[205:206], v[205:206], v[207:208], v[209:210]
	v_div_fixup_f64 v[205:206], v[205:206], v[190:191], v[192:193]
	v_fma_f64 v[190:191], v[192:193], v[205:206], v[190:191]
	v_div_scale_f64 v[192:193], null, v[190:191], v[190:191], 1.0
	v_rcp_f64_e32 v[207:208], v[192:193]
	v_fma_f64 v[209:210], -v[192:193], v[207:208], 1.0
	v_fma_f64 v[207:208], v[207:208], v[209:210], v[207:208]
	v_fma_f64 v[209:210], -v[192:193], v[207:208], 1.0
	v_fma_f64 v[207:208], v[207:208], v[209:210], v[207:208]
	v_div_scale_f64 v[209:210], vcc_lo, 1.0, v[190:191], 1.0
	v_mul_f64 v[211:212], v[209:210], v[207:208]
	v_fma_f64 v[192:193], -v[192:193], v[211:212], v[209:210]
	v_div_fmas_f64 v[192:193], v[192:193], v[207:208], v[211:212]
	v_div_fixup_f64 v[190:191], v[192:193], v[190:191], 1.0
	v_mul_f64 v[192:193], v[205:206], -v[190:191]
.LBB92_51:
	s_or_b32 exec_lo, exec_lo, s7
.LBB92_52:
	s_or_b32 exec_lo, exec_lo, s0
	s_mov_b32 s0, exec_lo
	v_cmpx_ne_u32_e64 v204, v198
	s_xor_b32 s0, exec_lo, s0
	s_cbranch_execz .LBB92_58
; %bb.53:
	s_mov_b32 s7, exec_lo
	v_cmpx_eq_u32_e32 2, v204
	s_cbranch_execz .LBB92_57
; %bb.54:
	v_cmp_ne_u32_e32 vcc_lo, 2, v198
	s_xor_b32 s8, s16, -1
	s_and_b32 s9, s8, vcc_lo
	s_and_saveexec_b32 s8, s9
	s_cbranch_execz .LBB92_56
; %bb.55:
	v_ashrrev_i32_e32 v199, 31, v198
	v_lshlrev_b64 v[204:205], 2, v[198:199]
	v_add_co_u32 v204, vcc_lo, v196, v204
	v_add_co_ci_u32_e64 v205, null, v197, v205, vcc_lo
	s_clause 0x1
	global_load_dword v0, v[204:205], off
	global_load_dword v199, v[196:197], off offset:8
	s_waitcnt vmcnt(1)
	global_store_dword v[196:197], v0, off offset:8
	s_waitcnt vmcnt(0)
	global_store_dword v[204:205], v199, off
.LBB92_56:
	s_or_b32 exec_lo, exec_lo, s8
	v_mov_b32_e32 v204, v198
	v_mov_b32_e32 v0, v198
.LBB92_57:
	s_or_b32 exec_lo, exec_lo, s7
.LBB92_58:
	s_andn2_saveexec_b32 s0, s0
	s_cbranch_execz .LBB92_60
; %bb.59:
	v_mov_b32_e32 v204, 2
	ds_write2_b64 v1, v[170:171], v[172:173] offset0:6 offset1:7
	ds_write2_b64 v1, v[178:179], v[180:181] offset0:8 offset1:9
	ds_write2_b64 v1, v[162:163], v[164:165] offset0:10 offset1:11
	ds_write2_b64 v1, v[166:167], v[168:169] offset0:12 offset1:13
	ds_write2_b64 v1, v[150:151], v[152:153] offset0:14 offset1:15
	ds_write2_b64 v1, v[158:159], v[160:161] offset0:16 offset1:17
	ds_write2_b64 v1, v[154:155], v[156:157] offset0:18 offset1:19
	ds_write2_b64 v1, v[146:147], v[148:149] offset0:20 offset1:21
	ds_write2_b64 v1, v[142:143], v[144:145] offset0:22 offset1:23
	ds_write2_b64 v1, v[134:135], v[136:137] offset0:24 offset1:25
	ds_write2_b64 v1, v[130:131], v[132:133] offset0:26 offset1:27
	ds_write2_b64 v1, v[138:139], v[140:141] offset0:28 offset1:29
	ds_write2_b64 v1, v[122:123], v[124:125] offset0:30 offset1:31
	ds_write2_b64 v1, v[126:127], v[128:129] offset0:32 offset1:33
	ds_write2_b64 v1, v[106:107], v[108:109] offset0:34 offset1:35
	ds_write2_b64 v1, v[118:119], v[120:121] offset0:36 offset1:37
	ds_write2_b64 v1, v[114:115], v[116:117] offset0:38 offset1:39
	ds_write2_b64 v1, v[102:103], v[104:105] offset0:40 offset1:41
	ds_write2_b64 v1, v[98:99], v[100:101] offset0:42 offset1:43
	ds_write2_b64 v1, v[78:79], v[80:81] offset0:44 offset1:45
	ds_write2_b64 v1, v[74:75], v[76:77] offset0:46 offset1:47
	ds_write2_b64 v1, v[82:83], v[84:85] offset0:48 offset1:49
	ds_write2_b64 v1, v[62:63], v[64:65] offset0:50 offset1:51
	ds_write2_b64 v1, v[110:111], v[112:113] offset0:52 offset1:53
	ds_write2_b64 v1, v[94:95], v[96:97] offset0:54 offset1:55
	ds_write2_b64 v1, v[90:91], v[92:93] offset0:56 offset1:57
	ds_write2_b64 v1, v[86:87], v[88:89] offset0:58 offset1:59
	ds_write2_b64 v1, v[70:71], v[72:73] offset0:60 offset1:61
	ds_write2_b64 v1, v[66:67], v[68:69] offset0:62 offset1:63
	ds_write2_b64 v1, v[58:59], v[60:61] offset0:64 offset1:65
	ds_write2_b64 v1, v[54:55], v[56:57] offset0:66 offset1:67
	ds_write2_b64 v1, v[50:51], v[52:53] offset0:68 offset1:69
	ds_write2_b64 v1, v[46:47], v[48:49] offset0:70 offset1:71
	ds_write2_b64 v1, v[42:43], v[44:45] offset0:72 offset1:73
	ds_write2_b64 v1, v[38:39], v[40:41] offset0:74 offset1:75
	ds_write2_b64 v1, v[34:35], v[36:37] offset0:76 offset1:77
	ds_write2_b64 v1, v[30:31], v[32:33] offset0:78 offset1:79
	ds_write2_b64 v1, v[26:27], v[28:29] offset0:80 offset1:81
	ds_write2_b64 v1, v[22:23], v[24:25] offset0:82 offset1:83
	ds_write2_b64 v1, v[18:19], v[20:21] offset0:84 offset1:85
	ds_write2_b64 v1, v[14:15], v[16:17] offset0:86 offset1:87
	ds_write2_b64 v1, v[10:11], v[12:13] offset0:88 offset1:89
	ds_write2_b64 v1, v[6:7], v[8:9] offset0:90 offset1:91
	ds_write2_b64 v1, v[2:3], v[4:5] offset0:92 offset1:93
.LBB92_60:
	s_or_b32 exec_lo, exec_lo, s0
	s_mov_b32 s0, exec_lo
	s_waitcnt lgkmcnt(0)
	s_waitcnt_vscnt null, 0x0
	s_barrier
	buffer_gl0_inv
	v_cmpx_lt_i32_e32 2, v204
	s_cbranch_execz .LBB92_62
; %bb.61:
	v_mul_f64 v[198:199], v[192:193], v[176:177]
	v_mul_f64 v[176:177], v[190:191], v[176:177]
	v_fma_f64 v[198:199], v[190:191], v[174:175], -v[198:199]
	v_fma_f64 v[176:177], v[192:193], v[174:175], v[176:177]
	ds_read2_b64 v[190:193], v1 offset0:6 offset1:7
	s_waitcnt lgkmcnt(0)
	v_mul_f64 v[174:175], v[192:193], v[176:177]
	v_fma_f64 v[174:175], v[190:191], v[198:199], -v[174:175]
	v_mul_f64 v[190:191], v[190:191], v[176:177]
	v_add_f64 v[170:171], v[170:171], -v[174:175]
	v_fma_f64 v[190:191], v[192:193], v[198:199], v[190:191]
	v_add_f64 v[172:173], v[172:173], -v[190:191]
	ds_read2_b64 v[190:193], v1 offset0:8 offset1:9
	s_waitcnt lgkmcnt(0)
	v_mul_f64 v[174:175], v[192:193], v[176:177]
	v_fma_f64 v[174:175], v[190:191], v[198:199], -v[174:175]
	v_mul_f64 v[190:191], v[190:191], v[176:177]
	v_add_f64 v[178:179], v[178:179], -v[174:175]
	v_fma_f64 v[190:191], v[192:193], v[198:199], v[190:191]
	v_add_f64 v[180:181], v[180:181], -v[190:191]
	;; [unrolled: 8-line block ×43, first 2 shown]
	ds_read2_b64 v[190:193], v1 offset0:92 offset1:93
	s_waitcnt lgkmcnt(0)
	v_mul_f64 v[174:175], v[192:193], v[176:177]
	v_fma_f64 v[174:175], v[190:191], v[198:199], -v[174:175]
	v_mul_f64 v[190:191], v[190:191], v[176:177]
	v_add_f64 v[2:3], v[2:3], -v[174:175]
	v_fma_f64 v[190:191], v[192:193], v[198:199], v[190:191]
	v_mov_b32_e32 v174, v198
	v_mov_b32_e32 v175, v199
	v_add_f64 v[4:5], v[4:5], -v[190:191]
.LBB92_62:
	s_or_b32 exec_lo, exec_lo, s0
	v_lshl_add_u32 v190, v204, 4, v1
	s_barrier
	buffer_gl0_inv
	v_mov_b32_e32 v198, 3
	ds_write2_b64 v190, v[170:171], v[172:173] offset1:1
	s_waitcnt lgkmcnt(0)
	s_barrier
	buffer_gl0_inv
	ds_read2_b64 v[190:193], v1 offset0:6 offset1:7
	s_cmp_lt_i32 s1, 5
	s_mov_b32 s7, 4
	s_cbranch_scc1 .LBB92_65
; %bb.63:
	v_add3_u32 v199, v200, 0, 64
	v_mov_b32_e32 v198, 3
	s_inst_prefetch 0x1
	.p2align	6
.LBB92_64:                              ; =>This Inner Loop Header: Depth=1
	s_waitcnt lgkmcnt(0)
	v_cmp_gt_f64_e32 vcc_lo, 0, v[192:193]
	v_cmp_gt_f64_e64 s0, 0, v[190:191]
	ds_read2_b64 v[205:208], v199 offset1:1
	v_xor_b32_e32 v210, 0x80000000, v191
	v_xor_b32_e32 v212, 0x80000000, v193
	v_mov_b32_e32 v209, v190
	v_mov_b32_e32 v211, v192
	v_add_nc_u32_e32 v199, 16, v199
	s_waitcnt lgkmcnt(0)
	v_xor_b32_e32 v214, 0x80000000, v208
	v_cndmask_b32_e64 v210, v191, v210, s0
	v_cndmask_b32_e32 v212, v193, v212, vcc_lo
	v_cmp_gt_f64_e32 vcc_lo, 0, v[207:208]
	v_cmp_gt_f64_e64 s0, 0, v[205:206]
	v_mov_b32_e32 v213, v207
	v_add_f64 v[209:210], v[209:210], v[211:212]
	v_xor_b32_e32 v212, 0x80000000, v206
	v_mov_b32_e32 v211, v205
	v_cndmask_b32_e32 v214, v208, v214, vcc_lo
	v_cndmask_b32_e64 v212, v206, v212, s0
	v_add_f64 v[211:212], v[211:212], v[213:214]
	v_cmp_lt_f64_e32 vcc_lo, v[209:210], v[211:212]
	v_cndmask_b32_e32 v191, v191, v206, vcc_lo
	v_cndmask_b32_e32 v190, v190, v205, vcc_lo
	;; [unrolled: 1-line block ×4, first 2 shown]
	v_cndmask_b32_e64 v198, v198, s7, vcc_lo
	s_add_i32 s7, s7, 1
	s_cmp_lg_u32 s1, s7
	s_cbranch_scc1 .LBB92_64
.LBB92_65:
	s_inst_prefetch 0x2
	s_waitcnt lgkmcnt(0)
	v_cmp_eq_f64_e32 vcc_lo, 0, v[190:191]
	v_cmp_eq_f64_e64 s0, 0, v[192:193]
	s_and_b32 s0, vcc_lo, s0
	s_and_saveexec_b32 s7, s0
	s_xor_b32 s0, exec_lo, s7
; %bb.66:
	v_cmp_ne_u32_e32 vcc_lo, 0, v203
	v_cndmask_b32_e32 v203, 4, v203, vcc_lo
; %bb.67:
	s_andn2_saveexec_b32 s0, s0
	s_cbranch_execz .LBB92_73
; %bb.68:
	v_cmp_ngt_f64_e64 s7, |v[190:191]|, |v[192:193]|
	s_and_saveexec_b32 s8, s7
	s_xor_b32 s7, exec_lo, s8
	s_cbranch_execz .LBB92_70
; %bb.69:
	v_div_scale_f64 v[205:206], null, v[192:193], v[192:193], v[190:191]
	v_div_scale_f64 v[211:212], vcc_lo, v[190:191], v[192:193], v[190:191]
	v_rcp_f64_e32 v[207:208], v[205:206]
	v_fma_f64 v[209:210], -v[205:206], v[207:208], 1.0
	v_fma_f64 v[207:208], v[207:208], v[209:210], v[207:208]
	v_fma_f64 v[209:210], -v[205:206], v[207:208], 1.0
	v_fma_f64 v[207:208], v[207:208], v[209:210], v[207:208]
	v_mul_f64 v[209:210], v[211:212], v[207:208]
	v_fma_f64 v[205:206], -v[205:206], v[209:210], v[211:212]
	v_div_fmas_f64 v[205:206], v[205:206], v[207:208], v[209:210]
	v_div_fixup_f64 v[205:206], v[205:206], v[192:193], v[190:191]
	v_fma_f64 v[190:191], v[190:191], v[205:206], v[192:193]
	v_div_scale_f64 v[192:193], null, v[190:191], v[190:191], 1.0
	v_rcp_f64_e32 v[207:208], v[192:193]
	v_fma_f64 v[209:210], -v[192:193], v[207:208], 1.0
	v_fma_f64 v[207:208], v[207:208], v[209:210], v[207:208]
	v_fma_f64 v[209:210], -v[192:193], v[207:208], 1.0
	v_fma_f64 v[207:208], v[207:208], v[209:210], v[207:208]
	v_div_scale_f64 v[209:210], vcc_lo, 1.0, v[190:191], 1.0
	v_mul_f64 v[211:212], v[209:210], v[207:208]
	v_fma_f64 v[192:193], -v[192:193], v[211:212], v[209:210]
	v_div_fmas_f64 v[192:193], v[192:193], v[207:208], v[211:212]
	v_div_fixup_f64 v[192:193], v[192:193], v[190:191], 1.0
	v_mul_f64 v[190:191], v[205:206], v[192:193]
	v_xor_b32_e32 v193, 0x80000000, v193
.LBB92_70:
	s_andn2_saveexec_b32 s7, s7
	s_cbranch_execz .LBB92_72
; %bb.71:
	v_div_scale_f64 v[205:206], null, v[190:191], v[190:191], v[192:193]
	v_div_scale_f64 v[211:212], vcc_lo, v[192:193], v[190:191], v[192:193]
	v_rcp_f64_e32 v[207:208], v[205:206]
	v_fma_f64 v[209:210], -v[205:206], v[207:208], 1.0
	v_fma_f64 v[207:208], v[207:208], v[209:210], v[207:208]
	v_fma_f64 v[209:210], -v[205:206], v[207:208], 1.0
	v_fma_f64 v[207:208], v[207:208], v[209:210], v[207:208]
	v_mul_f64 v[209:210], v[211:212], v[207:208]
	v_fma_f64 v[205:206], -v[205:206], v[209:210], v[211:212]
	v_div_fmas_f64 v[205:206], v[205:206], v[207:208], v[209:210]
	v_div_fixup_f64 v[205:206], v[205:206], v[190:191], v[192:193]
	v_fma_f64 v[190:191], v[192:193], v[205:206], v[190:191]
	v_div_scale_f64 v[192:193], null, v[190:191], v[190:191], 1.0
	v_rcp_f64_e32 v[207:208], v[192:193]
	v_fma_f64 v[209:210], -v[192:193], v[207:208], 1.0
	v_fma_f64 v[207:208], v[207:208], v[209:210], v[207:208]
	v_fma_f64 v[209:210], -v[192:193], v[207:208], 1.0
	v_fma_f64 v[207:208], v[207:208], v[209:210], v[207:208]
	v_div_scale_f64 v[209:210], vcc_lo, 1.0, v[190:191], 1.0
	v_mul_f64 v[211:212], v[209:210], v[207:208]
	v_fma_f64 v[192:193], -v[192:193], v[211:212], v[209:210]
	v_div_fmas_f64 v[192:193], v[192:193], v[207:208], v[211:212]
	v_div_fixup_f64 v[190:191], v[192:193], v[190:191], 1.0
	v_mul_f64 v[192:193], v[205:206], -v[190:191]
.LBB92_72:
	s_or_b32 exec_lo, exec_lo, s7
.LBB92_73:
	s_or_b32 exec_lo, exec_lo, s0
	s_mov_b32 s0, exec_lo
	v_cmpx_ne_u32_e64 v204, v198
	s_xor_b32 s0, exec_lo, s0
	s_cbranch_execz .LBB92_79
; %bb.74:
	s_mov_b32 s7, exec_lo
	v_cmpx_eq_u32_e32 3, v204
	s_cbranch_execz .LBB92_78
; %bb.75:
	v_cmp_ne_u32_e32 vcc_lo, 3, v198
	s_xor_b32 s8, s16, -1
	s_and_b32 s9, s8, vcc_lo
	s_and_saveexec_b32 s8, s9
	s_cbranch_execz .LBB92_77
; %bb.76:
	v_ashrrev_i32_e32 v199, 31, v198
	v_lshlrev_b64 v[204:205], 2, v[198:199]
	v_add_co_u32 v204, vcc_lo, v196, v204
	v_add_co_ci_u32_e64 v205, null, v197, v205, vcc_lo
	s_clause 0x1
	global_load_dword v0, v[204:205], off
	global_load_dword v199, v[196:197], off offset:12
	s_waitcnt vmcnt(1)
	global_store_dword v[196:197], v0, off offset:12
	s_waitcnt vmcnt(0)
	global_store_dword v[204:205], v199, off
.LBB92_77:
	s_or_b32 exec_lo, exec_lo, s8
	v_mov_b32_e32 v204, v198
	v_mov_b32_e32 v0, v198
.LBB92_78:
	s_or_b32 exec_lo, exec_lo, s7
.LBB92_79:
	s_andn2_saveexec_b32 s0, s0
	s_cbranch_execz .LBB92_81
; %bb.80:
	v_mov_b32_e32 v204, 3
	ds_write2_b64 v1, v[178:179], v[180:181] offset0:8 offset1:9
	ds_write2_b64 v1, v[162:163], v[164:165] offset0:10 offset1:11
	;; [unrolled: 1-line block ×43, first 2 shown]
.LBB92_81:
	s_or_b32 exec_lo, exec_lo, s0
	s_mov_b32 s0, exec_lo
	s_waitcnt lgkmcnt(0)
	s_waitcnt_vscnt null, 0x0
	s_barrier
	buffer_gl0_inv
	v_cmpx_lt_i32_e32 3, v204
	s_cbranch_execz .LBB92_83
; %bb.82:
	v_mul_f64 v[198:199], v[192:193], v[172:173]
	v_mul_f64 v[172:173], v[190:191], v[172:173]
	v_fma_f64 v[198:199], v[190:191], v[170:171], -v[198:199]
	v_fma_f64 v[172:173], v[192:193], v[170:171], v[172:173]
	ds_read2_b64 v[190:193], v1 offset0:8 offset1:9
	s_waitcnt lgkmcnt(0)
	v_mul_f64 v[170:171], v[192:193], v[172:173]
	v_fma_f64 v[170:171], v[190:191], v[198:199], -v[170:171]
	v_mul_f64 v[190:191], v[190:191], v[172:173]
	v_add_f64 v[178:179], v[178:179], -v[170:171]
	v_fma_f64 v[190:191], v[192:193], v[198:199], v[190:191]
	v_add_f64 v[180:181], v[180:181], -v[190:191]
	ds_read2_b64 v[190:193], v1 offset0:10 offset1:11
	s_waitcnt lgkmcnt(0)
	v_mul_f64 v[170:171], v[192:193], v[172:173]
	v_fma_f64 v[170:171], v[190:191], v[198:199], -v[170:171]
	v_mul_f64 v[190:191], v[190:191], v[172:173]
	v_add_f64 v[162:163], v[162:163], -v[170:171]
	v_fma_f64 v[190:191], v[192:193], v[198:199], v[190:191]
	v_add_f64 v[164:165], v[164:165], -v[190:191]
	;; [unrolled: 8-line block ×42, first 2 shown]
	ds_read2_b64 v[190:193], v1 offset0:92 offset1:93
	s_waitcnt lgkmcnt(0)
	v_mul_f64 v[170:171], v[192:193], v[172:173]
	v_fma_f64 v[170:171], v[190:191], v[198:199], -v[170:171]
	v_mul_f64 v[190:191], v[190:191], v[172:173]
	v_add_f64 v[2:3], v[2:3], -v[170:171]
	v_fma_f64 v[190:191], v[192:193], v[198:199], v[190:191]
	v_mov_b32_e32 v170, v198
	v_mov_b32_e32 v171, v199
	v_add_f64 v[4:5], v[4:5], -v[190:191]
.LBB92_83:
	s_or_b32 exec_lo, exec_lo, s0
	v_lshl_add_u32 v190, v204, 4, v1
	s_barrier
	buffer_gl0_inv
	v_mov_b32_e32 v198, 4
	ds_write2_b64 v190, v[178:179], v[180:181] offset1:1
	s_waitcnt lgkmcnt(0)
	s_barrier
	buffer_gl0_inv
	ds_read2_b64 v[190:193], v1 offset0:8 offset1:9
	s_cmp_lt_i32 s1, 6
	s_cbranch_scc1 .LBB92_86
; %bb.84:
	v_mov_b32_e32 v198, 4
	v_add3_u32 v199, v200, 0, 0x50
	s_mov_b32 s7, 5
	s_inst_prefetch 0x1
	.p2align	6
.LBB92_85:                              ; =>This Inner Loop Header: Depth=1
	s_waitcnt lgkmcnt(0)
	v_cmp_gt_f64_e32 vcc_lo, 0, v[192:193]
	v_cmp_gt_f64_e64 s0, 0, v[190:191]
	ds_read2_b64 v[205:208], v199 offset1:1
	v_xor_b32_e32 v210, 0x80000000, v191
	v_xor_b32_e32 v212, 0x80000000, v193
	v_mov_b32_e32 v209, v190
	v_mov_b32_e32 v211, v192
	v_add_nc_u32_e32 v199, 16, v199
	s_waitcnt lgkmcnt(0)
	v_xor_b32_e32 v214, 0x80000000, v208
	v_cndmask_b32_e64 v210, v191, v210, s0
	v_cndmask_b32_e32 v212, v193, v212, vcc_lo
	v_cmp_gt_f64_e32 vcc_lo, 0, v[207:208]
	v_cmp_gt_f64_e64 s0, 0, v[205:206]
	v_mov_b32_e32 v213, v207
	v_add_f64 v[209:210], v[209:210], v[211:212]
	v_xor_b32_e32 v212, 0x80000000, v206
	v_mov_b32_e32 v211, v205
	v_cndmask_b32_e32 v214, v208, v214, vcc_lo
	v_cndmask_b32_e64 v212, v206, v212, s0
	v_add_f64 v[211:212], v[211:212], v[213:214]
	v_cmp_lt_f64_e32 vcc_lo, v[209:210], v[211:212]
	v_cndmask_b32_e32 v191, v191, v206, vcc_lo
	v_cndmask_b32_e32 v190, v190, v205, vcc_lo
	;; [unrolled: 1-line block ×4, first 2 shown]
	v_cndmask_b32_e64 v198, v198, s7, vcc_lo
	s_add_i32 s7, s7, 1
	s_cmp_lg_u32 s1, s7
	s_cbranch_scc1 .LBB92_85
.LBB92_86:
	s_inst_prefetch 0x2
	s_waitcnt lgkmcnt(0)
	v_cmp_eq_f64_e32 vcc_lo, 0, v[190:191]
	v_cmp_eq_f64_e64 s0, 0, v[192:193]
	s_and_b32 s0, vcc_lo, s0
	s_and_saveexec_b32 s7, s0
	s_xor_b32 s0, exec_lo, s7
; %bb.87:
	v_cmp_ne_u32_e32 vcc_lo, 0, v203
	v_cndmask_b32_e32 v203, 5, v203, vcc_lo
; %bb.88:
	s_andn2_saveexec_b32 s0, s0
	s_cbranch_execz .LBB92_94
; %bb.89:
	v_cmp_ngt_f64_e64 s7, |v[190:191]|, |v[192:193]|
	s_and_saveexec_b32 s8, s7
	s_xor_b32 s7, exec_lo, s8
	s_cbranch_execz .LBB92_91
; %bb.90:
	v_div_scale_f64 v[205:206], null, v[192:193], v[192:193], v[190:191]
	v_div_scale_f64 v[211:212], vcc_lo, v[190:191], v[192:193], v[190:191]
	v_rcp_f64_e32 v[207:208], v[205:206]
	v_fma_f64 v[209:210], -v[205:206], v[207:208], 1.0
	v_fma_f64 v[207:208], v[207:208], v[209:210], v[207:208]
	v_fma_f64 v[209:210], -v[205:206], v[207:208], 1.0
	v_fma_f64 v[207:208], v[207:208], v[209:210], v[207:208]
	v_mul_f64 v[209:210], v[211:212], v[207:208]
	v_fma_f64 v[205:206], -v[205:206], v[209:210], v[211:212]
	v_div_fmas_f64 v[205:206], v[205:206], v[207:208], v[209:210]
	v_div_fixup_f64 v[205:206], v[205:206], v[192:193], v[190:191]
	v_fma_f64 v[190:191], v[190:191], v[205:206], v[192:193]
	v_div_scale_f64 v[192:193], null, v[190:191], v[190:191], 1.0
	v_rcp_f64_e32 v[207:208], v[192:193]
	v_fma_f64 v[209:210], -v[192:193], v[207:208], 1.0
	v_fma_f64 v[207:208], v[207:208], v[209:210], v[207:208]
	v_fma_f64 v[209:210], -v[192:193], v[207:208], 1.0
	v_fma_f64 v[207:208], v[207:208], v[209:210], v[207:208]
	v_div_scale_f64 v[209:210], vcc_lo, 1.0, v[190:191], 1.0
	v_mul_f64 v[211:212], v[209:210], v[207:208]
	v_fma_f64 v[192:193], -v[192:193], v[211:212], v[209:210]
	v_div_fmas_f64 v[192:193], v[192:193], v[207:208], v[211:212]
	v_div_fixup_f64 v[192:193], v[192:193], v[190:191], 1.0
	v_mul_f64 v[190:191], v[205:206], v[192:193]
	v_xor_b32_e32 v193, 0x80000000, v193
.LBB92_91:
	s_andn2_saveexec_b32 s7, s7
	s_cbranch_execz .LBB92_93
; %bb.92:
	v_div_scale_f64 v[205:206], null, v[190:191], v[190:191], v[192:193]
	v_div_scale_f64 v[211:212], vcc_lo, v[192:193], v[190:191], v[192:193]
	v_rcp_f64_e32 v[207:208], v[205:206]
	v_fma_f64 v[209:210], -v[205:206], v[207:208], 1.0
	v_fma_f64 v[207:208], v[207:208], v[209:210], v[207:208]
	v_fma_f64 v[209:210], -v[205:206], v[207:208], 1.0
	v_fma_f64 v[207:208], v[207:208], v[209:210], v[207:208]
	v_mul_f64 v[209:210], v[211:212], v[207:208]
	v_fma_f64 v[205:206], -v[205:206], v[209:210], v[211:212]
	v_div_fmas_f64 v[205:206], v[205:206], v[207:208], v[209:210]
	v_div_fixup_f64 v[205:206], v[205:206], v[190:191], v[192:193]
	v_fma_f64 v[190:191], v[192:193], v[205:206], v[190:191]
	v_div_scale_f64 v[192:193], null, v[190:191], v[190:191], 1.0
	v_rcp_f64_e32 v[207:208], v[192:193]
	v_fma_f64 v[209:210], -v[192:193], v[207:208], 1.0
	v_fma_f64 v[207:208], v[207:208], v[209:210], v[207:208]
	v_fma_f64 v[209:210], -v[192:193], v[207:208], 1.0
	v_fma_f64 v[207:208], v[207:208], v[209:210], v[207:208]
	v_div_scale_f64 v[209:210], vcc_lo, 1.0, v[190:191], 1.0
	v_mul_f64 v[211:212], v[209:210], v[207:208]
	v_fma_f64 v[192:193], -v[192:193], v[211:212], v[209:210]
	v_div_fmas_f64 v[192:193], v[192:193], v[207:208], v[211:212]
	v_div_fixup_f64 v[190:191], v[192:193], v[190:191], 1.0
	v_mul_f64 v[192:193], v[205:206], -v[190:191]
.LBB92_93:
	s_or_b32 exec_lo, exec_lo, s7
.LBB92_94:
	s_or_b32 exec_lo, exec_lo, s0
	s_mov_b32 s0, exec_lo
	v_cmpx_ne_u32_e64 v204, v198
	s_xor_b32 s0, exec_lo, s0
	s_cbranch_execz .LBB92_100
; %bb.95:
	s_mov_b32 s7, exec_lo
	v_cmpx_eq_u32_e32 4, v204
	s_cbranch_execz .LBB92_99
; %bb.96:
	v_cmp_ne_u32_e32 vcc_lo, 4, v198
	s_xor_b32 s8, s16, -1
	s_and_b32 s9, s8, vcc_lo
	s_and_saveexec_b32 s8, s9
	s_cbranch_execz .LBB92_98
; %bb.97:
	v_ashrrev_i32_e32 v199, 31, v198
	v_lshlrev_b64 v[204:205], 2, v[198:199]
	v_add_co_u32 v204, vcc_lo, v196, v204
	v_add_co_ci_u32_e64 v205, null, v197, v205, vcc_lo
	s_clause 0x1
	global_load_dword v0, v[204:205], off
	global_load_dword v199, v[196:197], off offset:16
	s_waitcnt vmcnt(1)
	global_store_dword v[196:197], v0, off offset:16
	s_waitcnt vmcnt(0)
	global_store_dword v[204:205], v199, off
.LBB92_98:
	s_or_b32 exec_lo, exec_lo, s8
	v_mov_b32_e32 v204, v198
	v_mov_b32_e32 v0, v198
.LBB92_99:
	s_or_b32 exec_lo, exec_lo, s7
.LBB92_100:
	s_andn2_saveexec_b32 s0, s0
	s_cbranch_execz .LBB92_102
; %bb.101:
	v_mov_b32_e32 v204, 4
	ds_write2_b64 v1, v[162:163], v[164:165] offset0:10 offset1:11
	ds_write2_b64 v1, v[166:167], v[168:169] offset0:12 offset1:13
	;; [unrolled: 1-line block ×42, first 2 shown]
.LBB92_102:
	s_or_b32 exec_lo, exec_lo, s0
	s_mov_b32 s0, exec_lo
	s_waitcnt lgkmcnt(0)
	s_waitcnt_vscnt null, 0x0
	s_barrier
	buffer_gl0_inv
	v_cmpx_lt_i32_e32 4, v204
	s_cbranch_execz .LBB92_104
; %bb.103:
	v_mul_f64 v[198:199], v[192:193], v[180:181]
	v_mul_f64 v[180:181], v[190:191], v[180:181]
	v_fma_f64 v[198:199], v[190:191], v[178:179], -v[198:199]
	v_fma_f64 v[180:181], v[192:193], v[178:179], v[180:181]
	ds_read2_b64 v[190:193], v1 offset0:10 offset1:11
	s_waitcnt lgkmcnt(0)
	v_mul_f64 v[178:179], v[192:193], v[180:181]
	v_fma_f64 v[178:179], v[190:191], v[198:199], -v[178:179]
	v_mul_f64 v[190:191], v[190:191], v[180:181]
	v_add_f64 v[162:163], v[162:163], -v[178:179]
	v_fma_f64 v[190:191], v[192:193], v[198:199], v[190:191]
	v_add_f64 v[164:165], v[164:165], -v[190:191]
	ds_read2_b64 v[190:193], v1 offset0:12 offset1:13
	s_waitcnt lgkmcnt(0)
	v_mul_f64 v[178:179], v[192:193], v[180:181]
	v_fma_f64 v[178:179], v[190:191], v[198:199], -v[178:179]
	v_mul_f64 v[190:191], v[190:191], v[180:181]
	v_add_f64 v[166:167], v[166:167], -v[178:179]
	v_fma_f64 v[190:191], v[192:193], v[198:199], v[190:191]
	v_add_f64 v[168:169], v[168:169], -v[190:191]
	;; [unrolled: 8-line block ×41, first 2 shown]
	ds_read2_b64 v[190:193], v1 offset0:92 offset1:93
	s_waitcnt lgkmcnt(0)
	v_mul_f64 v[178:179], v[192:193], v[180:181]
	v_fma_f64 v[178:179], v[190:191], v[198:199], -v[178:179]
	v_mul_f64 v[190:191], v[190:191], v[180:181]
	v_add_f64 v[2:3], v[2:3], -v[178:179]
	v_fma_f64 v[190:191], v[192:193], v[198:199], v[190:191]
	v_mov_b32_e32 v178, v198
	v_mov_b32_e32 v179, v199
	v_add_f64 v[4:5], v[4:5], -v[190:191]
.LBB92_104:
	s_or_b32 exec_lo, exec_lo, s0
	v_lshl_add_u32 v190, v204, 4, v1
	s_barrier
	buffer_gl0_inv
	v_mov_b32_e32 v198, 5
	ds_write2_b64 v190, v[162:163], v[164:165] offset1:1
	s_waitcnt lgkmcnt(0)
	s_barrier
	buffer_gl0_inv
	ds_read2_b64 v[190:193], v1 offset0:10 offset1:11
	s_cmp_lt_i32 s1, 7
	s_cbranch_scc1 .LBB92_107
; %bb.105:
	v_add3_u32 v199, v200, 0, 0x60
	v_mov_b32_e32 v198, 5
	s_mov_b32 s7, 6
	s_inst_prefetch 0x1
	.p2align	6
.LBB92_106:                             ; =>This Inner Loop Header: Depth=1
	s_waitcnt lgkmcnt(0)
	v_cmp_gt_f64_e32 vcc_lo, 0, v[192:193]
	v_cmp_gt_f64_e64 s0, 0, v[190:191]
	ds_read2_b64 v[205:208], v199 offset1:1
	v_xor_b32_e32 v210, 0x80000000, v191
	v_xor_b32_e32 v212, 0x80000000, v193
	v_mov_b32_e32 v209, v190
	v_mov_b32_e32 v211, v192
	v_add_nc_u32_e32 v199, 16, v199
	s_waitcnt lgkmcnt(0)
	v_xor_b32_e32 v214, 0x80000000, v208
	v_cndmask_b32_e64 v210, v191, v210, s0
	v_cndmask_b32_e32 v212, v193, v212, vcc_lo
	v_cmp_gt_f64_e32 vcc_lo, 0, v[207:208]
	v_cmp_gt_f64_e64 s0, 0, v[205:206]
	v_mov_b32_e32 v213, v207
	v_add_f64 v[209:210], v[209:210], v[211:212]
	v_xor_b32_e32 v212, 0x80000000, v206
	v_mov_b32_e32 v211, v205
	v_cndmask_b32_e32 v214, v208, v214, vcc_lo
	v_cndmask_b32_e64 v212, v206, v212, s0
	v_add_f64 v[211:212], v[211:212], v[213:214]
	v_cmp_lt_f64_e32 vcc_lo, v[209:210], v[211:212]
	v_cndmask_b32_e32 v191, v191, v206, vcc_lo
	v_cndmask_b32_e32 v190, v190, v205, vcc_lo
	v_cndmask_b32_e32 v193, v193, v208, vcc_lo
	v_cndmask_b32_e32 v192, v192, v207, vcc_lo
	v_cndmask_b32_e64 v198, v198, s7, vcc_lo
	s_add_i32 s7, s7, 1
	s_cmp_lg_u32 s1, s7
	s_cbranch_scc1 .LBB92_106
.LBB92_107:
	s_inst_prefetch 0x2
	s_waitcnt lgkmcnt(0)
	v_cmp_eq_f64_e32 vcc_lo, 0, v[190:191]
	v_cmp_eq_f64_e64 s0, 0, v[192:193]
	s_and_b32 s0, vcc_lo, s0
	s_and_saveexec_b32 s7, s0
	s_xor_b32 s0, exec_lo, s7
; %bb.108:
	v_cmp_ne_u32_e32 vcc_lo, 0, v203
	v_cndmask_b32_e32 v203, 6, v203, vcc_lo
; %bb.109:
	s_andn2_saveexec_b32 s0, s0
	s_cbranch_execz .LBB92_115
; %bb.110:
	v_cmp_ngt_f64_e64 s7, |v[190:191]|, |v[192:193]|
	s_and_saveexec_b32 s8, s7
	s_xor_b32 s7, exec_lo, s8
	s_cbranch_execz .LBB92_112
; %bb.111:
	v_div_scale_f64 v[205:206], null, v[192:193], v[192:193], v[190:191]
	v_div_scale_f64 v[211:212], vcc_lo, v[190:191], v[192:193], v[190:191]
	v_rcp_f64_e32 v[207:208], v[205:206]
	v_fma_f64 v[209:210], -v[205:206], v[207:208], 1.0
	v_fma_f64 v[207:208], v[207:208], v[209:210], v[207:208]
	v_fma_f64 v[209:210], -v[205:206], v[207:208], 1.0
	v_fma_f64 v[207:208], v[207:208], v[209:210], v[207:208]
	v_mul_f64 v[209:210], v[211:212], v[207:208]
	v_fma_f64 v[205:206], -v[205:206], v[209:210], v[211:212]
	v_div_fmas_f64 v[205:206], v[205:206], v[207:208], v[209:210]
	v_div_fixup_f64 v[205:206], v[205:206], v[192:193], v[190:191]
	v_fma_f64 v[190:191], v[190:191], v[205:206], v[192:193]
	v_div_scale_f64 v[192:193], null, v[190:191], v[190:191], 1.0
	v_rcp_f64_e32 v[207:208], v[192:193]
	v_fma_f64 v[209:210], -v[192:193], v[207:208], 1.0
	v_fma_f64 v[207:208], v[207:208], v[209:210], v[207:208]
	v_fma_f64 v[209:210], -v[192:193], v[207:208], 1.0
	v_fma_f64 v[207:208], v[207:208], v[209:210], v[207:208]
	v_div_scale_f64 v[209:210], vcc_lo, 1.0, v[190:191], 1.0
	v_mul_f64 v[211:212], v[209:210], v[207:208]
	v_fma_f64 v[192:193], -v[192:193], v[211:212], v[209:210]
	v_div_fmas_f64 v[192:193], v[192:193], v[207:208], v[211:212]
	v_div_fixup_f64 v[192:193], v[192:193], v[190:191], 1.0
	v_mul_f64 v[190:191], v[205:206], v[192:193]
	v_xor_b32_e32 v193, 0x80000000, v193
.LBB92_112:
	s_andn2_saveexec_b32 s7, s7
	s_cbranch_execz .LBB92_114
; %bb.113:
	v_div_scale_f64 v[205:206], null, v[190:191], v[190:191], v[192:193]
	v_div_scale_f64 v[211:212], vcc_lo, v[192:193], v[190:191], v[192:193]
	v_rcp_f64_e32 v[207:208], v[205:206]
	v_fma_f64 v[209:210], -v[205:206], v[207:208], 1.0
	v_fma_f64 v[207:208], v[207:208], v[209:210], v[207:208]
	v_fma_f64 v[209:210], -v[205:206], v[207:208], 1.0
	v_fma_f64 v[207:208], v[207:208], v[209:210], v[207:208]
	v_mul_f64 v[209:210], v[211:212], v[207:208]
	v_fma_f64 v[205:206], -v[205:206], v[209:210], v[211:212]
	v_div_fmas_f64 v[205:206], v[205:206], v[207:208], v[209:210]
	v_div_fixup_f64 v[205:206], v[205:206], v[190:191], v[192:193]
	v_fma_f64 v[190:191], v[192:193], v[205:206], v[190:191]
	v_div_scale_f64 v[192:193], null, v[190:191], v[190:191], 1.0
	v_rcp_f64_e32 v[207:208], v[192:193]
	v_fma_f64 v[209:210], -v[192:193], v[207:208], 1.0
	v_fma_f64 v[207:208], v[207:208], v[209:210], v[207:208]
	v_fma_f64 v[209:210], -v[192:193], v[207:208], 1.0
	v_fma_f64 v[207:208], v[207:208], v[209:210], v[207:208]
	v_div_scale_f64 v[209:210], vcc_lo, 1.0, v[190:191], 1.0
	v_mul_f64 v[211:212], v[209:210], v[207:208]
	v_fma_f64 v[192:193], -v[192:193], v[211:212], v[209:210]
	v_div_fmas_f64 v[192:193], v[192:193], v[207:208], v[211:212]
	v_div_fixup_f64 v[190:191], v[192:193], v[190:191], 1.0
	v_mul_f64 v[192:193], v[205:206], -v[190:191]
.LBB92_114:
	s_or_b32 exec_lo, exec_lo, s7
.LBB92_115:
	s_or_b32 exec_lo, exec_lo, s0
	s_mov_b32 s0, exec_lo
	v_cmpx_ne_u32_e64 v204, v198
	s_xor_b32 s0, exec_lo, s0
	s_cbranch_execz .LBB92_121
; %bb.116:
	s_mov_b32 s7, exec_lo
	v_cmpx_eq_u32_e32 5, v204
	s_cbranch_execz .LBB92_120
; %bb.117:
	v_cmp_ne_u32_e32 vcc_lo, 5, v198
	s_xor_b32 s8, s16, -1
	s_and_b32 s9, s8, vcc_lo
	s_and_saveexec_b32 s8, s9
	s_cbranch_execz .LBB92_119
; %bb.118:
	v_ashrrev_i32_e32 v199, 31, v198
	v_lshlrev_b64 v[204:205], 2, v[198:199]
	v_add_co_u32 v204, vcc_lo, v196, v204
	v_add_co_ci_u32_e64 v205, null, v197, v205, vcc_lo
	s_clause 0x1
	global_load_dword v0, v[204:205], off
	global_load_dword v199, v[196:197], off offset:20
	s_waitcnt vmcnt(1)
	global_store_dword v[196:197], v0, off offset:20
	s_waitcnt vmcnt(0)
	global_store_dword v[204:205], v199, off
.LBB92_119:
	s_or_b32 exec_lo, exec_lo, s8
	v_mov_b32_e32 v204, v198
	v_mov_b32_e32 v0, v198
.LBB92_120:
	s_or_b32 exec_lo, exec_lo, s7
.LBB92_121:
	s_andn2_saveexec_b32 s0, s0
	s_cbranch_execz .LBB92_123
; %bb.122:
	v_mov_b32_e32 v204, 5
	ds_write2_b64 v1, v[166:167], v[168:169] offset0:12 offset1:13
	ds_write2_b64 v1, v[150:151], v[152:153] offset0:14 offset1:15
	;; [unrolled: 1-line block ×41, first 2 shown]
.LBB92_123:
	s_or_b32 exec_lo, exec_lo, s0
	s_mov_b32 s0, exec_lo
	s_waitcnt lgkmcnt(0)
	s_waitcnt_vscnt null, 0x0
	s_barrier
	buffer_gl0_inv
	v_cmpx_lt_i32_e32 5, v204
	s_cbranch_execz .LBB92_125
; %bb.124:
	v_mul_f64 v[198:199], v[192:193], v[164:165]
	v_mul_f64 v[164:165], v[190:191], v[164:165]
	v_fma_f64 v[198:199], v[190:191], v[162:163], -v[198:199]
	v_fma_f64 v[164:165], v[192:193], v[162:163], v[164:165]
	ds_read2_b64 v[190:193], v1 offset0:12 offset1:13
	s_waitcnt lgkmcnt(0)
	v_mul_f64 v[162:163], v[192:193], v[164:165]
	v_fma_f64 v[162:163], v[190:191], v[198:199], -v[162:163]
	v_mul_f64 v[190:191], v[190:191], v[164:165]
	v_add_f64 v[166:167], v[166:167], -v[162:163]
	v_fma_f64 v[190:191], v[192:193], v[198:199], v[190:191]
	v_add_f64 v[168:169], v[168:169], -v[190:191]
	ds_read2_b64 v[190:193], v1 offset0:14 offset1:15
	s_waitcnt lgkmcnt(0)
	v_mul_f64 v[162:163], v[192:193], v[164:165]
	v_fma_f64 v[162:163], v[190:191], v[198:199], -v[162:163]
	v_mul_f64 v[190:191], v[190:191], v[164:165]
	v_add_f64 v[150:151], v[150:151], -v[162:163]
	v_fma_f64 v[190:191], v[192:193], v[198:199], v[190:191]
	v_add_f64 v[152:153], v[152:153], -v[190:191]
	;; [unrolled: 8-line block ×40, first 2 shown]
	ds_read2_b64 v[190:193], v1 offset0:92 offset1:93
	s_waitcnt lgkmcnt(0)
	v_mul_f64 v[162:163], v[192:193], v[164:165]
	v_fma_f64 v[162:163], v[190:191], v[198:199], -v[162:163]
	v_mul_f64 v[190:191], v[190:191], v[164:165]
	v_add_f64 v[2:3], v[2:3], -v[162:163]
	v_fma_f64 v[190:191], v[192:193], v[198:199], v[190:191]
	v_mov_b32_e32 v162, v198
	v_mov_b32_e32 v163, v199
	v_add_f64 v[4:5], v[4:5], -v[190:191]
.LBB92_125:
	s_or_b32 exec_lo, exec_lo, s0
	v_lshl_add_u32 v190, v204, 4, v1
	s_barrier
	buffer_gl0_inv
	v_mov_b32_e32 v198, 6
	ds_write2_b64 v190, v[166:167], v[168:169] offset1:1
	s_waitcnt lgkmcnt(0)
	s_barrier
	buffer_gl0_inv
	ds_read2_b64 v[190:193], v1 offset0:12 offset1:13
	s_cmp_lt_i32 s1, 8
	s_cbranch_scc1 .LBB92_128
; %bb.126:
	v_add3_u32 v199, v200, 0, 0x70
	v_mov_b32_e32 v198, 6
	s_mov_b32 s7, 7
	s_inst_prefetch 0x1
	.p2align	6
.LBB92_127:                             ; =>This Inner Loop Header: Depth=1
	s_waitcnt lgkmcnt(0)
	v_cmp_gt_f64_e32 vcc_lo, 0, v[192:193]
	v_cmp_gt_f64_e64 s0, 0, v[190:191]
	ds_read2_b64 v[205:208], v199 offset1:1
	v_xor_b32_e32 v210, 0x80000000, v191
	v_xor_b32_e32 v212, 0x80000000, v193
	v_mov_b32_e32 v209, v190
	v_mov_b32_e32 v211, v192
	v_add_nc_u32_e32 v199, 16, v199
	s_waitcnt lgkmcnt(0)
	v_xor_b32_e32 v214, 0x80000000, v208
	v_cndmask_b32_e64 v210, v191, v210, s0
	v_cndmask_b32_e32 v212, v193, v212, vcc_lo
	v_cmp_gt_f64_e32 vcc_lo, 0, v[207:208]
	v_cmp_gt_f64_e64 s0, 0, v[205:206]
	v_mov_b32_e32 v213, v207
	v_add_f64 v[209:210], v[209:210], v[211:212]
	v_xor_b32_e32 v212, 0x80000000, v206
	v_mov_b32_e32 v211, v205
	v_cndmask_b32_e32 v214, v208, v214, vcc_lo
	v_cndmask_b32_e64 v212, v206, v212, s0
	v_add_f64 v[211:212], v[211:212], v[213:214]
	v_cmp_lt_f64_e32 vcc_lo, v[209:210], v[211:212]
	v_cndmask_b32_e32 v191, v191, v206, vcc_lo
	v_cndmask_b32_e32 v190, v190, v205, vcc_lo
	;; [unrolled: 1-line block ×4, first 2 shown]
	v_cndmask_b32_e64 v198, v198, s7, vcc_lo
	s_add_i32 s7, s7, 1
	s_cmp_lg_u32 s1, s7
	s_cbranch_scc1 .LBB92_127
.LBB92_128:
	s_inst_prefetch 0x2
	s_waitcnt lgkmcnt(0)
	v_cmp_eq_f64_e32 vcc_lo, 0, v[190:191]
	v_cmp_eq_f64_e64 s0, 0, v[192:193]
	s_and_b32 s0, vcc_lo, s0
	s_and_saveexec_b32 s7, s0
	s_xor_b32 s0, exec_lo, s7
; %bb.129:
	v_cmp_ne_u32_e32 vcc_lo, 0, v203
	v_cndmask_b32_e32 v203, 7, v203, vcc_lo
; %bb.130:
	s_andn2_saveexec_b32 s0, s0
	s_cbranch_execz .LBB92_136
; %bb.131:
	v_cmp_ngt_f64_e64 s7, |v[190:191]|, |v[192:193]|
	s_and_saveexec_b32 s8, s7
	s_xor_b32 s7, exec_lo, s8
	s_cbranch_execz .LBB92_133
; %bb.132:
	v_div_scale_f64 v[205:206], null, v[192:193], v[192:193], v[190:191]
	v_div_scale_f64 v[211:212], vcc_lo, v[190:191], v[192:193], v[190:191]
	v_rcp_f64_e32 v[207:208], v[205:206]
	v_fma_f64 v[209:210], -v[205:206], v[207:208], 1.0
	v_fma_f64 v[207:208], v[207:208], v[209:210], v[207:208]
	v_fma_f64 v[209:210], -v[205:206], v[207:208], 1.0
	v_fma_f64 v[207:208], v[207:208], v[209:210], v[207:208]
	v_mul_f64 v[209:210], v[211:212], v[207:208]
	v_fma_f64 v[205:206], -v[205:206], v[209:210], v[211:212]
	v_div_fmas_f64 v[205:206], v[205:206], v[207:208], v[209:210]
	v_div_fixup_f64 v[205:206], v[205:206], v[192:193], v[190:191]
	v_fma_f64 v[190:191], v[190:191], v[205:206], v[192:193]
	v_div_scale_f64 v[192:193], null, v[190:191], v[190:191], 1.0
	v_rcp_f64_e32 v[207:208], v[192:193]
	v_fma_f64 v[209:210], -v[192:193], v[207:208], 1.0
	v_fma_f64 v[207:208], v[207:208], v[209:210], v[207:208]
	v_fma_f64 v[209:210], -v[192:193], v[207:208], 1.0
	v_fma_f64 v[207:208], v[207:208], v[209:210], v[207:208]
	v_div_scale_f64 v[209:210], vcc_lo, 1.0, v[190:191], 1.0
	v_mul_f64 v[211:212], v[209:210], v[207:208]
	v_fma_f64 v[192:193], -v[192:193], v[211:212], v[209:210]
	v_div_fmas_f64 v[192:193], v[192:193], v[207:208], v[211:212]
	v_div_fixup_f64 v[192:193], v[192:193], v[190:191], 1.0
	v_mul_f64 v[190:191], v[205:206], v[192:193]
	v_xor_b32_e32 v193, 0x80000000, v193
.LBB92_133:
	s_andn2_saveexec_b32 s7, s7
	s_cbranch_execz .LBB92_135
; %bb.134:
	v_div_scale_f64 v[205:206], null, v[190:191], v[190:191], v[192:193]
	v_div_scale_f64 v[211:212], vcc_lo, v[192:193], v[190:191], v[192:193]
	v_rcp_f64_e32 v[207:208], v[205:206]
	v_fma_f64 v[209:210], -v[205:206], v[207:208], 1.0
	v_fma_f64 v[207:208], v[207:208], v[209:210], v[207:208]
	v_fma_f64 v[209:210], -v[205:206], v[207:208], 1.0
	v_fma_f64 v[207:208], v[207:208], v[209:210], v[207:208]
	v_mul_f64 v[209:210], v[211:212], v[207:208]
	v_fma_f64 v[205:206], -v[205:206], v[209:210], v[211:212]
	v_div_fmas_f64 v[205:206], v[205:206], v[207:208], v[209:210]
	v_div_fixup_f64 v[205:206], v[205:206], v[190:191], v[192:193]
	v_fma_f64 v[190:191], v[192:193], v[205:206], v[190:191]
	v_div_scale_f64 v[192:193], null, v[190:191], v[190:191], 1.0
	v_rcp_f64_e32 v[207:208], v[192:193]
	v_fma_f64 v[209:210], -v[192:193], v[207:208], 1.0
	v_fma_f64 v[207:208], v[207:208], v[209:210], v[207:208]
	v_fma_f64 v[209:210], -v[192:193], v[207:208], 1.0
	v_fma_f64 v[207:208], v[207:208], v[209:210], v[207:208]
	v_div_scale_f64 v[209:210], vcc_lo, 1.0, v[190:191], 1.0
	v_mul_f64 v[211:212], v[209:210], v[207:208]
	v_fma_f64 v[192:193], -v[192:193], v[211:212], v[209:210]
	v_div_fmas_f64 v[192:193], v[192:193], v[207:208], v[211:212]
	v_div_fixup_f64 v[190:191], v[192:193], v[190:191], 1.0
	v_mul_f64 v[192:193], v[205:206], -v[190:191]
.LBB92_135:
	s_or_b32 exec_lo, exec_lo, s7
.LBB92_136:
	s_or_b32 exec_lo, exec_lo, s0
	s_mov_b32 s0, exec_lo
	v_cmpx_ne_u32_e64 v204, v198
	s_xor_b32 s0, exec_lo, s0
	s_cbranch_execz .LBB92_142
; %bb.137:
	s_mov_b32 s7, exec_lo
	v_cmpx_eq_u32_e32 6, v204
	s_cbranch_execz .LBB92_141
; %bb.138:
	v_cmp_ne_u32_e32 vcc_lo, 6, v198
	s_xor_b32 s8, s16, -1
	s_and_b32 s9, s8, vcc_lo
	s_and_saveexec_b32 s8, s9
	s_cbranch_execz .LBB92_140
; %bb.139:
	v_ashrrev_i32_e32 v199, 31, v198
	v_lshlrev_b64 v[204:205], 2, v[198:199]
	v_add_co_u32 v204, vcc_lo, v196, v204
	v_add_co_ci_u32_e64 v205, null, v197, v205, vcc_lo
	s_clause 0x1
	global_load_dword v0, v[204:205], off
	global_load_dword v199, v[196:197], off offset:24
	s_waitcnt vmcnt(1)
	global_store_dword v[196:197], v0, off offset:24
	s_waitcnt vmcnt(0)
	global_store_dword v[204:205], v199, off
.LBB92_140:
	s_or_b32 exec_lo, exec_lo, s8
	v_mov_b32_e32 v204, v198
	v_mov_b32_e32 v0, v198
.LBB92_141:
	s_or_b32 exec_lo, exec_lo, s7
.LBB92_142:
	s_andn2_saveexec_b32 s0, s0
	s_cbranch_execz .LBB92_144
; %bb.143:
	v_mov_b32_e32 v204, 6
	ds_write2_b64 v1, v[150:151], v[152:153] offset0:14 offset1:15
	ds_write2_b64 v1, v[158:159], v[160:161] offset0:16 offset1:17
	;; [unrolled: 1-line block ×40, first 2 shown]
.LBB92_144:
	s_or_b32 exec_lo, exec_lo, s0
	s_mov_b32 s0, exec_lo
	s_waitcnt lgkmcnt(0)
	s_waitcnt_vscnt null, 0x0
	s_barrier
	buffer_gl0_inv
	v_cmpx_lt_i32_e32 6, v204
	s_cbranch_execz .LBB92_146
; %bb.145:
	v_mul_f64 v[198:199], v[192:193], v[168:169]
	v_mul_f64 v[168:169], v[190:191], v[168:169]
	v_fma_f64 v[198:199], v[190:191], v[166:167], -v[198:199]
	v_fma_f64 v[168:169], v[192:193], v[166:167], v[168:169]
	ds_read2_b64 v[190:193], v1 offset0:14 offset1:15
	s_waitcnt lgkmcnt(0)
	v_mul_f64 v[166:167], v[192:193], v[168:169]
	v_fma_f64 v[166:167], v[190:191], v[198:199], -v[166:167]
	v_mul_f64 v[190:191], v[190:191], v[168:169]
	v_add_f64 v[150:151], v[150:151], -v[166:167]
	v_fma_f64 v[190:191], v[192:193], v[198:199], v[190:191]
	v_add_f64 v[152:153], v[152:153], -v[190:191]
	ds_read2_b64 v[190:193], v1 offset0:16 offset1:17
	s_waitcnt lgkmcnt(0)
	v_mul_f64 v[166:167], v[192:193], v[168:169]
	v_fma_f64 v[166:167], v[190:191], v[198:199], -v[166:167]
	v_mul_f64 v[190:191], v[190:191], v[168:169]
	v_add_f64 v[158:159], v[158:159], -v[166:167]
	v_fma_f64 v[190:191], v[192:193], v[198:199], v[190:191]
	v_add_f64 v[160:161], v[160:161], -v[190:191]
	;; [unrolled: 8-line block ×39, first 2 shown]
	ds_read2_b64 v[190:193], v1 offset0:92 offset1:93
	s_waitcnt lgkmcnt(0)
	v_mul_f64 v[166:167], v[192:193], v[168:169]
	v_fma_f64 v[166:167], v[190:191], v[198:199], -v[166:167]
	v_mul_f64 v[190:191], v[190:191], v[168:169]
	v_add_f64 v[2:3], v[2:3], -v[166:167]
	v_fma_f64 v[190:191], v[192:193], v[198:199], v[190:191]
	v_mov_b32_e32 v166, v198
	v_mov_b32_e32 v167, v199
	v_add_f64 v[4:5], v[4:5], -v[190:191]
.LBB92_146:
	s_or_b32 exec_lo, exec_lo, s0
	v_lshl_add_u32 v190, v204, 4, v1
	s_barrier
	buffer_gl0_inv
	v_mov_b32_e32 v198, 7
	ds_write2_b64 v190, v[150:151], v[152:153] offset1:1
	s_waitcnt lgkmcnt(0)
	s_barrier
	buffer_gl0_inv
	ds_read2_b64 v[190:193], v1 offset0:14 offset1:15
	s_cmp_lt_i32 s1, 9
	s_cbranch_scc1 .LBB92_149
; %bb.147:
	v_add3_u32 v199, v200, 0, 0x80
	v_mov_b32_e32 v198, 7
	s_mov_b32 s7, 8
	s_inst_prefetch 0x1
	.p2align	6
.LBB92_148:                             ; =>This Inner Loop Header: Depth=1
	s_waitcnt lgkmcnt(0)
	v_cmp_gt_f64_e32 vcc_lo, 0, v[192:193]
	v_cmp_gt_f64_e64 s0, 0, v[190:191]
	ds_read2_b64 v[205:208], v199 offset1:1
	v_xor_b32_e32 v210, 0x80000000, v191
	v_xor_b32_e32 v212, 0x80000000, v193
	v_mov_b32_e32 v209, v190
	v_mov_b32_e32 v211, v192
	v_add_nc_u32_e32 v199, 16, v199
	s_waitcnt lgkmcnt(0)
	v_xor_b32_e32 v214, 0x80000000, v208
	v_cndmask_b32_e64 v210, v191, v210, s0
	v_cndmask_b32_e32 v212, v193, v212, vcc_lo
	v_cmp_gt_f64_e32 vcc_lo, 0, v[207:208]
	v_cmp_gt_f64_e64 s0, 0, v[205:206]
	v_mov_b32_e32 v213, v207
	v_add_f64 v[209:210], v[209:210], v[211:212]
	v_xor_b32_e32 v212, 0x80000000, v206
	v_mov_b32_e32 v211, v205
	v_cndmask_b32_e32 v214, v208, v214, vcc_lo
	v_cndmask_b32_e64 v212, v206, v212, s0
	v_add_f64 v[211:212], v[211:212], v[213:214]
	v_cmp_lt_f64_e32 vcc_lo, v[209:210], v[211:212]
	v_cndmask_b32_e32 v191, v191, v206, vcc_lo
	v_cndmask_b32_e32 v190, v190, v205, vcc_lo
	;; [unrolled: 1-line block ×4, first 2 shown]
	v_cndmask_b32_e64 v198, v198, s7, vcc_lo
	s_add_i32 s7, s7, 1
	s_cmp_lg_u32 s1, s7
	s_cbranch_scc1 .LBB92_148
.LBB92_149:
	s_inst_prefetch 0x2
	s_waitcnt lgkmcnt(0)
	v_cmp_eq_f64_e32 vcc_lo, 0, v[190:191]
	v_cmp_eq_f64_e64 s0, 0, v[192:193]
	s_and_b32 s0, vcc_lo, s0
	s_and_saveexec_b32 s7, s0
	s_xor_b32 s0, exec_lo, s7
; %bb.150:
	v_cmp_ne_u32_e32 vcc_lo, 0, v203
	v_cndmask_b32_e32 v203, 8, v203, vcc_lo
; %bb.151:
	s_andn2_saveexec_b32 s0, s0
	s_cbranch_execz .LBB92_157
; %bb.152:
	v_cmp_ngt_f64_e64 s7, |v[190:191]|, |v[192:193]|
	s_and_saveexec_b32 s8, s7
	s_xor_b32 s7, exec_lo, s8
	s_cbranch_execz .LBB92_154
; %bb.153:
	v_div_scale_f64 v[205:206], null, v[192:193], v[192:193], v[190:191]
	v_div_scale_f64 v[211:212], vcc_lo, v[190:191], v[192:193], v[190:191]
	v_rcp_f64_e32 v[207:208], v[205:206]
	v_fma_f64 v[209:210], -v[205:206], v[207:208], 1.0
	v_fma_f64 v[207:208], v[207:208], v[209:210], v[207:208]
	v_fma_f64 v[209:210], -v[205:206], v[207:208], 1.0
	v_fma_f64 v[207:208], v[207:208], v[209:210], v[207:208]
	v_mul_f64 v[209:210], v[211:212], v[207:208]
	v_fma_f64 v[205:206], -v[205:206], v[209:210], v[211:212]
	v_div_fmas_f64 v[205:206], v[205:206], v[207:208], v[209:210]
	v_div_fixup_f64 v[205:206], v[205:206], v[192:193], v[190:191]
	v_fma_f64 v[190:191], v[190:191], v[205:206], v[192:193]
	v_div_scale_f64 v[192:193], null, v[190:191], v[190:191], 1.0
	v_rcp_f64_e32 v[207:208], v[192:193]
	v_fma_f64 v[209:210], -v[192:193], v[207:208], 1.0
	v_fma_f64 v[207:208], v[207:208], v[209:210], v[207:208]
	v_fma_f64 v[209:210], -v[192:193], v[207:208], 1.0
	v_fma_f64 v[207:208], v[207:208], v[209:210], v[207:208]
	v_div_scale_f64 v[209:210], vcc_lo, 1.0, v[190:191], 1.0
	v_mul_f64 v[211:212], v[209:210], v[207:208]
	v_fma_f64 v[192:193], -v[192:193], v[211:212], v[209:210]
	v_div_fmas_f64 v[192:193], v[192:193], v[207:208], v[211:212]
	v_div_fixup_f64 v[192:193], v[192:193], v[190:191], 1.0
	v_mul_f64 v[190:191], v[205:206], v[192:193]
	v_xor_b32_e32 v193, 0x80000000, v193
.LBB92_154:
	s_andn2_saveexec_b32 s7, s7
	s_cbranch_execz .LBB92_156
; %bb.155:
	v_div_scale_f64 v[205:206], null, v[190:191], v[190:191], v[192:193]
	v_div_scale_f64 v[211:212], vcc_lo, v[192:193], v[190:191], v[192:193]
	v_rcp_f64_e32 v[207:208], v[205:206]
	v_fma_f64 v[209:210], -v[205:206], v[207:208], 1.0
	v_fma_f64 v[207:208], v[207:208], v[209:210], v[207:208]
	v_fma_f64 v[209:210], -v[205:206], v[207:208], 1.0
	v_fma_f64 v[207:208], v[207:208], v[209:210], v[207:208]
	v_mul_f64 v[209:210], v[211:212], v[207:208]
	v_fma_f64 v[205:206], -v[205:206], v[209:210], v[211:212]
	v_div_fmas_f64 v[205:206], v[205:206], v[207:208], v[209:210]
	v_div_fixup_f64 v[205:206], v[205:206], v[190:191], v[192:193]
	v_fma_f64 v[190:191], v[192:193], v[205:206], v[190:191]
	v_div_scale_f64 v[192:193], null, v[190:191], v[190:191], 1.0
	v_rcp_f64_e32 v[207:208], v[192:193]
	v_fma_f64 v[209:210], -v[192:193], v[207:208], 1.0
	v_fma_f64 v[207:208], v[207:208], v[209:210], v[207:208]
	v_fma_f64 v[209:210], -v[192:193], v[207:208], 1.0
	v_fma_f64 v[207:208], v[207:208], v[209:210], v[207:208]
	v_div_scale_f64 v[209:210], vcc_lo, 1.0, v[190:191], 1.0
	v_mul_f64 v[211:212], v[209:210], v[207:208]
	v_fma_f64 v[192:193], -v[192:193], v[211:212], v[209:210]
	v_div_fmas_f64 v[192:193], v[192:193], v[207:208], v[211:212]
	v_div_fixup_f64 v[190:191], v[192:193], v[190:191], 1.0
	v_mul_f64 v[192:193], v[205:206], -v[190:191]
.LBB92_156:
	s_or_b32 exec_lo, exec_lo, s7
.LBB92_157:
	s_or_b32 exec_lo, exec_lo, s0
	s_mov_b32 s0, exec_lo
	v_cmpx_ne_u32_e64 v204, v198
	s_xor_b32 s0, exec_lo, s0
	s_cbranch_execz .LBB92_163
; %bb.158:
	s_mov_b32 s7, exec_lo
	v_cmpx_eq_u32_e32 7, v204
	s_cbranch_execz .LBB92_162
; %bb.159:
	v_cmp_ne_u32_e32 vcc_lo, 7, v198
	s_xor_b32 s8, s16, -1
	s_and_b32 s9, s8, vcc_lo
	s_and_saveexec_b32 s8, s9
	s_cbranch_execz .LBB92_161
; %bb.160:
	v_ashrrev_i32_e32 v199, 31, v198
	v_lshlrev_b64 v[204:205], 2, v[198:199]
	v_add_co_u32 v204, vcc_lo, v196, v204
	v_add_co_ci_u32_e64 v205, null, v197, v205, vcc_lo
	s_clause 0x1
	global_load_dword v0, v[204:205], off
	global_load_dword v199, v[196:197], off offset:28
	s_waitcnt vmcnt(1)
	global_store_dword v[196:197], v0, off offset:28
	s_waitcnt vmcnt(0)
	global_store_dword v[204:205], v199, off
.LBB92_161:
	s_or_b32 exec_lo, exec_lo, s8
	v_mov_b32_e32 v204, v198
	v_mov_b32_e32 v0, v198
.LBB92_162:
	s_or_b32 exec_lo, exec_lo, s7
.LBB92_163:
	s_andn2_saveexec_b32 s0, s0
	s_cbranch_execz .LBB92_165
; %bb.164:
	v_mov_b32_e32 v204, 7
	ds_write2_b64 v1, v[158:159], v[160:161] offset0:16 offset1:17
	ds_write2_b64 v1, v[154:155], v[156:157] offset0:18 offset1:19
	;; [unrolled: 1-line block ×39, first 2 shown]
.LBB92_165:
	s_or_b32 exec_lo, exec_lo, s0
	s_mov_b32 s0, exec_lo
	s_waitcnt lgkmcnt(0)
	s_waitcnt_vscnt null, 0x0
	s_barrier
	buffer_gl0_inv
	v_cmpx_lt_i32_e32 7, v204
	s_cbranch_execz .LBB92_167
; %bb.166:
	v_mul_f64 v[198:199], v[192:193], v[152:153]
	v_mul_f64 v[152:153], v[190:191], v[152:153]
	v_fma_f64 v[198:199], v[190:191], v[150:151], -v[198:199]
	v_fma_f64 v[152:153], v[192:193], v[150:151], v[152:153]
	ds_read2_b64 v[190:193], v1 offset0:16 offset1:17
	s_waitcnt lgkmcnt(0)
	v_mul_f64 v[150:151], v[192:193], v[152:153]
	v_fma_f64 v[150:151], v[190:191], v[198:199], -v[150:151]
	v_mul_f64 v[190:191], v[190:191], v[152:153]
	v_add_f64 v[158:159], v[158:159], -v[150:151]
	v_fma_f64 v[190:191], v[192:193], v[198:199], v[190:191]
	v_add_f64 v[160:161], v[160:161], -v[190:191]
	ds_read2_b64 v[190:193], v1 offset0:18 offset1:19
	s_waitcnt lgkmcnt(0)
	v_mul_f64 v[150:151], v[192:193], v[152:153]
	v_fma_f64 v[150:151], v[190:191], v[198:199], -v[150:151]
	v_mul_f64 v[190:191], v[190:191], v[152:153]
	v_add_f64 v[154:155], v[154:155], -v[150:151]
	v_fma_f64 v[190:191], v[192:193], v[198:199], v[190:191]
	v_add_f64 v[156:157], v[156:157], -v[190:191]
	;; [unrolled: 8-line block ×38, first 2 shown]
	ds_read2_b64 v[190:193], v1 offset0:92 offset1:93
	s_waitcnt lgkmcnt(0)
	v_mul_f64 v[150:151], v[192:193], v[152:153]
	v_fma_f64 v[150:151], v[190:191], v[198:199], -v[150:151]
	v_mul_f64 v[190:191], v[190:191], v[152:153]
	v_add_f64 v[2:3], v[2:3], -v[150:151]
	v_fma_f64 v[190:191], v[192:193], v[198:199], v[190:191]
	v_mov_b32_e32 v150, v198
	v_mov_b32_e32 v151, v199
	v_add_f64 v[4:5], v[4:5], -v[190:191]
.LBB92_167:
	s_or_b32 exec_lo, exec_lo, s0
	v_lshl_add_u32 v190, v204, 4, v1
	s_barrier
	buffer_gl0_inv
	v_mov_b32_e32 v198, 8
	ds_write2_b64 v190, v[158:159], v[160:161] offset1:1
	s_waitcnt lgkmcnt(0)
	s_barrier
	buffer_gl0_inv
	ds_read2_b64 v[190:193], v1 offset0:16 offset1:17
	s_cmp_lt_i32 s1, 10
	s_cbranch_scc1 .LBB92_170
; %bb.168:
	v_add3_u32 v199, v200, 0, 0x90
	v_mov_b32_e32 v198, 8
	s_mov_b32 s7, 9
	s_inst_prefetch 0x1
	.p2align	6
.LBB92_169:                             ; =>This Inner Loop Header: Depth=1
	s_waitcnt lgkmcnt(0)
	v_cmp_gt_f64_e32 vcc_lo, 0, v[192:193]
	v_cmp_gt_f64_e64 s0, 0, v[190:191]
	ds_read2_b64 v[205:208], v199 offset1:1
	v_xor_b32_e32 v210, 0x80000000, v191
	v_xor_b32_e32 v212, 0x80000000, v193
	v_mov_b32_e32 v209, v190
	v_mov_b32_e32 v211, v192
	v_add_nc_u32_e32 v199, 16, v199
	s_waitcnt lgkmcnt(0)
	v_xor_b32_e32 v214, 0x80000000, v208
	v_cndmask_b32_e64 v210, v191, v210, s0
	v_cndmask_b32_e32 v212, v193, v212, vcc_lo
	v_cmp_gt_f64_e32 vcc_lo, 0, v[207:208]
	v_cmp_gt_f64_e64 s0, 0, v[205:206]
	v_mov_b32_e32 v213, v207
	v_add_f64 v[209:210], v[209:210], v[211:212]
	v_xor_b32_e32 v212, 0x80000000, v206
	v_mov_b32_e32 v211, v205
	v_cndmask_b32_e32 v214, v208, v214, vcc_lo
	v_cndmask_b32_e64 v212, v206, v212, s0
	v_add_f64 v[211:212], v[211:212], v[213:214]
	v_cmp_lt_f64_e32 vcc_lo, v[209:210], v[211:212]
	v_cndmask_b32_e32 v191, v191, v206, vcc_lo
	v_cndmask_b32_e32 v190, v190, v205, vcc_lo
	;; [unrolled: 1-line block ×4, first 2 shown]
	v_cndmask_b32_e64 v198, v198, s7, vcc_lo
	s_add_i32 s7, s7, 1
	s_cmp_lg_u32 s1, s7
	s_cbranch_scc1 .LBB92_169
.LBB92_170:
	s_inst_prefetch 0x2
	s_waitcnt lgkmcnt(0)
	v_cmp_eq_f64_e32 vcc_lo, 0, v[190:191]
	v_cmp_eq_f64_e64 s0, 0, v[192:193]
	s_and_b32 s0, vcc_lo, s0
	s_and_saveexec_b32 s7, s0
	s_xor_b32 s0, exec_lo, s7
; %bb.171:
	v_cmp_ne_u32_e32 vcc_lo, 0, v203
	v_cndmask_b32_e32 v203, 9, v203, vcc_lo
; %bb.172:
	s_andn2_saveexec_b32 s0, s0
	s_cbranch_execz .LBB92_178
; %bb.173:
	v_cmp_ngt_f64_e64 s7, |v[190:191]|, |v[192:193]|
	s_and_saveexec_b32 s8, s7
	s_xor_b32 s7, exec_lo, s8
	s_cbranch_execz .LBB92_175
; %bb.174:
	v_div_scale_f64 v[205:206], null, v[192:193], v[192:193], v[190:191]
	v_div_scale_f64 v[211:212], vcc_lo, v[190:191], v[192:193], v[190:191]
	v_rcp_f64_e32 v[207:208], v[205:206]
	v_fma_f64 v[209:210], -v[205:206], v[207:208], 1.0
	v_fma_f64 v[207:208], v[207:208], v[209:210], v[207:208]
	v_fma_f64 v[209:210], -v[205:206], v[207:208], 1.0
	v_fma_f64 v[207:208], v[207:208], v[209:210], v[207:208]
	v_mul_f64 v[209:210], v[211:212], v[207:208]
	v_fma_f64 v[205:206], -v[205:206], v[209:210], v[211:212]
	v_div_fmas_f64 v[205:206], v[205:206], v[207:208], v[209:210]
	v_div_fixup_f64 v[205:206], v[205:206], v[192:193], v[190:191]
	v_fma_f64 v[190:191], v[190:191], v[205:206], v[192:193]
	v_div_scale_f64 v[192:193], null, v[190:191], v[190:191], 1.0
	v_rcp_f64_e32 v[207:208], v[192:193]
	v_fma_f64 v[209:210], -v[192:193], v[207:208], 1.0
	v_fma_f64 v[207:208], v[207:208], v[209:210], v[207:208]
	v_fma_f64 v[209:210], -v[192:193], v[207:208], 1.0
	v_fma_f64 v[207:208], v[207:208], v[209:210], v[207:208]
	v_div_scale_f64 v[209:210], vcc_lo, 1.0, v[190:191], 1.0
	v_mul_f64 v[211:212], v[209:210], v[207:208]
	v_fma_f64 v[192:193], -v[192:193], v[211:212], v[209:210]
	v_div_fmas_f64 v[192:193], v[192:193], v[207:208], v[211:212]
	v_div_fixup_f64 v[192:193], v[192:193], v[190:191], 1.0
	v_mul_f64 v[190:191], v[205:206], v[192:193]
	v_xor_b32_e32 v193, 0x80000000, v193
.LBB92_175:
	s_andn2_saveexec_b32 s7, s7
	s_cbranch_execz .LBB92_177
; %bb.176:
	v_div_scale_f64 v[205:206], null, v[190:191], v[190:191], v[192:193]
	v_div_scale_f64 v[211:212], vcc_lo, v[192:193], v[190:191], v[192:193]
	v_rcp_f64_e32 v[207:208], v[205:206]
	v_fma_f64 v[209:210], -v[205:206], v[207:208], 1.0
	v_fma_f64 v[207:208], v[207:208], v[209:210], v[207:208]
	v_fma_f64 v[209:210], -v[205:206], v[207:208], 1.0
	v_fma_f64 v[207:208], v[207:208], v[209:210], v[207:208]
	v_mul_f64 v[209:210], v[211:212], v[207:208]
	v_fma_f64 v[205:206], -v[205:206], v[209:210], v[211:212]
	v_div_fmas_f64 v[205:206], v[205:206], v[207:208], v[209:210]
	v_div_fixup_f64 v[205:206], v[205:206], v[190:191], v[192:193]
	v_fma_f64 v[190:191], v[192:193], v[205:206], v[190:191]
	v_div_scale_f64 v[192:193], null, v[190:191], v[190:191], 1.0
	v_rcp_f64_e32 v[207:208], v[192:193]
	v_fma_f64 v[209:210], -v[192:193], v[207:208], 1.0
	v_fma_f64 v[207:208], v[207:208], v[209:210], v[207:208]
	v_fma_f64 v[209:210], -v[192:193], v[207:208], 1.0
	v_fma_f64 v[207:208], v[207:208], v[209:210], v[207:208]
	v_div_scale_f64 v[209:210], vcc_lo, 1.0, v[190:191], 1.0
	v_mul_f64 v[211:212], v[209:210], v[207:208]
	v_fma_f64 v[192:193], -v[192:193], v[211:212], v[209:210]
	v_div_fmas_f64 v[192:193], v[192:193], v[207:208], v[211:212]
	v_div_fixup_f64 v[190:191], v[192:193], v[190:191], 1.0
	v_mul_f64 v[192:193], v[205:206], -v[190:191]
.LBB92_177:
	s_or_b32 exec_lo, exec_lo, s7
.LBB92_178:
	s_or_b32 exec_lo, exec_lo, s0
	s_mov_b32 s0, exec_lo
	v_cmpx_ne_u32_e64 v204, v198
	s_xor_b32 s0, exec_lo, s0
	s_cbranch_execz .LBB92_184
; %bb.179:
	s_mov_b32 s7, exec_lo
	v_cmpx_eq_u32_e32 8, v204
	s_cbranch_execz .LBB92_183
; %bb.180:
	v_cmp_ne_u32_e32 vcc_lo, 8, v198
	s_xor_b32 s8, s16, -1
	s_and_b32 s9, s8, vcc_lo
	s_and_saveexec_b32 s8, s9
	s_cbranch_execz .LBB92_182
; %bb.181:
	v_ashrrev_i32_e32 v199, 31, v198
	v_lshlrev_b64 v[204:205], 2, v[198:199]
	v_add_co_u32 v204, vcc_lo, v196, v204
	v_add_co_ci_u32_e64 v205, null, v197, v205, vcc_lo
	s_clause 0x1
	global_load_dword v0, v[204:205], off
	global_load_dword v199, v[196:197], off offset:32
	s_waitcnt vmcnt(1)
	global_store_dword v[196:197], v0, off offset:32
	s_waitcnt vmcnt(0)
	global_store_dword v[204:205], v199, off
.LBB92_182:
	s_or_b32 exec_lo, exec_lo, s8
	v_mov_b32_e32 v204, v198
	v_mov_b32_e32 v0, v198
.LBB92_183:
	s_or_b32 exec_lo, exec_lo, s7
.LBB92_184:
	s_andn2_saveexec_b32 s0, s0
	s_cbranch_execz .LBB92_186
; %bb.185:
	v_mov_b32_e32 v204, 8
	ds_write2_b64 v1, v[154:155], v[156:157] offset0:18 offset1:19
	ds_write2_b64 v1, v[146:147], v[148:149] offset0:20 offset1:21
	;; [unrolled: 1-line block ×38, first 2 shown]
.LBB92_186:
	s_or_b32 exec_lo, exec_lo, s0
	s_mov_b32 s0, exec_lo
	s_waitcnt lgkmcnt(0)
	s_waitcnt_vscnt null, 0x0
	s_barrier
	buffer_gl0_inv
	v_cmpx_lt_i32_e32 8, v204
	s_cbranch_execz .LBB92_188
; %bb.187:
	v_mul_f64 v[198:199], v[192:193], v[160:161]
	v_mul_f64 v[160:161], v[190:191], v[160:161]
	v_fma_f64 v[198:199], v[190:191], v[158:159], -v[198:199]
	v_fma_f64 v[160:161], v[192:193], v[158:159], v[160:161]
	ds_read2_b64 v[190:193], v1 offset0:18 offset1:19
	s_waitcnt lgkmcnt(0)
	v_mul_f64 v[158:159], v[192:193], v[160:161]
	v_fma_f64 v[158:159], v[190:191], v[198:199], -v[158:159]
	v_mul_f64 v[190:191], v[190:191], v[160:161]
	v_add_f64 v[154:155], v[154:155], -v[158:159]
	v_fma_f64 v[190:191], v[192:193], v[198:199], v[190:191]
	v_add_f64 v[156:157], v[156:157], -v[190:191]
	ds_read2_b64 v[190:193], v1 offset0:20 offset1:21
	s_waitcnt lgkmcnt(0)
	v_mul_f64 v[158:159], v[192:193], v[160:161]
	v_fma_f64 v[158:159], v[190:191], v[198:199], -v[158:159]
	v_mul_f64 v[190:191], v[190:191], v[160:161]
	v_add_f64 v[146:147], v[146:147], -v[158:159]
	v_fma_f64 v[190:191], v[192:193], v[198:199], v[190:191]
	v_add_f64 v[148:149], v[148:149], -v[190:191]
	;; [unrolled: 8-line block ×37, first 2 shown]
	ds_read2_b64 v[190:193], v1 offset0:92 offset1:93
	s_waitcnt lgkmcnt(0)
	v_mul_f64 v[158:159], v[192:193], v[160:161]
	v_fma_f64 v[158:159], v[190:191], v[198:199], -v[158:159]
	v_mul_f64 v[190:191], v[190:191], v[160:161]
	v_add_f64 v[2:3], v[2:3], -v[158:159]
	v_fma_f64 v[190:191], v[192:193], v[198:199], v[190:191]
	v_mov_b32_e32 v158, v198
	v_mov_b32_e32 v159, v199
	v_add_f64 v[4:5], v[4:5], -v[190:191]
.LBB92_188:
	s_or_b32 exec_lo, exec_lo, s0
	v_lshl_add_u32 v190, v204, 4, v1
	s_barrier
	buffer_gl0_inv
	v_mov_b32_e32 v198, 9
	ds_write2_b64 v190, v[154:155], v[156:157] offset1:1
	s_waitcnt lgkmcnt(0)
	s_barrier
	buffer_gl0_inv
	ds_read2_b64 v[190:193], v1 offset0:18 offset1:19
	s_cmp_lt_i32 s1, 11
	s_cbranch_scc1 .LBB92_191
; %bb.189:
	v_add3_u32 v199, v200, 0, 0xa0
	v_mov_b32_e32 v198, 9
	s_mov_b32 s7, 10
	s_inst_prefetch 0x1
	.p2align	6
.LBB92_190:                             ; =>This Inner Loop Header: Depth=1
	s_waitcnt lgkmcnt(0)
	v_cmp_gt_f64_e32 vcc_lo, 0, v[192:193]
	v_cmp_gt_f64_e64 s0, 0, v[190:191]
	ds_read2_b64 v[205:208], v199 offset1:1
	v_xor_b32_e32 v210, 0x80000000, v191
	v_xor_b32_e32 v212, 0x80000000, v193
	v_mov_b32_e32 v209, v190
	v_mov_b32_e32 v211, v192
	v_add_nc_u32_e32 v199, 16, v199
	s_waitcnt lgkmcnt(0)
	v_xor_b32_e32 v214, 0x80000000, v208
	v_cndmask_b32_e64 v210, v191, v210, s0
	v_cndmask_b32_e32 v212, v193, v212, vcc_lo
	v_cmp_gt_f64_e32 vcc_lo, 0, v[207:208]
	v_cmp_gt_f64_e64 s0, 0, v[205:206]
	v_mov_b32_e32 v213, v207
	v_add_f64 v[209:210], v[209:210], v[211:212]
	v_xor_b32_e32 v212, 0x80000000, v206
	v_mov_b32_e32 v211, v205
	v_cndmask_b32_e32 v214, v208, v214, vcc_lo
	v_cndmask_b32_e64 v212, v206, v212, s0
	v_add_f64 v[211:212], v[211:212], v[213:214]
	v_cmp_lt_f64_e32 vcc_lo, v[209:210], v[211:212]
	v_cndmask_b32_e32 v191, v191, v206, vcc_lo
	v_cndmask_b32_e32 v190, v190, v205, vcc_lo
	;; [unrolled: 1-line block ×4, first 2 shown]
	v_cndmask_b32_e64 v198, v198, s7, vcc_lo
	s_add_i32 s7, s7, 1
	s_cmp_lg_u32 s1, s7
	s_cbranch_scc1 .LBB92_190
.LBB92_191:
	s_inst_prefetch 0x2
	s_waitcnt lgkmcnt(0)
	v_cmp_eq_f64_e32 vcc_lo, 0, v[190:191]
	v_cmp_eq_f64_e64 s0, 0, v[192:193]
	s_and_b32 s0, vcc_lo, s0
	s_and_saveexec_b32 s7, s0
	s_xor_b32 s0, exec_lo, s7
; %bb.192:
	v_cmp_ne_u32_e32 vcc_lo, 0, v203
	v_cndmask_b32_e32 v203, 10, v203, vcc_lo
; %bb.193:
	s_andn2_saveexec_b32 s0, s0
	s_cbranch_execz .LBB92_199
; %bb.194:
	v_cmp_ngt_f64_e64 s7, |v[190:191]|, |v[192:193]|
	s_and_saveexec_b32 s8, s7
	s_xor_b32 s7, exec_lo, s8
	s_cbranch_execz .LBB92_196
; %bb.195:
	v_div_scale_f64 v[205:206], null, v[192:193], v[192:193], v[190:191]
	v_div_scale_f64 v[211:212], vcc_lo, v[190:191], v[192:193], v[190:191]
	v_rcp_f64_e32 v[207:208], v[205:206]
	v_fma_f64 v[209:210], -v[205:206], v[207:208], 1.0
	v_fma_f64 v[207:208], v[207:208], v[209:210], v[207:208]
	v_fma_f64 v[209:210], -v[205:206], v[207:208], 1.0
	v_fma_f64 v[207:208], v[207:208], v[209:210], v[207:208]
	v_mul_f64 v[209:210], v[211:212], v[207:208]
	v_fma_f64 v[205:206], -v[205:206], v[209:210], v[211:212]
	v_div_fmas_f64 v[205:206], v[205:206], v[207:208], v[209:210]
	v_div_fixup_f64 v[205:206], v[205:206], v[192:193], v[190:191]
	v_fma_f64 v[190:191], v[190:191], v[205:206], v[192:193]
	v_div_scale_f64 v[192:193], null, v[190:191], v[190:191], 1.0
	v_rcp_f64_e32 v[207:208], v[192:193]
	v_fma_f64 v[209:210], -v[192:193], v[207:208], 1.0
	v_fma_f64 v[207:208], v[207:208], v[209:210], v[207:208]
	v_fma_f64 v[209:210], -v[192:193], v[207:208], 1.0
	v_fma_f64 v[207:208], v[207:208], v[209:210], v[207:208]
	v_div_scale_f64 v[209:210], vcc_lo, 1.0, v[190:191], 1.0
	v_mul_f64 v[211:212], v[209:210], v[207:208]
	v_fma_f64 v[192:193], -v[192:193], v[211:212], v[209:210]
	v_div_fmas_f64 v[192:193], v[192:193], v[207:208], v[211:212]
	v_div_fixup_f64 v[192:193], v[192:193], v[190:191], 1.0
	v_mul_f64 v[190:191], v[205:206], v[192:193]
	v_xor_b32_e32 v193, 0x80000000, v193
.LBB92_196:
	s_andn2_saveexec_b32 s7, s7
	s_cbranch_execz .LBB92_198
; %bb.197:
	v_div_scale_f64 v[205:206], null, v[190:191], v[190:191], v[192:193]
	v_div_scale_f64 v[211:212], vcc_lo, v[192:193], v[190:191], v[192:193]
	v_rcp_f64_e32 v[207:208], v[205:206]
	v_fma_f64 v[209:210], -v[205:206], v[207:208], 1.0
	v_fma_f64 v[207:208], v[207:208], v[209:210], v[207:208]
	v_fma_f64 v[209:210], -v[205:206], v[207:208], 1.0
	v_fma_f64 v[207:208], v[207:208], v[209:210], v[207:208]
	v_mul_f64 v[209:210], v[211:212], v[207:208]
	v_fma_f64 v[205:206], -v[205:206], v[209:210], v[211:212]
	v_div_fmas_f64 v[205:206], v[205:206], v[207:208], v[209:210]
	v_div_fixup_f64 v[205:206], v[205:206], v[190:191], v[192:193]
	v_fma_f64 v[190:191], v[192:193], v[205:206], v[190:191]
	v_div_scale_f64 v[192:193], null, v[190:191], v[190:191], 1.0
	v_rcp_f64_e32 v[207:208], v[192:193]
	v_fma_f64 v[209:210], -v[192:193], v[207:208], 1.0
	v_fma_f64 v[207:208], v[207:208], v[209:210], v[207:208]
	v_fma_f64 v[209:210], -v[192:193], v[207:208], 1.0
	v_fma_f64 v[207:208], v[207:208], v[209:210], v[207:208]
	v_div_scale_f64 v[209:210], vcc_lo, 1.0, v[190:191], 1.0
	v_mul_f64 v[211:212], v[209:210], v[207:208]
	v_fma_f64 v[192:193], -v[192:193], v[211:212], v[209:210]
	v_div_fmas_f64 v[192:193], v[192:193], v[207:208], v[211:212]
	v_div_fixup_f64 v[190:191], v[192:193], v[190:191], 1.0
	v_mul_f64 v[192:193], v[205:206], -v[190:191]
.LBB92_198:
	s_or_b32 exec_lo, exec_lo, s7
.LBB92_199:
	s_or_b32 exec_lo, exec_lo, s0
	s_mov_b32 s0, exec_lo
	v_cmpx_ne_u32_e64 v204, v198
	s_xor_b32 s0, exec_lo, s0
	s_cbranch_execz .LBB92_205
; %bb.200:
	s_mov_b32 s7, exec_lo
	v_cmpx_eq_u32_e32 9, v204
	s_cbranch_execz .LBB92_204
; %bb.201:
	v_cmp_ne_u32_e32 vcc_lo, 9, v198
	s_xor_b32 s8, s16, -1
	s_and_b32 s9, s8, vcc_lo
	s_and_saveexec_b32 s8, s9
	s_cbranch_execz .LBB92_203
; %bb.202:
	v_ashrrev_i32_e32 v199, 31, v198
	v_lshlrev_b64 v[204:205], 2, v[198:199]
	v_add_co_u32 v204, vcc_lo, v196, v204
	v_add_co_ci_u32_e64 v205, null, v197, v205, vcc_lo
	s_clause 0x1
	global_load_dword v0, v[204:205], off
	global_load_dword v199, v[196:197], off offset:36
	s_waitcnt vmcnt(1)
	global_store_dword v[196:197], v0, off offset:36
	s_waitcnt vmcnt(0)
	global_store_dword v[204:205], v199, off
.LBB92_203:
	s_or_b32 exec_lo, exec_lo, s8
	v_mov_b32_e32 v204, v198
	v_mov_b32_e32 v0, v198
.LBB92_204:
	s_or_b32 exec_lo, exec_lo, s7
.LBB92_205:
	s_andn2_saveexec_b32 s0, s0
	s_cbranch_execz .LBB92_207
; %bb.206:
	v_mov_b32_e32 v204, 9
	ds_write2_b64 v1, v[146:147], v[148:149] offset0:20 offset1:21
	ds_write2_b64 v1, v[142:143], v[144:145] offset0:22 offset1:23
	;; [unrolled: 1-line block ×37, first 2 shown]
.LBB92_207:
	s_or_b32 exec_lo, exec_lo, s0
	s_mov_b32 s0, exec_lo
	s_waitcnt lgkmcnt(0)
	s_waitcnt_vscnt null, 0x0
	s_barrier
	buffer_gl0_inv
	v_cmpx_lt_i32_e32 9, v204
	s_cbranch_execz .LBB92_209
; %bb.208:
	v_mul_f64 v[198:199], v[192:193], v[156:157]
	v_mul_f64 v[156:157], v[190:191], v[156:157]
	v_fma_f64 v[198:199], v[190:191], v[154:155], -v[198:199]
	v_fma_f64 v[156:157], v[192:193], v[154:155], v[156:157]
	ds_read2_b64 v[190:193], v1 offset0:20 offset1:21
	s_waitcnt lgkmcnt(0)
	v_mul_f64 v[154:155], v[192:193], v[156:157]
	v_fma_f64 v[154:155], v[190:191], v[198:199], -v[154:155]
	v_mul_f64 v[190:191], v[190:191], v[156:157]
	v_add_f64 v[146:147], v[146:147], -v[154:155]
	v_fma_f64 v[190:191], v[192:193], v[198:199], v[190:191]
	v_add_f64 v[148:149], v[148:149], -v[190:191]
	ds_read2_b64 v[190:193], v1 offset0:22 offset1:23
	s_waitcnt lgkmcnt(0)
	v_mul_f64 v[154:155], v[192:193], v[156:157]
	v_fma_f64 v[154:155], v[190:191], v[198:199], -v[154:155]
	v_mul_f64 v[190:191], v[190:191], v[156:157]
	v_add_f64 v[142:143], v[142:143], -v[154:155]
	v_fma_f64 v[190:191], v[192:193], v[198:199], v[190:191]
	v_add_f64 v[144:145], v[144:145], -v[190:191]
	;; [unrolled: 8-line block ×36, first 2 shown]
	ds_read2_b64 v[190:193], v1 offset0:92 offset1:93
	s_waitcnt lgkmcnt(0)
	v_mul_f64 v[154:155], v[192:193], v[156:157]
	v_fma_f64 v[154:155], v[190:191], v[198:199], -v[154:155]
	v_mul_f64 v[190:191], v[190:191], v[156:157]
	v_add_f64 v[2:3], v[2:3], -v[154:155]
	v_fma_f64 v[190:191], v[192:193], v[198:199], v[190:191]
	v_mov_b32_e32 v154, v198
	v_mov_b32_e32 v155, v199
	v_add_f64 v[4:5], v[4:5], -v[190:191]
.LBB92_209:
	s_or_b32 exec_lo, exec_lo, s0
	v_lshl_add_u32 v190, v204, 4, v1
	s_barrier
	buffer_gl0_inv
	v_mov_b32_e32 v198, 10
	ds_write2_b64 v190, v[146:147], v[148:149] offset1:1
	s_waitcnt lgkmcnt(0)
	s_barrier
	buffer_gl0_inv
	ds_read2_b64 v[190:193], v1 offset0:20 offset1:21
	s_cmp_lt_i32 s1, 12
	s_cbranch_scc1 .LBB92_212
; %bb.210:
	v_add3_u32 v199, v200, 0, 0xb0
	v_mov_b32_e32 v198, 10
	s_mov_b32 s7, 11
	s_inst_prefetch 0x1
	.p2align	6
.LBB92_211:                             ; =>This Inner Loop Header: Depth=1
	s_waitcnt lgkmcnt(0)
	v_cmp_gt_f64_e32 vcc_lo, 0, v[192:193]
	v_cmp_gt_f64_e64 s0, 0, v[190:191]
	ds_read2_b64 v[205:208], v199 offset1:1
	v_xor_b32_e32 v210, 0x80000000, v191
	v_xor_b32_e32 v212, 0x80000000, v193
	v_mov_b32_e32 v209, v190
	v_mov_b32_e32 v211, v192
	v_add_nc_u32_e32 v199, 16, v199
	s_waitcnt lgkmcnt(0)
	v_xor_b32_e32 v214, 0x80000000, v208
	v_cndmask_b32_e64 v210, v191, v210, s0
	v_cndmask_b32_e32 v212, v193, v212, vcc_lo
	v_cmp_gt_f64_e32 vcc_lo, 0, v[207:208]
	v_cmp_gt_f64_e64 s0, 0, v[205:206]
	v_mov_b32_e32 v213, v207
	v_add_f64 v[209:210], v[209:210], v[211:212]
	v_xor_b32_e32 v212, 0x80000000, v206
	v_mov_b32_e32 v211, v205
	v_cndmask_b32_e32 v214, v208, v214, vcc_lo
	v_cndmask_b32_e64 v212, v206, v212, s0
	v_add_f64 v[211:212], v[211:212], v[213:214]
	v_cmp_lt_f64_e32 vcc_lo, v[209:210], v[211:212]
	v_cndmask_b32_e32 v191, v191, v206, vcc_lo
	v_cndmask_b32_e32 v190, v190, v205, vcc_lo
	;; [unrolled: 1-line block ×4, first 2 shown]
	v_cndmask_b32_e64 v198, v198, s7, vcc_lo
	s_add_i32 s7, s7, 1
	s_cmp_lg_u32 s1, s7
	s_cbranch_scc1 .LBB92_211
.LBB92_212:
	s_inst_prefetch 0x2
	s_waitcnt lgkmcnt(0)
	v_cmp_eq_f64_e32 vcc_lo, 0, v[190:191]
	v_cmp_eq_f64_e64 s0, 0, v[192:193]
	s_and_b32 s0, vcc_lo, s0
	s_and_saveexec_b32 s7, s0
	s_xor_b32 s0, exec_lo, s7
; %bb.213:
	v_cmp_ne_u32_e32 vcc_lo, 0, v203
	v_cndmask_b32_e32 v203, 11, v203, vcc_lo
; %bb.214:
	s_andn2_saveexec_b32 s0, s0
	s_cbranch_execz .LBB92_220
; %bb.215:
	v_cmp_ngt_f64_e64 s7, |v[190:191]|, |v[192:193]|
	s_and_saveexec_b32 s8, s7
	s_xor_b32 s7, exec_lo, s8
	s_cbranch_execz .LBB92_217
; %bb.216:
	v_div_scale_f64 v[205:206], null, v[192:193], v[192:193], v[190:191]
	v_div_scale_f64 v[211:212], vcc_lo, v[190:191], v[192:193], v[190:191]
	v_rcp_f64_e32 v[207:208], v[205:206]
	v_fma_f64 v[209:210], -v[205:206], v[207:208], 1.0
	v_fma_f64 v[207:208], v[207:208], v[209:210], v[207:208]
	v_fma_f64 v[209:210], -v[205:206], v[207:208], 1.0
	v_fma_f64 v[207:208], v[207:208], v[209:210], v[207:208]
	v_mul_f64 v[209:210], v[211:212], v[207:208]
	v_fma_f64 v[205:206], -v[205:206], v[209:210], v[211:212]
	v_div_fmas_f64 v[205:206], v[205:206], v[207:208], v[209:210]
	v_div_fixup_f64 v[205:206], v[205:206], v[192:193], v[190:191]
	v_fma_f64 v[190:191], v[190:191], v[205:206], v[192:193]
	v_div_scale_f64 v[192:193], null, v[190:191], v[190:191], 1.0
	v_rcp_f64_e32 v[207:208], v[192:193]
	v_fma_f64 v[209:210], -v[192:193], v[207:208], 1.0
	v_fma_f64 v[207:208], v[207:208], v[209:210], v[207:208]
	v_fma_f64 v[209:210], -v[192:193], v[207:208], 1.0
	v_fma_f64 v[207:208], v[207:208], v[209:210], v[207:208]
	v_div_scale_f64 v[209:210], vcc_lo, 1.0, v[190:191], 1.0
	v_mul_f64 v[211:212], v[209:210], v[207:208]
	v_fma_f64 v[192:193], -v[192:193], v[211:212], v[209:210]
	v_div_fmas_f64 v[192:193], v[192:193], v[207:208], v[211:212]
	v_div_fixup_f64 v[192:193], v[192:193], v[190:191], 1.0
	v_mul_f64 v[190:191], v[205:206], v[192:193]
	v_xor_b32_e32 v193, 0x80000000, v193
.LBB92_217:
	s_andn2_saveexec_b32 s7, s7
	s_cbranch_execz .LBB92_219
; %bb.218:
	v_div_scale_f64 v[205:206], null, v[190:191], v[190:191], v[192:193]
	v_div_scale_f64 v[211:212], vcc_lo, v[192:193], v[190:191], v[192:193]
	v_rcp_f64_e32 v[207:208], v[205:206]
	v_fma_f64 v[209:210], -v[205:206], v[207:208], 1.0
	v_fma_f64 v[207:208], v[207:208], v[209:210], v[207:208]
	v_fma_f64 v[209:210], -v[205:206], v[207:208], 1.0
	v_fma_f64 v[207:208], v[207:208], v[209:210], v[207:208]
	v_mul_f64 v[209:210], v[211:212], v[207:208]
	v_fma_f64 v[205:206], -v[205:206], v[209:210], v[211:212]
	v_div_fmas_f64 v[205:206], v[205:206], v[207:208], v[209:210]
	v_div_fixup_f64 v[205:206], v[205:206], v[190:191], v[192:193]
	v_fma_f64 v[190:191], v[192:193], v[205:206], v[190:191]
	v_div_scale_f64 v[192:193], null, v[190:191], v[190:191], 1.0
	v_rcp_f64_e32 v[207:208], v[192:193]
	v_fma_f64 v[209:210], -v[192:193], v[207:208], 1.0
	v_fma_f64 v[207:208], v[207:208], v[209:210], v[207:208]
	v_fma_f64 v[209:210], -v[192:193], v[207:208], 1.0
	v_fma_f64 v[207:208], v[207:208], v[209:210], v[207:208]
	v_div_scale_f64 v[209:210], vcc_lo, 1.0, v[190:191], 1.0
	v_mul_f64 v[211:212], v[209:210], v[207:208]
	v_fma_f64 v[192:193], -v[192:193], v[211:212], v[209:210]
	v_div_fmas_f64 v[192:193], v[192:193], v[207:208], v[211:212]
	v_div_fixup_f64 v[190:191], v[192:193], v[190:191], 1.0
	v_mul_f64 v[192:193], v[205:206], -v[190:191]
.LBB92_219:
	s_or_b32 exec_lo, exec_lo, s7
.LBB92_220:
	s_or_b32 exec_lo, exec_lo, s0
	s_mov_b32 s0, exec_lo
	v_cmpx_ne_u32_e64 v204, v198
	s_xor_b32 s0, exec_lo, s0
	s_cbranch_execz .LBB92_226
; %bb.221:
	s_mov_b32 s7, exec_lo
	v_cmpx_eq_u32_e32 10, v204
	s_cbranch_execz .LBB92_225
; %bb.222:
	v_cmp_ne_u32_e32 vcc_lo, 10, v198
	s_xor_b32 s8, s16, -1
	s_and_b32 s9, s8, vcc_lo
	s_and_saveexec_b32 s8, s9
	s_cbranch_execz .LBB92_224
; %bb.223:
	v_ashrrev_i32_e32 v199, 31, v198
	v_lshlrev_b64 v[204:205], 2, v[198:199]
	v_add_co_u32 v204, vcc_lo, v196, v204
	v_add_co_ci_u32_e64 v205, null, v197, v205, vcc_lo
	s_clause 0x1
	global_load_dword v0, v[204:205], off
	global_load_dword v199, v[196:197], off offset:40
	s_waitcnt vmcnt(1)
	global_store_dword v[196:197], v0, off offset:40
	s_waitcnt vmcnt(0)
	global_store_dword v[204:205], v199, off
.LBB92_224:
	s_or_b32 exec_lo, exec_lo, s8
	v_mov_b32_e32 v204, v198
	v_mov_b32_e32 v0, v198
.LBB92_225:
	s_or_b32 exec_lo, exec_lo, s7
.LBB92_226:
	s_andn2_saveexec_b32 s0, s0
	s_cbranch_execz .LBB92_228
; %bb.227:
	v_mov_b32_e32 v204, 10
	ds_write2_b64 v1, v[142:143], v[144:145] offset0:22 offset1:23
	ds_write2_b64 v1, v[134:135], v[136:137] offset0:24 offset1:25
	;; [unrolled: 1-line block ×36, first 2 shown]
.LBB92_228:
	s_or_b32 exec_lo, exec_lo, s0
	s_mov_b32 s0, exec_lo
	s_waitcnt lgkmcnt(0)
	s_waitcnt_vscnt null, 0x0
	s_barrier
	buffer_gl0_inv
	v_cmpx_lt_i32_e32 10, v204
	s_cbranch_execz .LBB92_230
; %bb.229:
	v_mul_f64 v[198:199], v[192:193], v[148:149]
	v_mul_f64 v[148:149], v[190:191], v[148:149]
	v_fma_f64 v[198:199], v[190:191], v[146:147], -v[198:199]
	v_fma_f64 v[148:149], v[192:193], v[146:147], v[148:149]
	ds_read2_b64 v[190:193], v1 offset0:22 offset1:23
	s_waitcnt lgkmcnt(0)
	v_mul_f64 v[146:147], v[192:193], v[148:149]
	v_fma_f64 v[146:147], v[190:191], v[198:199], -v[146:147]
	v_mul_f64 v[190:191], v[190:191], v[148:149]
	v_add_f64 v[142:143], v[142:143], -v[146:147]
	v_fma_f64 v[190:191], v[192:193], v[198:199], v[190:191]
	v_add_f64 v[144:145], v[144:145], -v[190:191]
	ds_read2_b64 v[190:193], v1 offset0:24 offset1:25
	s_waitcnt lgkmcnt(0)
	v_mul_f64 v[146:147], v[192:193], v[148:149]
	v_fma_f64 v[146:147], v[190:191], v[198:199], -v[146:147]
	v_mul_f64 v[190:191], v[190:191], v[148:149]
	v_add_f64 v[134:135], v[134:135], -v[146:147]
	v_fma_f64 v[190:191], v[192:193], v[198:199], v[190:191]
	v_add_f64 v[136:137], v[136:137], -v[190:191]
	ds_read2_b64 v[190:193], v1 offset0:26 offset1:27
	s_waitcnt lgkmcnt(0)
	v_mul_f64 v[146:147], v[192:193], v[148:149]
	v_fma_f64 v[146:147], v[190:191], v[198:199], -v[146:147]
	v_mul_f64 v[190:191], v[190:191], v[148:149]
	v_add_f64 v[130:131], v[130:131], -v[146:147]
	v_fma_f64 v[190:191], v[192:193], v[198:199], v[190:191]
	v_add_f64 v[132:133], v[132:133], -v[190:191]
	ds_read2_b64 v[190:193], v1 offset0:28 offset1:29
	s_waitcnt lgkmcnt(0)
	v_mul_f64 v[146:147], v[192:193], v[148:149]
	v_fma_f64 v[146:147], v[190:191], v[198:199], -v[146:147]
	v_mul_f64 v[190:191], v[190:191], v[148:149]
	v_add_f64 v[138:139], v[138:139], -v[146:147]
	v_fma_f64 v[190:191], v[192:193], v[198:199], v[190:191]
	v_add_f64 v[140:141], v[140:141], -v[190:191]
	ds_read2_b64 v[190:193], v1 offset0:30 offset1:31
	s_waitcnt lgkmcnt(0)
	v_mul_f64 v[146:147], v[192:193], v[148:149]
	v_fma_f64 v[146:147], v[190:191], v[198:199], -v[146:147]
	v_mul_f64 v[190:191], v[190:191], v[148:149]
	v_add_f64 v[122:123], v[122:123], -v[146:147]
	v_fma_f64 v[190:191], v[192:193], v[198:199], v[190:191]
	v_add_f64 v[124:125], v[124:125], -v[190:191]
	ds_read2_b64 v[190:193], v1 offset0:32 offset1:33
	s_waitcnt lgkmcnt(0)
	v_mul_f64 v[146:147], v[192:193], v[148:149]
	v_fma_f64 v[146:147], v[190:191], v[198:199], -v[146:147]
	v_mul_f64 v[190:191], v[190:191], v[148:149]
	v_add_f64 v[126:127], v[126:127], -v[146:147]
	v_fma_f64 v[190:191], v[192:193], v[198:199], v[190:191]
	v_add_f64 v[128:129], v[128:129], -v[190:191]
	ds_read2_b64 v[190:193], v1 offset0:34 offset1:35
	s_waitcnt lgkmcnt(0)
	v_mul_f64 v[146:147], v[192:193], v[148:149]
	v_fma_f64 v[146:147], v[190:191], v[198:199], -v[146:147]
	v_mul_f64 v[190:191], v[190:191], v[148:149]
	v_add_f64 v[106:107], v[106:107], -v[146:147]
	v_fma_f64 v[190:191], v[192:193], v[198:199], v[190:191]
	v_add_f64 v[108:109], v[108:109], -v[190:191]
	ds_read2_b64 v[190:193], v1 offset0:36 offset1:37
	s_waitcnt lgkmcnt(0)
	v_mul_f64 v[146:147], v[192:193], v[148:149]
	v_fma_f64 v[146:147], v[190:191], v[198:199], -v[146:147]
	v_mul_f64 v[190:191], v[190:191], v[148:149]
	v_add_f64 v[118:119], v[118:119], -v[146:147]
	v_fma_f64 v[190:191], v[192:193], v[198:199], v[190:191]
	v_add_f64 v[120:121], v[120:121], -v[190:191]
	ds_read2_b64 v[190:193], v1 offset0:38 offset1:39
	s_waitcnt lgkmcnt(0)
	v_mul_f64 v[146:147], v[192:193], v[148:149]
	v_fma_f64 v[146:147], v[190:191], v[198:199], -v[146:147]
	v_mul_f64 v[190:191], v[190:191], v[148:149]
	v_add_f64 v[114:115], v[114:115], -v[146:147]
	v_fma_f64 v[190:191], v[192:193], v[198:199], v[190:191]
	v_add_f64 v[116:117], v[116:117], -v[190:191]
	ds_read2_b64 v[190:193], v1 offset0:40 offset1:41
	s_waitcnt lgkmcnt(0)
	v_mul_f64 v[146:147], v[192:193], v[148:149]
	v_fma_f64 v[146:147], v[190:191], v[198:199], -v[146:147]
	v_mul_f64 v[190:191], v[190:191], v[148:149]
	v_add_f64 v[102:103], v[102:103], -v[146:147]
	v_fma_f64 v[190:191], v[192:193], v[198:199], v[190:191]
	v_add_f64 v[104:105], v[104:105], -v[190:191]
	ds_read2_b64 v[190:193], v1 offset0:42 offset1:43
	s_waitcnt lgkmcnt(0)
	v_mul_f64 v[146:147], v[192:193], v[148:149]
	v_fma_f64 v[146:147], v[190:191], v[198:199], -v[146:147]
	v_mul_f64 v[190:191], v[190:191], v[148:149]
	v_add_f64 v[98:99], v[98:99], -v[146:147]
	v_fma_f64 v[190:191], v[192:193], v[198:199], v[190:191]
	v_add_f64 v[100:101], v[100:101], -v[190:191]
	ds_read2_b64 v[190:193], v1 offset0:44 offset1:45
	s_waitcnt lgkmcnt(0)
	v_mul_f64 v[146:147], v[192:193], v[148:149]
	v_fma_f64 v[146:147], v[190:191], v[198:199], -v[146:147]
	v_mul_f64 v[190:191], v[190:191], v[148:149]
	v_add_f64 v[78:79], v[78:79], -v[146:147]
	v_fma_f64 v[190:191], v[192:193], v[198:199], v[190:191]
	v_add_f64 v[80:81], v[80:81], -v[190:191]
	ds_read2_b64 v[190:193], v1 offset0:46 offset1:47
	s_waitcnt lgkmcnt(0)
	v_mul_f64 v[146:147], v[192:193], v[148:149]
	v_fma_f64 v[146:147], v[190:191], v[198:199], -v[146:147]
	v_mul_f64 v[190:191], v[190:191], v[148:149]
	v_add_f64 v[74:75], v[74:75], -v[146:147]
	v_fma_f64 v[190:191], v[192:193], v[198:199], v[190:191]
	v_add_f64 v[76:77], v[76:77], -v[190:191]
	ds_read2_b64 v[190:193], v1 offset0:48 offset1:49
	s_waitcnt lgkmcnt(0)
	v_mul_f64 v[146:147], v[192:193], v[148:149]
	v_fma_f64 v[146:147], v[190:191], v[198:199], -v[146:147]
	v_mul_f64 v[190:191], v[190:191], v[148:149]
	v_add_f64 v[82:83], v[82:83], -v[146:147]
	v_fma_f64 v[190:191], v[192:193], v[198:199], v[190:191]
	v_add_f64 v[84:85], v[84:85], -v[190:191]
	ds_read2_b64 v[190:193], v1 offset0:50 offset1:51
	s_waitcnt lgkmcnt(0)
	v_mul_f64 v[146:147], v[192:193], v[148:149]
	v_fma_f64 v[146:147], v[190:191], v[198:199], -v[146:147]
	v_mul_f64 v[190:191], v[190:191], v[148:149]
	v_add_f64 v[62:63], v[62:63], -v[146:147]
	v_fma_f64 v[190:191], v[192:193], v[198:199], v[190:191]
	v_add_f64 v[64:65], v[64:65], -v[190:191]
	ds_read2_b64 v[190:193], v1 offset0:52 offset1:53
	s_waitcnt lgkmcnt(0)
	v_mul_f64 v[146:147], v[192:193], v[148:149]
	v_fma_f64 v[146:147], v[190:191], v[198:199], -v[146:147]
	v_mul_f64 v[190:191], v[190:191], v[148:149]
	v_add_f64 v[110:111], v[110:111], -v[146:147]
	v_fma_f64 v[190:191], v[192:193], v[198:199], v[190:191]
	v_add_f64 v[112:113], v[112:113], -v[190:191]
	ds_read2_b64 v[190:193], v1 offset0:54 offset1:55
	s_waitcnt lgkmcnt(0)
	v_mul_f64 v[146:147], v[192:193], v[148:149]
	v_fma_f64 v[146:147], v[190:191], v[198:199], -v[146:147]
	v_mul_f64 v[190:191], v[190:191], v[148:149]
	v_add_f64 v[94:95], v[94:95], -v[146:147]
	v_fma_f64 v[190:191], v[192:193], v[198:199], v[190:191]
	v_add_f64 v[96:97], v[96:97], -v[190:191]
	ds_read2_b64 v[190:193], v1 offset0:56 offset1:57
	s_waitcnt lgkmcnt(0)
	v_mul_f64 v[146:147], v[192:193], v[148:149]
	v_fma_f64 v[146:147], v[190:191], v[198:199], -v[146:147]
	v_mul_f64 v[190:191], v[190:191], v[148:149]
	v_add_f64 v[90:91], v[90:91], -v[146:147]
	v_fma_f64 v[190:191], v[192:193], v[198:199], v[190:191]
	v_add_f64 v[92:93], v[92:93], -v[190:191]
	ds_read2_b64 v[190:193], v1 offset0:58 offset1:59
	s_waitcnt lgkmcnt(0)
	v_mul_f64 v[146:147], v[192:193], v[148:149]
	v_fma_f64 v[146:147], v[190:191], v[198:199], -v[146:147]
	v_mul_f64 v[190:191], v[190:191], v[148:149]
	v_add_f64 v[86:87], v[86:87], -v[146:147]
	v_fma_f64 v[190:191], v[192:193], v[198:199], v[190:191]
	v_add_f64 v[88:89], v[88:89], -v[190:191]
	ds_read2_b64 v[190:193], v1 offset0:60 offset1:61
	s_waitcnt lgkmcnt(0)
	v_mul_f64 v[146:147], v[192:193], v[148:149]
	v_fma_f64 v[146:147], v[190:191], v[198:199], -v[146:147]
	v_mul_f64 v[190:191], v[190:191], v[148:149]
	v_add_f64 v[70:71], v[70:71], -v[146:147]
	v_fma_f64 v[190:191], v[192:193], v[198:199], v[190:191]
	v_add_f64 v[72:73], v[72:73], -v[190:191]
	ds_read2_b64 v[190:193], v1 offset0:62 offset1:63
	s_waitcnt lgkmcnt(0)
	v_mul_f64 v[146:147], v[192:193], v[148:149]
	v_fma_f64 v[146:147], v[190:191], v[198:199], -v[146:147]
	v_mul_f64 v[190:191], v[190:191], v[148:149]
	v_add_f64 v[66:67], v[66:67], -v[146:147]
	v_fma_f64 v[190:191], v[192:193], v[198:199], v[190:191]
	v_add_f64 v[68:69], v[68:69], -v[190:191]
	ds_read2_b64 v[190:193], v1 offset0:64 offset1:65
	s_waitcnt lgkmcnt(0)
	v_mul_f64 v[146:147], v[192:193], v[148:149]
	v_fma_f64 v[146:147], v[190:191], v[198:199], -v[146:147]
	v_mul_f64 v[190:191], v[190:191], v[148:149]
	v_add_f64 v[58:59], v[58:59], -v[146:147]
	v_fma_f64 v[190:191], v[192:193], v[198:199], v[190:191]
	v_add_f64 v[60:61], v[60:61], -v[190:191]
	ds_read2_b64 v[190:193], v1 offset0:66 offset1:67
	s_waitcnt lgkmcnt(0)
	v_mul_f64 v[146:147], v[192:193], v[148:149]
	v_fma_f64 v[146:147], v[190:191], v[198:199], -v[146:147]
	v_mul_f64 v[190:191], v[190:191], v[148:149]
	v_add_f64 v[54:55], v[54:55], -v[146:147]
	v_fma_f64 v[190:191], v[192:193], v[198:199], v[190:191]
	v_add_f64 v[56:57], v[56:57], -v[190:191]
	ds_read2_b64 v[190:193], v1 offset0:68 offset1:69
	s_waitcnt lgkmcnt(0)
	v_mul_f64 v[146:147], v[192:193], v[148:149]
	v_fma_f64 v[146:147], v[190:191], v[198:199], -v[146:147]
	v_mul_f64 v[190:191], v[190:191], v[148:149]
	v_add_f64 v[50:51], v[50:51], -v[146:147]
	v_fma_f64 v[190:191], v[192:193], v[198:199], v[190:191]
	v_add_f64 v[52:53], v[52:53], -v[190:191]
	ds_read2_b64 v[190:193], v1 offset0:70 offset1:71
	s_waitcnt lgkmcnt(0)
	v_mul_f64 v[146:147], v[192:193], v[148:149]
	v_fma_f64 v[146:147], v[190:191], v[198:199], -v[146:147]
	v_mul_f64 v[190:191], v[190:191], v[148:149]
	v_add_f64 v[46:47], v[46:47], -v[146:147]
	v_fma_f64 v[190:191], v[192:193], v[198:199], v[190:191]
	v_add_f64 v[48:49], v[48:49], -v[190:191]
	ds_read2_b64 v[190:193], v1 offset0:72 offset1:73
	s_waitcnt lgkmcnt(0)
	v_mul_f64 v[146:147], v[192:193], v[148:149]
	v_fma_f64 v[146:147], v[190:191], v[198:199], -v[146:147]
	v_mul_f64 v[190:191], v[190:191], v[148:149]
	v_add_f64 v[42:43], v[42:43], -v[146:147]
	v_fma_f64 v[190:191], v[192:193], v[198:199], v[190:191]
	v_add_f64 v[44:45], v[44:45], -v[190:191]
	ds_read2_b64 v[190:193], v1 offset0:74 offset1:75
	s_waitcnt lgkmcnt(0)
	v_mul_f64 v[146:147], v[192:193], v[148:149]
	v_fma_f64 v[146:147], v[190:191], v[198:199], -v[146:147]
	v_mul_f64 v[190:191], v[190:191], v[148:149]
	v_add_f64 v[38:39], v[38:39], -v[146:147]
	v_fma_f64 v[190:191], v[192:193], v[198:199], v[190:191]
	v_add_f64 v[40:41], v[40:41], -v[190:191]
	ds_read2_b64 v[190:193], v1 offset0:76 offset1:77
	s_waitcnt lgkmcnt(0)
	v_mul_f64 v[146:147], v[192:193], v[148:149]
	v_fma_f64 v[146:147], v[190:191], v[198:199], -v[146:147]
	v_mul_f64 v[190:191], v[190:191], v[148:149]
	v_add_f64 v[34:35], v[34:35], -v[146:147]
	v_fma_f64 v[190:191], v[192:193], v[198:199], v[190:191]
	v_add_f64 v[36:37], v[36:37], -v[190:191]
	ds_read2_b64 v[190:193], v1 offset0:78 offset1:79
	s_waitcnt lgkmcnt(0)
	v_mul_f64 v[146:147], v[192:193], v[148:149]
	v_fma_f64 v[146:147], v[190:191], v[198:199], -v[146:147]
	v_mul_f64 v[190:191], v[190:191], v[148:149]
	v_add_f64 v[30:31], v[30:31], -v[146:147]
	v_fma_f64 v[190:191], v[192:193], v[198:199], v[190:191]
	v_add_f64 v[32:33], v[32:33], -v[190:191]
	ds_read2_b64 v[190:193], v1 offset0:80 offset1:81
	s_waitcnt lgkmcnt(0)
	v_mul_f64 v[146:147], v[192:193], v[148:149]
	v_fma_f64 v[146:147], v[190:191], v[198:199], -v[146:147]
	v_mul_f64 v[190:191], v[190:191], v[148:149]
	v_add_f64 v[26:27], v[26:27], -v[146:147]
	v_fma_f64 v[190:191], v[192:193], v[198:199], v[190:191]
	v_add_f64 v[28:29], v[28:29], -v[190:191]
	ds_read2_b64 v[190:193], v1 offset0:82 offset1:83
	s_waitcnt lgkmcnt(0)
	v_mul_f64 v[146:147], v[192:193], v[148:149]
	v_fma_f64 v[146:147], v[190:191], v[198:199], -v[146:147]
	v_mul_f64 v[190:191], v[190:191], v[148:149]
	v_add_f64 v[22:23], v[22:23], -v[146:147]
	v_fma_f64 v[190:191], v[192:193], v[198:199], v[190:191]
	v_add_f64 v[24:25], v[24:25], -v[190:191]
	ds_read2_b64 v[190:193], v1 offset0:84 offset1:85
	s_waitcnt lgkmcnt(0)
	v_mul_f64 v[146:147], v[192:193], v[148:149]
	v_fma_f64 v[146:147], v[190:191], v[198:199], -v[146:147]
	v_mul_f64 v[190:191], v[190:191], v[148:149]
	v_add_f64 v[18:19], v[18:19], -v[146:147]
	v_fma_f64 v[190:191], v[192:193], v[198:199], v[190:191]
	v_add_f64 v[20:21], v[20:21], -v[190:191]
	ds_read2_b64 v[190:193], v1 offset0:86 offset1:87
	s_waitcnt lgkmcnt(0)
	v_mul_f64 v[146:147], v[192:193], v[148:149]
	v_fma_f64 v[146:147], v[190:191], v[198:199], -v[146:147]
	v_mul_f64 v[190:191], v[190:191], v[148:149]
	v_add_f64 v[14:15], v[14:15], -v[146:147]
	v_fma_f64 v[190:191], v[192:193], v[198:199], v[190:191]
	v_add_f64 v[16:17], v[16:17], -v[190:191]
	ds_read2_b64 v[190:193], v1 offset0:88 offset1:89
	s_waitcnt lgkmcnt(0)
	v_mul_f64 v[146:147], v[192:193], v[148:149]
	v_fma_f64 v[146:147], v[190:191], v[198:199], -v[146:147]
	v_mul_f64 v[190:191], v[190:191], v[148:149]
	v_add_f64 v[10:11], v[10:11], -v[146:147]
	v_fma_f64 v[190:191], v[192:193], v[198:199], v[190:191]
	v_add_f64 v[12:13], v[12:13], -v[190:191]
	ds_read2_b64 v[190:193], v1 offset0:90 offset1:91
	s_waitcnt lgkmcnt(0)
	v_mul_f64 v[146:147], v[192:193], v[148:149]
	v_fma_f64 v[146:147], v[190:191], v[198:199], -v[146:147]
	v_mul_f64 v[190:191], v[190:191], v[148:149]
	v_add_f64 v[6:7], v[6:7], -v[146:147]
	v_fma_f64 v[190:191], v[192:193], v[198:199], v[190:191]
	v_add_f64 v[8:9], v[8:9], -v[190:191]
	ds_read2_b64 v[190:193], v1 offset0:92 offset1:93
	s_waitcnt lgkmcnt(0)
	v_mul_f64 v[146:147], v[192:193], v[148:149]
	v_fma_f64 v[146:147], v[190:191], v[198:199], -v[146:147]
	v_mul_f64 v[190:191], v[190:191], v[148:149]
	v_add_f64 v[2:3], v[2:3], -v[146:147]
	v_fma_f64 v[190:191], v[192:193], v[198:199], v[190:191]
	v_mov_b32_e32 v146, v198
	v_mov_b32_e32 v147, v199
	v_add_f64 v[4:5], v[4:5], -v[190:191]
.LBB92_230:
	s_or_b32 exec_lo, exec_lo, s0
	v_lshl_add_u32 v190, v204, 4, v1
	s_barrier
	buffer_gl0_inv
	v_mov_b32_e32 v198, 11
	ds_write2_b64 v190, v[142:143], v[144:145] offset1:1
	s_waitcnt lgkmcnt(0)
	s_barrier
	buffer_gl0_inv
	ds_read2_b64 v[190:193], v1 offset0:22 offset1:23
	s_cmp_lt_i32 s1, 13
	s_cbranch_scc1 .LBB92_233
; %bb.231:
	v_add3_u32 v199, v200, 0, 0xc0
	v_mov_b32_e32 v198, 11
	s_mov_b32 s7, 12
	s_inst_prefetch 0x1
	.p2align	6
.LBB92_232:                             ; =>This Inner Loop Header: Depth=1
	s_waitcnt lgkmcnt(0)
	v_cmp_gt_f64_e32 vcc_lo, 0, v[192:193]
	v_cmp_gt_f64_e64 s0, 0, v[190:191]
	ds_read2_b64 v[205:208], v199 offset1:1
	v_xor_b32_e32 v210, 0x80000000, v191
	v_xor_b32_e32 v212, 0x80000000, v193
	v_mov_b32_e32 v209, v190
	v_mov_b32_e32 v211, v192
	v_add_nc_u32_e32 v199, 16, v199
	s_waitcnt lgkmcnt(0)
	v_xor_b32_e32 v214, 0x80000000, v208
	v_cndmask_b32_e64 v210, v191, v210, s0
	v_cndmask_b32_e32 v212, v193, v212, vcc_lo
	v_cmp_gt_f64_e32 vcc_lo, 0, v[207:208]
	v_cmp_gt_f64_e64 s0, 0, v[205:206]
	v_mov_b32_e32 v213, v207
	v_add_f64 v[209:210], v[209:210], v[211:212]
	v_xor_b32_e32 v212, 0x80000000, v206
	v_mov_b32_e32 v211, v205
	v_cndmask_b32_e32 v214, v208, v214, vcc_lo
	v_cndmask_b32_e64 v212, v206, v212, s0
	v_add_f64 v[211:212], v[211:212], v[213:214]
	v_cmp_lt_f64_e32 vcc_lo, v[209:210], v[211:212]
	v_cndmask_b32_e32 v191, v191, v206, vcc_lo
	v_cndmask_b32_e32 v190, v190, v205, vcc_lo
	;; [unrolled: 1-line block ×4, first 2 shown]
	v_cndmask_b32_e64 v198, v198, s7, vcc_lo
	s_add_i32 s7, s7, 1
	s_cmp_lg_u32 s1, s7
	s_cbranch_scc1 .LBB92_232
.LBB92_233:
	s_inst_prefetch 0x2
	s_waitcnt lgkmcnt(0)
	v_cmp_eq_f64_e32 vcc_lo, 0, v[190:191]
	v_cmp_eq_f64_e64 s0, 0, v[192:193]
	s_and_b32 s0, vcc_lo, s0
	s_and_saveexec_b32 s7, s0
	s_xor_b32 s0, exec_lo, s7
; %bb.234:
	v_cmp_ne_u32_e32 vcc_lo, 0, v203
	v_cndmask_b32_e32 v203, 12, v203, vcc_lo
; %bb.235:
	s_andn2_saveexec_b32 s0, s0
	s_cbranch_execz .LBB92_241
; %bb.236:
	v_cmp_ngt_f64_e64 s7, |v[190:191]|, |v[192:193]|
	s_and_saveexec_b32 s8, s7
	s_xor_b32 s7, exec_lo, s8
	s_cbranch_execz .LBB92_238
; %bb.237:
	v_div_scale_f64 v[205:206], null, v[192:193], v[192:193], v[190:191]
	v_div_scale_f64 v[211:212], vcc_lo, v[190:191], v[192:193], v[190:191]
	v_rcp_f64_e32 v[207:208], v[205:206]
	v_fma_f64 v[209:210], -v[205:206], v[207:208], 1.0
	v_fma_f64 v[207:208], v[207:208], v[209:210], v[207:208]
	v_fma_f64 v[209:210], -v[205:206], v[207:208], 1.0
	v_fma_f64 v[207:208], v[207:208], v[209:210], v[207:208]
	v_mul_f64 v[209:210], v[211:212], v[207:208]
	v_fma_f64 v[205:206], -v[205:206], v[209:210], v[211:212]
	v_div_fmas_f64 v[205:206], v[205:206], v[207:208], v[209:210]
	v_div_fixup_f64 v[205:206], v[205:206], v[192:193], v[190:191]
	v_fma_f64 v[190:191], v[190:191], v[205:206], v[192:193]
	v_div_scale_f64 v[192:193], null, v[190:191], v[190:191], 1.0
	v_rcp_f64_e32 v[207:208], v[192:193]
	v_fma_f64 v[209:210], -v[192:193], v[207:208], 1.0
	v_fma_f64 v[207:208], v[207:208], v[209:210], v[207:208]
	v_fma_f64 v[209:210], -v[192:193], v[207:208], 1.0
	v_fma_f64 v[207:208], v[207:208], v[209:210], v[207:208]
	v_div_scale_f64 v[209:210], vcc_lo, 1.0, v[190:191], 1.0
	v_mul_f64 v[211:212], v[209:210], v[207:208]
	v_fma_f64 v[192:193], -v[192:193], v[211:212], v[209:210]
	v_div_fmas_f64 v[192:193], v[192:193], v[207:208], v[211:212]
	v_div_fixup_f64 v[192:193], v[192:193], v[190:191], 1.0
	v_mul_f64 v[190:191], v[205:206], v[192:193]
	v_xor_b32_e32 v193, 0x80000000, v193
.LBB92_238:
	s_andn2_saveexec_b32 s7, s7
	s_cbranch_execz .LBB92_240
; %bb.239:
	v_div_scale_f64 v[205:206], null, v[190:191], v[190:191], v[192:193]
	v_div_scale_f64 v[211:212], vcc_lo, v[192:193], v[190:191], v[192:193]
	v_rcp_f64_e32 v[207:208], v[205:206]
	v_fma_f64 v[209:210], -v[205:206], v[207:208], 1.0
	v_fma_f64 v[207:208], v[207:208], v[209:210], v[207:208]
	v_fma_f64 v[209:210], -v[205:206], v[207:208], 1.0
	v_fma_f64 v[207:208], v[207:208], v[209:210], v[207:208]
	v_mul_f64 v[209:210], v[211:212], v[207:208]
	v_fma_f64 v[205:206], -v[205:206], v[209:210], v[211:212]
	v_div_fmas_f64 v[205:206], v[205:206], v[207:208], v[209:210]
	v_div_fixup_f64 v[205:206], v[205:206], v[190:191], v[192:193]
	v_fma_f64 v[190:191], v[192:193], v[205:206], v[190:191]
	v_div_scale_f64 v[192:193], null, v[190:191], v[190:191], 1.0
	v_rcp_f64_e32 v[207:208], v[192:193]
	v_fma_f64 v[209:210], -v[192:193], v[207:208], 1.0
	v_fma_f64 v[207:208], v[207:208], v[209:210], v[207:208]
	v_fma_f64 v[209:210], -v[192:193], v[207:208], 1.0
	v_fma_f64 v[207:208], v[207:208], v[209:210], v[207:208]
	v_div_scale_f64 v[209:210], vcc_lo, 1.0, v[190:191], 1.0
	v_mul_f64 v[211:212], v[209:210], v[207:208]
	v_fma_f64 v[192:193], -v[192:193], v[211:212], v[209:210]
	v_div_fmas_f64 v[192:193], v[192:193], v[207:208], v[211:212]
	v_div_fixup_f64 v[190:191], v[192:193], v[190:191], 1.0
	v_mul_f64 v[192:193], v[205:206], -v[190:191]
.LBB92_240:
	s_or_b32 exec_lo, exec_lo, s7
.LBB92_241:
	s_or_b32 exec_lo, exec_lo, s0
	s_mov_b32 s0, exec_lo
	v_cmpx_ne_u32_e64 v204, v198
	s_xor_b32 s0, exec_lo, s0
	s_cbranch_execz .LBB92_247
; %bb.242:
	s_mov_b32 s7, exec_lo
	v_cmpx_eq_u32_e32 11, v204
	s_cbranch_execz .LBB92_246
; %bb.243:
	v_cmp_ne_u32_e32 vcc_lo, 11, v198
	s_xor_b32 s8, s16, -1
	s_and_b32 s9, s8, vcc_lo
	s_and_saveexec_b32 s8, s9
	s_cbranch_execz .LBB92_245
; %bb.244:
	v_ashrrev_i32_e32 v199, 31, v198
	v_lshlrev_b64 v[204:205], 2, v[198:199]
	v_add_co_u32 v204, vcc_lo, v196, v204
	v_add_co_ci_u32_e64 v205, null, v197, v205, vcc_lo
	s_clause 0x1
	global_load_dword v0, v[204:205], off
	global_load_dword v199, v[196:197], off offset:44
	s_waitcnt vmcnt(1)
	global_store_dword v[196:197], v0, off offset:44
	s_waitcnt vmcnt(0)
	global_store_dword v[204:205], v199, off
.LBB92_245:
	s_or_b32 exec_lo, exec_lo, s8
	v_mov_b32_e32 v204, v198
	v_mov_b32_e32 v0, v198
.LBB92_246:
	s_or_b32 exec_lo, exec_lo, s7
.LBB92_247:
	s_andn2_saveexec_b32 s0, s0
	s_cbranch_execz .LBB92_249
; %bb.248:
	v_mov_b32_e32 v204, 11
	ds_write2_b64 v1, v[134:135], v[136:137] offset0:24 offset1:25
	ds_write2_b64 v1, v[130:131], v[132:133] offset0:26 offset1:27
	;; [unrolled: 1-line block ×35, first 2 shown]
.LBB92_249:
	s_or_b32 exec_lo, exec_lo, s0
	s_mov_b32 s0, exec_lo
	s_waitcnt lgkmcnt(0)
	s_waitcnt_vscnt null, 0x0
	s_barrier
	buffer_gl0_inv
	v_cmpx_lt_i32_e32 11, v204
	s_cbranch_execz .LBB92_251
; %bb.250:
	v_mul_f64 v[198:199], v[192:193], v[144:145]
	v_mul_f64 v[144:145], v[190:191], v[144:145]
	v_fma_f64 v[198:199], v[190:191], v[142:143], -v[198:199]
	v_fma_f64 v[144:145], v[192:193], v[142:143], v[144:145]
	ds_read2_b64 v[190:193], v1 offset0:24 offset1:25
	s_waitcnt lgkmcnt(0)
	v_mul_f64 v[142:143], v[192:193], v[144:145]
	v_fma_f64 v[142:143], v[190:191], v[198:199], -v[142:143]
	v_mul_f64 v[190:191], v[190:191], v[144:145]
	v_add_f64 v[134:135], v[134:135], -v[142:143]
	v_fma_f64 v[190:191], v[192:193], v[198:199], v[190:191]
	v_add_f64 v[136:137], v[136:137], -v[190:191]
	ds_read2_b64 v[190:193], v1 offset0:26 offset1:27
	s_waitcnt lgkmcnt(0)
	v_mul_f64 v[142:143], v[192:193], v[144:145]
	v_fma_f64 v[142:143], v[190:191], v[198:199], -v[142:143]
	v_mul_f64 v[190:191], v[190:191], v[144:145]
	v_add_f64 v[130:131], v[130:131], -v[142:143]
	v_fma_f64 v[190:191], v[192:193], v[198:199], v[190:191]
	v_add_f64 v[132:133], v[132:133], -v[190:191]
	;; [unrolled: 8-line block ×34, first 2 shown]
	ds_read2_b64 v[190:193], v1 offset0:92 offset1:93
	s_waitcnt lgkmcnt(0)
	v_mul_f64 v[142:143], v[192:193], v[144:145]
	v_fma_f64 v[142:143], v[190:191], v[198:199], -v[142:143]
	v_mul_f64 v[190:191], v[190:191], v[144:145]
	v_add_f64 v[2:3], v[2:3], -v[142:143]
	v_fma_f64 v[190:191], v[192:193], v[198:199], v[190:191]
	v_mov_b32_e32 v142, v198
	v_mov_b32_e32 v143, v199
	v_add_f64 v[4:5], v[4:5], -v[190:191]
.LBB92_251:
	s_or_b32 exec_lo, exec_lo, s0
	v_lshl_add_u32 v190, v204, 4, v1
	s_barrier
	buffer_gl0_inv
	v_mov_b32_e32 v198, 12
	ds_write2_b64 v190, v[134:135], v[136:137] offset1:1
	s_waitcnt lgkmcnt(0)
	s_barrier
	buffer_gl0_inv
	ds_read2_b64 v[190:193], v1 offset0:24 offset1:25
	s_cmp_lt_i32 s1, 14
	s_cbranch_scc1 .LBB92_254
; %bb.252:
	v_add3_u32 v199, v200, 0, 0xd0
	v_mov_b32_e32 v198, 12
	s_mov_b32 s7, 13
	s_inst_prefetch 0x1
	.p2align	6
.LBB92_253:                             ; =>This Inner Loop Header: Depth=1
	s_waitcnt lgkmcnt(0)
	v_cmp_gt_f64_e32 vcc_lo, 0, v[192:193]
	v_cmp_gt_f64_e64 s0, 0, v[190:191]
	ds_read2_b64 v[205:208], v199 offset1:1
	v_xor_b32_e32 v210, 0x80000000, v191
	v_xor_b32_e32 v212, 0x80000000, v193
	v_mov_b32_e32 v209, v190
	v_mov_b32_e32 v211, v192
	v_add_nc_u32_e32 v199, 16, v199
	s_waitcnt lgkmcnt(0)
	v_xor_b32_e32 v214, 0x80000000, v208
	v_cndmask_b32_e64 v210, v191, v210, s0
	v_cndmask_b32_e32 v212, v193, v212, vcc_lo
	v_cmp_gt_f64_e32 vcc_lo, 0, v[207:208]
	v_cmp_gt_f64_e64 s0, 0, v[205:206]
	v_mov_b32_e32 v213, v207
	v_add_f64 v[209:210], v[209:210], v[211:212]
	v_xor_b32_e32 v212, 0x80000000, v206
	v_mov_b32_e32 v211, v205
	v_cndmask_b32_e32 v214, v208, v214, vcc_lo
	v_cndmask_b32_e64 v212, v206, v212, s0
	v_add_f64 v[211:212], v[211:212], v[213:214]
	v_cmp_lt_f64_e32 vcc_lo, v[209:210], v[211:212]
	v_cndmask_b32_e32 v191, v191, v206, vcc_lo
	v_cndmask_b32_e32 v190, v190, v205, vcc_lo
	;; [unrolled: 1-line block ×4, first 2 shown]
	v_cndmask_b32_e64 v198, v198, s7, vcc_lo
	s_add_i32 s7, s7, 1
	s_cmp_lg_u32 s1, s7
	s_cbranch_scc1 .LBB92_253
.LBB92_254:
	s_inst_prefetch 0x2
	s_waitcnt lgkmcnt(0)
	v_cmp_eq_f64_e32 vcc_lo, 0, v[190:191]
	v_cmp_eq_f64_e64 s0, 0, v[192:193]
	s_and_b32 s0, vcc_lo, s0
	s_and_saveexec_b32 s7, s0
	s_xor_b32 s0, exec_lo, s7
; %bb.255:
	v_cmp_ne_u32_e32 vcc_lo, 0, v203
	v_cndmask_b32_e32 v203, 13, v203, vcc_lo
; %bb.256:
	s_andn2_saveexec_b32 s0, s0
	s_cbranch_execz .LBB92_262
; %bb.257:
	v_cmp_ngt_f64_e64 s7, |v[190:191]|, |v[192:193]|
	s_and_saveexec_b32 s8, s7
	s_xor_b32 s7, exec_lo, s8
	s_cbranch_execz .LBB92_259
; %bb.258:
	v_div_scale_f64 v[205:206], null, v[192:193], v[192:193], v[190:191]
	v_div_scale_f64 v[211:212], vcc_lo, v[190:191], v[192:193], v[190:191]
	v_rcp_f64_e32 v[207:208], v[205:206]
	v_fma_f64 v[209:210], -v[205:206], v[207:208], 1.0
	v_fma_f64 v[207:208], v[207:208], v[209:210], v[207:208]
	v_fma_f64 v[209:210], -v[205:206], v[207:208], 1.0
	v_fma_f64 v[207:208], v[207:208], v[209:210], v[207:208]
	v_mul_f64 v[209:210], v[211:212], v[207:208]
	v_fma_f64 v[205:206], -v[205:206], v[209:210], v[211:212]
	v_div_fmas_f64 v[205:206], v[205:206], v[207:208], v[209:210]
	v_div_fixup_f64 v[205:206], v[205:206], v[192:193], v[190:191]
	v_fma_f64 v[190:191], v[190:191], v[205:206], v[192:193]
	v_div_scale_f64 v[192:193], null, v[190:191], v[190:191], 1.0
	v_rcp_f64_e32 v[207:208], v[192:193]
	v_fma_f64 v[209:210], -v[192:193], v[207:208], 1.0
	v_fma_f64 v[207:208], v[207:208], v[209:210], v[207:208]
	v_fma_f64 v[209:210], -v[192:193], v[207:208], 1.0
	v_fma_f64 v[207:208], v[207:208], v[209:210], v[207:208]
	v_div_scale_f64 v[209:210], vcc_lo, 1.0, v[190:191], 1.0
	v_mul_f64 v[211:212], v[209:210], v[207:208]
	v_fma_f64 v[192:193], -v[192:193], v[211:212], v[209:210]
	v_div_fmas_f64 v[192:193], v[192:193], v[207:208], v[211:212]
	v_div_fixup_f64 v[192:193], v[192:193], v[190:191], 1.0
	v_mul_f64 v[190:191], v[205:206], v[192:193]
	v_xor_b32_e32 v193, 0x80000000, v193
.LBB92_259:
	s_andn2_saveexec_b32 s7, s7
	s_cbranch_execz .LBB92_261
; %bb.260:
	v_div_scale_f64 v[205:206], null, v[190:191], v[190:191], v[192:193]
	v_div_scale_f64 v[211:212], vcc_lo, v[192:193], v[190:191], v[192:193]
	v_rcp_f64_e32 v[207:208], v[205:206]
	v_fma_f64 v[209:210], -v[205:206], v[207:208], 1.0
	v_fma_f64 v[207:208], v[207:208], v[209:210], v[207:208]
	v_fma_f64 v[209:210], -v[205:206], v[207:208], 1.0
	v_fma_f64 v[207:208], v[207:208], v[209:210], v[207:208]
	v_mul_f64 v[209:210], v[211:212], v[207:208]
	v_fma_f64 v[205:206], -v[205:206], v[209:210], v[211:212]
	v_div_fmas_f64 v[205:206], v[205:206], v[207:208], v[209:210]
	v_div_fixup_f64 v[205:206], v[205:206], v[190:191], v[192:193]
	v_fma_f64 v[190:191], v[192:193], v[205:206], v[190:191]
	v_div_scale_f64 v[192:193], null, v[190:191], v[190:191], 1.0
	v_rcp_f64_e32 v[207:208], v[192:193]
	v_fma_f64 v[209:210], -v[192:193], v[207:208], 1.0
	v_fma_f64 v[207:208], v[207:208], v[209:210], v[207:208]
	v_fma_f64 v[209:210], -v[192:193], v[207:208], 1.0
	v_fma_f64 v[207:208], v[207:208], v[209:210], v[207:208]
	v_div_scale_f64 v[209:210], vcc_lo, 1.0, v[190:191], 1.0
	v_mul_f64 v[211:212], v[209:210], v[207:208]
	v_fma_f64 v[192:193], -v[192:193], v[211:212], v[209:210]
	v_div_fmas_f64 v[192:193], v[192:193], v[207:208], v[211:212]
	v_div_fixup_f64 v[190:191], v[192:193], v[190:191], 1.0
	v_mul_f64 v[192:193], v[205:206], -v[190:191]
.LBB92_261:
	s_or_b32 exec_lo, exec_lo, s7
.LBB92_262:
	s_or_b32 exec_lo, exec_lo, s0
	s_mov_b32 s0, exec_lo
	v_cmpx_ne_u32_e64 v204, v198
	s_xor_b32 s0, exec_lo, s0
	s_cbranch_execz .LBB92_268
; %bb.263:
	s_mov_b32 s7, exec_lo
	v_cmpx_eq_u32_e32 12, v204
	s_cbranch_execz .LBB92_267
; %bb.264:
	v_cmp_ne_u32_e32 vcc_lo, 12, v198
	s_xor_b32 s8, s16, -1
	s_and_b32 s9, s8, vcc_lo
	s_and_saveexec_b32 s8, s9
	s_cbranch_execz .LBB92_266
; %bb.265:
	v_ashrrev_i32_e32 v199, 31, v198
	v_lshlrev_b64 v[204:205], 2, v[198:199]
	v_add_co_u32 v204, vcc_lo, v196, v204
	v_add_co_ci_u32_e64 v205, null, v197, v205, vcc_lo
	s_clause 0x1
	global_load_dword v0, v[204:205], off
	global_load_dword v199, v[196:197], off offset:48
	s_waitcnt vmcnt(1)
	global_store_dword v[196:197], v0, off offset:48
	s_waitcnt vmcnt(0)
	global_store_dword v[204:205], v199, off
.LBB92_266:
	s_or_b32 exec_lo, exec_lo, s8
	v_mov_b32_e32 v204, v198
	v_mov_b32_e32 v0, v198
.LBB92_267:
	s_or_b32 exec_lo, exec_lo, s7
.LBB92_268:
	s_andn2_saveexec_b32 s0, s0
	s_cbranch_execz .LBB92_270
; %bb.269:
	v_mov_b32_e32 v204, 12
	ds_write2_b64 v1, v[130:131], v[132:133] offset0:26 offset1:27
	ds_write2_b64 v1, v[138:139], v[140:141] offset0:28 offset1:29
	;; [unrolled: 1-line block ×34, first 2 shown]
.LBB92_270:
	s_or_b32 exec_lo, exec_lo, s0
	s_mov_b32 s0, exec_lo
	s_waitcnt lgkmcnt(0)
	s_waitcnt_vscnt null, 0x0
	s_barrier
	buffer_gl0_inv
	v_cmpx_lt_i32_e32 12, v204
	s_cbranch_execz .LBB92_272
; %bb.271:
	v_mul_f64 v[198:199], v[192:193], v[136:137]
	v_mul_f64 v[136:137], v[190:191], v[136:137]
	v_fma_f64 v[198:199], v[190:191], v[134:135], -v[198:199]
	v_fma_f64 v[136:137], v[192:193], v[134:135], v[136:137]
	ds_read2_b64 v[190:193], v1 offset0:26 offset1:27
	s_waitcnt lgkmcnt(0)
	v_mul_f64 v[134:135], v[192:193], v[136:137]
	v_fma_f64 v[134:135], v[190:191], v[198:199], -v[134:135]
	v_mul_f64 v[190:191], v[190:191], v[136:137]
	v_add_f64 v[130:131], v[130:131], -v[134:135]
	v_fma_f64 v[190:191], v[192:193], v[198:199], v[190:191]
	v_add_f64 v[132:133], v[132:133], -v[190:191]
	ds_read2_b64 v[190:193], v1 offset0:28 offset1:29
	s_waitcnt lgkmcnt(0)
	v_mul_f64 v[134:135], v[192:193], v[136:137]
	v_fma_f64 v[134:135], v[190:191], v[198:199], -v[134:135]
	v_mul_f64 v[190:191], v[190:191], v[136:137]
	v_add_f64 v[138:139], v[138:139], -v[134:135]
	v_fma_f64 v[190:191], v[192:193], v[198:199], v[190:191]
	v_add_f64 v[140:141], v[140:141], -v[190:191]
	;; [unrolled: 8-line block ×33, first 2 shown]
	ds_read2_b64 v[190:193], v1 offset0:92 offset1:93
	s_waitcnt lgkmcnt(0)
	v_mul_f64 v[134:135], v[192:193], v[136:137]
	v_fma_f64 v[134:135], v[190:191], v[198:199], -v[134:135]
	v_mul_f64 v[190:191], v[190:191], v[136:137]
	v_add_f64 v[2:3], v[2:3], -v[134:135]
	v_fma_f64 v[190:191], v[192:193], v[198:199], v[190:191]
	v_mov_b32_e32 v134, v198
	v_mov_b32_e32 v135, v199
	v_add_f64 v[4:5], v[4:5], -v[190:191]
.LBB92_272:
	s_or_b32 exec_lo, exec_lo, s0
	v_lshl_add_u32 v190, v204, 4, v1
	s_barrier
	buffer_gl0_inv
	v_mov_b32_e32 v198, 13
	ds_write2_b64 v190, v[130:131], v[132:133] offset1:1
	s_waitcnt lgkmcnt(0)
	s_barrier
	buffer_gl0_inv
	ds_read2_b64 v[190:193], v1 offset0:26 offset1:27
	s_cmp_lt_i32 s1, 15
	s_cbranch_scc1 .LBB92_275
; %bb.273:
	v_add3_u32 v199, v200, 0, 0xe0
	v_mov_b32_e32 v198, 13
	s_mov_b32 s7, 14
	s_inst_prefetch 0x1
	.p2align	6
.LBB92_274:                             ; =>This Inner Loop Header: Depth=1
	s_waitcnt lgkmcnt(0)
	v_cmp_gt_f64_e32 vcc_lo, 0, v[192:193]
	v_cmp_gt_f64_e64 s0, 0, v[190:191]
	ds_read2_b64 v[205:208], v199 offset1:1
	v_xor_b32_e32 v210, 0x80000000, v191
	v_xor_b32_e32 v212, 0x80000000, v193
	v_mov_b32_e32 v209, v190
	v_mov_b32_e32 v211, v192
	v_add_nc_u32_e32 v199, 16, v199
	s_waitcnt lgkmcnt(0)
	v_xor_b32_e32 v214, 0x80000000, v208
	v_cndmask_b32_e64 v210, v191, v210, s0
	v_cndmask_b32_e32 v212, v193, v212, vcc_lo
	v_cmp_gt_f64_e32 vcc_lo, 0, v[207:208]
	v_cmp_gt_f64_e64 s0, 0, v[205:206]
	v_mov_b32_e32 v213, v207
	v_add_f64 v[209:210], v[209:210], v[211:212]
	v_xor_b32_e32 v212, 0x80000000, v206
	v_mov_b32_e32 v211, v205
	v_cndmask_b32_e32 v214, v208, v214, vcc_lo
	v_cndmask_b32_e64 v212, v206, v212, s0
	v_add_f64 v[211:212], v[211:212], v[213:214]
	v_cmp_lt_f64_e32 vcc_lo, v[209:210], v[211:212]
	v_cndmask_b32_e32 v191, v191, v206, vcc_lo
	v_cndmask_b32_e32 v190, v190, v205, vcc_lo
	v_cndmask_b32_e32 v193, v193, v208, vcc_lo
	v_cndmask_b32_e32 v192, v192, v207, vcc_lo
	v_cndmask_b32_e64 v198, v198, s7, vcc_lo
	s_add_i32 s7, s7, 1
	s_cmp_lg_u32 s1, s7
	s_cbranch_scc1 .LBB92_274
.LBB92_275:
	s_inst_prefetch 0x2
	s_waitcnt lgkmcnt(0)
	v_cmp_eq_f64_e32 vcc_lo, 0, v[190:191]
	v_cmp_eq_f64_e64 s0, 0, v[192:193]
	s_and_b32 s0, vcc_lo, s0
	s_and_saveexec_b32 s7, s0
	s_xor_b32 s0, exec_lo, s7
; %bb.276:
	v_cmp_ne_u32_e32 vcc_lo, 0, v203
	v_cndmask_b32_e32 v203, 14, v203, vcc_lo
; %bb.277:
	s_andn2_saveexec_b32 s0, s0
	s_cbranch_execz .LBB92_283
; %bb.278:
	v_cmp_ngt_f64_e64 s7, |v[190:191]|, |v[192:193]|
	s_and_saveexec_b32 s8, s7
	s_xor_b32 s7, exec_lo, s8
	s_cbranch_execz .LBB92_280
; %bb.279:
	v_div_scale_f64 v[205:206], null, v[192:193], v[192:193], v[190:191]
	v_div_scale_f64 v[211:212], vcc_lo, v[190:191], v[192:193], v[190:191]
	v_rcp_f64_e32 v[207:208], v[205:206]
	v_fma_f64 v[209:210], -v[205:206], v[207:208], 1.0
	v_fma_f64 v[207:208], v[207:208], v[209:210], v[207:208]
	v_fma_f64 v[209:210], -v[205:206], v[207:208], 1.0
	v_fma_f64 v[207:208], v[207:208], v[209:210], v[207:208]
	v_mul_f64 v[209:210], v[211:212], v[207:208]
	v_fma_f64 v[205:206], -v[205:206], v[209:210], v[211:212]
	v_div_fmas_f64 v[205:206], v[205:206], v[207:208], v[209:210]
	v_div_fixup_f64 v[205:206], v[205:206], v[192:193], v[190:191]
	v_fma_f64 v[190:191], v[190:191], v[205:206], v[192:193]
	v_div_scale_f64 v[192:193], null, v[190:191], v[190:191], 1.0
	v_rcp_f64_e32 v[207:208], v[192:193]
	v_fma_f64 v[209:210], -v[192:193], v[207:208], 1.0
	v_fma_f64 v[207:208], v[207:208], v[209:210], v[207:208]
	v_fma_f64 v[209:210], -v[192:193], v[207:208], 1.0
	v_fma_f64 v[207:208], v[207:208], v[209:210], v[207:208]
	v_div_scale_f64 v[209:210], vcc_lo, 1.0, v[190:191], 1.0
	v_mul_f64 v[211:212], v[209:210], v[207:208]
	v_fma_f64 v[192:193], -v[192:193], v[211:212], v[209:210]
	v_div_fmas_f64 v[192:193], v[192:193], v[207:208], v[211:212]
	v_div_fixup_f64 v[192:193], v[192:193], v[190:191], 1.0
	v_mul_f64 v[190:191], v[205:206], v[192:193]
	v_xor_b32_e32 v193, 0x80000000, v193
.LBB92_280:
	s_andn2_saveexec_b32 s7, s7
	s_cbranch_execz .LBB92_282
; %bb.281:
	v_div_scale_f64 v[205:206], null, v[190:191], v[190:191], v[192:193]
	v_div_scale_f64 v[211:212], vcc_lo, v[192:193], v[190:191], v[192:193]
	v_rcp_f64_e32 v[207:208], v[205:206]
	v_fma_f64 v[209:210], -v[205:206], v[207:208], 1.0
	v_fma_f64 v[207:208], v[207:208], v[209:210], v[207:208]
	v_fma_f64 v[209:210], -v[205:206], v[207:208], 1.0
	v_fma_f64 v[207:208], v[207:208], v[209:210], v[207:208]
	v_mul_f64 v[209:210], v[211:212], v[207:208]
	v_fma_f64 v[205:206], -v[205:206], v[209:210], v[211:212]
	v_div_fmas_f64 v[205:206], v[205:206], v[207:208], v[209:210]
	v_div_fixup_f64 v[205:206], v[205:206], v[190:191], v[192:193]
	v_fma_f64 v[190:191], v[192:193], v[205:206], v[190:191]
	v_div_scale_f64 v[192:193], null, v[190:191], v[190:191], 1.0
	v_rcp_f64_e32 v[207:208], v[192:193]
	v_fma_f64 v[209:210], -v[192:193], v[207:208], 1.0
	v_fma_f64 v[207:208], v[207:208], v[209:210], v[207:208]
	v_fma_f64 v[209:210], -v[192:193], v[207:208], 1.0
	v_fma_f64 v[207:208], v[207:208], v[209:210], v[207:208]
	v_div_scale_f64 v[209:210], vcc_lo, 1.0, v[190:191], 1.0
	v_mul_f64 v[211:212], v[209:210], v[207:208]
	v_fma_f64 v[192:193], -v[192:193], v[211:212], v[209:210]
	v_div_fmas_f64 v[192:193], v[192:193], v[207:208], v[211:212]
	v_div_fixup_f64 v[190:191], v[192:193], v[190:191], 1.0
	v_mul_f64 v[192:193], v[205:206], -v[190:191]
.LBB92_282:
	s_or_b32 exec_lo, exec_lo, s7
.LBB92_283:
	s_or_b32 exec_lo, exec_lo, s0
	s_mov_b32 s0, exec_lo
	v_cmpx_ne_u32_e64 v204, v198
	s_xor_b32 s0, exec_lo, s0
	s_cbranch_execz .LBB92_289
; %bb.284:
	s_mov_b32 s7, exec_lo
	v_cmpx_eq_u32_e32 13, v204
	s_cbranch_execz .LBB92_288
; %bb.285:
	v_cmp_ne_u32_e32 vcc_lo, 13, v198
	s_xor_b32 s8, s16, -1
	s_and_b32 s9, s8, vcc_lo
	s_and_saveexec_b32 s8, s9
	s_cbranch_execz .LBB92_287
; %bb.286:
	v_ashrrev_i32_e32 v199, 31, v198
	v_lshlrev_b64 v[204:205], 2, v[198:199]
	v_add_co_u32 v204, vcc_lo, v196, v204
	v_add_co_ci_u32_e64 v205, null, v197, v205, vcc_lo
	s_clause 0x1
	global_load_dword v0, v[204:205], off
	global_load_dword v199, v[196:197], off offset:52
	s_waitcnt vmcnt(1)
	global_store_dword v[196:197], v0, off offset:52
	s_waitcnt vmcnt(0)
	global_store_dword v[204:205], v199, off
.LBB92_287:
	s_or_b32 exec_lo, exec_lo, s8
	v_mov_b32_e32 v204, v198
	v_mov_b32_e32 v0, v198
.LBB92_288:
	s_or_b32 exec_lo, exec_lo, s7
.LBB92_289:
	s_andn2_saveexec_b32 s0, s0
	s_cbranch_execz .LBB92_291
; %bb.290:
	v_mov_b32_e32 v204, 13
	ds_write2_b64 v1, v[138:139], v[140:141] offset0:28 offset1:29
	ds_write2_b64 v1, v[122:123], v[124:125] offset0:30 offset1:31
	;; [unrolled: 1-line block ×33, first 2 shown]
.LBB92_291:
	s_or_b32 exec_lo, exec_lo, s0
	s_mov_b32 s0, exec_lo
	s_waitcnt lgkmcnt(0)
	s_waitcnt_vscnt null, 0x0
	s_barrier
	buffer_gl0_inv
	v_cmpx_lt_i32_e32 13, v204
	s_cbranch_execz .LBB92_293
; %bb.292:
	v_mul_f64 v[198:199], v[192:193], v[132:133]
	v_mul_f64 v[132:133], v[190:191], v[132:133]
	v_fma_f64 v[198:199], v[190:191], v[130:131], -v[198:199]
	v_fma_f64 v[132:133], v[192:193], v[130:131], v[132:133]
	ds_read2_b64 v[190:193], v1 offset0:28 offset1:29
	s_waitcnt lgkmcnt(0)
	v_mul_f64 v[130:131], v[192:193], v[132:133]
	v_fma_f64 v[130:131], v[190:191], v[198:199], -v[130:131]
	v_mul_f64 v[190:191], v[190:191], v[132:133]
	v_add_f64 v[138:139], v[138:139], -v[130:131]
	v_fma_f64 v[190:191], v[192:193], v[198:199], v[190:191]
	v_add_f64 v[140:141], v[140:141], -v[190:191]
	ds_read2_b64 v[190:193], v1 offset0:30 offset1:31
	s_waitcnt lgkmcnt(0)
	v_mul_f64 v[130:131], v[192:193], v[132:133]
	v_fma_f64 v[130:131], v[190:191], v[198:199], -v[130:131]
	v_mul_f64 v[190:191], v[190:191], v[132:133]
	v_add_f64 v[122:123], v[122:123], -v[130:131]
	v_fma_f64 v[190:191], v[192:193], v[198:199], v[190:191]
	v_add_f64 v[124:125], v[124:125], -v[190:191]
	;; [unrolled: 8-line block ×32, first 2 shown]
	ds_read2_b64 v[190:193], v1 offset0:92 offset1:93
	s_waitcnt lgkmcnt(0)
	v_mul_f64 v[130:131], v[192:193], v[132:133]
	v_fma_f64 v[130:131], v[190:191], v[198:199], -v[130:131]
	v_mul_f64 v[190:191], v[190:191], v[132:133]
	v_add_f64 v[2:3], v[2:3], -v[130:131]
	v_fma_f64 v[190:191], v[192:193], v[198:199], v[190:191]
	v_mov_b32_e32 v130, v198
	v_mov_b32_e32 v131, v199
	v_add_f64 v[4:5], v[4:5], -v[190:191]
.LBB92_293:
	s_or_b32 exec_lo, exec_lo, s0
	v_lshl_add_u32 v190, v204, 4, v1
	s_barrier
	buffer_gl0_inv
	v_mov_b32_e32 v198, 14
	ds_write2_b64 v190, v[138:139], v[140:141] offset1:1
	s_waitcnt lgkmcnt(0)
	s_barrier
	buffer_gl0_inv
	ds_read2_b64 v[190:193], v1 offset0:28 offset1:29
	s_cmp_lt_i32 s1, 16
	s_cbranch_scc1 .LBB92_296
; %bb.294:
	v_add3_u32 v199, v200, 0, 0xf0
	v_mov_b32_e32 v198, 14
	s_mov_b32 s7, 15
	s_inst_prefetch 0x1
	.p2align	6
.LBB92_295:                             ; =>This Inner Loop Header: Depth=1
	s_waitcnt lgkmcnt(0)
	v_cmp_gt_f64_e32 vcc_lo, 0, v[192:193]
	v_cmp_gt_f64_e64 s0, 0, v[190:191]
	ds_read2_b64 v[205:208], v199 offset1:1
	v_xor_b32_e32 v210, 0x80000000, v191
	v_xor_b32_e32 v212, 0x80000000, v193
	v_mov_b32_e32 v209, v190
	v_mov_b32_e32 v211, v192
	v_add_nc_u32_e32 v199, 16, v199
	s_waitcnt lgkmcnt(0)
	v_xor_b32_e32 v214, 0x80000000, v208
	v_cndmask_b32_e64 v210, v191, v210, s0
	v_cndmask_b32_e32 v212, v193, v212, vcc_lo
	v_cmp_gt_f64_e32 vcc_lo, 0, v[207:208]
	v_cmp_gt_f64_e64 s0, 0, v[205:206]
	v_mov_b32_e32 v213, v207
	v_add_f64 v[209:210], v[209:210], v[211:212]
	v_xor_b32_e32 v212, 0x80000000, v206
	v_mov_b32_e32 v211, v205
	v_cndmask_b32_e32 v214, v208, v214, vcc_lo
	v_cndmask_b32_e64 v212, v206, v212, s0
	v_add_f64 v[211:212], v[211:212], v[213:214]
	v_cmp_lt_f64_e32 vcc_lo, v[209:210], v[211:212]
	v_cndmask_b32_e32 v191, v191, v206, vcc_lo
	v_cndmask_b32_e32 v190, v190, v205, vcc_lo
	;; [unrolled: 1-line block ×4, first 2 shown]
	v_cndmask_b32_e64 v198, v198, s7, vcc_lo
	s_add_i32 s7, s7, 1
	s_cmp_lg_u32 s1, s7
	s_cbranch_scc1 .LBB92_295
.LBB92_296:
	s_inst_prefetch 0x2
	s_waitcnt lgkmcnt(0)
	v_cmp_eq_f64_e32 vcc_lo, 0, v[190:191]
	v_cmp_eq_f64_e64 s0, 0, v[192:193]
	s_and_b32 s0, vcc_lo, s0
	s_and_saveexec_b32 s7, s0
	s_xor_b32 s0, exec_lo, s7
; %bb.297:
	v_cmp_ne_u32_e32 vcc_lo, 0, v203
	v_cndmask_b32_e32 v203, 15, v203, vcc_lo
; %bb.298:
	s_andn2_saveexec_b32 s0, s0
	s_cbranch_execz .LBB92_304
; %bb.299:
	v_cmp_ngt_f64_e64 s7, |v[190:191]|, |v[192:193]|
	s_and_saveexec_b32 s8, s7
	s_xor_b32 s7, exec_lo, s8
	s_cbranch_execz .LBB92_301
; %bb.300:
	v_div_scale_f64 v[205:206], null, v[192:193], v[192:193], v[190:191]
	v_div_scale_f64 v[211:212], vcc_lo, v[190:191], v[192:193], v[190:191]
	v_rcp_f64_e32 v[207:208], v[205:206]
	v_fma_f64 v[209:210], -v[205:206], v[207:208], 1.0
	v_fma_f64 v[207:208], v[207:208], v[209:210], v[207:208]
	v_fma_f64 v[209:210], -v[205:206], v[207:208], 1.0
	v_fma_f64 v[207:208], v[207:208], v[209:210], v[207:208]
	v_mul_f64 v[209:210], v[211:212], v[207:208]
	v_fma_f64 v[205:206], -v[205:206], v[209:210], v[211:212]
	v_div_fmas_f64 v[205:206], v[205:206], v[207:208], v[209:210]
	v_div_fixup_f64 v[205:206], v[205:206], v[192:193], v[190:191]
	v_fma_f64 v[190:191], v[190:191], v[205:206], v[192:193]
	v_div_scale_f64 v[192:193], null, v[190:191], v[190:191], 1.0
	v_rcp_f64_e32 v[207:208], v[192:193]
	v_fma_f64 v[209:210], -v[192:193], v[207:208], 1.0
	v_fma_f64 v[207:208], v[207:208], v[209:210], v[207:208]
	v_fma_f64 v[209:210], -v[192:193], v[207:208], 1.0
	v_fma_f64 v[207:208], v[207:208], v[209:210], v[207:208]
	v_div_scale_f64 v[209:210], vcc_lo, 1.0, v[190:191], 1.0
	v_mul_f64 v[211:212], v[209:210], v[207:208]
	v_fma_f64 v[192:193], -v[192:193], v[211:212], v[209:210]
	v_div_fmas_f64 v[192:193], v[192:193], v[207:208], v[211:212]
	v_div_fixup_f64 v[192:193], v[192:193], v[190:191], 1.0
	v_mul_f64 v[190:191], v[205:206], v[192:193]
	v_xor_b32_e32 v193, 0x80000000, v193
.LBB92_301:
	s_andn2_saveexec_b32 s7, s7
	s_cbranch_execz .LBB92_303
; %bb.302:
	v_div_scale_f64 v[205:206], null, v[190:191], v[190:191], v[192:193]
	v_div_scale_f64 v[211:212], vcc_lo, v[192:193], v[190:191], v[192:193]
	v_rcp_f64_e32 v[207:208], v[205:206]
	v_fma_f64 v[209:210], -v[205:206], v[207:208], 1.0
	v_fma_f64 v[207:208], v[207:208], v[209:210], v[207:208]
	v_fma_f64 v[209:210], -v[205:206], v[207:208], 1.0
	v_fma_f64 v[207:208], v[207:208], v[209:210], v[207:208]
	v_mul_f64 v[209:210], v[211:212], v[207:208]
	v_fma_f64 v[205:206], -v[205:206], v[209:210], v[211:212]
	v_div_fmas_f64 v[205:206], v[205:206], v[207:208], v[209:210]
	v_div_fixup_f64 v[205:206], v[205:206], v[190:191], v[192:193]
	v_fma_f64 v[190:191], v[192:193], v[205:206], v[190:191]
	v_div_scale_f64 v[192:193], null, v[190:191], v[190:191], 1.0
	v_rcp_f64_e32 v[207:208], v[192:193]
	v_fma_f64 v[209:210], -v[192:193], v[207:208], 1.0
	v_fma_f64 v[207:208], v[207:208], v[209:210], v[207:208]
	v_fma_f64 v[209:210], -v[192:193], v[207:208], 1.0
	v_fma_f64 v[207:208], v[207:208], v[209:210], v[207:208]
	v_div_scale_f64 v[209:210], vcc_lo, 1.0, v[190:191], 1.0
	v_mul_f64 v[211:212], v[209:210], v[207:208]
	v_fma_f64 v[192:193], -v[192:193], v[211:212], v[209:210]
	v_div_fmas_f64 v[192:193], v[192:193], v[207:208], v[211:212]
	v_div_fixup_f64 v[190:191], v[192:193], v[190:191], 1.0
	v_mul_f64 v[192:193], v[205:206], -v[190:191]
.LBB92_303:
	s_or_b32 exec_lo, exec_lo, s7
.LBB92_304:
	s_or_b32 exec_lo, exec_lo, s0
	s_mov_b32 s0, exec_lo
	v_cmpx_ne_u32_e64 v204, v198
	s_xor_b32 s0, exec_lo, s0
	s_cbranch_execz .LBB92_310
; %bb.305:
	s_mov_b32 s7, exec_lo
	v_cmpx_eq_u32_e32 14, v204
	s_cbranch_execz .LBB92_309
; %bb.306:
	v_cmp_ne_u32_e32 vcc_lo, 14, v198
	s_xor_b32 s8, s16, -1
	s_and_b32 s9, s8, vcc_lo
	s_and_saveexec_b32 s8, s9
	s_cbranch_execz .LBB92_308
; %bb.307:
	v_ashrrev_i32_e32 v199, 31, v198
	v_lshlrev_b64 v[204:205], 2, v[198:199]
	v_add_co_u32 v204, vcc_lo, v196, v204
	v_add_co_ci_u32_e64 v205, null, v197, v205, vcc_lo
	s_clause 0x1
	global_load_dword v0, v[204:205], off
	global_load_dword v199, v[196:197], off offset:56
	s_waitcnt vmcnt(1)
	global_store_dword v[196:197], v0, off offset:56
	s_waitcnt vmcnt(0)
	global_store_dword v[204:205], v199, off
.LBB92_308:
	s_or_b32 exec_lo, exec_lo, s8
	v_mov_b32_e32 v204, v198
	v_mov_b32_e32 v0, v198
.LBB92_309:
	s_or_b32 exec_lo, exec_lo, s7
.LBB92_310:
	s_andn2_saveexec_b32 s0, s0
	s_cbranch_execz .LBB92_312
; %bb.311:
	v_mov_b32_e32 v204, 14
	ds_write2_b64 v1, v[122:123], v[124:125] offset0:30 offset1:31
	ds_write2_b64 v1, v[126:127], v[128:129] offset0:32 offset1:33
	;; [unrolled: 1-line block ×32, first 2 shown]
.LBB92_312:
	s_or_b32 exec_lo, exec_lo, s0
	s_mov_b32 s0, exec_lo
	s_waitcnt lgkmcnt(0)
	s_waitcnt_vscnt null, 0x0
	s_barrier
	buffer_gl0_inv
	v_cmpx_lt_i32_e32 14, v204
	s_cbranch_execz .LBB92_314
; %bb.313:
	v_mul_f64 v[198:199], v[192:193], v[140:141]
	v_mul_f64 v[140:141], v[190:191], v[140:141]
	v_fma_f64 v[198:199], v[190:191], v[138:139], -v[198:199]
	v_fma_f64 v[140:141], v[192:193], v[138:139], v[140:141]
	ds_read2_b64 v[190:193], v1 offset0:30 offset1:31
	s_waitcnt lgkmcnt(0)
	v_mul_f64 v[138:139], v[192:193], v[140:141]
	v_fma_f64 v[138:139], v[190:191], v[198:199], -v[138:139]
	v_mul_f64 v[190:191], v[190:191], v[140:141]
	v_add_f64 v[122:123], v[122:123], -v[138:139]
	v_fma_f64 v[190:191], v[192:193], v[198:199], v[190:191]
	v_add_f64 v[124:125], v[124:125], -v[190:191]
	ds_read2_b64 v[190:193], v1 offset0:32 offset1:33
	s_waitcnt lgkmcnt(0)
	v_mul_f64 v[138:139], v[192:193], v[140:141]
	v_fma_f64 v[138:139], v[190:191], v[198:199], -v[138:139]
	v_mul_f64 v[190:191], v[190:191], v[140:141]
	v_add_f64 v[126:127], v[126:127], -v[138:139]
	v_fma_f64 v[190:191], v[192:193], v[198:199], v[190:191]
	v_add_f64 v[128:129], v[128:129], -v[190:191]
	;; [unrolled: 8-line block ×31, first 2 shown]
	ds_read2_b64 v[190:193], v1 offset0:92 offset1:93
	s_waitcnt lgkmcnt(0)
	v_mul_f64 v[138:139], v[192:193], v[140:141]
	v_fma_f64 v[138:139], v[190:191], v[198:199], -v[138:139]
	v_mul_f64 v[190:191], v[190:191], v[140:141]
	v_add_f64 v[2:3], v[2:3], -v[138:139]
	v_fma_f64 v[190:191], v[192:193], v[198:199], v[190:191]
	v_mov_b32_e32 v138, v198
	v_mov_b32_e32 v139, v199
	v_add_f64 v[4:5], v[4:5], -v[190:191]
.LBB92_314:
	s_or_b32 exec_lo, exec_lo, s0
	v_lshl_add_u32 v190, v204, 4, v1
	s_barrier
	buffer_gl0_inv
	v_mov_b32_e32 v198, 15
	ds_write2_b64 v190, v[122:123], v[124:125] offset1:1
	s_waitcnt lgkmcnt(0)
	s_barrier
	buffer_gl0_inv
	ds_read2_b64 v[190:193], v1 offset0:30 offset1:31
	s_cmp_lt_i32 s1, 17
	s_cbranch_scc1 .LBB92_317
; %bb.315:
	v_add3_u32 v199, v200, 0, 0x100
	v_mov_b32_e32 v198, 15
	s_mov_b32 s7, 16
	s_inst_prefetch 0x1
	.p2align	6
.LBB92_316:                             ; =>This Inner Loop Header: Depth=1
	s_waitcnt lgkmcnt(0)
	v_cmp_gt_f64_e32 vcc_lo, 0, v[192:193]
	v_cmp_gt_f64_e64 s0, 0, v[190:191]
	ds_read2_b64 v[205:208], v199 offset1:1
	v_xor_b32_e32 v210, 0x80000000, v191
	v_xor_b32_e32 v212, 0x80000000, v193
	v_mov_b32_e32 v209, v190
	v_mov_b32_e32 v211, v192
	v_add_nc_u32_e32 v199, 16, v199
	s_waitcnt lgkmcnt(0)
	v_xor_b32_e32 v214, 0x80000000, v208
	v_cndmask_b32_e64 v210, v191, v210, s0
	v_cndmask_b32_e32 v212, v193, v212, vcc_lo
	v_cmp_gt_f64_e32 vcc_lo, 0, v[207:208]
	v_cmp_gt_f64_e64 s0, 0, v[205:206]
	v_mov_b32_e32 v213, v207
	v_add_f64 v[209:210], v[209:210], v[211:212]
	v_xor_b32_e32 v212, 0x80000000, v206
	v_mov_b32_e32 v211, v205
	v_cndmask_b32_e32 v214, v208, v214, vcc_lo
	v_cndmask_b32_e64 v212, v206, v212, s0
	v_add_f64 v[211:212], v[211:212], v[213:214]
	v_cmp_lt_f64_e32 vcc_lo, v[209:210], v[211:212]
	v_cndmask_b32_e32 v191, v191, v206, vcc_lo
	v_cndmask_b32_e32 v190, v190, v205, vcc_lo
	;; [unrolled: 1-line block ×4, first 2 shown]
	v_cndmask_b32_e64 v198, v198, s7, vcc_lo
	s_add_i32 s7, s7, 1
	s_cmp_lg_u32 s1, s7
	s_cbranch_scc1 .LBB92_316
.LBB92_317:
	s_inst_prefetch 0x2
	s_waitcnt lgkmcnt(0)
	v_cmp_eq_f64_e32 vcc_lo, 0, v[190:191]
	v_cmp_eq_f64_e64 s0, 0, v[192:193]
	s_and_b32 s0, vcc_lo, s0
	s_and_saveexec_b32 s7, s0
	s_xor_b32 s0, exec_lo, s7
; %bb.318:
	v_cmp_ne_u32_e32 vcc_lo, 0, v203
	v_cndmask_b32_e32 v203, 16, v203, vcc_lo
; %bb.319:
	s_andn2_saveexec_b32 s0, s0
	s_cbranch_execz .LBB92_325
; %bb.320:
	v_cmp_ngt_f64_e64 s7, |v[190:191]|, |v[192:193]|
	s_and_saveexec_b32 s8, s7
	s_xor_b32 s7, exec_lo, s8
	s_cbranch_execz .LBB92_322
; %bb.321:
	v_div_scale_f64 v[205:206], null, v[192:193], v[192:193], v[190:191]
	v_div_scale_f64 v[211:212], vcc_lo, v[190:191], v[192:193], v[190:191]
	v_rcp_f64_e32 v[207:208], v[205:206]
	v_fma_f64 v[209:210], -v[205:206], v[207:208], 1.0
	v_fma_f64 v[207:208], v[207:208], v[209:210], v[207:208]
	v_fma_f64 v[209:210], -v[205:206], v[207:208], 1.0
	v_fma_f64 v[207:208], v[207:208], v[209:210], v[207:208]
	v_mul_f64 v[209:210], v[211:212], v[207:208]
	v_fma_f64 v[205:206], -v[205:206], v[209:210], v[211:212]
	v_div_fmas_f64 v[205:206], v[205:206], v[207:208], v[209:210]
	v_div_fixup_f64 v[205:206], v[205:206], v[192:193], v[190:191]
	v_fma_f64 v[190:191], v[190:191], v[205:206], v[192:193]
	v_div_scale_f64 v[192:193], null, v[190:191], v[190:191], 1.0
	v_rcp_f64_e32 v[207:208], v[192:193]
	v_fma_f64 v[209:210], -v[192:193], v[207:208], 1.0
	v_fma_f64 v[207:208], v[207:208], v[209:210], v[207:208]
	v_fma_f64 v[209:210], -v[192:193], v[207:208], 1.0
	v_fma_f64 v[207:208], v[207:208], v[209:210], v[207:208]
	v_div_scale_f64 v[209:210], vcc_lo, 1.0, v[190:191], 1.0
	v_mul_f64 v[211:212], v[209:210], v[207:208]
	v_fma_f64 v[192:193], -v[192:193], v[211:212], v[209:210]
	v_div_fmas_f64 v[192:193], v[192:193], v[207:208], v[211:212]
	v_div_fixup_f64 v[192:193], v[192:193], v[190:191], 1.0
	v_mul_f64 v[190:191], v[205:206], v[192:193]
	v_xor_b32_e32 v193, 0x80000000, v193
.LBB92_322:
	s_andn2_saveexec_b32 s7, s7
	s_cbranch_execz .LBB92_324
; %bb.323:
	v_div_scale_f64 v[205:206], null, v[190:191], v[190:191], v[192:193]
	v_div_scale_f64 v[211:212], vcc_lo, v[192:193], v[190:191], v[192:193]
	v_rcp_f64_e32 v[207:208], v[205:206]
	v_fma_f64 v[209:210], -v[205:206], v[207:208], 1.0
	v_fma_f64 v[207:208], v[207:208], v[209:210], v[207:208]
	v_fma_f64 v[209:210], -v[205:206], v[207:208], 1.0
	v_fma_f64 v[207:208], v[207:208], v[209:210], v[207:208]
	v_mul_f64 v[209:210], v[211:212], v[207:208]
	v_fma_f64 v[205:206], -v[205:206], v[209:210], v[211:212]
	v_div_fmas_f64 v[205:206], v[205:206], v[207:208], v[209:210]
	v_div_fixup_f64 v[205:206], v[205:206], v[190:191], v[192:193]
	v_fma_f64 v[190:191], v[192:193], v[205:206], v[190:191]
	v_div_scale_f64 v[192:193], null, v[190:191], v[190:191], 1.0
	v_rcp_f64_e32 v[207:208], v[192:193]
	v_fma_f64 v[209:210], -v[192:193], v[207:208], 1.0
	v_fma_f64 v[207:208], v[207:208], v[209:210], v[207:208]
	v_fma_f64 v[209:210], -v[192:193], v[207:208], 1.0
	v_fma_f64 v[207:208], v[207:208], v[209:210], v[207:208]
	v_div_scale_f64 v[209:210], vcc_lo, 1.0, v[190:191], 1.0
	v_mul_f64 v[211:212], v[209:210], v[207:208]
	v_fma_f64 v[192:193], -v[192:193], v[211:212], v[209:210]
	v_div_fmas_f64 v[192:193], v[192:193], v[207:208], v[211:212]
	v_div_fixup_f64 v[190:191], v[192:193], v[190:191], 1.0
	v_mul_f64 v[192:193], v[205:206], -v[190:191]
.LBB92_324:
	s_or_b32 exec_lo, exec_lo, s7
.LBB92_325:
	s_or_b32 exec_lo, exec_lo, s0
	s_mov_b32 s0, exec_lo
	v_cmpx_ne_u32_e64 v204, v198
	s_xor_b32 s0, exec_lo, s0
	s_cbranch_execz .LBB92_331
; %bb.326:
	s_mov_b32 s7, exec_lo
	v_cmpx_eq_u32_e32 15, v204
	s_cbranch_execz .LBB92_330
; %bb.327:
	v_cmp_ne_u32_e32 vcc_lo, 15, v198
	s_xor_b32 s8, s16, -1
	s_and_b32 s9, s8, vcc_lo
	s_and_saveexec_b32 s8, s9
	s_cbranch_execz .LBB92_329
; %bb.328:
	v_ashrrev_i32_e32 v199, 31, v198
	v_lshlrev_b64 v[204:205], 2, v[198:199]
	v_add_co_u32 v204, vcc_lo, v196, v204
	v_add_co_ci_u32_e64 v205, null, v197, v205, vcc_lo
	s_clause 0x1
	global_load_dword v0, v[204:205], off
	global_load_dword v199, v[196:197], off offset:60
	s_waitcnt vmcnt(1)
	global_store_dword v[196:197], v0, off offset:60
	s_waitcnt vmcnt(0)
	global_store_dword v[204:205], v199, off
.LBB92_329:
	s_or_b32 exec_lo, exec_lo, s8
	v_mov_b32_e32 v204, v198
	v_mov_b32_e32 v0, v198
.LBB92_330:
	s_or_b32 exec_lo, exec_lo, s7
.LBB92_331:
	s_andn2_saveexec_b32 s0, s0
	s_cbranch_execz .LBB92_333
; %bb.332:
	v_mov_b32_e32 v204, 15
	ds_write2_b64 v1, v[126:127], v[128:129] offset0:32 offset1:33
	ds_write2_b64 v1, v[106:107], v[108:109] offset0:34 offset1:35
	;; [unrolled: 1-line block ×31, first 2 shown]
.LBB92_333:
	s_or_b32 exec_lo, exec_lo, s0
	s_mov_b32 s0, exec_lo
	s_waitcnt lgkmcnt(0)
	s_waitcnt_vscnt null, 0x0
	s_barrier
	buffer_gl0_inv
	v_cmpx_lt_i32_e32 15, v204
	s_cbranch_execz .LBB92_335
; %bb.334:
	v_mul_f64 v[198:199], v[192:193], v[124:125]
	v_mul_f64 v[124:125], v[190:191], v[124:125]
	v_fma_f64 v[198:199], v[190:191], v[122:123], -v[198:199]
	v_fma_f64 v[124:125], v[192:193], v[122:123], v[124:125]
	ds_read2_b64 v[190:193], v1 offset0:32 offset1:33
	s_waitcnt lgkmcnt(0)
	v_mul_f64 v[122:123], v[192:193], v[124:125]
	v_fma_f64 v[122:123], v[190:191], v[198:199], -v[122:123]
	v_mul_f64 v[190:191], v[190:191], v[124:125]
	v_add_f64 v[126:127], v[126:127], -v[122:123]
	v_fma_f64 v[190:191], v[192:193], v[198:199], v[190:191]
	v_add_f64 v[128:129], v[128:129], -v[190:191]
	ds_read2_b64 v[190:193], v1 offset0:34 offset1:35
	s_waitcnt lgkmcnt(0)
	v_mul_f64 v[122:123], v[192:193], v[124:125]
	v_fma_f64 v[122:123], v[190:191], v[198:199], -v[122:123]
	v_mul_f64 v[190:191], v[190:191], v[124:125]
	v_add_f64 v[106:107], v[106:107], -v[122:123]
	v_fma_f64 v[190:191], v[192:193], v[198:199], v[190:191]
	v_add_f64 v[108:109], v[108:109], -v[190:191]
	;; [unrolled: 8-line block ×30, first 2 shown]
	ds_read2_b64 v[190:193], v1 offset0:92 offset1:93
	s_waitcnt lgkmcnt(0)
	v_mul_f64 v[122:123], v[192:193], v[124:125]
	v_fma_f64 v[122:123], v[190:191], v[198:199], -v[122:123]
	v_mul_f64 v[190:191], v[190:191], v[124:125]
	v_add_f64 v[2:3], v[2:3], -v[122:123]
	v_fma_f64 v[190:191], v[192:193], v[198:199], v[190:191]
	v_mov_b32_e32 v122, v198
	v_mov_b32_e32 v123, v199
	v_add_f64 v[4:5], v[4:5], -v[190:191]
.LBB92_335:
	s_or_b32 exec_lo, exec_lo, s0
	v_lshl_add_u32 v190, v204, 4, v1
	s_barrier
	buffer_gl0_inv
	v_mov_b32_e32 v198, 16
	ds_write2_b64 v190, v[126:127], v[128:129] offset1:1
	s_waitcnt lgkmcnt(0)
	s_barrier
	buffer_gl0_inv
	ds_read2_b64 v[190:193], v1 offset0:32 offset1:33
	s_cmp_lt_i32 s1, 18
	s_cbranch_scc1 .LBB92_338
; %bb.336:
	v_add3_u32 v199, v200, 0, 0x110
	v_mov_b32_e32 v198, 16
	s_mov_b32 s7, 17
	s_inst_prefetch 0x1
	.p2align	6
.LBB92_337:                             ; =>This Inner Loop Header: Depth=1
	s_waitcnt lgkmcnt(0)
	v_cmp_gt_f64_e32 vcc_lo, 0, v[192:193]
	v_cmp_gt_f64_e64 s0, 0, v[190:191]
	ds_read2_b64 v[205:208], v199 offset1:1
	v_xor_b32_e32 v210, 0x80000000, v191
	v_xor_b32_e32 v212, 0x80000000, v193
	v_mov_b32_e32 v209, v190
	v_mov_b32_e32 v211, v192
	v_add_nc_u32_e32 v199, 16, v199
	s_waitcnt lgkmcnt(0)
	v_xor_b32_e32 v214, 0x80000000, v208
	v_cndmask_b32_e64 v210, v191, v210, s0
	v_cndmask_b32_e32 v212, v193, v212, vcc_lo
	v_cmp_gt_f64_e32 vcc_lo, 0, v[207:208]
	v_cmp_gt_f64_e64 s0, 0, v[205:206]
	v_mov_b32_e32 v213, v207
	v_add_f64 v[209:210], v[209:210], v[211:212]
	v_xor_b32_e32 v212, 0x80000000, v206
	v_mov_b32_e32 v211, v205
	v_cndmask_b32_e32 v214, v208, v214, vcc_lo
	v_cndmask_b32_e64 v212, v206, v212, s0
	v_add_f64 v[211:212], v[211:212], v[213:214]
	v_cmp_lt_f64_e32 vcc_lo, v[209:210], v[211:212]
	v_cndmask_b32_e32 v191, v191, v206, vcc_lo
	v_cndmask_b32_e32 v190, v190, v205, vcc_lo
	;; [unrolled: 1-line block ×4, first 2 shown]
	v_cndmask_b32_e64 v198, v198, s7, vcc_lo
	s_add_i32 s7, s7, 1
	s_cmp_lg_u32 s1, s7
	s_cbranch_scc1 .LBB92_337
.LBB92_338:
	s_inst_prefetch 0x2
	s_waitcnt lgkmcnt(0)
	v_cmp_eq_f64_e32 vcc_lo, 0, v[190:191]
	v_cmp_eq_f64_e64 s0, 0, v[192:193]
	s_and_b32 s0, vcc_lo, s0
	s_and_saveexec_b32 s7, s0
	s_xor_b32 s0, exec_lo, s7
; %bb.339:
	v_cmp_ne_u32_e32 vcc_lo, 0, v203
	v_cndmask_b32_e32 v203, 17, v203, vcc_lo
; %bb.340:
	s_andn2_saveexec_b32 s0, s0
	s_cbranch_execz .LBB92_346
; %bb.341:
	v_cmp_ngt_f64_e64 s7, |v[190:191]|, |v[192:193]|
	s_and_saveexec_b32 s8, s7
	s_xor_b32 s7, exec_lo, s8
	s_cbranch_execz .LBB92_343
; %bb.342:
	v_div_scale_f64 v[205:206], null, v[192:193], v[192:193], v[190:191]
	v_div_scale_f64 v[211:212], vcc_lo, v[190:191], v[192:193], v[190:191]
	v_rcp_f64_e32 v[207:208], v[205:206]
	v_fma_f64 v[209:210], -v[205:206], v[207:208], 1.0
	v_fma_f64 v[207:208], v[207:208], v[209:210], v[207:208]
	v_fma_f64 v[209:210], -v[205:206], v[207:208], 1.0
	v_fma_f64 v[207:208], v[207:208], v[209:210], v[207:208]
	v_mul_f64 v[209:210], v[211:212], v[207:208]
	v_fma_f64 v[205:206], -v[205:206], v[209:210], v[211:212]
	v_div_fmas_f64 v[205:206], v[205:206], v[207:208], v[209:210]
	v_div_fixup_f64 v[205:206], v[205:206], v[192:193], v[190:191]
	v_fma_f64 v[190:191], v[190:191], v[205:206], v[192:193]
	v_div_scale_f64 v[192:193], null, v[190:191], v[190:191], 1.0
	v_rcp_f64_e32 v[207:208], v[192:193]
	v_fma_f64 v[209:210], -v[192:193], v[207:208], 1.0
	v_fma_f64 v[207:208], v[207:208], v[209:210], v[207:208]
	v_fma_f64 v[209:210], -v[192:193], v[207:208], 1.0
	v_fma_f64 v[207:208], v[207:208], v[209:210], v[207:208]
	v_div_scale_f64 v[209:210], vcc_lo, 1.0, v[190:191], 1.0
	v_mul_f64 v[211:212], v[209:210], v[207:208]
	v_fma_f64 v[192:193], -v[192:193], v[211:212], v[209:210]
	v_div_fmas_f64 v[192:193], v[192:193], v[207:208], v[211:212]
	v_div_fixup_f64 v[192:193], v[192:193], v[190:191], 1.0
	v_mul_f64 v[190:191], v[205:206], v[192:193]
	v_xor_b32_e32 v193, 0x80000000, v193
.LBB92_343:
	s_andn2_saveexec_b32 s7, s7
	s_cbranch_execz .LBB92_345
; %bb.344:
	v_div_scale_f64 v[205:206], null, v[190:191], v[190:191], v[192:193]
	v_div_scale_f64 v[211:212], vcc_lo, v[192:193], v[190:191], v[192:193]
	v_rcp_f64_e32 v[207:208], v[205:206]
	v_fma_f64 v[209:210], -v[205:206], v[207:208], 1.0
	v_fma_f64 v[207:208], v[207:208], v[209:210], v[207:208]
	v_fma_f64 v[209:210], -v[205:206], v[207:208], 1.0
	v_fma_f64 v[207:208], v[207:208], v[209:210], v[207:208]
	v_mul_f64 v[209:210], v[211:212], v[207:208]
	v_fma_f64 v[205:206], -v[205:206], v[209:210], v[211:212]
	v_div_fmas_f64 v[205:206], v[205:206], v[207:208], v[209:210]
	v_div_fixup_f64 v[205:206], v[205:206], v[190:191], v[192:193]
	v_fma_f64 v[190:191], v[192:193], v[205:206], v[190:191]
	v_div_scale_f64 v[192:193], null, v[190:191], v[190:191], 1.0
	v_rcp_f64_e32 v[207:208], v[192:193]
	v_fma_f64 v[209:210], -v[192:193], v[207:208], 1.0
	v_fma_f64 v[207:208], v[207:208], v[209:210], v[207:208]
	v_fma_f64 v[209:210], -v[192:193], v[207:208], 1.0
	v_fma_f64 v[207:208], v[207:208], v[209:210], v[207:208]
	v_div_scale_f64 v[209:210], vcc_lo, 1.0, v[190:191], 1.0
	v_mul_f64 v[211:212], v[209:210], v[207:208]
	v_fma_f64 v[192:193], -v[192:193], v[211:212], v[209:210]
	v_div_fmas_f64 v[192:193], v[192:193], v[207:208], v[211:212]
	v_div_fixup_f64 v[190:191], v[192:193], v[190:191], 1.0
	v_mul_f64 v[192:193], v[205:206], -v[190:191]
.LBB92_345:
	s_or_b32 exec_lo, exec_lo, s7
.LBB92_346:
	s_or_b32 exec_lo, exec_lo, s0
	s_mov_b32 s0, exec_lo
	v_cmpx_ne_u32_e64 v204, v198
	s_xor_b32 s0, exec_lo, s0
	s_cbranch_execz .LBB92_352
; %bb.347:
	s_mov_b32 s7, exec_lo
	v_cmpx_eq_u32_e32 16, v204
	s_cbranch_execz .LBB92_351
; %bb.348:
	v_cmp_ne_u32_e32 vcc_lo, 16, v198
	s_xor_b32 s8, s16, -1
	s_and_b32 s9, s8, vcc_lo
	s_and_saveexec_b32 s8, s9
	s_cbranch_execz .LBB92_350
; %bb.349:
	v_ashrrev_i32_e32 v199, 31, v198
	v_lshlrev_b64 v[204:205], 2, v[198:199]
	v_add_co_u32 v204, vcc_lo, v196, v204
	v_add_co_ci_u32_e64 v205, null, v197, v205, vcc_lo
	s_clause 0x1
	global_load_dword v0, v[204:205], off
	global_load_dword v199, v[196:197], off offset:64
	s_waitcnt vmcnt(1)
	global_store_dword v[196:197], v0, off offset:64
	s_waitcnt vmcnt(0)
	global_store_dword v[204:205], v199, off
.LBB92_350:
	s_or_b32 exec_lo, exec_lo, s8
	v_mov_b32_e32 v204, v198
	v_mov_b32_e32 v0, v198
.LBB92_351:
	s_or_b32 exec_lo, exec_lo, s7
.LBB92_352:
	s_andn2_saveexec_b32 s0, s0
	s_cbranch_execz .LBB92_354
; %bb.353:
	v_mov_b32_e32 v204, 16
	ds_write2_b64 v1, v[106:107], v[108:109] offset0:34 offset1:35
	ds_write2_b64 v1, v[118:119], v[120:121] offset0:36 offset1:37
	;; [unrolled: 1-line block ×30, first 2 shown]
.LBB92_354:
	s_or_b32 exec_lo, exec_lo, s0
	s_mov_b32 s0, exec_lo
	s_waitcnt lgkmcnt(0)
	s_waitcnt_vscnt null, 0x0
	s_barrier
	buffer_gl0_inv
	v_cmpx_lt_i32_e32 16, v204
	s_cbranch_execz .LBB92_356
; %bb.355:
	v_mul_f64 v[198:199], v[192:193], v[128:129]
	v_mul_f64 v[128:129], v[190:191], v[128:129]
	v_fma_f64 v[198:199], v[190:191], v[126:127], -v[198:199]
	v_fma_f64 v[128:129], v[192:193], v[126:127], v[128:129]
	ds_read2_b64 v[190:193], v1 offset0:34 offset1:35
	s_waitcnt lgkmcnt(0)
	v_mul_f64 v[126:127], v[192:193], v[128:129]
	v_fma_f64 v[126:127], v[190:191], v[198:199], -v[126:127]
	v_mul_f64 v[190:191], v[190:191], v[128:129]
	v_add_f64 v[106:107], v[106:107], -v[126:127]
	v_fma_f64 v[190:191], v[192:193], v[198:199], v[190:191]
	v_add_f64 v[108:109], v[108:109], -v[190:191]
	ds_read2_b64 v[190:193], v1 offset0:36 offset1:37
	s_waitcnt lgkmcnt(0)
	v_mul_f64 v[126:127], v[192:193], v[128:129]
	v_fma_f64 v[126:127], v[190:191], v[198:199], -v[126:127]
	v_mul_f64 v[190:191], v[190:191], v[128:129]
	v_add_f64 v[118:119], v[118:119], -v[126:127]
	v_fma_f64 v[190:191], v[192:193], v[198:199], v[190:191]
	v_add_f64 v[120:121], v[120:121], -v[190:191]
	;; [unrolled: 8-line block ×29, first 2 shown]
	ds_read2_b64 v[190:193], v1 offset0:92 offset1:93
	s_waitcnt lgkmcnt(0)
	v_mul_f64 v[126:127], v[192:193], v[128:129]
	v_fma_f64 v[126:127], v[190:191], v[198:199], -v[126:127]
	v_mul_f64 v[190:191], v[190:191], v[128:129]
	v_add_f64 v[2:3], v[2:3], -v[126:127]
	v_fma_f64 v[190:191], v[192:193], v[198:199], v[190:191]
	v_mov_b32_e32 v126, v198
	v_mov_b32_e32 v127, v199
	v_add_f64 v[4:5], v[4:5], -v[190:191]
.LBB92_356:
	s_or_b32 exec_lo, exec_lo, s0
	v_lshl_add_u32 v190, v204, 4, v1
	s_barrier
	buffer_gl0_inv
	v_mov_b32_e32 v198, 17
	ds_write2_b64 v190, v[106:107], v[108:109] offset1:1
	s_waitcnt lgkmcnt(0)
	s_barrier
	buffer_gl0_inv
	ds_read2_b64 v[190:193], v1 offset0:34 offset1:35
	s_cmp_lt_i32 s1, 19
	s_cbranch_scc1 .LBB92_359
; %bb.357:
	v_add3_u32 v199, v200, 0, 0x120
	v_mov_b32_e32 v198, 17
	s_mov_b32 s7, 18
	s_inst_prefetch 0x1
	.p2align	6
.LBB92_358:                             ; =>This Inner Loop Header: Depth=1
	s_waitcnt lgkmcnt(0)
	v_cmp_gt_f64_e32 vcc_lo, 0, v[192:193]
	v_cmp_gt_f64_e64 s0, 0, v[190:191]
	ds_read2_b64 v[205:208], v199 offset1:1
	v_xor_b32_e32 v210, 0x80000000, v191
	v_xor_b32_e32 v212, 0x80000000, v193
	v_mov_b32_e32 v209, v190
	v_mov_b32_e32 v211, v192
	v_add_nc_u32_e32 v199, 16, v199
	s_waitcnt lgkmcnt(0)
	v_xor_b32_e32 v214, 0x80000000, v208
	v_cndmask_b32_e64 v210, v191, v210, s0
	v_cndmask_b32_e32 v212, v193, v212, vcc_lo
	v_cmp_gt_f64_e32 vcc_lo, 0, v[207:208]
	v_cmp_gt_f64_e64 s0, 0, v[205:206]
	v_mov_b32_e32 v213, v207
	v_add_f64 v[209:210], v[209:210], v[211:212]
	v_xor_b32_e32 v212, 0x80000000, v206
	v_mov_b32_e32 v211, v205
	v_cndmask_b32_e32 v214, v208, v214, vcc_lo
	v_cndmask_b32_e64 v212, v206, v212, s0
	v_add_f64 v[211:212], v[211:212], v[213:214]
	v_cmp_lt_f64_e32 vcc_lo, v[209:210], v[211:212]
	v_cndmask_b32_e32 v191, v191, v206, vcc_lo
	v_cndmask_b32_e32 v190, v190, v205, vcc_lo
	;; [unrolled: 1-line block ×4, first 2 shown]
	v_cndmask_b32_e64 v198, v198, s7, vcc_lo
	s_add_i32 s7, s7, 1
	s_cmp_lg_u32 s1, s7
	s_cbranch_scc1 .LBB92_358
.LBB92_359:
	s_inst_prefetch 0x2
	s_waitcnt lgkmcnt(0)
	v_cmp_eq_f64_e32 vcc_lo, 0, v[190:191]
	v_cmp_eq_f64_e64 s0, 0, v[192:193]
	s_and_b32 s0, vcc_lo, s0
	s_and_saveexec_b32 s7, s0
	s_xor_b32 s0, exec_lo, s7
; %bb.360:
	v_cmp_ne_u32_e32 vcc_lo, 0, v203
	v_cndmask_b32_e32 v203, 18, v203, vcc_lo
; %bb.361:
	s_andn2_saveexec_b32 s0, s0
	s_cbranch_execz .LBB92_367
; %bb.362:
	v_cmp_ngt_f64_e64 s7, |v[190:191]|, |v[192:193]|
	s_and_saveexec_b32 s8, s7
	s_xor_b32 s7, exec_lo, s8
	s_cbranch_execz .LBB92_364
; %bb.363:
	v_div_scale_f64 v[205:206], null, v[192:193], v[192:193], v[190:191]
	v_div_scale_f64 v[211:212], vcc_lo, v[190:191], v[192:193], v[190:191]
	v_rcp_f64_e32 v[207:208], v[205:206]
	v_fma_f64 v[209:210], -v[205:206], v[207:208], 1.0
	v_fma_f64 v[207:208], v[207:208], v[209:210], v[207:208]
	v_fma_f64 v[209:210], -v[205:206], v[207:208], 1.0
	v_fma_f64 v[207:208], v[207:208], v[209:210], v[207:208]
	v_mul_f64 v[209:210], v[211:212], v[207:208]
	v_fma_f64 v[205:206], -v[205:206], v[209:210], v[211:212]
	v_div_fmas_f64 v[205:206], v[205:206], v[207:208], v[209:210]
	v_div_fixup_f64 v[205:206], v[205:206], v[192:193], v[190:191]
	v_fma_f64 v[190:191], v[190:191], v[205:206], v[192:193]
	v_div_scale_f64 v[192:193], null, v[190:191], v[190:191], 1.0
	v_rcp_f64_e32 v[207:208], v[192:193]
	v_fma_f64 v[209:210], -v[192:193], v[207:208], 1.0
	v_fma_f64 v[207:208], v[207:208], v[209:210], v[207:208]
	v_fma_f64 v[209:210], -v[192:193], v[207:208], 1.0
	v_fma_f64 v[207:208], v[207:208], v[209:210], v[207:208]
	v_div_scale_f64 v[209:210], vcc_lo, 1.0, v[190:191], 1.0
	v_mul_f64 v[211:212], v[209:210], v[207:208]
	v_fma_f64 v[192:193], -v[192:193], v[211:212], v[209:210]
	v_div_fmas_f64 v[192:193], v[192:193], v[207:208], v[211:212]
	v_div_fixup_f64 v[192:193], v[192:193], v[190:191], 1.0
	v_mul_f64 v[190:191], v[205:206], v[192:193]
	v_xor_b32_e32 v193, 0x80000000, v193
.LBB92_364:
	s_andn2_saveexec_b32 s7, s7
	s_cbranch_execz .LBB92_366
; %bb.365:
	v_div_scale_f64 v[205:206], null, v[190:191], v[190:191], v[192:193]
	v_div_scale_f64 v[211:212], vcc_lo, v[192:193], v[190:191], v[192:193]
	v_rcp_f64_e32 v[207:208], v[205:206]
	v_fma_f64 v[209:210], -v[205:206], v[207:208], 1.0
	v_fma_f64 v[207:208], v[207:208], v[209:210], v[207:208]
	v_fma_f64 v[209:210], -v[205:206], v[207:208], 1.0
	v_fma_f64 v[207:208], v[207:208], v[209:210], v[207:208]
	v_mul_f64 v[209:210], v[211:212], v[207:208]
	v_fma_f64 v[205:206], -v[205:206], v[209:210], v[211:212]
	v_div_fmas_f64 v[205:206], v[205:206], v[207:208], v[209:210]
	v_div_fixup_f64 v[205:206], v[205:206], v[190:191], v[192:193]
	v_fma_f64 v[190:191], v[192:193], v[205:206], v[190:191]
	v_div_scale_f64 v[192:193], null, v[190:191], v[190:191], 1.0
	v_rcp_f64_e32 v[207:208], v[192:193]
	v_fma_f64 v[209:210], -v[192:193], v[207:208], 1.0
	v_fma_f64 v[207:208], v[207:208], v[209:210], v[207:208]
	v_fma_f64 v[209:210], -v[192:193], v[207:208], 1.0
	v_fma_f64 v[207:208], v[207:208], v[209:210], v[207:208]
	v_div_scale_f64 v[209:210], vcc_lo, 1.0, v[190:191], 1.0
	v_mul_f64 v[211:212], v[209:210], v[207:208]
	v_fma_f64 v[192:193], -v[192:193], v[211:212], v[209:210]
	v_div_fmas_f64 v[192:193], v[192:193], v[207:208], v[211:212]
	v_div_fixup_f64 v[190:191], v[192:193], v[190:191], 1.0
	v_mul_f64 v[192:193], v[205:206], -v[190:191]
.LBB92_366:
	s_or_b32 exec_lo, exec_lo, s7
.LBB92_367:
	s_or_b32 exec_lo, exec_lo, s0
	s_mov_b32 s0, exec_lo
	v_cmpx_ne_u32_e64 v204, v198
	s_xor_b32 s0, exec_lo, s0
	s_cbranch_execz .LBB92_373
; %bb.368:
	s_mov_b32 s7, exec_lo
	v_cmpx_eq_u32_e32 17, v204
	s_cbranch_execz .LBB92_372
; %bb.369:
	v_cmp_ne_u32_e32 vcc_lo, 17, v198
	s_xor_b32 s8, s16, -1
	s_and_b32 s9, s8, vcc_lo
	s_and_saveexec_b32 s8, s9
	s_cbranch_execz .LBB92_371
; %bb.370:
	v_ashrrev_i32_e32 v199, 31, v198
	v_lshlrev_b64 v[204:205], 2, v[198:199]
	v_add_co_u32 v204, vcc_lo, v196, v204
	v_add_co_ci_u32_e64 v205, null, v197, v205, vcc_lo
	s_clause 0x1
	global_load_dword v0, v[204:205], off
	global_load_dword v199, v[196:197], off offset:68
	s_waitcnt vmcnt(1)
	global_store_dword v[196:197], v0, off offset:68
	s_waitcnt vmcnt(0)
	global_store_dword v[204:205], v199, off
.LBB92_371:
	s_or_b32 exec_lo, exec_lo, s8
	v_mov_b32_e32 v204, v198
	v_mov_b32_e32 v0, v198
.LBB92_372:
	s_or_b32 exec_lo, exec_lo, s7
.LBB92_373:
	s_andn2_saveexec_b32 s0, s0
	s_cbranch_execz .LBB92_375
; %bb.374:
	v_mov_b32_e32 v204, 17
	ds_write2_b64 v1, v[118:119], v[120:121] offset0:36 offset1:37
	ds_write2_b64 v1, v[114:115], v[116:117] offset0:38 offset1:39
	;; [unrolled: 1-line block ×29, first 2 shown]
.LBB92_375:
	s_or_b32 exec_lo, exec_lo, s0
	s_mov_b32 s0, exec_lo
	s_waitcnt lgkmcnt(0)
	s_waitcnt_vscnt null, 0x0
	s_barrier
	buffer_gl0_inv
	v_cmpx_lt_i32_e32 17, v204
	s_cbranch_execz .LBB92_377
; %bb.376:
	v_mul_f64 v[198:199], v[192:193], v[108:109]
	v_mul_f64 v[108:109], v[190:191], v[108:109]
	v_fma_f64 v[198:199], v[190:191], v[106:107], -v[198:199]
	v_fma_f64 v[108:109], v[192:193], v[106:107], v[108:109]
	ds_read2_b64 v[190:193], v1 offset0:36 offset1:37
	s_waitcnt lgkmcnt(0)
	v_mul_f64 v[106:107], v[192:193], v[108:109]
	v_fma_f64 v[106:107], v[190:191], v[198:199], -v[106:107]
	v_mul_f64 v[190:191], v[190:191], v[108:109]
	v_add_f64 v[118:119], v[118:119], -v[106:107]
	v_fma_f64 v[190:191], v[192:193], v[198:199], v[190:191]
	v_add_f64 v[120:121], v[120:121], -v[190:191]
	ds_read2_b64 v[190:193], v1 offset0:38 offset1:39
	s_waitcnt lgkmcnt(0)
	v_mul_f64 v[106:107], v[192:193], v[108:109]
	v_fma_f64 v[106:107], v[190:191], v[198:199], -v[106:107]
	v_mul_f64 v[190:191], v[190:191], v[108:109]
	v_add_f64 v[114:115], v[114:115], -v[106:107]
	v_fma_f64 v[190:191], v[192:193], v[198:199], v[190:191]
	v_add_f64 v[116:117], v[116:117], -v[190:191]
	;; [unrolled: 8-line block ×28, first 2 shown]
	ds_read2_b64 v[190:193], v1 offset0:92 offset1:93
	s_waitcnt lgkmcnt(0)
	v_mul_f64 v[106:107], v[192:193], v[108:109]
	v_fma_f64 v[106:107], v[190:191], v[198:199], -v[106:107]
	v_mul_f64 v[190:191], v[190:191], v[108:109]
	v_add_f64 v[2:3], v[2:3], -v[106:107]
	v_fma_f64 v[190:191], v[192:193], v[198:199], v[190:191]
	v_mov_b32_e32 v106, v198
	v_mov_b32_e32 v107, v199
	v_add_f64 v[4:5], v[4:5], -v[190:191]
.LBB92_377:
	s_or_b32 exec_lo, exec_lo, s0
	v_lshl_add_u32 v190, v204, 4, v1
	s_barrier
	buffer_gl0_inv
	v_mov_b32_e32 v198, 18
	ds_write2_b64 v190, v[118:119], v[120:121] offset1:1
	s_waitcnt lgkmcnt(0)
	s_barrier
	buffer_gl0_inv
	ds_read2_b64 v[190:193], v1 offset0:36 offset1:37
	s_cmp_lt_i32 s1, 20
	s_cbranch_scc1 .LBB92_380
; %bb.378:
	v_add3_u32 v199, v200, 0, 0x130
	v_mov_b32_e32 v198, 18
	s_mov_b32 s7, 19
	s_inst_prefetch 0x1
	.p2align	6
.LBB92_379:                             ; =>This Inner Loop Header: Depth=1
	s_waitcnt lgkmcnt(0)
	v_cmp_gt_f64_e32 vcc_lo, 0, v[192:193]
	v_cmp_gt_f64_e64 s0, 0, v[190:191]
	ds_read2_b64 v[205:208], v199 offset1:1
	v_xor_b32_e32 v210, 0x80000000, v191
	v_xor_b32_e32 v212, 0x80000000, v193
	v_mov_b32_e32 v209, v190
	v_mov_b32_e32 v211, v192
	v_add_nc_u32_e32 v199, 16, v199
	s_waitcnt lgkmcnt(0)
	v_xor_b32_e32 v214, 0x80000000, v208
	v_cndmask_b32_e64 v210, v191, v210, s0
	v_cndmask_b32_e32 v212, v193, v212, vcc_lo
	v_cmp_gt_f64_e32 vcc_lo, 0, v[207:208]
	v_cmp_gt_f64_e64 s0, 0, v[205:206]
	v_mov_b32_e32 v213, v207
	v_add_f64 v[209:210], v[209:210], v[211:212]
	v_xor_b32_e32 v212, 0x80000000, v206
	v_mov_b32_e32 v211, v205
	v_cndmask_b32_e32 v214, v208, v214, vcc_lo
	v_cndmask_b32_e64 v212, v206, v212, s0
	v_add_f64 v[211:212], v[211:212], v[213:214]
	v_cmp_lt_f64_e32 vcc_lo, v[209:210], v[211:212]
	v_cndmask_b32_e32 v191, v191, v206, vcc_lo
	v_cndmask_b32_e32 v190, v190, v205, vcc_lo
	v_cndmask_b32_e32 v193, v193, v208, vcc_lo
	v_cndmask_b32_e32 v192, v192, v207, vcc_lo
	v_cndmask_b32_e64 v198, v198, s7, vcc_lo
	s_add_i32 s7, s7, 1
	s_cmp_lg_u32 s1, s7
	s_cbranch_scc1 .LBB92_379
.LBB92_380:
	s_inst_prefetch 0x2
	s_waitcnt lgkmcnt(0)
	v_cmp_eq_f64_e32 vcc_lo, 0, v[190:191]
	v_cmp_eq_f64_e64 s0, 0, v[192:193]
	s_and_b32 s0, vcc_lo, s0
	s_and_saveexec_b32 s7, s0
	s_xor_b32 s0, exec_lo, s7
; %bb.381:
	v_cmp_ne_u32_e32 vcc_lo, 0, v203
	v_cndmask_b32_e32 v203, 19, v203, vcc_lo
; %bb.382:
	s_andn2_saveexec_b32 s0, s0
	s_cbranch_execz .LBB92_388
; %bb.383:
	v_cmp_ngt_f64_e64 s7, |v[190:191]|, |v[192:193]|
	s_and_saveexec_b32 s8, s7
	s_xor_b32 s7, exec_lo, s8
	s_cbranch_execz .LBB92_385
; %bb.384:
	v_div_scale_f64 v[205:206], null, v[192:193], v[192:193], v[190:191]
	v_div_scale_f64 v[211:212], vcc_lo, v[190:191], v[192:193], v[190:191]
	v_rcp_f64_e32 v[207:208], v[205:206]
	v_fma_f64 v[209:210], -v[205:206], v[207:208], 1.0
	v_fma_f64 v[207:208], v[207:208], v[209:210], v[207:208]
	v_fma_f64 v[209:210], -v[205:206], v[207:208], 1.0
	v_fma_f64 v[207:208], v[207:208], v[209:210], v[207:208]
	v_mul_f64 v[209:210], v[211:212], v[207:208]
	v_fma_f64 v[205:206], -v[205:206], v[209:210], v[211:212]
	v_div_fmas_f64 v[205:206], v[205:206], v[207:208], v[209:210]
	v_div_fixup_f64 v[205:206], v[205:206], v[192:193], v[190:191]
	v_fma_f64 v[190:191], v[190:191], v[205:206], v[192:193]
	v_div_scale_f64 v[192:193], null, v[190:191], v[190:191], 1.0
	v_rcp_f64_e32 v[207:208], v[192:193]
	v_fma_f64 v[209:210], -v[192:193], v[207:208], 1.0
	v_fma_f64 v[207:208], v[207:208], v[209:210], v[207:208]
	v_fma_f64 v[209:210], -v[192:193], v[207:208], 1.0
	v_fma_f64 v[207:208], v[207:208], v[209:210], v[207:208]
	v_div_scale_f64 v[209:210], vcc_lo, 1.0, v[190:191], 1.0
	v_mul_f64 v[211:212], v[209:210], v[207:208]
	v_fma_f64 v[192:193], -v[192:193], v[211:212], v[209:210]
	v_div_fmas_f64 v[192:193], v[192:193], v[207:208], v[211:212]
	v_div_fixup_f64 v[192:193], v[192:193], v[190:191], 1.0
	v_mul_f64 v[190:191], v[205:206], v[192:193]
	v_xor_b32_e32 v193, 0x80000000, v193
.LBB92_385:
	s_andn2_saveexec_b32 s7, s7
	s_cbranch_execz .LBB92_387
; %bb.386:
	v_div_scale_f64 v[205:206], null, v[190:191], v[190:191], v[192:193]
	v_div_scale_f64 v[211:212], vcc_lo, v[192:193], v[190:191], v[192:193]
	v_rcp_f64_e32 v[207:208], v[205:206]
	v_fma_f64 v[209:210], -v[205:206], v[207:208], 1.0
	v_fma_f64 v[207:208], v[207:208], v[209:210], v[207:208]
	v_fma_f64 v[209:210], -v[205:206], v[207:208], 1.0
	v_fma_f64 v[207:208], v[207:208], v[209:210], v[207:208]
	v_mul_f64 v[209:210], v[211:212], v[207:208]
	v_fma_f64 v[205:206], -v[205:206], v[209:210], v[211:212]
	v_div_fmas_f64 v[205:206], v[205:206], v[207:208], v[209:210]
	v_div_fixup_f64 v[205:206], v[205:206], v[190:191], v[192:193]
	v_fma_f64 v[190:191], v[192:193], v[205:206], v[190:191]
	v_div_scale_f64 v[192:193], null, v[190:191], v[190:191], 1.0
	v_rcp_f64_e32 v[207:208], v[192:193]
	v_fma_f64 v[209:210], -v[192:193], v[207:208], 1.0
	v_fma_f64 v[207:208], v[207:208], v[209:210], v[207:208]
	v_fma_f64 v[209:210], -v[192:193], v[207:208], 1.0
	v_fma_f64 v[207:208], v[207:208], v[209:210], v[207:208]
	v_div_scale_f64 v[209:210], vcc_lo, 1.0, v[190:191], 1.0
	v_mul_f64 v[211:212], v[209:210], v[207:208]
	v_fma_f64 v[192:193], -v[192:193], v[211:212], v[209:210]
	v_div_fmas_f64 v[192:193], v[192:193], v[207:208], v[211:212]
	v_div_fixup_f64 v[190:191], v[192:193], v[190:191], 1.0
	v_mul_f64 v[192:193], v[205:206], -v[190:191]
.LBB92_387:
	s_or_b32 exec_lo, exec_lo, s7
.LBB92_388:
	s_or_b32 exec_lo, exec_lo, s0
	s_mov_b32 s0, exec_lo
	v_cmpx_ne_u32_e64 v204, v198
	s_xor_b32 s0, exec_lo, s0
	s_cbranch_execz .LBB92_394
; %bb.389:
	s_mov_b32 s7, exec_lo
	v_cmpx_eq_u32_e32 18, v204
	s_cbranch_execz .LBB92_393
; %bb.390:
	v_cmp_ne_u32_e32 vcc_lo, 18, v198
	s_xor_b32 s8, s16, -1
	s_and_b32 s9, s8, vcc_lo
	s_and_saveexec_b32 s8, s9
	s_cbranch_execz .LBB92_392
; %bb.391:
	v_ashrrev_i32_e32 v199, 31, v198
	v_lshlrev_b64 v[204:205], 2, v[198:199]
	v_add_co_u32 v204, vcc_lo, v196, v204
	v_add_co_ci_u32_e64 v205, null, v197, v205, vcc_lo
	s_clause 0x1
	global_load_dword v0, v[204:205], off
	global_load_dword v199, v[196:197], off offset:72
	s_waitcnt vmcnt(1)
	global_store_dword v[196:197], v0, off offset:72
	s_waitcnt vmcnt(0)
	global_store_dword v[204:205], v199, off
.LBB92_392:
	s_or_b32 exec_lo, exec_lo, s8
	v_mov_b32_e32 v204, v198
	v_mov_b32_e32 v0, v198
.LBB92_393:
	s_or_b32 exec_lo, exec_lo, s7
.LBB92_394:
	s_andn2_saveexec_b32 s0, s0
	s_cbranch_execz .LBB92_396
; %bb.395:
	v_mov_b32_e32 v204, 18
	ds_write2_b64 v1, v[114:115], v[116:117] offset0:38 offset1:39
	ds_write2_b64 v1, v[102:103], v[104:105] offset0:40 offset1:41
	;; [unrolled: 1-line block ×28, first 2 shown]
.LBB92_396:
	s_or_b32 exec_lo, exec_lo, s0
	s_mov_b32 s0, exec_lo
	s_waitcnt lgkmcnt(0)
	s_waitcnt_vscnt null, 0x0
	s_barrier
	buffer_gl0_inv
	v_cmpx_lt_i32_e32 18, v204
	s_cbranch_execz .LBB92_398
; %bb.397:
	v_mul_f64 v[198:199], v[192:193], v[120:121]
	v_mul_f64 v[120:121], v[190:191], v[120:121]
	v_fma_f64 v[198:199], v[190:191], v[118:119], -v[198:199]
	v_fma_f64 v[120:121], v[192:193], v[118:119], v[120:121]
	ds_read2_b64 v[190:193], v1 offset0:38 offset1:39
	s_waitcnt lgkmcnt(0)
	v_mul_f64 v[118:119], v[192:193], v[120:121]
	v_fma_f64 v[118:119], v[190:191], v[198:199], -v[118:119]
	v_mul_f64 v[190:191], v[190:191], v[120:121]
	v_add_f64 v[114:115], v[114:115], -v[118:119]
	v_fma_f64 v[190:191], v[192:193], v[198:199], v[190:191]
	v_add_f64 v[116:117], v[116:117], -v[190:191]
	ds_read2_b64 v[190:193], v1 offset0:40 offset1:41
	s_waitcnt lgkmcnt(0)
	v_mul_f64 v[118:119], v[192:193], v[120:121]
	v_fma_f64 v[118:119], v[190:191], v[198:199], -v[118:119]
	v_mul_f64 v[190:191], v[190:191], v[120:121]
	v_add_f64 v[102:103], v[102:103], -v[118:119]
	v_fma_f64 v[190:191], v[192:193], v[198:199], v[190:191]
	v_add_f64 v[104:105], v[104:105], -v[190:191]
	;; [unrolled: 8-line block ×27, first 2 shown]
	ds_read2_b64 v[190:193], v1 offset0:92 offset1:93
	s_waitcnt lgkmcnt(0)
	v_mul_f64 v[118:119], v[192:193], v[120:121]
	v_fma_f64 v[118:119], v[190:191], v[198:199], -v[118:119]
	v_mul_f64 v[190:191], v[190:191], v[120:121]
	v_add_f64 v[2:3], v[2:3], -v[118:119]
	v_fma_f64 v[190:191], v[192:193], v[198:199], v[190:191]
	v_mov_b32_e32 v118, v198
	v_mov_b32_e32 v119, v199
	v_add_f64 v[4:5], v[4:5], -v[190:191]
.LBB92_398:
	s_or_b32 exec_lo, exec_lo, s0
	v_lshl_add_u32 v190, v204, 4, v1
	s_barrier
	buffer_gl0_inv
	v_mov_b32_e32 v198, 19
	ds_write2_b64 v190, v[114:115], v[116:117] offset1:1
	s_waitcnt lgkmcnt(0)
	s_barrier
	buffer_gl0_inv
	ds_read2_b64 v[190:193], v1 offset0:38 offset1:39
	s_cmp_lt_i32 s1, 21
	s_cbranch_scc1 .LBB92_401
; %bb.399:
	v_add3_u32 v199, v200, 0, 0x140
	v_mov_b32_e32 v198, 19
	s_mov_b32 s7, 20
	s_inst_prefetch 0x1
	.p2align	6
.LBB92_400:                             ; =>This Inner Loop Header: Depth=1
	s_waitcnt lgkmcnt(0)
	v_cmp_gt_f64_e32 vcc_lo, 0, v[192:193]
	v_cmp_gt_f64_e64 s0, 0, v[190:191]
	ds_read2_b64 v[205:208], v199 offset1:1
	v_xor_b32_e32 v210, 0x80000000, v191
	v_xor_b32_e32 v212, 0x80000000, v193
	v_mov_b32_e32 v209, v190
	v_mov_b32_e32 v211, v192
	v_add_nc_u32_e32 v199, 16, v199
	s_waitcnt lgkmcnt(0)
	v_xor_b32_e32 v214, 0x80000000, v208
	v_cndmask_b32_e64 v210, v191, v210, s0
	v_cndmask_b32_e32 v212, v193, v212, vcc_lo
	v_cmp_gt_f64_e32 vcc_lo, 0, v[207:208]
	v_cmp_gt_f64_e64 s0, 0, v[205:206]
	v_mov_b32_e32 v213, v207
	v_add_f64 v[209:210], v[209:210], v[211:212]
	v_xor_b32_e32 v212, 0x80000000, v206
	v_mov_b32_e32 v211, v205
	v_cndmask_b32_e32 v214, v208, v214, vcc_lo
	v_cndmask_b32_e64 v212, v206, v212, s0
	v_add_f64 v[211:212], v[211:212], v[213:214]
	v_cmp_lt_f64_e32 vcc_lo, v[209:210], v[211:212]
	v_cndmask_b32_e32 v191, v191, v206, vcc_lo
	v_cndmask_b32_e32 v190, v190, v205, vcc_lo
	;; [unrolled: 1-line block ×4, first 2 shown]
	v_cndmask_b32_e64 v198, v198, s7, vcc_lo
	s_add_i32 s7, s7, 1
	s_cmp_lg_u32 s1, s7
	s_cbranch_scc1 .LBB92_400
.LBB92_401:
	s_inst_prefetch 0x2
	s_waitcnt lgkmcnt(0)
	v_cmp_eq_f64_e32 vcc_lo, 0, v[190:191]
	v_cmp_eq_f64_e64 s0, 0, v[192:193]
	s_and_b32 s0, vcc_lo, s0
	s_and_saveexec_b32 s7, s0
	s_xor_b32 s0, exec_lo, s7
; %bb.402:
	v_cmp_ne_u32_e32 vcc_lo, 0, v203
	v_cndmask_b32_e32 v203, 20, v203, vcc_lo
; %bb.403:
	s_andn2_saveexec_b32 s0, s0
	s_cbranch_execz .LBB92_409
; %bb.404:
	v_cmp_ngt_f64_e64 s7, |v[190:191]|, |v[192:193]|
	s_and_saveexec_b32 s8, s7
	s_xor_b32 s7, exec_lo, s8
	s_cbranch_execz .LBB92_406
; %bb.405:
	v_div_scale_f64 v[205:206], null, v[192:193], v[192:193], v[190:191]
	v_div_scale_f64 v[211:212], vcc_lo, v[190:191], v[192:193], v[190:191]
	v_rcp_f64_e32 v[207:208], v[205:206]
	v_fma_f64 v[209:210], -v[205:206], v[207:208], 1.0
	v_fma_f64 v[207:208], v[207:208], v[209:210], v[207:208]
	v_fma_f64 v[209:210], -v[205:206], v[207:208], 1.0
	v_fma_f64 v[207:208], v[207:208], v[209:210], v[207:208]
	v_mul_f64 v[209:210], v[211:212], v[207:208]
	v_fma_f64 v[205:206], -v[205:206], v[209:210], v[211:212]
	v_div_fmas_f64 v[205:206], v[205:206], v[207:208], v[209:210]
	v_div_fixup_f64 v[205:206], v[205:206], v[192:193], v[190:191]
	v_fma_f64 v[190:191], v[190:191], v[205:206], v[192:193]
	v_div_scale_f64 v[192:193], null, v[190:191], v[190:191], 1.0
	v_rcp_f64_e32 v[207:208], v[192:193]
	v_fma_f64 v[209:210], -v[192:193], v[207:208], 1.0
	v_fma_f64 v[207:208], v[207:208], v[209:210], v[207:208]
	v_fma_f64 v[209:210], -v[192:193], v[207:208], 1.0
	v_fma_f64 v[207:208], v[207:208], v[209:210], v[207:208]
	v_div_scale_f64 v[209:210], vcc_lo, 1.0, v[190:191], 1.0
	v_mul_f64 v[211:212], v[209:210], v[207:208]
	v_fma_f64 v[192:193], -v[192:193], v[211:212], v[209:210]
	v_div_fmas_f64 v[192:193], v[192:193], v[207:208], v[211:212]
	v_div_fixup_f64 v[192:193], v[192:193], v[190:191], 1.0
	v_mul_f64 v[190:191], v[205:206], v[192:193]
	v_xor_b32_e32 v193, 0x80000000, v193
.LBB92_406:
	s_andn2_saveexec_b32 s7, s7
	s_cbranch_execz .LBB92_408
; %bb.407:
	v_div_scale_f64 v[205:206], null, v[190:191], v[190:191], v[192:193]
	v_div_scale_f64 v[211:212], vcc_lo, v[192:193], v[190:191], v[192:193]
	v_rcp_f64_e32 v[207:208], v[205:206]
	v_fma_f64 v[209:210], -v[205:206], v[207:208], 1.0
	v_fma_f64 v[207:208], v[207:208], v[209:210], v[207:208]
	v_fma_f64 v[209:210], -v[205:206], v[207:208], 1.0
	v_fma_f64 v[207:208], v[207:208], v[209:210], v[207:208]
	v_mul_f64 v[209:210], v[211:212], v[207:208]
	v_fma_f64 v[205:206], -v[205:206], v[209:210], v[211:212]
	v_div_fmas_f64 v[205:206], v[205:206], v[207:208], v[209:210]
	v_div_fixup_f64 v[205:206], v[205:206], v[190:191], v[192:193]
	v_fma_f64 v[190:191], v[192:193], v[205:206], v[190:191]
	v_div_scale_f64 v[192:193], null, v[190:191], v[190:191], 1.0
	v_rcp_f64_e32 v[207:208], v[192:193]
	v_fma_f64 v[209:210], -v[192:193], v[207:208], 1.0
	v_fma_f64 v[207:208], v[207:208], v[209:210], v[207:208]
	v_fma_f64 v[209:210], -v[192:193], v[207:208], 1.0
	v_fma_f64 v[207:208], v[207:208], v[209:210], v[207:208]
	v_div_scale_f64 v[209:210], vcc_lo, 1.0, v[190:191], 1.0
	v_mul_f64 v[211:212], v[209:210], v[207:208]
	v_fma_f64 v[192:193], -v[192:193], v[211:212], v[209:210]
	v_div_fmas_f64 v[192:193], v[192:193], v[207:208], v[211:212]
	v_div_fixup_f64 v[190:191], v[192:193], v[190:191], 1.0
	v_mul_f64 v[192:193], v[205:206], -v[190:191]
.LBB92_408:
	s_or_b32 exec_lo, exec_lo, s7
.LBB92_409:
	s_or_b32 exec_lo, exec_lo, s0
	s_mov_b32 s0, exec_lo
	v_cmpx_ne_u32_e64 v204, v198
	s_xor_b32 s0, exec_lo, s0
	s_cbranch_execz .LBB92_415
; %bb.410:
	s_mov_b32 s7, exec_lo
	v_cmpx_eq_u32_e32 19, v204
	s_cbranch_execz .LBB92_414
; %bb.411:
	v_cmp_ne_u32_e32 vcc_lo, 19, v198
	s_xor_b32 s8, s16, -1
	s_and_b32 s9, s8, vcc_lo
	s_and_saveexec_b32 s8, s9
	s_cbranch_execz .LBB92_413
; %bb.412:
	v_ashrrev_i32_e32 v199, 31, v198
	v_lshlrev_b64 v[204:205], 2, v[198:199]
	v_add_co_u32 v204, vcc_lo, v196, v204
	v_add_co_ci_u32_e64 v205, null, v197, v205, vcc_lo
	s_clause 0x1
	global_load_dword v0, v[204:205], off
	global_load_dword v199, v[196:197], off offset:76
	s_waitcnt vmcnt(1)
	global_store_dword v[196:197], v0, off offset:76
	s_waitcnt vmcnt(0)
	global_store_dword v[204:205], v199, off
.LBB92_413:
	s_or_b32 exec_lo, exec_lo, s8
	v_mov_b32_e32 v204, v198
	v_mov_b32_e32 v0, v198
.LBB92_414:
	s_or_b32 exec_lo, exec_lo, s7
.LBB92_415:
	s_andn2_saveexec_b32 s0, s0
	s_cbranch_execz .LBB92_417
; %bb.416:
	v_mov_b32_e32 v204, 19
	ds_write2_b64 v1, v[102:103], v[104:105] offset0:40 offset1:41
	ds_write2_b64 v1, v[98:99], v[100:101] offset0:42 offset1:43
	;; [unrolled: 1-line block ×27, first 2 shown]
.LBB92_417:
	s_or_b32 exec_lo, exec_lo, s0
	s_mov_b32 s0, exec_lo
	s_waitcnt lgkmcnt(0)
	s_waitcnt_vscnt null, 0x0
	s_barrier
	buffer_gl0_inv
	v_cmpx_lt_i32_e32 19, v204
	s_cbranch_execz .LBB92_419
; %bb.418:
	v_mul_f64 v[198:199], v[192:193], v[116:117]
	v_mul_f64 v[116:117], v[190:191], v[116:117]
	v_fma_f64 v[198:199], v[190:191], v[114:115], -v[198:199]
	v_fma_f64 v[116:117], v[192:193], v[114:115], v[116:117]
	ds_read2_b64 v[190:193], v1 offset0:40 offset1:41
	s_waitcnt lgkmcnt(0)
	v_mul_f64 v[114:115], v[192:193], v[116:117]
	v_fma_f64 v[114:115], v[190:191], v[198:199], -v[114:115]
	v_mul_f64 v[190:191], v[190:191], v[116:117]
	v_add_f64 v[102:103], v[102:103], -v[114:115]
	v_fma_f64 v[190:191], v[192:193], v[198:199], v[190:191]
	v_add_f64 v[104:105], v[104:105], -v[190:191]
	ds_read2_b64 v[190:193], v1 offset0:42 offset1:43
	s_waitcnt lgkmcnt(0)
	v_mul_f64 v[114:115], v[192:193], v[116:117]
	v_fma_f64 v[114:115], v[190:191], v[198:199], -v[114:115]
	v_mul_f64 v[190:191], v[190:191], v[116:117]
	v_add_f64 v[98:99], v[98:99], -v[114:115]
	v_fma_f64 v[190:191], v[192:193], v[198:199], v[190:191]
	v_add_f64 v[100:101], v[100:101], -v[190:191]
	;; [unrolled: 8-line block ×26, first 2 shown]
	ds_read2_b64 v[190:193], v1 offset0:92 offset1:93
	s_waitcnt lgkmcnt(0)
	v_mul_f64 v[114:115], v[192:193], v[116:117]
	v_fma_f64 v[114:115], v[190:191], v[198:199], -v[114:115]
	v_mul_f64 v[190:191], v[190:191], v[116:117]
	v_add_f64 v[2:3], v[2:3], -v[114:115]
	v_fma_f64 v[190:191], v[192:193], v[198:199], v[190:191]
	v_mov_b32_e32 v114, v198
	v_mov_b32_e32 v115, v199
	v_add_f64 v[4:5], v[4:5], -v[190:191]
.LBB92_419:
	s_or_b32 exec_lo, exec_lo, s0
	v_lshl_add_u32 v190, v204, 4, v1
	s_barrier
	buffer_gl0_inv
	v_mov_b32_e32 v198, 20
	ds_write2_b64 v190, v[102:103], v[104:105] offset1:1
	s_waitcnt lgkmcnt(0)
	s_barrier
	buffer_gl0_inv
	ds_read2_b64 v[190:193], v1 offset0:40 offset1:41
	s_cmp_lt_i32 s1, 22
	s_cbranch_scc1 .LBB92_422
; %bb.420:
	v_add3_u32 v199, v200, 0, 0x150
	v_mov_b32_e32 v198, 20
	s_mov_b32 s7, 21
	s_inst_prefetch 0x1
	.p2align	6
.LBB92_421:                             ; =>This Inner Loop Header: Depth=1
	s_waitcnt lgkmcnt(0)
	v_cmp_gt_f64_e32 vcc_lo, 0, v[192:193]
	v_cmp_gt_f64_e64 s0, 0, v[190:191]
	ds_read2_b64 v[205:208], v199 offset1:1
	v_xor_b32_e32 v210, 0x80000000, v191
	v_xor_b32_e32 v212, 0x80000000, v193
	v_mov_b32_e32 v209, v190
	v_mov_b32_e32 v211, v192
	v_add_nc_u32_e32 v199, 16, v199
	s_waitcnt lgkmcnt(0)
	v_xor_b32_e32 v214, 0x80000000, v208
	v_cndmask_b32_e64 v210, v191, v210, s0
	v_cndmask_b32_e32 v212, v193, v212, vcc_lo
	v_cmp_gt_f64_e32 vcc_lo, 0, v[207:208]
	v_cmp_gt_f64_e64 s0, 0, v[205:206]
	v_mov_b32_e32 v213, v207
	v_add_f64 v[209:210], v[209:210], v[211:212]
	v_xor_b32_e32 v212, 0x80000000, v206
	v_mov_b32_e32 v211, v205
	v_cndmask_b32_e32 v214, v208, v214, vcc_lo
	v_cndmask_b32_e64 v212, v206, v212, s0
	v_add_f64 v[211:212], v[211:212], v[213:214]
	v_cmp_lt_f64_e32 vcc_lo, v[209:210], v[211:212]
	v_cndmask_b32_e32 v191, v191, v206, vcc_lo
	v_cndmask_b32_e32 v190, v190, v205, vcc_lo
	;; [unrolled: 1-line block ×4, first 2 shown]
	v_cndmask_b32_e64 v198, v198, s7, vcc_lo
	s_add_i32 s7, s7, 1
	s_cmp_lg_u32 s1, s7
	s_cbranch_scc1 .LBB92_421
.LBB92_422:
	s_inst_prefetch 0x2
	s_waitcnt lgkmcnt(0)
	v_cmp_eq_f64_e32 vcc_lo, 0, v[190:191]
	v_cmp_eq_f64_e64 s0, 0, v[192:193]
	s_and_b32 s0, vcc_lo, s0
	s_and_saveexec_b32 s7, s0
	s_xor_b32 s0, exec_lo, s7
; %bb.423:
	v_cmp_ne_u32_e32 vcc_lo, 0, v203
	v_cndmask_b32_e32 v203, 21, v203, vcc_lo
; %bb.424:
	s_andn2_saveexec_b32 s0, s0
	s_cbranch_execz .LBB92_430
; %bb.425:
	v_cmp_ngt_f64_e64 s7, |v[190:191]|, |v[192:193]|
	s_and_saveexec_b32 s8, s7
	s_xor_b32 s7, exec_lo, s8
	s_cbranch_execz .LBB92_427
; %bb.426:
	v_div_scale_f64 v[205:206], null, v[192:193], v[192:193], v[190:191]
	v_div_scale_f64 v[211:212], vcc_lo, v[190:191], v[192:193], v[190:191]
	v_rcp_f64_e32 v[207:208], v[205:206]
	v_fma_f64 v[209:210], -v[205:206], v[207:208], 1.0
	v_fma_f64 v[207:208], v[207:208], v[209:210], v[207:208]
	v_fma_f64 v[209:210], -v[205:206], v[207:208], 1.0
	v_fma_f64 v[207:208], v[207:208], v[209:210], v[207:208]
	v_mul_f64 v[209:210], v[211:212], v[207:208]
	v_fma_f64 v[205:206], -v[205:206], v[209:210], v[211:212]
	v_div_fmas_f64 v[205:206], v[205:206], v[207:208], v[209:210]
	v_div_fixup_f64 v[205:206], v[205:206], v[192:193], v[190:191]
	v_fma_f64 v[190:191], v[190:191], v[205:206], v[192:193]
	v_div_scale_f64 v[192:193], null, v[190:191], v[190:191], 1.0
	v_rcp_f64_e32 v[207:208], v[192:193]
	v_fma_f64 v[209:210], -v[192:193], v[207:208], 1.0
	v_fma_f64 v[207:208], v[207:208], v[209:210], v[207:208]
	v_fma_f64 v[209:210], -v[192:193], v[207:208], 1.0
	v_fma_f64 v[207:208], v[207:208], v[209:210], v[207:208]
	v_div_scale_f64 v[209:210], vcc_lo, 1.0, v[190:191], 1.0
	v_mul_f64 v[211:212], v[209:210], v[207:208]
	v_fma_f64 v[192:193], -v[192:193], v[211:212], v[209:210]
	v_div_fmas_f64 v[192:193], v[192:193], v[207:208], v[211:212]
	v_div_fixup_f64 v[192:193], v[192:193], v[190:191], 1.0
	v_mul_f64 v[190:191], v[205:206], v[192:193]
	v_xor_b32_e32 v193, 0x80000000, v193
.LBB92_427:
	s_andn2_saveexec_b32 s7, s7
	s_cbranch_execz .LBB92_429
; %bb.428:
	v_div_scale_f64 v[205:206], null, v[190:191], v[190:191], v[192:193]
	v_div_scale_f64 v[211:212], vcc_lo, v[192:193], v[190:191], v[192:193]
	v_rcp_f64_e32 v[207:208], v[205:206]
	v_fma_f64 v[209:210], -v[205:206], v[207:208], 1.0
	v_fma_f64 v[207:208], v[207:208], v[209:210], v[207:208]
	v_fma_f64 v[209:210], -v[205:206], v[207:208], 1.0
	v_fma_f64 v[207:208], v[207:208], v[209:210], v[207:208]
	v_mul_f64 v[209:210], v[211:212], v[207:208]
	v_fma_f64 v[205:206], -v[205:206], v[209:210], v[211:212]
	v_div_fmas_f64 v[205:206], v[205:206], v[207:208], v[209:210]
	v_div_fixup_f64 v[205:206], v[205:206], v[190:191], v[192:193]
	v_fma_f64 v[190:191], v[192:193], v[205:206], v[190:191]
	v_div_scale_f64 v[192:193], null, v[190:191], v[190:191], 1.0
	v_rcp_f64_e32 v[207:208], v[192:193]
	v_fma_f64 v[209:210], -v[192:193], v[207:208], 1.0
	v_fma_f64 v[207:208], v[207:208], v[209:210], v[207:208]
	v_fma_f64 v[209:210], -v[192:193], v[207:208], 1.0
	v_fma_f64 v[207:208], v[207:208], v[209:210], v[207:208]
	v_div_scale_f64 v[209:210], vcc_lo, 1.0, v[190:191], 1.0
	v_mul_f64 v[211:212], v[209:210], v[207:208]
	v_fma_f64 v[192:193], -v[192:193], v[211:212], v[209:210]
	v_div_fmas_f64 v[192:193], v[192:193], v[207:208], v[211:212]
	v_div_fixup_f64 v[190:191], v[192:193], v[190:191], 1.0
	v_mul_f64 v[192:193], v[205:206], -v[190:191]
.LBB92_429:
	s_or_b32 exec_lo, exec_lo, s7
.LBB92_430:
	s_or_b32 exec_lo, exec_lo, s0
	s_mov_b32 s0, exec_lo
	v_cmpx_ne_u32_e64 v204, v198
	s_xor_b32 s0, exec_lo, s0
	s_cbranch_execz .LBB92_436
; %bb.431:
	s_mov_b32 s7, exec_lo
	v_cmpx_eq_u32_e32 20, v204
	s_cbranch_execz .LBB92_435
; %bb.432:
	v_cmp_ne_u32_e32 vcc_lo, 20, v198
	s_xor_b32 s8, s16, -1
	s_and_b32 s9, s8, vcc_lo
	s_and_saveexec_b32 s8, s9
	s_cbranch_execz .LBB92_434
; %bb.433:
	v_ashrrev_i32_e32 v199, 31, v198
	v_lshlrev_b64 v[204:205], 2, v[198:199]
	v_add_co_u32 v204, vcc_lo, v196, v204
	v_add_co_ci_u32_e64 v205, null, v197, v205, vcc_lo
	s_clause 0x1
	global_load_dword v0, v[204:205], off
	global_load_dword v199, v[196:197], off offset:80
	s_waitcnt vmcnt(1)
	global_store_dword v[196:197], v0, off offset:80
	s_waitcnt vmcnt(0)
	global_store_dword v[204:205], v199, off
.LBB92_434:
	s_or_b32 exec_lo, exec_lo, s8
	v_mov_b32_e32 v204, v198
	v_mov_b32_e32 v0, v198
.LBB92_435:
	s_or_b32 exec_lo, exec_lo, s7
.LBB92_436:
	s_andn2_saveexec_b32 s0, s0
	s_cbranch_execz .LBB92_438
; %bb.437:
	v_mov_b32_e32 v204, 20
	ds_write2_b64 v1, v[98:99], v[100:101] offset0:42 offset1:43
	ds_write2_b64 v1, v[78:79], v[80:81] offset0:44 offset1:45
	;; [unrolled: 1-line block ×26, first 2 shown]
.LBB92_438:
	s_or_b32 exec_lo, exec_lo, s0
	s_mov_b32 s0, exec_lo
	s_waitcnt lgkmcnt(0)
	s_waitcnt_vscnt null, 0x0
	s_barrier
	buffer_gl0_inv
	v_cmpx_lt_i32_e32 20, v204
	s_cbranch_execz .LBB92_440
; %bb.439:
	v_mul_f64 v[198:199], v[192:193], v[104:105]
	v_mul_f64 v[104:105], v[190:191], v[104:105]
	v_fma_f64 v[198:199], v[190:191], v[102:103], -v[198:199]
	v_fma_f64 v[104:105], v[192:193], v[102:103], v[104:105]
	ds_read2_b64 v[190:193], v1 offset0:42 offset1:43
	s_waitcnt lgkmcnt(0)
	v_mul_f64 v[102:103], v[192:193], v[104:105]
	v_fma_f64 v[102:103], v[190:191], v[198:199], -v[102:103]
	v_mul_f64 v[190:191], v[190:191], v[104:105]
	v_add_f64 v[98:99], v[98:99], -v[102:103]
	v_fma_f64 v[190:191], v[192:193], v[198:199], v[190:191]
	v_add_f64 v[100:101], v[100:101], -v[190:191]
	ds_read2_b64 v[190:193], v1 offset0:44 offset1:45
	s_waitcnt lgkmcnt(0)
	v_mul_f64 v[102:103], v[192:193], v[104:105]
	v_fma_f64 v[102:103], v[190:191], v[198:199], -v[102:103]
	v_mul_f64 v[190:191], v[190:191], v[104:105]
	v_add_f64 v[78:79], v[78:79], -v[102:103]
	v_fma_f64 v[190:191], v[192:193], v[198:199], v[190:191]
	v_add_f64 v[80:81], v[80:81], -v[190:191]
	ds_read2_b64 v[190:193], v1 offset0:46 offset1:47
	s_waitcnt lgkmcnt(0)
	v_mul_f64 v[102:103], v[192:193], v[104:105]
	v_fma_f64 v[102:103], v[190:191], v[198:199], -v[102:103]
	v_mul_f64 v[190:191], v[190:191], v[104:105]
	v_add_f64 v[74:75], v[74:75], -v[102:103]
	v_fma_f64 v[190:191], v[192:193], v[198:199], v[190:191]
	v_add_f64 v[76:77], v[76:77], -v[190:191]
	ds_read2_b64 v[190:193], v1 offset0:48 offset1:49
	s_waitcnt lgkmcnt(0)
	v_mul_f64 v[102:103], v[192:193], v[104:105]
	v_fma_f64 v[102:103], v[190:191], v[198:199], -v[102:103]
	v_mul_f64 v[190:191], v[190:191], v[104:105]
	v_add_f64 v[82:83], v[82:83], -v[102:103]
	v_fma_f64 v[190:191], v[192:193], v[198:199], v[190:191]
	v_add_f64 v[84:85], v[84:85], -v[190:191]
	ds_read2_b64 v[190:193], v1 offset0:50 offset1:51
	s_waitcnt lgkmcnt(0)
	v_mul_f64 v[102:103], v[192:193], v[104:105]
	v_fma_f64 v[102:103], v[190:191], v[198:199], -v[102:103]
	v_mul_f64 v[190:191], v[190:191], v[104:105]
	v_add_f64 v[62:63], v[62:63], -v[102:103]
	v_fma_f64 v[190:191], v[192:193], v[198:199], v[190:191]
	v_add_f64 v[64:65], v[64:65], -v[190:191]
	ds_read2_b64 v[190:193], v1 offset0:52 offset1:53
	s_waitcnt lgkmcnt(0)
	v_mul_f64 v[102:103], v[192:193], v[104:105]
	v_fma_f64 v[102:103], v[190:191], v[198:199], -v[102:103]
	v_mul_f64 v[190:191], v[190:191], v[104:105]
	v_add_f64 v[110:111], v[110:111], -v[102:103]
	v_fma_f64 v[190:191], v[192:193], v[198:199], v[190:191]
	v_add_f64 v[112:113], v[112:113], -v[190:191]
	ds_read2_b64 v[190:193], v1 offset0:54 offset1:55
	s_waitcnt lgkmcnt(0)
	v_mul_f64 v[102:103], v[192:193], v[104:105]
	v_fma_f64 v[102:103], v[190:191], v[198:199], -v[102:103]
	v_mul_f64 v[190:191], v[190:191], v[104:105]
	v_add_f64 v[94:95], v[94:95], -v[102:103]
	v_fma_f64 v[190:191], v[192:193], v[198:199], v[190:191]
	v_add_f64 v[96:97], v[96:97], -v[190:191]
	ds_read2_b64 v[190:193], v1 offset0:56 offset1:57
	s_waitcnt lgkmcnt(0)
	v_mul_f64 v[102:103], v[192:193], v[104:105]
	v_fma_f64 v[102:103], v[190:191], v[198:199], -v[102:103]
	v_mul_f64 v[190:191], v[190:191], v[104:105]
	v_add_f64 v[90:91], v[90:91], -v[102:103]
	v_fma_f64 v[190:191], v[192:193], v[198:199], v[190:191]
	v_add_f64 v[92:93], v[92:93], -v[190:191]
	ds_read2_b64 v[190:193], v1 offset0:58 offset1:59
	s_waitcnt lgkmcnt(0)
	v_mul_f64 v[102:103], v[192:193], v[104:105]
	v_fma_f64 v[102:103], v[190:191], v[198:199], -v[102:103]
	v_mul_f64 v[190:191], v[190:191], v[104:105]
	v_add_f64 v[86:87], v[86:87], -v[102:103]
	v_fma_f64 v[190:191], v[192:193], v[198:199], v[190:191]
	v_add_f64 v[88:89], v[88:89], -v[190:191]
	ds_read2_b64 v[190:193], v1 offset0:60 offset1:61
	s_waitcnt lgkmcnt(0)
	v_mul_f64 v[102:103], v[192:193], v[104:105]
	v_fma_f64 v[102:103], v[190:191], v[198:199], -v[102:103]
	v_mul_f64 v[190:191], v[190:191], v[104:105]
	v_add_f64 v[70:71], v[70:71], -v[102:103]
	v_fma_f64 v[190:191], v[192:193], v[198:199], v[190:191]
	v_add_f64 v[72:73], v[72:73], -v[190:191]
	ds_read2_b64 v[190:193], v1 offset0:62 offset1:63
	s_waitcnt lgkmcnt(0)
	v_mul_f64 v[102:103], v[192:193], v[104:105]
	v_fma_f64 v[102:103], v[190:191], v[198:199], -v[102:103]
	v_mul_f64 v[190:191], v[190:191], v[104:105]
	v_add_f64 v[66:67], v[66:67], -v[102:103]
	v_fma_f64 v[190:191], v[192:193], v[198:199], v[190:191]
	v_add_f64 v[68:69], v[68:69], -v[190:191]
	ds_read2_b64 v[190:193], v1 offset0:64 offset1:65
	s_waitcnt lgkmcnt(0)
	v_mul_f64 v[102:103], v[192:193], v[104:105]
	v_fma_f64 v[102:103], v[190:191], v[198:199], -v[102:103]
	v_mul_f64 v[190:191], v[190:191], v[104:105]
	v_add_f64 v[58:59], v[58:59], -v[102:103]
	v_fma_f64 v[190:191], v[192:193], v[198:199], v[190:191]
	v_add_f64 v[60:61], v[60:61], -v[190:191]
	ds_read2_b64 v[190:193], v1 offset0:66 offset1:67
	s_waitcnt lgkmcnt(0)
	v_mul_f64 v[102:103], v[192:193], v[104:105]
	v_fma_f64 v[102:103], v[190:191], v[198:199], -v[102:103]
	v_mul_f64 v[190:191], v[190:191], v[104:105]
	v_add_f64 v[54:55], v[54:55], -v[102:103]
	v_fma_f64 v[190:191], v[192:193], v[198:199], v[190:191]
	v_add_f64 v[56:57], v[56:57], -v[190:191]
	ds_read2_b64 v[190:193], v1 offset0:68 offset1:69
	s_waitcnt lgkmcnt(0)
	v_mul_f64 v[102:103], v[192:193], v[104:105]
	v_fma_f64 v[102:103], v[190:191], v[198:199], -v[102:103]
	v_mul_f64 v[190:191], v[190:191], v[104:105]
	v_add_f64 v[50:51], v[50:51], -v[102:103]
	v_fma_f64 v[190:191], v[192:193], v[198:199], v[190:191]
	v_add_f64 v[52:53], v[52:53], -v[190:191]
	ds_read2_b64 v[190:193], v1 offset0:70 offset1:71
	s_waitcnt lgkmcnt(0)
	v_mul_f64 v[102:103], v[192:193], v[104:105]
	v_fma_f64 v[102:103], v[190:191], v[198:199], -v[102:103]
	v_mul_f64 v[190:191], v[190:191], v[104:105]
	v_add_f64 v[46:47], v[46:47], -v[102:103]
	v_fma_f64 v[190:191], v[192:193], v[198:199], v[190:191]
	v_add_f64 v[48:49], v[48:49], -v[190:191]
	ds_read2_b64 v[190:193], v1 offset0:72 offset1:73
	s_waitcnt lgkmcnt(0)
	v_mul_f64 v[102:103], v[192:193], v[104:105]
	v_fma_f64 v[102:103], v[190:191], v[198:199], -v[102:103]
	v_mul_f64 v[190:191], v[190:191], v[104:105]
	v_add_f64 v[42:43], v[42:43], -v[102:103]
	v_fma_f64 v[190:191], v[192:193], v[198:199], v[190:191]
	v_add_f64 v[44:45], v[44:45], -v[190:191]
	ds_read2_b64 v[190:193], v1 offset0:74 offset1:75
	s_waitcnt lgkmcnt(0)
	v_mul_f64 v[102:103], v[192:193], v[104:105]
	v_fma_f64 v[102:103], v[190:191], v[198:199], -v[102:103]
	v_mul_f64 v[190:191], v[190:191], v[104:105]
	v_add_f64 v[38:39], v[38:39], -v[102:103]
	v_fma_f64 v[190:191], v[192:193], v[198:199], v[190:191]
	v_add_f64 v[40:41], v[40:41], -v[190:191]
	ds_read2_b64 v[190:193], v1 offset0:76 offset1:77
	s_waitcnt lgkmcnt(0)
	v_mul_f64 v[102:103], v[192:193], v[104:105]
	v_fma_f64 v[102:103], v[190:191], v[198:199], -v[102:103]
	v_mul_f64 v[190:191], v[190:191], v[104:105]
	v_add_f64 v[34:35], v[34:35], -v[102:103]
	v_fma_f64 v[190:191], v[192:193], v[198:199], v[190:191]
	v_add_f64 v[36:37], v[36:37], -v[190:191]
	ds_read2_b64 v[190:193], v1 offset0:78 offset1:79
	s_waitcnt lgkmcnt(0)
	v_mul_f64 v[102:103], v[192:193], v[104:105]
	v_fma_f64 v[102:103], v[190:191], v[198:199], -v[102:103]
	v_mul_f64 v[190:191], v[190:191], v[104:105]
	v_add_f64 v[30:31], v[30:31], -v[102:103]
	v_fma_f64 v[190:191], v[192:193], v[198:199], v[190:191]
	v_add_f64 v[32:33], v[32:33], -v[190:191]
	ds_read2_b64 v[190:193], v1 offset0:80 offset1:81
	s_waitcnt lgkmcnt(0)
	v_mul_f64 v[102:103], v[192:193], v[104:105]
	v_fma_f64 v[102:103], v[190:191], v[198:199], -v[102:103]
	v_mul_f64 v[190:191], v[190:191], v[104:105]
	v_add_f64 v[26:27], v[26:27], -v[102:103]
	v_fma_f64 v[190:191], v[192:193], v[198:199], v[190:191]
	v_add_f64 v[28:29], v[28:29], -v[190:191]
	ds_read2_b64 v[190:193], v1 offset0:82 offset1:83
	s_waitcnt lgkmcnt(0)
	v_mul_f64 v[102:103], v[192:193], v[104:105]
	v_fma_f64 v[102:103], v[190:191], v[198:199], -v[102:103]
	v_mul_f64 v[190:191], v[190:191], v[104:105]
	v_add_f64 v[22:23], v[22:23], -v[102:103]
	v_fma_f64 v[190:191], v[192:193], v[198:199], v[190:191]
	v_add_f64 v[24:25], v[24:25], -v[190:191]
	ds_read2_b64 v[190:193], v1 offset0:84 offset1:85
	s_waitcnt lgkmcnt(0)
	v_mul_f64 v[102:103], v[192:193], v[104:105]
	v_fma_f64 v[102:103], v[190:191], v[198:199], -v[102:103]
	v_mul_f64 v[190:191], v[190:191], v[104:105]
	v_add_f64 v[18:19], v[18:19], -v[102:103]
	v_fma_f64 v[190:191], v[192:193], v[198:199], v[190:191]
	v_add_f64 v[20:21], v[20:21], -v[190:191]
	ds_read2_b64 v[190:193], v1 offset0:86 offset1:87
	s_waitcnt lgkmcnt(0)
	v_mul_f64 v[102:103], v[192:193], v[104:105]
	v_fma_f64 v[102:103], v[190:191], v[198:199], -v[102:103]
	v_mul_f64 v[190:191], v[190:191], v[104:105]
	v_add_f64 v[14:15], v[14:15], -v[102:103]
	v_fma_f64 v[190:191], v[192:193], v[198:199], v[190:191]
	v_add_f64 v[16:17], v[16:17], -v[190:191]
	ds_read2_b64 v[190:193], v1 offset0:88 offset1:89
	s_waitcnt lgkmcnt(0)
	v_mul_f64 v[102:103], v[192:193], v[104:105]
	v_fma_f64 v[102:103], v[190:191], v[198:199], -v[102:103]
	v_mul_f64 v[190:191], v[190:191], v[104:105]
	v_add_f64 v[10:11], v[10:11], -v[102:103]
	v_fma_f64 v[190:191], v[192:193], v[198:199], v[190:191]
	v_add_f64 v[12:13], v[12:13], -v[190:191]
	ds_read2_b64 v[190:193], v1 offset0:90 offset1:91
	s_waitcnt lgkmcnt(0)
	v_mul_f64 v[102:103], v[192:193], v[104:105]
	v_fma_f64 v[102:103], v[190:191], v[198:199], -v[102:103]
	v_mul_f64 v[190:191], v[190:191], v[104:105]
	v_add_f64 v[6:7], v[6:7], -v[102:103]
	v_fma_f64 v[190:191], v[192:193], v[198:199], v[190:191]
	v_add_f64 v[8:9], v[8:9], -v[190:191]
	ds_read2_b64 v[190:193], v1 offset0:92 offset1:93
	s_waitcnt lgkmcnt(0)
	v_mul_f64 v[102:103], v[192:193], v[104:105]
	v_fma_f64 v[102:103], v[190:191], v[198:199], -v[102:103]
	v_mul_f64 v[190:191], v[190:191], v[104:105]
	v_add_f64 v[2:3], v[2:3], -v[102:103]
	v_fma_f64 v[190:191], v[192:193], v[198:199], v[190:191]
	v_mov_b32_e32 v102, v198
	v_mov_b32_e32 v103, v199
	v_add_f64 v[4:5], v[4:5], -v[190:191]
.LBB92_440:
	s_or_b32 exec_lo, exec_lo, s0
	v_lshl_add_u32 v190, v204, 4, v1
	s_barrier
	buffer_gl0_inv
	v_mov_b32_e32 v198, 21
	ds_write2_b64 v190, v[98:99], v[100:101] offset1:1
	s_waitcnt lgkmcnt(0)
	s_barrier
	buffer_gl0_inv
	ds_read2_b64 v[190:193], v1 offset0:42 offset1:43
	s_cmp_lt_i32 s1, 23
	s_cbranch_scc1 .LBB92_443
; %bb.441:
	v_add3_u32 v199, v200, 0, 0x160
	v_mov_b32_e32 v198, 21
	s_mov_b32 s7, 22
	s_inst_prefetch 0x1
	.p2align	6
.LBB92_442:                             ; =>This Inner Loop Header: Depth=1
	s_waitcnt lgkmcnt(0)
	v_cmp_gt_f64_e32 vcc_lo, 0, v[192:193]
	v_cmp_gt_f64_e64 s0, 0, v[190:191]
	ds_read2_b64 v[205:208], v199 offset1:1
	v_xor_b32_e32 v210, 0x80000000, v191
	v_xor_b32_e32 v212, 0x80000000, v193
	v_mov_b32_e32 v209, v190
	v_mov_b32_e32 v211, v192
	v_add_nc_u32_e32 v199, 16, v199
	s_waitcnt lgkmcnt(0)
	v_xor_b32_e32 v214, 0x80000000, v208
	v_cndmask_b32_e64 v210, v191, v210, s0
	v_cndmask_b32_e32 v212, v193, v212, vcc_lo
	v_cmp_gt_f64_e32 vcc_lo, 0, v[207:208]
	v_cmp_gt_f64_e64 s0, 0, v[205:206]
	v_mov_b32_e32 v213, v207
	v_add_f64 v[209:210], v[209:210], v[211:212]
	v_xor_b32_e32 v212, 0x80000000, v206
	v_mov_b32_e32 v211, v205
	v_cndmask_b32_e32 v214, v208, v214, vcc_lo
	v_cndmask_b32_e64 v212, v206, v212, s0
	v_add_f64 v[211:212], v[211:212], v[213:214]
	v_cmp_lt_f64_e32 vcc_lo, v[209:210], v[211:212]
	v_cndmask_b32_e32 v191, v191, v206, vcc_lo
	v_cndmask_b32_e32 v190, v190, v205, vcc_lo
	;; [unrolled: 1-line block ×4, first 2 shown]
	v_cndmask_b32_e64 v198, v198, s7, vcc_lo
	s_add_i32 s7, s7, 1
	s_cmp_lg_u32 s1, s7
	s_cbranch_scc1 .LBB92_442
.LBB92_443:
	s_inst_prefetch 0x2
	s_waitcnt lgkmcnt(0)
	v_cmp_eq_f64_e32 vcc_lo, 0, v[190:191]
	v_cmp_eq_f64_e64 s0, 0, v[192:193]
	s_and_b32 s0, vcc_lo, s0
	s_and_saveexec_b32 s7, s0
	s_xor_b32 s0, exec_lo, s7
; %bb.444:
	v_cmp_ne_u32_e32 vcc_lo, 0, v203
	v_cndmask_b32_e32 v203, 22, v203, vcc_lo
; %bb.445:
	s_andn2_saveexec_b32 s0, s0
	s_cbranch_execz .LBB92_451
; %bb.446:
	v_cmp_ngt_f64_e64 s7, |v[190:191]|, |v[192:193]|
	s_and_saveexec_b32 s8, s7
	s_xor_b32 s7, exec_lo, s8
	s_cbranch_execz .LBB92_448
; %bb.447:
	v_div_scale_f64 v[205:206], null, v[192:193], v[192:193], v[190:191]
	v_div_scale_f64 v[211:212], vcc_lo, v[190:191], v[192:193], v[190:191]
	v_rcp_f64_e32 v[207:208], v[205:206]
	v_fma_f64 v[209:210], -v[205:206], v[207:208], 1.0
	v_fma_f64 v[207:208], v[207:208], v[209:210], v[207:208]
	v_fma_f64 v[209:210], -v[205:206], v[207:208], 1.0
	v_fma_f64 v[207:208], v[207:208], v[209:210], v[207:208]
	v_mul_f64 v[209:210], v[211:212], v[207:208]
	v_fma_f64 v[205:206], -v[205:206], v[209:210], v[211:212]
	v_div_fmas_f64 v[205:206], v[205:206], v[207:208], v[209:210]
	v_div_fixup_f64 v[205:206], v[205:206], v[192:193], v[190:191]
	v_fma_f64 v[190:191], v[190:191], v[205:206], v[192:193]
	v_div_scale_f64 v[192:193], null, v[190:191], v[190:191], 1.0
	v_rcp_f64_e32 v[207:208], v[192:193]
	v_fma_f64 v[209:210], -v[192:193], v[207:208], 1.0
	v_fma_f64 v[207:208], v[207:208], v[209:210], v[207:208]
	v_fma_f64 v[209:210], -v[192:193], v[207:208], 1.0
	v_fma_f64 v[207:208], v[207:208], v[209:210], v[207:208]
	v_div_scale_f64 v[209:210], vcc_lo, 1.0, v[190:191], 1.0
	v_mul_f64 v[211:212], v[209:210], v[207:208]
	v_fma_f64 v[192:193], -v[192:193], v[211:212], v[209:210]
	v_div_fmas_f64 v[192:193], v[192:193], v[207:208], v[211:212]
	v_div_fixup_f64 v[192:193], v[192:193], v[190:191], 1.0
	v_mul_f64 v[190:191], v[205:206], v[192:193]
	v_xor_b32_e32 v193, 0x80000000, v193
.LBB92_448:
	s_andn2_saveexec_b32 s7, s7
	s_cbranch_execz .LBB92_450
; %bb.449:
	v_div_scale_f64 v[205:206], null, v[190:191], v[190:191], v[192:193]
	v_div_scale_f64 v[211:212], vcc_lo, v[192:193], v[190:191], v[192:193]
	v_rcp_f64_e32 v[207:208], v[205:206]
	v_fma_f64 v[209:210], -v[205:206], v[207:208], 1.0
	v_fma_f64 v[207:208], v[207:208], v[209:210], v[207:208]
	v_fma_f64 v[209:210], -v[205:206], v[207:208], 1.0
	v_fma_f64 v[207:208], v[207:208], v[209:210], v[207:208]
	v_mul_f64 v[209:210], v[211:212], v[207:208]
	v_fma_f64 v[205:206], -v[205:206], v[209:210], v[211:212]
	v_div_fmas_f64 v[205:206], v[205:206], v[207:208], v[209:210]
	v_div_fixup_f64 v[205:206], v[205:206], v[190:191], v[192:193]
	v_fma_f64 v[190:191], v[192:193], v[205:206], v[190:191]
	v_div_scale_f64 v[192:193], null, v[190:191], v[190:191], 1.0
	v_rcp_f64_e32 v[207:208], v[192:193]
	v_fma_f64 v[209:210], -v[192:193], v[207:208], 1.0
	v_fma_f64 v[207:208], v[207:208], v[209:210], v[207:208]
	v_fma_f64 v[209:210], -v[192:193], v[207:208], 1.0
	v_fma_f64 v[207:208], v[207:208], v[209:210], v[207:208]
	v_div_scale_f64 v[209:210], vcc_lo, 1.0, v[190:191], 1.0
	v_mul_f64 v[211:212], v[209:210], v[207:208]
	v_fma_f64 v[192:193], -v[192:193], v[211:212], v[209:210]
	v_div_fmas_f64 v[192:193], v[192:193], v[207:208], v[211:212]
	v_div_fixup_f64 v[190:191], v[192:193], v[190:191], 1.0
	v_mul_f64 v[192:193], v[205:206], -v[190:191]
.LBB92_450:
	s_or_b32 exec_lo, exec_lo, s7
.LBB92_451:
	s_or_b32 exec_lo, exec_lo, s0
	s_mov_b32 s0, exec_lo
	v_cmpx_ne_u32_e64 v204, v198
	s_xor_b32 s0, exec_lo, s0
	s_cbranch_execz .LBB92_457
; %bb.452:
	s_mov_b32 s7, exec_lo
	v_cmpx_eq_u32_e32 21, v204
	s_cbranch_execz .LBB92_456
; %bb.453:
	v_cmp_ne_u32_e32 vcc_lo, 21, v198
	s_xor_b32 s8, s16, -1
	s_and_b32 s9, s8, vcc_lo
	s_and_saveexec_b32 s8, s9
	s_cbranch_execz .LBB92_455
; %bb.454:
	v_ashrrev_i32_e32 v199, 31, v198
	v_lshlrev_b64 v[204:205], 2, v[198:199]
	v_add_co_u32 v204, vcc_lo, v196, v204
	v_add_co_ci_u32_e64 v205, null, v197, v205, vcc_lo
	s_clause 0x1
	global_load_dword v0, v[204:205], off
	global_load_dword v199, v[196:197], off offset:84
	s_waitcnt vmcnt(1)
	global_store_dword v[196:197], v0, off offset:84
	s_waitcnt vmcnt(0)
	global_store_dword v[204:205], v199, off
.LBB92_455:
	s_or_b32 exec_lo, exec_lo, s8
	v_mov_b32_e32 v204, v198
	v_mov_b32_e32 v0, v198
.LBB92_456:
	s_or_b32 exec_lo, exec_lo, s7
.LBB92_457:
	s_andn2_saveexec_b32 s0, s0
	s_cbranch_execz .LBB92_459
; %bb.458:
	v_mov_b32_e32 v204, 21
	ds_write2_b64 v1, v[78:79], v[80:81] offset0:44 offset1:45
	ds_write2_b64 v1, v[74:75], v[76:77] offset0:46 offset1:47
	;; [unrolled: 1-line block ×25, first 2 shown]
.LBB92_459:
	s_or_b32 exec_lo, exec_lo, s0
	s_mov_b32 s0, exec_lo
	s_waitcnt lgkmcnt(0)
	s_waitcnt_vscnt null, 0x0
	s_barrier
	buffer_gl0_inv
	v_cmpx_lt_i32_e32 21, v204
	s_cbranch_execz .LBB92_461
; %bb.460:
	v_mul_f64 v[198:199], v[192:193], v[100:101]
	v_mul_f64 v[100:101], v[190:191], v[100:101]
	v_fma_f64 v[198:199], v[190:191], v[98:99], -v[198:199]
	v_fma_f64 v[100:101], v[192:193], v[98:99], v[100:101]
	ds_read2_b64 v[190:193], v1 offset0:44 offset1:45
	s_waitcnt lgkmcnt(0)
	v_mul_f64 v[98:99], v[192:193], v[100:101]
	v_fma_f64 v[98:99], v[190:191], v[198:199], -v[98:99]
	v_mul_f64 v[190:191], v[190:191], v[100:101]
	v_add_f64 v[78:79], v[78:79], -v[98:99]
	v_fma_f64 v[190:191], v[192:193], v[198:199], v[190:191]
	v_add_f64 v[80:81], v[80:81], -v[190:191]
	ds_read2_b64 v[190:193], v1 offset0:46 offset1:47
	s_waitcnt lgkmcnt(0)
	v_mul_f64 v[98:99], v[192:193], v[100:101]
	v_fma_f64 v[98:99], v[190:191], v[198:199], -v[98:99]
	v_mul_f64 v[190:191], v[190:191], v[100:101]
	v_add_f64 v[74:75], v[74:75], -v[98:99]
	v_fma_f64 v[190:191], v[192:193], v[198:199], v[190:191]
	v_add_f64 v[76:77], v[76:77], -v[190:191]
	;; [unrolled: 8-line block ×24, first 2 shown]
	ds_read2_b64 v[190:193], v1 offset0:92 offset1:93
	s_waitcnt lgkmcnt(0)
	v_mul_f64 v[98:99], v[192:193], v[100:101]
	v_fma_f64 v[98:99], v[190:191], v[198:199], -v[98:99]
	v_mul_f64 v[190:191], v[190:191], v[100:101]
	v_add_f64 v[2:3], v[2:3], -v[98:99]
	v_fma_f64 v[190:191], v[192:193], v[198:199], v[190:191]
	v_mov_b32_e32 v98, v198
	v_mov_b32_e32 v99, v199
	v_add_f64 v[4:5], v[4:5], -v[190:191]
.LBB92_461:
	s_or_b32 exec_lo, exec_lo, s0
	v_lshl_add_u32 v190, v204, 4, v1
	s_barrier
	buffer_gl0_inv
	v_mov_b32_e32 v198, 22
	ds_write2_b64 v190, v[78:79], v[80:81] offset1:1
	s_waitcnt lgkmcnt(0)
	s_barrier
	buffer_gl0_inv
	ds_read2_b64 v[190:193], v1 offset0:44 offset1:45
	s_cmp_lt_i32 s1, 24
	s_cbranch_scc1 .LBB92_464
; %bb.462:
	v_add3_u32 v199, v200, 0, 0x170
	v_mov_b32_e32 v198, 22
	s_mov_b32 s7, 23
	s_inst_prefetch 0x1
	.p2align	6
.LBB92_463:                             ; =>This Inner Loop Header: Depth=1
	s_waitcnt lgkmcnt(0)
	v_cmp_gt_f64_e32 vcc_lo, 0, v[192:193]
	v_cmp_gt_f64_e64 s0, 0, v[190:191]
	ds_read2_b64 v[205:208], v199 offset1:1
	v_xor_b32_e32 v210, 0x80000000, v191
	v_xor_b32_e32 v212, 0x80000000, v193
	v_mov_b32_e32 v209, v190
	v_mov_b32_e32 v211, v192
	v_add_nc_u32_e32 v199, 16, v199
	s_waitcnt lgkmcnt(0)
	v_xor_b32_e32 v214, 0x80000000, v208
	v_cndmask_b32_e64 v210, v191, v210, s0
	v_cndmask_b32_e32 v212, v193, v212, vcc_lo
	v_cmp_gt_f64_e32 vcc_lo, 0, v[207:208]
	v_cmp_gt_f64_e64 s0, 0, v[205:206]
	v_mov_b32_e32 v213, v207
	v_add_f64 v[209:210], v[209:210], v[211:212]
	v_xor_b32_e32 v212, 0x80000000, v206
	v_mov_b32_e32 v211, v205
	v_cndmask_b32_e32 v214, v208, v214, vcc_lo
	v_cndmask_b32_e64 v212, v206, v212, s0
	v_add_f64 v[211:212], v[211:212], v[213:214]
	v_cmp_lt_f64_e32 vcc_lo, v[209:210], v[211:212]
	v_cndmask_b32_e32 v191, v191, v206, vcc_lo
	v_cndmask_b32_e32 v190, v190, v205, vcc_lo
	v_cndmask_b32_e32 v193, v193, v208, vcc_lo
	v_cndmask_b32_e32 v192, v192, v207, vcc_lo
	v_cndmask_b32_e64 v198, v198, s7, vcc_lo
	s_add_i32 s7, s7, 1
	s_cmp_lg_u32 s1, s7
	s_cbranch_scc1 .LBB92_463
.LBB92_464:
	s_inst_prefetch 0x2
	s_waitcnt lgkmcnt(0)
	v_cmp_eq_f64_e32 vcc_lo, 0, v[190:191]
	v_cmp_eq_f64_e64 s0, 0, v[192:193]
	s_and_b32 s0, vcc_lo, s0
	s_and_saveexec_b32 s7, s0
	s_xor_b32 s0, exec_lo, s7
; %bb.465:
	v_cmp_ne_u32_e32 vcc_lo, 0, v203
	v_cndmask_b32_e32 v203, 23, v203, vcc_lo
; %bb.466:
	s_andn2_saveexec_b32 s0, s0
	s_cbranch_execz .LBB92_472
; %bb.467:
	v_cmp_ngt_f64_e64 s7, |v[190:191]|, |v[192:193]|
	s_and_saveexec_b32 s8, s7
	s_xor_b32 s7, exec_lo, s8
	s_cbranch_execz .LBB92_469
; %bb.468:
	v_div_scale_f64 v[205:206], null, v[192:193], v[192:193], v[190:191]
	v_div_scale_f64 v[211:212], vcc_lo, v[190:191], v[192:193], v[190:191]
	v_rcp_f64_e32 v[207:208], v[205:206]
	v_fma_f64 v[209:210], -v[205:206], v[207:208], 1.0
	v_fma_f64 v[207:208], v[207:208], v[209:210], v[207:208]
	v_fma_f64 v[209:210], -v[205:206], v[207:208], 1.0
	v_fma_f64 v[207:208], v[207:208], v[209:210], v[207:208]
	v_mul_f64 v[209:210], v[211:212], v[207:208]
	v_fma_f64 v[205:206], -v[205:206], v[209:210], v[211:212]
	v_div_fmas_f64 v[205:206], v[205:206], v[207:208], v[209:210]
	v_div_fixup_f64 v[205:206], v[205:206], v[192:193], v[190:191]
	v_fma_f64 v[190:191], v[190:191], v[205:206], v[192:193]
	v_div_scale_f64 v[192:193], null, v[190:191], v[190:191], 1.0
	v_rcp_f64_e32 v[207:208], v[192:193]
	v_fma_f64 v[209:210], -v[192:193], v[207:208], 1.0
	v_fma_f64 v[207:208], v[207:208], v[209:210], v[207:208]
	v_fma_f64 v[209:210], -v[192:193], v[207:208], 1.0
	v_fma_f64 v[207:208], v[207:208], v[209:210], v[207:208]
	v_div_scale_f64 v[209:210], vcc_lo, 1.0, v[190:191], 1.0
	v_mul_f64 v[211:212], v[209:210], v[207:208]
	v_fma_f64 v[192:193], -v[192:193], v[211:212], v[209:210]
	v_div_fmas_f64 v[192:193], v[192:193], v[207:208], v[211:212]
	v_div_fixup_f64 v[192:193], v[192:193], v[190:191], 1.0
	v_mul_f64 v[190:191], v[205:206], v[192:193]
	v_xor_b32_e32 v193, 0x80000000, v193
.LBB92_469:
	s_andn2_saveexec_b32 s7, s7
	s_cbranch_execz .LBB92_471
; %bb.470:
	v_div_scale_f64 v[205:206], null, v[190:191], v[190:191], v[192:193]
	v_div_scale_f64 v[211:212], vcc_lo, v[192:193], v[190:191], v[192:193]
	v_rcp_f64_e32 v[207:208], v[205:206]
	v_fma_f64 v[209:210], -v[205:206], v[207:208], 1.0
	v_fma_f64 v[207:208], v[207:208], v[209:210], v[207:208]
	v_fma_f64 v[209:210], -v[205:206], v[207:208], 1.0
	v_fma_f64 v[207:208], v[207:208], v[209:210], v[207:208]
	v_mul_f64 v[209:210], v[211:212], v[207:208]
	v_fma_f64 v[205:206], -v[205:206], v[209:210], v[211:212]
	v_div_fmas_f64 v[205:206], v[205:206], v[207:208], v[209:210]
	v_div_fixup_f64 v[205:206], v[205:206], v[190:191], v[192:193]
	v_fma_f64 v[190:191], v[192:193], v[205:206], v[190:191]
	v_div_scale_f64 v[192:193], null, v[190:191], v[190:191], 1.0
	v_rcp_f64_e32 v[207:208], v[192:193]
	v_fma_f64 v[209:210], -v[192:193], v[207:208], 1.0
	v_fma_f64 v[207:208], v[207:208], v[209:210], v[207:208]
	v_fma_f64 v[209:210], -v[192:193], v[207:208], 1.0
	v_fma_f64 v[207:208], v[207:208], v[209:210], v[207:208]
	v_div_scale_f64 v[209:210], vcc_lo, 1.0, v[190:191], 1.0
	v_mul_f64 v[211:212], v[209:210], v[207:208]
	v_fma_f64 v[192:193], -v[192:193], v[211:212], v[209:210]
	v_div_fmas_f64 v[192:193], v[192:193], v[207:208], v[211:212]
	v_div_fixup_f64 v[190:191], v[192:193], v[190:191], 1.0
	v_mul_f64 v[192:193], v[205:206], -v[190:191]
.LBB92_471:
	s_or_b32 exec_lo, exec_lo, s7
.LBB92_472:
	s_or_b32 exec_lo, exec_lo, s0
	s_mov_b32 s0, exec_lo
	v_cmpx_ne_u32_e64 v204, v198
	s_xor_b32 s0, exec_lo, s0
	s_cbranch_execz .LBB92_478
; %bb.473:
	s_mov_b32 s7, exec_lo
	v_cmpx_eq_u32_e32 22, v204
	s_cbranch_execz .LBB92_477
; %bb.474:
	v_cmp_ne_u32_e32 vcc_lo, 22, v198
	s_xor_b32 s8, s16, -1
	s_and_b32 s9, s8, vcc_lo
	s_and_saveexec_b32 s8, s9
	s_cbranch_execz .LBB92_476
; %bb.475:
	v_ashrrev_i32_e32 v199, 31, v198
	v_lshlrev_b64 v[204:205], 2, v[198:199]
	v_add_co_u32 v204, vcc_lo, v196, v204
	v_add_co_ci_u32_e64 v205, null, v197, v205, vcc_lo
	s_clause 0x1
	global_load_dword v0, v[204:205], off
	global_load_dword v199, v[196:197], off offset:88
	s_waitcnt vmcnt(1)
	global_store_dword v[196:197], v0, off offset:88
	s_waitcnt vmcnt(0)
	global_store_dword v[204:205], v199, off
.LBB92_476:
	s_or_b32 exec_lo, exec_lo, s8
	v_mov_b32_e32 v204, v198
	v_mov_b32_e32 v0, v198
.LBB92_477:
	s_or_b32 exec_lo, exec_lo, s7
.LBB92_478:
	s_andn2_saveexec_b32 s0, s0
	s_cbranch_execz .LBB92_480
; %bb.479:
	v_mov_b32_e32 v204, 22
	ds_write2_b64 v1, v[74:75], v[76:77] offset0:46 offset1:47
	ds_write2_b64 v1, v[82:83], v[84:85] offset0:48 offset1:49
	;; [unrolled: 1-line block ×24, first 2 shown]
.LBB92_480:
	s_or_b32 exec_lo, exec_lo, s0
	s_mov_b32 s0, exec_lo
	s_waitcnt lgkmcnt(0)
	s_waitcnt_vscnt null, 0x0
	s_barrier
	buffer_gl0_inv
	v_cmpx_lt_i32_e32 22, v204
	s_cbranch_execz .LBB92_482
; %bb.481:
	v_mul_f64 v[198:199], v[192:193], v[80:81]
	v_mul_f64 v[80:81], v[190:191], v[80:81]
	v_fma_f64 v[198:199], v[190:191], v[78:79], -v[198:199]
	v_fma_f64 v[80:81], v[192:193], v[78:79], v[80:81]
	ds_read2_b64 v[190:193], v1 offset0:46 offset1:47
	s_waitcnt lgkmcnt(0)
	v_mul_f64 v[78:79], v[192:193], v[80:81]
	v_fma_f64 v[78:79], v[190:191], v[198:199], -v[78:79]
	v_mul_f64 v[190:191], v[190:191], v[80:81]
	v_add_f64 v[74:75], v[74:75], -v[78:79]
	v_fma_f64 v[190:191], v[192:193], v[198:199], v[190:191]
	v_add_f64 v[76:77], v[76:77], -v[190:191]
	ds_read2_b64 v[190:193], v1 offset0:48 offset1:49
	s_waitcnt lgkmcnt(0)
	v_mul_f64 v[78:79], v[192:193], v[80:81]
	v_fma_f64 v[78:79], v[190:191], v[198:199], -v[78:79]
	v_mul_f64 v[190:191], v[190:191], v[80:81]
	v_add_f64 v[82:83], v[82:83], -v[78:79]
	v_fma_f64 v[190:191], v[192:193], v[198:199], v[190:191]
	v_add_f64 v[84:85], v[84:85], -v[190:191]
	;; [unrolled: 8-line block ×23, first 2 shown]
	ds_read2_b64 v[190:193], v1 offset0:92 offset1:93
	s_waitcnt lgkmcnt(0)
	v_mul_f64 v[78:79], v[192:193], v[80:81]
	v_fma_f64 v[78:79], v[190:191], v[198:199], -v[78:79]
	v_mul_f64 v[190:191], v[190:191], v[80:81]
	v_add_f64 v[2:3], v[2:3], -v[78:79]
	v_fma_f64 v[190:191], v[192:193], v[198:199], v[190:191]
	v_mov_b32_e32 v78, v198
	v_mov_b32_e32 v79, v199
	v_add_f64 v[4:5], v[4:5], -v[190:191]
.LBB92_482:
	s_or_b32 exec_lo, exec_lo, s0
	v_lshl_add_u32 v190, v204, 4, v1
	s_barrier
	buffer_gl0_inv
	v_mov_b32_e32 v198, 23
	ds_write2_b64 v190, v[74:75], v[76:77] offset1:1
	s_waitcnt lgkmcnt(0)
	s_barrier
	buffer_gl0_inv
	ds_read2_b64 v[190:193], v1 offset0:46 offset1:47
	s_cmp_lt_i32 s1, 25
	s_cbranch_scc1 .LBB92_485
; %bb.483:
	v_add3_u32 v199, v200, 0, 0x180
	v_mov_b32_e32 v198, 23
	s_mov_b32 s7, 24
	s_inst_prefetch 0x1
	.p2align	6
.LBB92_484:                             ; =>This Inner Loop Header: Depth=1
	s_waitcnt lgkmcnt(0)
	v_cmp_gt_f64_e32 vcc_lo, 0, v[192:193]
	v_cmp_gt_f64_e64 s0, 0, v[190:191]
	ds_read2_b64 v[205:208], v199 offset1:1
	v_xor_b32_e32 v210, 0x80000000, v191
	v_xor_b32_e32 v212, 0x80000000, v193
	v_mov_b32_e32 v209, v190
	v_mov_b32_e32 v211, v192
	v_add_nc_u32_e32 v199, 16, v199
	s_waitcnt lgkmcnt(0)
	v_xor_b32_e32 v214, 0x80000000, v208
	v_cndmask_b32_e64 v210, v191, v210, s0
	v_cndmask_b32_e32 v212, v193, v212, vcc_lo
	v_cmp_gt_f64_e32 vcc_lo, 0, v[207:208]
	v_cmp_gt_f64_e64 s0, 0, v[205:206]
	v_mov_b32_e32 v213, v207
	v_add_f64 v[209:210], v[209:210], v[211:212]
	v_xor_b32_e32 v212, 0x80000000, v206
	v_mov_b32_e32 v211, v205
	v_cndmask_b32_e32 v214, v208, v214, vcc_lo
	v_cndmask_b32_e64 v212, v206, v212, s0
	v_add_f64 v[211:212], v[211:212], v[213:214]
	v_cmp_lt_f64_e32 vcc_lo, v[209:210], v[211:212]
	v_cndmask_b32_e32 v191, v191, v206, vcc_lo
	v_cndmask_b32_e32 v190, v190, v205, vcc_lo
	;; [unrolled: 1-line block ×4, first 2 shown]
	v_cndmask_b32_e64 v198, v198, s7, vcc_lo
	s_add_i32 s7, s7, 1
	s_cmp_lg_u32 s1, s7
	s_cbranch_scc1 .LBB92_484
.LBB92_485:
	s_inst_prefetch 0x2
	s_waitcnt lgkmcnt(0)
	v_cmp_eq_f64_e32 vcc_lo, 0, v[190:191]
	v_cmp_eq_f64_e64 s0, 0, v[192:193]
	s_and_b32 s0, vcc_lo, s0
	s_and_saveexec_b32 s7, s0
	s_xor_b32 s0, exec_lo, s7
; %bb.486:
	v_cmp_ne_u32_e32 vcc_lo, 0, v203
	v_cndmask_b32_e32 v203, 24, v203, vcc_lo
; %bb.487:
	s_andn2_saveexec_b32 s0, s0
	s_cbranch_execz .LBB92_493
; %bb.488:
	v_cmp_ngt_f64_e64 s7, |v[190:191]|, |v[192:193]|
	s_and_saveexec_b32 s8, s7
	s_xor_b32 s7, exec_lo, s8
	s_cbranch_execz .LBB92_490
; %bb.489:
	v_div_scale_f64 v[205:206], null, v[192:193], v[192:193], v[190:191]
	v_div_scale_f64 v[211:212], vcc_lo, v[190:191], v[192:193], v[190:191]
	v_rcp_f64_e32 v[207:208], v[205:206]
	v_fma_f64 v[209:210], -v[205:206], v[207:208], 1.0
	v_fma_f64 v[207:208], v[207:208], v[209:210], v[207:208]
	v_fma_f64 v[209:210], -v[205:206], v[207:208], 1.0
	v_fma_f64 v[207:208], v[207:208], v[209:210], v[207:208]
	v_mul_f64 v[209:210], v[211:212], v[207:208]
	v_fma_f64 v[205:206], -v[205:206], v[209:210], v[211:212]
	v_div_fmas_f64 v[205:206], v[205:206], v[207:208], v[209:210]
	v_div_fixup_f64 v[205:206], v[205:206], v[192:193], v[190:191]
	v_fma_f64 v[190:191], v[190:191], v[205:206], v[192:193]
	v_div_scale_f64 v[192:193], null, v[190:191], v[190:191], 1.0
	v_rcp_f64_e32 v[207:208], v[192:193]
	v_fma_f64 v[209:210], -v[192:193], v[207:208], 1.0
	v_fma_f64 v[207:208], v[207:208], v[209:210], v[207:208]
	v_fma_f64 v[209:210], -v[192:193], v[207:208], 1.0
	v_fma_f64 v[207:208], v[207:208], v[209:210], v[207:208]
	v_div_scale_f64 v[209:210], vcc_lo, 1.0, v[190:191], 1.0
	v_mul_f64 v[211:212], v[209:210], v[207:208]
	v_fma_f64 v[192:193], -v[192:193], v[211:212], v[209:210]
	v_div_fmas_f64 v[192:193], v[192:193], v[207:208], v[211:212]
	v_div_fixup_f64 v[192:193], v[192:193], v[190:191], 1.0
	v_mul_f64 v[190:191], v[205:206], v[192:193]
	v_xor_b32_e32 v193, 0x80000000, v193
.LBB92_490:
	s_andn2_saveexec_b32 s7, s7
	s_cbranch_execz .LBB92_492
; %bb.491:
	v_div_scale_f64 v[205:206], null, v[190:191], v[190:191], v[192:193]
	v_div_scale_f64 v[211:212], vcc_lo, v[192:193], v[190:191], v[192:193]
	v_rcp_f64_e32 v[207:208], v[205:206]
	v_fma_f64 v[209:210], -v[205:206], v[207:208], 1.0
	v_fma_f64 v[207:208], v[207:208], v[209:210], v[207:208]
	v_fma_f64 v[209:210], -v[205:206], v[207:208], 1.0
	v_fma_f64 v[207:208], v[207:208], v[209:210], v[207:208]
	v_mul_f64 v[209:210], v[211:212], v[207:208]
	v_fma_f64 v[205:206], -v[205:206], v[209:210], v[211:212]
	v_div_fmas_f64 v[205:206], v[205:206], v[207:208], v[209:210]
	v_div_fixup_f64 v[205:206], v[205:206], v[190:191], v[192:193]
	v_fma_f64 v[190:191], v[192:193], v[205:206], v[190:191]
	v_div_scale_f64 v[192:193], null, v[190:191], v[190:191], 1.0
	v_rcp_f64_e32 v[207:208], v[192:193]
	v_fma_f64 v[209:210], -v[192:193], v[207:208], 1.0
	v_fma_f64 v[207:208], v[207:208], v[209:210], v[207:208]
	v_fma_f64 v[209:210], -v[192:193], v[207:208], 1.0
	v_fma_f64 v[207:208], v[207:208], v[209:210], v[207:208]
	v_div_scale_f64 v[209:210], vcc_lo, 1.0, v[190:191], 1.0
	v_mul_f64 v[211:212], v[209:210], v[207:208]
	v_fma_f64 v[192:193], -v[192:193], v[211:212], v[209:210]
	v_div_fmas_f64 v[192:193], v[192:193], v[207:208], v[211:212]
	v_div_fixup_f64 v[190:191], v[192:193], v[190:191], 1.0
	v_mul_f64 v[192:193], v[205:206], -v[190:191]
.LBB92_492:
	s_or_b32 exec_lo, exec_lo, s7
.LBB92_493:
	s_or_b32 exec_lo, exec_lo, s0
	s_mov_b32 s0, exec_lo
	v_cmpx_ne_u32_e64 v204, v198
	s_xor_b32 s0, exec_lo, s0
	s_cbranch_execz .LBB92_499
; %bb.494:
	s_mov_b32 s7, exec_lo
	v_cmpx_eq_u32_e32 23, v204
	s_cbranch_execz .LBB92_498
; %bb.495:
	v_cmp_ne_u32_e32 vcc_lo, 23, v198
	s_xor_b32 s8, s16, -1
	s_and_b32 s9, s8, vcc_lo
	s_and_saveexec_b32 s8, s9
	s_cbranch_execz .LBB92_497
; %bb.496:
	v_ashrrev_i32_e32 v199, 31, v198
	v_lshlrev_b64 v[204:205], 2, v[198:199]
	v_add_co_u32 v204, vcc_lo, v196, v204
	v_add_co_ci_u32_e64 v205, null, v197, v205, vcc_lo
	s_clause 0x1
	global_load_dword v0, v[204:205], off
	global_load_dword v199, v[196:197], off offset:92
	s_waitcnt vmcnt(1)
	global_store_dword v[196:197], v0, off offset:92
	s_waitcnt vmcnt(0)
	global_store_dword v[204:205], v199, off
.LBB92_497:
	s_or_b32 exec_lo, exec_lo, s8
	v_mov_b32_e32 v204, v198
	v_mov_b32_e32 v0, v198
.LBB92_498:
	s_or_b32 exec_lo, exec_lo, s7
.LBB92_499:
	s_andn2_saveexec_b32 s0, s0
	s_cbranch_execz .LBB92_501
; %bb.500:
	v_mov_b32_e32 v204, 23
	ds_write2_b64 v1, v[82:83], v[84:85] offset0:48 offset1:49
	ds_write2_b64 v1, v[62:63], v[64:65] offset0:50 offset1:51
	;; [unrolled: 1-line block ×23, first 2 shown]
.LBB92_501:
	s_or_b32 exec_lo, exec_lo, s0
	s_mov_b32 s0, exec_lo
	s_waitcnt lgkmcnt(0)
	s_waitcnt_vscnt null, 0x0
	s_barrier
	buffer_gl0_inv
	v_cmpx_lt_i32_e32 23, v204
	s_cbranch_execz .LBB92_503
; %bb.502:
	v_mul_f64 v[198:199], v[192:193], v[76:77]
	v_mul_f64 v[76:77], v[190:191], v[76:77]
	v_fma_f64 v[198:199], v[190:191], v[74:75], -v[198:199]
	v_fma_f64 v[76:77], v[192:193], v[74:75], v[76:77]
	ds_read2_b64 v[190:193], v1 offset0:48 offset1:49
	s_waitcnt lgkmcnt(0)
	v_mul_f64 v[74:75], v[192:193], v[76:77]
	v_fma_f64 v[74:75], v[190:191], v[198:199], -v[74:75]
	v_mul_f64 v[190:191], v[190:191], v[76:77]
	v_add_f64 v[82:83], v[82:83], -v[74:75]
	v_fma_f64 v[190:191], v[192:193], v[198:199], v[190:191]
	v_add_f64 v[84:85], v[84:85], -v[190:191]
	ds_read2_b64 v[190:193], v1 offset0:50 offset1:51
	s_waitcnt lgkmcnt(0)
	v_mul_f64 v[74:75], v[192:193], v[76:77]
	v_fma_f64 v[74:75], v[190:191], v[198:199], -v[74:75]
	v_mul_f64 v[190:191], v[190:191], v[76:77]
	v_add_f64 v[62:63], v[62:63], -v[74:75]
	v_fma_f64 v[190:191], v[192:193], v[198:199], v[190:191]
	v_add_f64 v[64:65], v[64:65], -v[190:191]
	;; [unrolled: 8-line block ×22, first 2 shown]
	ds_read2_b64 v[190:193], v1 offset0:92 offset1:93
	s_waitcnt lgkmcnt(0)
	v_mul_f64 v[74:75], v[192:193], v[76:77]
	v_fma_f64 v[74:75], v[190:191], v[198:199], -v[74:75]
	v_mul_f64 v[190:191], v[190:191], v[76:77]
	v_add_f64 v[2:3], v[2:3], -v[74:75]
	v_fma_f64 v[190:191], v[192:193], v[198:199], v[190:191]
	v_mov_b32_e32 v74, v198
	v_mov_b32_e32 v75, v199
	v_add_f64 v[4:5], v[4:5], -v[190:191]
.LBB92_503:
	s_or_b32 exec_lo, exec_lo, s0
	v_lshl_add_u32 v190, v204, 4, v1
	s_barrier
	buffer_gl0_inv
	v_mov_b32_e32 v198, 24
	ds_write2_b64 v190, v[82:83], v[84:85] offset1:1
	s_waitcnt lgkmcnt(0)
	s_barrier
	buffer_gl0_inv
	ds_read2_b64 v[190:193], v1 offset0:48 offset1:49
	s_cmp_lt_i32 s1, 26
	s_cbranch_scc1 .LBB92_506
; %bb.504:
	v_add3_u32 v199, v200, 0, 0x190
	v_mov_b32_e32 v198, 24
	s_mov_b32 s7, 25
	s_inst_prefetch 0x1
	.p2align	6
.LBB92_505:                             ; =>This Inner Loop Header: Depth=1
	s_waitcnt lgkmcnt(0)
	v_cmp_gt_f64_e32 vcc_lo, 0, v[192:193]
	v_cmp_gt_f64_e64 s0, 0, v[190:191]
	ds_read2_b64 v[205:208], v199 offset1:1
	v_xor_b32_e32 v210, 0x80000000, v191
	v_xor_b32_e32 v212, 0x80000000, v193
	v_mov_b32_e32 v209, v190
	v_mov_b32_e32 v211, v192
	v_add_nc_u32_e32 v199, 16, v199
	s_waitcnt lgkmcnt(0)
	v_xor_b32_e32 v214, 0x80000000, v208
	v_cndmask_b32_e64 v210, v191, v210, s0
	v_cndmask_b32_e32 v212, v193, v212, vcc_lo
	v_cmp_gt_f64_e32 vcc_lo, 0, v[207:208]
	v_cmp_gt_f64_e64 s0, 0, v[205:206]
	v_mov_b32_e32 v213, v207
	v_add_f64 v[209:210], v[209:210], v[211:212]
	v_xor_b32_e32 v212, 0x80000000, v206
	v_mov_b32_e32 v211, v205
	v_cndmask_b32_e32 v214, v208, v214, vcc_lo
	v_cndmask_b32_e64 v212, v206, v212, s0
	v_add_f64 v[211:212], v[211:212], v[213:214]
	v_cmp_lt_f64_e32 vcc_lo, v[209:210], v[211:212]
	v_cndmask_b32_e32 v191, v191, v206, vcc_lo
	v_cndmask_b32_e32 v190, v190, v205, vcc_lo
	;; [unrolled: 1-line block ×4, first 2 shown]
	v_cndmask_b32_e64 v198, v198, s7, vcc_lo
	s_add_i32 s7, s7, 1
	s_cmp_lg_u32 s1, s7
	s_cbranch_scc1 .LBB92_505
.LBB92_506:
	s_inst_prefetch 0x2
	s_waitcnt lgkmcnt(0)
	v_cmp_eq_f64_e32 vcc_lo, 0, v[190:191]
	v_cmp_eq_f64_e64 s0, 0, v[192:193]
	s_and_b32 s0, vcc_lo, s0
	s_and_saveexec_b32 s7, s0
	s_xor_b32 s0, exec_lo, s7
; %bb.507:
	v_cmp_ne_u32_e32 vcc_lo, 0, v203
	v_cndmask_b32_e32 v203, 25, v203, vcc_lo
; %bb.508:
	s_andn2_saveexec_b32 s0, s0
	s_cbranch_execz .LBB92_514
; %bb.509:
	v_cmp_ngt_f64_e64 s7, |v[190:191]|, |v[192:193]|
	s_and_saveexec_b32 s8, s7
	s_xor_b32 s7, exec_lo, s8
	s_cbranch_execz .LBB92_511
; %bb.510:
	v_div_scale_f64 v[205:206], null, v[192:193], v[192:193], v[190:191]
	v_div_scale_f64 v[211:212], vcc_lo, v[190:191], v[192:193], v[190:191]
	v_rcp_f64_e32 v[207:208], v[205:206]
	v_fma_f64 v[209:210], -v[205:206], v[207:208], 1.0
	v_fma_f64 v[207:208], v[207:208], v[209:210], v[207:208]
	v_fma_f64 v[209:210], -v[205:206], v[207:208], 1.0
	v_fma_f64 v[207:208], v[207:208], v[209:210], v[207:208]
	v_mul_f64 v[209:210], v[211:212], v[207:208]
	v_fma_f64 v[205:206], -v[205:206], v[209:210], v[211:212]
	v_div_fmas_f64 v[205:206], v[205:206], v[207:208], v[209:210]
	v_div_fixup_f64 v[205:206], v[205:206], v[192:193], v[190:191]
	v_fma_f64 v[190:191], v[190:191], v[205:206], v[192:193]
	v_div_scale_f64 v[192:193], null, v[190:191], v[190:191], 1.0
	v_rcp_f64_e32 v[207:208], v[192:193]
	v_fma_f64 v[209:210], -v[192:193], v[207:208], 1.0
	v_fma_f64 v[207:208], v[207:208], v[209:210], v[207:208]
	v_fma_f64 v[209:210], -v[192:193], v[207:208], 1.0
	v_fma_f64 v[207:208], v[207:208], v[209:210], v[207:208]
	v_div_scale_f64 v[209:210], vcc_lo, 1.0, v[190:191], 1.0
	v_mul_f64 v[211:212], v[209:210], v[207:208]
	v_fma_f64 v[192:193], -v[192:193], v[211:212], v[209:210]
	v_div_fmas_f64 v[192:193], v[192:193], v[207:208], v[211:212]
	v_div_fixup_f64 v[192:193], v[192:193], v[190:191], 1.0
	v_mul_f64 v[190:191], v[205:206], v[192:193]
	v_xor_b32_e32 v193, 0x80000000, v193
.LBB92_511:
	s_andn2_saveexec_b32 s7, s7
	s_cbranch_execz .LBB92_513
; %bb.512:
	v_div_scale_f64 v[205:206], null, v[190:191], v[190:191], v[192:193]
	v_div_scale_f64 v[211:212], vcc_lo, v[192:193], v[190:191], v[192:193]
	v_rcp_f64_e32 v[207:208], v[205:206]
	v_fma_f64 v[209:210], -v[205:206], v[207:208], 1.0
	v_fma_f64 v[207:208], v[207:208], v[209:210], v[207:208]
	v_fma_f64 v[209:210], -v[205:206], v[207:208], 1.0
	v_fma_f64 v[207:208], v[207:208], v[209:210], v[207:208]
	v_mul_f64 v[209:210], v[211:212], v[207:208]
	v_fma_f64 v[205:206], -v[205:206], v[209:210], v[211:212]
	v_div_fmas_f64 v[205:206], v[205:206], v[207:208], v[209:210]
	v_div_fixup_f64 v[205:206], v[205:206], v[190:191], v[192:193]
	v_fma_f64 v[190:191], v[192:193], v[205:206], v[190:191]
	v_div_scale_f64 v[192:193], null, v[190:191], v[190:191], 1.0
	v_rcp_f64_e32 v[207:208], v[192:193]
	v_fma_f64 v[209:210], -v[192:193], v[207:208], 1.0
	v_fma_f64 v[207:208], v[207:208], v[209:210], v[207:208]
	v_fma_f64 v[209:210], -v[192:193], v[207:208], 1.0
	v_fma_f64 v[207:208], v[207:208], v[209:210], v[207:208]
	v_div_scale_f64 v[209:210], vcc_lo, 1.0, v[190:191], 1.0
	v_mul_f64 v[211:212], v[209:210], v[207:208]
	v_fma_f64 v[192:193], -v[192:193], v[211:212], v[209:210]
	v_div_fmas_f64 v[192:193], v[192:193], v[207:208], v[211:212]
	v_div_fixup_f64 v[190:191], v[192:193], v[190:191], 1.0
	v_mul_f64 v[192:193], v[205:206], -v[190:191]
.LBB92_513:
	s_or_b32 exec_lo, exec_lo, s7
.LBB92_514:
	s_or_b32 exec_lo, exec_lo, s0
	s_mov_b32 s0, exec_lo
	v_cmpx_ne_u32_e64 v204, v198
	s_xor_b32 s0, exec_lo, s0
	s_cbranch_execz .LBB92_520
; %bb.515:
	s_mov_b32 s7, exec_lo
	v_cmpx_eq_u32_e32 24, v204
	s_cbranch_execz .LBB92_519
; %bb.516:
	v_cmp_ne_u32_e32 vcc_lo, 24, v198
	s_xor_b32 s8, s16, -1
	s_and_b32 s9, s8, vcc_lo
	s_and_saveexec_b32 s8, s9
	s_cbranch_execz .LBB92_518
; %bb.517:
	v_ashrrev_i32_e32 v199, 31, v198
	v_lshlrev_b64 v[204:205], 2, v[198:199]
	v_add_co_u32 v204, vcc_lo, v196, v204
	v_add_co_ci_u32_e64 v205, null, v197, v205, vcc_lo
	s_clause 0x1
	global_load_dword v0, v[204:205], off
	global_load_dword v199, v[196:197], off offset:96
	s_waitcnt vmcnt(1)
	global_store_dword v[196:197], v0, off offset:96
	s_waitcnt vmcnt(0)
	global_store_dword v[204:205], v199, off
.LBB92_518:
	s_or_b32 exec_lo, exec_lo, s8
	v_mov_b32_e32 v204, v198
	v_mov_b32_e32 v0, v198
.LBB92_519:
	s_or_b32 exec_lo, exec_lo, s7
.LBB92_520:
	s_andn2_saveexec_b32 s0, s0
	s_cbranch_execz .LBB92_522
; %bb.521:
	v_mov_b32_e32 v204, 24
	ds_write2_b64 v1, v[62:63], v[64:65] offset0:50 offset1:51
	ds_write2_b64 v1, v[110:111], v[112:113] offset0:52 offset1:53
	;; [unrolled: 1-line block ×22, first 2 shown]
.LBB92_522:
	s_or_b32 exec_lo, exec_lo, s0
	s_mov_b32 s0, exec_lo
	s_waitcnt lgkmcnt(0)
	s_waitcnt_vscnt null, 0x0
	s_barrier
	buffer_gl0_inv
	v_cmpx_lt_i32_e32 24, v204
	s_cbranch_execz .LBB92_524
; %bb.523:
	v_mul_f64 v[198:199], v[192:193], v[84:85]
	v_mul_f64 v[84:85], v[190:191], v[84:85]
	v_fma_f64 v[198:199], v[190:191], v[82:83], -v[198:199]
	v_fma_f64 v[84:85], v[192:193], v[82:83], v[84:85]
	ds_read2_b64 v[190:193], v1 offset0:50 offset1:51
	s_waitcnt lgkmcnt(0)
	v_mul_f64 v[82:83], v[192:193], v[84:85]
	v_fma_f64 v[82:83], v[190:191], v[198:199], -v[82:83]
	v_mul_f64 v[190:191], v[190:191], v[84:85]
	v_add_f64 v[62:63], v[62:63], -v[82:83]
	v_fma_f64 v[190:191], v[192:193], v[198:199], v[190:191]
	v_add_f64 v[64:65], v[64:65], -v[190:191]
	ds_read2_b64 v[190:193], v1 offset0:52 offset1:53
	s_waitcnt lgkmcnt(0)
	v_mul_f64 v[82:83], v[192:193], v[84:85]
	v_fma_f64 v[82:83], v[190:191], v[198:199], -v[82:83]
	v_mul_f64 v[190:191], v[190:191], v[84:85]
	v_add_f64 v[110:111], v[110:111], -v[82:83]
	v_fma_f64 v[190:191], v[192:193], v[198:199], v[190:191]
	v_add_f64 v[112:113], v[112:113], -v[190:191]
	;; [unrolled: 8-line block ×21, first 2 shown]
	ds_read2_b64 v[190:193], v1 offset0:92 offset1:93
	s_waitcnt lgkmcnt(0)
	v_mul_f64 v[82:83], v[192:193], v[84:85]
	v_fma_f64 v[82:83], v[190:191], v[198:199], -v[82:83]
	v_mul_f64 v[190:191], v[190:191], v[84:85]
	v_add_f64 v[2:3], v[2:3], -v[82:83]
	v_fma_f64 v[190:191], v[192:193], v[198:199], v[190:191]
	v_mov_b32_e32 v82, v198
	v_mov_b32_e32 v83, v199
	v_add_f64 v[4:5], v[4:5], -v[190:191]
.LBB92_524:
	s_or_b32 exec_lo, exec_lo, s0
	v_lshl_add_u32 v190, v204, 4, v1
	s_barrier
	buffer_gl0_inv
	v_mov_b32_e32 v198, 25
	ds_write2_b64 v190, v[62:63], v[64:65] offset1:1
	s_waitcnt lgkmcnt(0)
	s_barrier
	buffer_gl0_inv
	ds_read2_b64 v[190:193], v1 offset0:50 offset1:51
	s_cmp_lt_i32 s1, 27
	s_cbranch_scc1 .LBB92_527
; %bb.525:
	v_add3_u32 v199, v200, 0, 0x1a0
	v_mov_b32_e32 v198, 25
	s_mov_b32 s7, 26
	s_inst_prefetch 0x1
	.p2align	6
.LBB92_526:                             ; =>This Inner Loop Header: Depth=1
	s_waitcnt lgkmcnt(0)
	v_cmp_gt_f64_e32 vcc_lo, 0, v[192:193]
	v_cmp_gt_f64_e64 s0, 0, v[190:191]
	ds_read2_b64 v[205:208], v199 offset1:1
	v_xor_b32_e32 v210, 0x80000000, v191
	v_xor_b32_e32 v212, 0x80000000, v193
	v_mov_b32_e32 v209, v190
	v_mov_b32_e32 v211, v192
	v_add_nc_u32_e32 v199, 16, v199
	s_waitcnt lgkmcnt(0)
	v_xor_b32_e32 v214, 0x80000000, v208
	v_cndmask_b32_e64 v210, v191, v210, s0
	v_cndmask_b32_e32 v212, v193, v212, vcc_lo
	v_cmp_gt_f64_e32 vcc_lo, 0, v[207:208]
	v_cmp_gt_f64_e64 s0, 0, v[205:206]
	v_mov_b32_e32 v213, v207
	v_add_f64 v[209:210], v[209:210], v[211:212]
	v_xor_b32_e32 v212, 0x80000000, v206
	v_mov_b32_e32 v211, v205
	v_cndmask_b32_e32 v214, v208, v214, vcc_lo
	v_cndmask_b32_e64 v212, v206, v212, s0
	v_add_f64 v[211:212], v[211:212], v[213:214]
	v_cmp_lt_f64_e32 vcc_lo, v[209:210], v[211:212]
	v_cndmask_b32_e32 v191, v191, v206, vcc_lo
	v_cndmask_b32_e32 v190, v190, v205, vcc_lo
	;; [unrolled: 1-line block ×4, first 2 shown]
	v_cndmask_b32_e64 v198, v198, s7, vcc_lo
	s_add_i32 s7, s7, 1
	s_cmp_lg_u32 s1, s7
	s_cbranch_scc1 .LBB92_526
.LBB92_527:
	s_inst_prefetch 0x2
	s_waitcnt lgkmcnt(0)
	v_cmp_eq_f64_e32 vcc_lo, 0, v[190:191]
	v_cmp_eq_f64_e64 s0, 0, v[192:193]
	s_and_b32 s0, vcc_lo, s0
	s_and_saveexec_b32 s7, s0
	s_xor_b32 s0, exec_lo, s7
; %bb.528:
	v_cmp_ne_u32_e32 vcc_lo, 0, v203
	v_cndmask_b32_e32 v203, 26, v203, vcc_lo
; %bb.529:
	s_andn2_saveexec_b32 s0, s0
	s_cbranch_execz .LBB92_535
; %bb.530:
	v_cmp_ngt_f64_e64 s7, |v[190:191]|, |v[192:193]|
	s_and_saveexec_b32 s8, s7
	s_xor_b32 s7, exec_lo, s8
	s_cbranch_execz .LBB92_532
; %bb.531:
	v_div_scale_f64 v[205:206], null, v[192:193], v[192:193], v[190:191]
	v_div_scale_f64 v[211:212], vcc_lo, v[190:191], v[192:193], v[190:191]
	v_rcp_f64_e32 v[207:208], v[205:206]
	v_fma_f64 v[209:210], -v[205:206], v[207:208], 1.0
	v_fma_f64 v[207:208], v[207:208], v[209:210], v[207:208]
	v_fma_f64 v[209:210], -v[205:206], v[207:208], 1.0
	v_fma_f64 v[207:208], v[207:208], v[209:210], v[207:208]
	v_mul_f64 v[209:210], v[211:212], v[207:208]
	v_fma_f64 v[205:206], -v[205:206], v[209:210], v[211:212]
	v_div_fmas_f64 v[205:206], v[205:206], v[207:208], v[209:210]
	v_div_fixup_f64 v[205:206], v[205:206], v[192:193], v[190:191]
	v_fma_f64 v[190:191], v[190:191], v[205:206], v[192:193]
	v_div_scale_f64 v[192:193], null, v[190:191], v[190:191], 1.0
	v_rcp_f64_e32 v[207:208], v[192:193]
	v_fma_f64 v[209:210], -v[192:193], v[207:208], 1.0
	v_fma_f64 v[207:208], v[207:208], v[209:210], v[207:208]
	v_fma_f64 v[209:210], -v[192:193], v[207:208], 1.0
	v_fma_f64 v[207:208], v[207:208], v[209:210], v[207:208]
	v_div_scale_f64 v[209:210], vcc_lo, 1.0, v[190:191], 1.0
	v_mul_f64 v[211:212], v[209:210], v[207:208]
	v_fma_f64 v[192:193], -v[192:193], v[211:212], v[209:210]
	v_div_fmas_f64 v[192:193], v[192:193], v[207:208], v[211:212]
	v_div_fixup_f64 v[192:193], v[192:193], v[190:191], 1.0
	v_mul_f64 v[190:191], v[205:206], v[192:193]
	v_xor_b32_e32 v193, 0x80000000, v193
.LBB92_532:
	s_andn2_saveexec_b32 s7, s7
	s_cbranch_execz .LBB92_534
; %bb.533:
	v_div_scale_f64 v[205:206], null, v[190:191], v[190:191], v[192:193]
	v_div_scale_f64 v[211:212], vcc_lo, v[192:193], v[190:191], v[192:193]
	v_rcp_f64_e32 v[207:208], v[205:206]
	v_fma_f64 v[209:210], -v[205:206], v[207:208], 1.0
	v_fma_f64 v[207:208], v[207:208], v[209:210], v[207:208]
	v_fma_f64 v[209:210], -v[205:206], v[207:208], 1.0
	v_fma_f64 v[207:208], v[207:208], v[209:210], v[207:208]
	v_mul_f64 v[209:210], v[211:212], v[207:208]
	v_fma_f64 v[205:206], -v[205:206], v[209:210], v[211:212]
	v_div_fmas_f64 v[205:206], v[205:206], v[207:208], v[209:210]
	v_div_fixup_f64 v[205:206], v[205:206], v[190:191], v[192:193]
	v_fma_f64 v[190:191], v[192:193], v[205:206], v[190:191]
	v_div_scale_f64 v[192:193], null, v[190:191], v[190:191], 1.0
	v_rcp_f64_e32 v[207:208], v[192:193]
	v_fma_f64 v[209:210], -v[192:193], v[207:208], 1.0
	v_fma_f64 v[207:208], v[207:208], v[209:210], v[207:208]
	v_fma_f64 v[209:210], -v[192:193], v[207:208], 1.0
	v_fma_f64 v[207:208], v[207:208], v[209:210], v[207:208]
	v_div_scale_f64 v[209:210], vcc_lo, 1.0, v[190:191], 1.0
	v_mul_f64 v[211:212], v[209:210], v[207:208]
	v_fma_f64 v[192:193], -v[192:193], v[211:212], v[209:210]
	v_div_fmas_f64 v[192:193], v[192:193], v[207:208], v[211:212]
	v_div_fixup_f64 v[190:191], v[192:193], v[190:191], 1.0
	v_mul_f64 v[192:193], v[205:206], -v[190:191]
.LBB92_534:
	s_or_b32 exec_lo, exec_lo, s7
.LBB92_535:
	s_or_b32 exec_lo, exec_lo, s0
	s_mov_b32 s0, exec_lo
	v_cmpx_ne_u32_e64 v204, v198
	s_xor_b32 s0, exec_lo, s0
	s_cbranch_execz .LBB92_541
; %bb.536:
	s_mov_b32 s7, exec_lo
	v_cmpx_eq_u32_e32 25, v204
	s_cbranch_execz .LBB92_540
; %bb.537:
	v_cmp_ne_u32_e32 vcc_lo, 25, v198
	s_xor_b32 s8, s16, -1
	s_and_b32 s9, s8, vcc_lo
	s_and_saveexec_b32 s8, s9
	s_cbranch_execz .LBB92_539
; %bb.538:
	v_ashrrev_i32_e32 v199, 31, v198
	v_lshlrev_b64 v[204:205], 2, v[198:199]
	v_add_co_u32 v204, vcc_lo, v196, v204
	v_add_co_ci_u32_e64 v205, null, v197, v205, vcc_lo
	s_clause 0x1
	global_load_dword v0, v[204:205], off
	global_load_dword v199, v[196:197], off offset:100
	s_waitcnt vmcnt(1)
	global_store_dword v[196:197], v0, off offset:100
	s_waitcnt vmcnt(0)
	global_store_dword v[204:205], v199, off
.LBB92_539:
	s_or_b32 exec_lo, exec_lo, s8
	v_mov_b32_e32 v204, v198
	v_mov_b32_e32 v0, v198
.LBB92_540:
	s_or_b32 exec_lo, exec_lo, s7
.LBB92_541:
	s_andn2_saveexec_b32 s0, s0
	s_cbranch_execz .LBB92_543
; %bb.542:
	v_mov_b32_e32 v204, 25
	ds_write2_b64 v1, v[110:111], v[112:113] offset0:52 offset1:53
	ds_write2_b64 v1, v[94:95], v[96:97] offset0:54 offset1:55
	;; [unrolled: 1-line block ×21, first 2 shown]
.LBB92_543:
	s_or_b32 exec_lo, exec_lo, s0
	s_mov_b32 s0, exec_lo
	s_waitcnt lgkmcnt(0)
	s_waitcnt_vscnt null, 0x0
	s_barrier
	buffer_gl0_inv
	v_cmpx_lt_i32_e32 25, v204
	s_cbranch_execz .LBB92_545
; %bb.544:
	v_mul_f64 v[198:199], v[192:193], v[64:65]
	v_mul_f64 v[64:65], v[190:191], v[64:65]
	v_fma_f64 v[198:199], v[190:191], v[62:63], -v[198:199]
	v_fma_f64 v[64:65], v[192:193], v[62:63], v[64:65]
	ds_read2_b64 v[190:193], v1 offset0:52 offset1:53
	s_waitcnt lgkmcnt(0)
	v_mul_f64 v[62:63], v[192:193], v[64:65]
	v_fma_f64 v[62:63], v[190:191], v[198:199], -v[62:63]
	v_mul_f64 v[190:191], v[190:191], v[64:65]
	v_add_f64 v[110:111], v[110:111], -v[62:63]
	v_fma_f64 v[190:191], v[192:193], v[198:199], v[190:191]
	v_add_f64 v[112:113], v[112:113], -v[190:191]
	ds_read2_b64 v[190:193], v1 offset0:54 offset1:55
	s_waitcnt lgkmcnt(0)
	v_mul_f64 v[62:63], v[192:193], v[64:65]
	v_fma_f64 v[62:63], v[190:191], v[198:199], -v[62:63]
	v_mul_f64 v[190:191], v[190:191], v[64:65]
	v_add_f64 v[94:95], v[94:95], -v[62:63]
	v_fma_f64 v[190:191], v[192:193], v[198:199], v[190:191]
	v_add_f64 v[96:97], v[96:97], -v[190:191]
	ds_read2_b64 v[190:193], v1 offset0:56 offset1:57
	s_waitcnt lgkmcnt(0)
	v_mul_f64 v[62:63], v[192:193], v[64:65]
	v_fma_f64 v[62:63], v[190:191], v[198:199], -v[62:63]
	v_mul_f64 v[190:191], v[190:191], v[64:65]
	v_add_f64 v[90:91], v[90:91], -v[62:63]
	v_fma_f64 v[190:191], v[192:193], v[198:199], v[190:191]
	v_add_f64 v[92:93], v[92:93], -v[190:191]
	ds_read2_b64 v[190:193], v1 offset0:58 offset1:59
	s_waitcnt lgkmcnt(0)
	v_mul_f64 v[62:63], v[192:193], v[64:65]
	v_fma_f64 v[62:63], v[190:191], v[198:199], -v[62:63]
	v_mul_f64 v[190:191], v[190:191], v[64:65]
	v_add_f64 v[86:87], v[86:87], -v[62:63]
	v_fma_f64 v[190:191], v[192:193], v[198:199], v[190:191]
	v_add_f64 v[88:89], v[88:89], -v[190:191]
	ds_read2_b64 v[190:193], v1 offset0:60 offset1:61
	s_waitcnt lgkmcnt(0)
	v_mul_f64 v[62:63], v[192:193], v[64:65]
	v_fma_f64 v[62:63], v[190:191], v[198:199], -v[62:63]
	v_mul_f64 v[190:191], v[190:191], v[64:65]
	v_add_f64 v[70:71], v[70:71], -v[62:63]
	v_fma_f64 v[190:191], v[192:193], v[198:199], v[190:191]
	v_add_f64 v[72:73], v[72:73], -v[190:191]
	ds_read2_b64 v[190:193], v1 offset0:62 offset1:63
	s_waitcnt lgkmcnt(0)
	v_mul_f64 v[62:63], v[192:193], v[64:65]
	v_fma_f64 v[62:63], v[190:191], v[198:199], -v[62:63]
	v_mul_f64 v[190:191], v[190:191], v[64:65]
	v_add_f64 v[66:67], v[66:67], -v[62:63]
	v_fma_f64 v[190:191], v[192:193], v[198:199], v[190:191]
	v_add_f64 v[68:69], v[68:69], -v[190:191]
	ds_read2_b64 v[190:193], v1 offset0:64 offset1:65
	s_waitcnt lgkmcnt(0)
	v_mul_f64 v[62:63], v[192:193], v[64:65]
	v_fma_f64 v[62:63], v[190:191], v[198:199], -v[62:63]
	v_mul_f64 v[190:191], v[190:191], v[64:65]
	v_add_f64 v[58:59], v[58:59], -v[62:63]
	v_fma_f64 v[190:191], v[192:193], v[198:199], v[190:191]
	v_add_f64 v[60:61], v[60:61], -v[190:191]
	ds_read2_b64 v[190:193], v1 offset0:66 offset1:67
	s_waitcnt lgkmcnt(0)
	v_mul_f64 v[62:63], v[192:193], v[64:65]
	v_fma_f64 v[62:63], v[190:191], v[198:199], -v[62:63]
	v_mul_f64 v[190:191], v[190:191], v[64:65]
	v_add_f64 v[54:55], v[54:55], -v[62:63]
	v_fma_f64 v[190:191], v[192:193], v[198:199], v[190:191]
	v_add_f64 v[56:57], v[56:57], -v[190:191]
	ds_read2_b64 v[190:193], v1 offset0:68 offset1:69
	s_waitcnt lgkmcnt(0)
	v_mul_f64 v[62:63], v[192:193], v[64:65]
	v_fma_f64 v[62:63], v[190:191], v[198:199], -v[62:63]
	v_mul_f64 v[190:191], v[190:191], v[64:65]
	v_add_f64 v[50:51], v[50:51], -v[62:63]
	v_fma_f64 v[190:191], v[192:193], v[198:199], v[190:191]
	v_add_f64 v[52:53], v[52:53], -v[190:191]
	ds_read2_b64 v[190:193], v1 offset0:70 offset1:71
	s_waitcnt lgkmcnt(0)
	v_mul_f64 v[62:63], v[192:193], v[64:65]
	v_fma_f64 v[62:63], v[190:191], v[198:199], -v[62:63]
	v_mul_f64 v[190:191], v[190:191], v[64:65]
	v_add_f64 v[46:47], v[46:47], -v[62:63]
	v_fma_f64 v[190:191], v[192:193], v[198:199], v[190:191]
	v_add_f64 v[48:49], v[48:49], -v[190:191]
	ds_read2_b64 v[190:193], v1 offset0:72 offset1:73
	s_waitcnt lgkmcnt(0)
	v_mul_f64 v[62:63], v[192:193], v[64:65]
	v_fma_f64 v[62:63], v[190:191], v[198:199], -v[62:63]
	v_mul_f64 v[190:191], v[190:191], v[64:65]
	v_add_f64 v[42:43], v[42:43], -v[62:63]
	v_fma_f64 v[190:191], v[192:193], v[198:199], v[190:191]
	v_add_f64 v[44:45], v[44:45], -v[190:191]
	ds_read2_b64 v[190:193], v1 offset0:74 offset1:75
	s_waitcnt lgkmcnt(0)
	v_mul_f64 v[62:63], v[192:193], v[64:65]
	v_fma_f64 v[62:63], v[190:191], v[198:199], -v[62:63]
	v_mul_f64 v[190:191], v[190:191], v[64:65]
	v_add_f64 v[38:39], v[38:39], -v[62:63]
	v_fma_f64 v[190:191], v[192:193], v[198:199], v[190:191]
	v_add_f64 v[40:41], v[40:41], -v[190:191]
	ds_read2_b64 v[190:193], v1 offset0:76 offset1:77
	s_waitcnt lgkmcnt(0)
	v_mul_f64 v[62:63], v[192:193], v[64:65]
	v_fma_f64 v[62:63], v[190:191], v[198:199], -v[62:63]
	v_mul_f64 v[190:191], v[190:191], v[64:65]
	v_add_f64 v[34:35], v[34:35], -v[62:63]
	v_fma_f64 v[190:191], v[192:193], v[198:199], v[190:191]
	v_add_f64 v[36:37], v[36:37], -v[190:191]
	ds_read2_b64 v[190:193], v1 offset0:78 offset1:79
	s_waitcnt lgkmcnt(0)
	v_mul_f64 v[62:63], v[192:193], v[64:65]
	v_fma_f64 v[62:63], v[190:191], v[198:199], -v[62:63]
	v_mul_f64 v[190:191], v[190:191], v[64:65]
	v_add_f64 v[30:31], v[30:31], -v[62:63]
	v_fma_f64 v[190:191], v[192:193], v[198:199], v[190:191]
	v_add_f64 v[32:33], v[32:33], -v[190:191]
	ds_read2_b64 v[190:193], v1 offset0:80 offset1:81
	s_waitcnt lgkmcnt(0)
	v_mul_f64 v[62:63], v[192:193], v[64:65]
	v_fma_f64 v[62:63], v[190:191], v[198:199], -v[62:63]
	v_mul_f64 v[190:191], v[190:191], v[64:65]
	v_add_f64 v[26:27], v[26:27], -v[62:63]
	v_fma_f64 v[190:191], v[192:193], v[198:199], v[190:191]
	v_add_f64 v[28:29], v[28:29], -v[190:191]
	ds_read2_b64 v[190:193], v1 offset0:82 offset1:83
	s_waitcnt lgkmcnt(0)
	v_mul_f64 v[62:63], v[192:193], v[64:65]
	v_fma_f64 v[62:63], v[190:191], v[198:199], -v[62:63]
	v_mul_f64 v[190:191], v[190:191], v[64:65]
	v_add_f64 v[22:23], v[22:23], -v[62:63]
	v_fma_f64 v[190:191], v[192:193], v[198:199], v[190:191]
	v_add_f64 v[24:25], v[24:25], -v[190:191]
	ds_read2_b64 v[190:193], v1 offset0:84 offset1:85
	s_waitcnt lgkmcnt(0)
	v_mul_f64 v[62:63], v[192:193], v[64:65]
	v_fma_f64 v[62:63], v[190:191], v[198:199], -v[62:63]
	v_mul_f64 v[190:191], v[190:191], v[64:65]
	v_add_f64 v[18:19], v[18:19], -v[62:63]
	v_fma_f64 v[190:191], v[192:193], v[198:199], v[190:191]
	v_add_f64 v[20:21], v[20:21], -v[190:191]
	ds_read2_b64 v[190:193], v1 offset0:86 offset1:87
	s_waitcnt lgkmcnt(0)
	v_mul_f64 v[62:63], v[192:193], v[64:65]
	v_fma_f64 v[62:63], v[190:191], v[198:199], -v[62:63]
	v_mul_f64 v[190:191], v[190:191], v[64:65]
	v_add_f64 v[14:15], v[14:15], -v[62:63]
	v_fma_f64 v[190:191], v[192:193], v[198:199], v[190:191]
	v_add_f64 v[16:17], v[16:17], -v[190:191]
	ds_read2_b64 v[190:193], v1 offset0:88 offset1:89
	s_waitcnt lgkmcnt(0)
	v_mul_f64 v[62:63], v[192:193], v[64:65]
	v_fma_f64 v[62:63], v[190:191], v[198:199], -v[62:63]
	v_mul_f64 v[190:191], v[190:191], v[64:65]
	v_add_f64 v[10:11], v[10:11], -v[62:63]
	v_fma_f64 v[190:191], v[192:193], v[198:199], v[190:191]
	v_add_f64 v[12:13], v[12:13], -v[190:191]
	ds_read2_b64 v[190:193], v1 offset0:90 offset1:91
	s_waitcnt lgkmcnt(0)
	v_mul_f64 v[62:63], v[192:193], v[64:65]
	v_fma_f64 v[62:63], v[190:191], v[198:199], -v[62:63]
	v_mul_f64 v[190:191], v[190:191], v[64:65]
	v_add_f64 v[6:7], v[6:7], -v[62:63]
	v_fma_f64 v[190:191], v[192:193], v[198:199], v[190:191]
	v_add_f64 v[8:9], v[8:9], -v[190:191]
	ds_read2_b64 v[190:193], v1 offset0:92 offset1:93
	s_waitcnt lgkmcnt(0)
	v_mul_f64 v[62:63], v[192:193], v[64:65]
	v_fma_f64 v[62:63], v[190:191], v[198:199], -v[62:63]
	v_mul_f64 v[190:191], v[190:191], v[64:65]
	v_add_f64 v[2:3], v[2:3], -v[62:63]
	v_fma_f64 v[190:191], v[192:193], v[198:199], v[190:191]
	v_mov_b32_e32 v62, v198
	v_mov_b32_e32 v63, v199
	v_add_f64 v[4:5], v[4:5], -v[190:191]
.LBB92_545:
	s_or_b32 exec_lo, exec_lo, s0
	v_lshl_add_u32 v190, v204, 4, v1
	s_barrier
	buffer_gl0_inv
	v_mov_b32_e32 v198, 26
	ds_write2_b64 v190, v[110:111], v[112:113] offset1:1
	s_waitcnt lgkmcnt(0)
	s_barrier
	buffer_gl0_inv
	ds_read2_b64 v[190:193], v1 offset0:52 offset1:53
	s_cmp_lt_i32 s1, 28
	s_cbranch_scc1 .LBB92_548
; %bb.546:
	v_add3_u32 v199, v200, 0, 0x1b0
	v_mov_b32_e32 v198, 26
	s_mov_b32 s7, 27
	s_inst_prefetch 0x1
	.p2align	6
.LBB92_547:                             ; =>This Inner Loop Header: Depth=1
	s_waitcnt lgkmcnt(0)
	v_cmp_gt_f64_e32 vcc_lo, 0, v[192:193]
	v_cmp_gt_f64_e64 s0, 0, v[190:191]
	ds_read2_b64 v[205:208], v199 offset1:1
	v_xor_b32_e32 v210, 0x80000000, v191
	v_xor_b32_e32 v212, 0x80000000, v193
	v_mov_b32_e32 v209, v190
	v_mov_b32_e32 v211, v192
	v_add_nc_u32_e32 v199, 16, v199
	s_waitcnt lgkmcnt(0)
	v_xor_b32_e32 v214, 0x80000000, v208
	v_cndmask_b32_e64 v210, v191, v210, s0
	v_cndmask_b32_e32 v212, v193, v212, vcc_lo
	v_cmp_gt_f64_e32 vcc_lo, 0, v[207:208]
	v_cmp_gt_f64_e64 s0, 0, v[205:206]
	v_mov_b32_e32 v213, v207
	v_add_f64 v[209:210], v[209:210], v[211:212]
	v_xor_b32_e32 v212, 0x80000000, v206
	v_mov_b32_e32 v211, v205
	v_cndmask_b32_e32 v214, v208, v214, vcc_lo
	v_cndmask_b32_e64 v212, v206, v212, s0
	v_add_f64 v[211:212], v[211:212], v[213:214]
	v_cmp_lt_f64_e32 vcc_lo, v[209:210], v[211:212]
	v_cndmask_b32_e32 v191, v191, v206, vcc_lo
	v_cndmask_b32_e32 v190, v190, v205, vcc_lo
	;; [unrolled: 1-line block ×4, first 2 shown]
	v_cndmask_b32_e64 v198, v198, s7, vcc_lo
	s_add_i32 s7, s7, 1
	s_cmp_lg_u32 s1, s7
	s_cbranch_scc1 .LBB92_547
.LBB92_548:
	s_inst_prefetch 0x2
	s_waitcnt lgkmcnt(0)
	v_cmp_eq_f64_e32 vcc_lo, 0, v[190:191]
	v_cmp_eq_f64_e64 s0, 0, v[192:193]
	s_and_b32 s0, vcc_lo, s0
	s_and_saveexec_b32 s7, s0
	s_xor_b32 s0, exec_lo, s7
; %bb.549:
	v_cmp_ne_u32_e32 vcc_lo, 0, v203
	v_cndmask_b32_e32 v203, 27, v203, vcc_lo
; %bb.550:
	s_andn2_saveexec_b32 s0, s0
	s_cbranch_execz .LBB92_556
; %bb.551:
	v_cmp_ngt_f64_e64 s7, |v[190:191]|, |v[192:193]|
	s_and_saveexec_b32 s8, s7
	s_xor_b32 s7, exec_lo, s8
	s_cbranch_execz .LBB92_553
; %bb.552:
	v_div_scale_f64 v[205:206], null, v[192:193], v[192:193], v[190:191]
	v_div_scale_f64 v[211:212], vcc_lo, v[190:191], v[192:193], v[190:191]
	v_rcp_f64_e32 v[207:208], v[205:206]
	v_fma_f64 v[209:210], -v[205:206], v[207:208], 1.0
	v_fma_f64 v[207:208], v[207:208], v[209:210], v[207:208]
	v_fma_f64 v[209:210], -v[205:206], v[207:208], 1.0
	v_fma_f64 v[207:208], v[207:208], v[209:210], v[207:208]
	v_mul_f64 v[209:210], v[211:212], v[207:208]
	v_fma_f64 v[205:206], -v[205:206], v[209:210], v[211:212]
	v_div_fmas_f64 v[205:206], v[205:206], v[207:208], v[209:210]
	v_div_fixup_f64 v[205:206], v[205:206], v[192:193], v[190:191]
	v_fma_f64 v[190:191], v[190:191], v[205:206], v[192:193]
	v_div_scale_f64 v[192:193], null, v[190:191], v[190:191], 1.0
	v_rcp_f64_e32 v[207:208], v[192:193]
	v_fma_f64 v[209:210], -v[192:193], v[207:208], 1.0
	v_fma_f64 v[207:208], v[207:208], v[209:210], v[207:208]
	v_fma_f64 v[209:210], -v[192:193], v[207:208], 1.0
	v_fma_f64 v[207:208], v[207:208], v[209:210], v[207:208]
	v_div_scale_f64 v[209:210], vcc_lo, 1.0, v[190:191], 1.0
	v_mul_f64 v[211:212], v[209:210], v[207:208]
	v_fma_f64 v[192:193], -v[192:193], v[211:212], v[209:210]
	v_div_fmas_f64 v[192:193], v[192:193], v[207:208], v[211:212]
	v_div_fixup_f64 v[192:193], v[192:193], v[190:191], 1.0
	v_mul_f64 v[190:191], v[205:206], v[192:193]
	v_xor_b32_e32 v193, 0x80000000, v193
.LBB92_553:
	s_andn2_saveexec_b32 s7, s7
	s_cbranch_execz .LBB92_555
; %bb.554:
	v_div_scale_f64 v[205:206], null, v[190:191], v[190:191], v[192:193]
	v_div_scale_f64 v[211:212], vcc_lo, v[192:193], v[190:191], v[192:193]
	v_rcp_f64_e32 v[207:208], v[205:206]
	v_fma_f64 v[209:210], -v[205:206], v[207:208], 1.0
	v_fma_f64 v[207:208], v[207:208], v[209:210], v[207:208]
	v_fma_f64 v[209:210], -v[205:206], v[207:208], 1.0
	v_fma_f64 v[207:208], v[207:208], v[209:210], v[207:208]
	v_mul_f64 v[209:210], v[211:212], v[207:208]
	v_fma_f64 v[205:206], -v[205:206], v[209:210], v[211:212]
	v_div_fmas_f64 v[205:206], v[205:206], v[207:208], v[209:210]
	v_div_fixup_f64 v[205:206], v[205:206], v[190:191], v[192:193]
	v_fma_f64 v[190:191], v[192:193], v[205:206], v[190:191]
	v_div_scale_f64 v[192:193], null, v[190:191], v[190:191], 1.0
	v_rcp_f64_e32 v[207:208], v[192:193]
	v_fma_f64 v[209:210], -v[192:193], v[207:208], 1.0
	v_fma_f64 v[207:208], v[207:208], v[209:210], v[207:208]
	v_fma_f64 v[209:210], -v[192:193], v[207:208], 1.0
	v_fma_f64 v[207:208], v[207:208], v[209:210], v[207:208]
	v_div_scale_f64 v[209:210], vcc_lo, 1.0, v[190:191], 1.0
	v_mul_f64 v[211:212], v[209:210], v[207:208]
	v_fma_f64 v[192:193], -v[192:193], v[211:212], v[209:210]
	v_div_fmas_f64 v[192:193], v[192:193], v[207:208], v[211:212]
	v_div_fixup_f64 v[190:191], v[192:193], v[190:191], 1.0
	v_mul_f64 v[192:193], v[205:206], -v[190:191]
.LBB92_555:
	s_or_b32 exec_lo, exec_lo, s7
.LBB92_556:
	s_or_b32 exec_lo, exec_lo, s0
	s_mov_b32 s0, exec_lo
	v_cmpx_ne_u32_e64 v204, v198
	s_xor_b32 s0, exec_lo, s0
	s_cbranch_execz .LBB92_562
; %bb.557:
	s_mov_b32 s7, exec_lo
	v_cmpx_eq_u32_e32 26, v204
	s_cbranch_execz .LBB92_561
; %bb.558:
	v_cmp_ne_u32_e32 vcc_lo, 26, v198
	s_xor_b32 s8, s16, -1
	s_and_b32 s9, s8, vcc_lo
	s_and_saveexec_b32 s8, s9
	s_cbranch_execz .LBB92_560
; %bb.559:
	v_ashrrev_i32_e32 v199, 31, v198
	v_lshlrev_b64 v[204:205], 2, v[198:199]
	v_add_co_u32 v204, vcc_lo, v196, v204
	v_add_co_ci_u32_e64 v205, null, v197, v205, vcc_lo
	s_clause 0x1
	global_load_dword v0, v[204:205], off
	global_load_dword v199, v[196:197], off offset:104
	s_waitcnt vmcnt(1)
	global_store_dword v[196:197], v0, off offset:104
	s_waitcnt vmcnt(0)
	global_store_dword v[204:205], v199, off
.LBB92_560:
	s_or_b32 exec_lo, exec_lo, s8
	v_mov_b32_e32 v204, v198
	v_mov_b32_e32 v0, v198
.LBB92_561:
	s_or_b32 exec_lo, exec_lo, s7
.LBB92_562:
	s_andn2_saveexec_b32 s0, s0
	s_cbranch_execz .LBB92_564
; %bb.563:
	v_mov_b32_e32 v204, 26
	ds_write2_b64 v1, v[94:95], v[96:97] offset0:54 offset1:55
	ds_write2_b64 v1, v[90:91], v[92:93] offset0:56 offset1:57
	;; [unrolled: 1-line block ×20, first 2 shown]
.LBB92_564:
	s_or_b32 exec_lo, exec_lo, s0
	s_mov_b32 s0, exec_lo
	s_waitcnt lgkmcnt(0)
	s_waitcnt_vscnt null, 0x0
	s_barrier
	buffer_gl0_inv
	v_cmpx_lt_i32_e32 26, v204
	s_cbranch_execz .LBB92_566
; %bb.565:
	v_mul_f64 v[198:199], v[192:193], v[112:113]
	v_mul_f64 v[112:113], v[190:191], v[112:113]
	v_fma_f64 v[198:199], v[190:191], v[110:111], -v[198:199]
	v_fma_f64 v[112:113], v[192:193], v[110:111], v[112:113]
	ds_read2_b64 v[190:193], v1 offset0:54 offset1:55
	s_waitcnt lgkmcnt(0)
	v_mul_f64 v[110:111], v[192:193], v[112:113]
	v_fma_f64 v[110:111], v[190:191], v[198:199], -v[110:111]
	v_mul_f64 v[190:191], v[190:191], v[112:113]
	v_add_f64 v[94:95], v[94:95], -v[110:111]
	v_fma_f64 v[190:191], v[192:193], v[198:199], v[190:191]
	v_add_f64 v[96:97], v[96:97], -v[190:191]
	ds_read2_b64 v[190:193], v1 offset0:56 offset1:57
	s_waitcnt lgkmcnt(0)
	v_mul_f64 v[110:111], v[192:193], v[112:113]
	v_fma_f64 v[110:111], v[190:191], v[198:199], -v[110:111]
	v_mul_f64 v[190:191], v[190:191], v[112:113]
	v_add_f64 v[90:91], v[90:91], -v[110:111]
	v_fma_f64 v[190:191], v[192:193], v[198:199], v[190:191]
	v_add_f64 v[92:93], v[92:93], -v[190:191]
	;; [unrolled: 8-line block ×19, first 2 shown]
	ds_read2_b64 v[190:193], v1 offset0:92 offset1:93
	s_waitcnt lgkmcnt(0)
	v_mul_f64 v[110:111], v[192:193], v[112:113]
	v_fma_f64 v[110:111], v[190:191], v[198:199], -v[110:111]
	v_mul_f64 v[190:191], v[190:191], v[112:113]
	v_add_f64 v[2:3], v[2:3], -v[110:111]
	v_fma_f64 v[190:191], v[192:193], v[198:199], v[190:191]
	v_mov_b32_e32 v110, v198
	v_mov_b32_e32 v111, v199
	v_add_f64 v[4:5], v[4:5], -v[190:191]
.LBB92_566:
	s_or_b32 exec_lo, exec_lo, s0
	v_lshl_add_u32 v190, v204, 4, v1
	s_barrier
	buffer_gl0_inv
	v_mov_b32_e32 v198, 27
	ds_write2_b64 v190, v[94:95], v[96:97] offset1:1
	s_waitcnt lgkmcnt(0)
	s_barrier
	buffer_gl0_inv
	ds_read2_b64 v[190:193], v1 offset0:54 offset1:55
	s_cmp_lt_i32 s1, 29
	s_cbranch_scc1 .LBB92_569
; %bb.567:
	v_add3_u32 v199, v200, 0, 0x1c0
	v_mov_b32_e32 v198, 27
	s_mov_b32 s7, 28
	s_inst_prefetch 0x1
	.p2align	6
.LBB92_568:                             ; =>This Inner Loop Header: Depth=1
	s_waitcnt lgkmcnt(0)
	v_cmp_gt_f64_e32 vcc_lo, 0, v[192:193]
	v_cmp_gt_f64_e64 s0, 0, v[190:191]
	ds_read2_b64 v[205:208], v199 offset1:1
	v_xor_b32_e32 v210, 0x80000000, v191
	v_xor_b32_e32 v212, 0x80000000, v193
	v_mov_b32_e32 v209, v190
	v_mov_b32_e32 v211, v192
	v_add_nc_u32_e32 v199, 16, v199
	s_waitcnt lgkmcnt(0)
	v_xor_b32_e32 v214, 0x80000000, v208
	v_cndmask_b32_e64 v210, v191, v210, s0
	v_cndmask_b32_e32 v212, v193, v212, vcc_lo
	v_cmp_gt_f64_e32 vcc_lo, 0, v[207:208]
	v_cmp_gt_f64_e64 s0, 0, v[205:206]
	v_mov_b32_e32 v213, v207
	v_add_f64 v[209:210], v[209:210], v[211:212]
	v_xor_b32_e32 v212, 0x80000000, v206
	v_mov_b32_e32 v211, v205
	v_cndmask_b32_e32 v214, v208, v214, vcc_lo
	v_cndmask_b32_e64 v212, v206, v212, s0
	v_add_f64 v[211:212], v[211:212], v[213:214]
	v_cmp_lt_f64_e32 vcc_lo, v[209:210], v[211:212]
	v_cndmask_b32_e32 v191, v191, v206, vcc_lo
	v_cndmask_b32_e32 v190, v190, v205, vcc_lo
	;; [unrolled: 1-line block ×4, first 2 shown]
	v_cndmask_b32_e64 v198, v198, s7, vcc_lo
	s_add_i32 s7, s7, 1
	s_cmp_lg_u32 s1, s7
	s_cbranch_scc1 .LBB92_568
.LBB92_569:
	s_inst_prefetch 0x2
	s_waitcnt lgkmcnt(0)
	v_cmp_eq_f64_e32 vcc_lo, 0, v[190:191]
	v_cmp_eq_f64_e64 s0, 0, v[192:193]
	s_and_b32 s0, vcc_lo, s0
	s_and_saveexec_b32 s7, s0
	s_xor_b32 s0, exec_lo, s7
; %bb.570:
	v_cmp_ne_u32_e32 vcc_lo, 0, v203
	v_cndmask_b32_e32 v203, 28, v203, vcc_lo
; %bb.571:
	s_andn2_saveexec_b32 s0, s0
	s_cbranch_execz .LBB92_577
; %bb.572:
	v_cmp_ngt_f64_e64 s7, |v[190:191]|, |v[192:193]|
	s_and_saveexec_b32 s8, s7
	s_xor_b32 s7, exec_lo, s8
	s_cbranch_execz .LBB92_574
; %bb.573:
	v_div_scale_f64 v[205:206], null, v[192:193], v[192:193], v[190:191]
	v_div_scale_f64 v[211:212], vcc_lo, v[190:191], v[192:193], v[190:191]
	v_rcp_f64_e32 v[207:208], v[205:206]
	v_fma_f64 v[209:210], -v[205:206], v[207:208], 1.0
	v_fma_f64 v[207:208], v[207:208], v[209:210], v[207:208]
	v_fma_f64 v[209:210], -v[205:206], v[207:208], 1.0
	v_fma_f64 v[207:208], v[207:208], v[209:210], v[207:208]
	v_mul_f64 v[209:210], v[211:212], v[207:208]
	v_fma_f64 v[205:206], -v[205:206], v[209:210], v[211:212]
	v_div_fmas_f64 v[205:206], v[205:206], v[207:208], v[209:210]
	v_div_fixup_f64 v[205:206], v[205:206], v[192:193], v[190:191]
	v_fma_f64 v[190:191], v[190:191], v[205:206], v[192:193]
	v_div_scale_f64 v[192:193], null, v[190:191], v[190:191], 1.0
	v_rcp_f64_e32 v[207:208], v[192:193]
	v_fma_f64 v[209:210], -v[192:193], v[207:208], 1.0
	v_fma_f64 v[207:208], v[207:208], v[209:210], v[207:208]
	v_fma_f64 v[209:210], -v[192:193], v[207:208], 1.0
	v_fma_f64 v[207:208], v[207:208], v[209:210], v[207:208]
	v_div_scale_f64 v[209:210], vcc_lo, 1.0, v[190:191], 1.0
	v_mul_f64 v[211:212], v[209:210], v[207:208]
	v_fma_f64 v[192:193], -v[192:193], v[211:212], v[209:210]
	v_div_fmas_f64 v[192:193], v[192:193], v[207:208], v[211:212]
	v_div_fixup_f64 v[192:193], v[192:193], v[190:191], 1.0
	v_mul_f64 v[190:191], v[205:206], v[192:193]
	v_xor_b32_e32 v193, 0x80000000, v193
.LBB92_574:
	s_andn2_saveexec_b32 s7, s7
	s_cbranch_execz .LBB92_576
; %bb.575:
	v_div_scale_f64 v[205:206], null, v[190:191], v[190:191], v[192:193]
	v_div_scale_f64 v[211:212], vcc_lo, v[192:193], v[190:191], v[192:193]
	v_rcp_f64_e32 v[207:208], v[205:206]
	v_fma_f64 v[209:210], -v[205:206], v[207:208], 1.0
	v_fma_f64 v[207:208], v[207:208], v[209:210], v[207:208]
	v_fma_f64 v[209:210], -v[205:206], v[207:208], 1.0
	v_fma_f64 v[207:208], v[207:208], v[209:210], v[207:208]
	v_mul_f64 v[209:210], v[211:212], v[207:208]
	v_fma_f64 v[205:206], -v[205:206], v[209:210], v[211:212]
	v_div_fmas_f64 v[205:206], v[205:206], v[207:208], v[209:210]
	v_div_fixup_f64 v[205:206], v[205:206], v[190:191], v[192:193]
	v_fma_f64 v[190:191], v[192:193], v[205:206], v[190:191]
	v_div_scale_f64 v[192:193], null, v[190:191], v[190:191], 1.0
	v_rcp_f64_e32 v[207:208], v[192:193]
	v_fma_f64 v[209:210], -v[192:193], v[207:208], 1.0
	v_fma_f64 v[207:208], v[207:208], v[209:210], v[207:208]
	v_fma_f64 v[209:210], -v[192:193], v[207:208], 1.0
	v_fma_f64 v[207:208], v[207:208], v[209:210], v[207:208]
	v_div_scale_f64 v[209:210], vcc_lo, 1.0, v[190:191], 1.0
	v_mul_f64 v[211:212], v[209:210], v[207:208]
	v_fma_f64 v[192:193], -v[192:193], v[211:212], v[209:210]
	v_div_fmas_f64 v[192:193], v[192:193], v[207:208], v[211:212]
	v_div_fixup_f64 v[190:191], v[192:193], v[190:191], 1.0
	v_mul_f64 v[192:193], v[205:206], -v[190:191]
.LBB92_576:
	s_or_b32 exec_lo, exec_lo, s7
.LBB92_577:
	s_or_b32 exec_lo, exec_lo, s0
	s_mov_b32 s0, exec_lo
	v_cmpx_ne_u32_e64 v204, v198
	s_xor_b32 s0, exec_lo, s0
	s_cbranch_execz .LBB92_583
; %bb.578:
	s_mov_b32 s7, exec_lo
	v_cmpx_eq_u32_e32 27, v204
	s_cbranch_execz .LBB92_582
; %bb.579:
	v_cmp_ne_u32_e32 vcc_lo, 27, v198
	s_xor_b32 s8, s16, -1
	s_and_b32 s9, s8, vcc_lo
	s_and_saveexec_b32 s8, s9
	s_cbranch_execz .LBB92_581
; %bb.580:
	v_ashrrev_i32_e32 v199, 31, v198
	v_lshlrev_b64 v[204:205], 2, v[198:199]
	v_add_co_u32 v204, vcc_lo, v196, v204
	v_add_co_ci_u32_e64 v205, null, v197, v205, vcc_lo
	s_clause 0x1
	global_load_dword v0, v[204:205], off
	global_load_dword v199, v[196:197], off offset:108
	s_waitcnt vmcnt(1)
	global_store_dword v[196:197], v0, off offset:108
	s_waitcnt vmcnt(0)
	global_store_dword v[204:205], v199, off
.LBB92_581:
	s_or_b32 exec_lo, exec_lo, s8
	v_mov_b32_e32 v204, v198
	v_mov_b32_e32 v0, v198
.LBB92_582:
	s_or_b32 exec_lo, exec_lo, s7
.LBB92_583:
	s_andn2_saveexec_b32 s0, s0
	s_cbranch_execz .LBB92_585
; %bb.584:
	v_mov_b32_e32 v204, 27
	ds_write2_b64 v1, v[90:91], v[92:93] offset0:56 offset1:57
	ds_write2_b64 v1, v[86:87], v[88:89] offset0:58 offset1:59
	;; [unrolled: 1-line block ×19, first 2 shown]
.LBB92_585:
	s_or_b32 exec_lo, exec_lo, s0
	s_mov_b32 s0, exec_lo
	s_waitcnt lgkmcnt(0)
	s_waitcnt_vscnt null, 0x0
	s_barrier
	buffer_gl0_inv
	v_cmpx_lt_i32_e32 27, v204
	s_cbranch_execz .LBB92_587
; %bb.586:
	v_mul_f64 v[198:199], v[192:193], v[96:97]
	v_mul_f64 v[96:97], v[190:191], v[96:97]
	v_fma_f64 v[198:199], v[190:191], v[94:95], -v[198:199]
	v_fma_f64 v[96:97], v[192:193], v[94:95], v[96:97]
	ds_read2_b64 v[190:193], v1 offset0:56 offset1:57
	s_waitcnt lgkmcnt(0)
	v_mul_f64 v[94:95], v[192:193], v[96:97]
	v_fma_f64 v[94:95], v[190:191], v[198:199], -v[94:95]
	v_mul_f64 v[190:191], v[190:191], v[96:97]
	v_add_f64 v[90:91], v[90:91], -v[94:95]
	v_fma_f64 v[190:191], v[192:193], v[198:199], v[190:191]
	v_add_f64 v[92:93], v[92:93], -v[190:191]
	ds_read2_b64 v[190:193], v1 offset0:58 offset1:59
	s_waitcnt lgkmcnt(0)
	v_mul_f64 v[94:95], v[192:193], v[96:97]
	v_fma_f64 v[94:95], v[190:191], v[198:199], -v[94:95]
	v_mul_f64 v[190:191], v[190:191], v[96:97]
	v_add_f64 v[86:87], v[86:87], -v[94:95]
	v_fma_f64 v[190:191], v[192:193], v[198:199], v[190:191]
	v_add_f64 v[88:89], v[88:89], -v[190:191]
	ds_read2_b64 v[190:193], v1 offset0:60 offset1:61
	s_waitcnt lgkmcnt(0)
	v_mul_f64 v[94:95], v[192:193], v[96:97]
	v_fma_f64 v[94:95], v[190:191], v[198:199], -v[94:95]
	v_mul_f64 v[190:191], v[190:191], v[96:97]
	v_add_f64 v[70:71], v[70:71], -v[94:95]
	v_fma_f64 v[190:191], v[192:193], v[198:199], v[190:191]
	v_add_f64 v[72:73], v[72:73], -v[190:191]
	ds_read2_b64 v[190:193], v1 offset0:62 offset1:63
	s_waitcnt lgkmcnt(0)
	v_mul_f64 v[94:95], v[192:193], v[96:97]
	v_fma_f64 v[94:95], v[190:191], v[198:199], -v[94:95]
	v_mul_f64 v[190:191], v[190:191], v[96:97]
	v_add_f64 v[66:67], v[66:67], -v[94:95]
	v_fma_f64 v[190:191], v[192:193], v[198:199], v[190:191]
	v_add_f64 v[68:69], v[68:69], -v[190:191]
	ds_read2_b64 v[190:193], v1 offset0:64 offset1:65
	s_waitcnt lgkmcnt(0)
	v_mul_f64 v[94:95], v[192:193], v[96:97]
	v_fma_f64 v[94:95], v[190:191], v[198:199], -v[94:95]
	v_mul_f64 v[190:191], v[190:191], v[96:97]
	v_add_f64 v[58:59], v[58:59], -v[94:95]
	v_fma_f64 v[190:191], v[192:193], v[198:199], v[190:191]
	v_add_f64 v[60:61], v[60:61], -v[190:191]
	ds_read2_b64 v[190:193], v1 offset0:66 offset1:67
	s_waitcnt lgkmcnt(0)
	v_mul_f64 v[94:95], v[192:193], v[96:97]
	v_fma_f64 v[94:95], v[190:191], v[198:199], -v[94:95]
	v_mul_f64 v[190:191], v[190:191], v[96:97]
	v_add_f64 v[54:55], v[54:55], -v[94:95]
	v_fma_f64 v[190:191], v[192:193], v[198:199], v[190:191]
	v_add_f64 v[56:57], v[56:57], -v[190:191]
	ds_read2_b64 v[190:193], v1 offset0:68 offset1:69
	s_waitcnt lgkmcnt(0)
	v_mul_f64 v[94:95], v[192:193], v[96:97]
	v_fma_f64 v[94:95], v[190:191], v[198:199], -v[94:95]
	v_mul_f64 v[190:191], v[190:191], v[96:97]
	v_add_f64 v[50:51], v[50:51], -v[94:95]
	v_fma_f64 v[190:191], v[192:193], v[198:199], v[190:191]
	v_add_f64 v[52:53], v[52:53], -v[190:191]
	ds_read2_b64 v[190:193], v1 offset0:70 offset1:71
	s_waitcnt lgkmcnt(0)
	v_mul_f64 v[94:95], v[192:193], v[96:97]
	v_fma_f64 v[94:95], v[190:191], v[198:199], -v[94:95]
	v_mul_f64 v[190:191], v[190:191], v[96:97]
	v_add_f64 v[46:47], v[46:47], -v[94:95]
	v_fma_f64 v[190:191], v[192:193], v[198:199], v[190:191]
	v_add_f64 v[48:49], v[48:49], -v[190:191]
	ds_read2_b64 v[190:193], v1 offset0:72 offset1:73
	s_waitcnt lgkmcnt(0)
	v_mul_f64 v[94:95], v[192:193], v[96:97]
	v_fma_f64 v[94:95], v[190:191], v[198:199], -v[94:95]
	v_mul_f64 v[190:191], v[190:191], v[96:97]
	v_add_f64 v[42:43], v[42:43], -v[94:95]
	v_fma_f64 v[190:191], v[192:193], v[198:199], v[190:191]
	v_add_f64 v[44:45], v[44:45], -v[190:191]
	ds_read2_b64 v[190:193], v1 offset0:74 offset1:75
	s_waitcnt lgkmcnt(0)
	v_mul_f64 v[94:95], v[192:193], v[96:97]
	v_fma_f64 v[94:95], v[190:191], v[198:199], -v[94:95]
	v_mul_f64 v[190:191], v[190:191], v[96:97]
	v_add_f64 v[38:39], v[38:39], -v[94:95]
	v_fma_f64 v[190:191], v[192:193], v[198:199], v[190:191]
	v_add_f64 v[40:41], v[40:41], -v[190:191]
	ds_read2_b64 v[190:193], v1 offset0:76 offset1:77
	s_waitcnt lgkmcnt(0)
	v_mul_f64 v[94:95], v[192:193], v[96:97]
	v_fma_f64 v[94:95], v[190:191], v[198:199], -v[94:95]
	v_mul_f64 v[190:191], v[190:191], v[96:97]
	v_add_f64 v[34:35], v[34:35], -v[94:95]
	v_fma_f64 v[190:191], v[192:193], v[198:199], v[190:191]
	v_add_f64 v[36:37], v[36:37], -v[190:191]
	ds_read2_b64 v[190:193], v1 offset0:78 offset1:79
	s_waitcnt lgkmcnt(0)
	v_mul_f64 v[94:95], v[192:193], v[96:97]
	v_fma_f64 v[94:95], v[190:191], v[198:199], -v[94:95]
	v_mul_f64 v[190:191], v[190:191], v[96:97]
	v_add_f64 v[30:31], v[30:31], -v[94:95]
	v_fma_f64 v[190:191], v[192:193], v[198:199], v[190:191]
	v_add_f64 v[32:33], v[32:33], -v[190:191]
	ds_read2_b64 v[190:193], v1 offset0:80 offset1:81
	s_waitcnt lgkmcnt(0)
	v_mul_f64 v[94:95], v[192:193], v[96:97]
	v_fma_f64 v[94:95], v[190:191], v[198:199], -v[94:95]
	v_mul_f64 v[190:191], v[190:191], v[96:97]
	v_add_f64 v[26:27], v[26:27], -v[94:95]
	v_fma_f64 v[190:191], v[192:193], v[198:199], v[190:191]
	v_add_f64 v[28:29], v[28:29], -v[190:191]
	ds_read2_b64 v[190:193], v1 offset0:82 offset1:83
	s_waitcnt lgkmcnt(0)
	v_mul_f64 v[94:95], v[192:193], v[96:97]
	v_fma_f64 v[94:95], v[190:191], v[198:199], -v[94:95]
	v_mul_f64 v[190:191], v[190:191], v[96:97]
	v_add_f64 v[22:23], v[22:23], -v[94:95]
	v_fma_f64 v[190:191], v[192:193], v[198:199], v[190:191]
	v_add_f64 v[24:25], v[24:25], -v[190:191]
	ds_read2_b64 v[190:193], v1 offset0:84 offset1:85
	s_waitcnt lgkmcnt(0)
	v_mul_f64 v[94:95], v[192:193], v[96:97]
	v_fma_f64 v[94:95], v[190:191], v[198:199], -v[94:95]
	v_mul_f64 v[190:191], v[190:191], v[96:97]
	v_add_f64 v[18:19], v[18:19], -v[94:95]
	v_fma_f64 v[190:191], v[192:193], v[198:199], v[190:191]
	v_add_f64 v[20:21], v[20:21], -v[190:191]
	ds_read2_b64 v[190:193], v1 offset0:86 offset1:87
	s_waitcnt lgkmcnt(0)
	v_mul_f64 v[94:95], v[192:193], v[96:97]
	v_fma_f64 v[94:95], v[190:191], v[198:199], -v[94:95]
	v_mul_f64 v[190:191], v[190:191], v[96:97]
	v_add_f64 v[14:15], v[14:15], -v[94:95]
	v_fma_f64 v[190:191], v[192:193], v[198:199], v[190:191]
	v_add_f64 v[16:17], v[16:17], -v[190:191]
	ds_read2_b64 v[190:193], v1 offset0:88 offset1:89
	s_waitcnt lgkmcnt(0)
	v_mul_f64 v[94:95], v[192:193], v[96:97]
	v_fma_f64 v[94:95], v[190:191], v[198:199], -v[94:95]
	v_mul_f64 v[190:191], v[190:191], v[96:97]
	v_add_f64 v[10:11], v[10:11], -v[94:95]
	v_fma_f64 v[190:191], v[192:193], v[198:199], v[190:191]
	v_add_f64 v[12:13], v[12:13], -v[190:191]
	ds_read2_b64 v[190:193], v1 offset0:90 offset1:91
	s_waitcnt lgkmcnt(0)
	v_mul_f64 v[94:95], v[192:193], v[96:97]
	v_fma_f64 v[94:95], v[190:191], v[198:199], -v[94:95]
	v_mul_f64 v[190:191], v[190:191], v[96:97]
	v_add_f64 v[6:7], v[6:7], -v[94:95]
	v_fma_f64 v[190:191], v[192:193], v[198:199], v[190:191]
	v_add_f64 v[8:9], v[8:9], -v[190:191]
	ds_read2_b64 v[190:193], v1 offset0:92 offset1:93
	s_waitcnt lgkmcnt(0)
	v_mul_f64 v[94:95], v[192:193], v[96:97]
	v_fma_f64 v[94:95], v[190:191], v[198:199], -v[94:95]
	v_mul_f64 v[190:191], v[190:191], v[96:97]
	v_add_f64 v[2:3], v[2:3], -v[94:95]
	v_fma_f64 v[190:191], v[192:193], v[198:199], v[190:191]
	v_mov_b32_e32 v94, v198
	v_mov_b32_e32 v95, v199
	v_add_f64 v[4:5], v[4:5], -v[190:191]
.LBB92_587:
	s_or_b32 exec_lo, exec_lo, s0
	v_lshl_add_u32 v190, v204, 4, v1
	s_barrier
	buffer_gl0_inv
	v_mov_b32_e32 v198, 28
	ds_write2_b64 v190, v[90:91], v[92:93] offset1:1
	s_waitcnt lgkmcnt(0)
	s_barrier
	buffer_gl0_inv
	ds_read2_b64 v[190:193], v1 offset0:56 offset1:57
	s_cmp_lt_i32 s1, 30
	s_cbranch_scc1 .LBB92_590
; %bb.588:
	v_add3_u32 v199, v200, 0, 0x1d0
	v_mov_b32_e32 v198, 28
	s_mov_b32 s7, 29
	s_inst_prefetch 0x1
	.p2align	6
.LBB92_589:                             ; =>This Inner Loop Header: Depth=1
	s_waitcnt lgkmcnt(0)
	v_cmp_gt_f64_e32 vcc_lo, 0, v[192:193]
	v_cmp_gt_f64_e64 s0, 0, v[190:191]
	ds_read2_b64 v[205:208], v199 offset1:1
	v_xor_b32_e32 v210, 0x80000000, v191
	v_xor_b32_e32 v212, 0x80000000, v193
	v_mov_b32_e32 v209, v190
	v_mov_b32_e32 v211, v192
	v_add_nc_u32_e32 v199, 16, v199
	s_waitcnt lgkmcnt(0)
	v_xor_b32_e32 v214, 0x80000000, v208
	v_cndmask_b32_e64 v210, v191, v210, s0
	v_cndmask_b32_e32 v212, v193, v212, vcc_lo
	v_cmp_gt_f64_e32 vcc_lo, 0, v[207:208]
	v_cmp_gt_f64_e64 s0, 0, v[205:206]
	v_mov_b32_e32 v213, v207
	v_add_f64 v[209:210], v[209:210], v[211:212]
	v_xor_b32_e32 v212, 0x80000000, v206
	v_mov_b32_e32 v211, v205
	v_cndmask_b32_e32 v214, v208, v214, vcc_lo
	v_cndmask_b32_e64 v212, v206, v212, s0
	v_add_f64 v[211:212], v[211:212], v[213:214]
	v_cmp_lt_f64_e32 vcc_lo, v[209:210], v[211:212]
	v_cndmask_b32_e32 v191, v191, v206, vcc_lo
	v_cndmask_b32_e32 v190, v190, v205, vcc_lo
	;; [unrolled: 1-line block ×4, first 2 shown]
	v_cndmask_b32_e64 v198, v198, s7, vcc_lo
	s_add_i32 s7, s7, 1
	s_cmp_lg_u32 s1, s7
	s_cbranch_scc1 .LBB92_589
.LBB92_590:
	s_inst_prefetch 0x2
	s_waitcnt lgkmcnt(0)
	v_cmp_eq_f64_e32 vcc_lo, 0, v[190:191]
	v_cmp_eq_f64_e64 s0, 0, v[192:193]
	s_and_b32 s0, vcc_lo, s0
	s_and_saveexec_b32 s7, s0
	s_xor_b32 s0, exec_lo, s7
; %bb.591:
	v_cmp_ne_u32_e32 vcc_lo, 0, v203
	v_cndmask_b32_e32 v203, 29, v203, vcc_lo
; %bb.592:
	s_andn2_saveexec_b32 s0, s0
	s_cbranch_execz .LBB92_598
; %bb.593:
	v_cmp_ngt_f64_e64 s7, |v[190:191]|, |v[192:193]|
	s_and_saveexec_b32 s8, s7
	s_xor_b32 s7, exec_lo, s8
	s_cbranch_execz .LBB92_595
; %bb.594:
	v_div_scale_f64 v[205:206], null, v[192:193], v[192:193], v[190:191]
	v_div_scale_f64 v[211:212], vcc_lo, v[190:191], v[192:193], v[190:191]
	v_rcp_f64_e32 v[207:208], v[205:206]
	v_fma_f64 v[209:210], -v[205:206], v[207:208], 1.0
	v_fma_f64 v[207:208], v[207:208], v[209:210], v[207:208]
	v_fma_f64 v[209:210], -v[205:206], v[207:208], 1.0
	v_fma_f64 v[207:208], v[207:208], v[209:210], v[207:208]
	v_mul_f64 v[209:210], v[211:212], v[207:208]
	v_fma_f64 v[205:206], -v[205:206], v[209:210], v[211:212]
	v_div_fmas_f64 v[205:206], v[205:206], v[207:208], v[209:210]
	v_div_fixup_f64 v[205:206], v[205:206], v[192:193], v[190:191]
	v_fma_f64 v[190:191], v[190:191], v[205:206], v[192:193]
	v_div_scale_f64 v[192:193], null, v[190:191], v[190:191], 1.0
	v_rcp_f64_e32 v[207:208], v[192:193]
	v_fma_f64 v[209:210], -v[192:193], v[207:208], 1.0
	v_fma_f64 v[207:208], v[207:208], v[209:210], v[207:208]
	v_fma_f64 v[209:210], -v[192:193], v[207:208], 1.0
	v_fma_f64 v[207:208], v[207:208], v[209:210], v[207:208]
	v_div_scale_f64 v[209:210], vcc_lo, 1.0, v[190:191], 1.0
	v_mul_f64 v[211:212], v[209:210], v[207:208]
	v_fma_f64 v[192:193], -v[192:193], v[211:212], v[209:210]
	v_div_fmas_f64 v[192:193], v[192:193], v[207:208], v[211:212]
	v_div_fixup_f64 v[192:193], v[192:193], v[190:191], 1.0
	v_mul_f64 v[190:191], v[205:206], v[192:193]
	v_xor_b32_e32 v193, 0x80000000, v193
.LBB92_595:
	s_andn2_saveexec_b32 s7, s7
	s_cbranch_execz .LBB92_597
; %bb.596:
	v_div_scale_f64 v[205:206], null, v[190:191], v[190:191], v[192:193]
	v_div_scale_f64 v[211:212], vcc_lo, v[192:193], v[190:191], v[192:193]
	v_rcp_f64_e32 v[207:208], v[205:206]
	v_fma_f64 v[209:210], -v[205:206], v[207:208], 1.0
	v_fma_f64 v[207:208], v[207:208], v[209:210], v[207:208]
	v_fma_f64 v[209:210], -v[205:206], v[207:208], 1.0
	v_fma_f64 v[207:208], v[207:208], v[209:210], v[207:208]
	v_mul_f64 v[209:210], v[211:212], v[207:208]
	v_fma_f64 v[205:206], -v[205:206], v[209:210], v[211:212]
	v_div_fmas_f64 v[205:206], v[205:206], v[207:208], v[209:210]
	v_div_fixup_f64 v[205:206], v[205:206], v[190:191], v[192:193]
	v_fma_f64 v[190:191], v[192:193], v[205:206], v[190:191]
	v_div_scale_f64 v[192:193], null, v[190:191], v[190:191], 1.0
	v_rcp_f64_e32 v[207:208], v[192:193]
	v_fma_f64 v[209:210], -v[192:193], v[207:208], 1.0
	v_fma_f64 v[207:208], v[207:208], v[209:210], v[207:208]
	v_fma_f64 v[209:210], -v[192:193], v[207:208], 1.0
	v_fma_f64 v[207:208], v[207:208], v[209:210], v[207:208]
	v_div_scale_f64 v[209:210], vcc_lo, 1.0, v[190:191], 1.0
	v_mul_f64 v[211:212], v[209:210], v[207:208]
	v_fma_f64 v[192:193], -v[192:193], v[211:212], v[209:210]
	v_div_fmas_f64 v[192:193], v[192:193], v[207:208], v[211:212]
	v_div_fixup_f64 v[190:191], v[192:193], v[190:191], 1.0
	v_mul_f64 v[192:193], v[205:206], -v[190:191]
.LBB92_597:
	s_or_b32 exec_lo, exec_lo, s7
.LBB92_598:
	s_or_b32 exec_lo, exec_lo, s0
	s_mov_b32 s0, exec_lo
	v_cmpx_ne_u32_e64 v204, v198
	s_xor_b32 s0, exec_lo, s0
	s_cbranch_execz .LBB92_604
; %bb.599:
	s_mov_b32 s7, exec_lo
	v_cmpx_eq_u32_e32 28, v204
	s_cbranch_execz .LBB92_603
; %bb.600:
	v_cmp_ne_u32_e32 vcc_lo, 28, v198
	s_xor_b32 s8, s16, -1
	s_and_b32 s9, s8, vcc_lo
	s_and_saveexec_b32 s8, s9
	s_cbranch_execz .LBB92_602
; %bb.601:
	v_ashrrev_i32_e32 v199, 31, v198
	v_lshlrev_b64 v[204:205], 2, v[198:199]
	v_add_co_u32 v204, vcc_lo, v196, v204
	v_add_co_ci_u32_e64 v205, null, v197, v205, vcc_lo
	s_clause 0x1
	global_load_dword v0, v[204:205], off
	global_load_dword v199, v[196:197], off offset:112
	s_waitcnt vmcnt(1)
	global_store_dword v[196:197], v0, off offset:112
	s_waitcnt vmcnt(0)
	global_store_dword v[204:205], v199, off
.LBB92_602:
	s_or_b32 exec_lo, exec_lo, s8
	v_mov_b32_e32 v204, v198
	v_mov_b32_e32 v0, v198
.LBB92_603:
	s_or_b32 exec_lo, exec_lo, s7
.LBB92_604:
	s_andn2_saveexec_b32 s0, s0
	s_cbranch_execz .LBB92_606
; %bb.605:
	v_mov_b32_e32 v204, 28
	ds_write2_b64 v1, v[86:87], v[88:89] offset0:58 offset1:59
	ds_write2_b64 v1, v[70:71], v[72:73] offset0:60 offset1:61
	;; [unrolled: 1-line block ×18, first 2 shown]
.LBB92_606:
	s_or_b32 exec_lo, exec_lo, s0
	s_mov_b32 s0, exec_lo
	s_waitcnt lgkmcnt(0)
	s_waitcnt_vscnt null, 0x0
	s_barrier
	buffer_gl0_inv
	v_cmpx_lt_i32_e32 28, v204
	s_cbranch_execz .LBB92_608
; %bb.607:
	v_mul_f64 v[198:199], v[192:193], v[92:93]
	v_mul_f64 v[92:93], v[190:191], v[92:93]
	v_fma_f64 v[198:199], v[190:191], v[90:91], -v[198:199]
	v_fma_f64 v[92:93], v[192:193], v[90:91], v[92:93]
	ds_read2_b64 v[190:193], v1 offset0:58 offset1:59
	s_waitcnt lgkmcnt(0)
	v_mul_f64 v[90:91], v[192:193], v[92:93]
	v_fma_f64 v[90:91], v[190:191], v[198:199], -v[90:91]
	v_mul_f64 v[190:191], v[190:191], v[92:93]
	v_add_f64 v[86:87], v[86:87], -v[90:91]
	v_fma_f64 v[190:191], v[192:193], v[198:199], v[190:191]
	v_add_f64 v[88:89], v[88:89], -v[190:191]
	ds_read2_b64 v[190:193], v1 offset0:60 offset1:61
	s_waitcnt lgkmcnt(0)
	v_mul_f64 v[90:91], v[192:193], v[92:93]
	v_fma_f64 v[90:91], v[190:191], v[198:199], -v[90:91]
	v_mul_f64 v[190:191], v[190:191], v[92:93]
	v_add_f64 v[70:71], v[70:71], -v[90:91]
	v_fma_f64 v[190:191], v[192:193], v[198:199], v[190:191]
	v_add_f64 v[72:73], v[72:73], -v[190:191]
	;; [unrolled: 8-line block ×17, first 2 shown]
	ds_read2_b64 v[190:193], v1 offset0:92 offset1:93
	s_waitcnt lgkmcnt(0)
	v_mul_f64 v[90:91], v[192:193], v[92:93]
	v_fma_f64 v[90:91], v[190:191], v[198:199], -v[90:91]
	v_mul_f64 v[190:191], v[190:191], v[92:93]
	v_add_f64 v[2:3], v[2:3], -v[90:91]
	v_fma_f64 v[190:191], v[192:193], v[198:199], v[190:191]
	v_mov_b32_e32 v90, v198
	v_mov_b32_e32 v91, v199
	v_add_f64 v[4:5], v[4:5], -v[190:191]
.LBB92_608:
	s_or_b32 exec_lo, exec_lo, s0
	v_lshl_add_u32 v190, v204, 4, v1
	s_barrier
	buffer_gl0_inv
	v_mov_b32_e32 v198, 29
	ds_write2_b64 v190, v[86:87], v[88:89] offset1:1
	s_waitcnt lgkmcnt(0)
	s_barrier
	buffer_gl0_inv
	ds_read2_b64 v[190:193], v1 offset0:58 offset1:59
	s_cmp_lt_i32 s1, 31
	s_cbranch_scc1 .LBB92_611
; %bb.609:
	v_add3_u32 v199, v200, 0, 0x1e0
	v_mov_b32_e32 v198, 29
	s_mov_b32 s7, 30
	s_inst_prefetch 0x1
	.p2align	6
.LBB92_610:                             ; =>This Inner Loop Header: Depth=1
	s_waitcnt lgkmcnt(0)
	v_cmp_gt_f64_e32 vcc_lo, 0, v[192:193]
	v_cmp_gt_f64_e64 s0, 0, v[190:191]
	ds_read2_b64 v[205:208], v199 offset1:1
	v_xor_b32_e32 v210, 0x80000000, v191
	v_xor_b32_e32 v212, 0x80000000, v193
	v_mov_b32_e32 v209, v190
	v_mov_b32_e32 v211, v192
	v_add_nc_u32_e32 v199, 16, v199
	s_waitcnt lgkmcnt(0)
	v_xor_b32_e32 v214, 0x80000000, v208
	v_cndmask_b32_e64 v210, v191, v210, s0
	v_cndmask_b32_e32 v212, v193, v212, vcc_lo
	v_cmp_gt_f64_e32 vcc_lo, 0, v[207:208]
	v_cmp_gt_f64_e64 s0, 0, v[205:206]
	v_mov_b32_e32 v213, v207
	v_add_f64 v[209:210], v[209:210], v[211:212]
	v_xor_b32_e32 v212, 0x80000000, v206
	v_mov_b32_e32 v211, v205
	v_cndmask_b32_e32 v214, v208, v214, vcc_lo
	v_cndmask_b32_e64 v212, v206, v212, s0
	v_add_f64 v[211:212], v[211:212], v[213:214]
	v_cmp_lt_f64_e32 vcc_lo, v[209:210], v[211:212]
	v_cndmask_b32_e32 v191, v191, v206, vcc_lo
	v_cndmask_b32_e32 v190, v190, v205, vcc_lo
	;; [unrolled: 1-line block ×4, first 2 shown]
	v_cndmask_b32_e64 v198, v198, s7, vcc_lo
	s_add_i32 s7, s7, 1
	s_cmp_lg_u32 s1, s7
	s_cbranch_scc1 .LBB92_610
.LBB92_611:
	s_inst_prefetch 0x2
	s_waitcnt lgkmcnt(0)
	v_cmp_eq_f64_e32 vcc_lo, 0, v[190:191]
	v_cmp_eq_f64_e64 s0, 0, v[192:193]
	s_and_b32 s0, vcc_lo, s0
	s_and_saveexec_b32 s7, s0
	s_xor_b32 s0, exec_lo, s7
; %bb.612:
	v_cmp_ne_u32_e32 vcc_lo, 0, v203
	v_cndmask_b32_e32 v203, 30, v203, vcc_lo
; %bb.613:
	s_andn2_saveexec_b32 s0, s0
	s_cbranch_execz .LBB92_619
; %bb.614:
	v_cmp_ngt_f64_e64 s7, |v[190:191]|, |v[192:193]|
	s_and_saveexec_b32 s8, s7
	s_xor_b32 s7, exec_lo, s8
	s_cbranch_execz .LBB92_616
; %bb.615:
	v_div_scale_f64 v[205:206], null, v[192:193], v[192:193], v[190:191]
	v_div_scale_f64 v[211:212], vcc_lo, v[190:191], v[192:193], v[190:191]
	v_rcp_f64_e32 v[207:208], v[205:206]
	v_fma_f64 v[209:210], -v[205:206], v[207:208], 1.0
	v_fma_f64 v[207:208], v[207:208], v[209:210], v[207:208]
	v_fma_f64 v[209:210], -v[205:206], v[207:208], 1.0
	v_fma_f64 v[207:208], v[207:208], v[209:210], v[207:208]
	v_mul_f64 v[209:210], v[211:212], v[207:208]
	v_fma_f64 v[205:206], -v[205:206], v[209:210], v[211:212]
	v_div_fmas_f64 v[205:206], v[205:206], v[207:208], v[209:210]
	v_div_fixup_f64 v[205:206], v[205:206], v[192:193], v[190:191]
	v_fma_f64 v[190:191], v[190:191], v[205:206], v[192:193]
	v_div_scale_f64 v[192:193], null, v[190:191], v[190:191], 1.0
	v_rcp_f64_e32 v[207:208], v[192:193]
	v_fma_f64 v[209:210], -v[192:193], v[207:208], 1.0
	v_fma_f64 v[207:208], v[207:208], v[209:210], v[207:208]
	v_fma_f64 v[209:210], -v[192:193], v[207:208], 1.0
	v_fma_f64 v[207:208], v[207:208], v[209:210], v[207:208]
	v_div_scale_f64 v[209:210], vcc_lo, 1.0, v[190:191], 1.0
	v_mul_f64 v[211:212], v[209:210], v[207:208]
	v_fma_f64 v[192:193], -v[192:193], v[211:212], v[209:210]
	v_div_fmas_f64 v[192:193], v[192:193], v[207:208], v[211:212]
	v_div_fixup_f64 v[192:193], v[192:193], v[190:191], 1.0
	v_mul_f64 v[190:191], v[205:206], v[192:193]
	v_xor_b32_e32 v193, 0x80000000, v193
.LBB92_616:
	s_andn2_saveexec_b32 s7, s7
	s_cbranch_execz .LBB92_618
; %bb.617:
	v_div_scale_f64 v[205:206], null, v[190:191], v[190:191], v[192:193]
	v_div_scale_f64 v[211:212], vcc_lo, v[192:193], v[190:191], v[192:193]
	v_rcp_f64_e32 v[207:208], v[205:206]
	v_fma_f64 v[209:210], -v[205:206], v[207:208], 1.0
	v_fma_f64 v[207:208], v[207:208], v[209:210], v[207:208]
	v_fma_f64 v[209:210], -v[205:206], v[207:208], 1.0
	v_fma_f64 v[207:208], v[207:208], v[209:210], v[207:208]
	v_mul_f64 v[209:210], v[211:212], v[207:208]
	v_fma_f64 v[205:206], -v[205:206], v[209:210], v[211:212]
	v_div_fmas_f64 v[205:206], v[205:206], v[207:208], v[209:210]
	v_div_fixup_f64 v[205:206], v[205:206], v[190:191], v[192:193]
	v_fma_f64 v[190:191], v[192:193], v[205:206], v[190:191]
	v_div_scale_f64 v[192:193], null, v[190:191], v[190:191], 1.0
	v_rcp_f64_e32 v[207:208], v[192:193]
	v_fma_f64 v[209:210], -v[192:193], v[207:208], 1.0
	v_fma_f64 v[207:208], v[207:208], v[209:210], v[207:208]
	v_fma_f64 v[209:210], -v[192:193], v[207:208], 1.0
	v_fma_f64 v[207:208], v[207:208], v[209:210], v[207:208]
	v_div_scale_f64 v[209:210], vcc_lo, 1.0, v[190:191], 1.0
	v_mul_f64 v[211:212], v[209:210], v[207:208]
	v_fma_f64 v[192:193], -v[192:193], v[211:212], v[209:210]
	v_div_fmas_f64 v[192:193], v[192:193], v[207:208], v[211:212]
	v_div_fixup_f64 v[190:191], v[192:193], v[190:191], 1.0
	v_mul_f64 v[192:193], v[205:206], -v[190:191]
.LBB92_618:
	s_or_b32 exec_lo, exec_lo, s7
.LBB92_619:
	s_or_b32 exec_lo, exec_lo, s0
	s_mov_b32 s0, exec_lo
	v_cmpx_ne_u32_e64 v204, v198
	s_xor_b32 s0, exec_lo, s0
	s_cbranch_execz .LBB92_625
; %bb.620:
	s_mov_b32 s7, exec_lo
	v_cmpx_eq_u32_e32 29, v204
	s_cbranch_execz .LBB92_624
; %bb.621:
	v_cmp_ne_u32_e32 vcc_lo, 29, v198
	s_xor_b32 s8, s16, -1
	s_and_b32 s9, s8, vcc_lo
	s_and_saveexec_b32 s8, s9
	s_cbranch_execz .LBB92_623
; %bb.622:
	v_ashrrev_i32_e32 v199, 31, v198
	v_lshlrev_b64 v[204:205], 2, v[198:199]
	v_add_co_u32 v204, vcc_lo, v196, v204
	v_add_co_ci_u32_e64 v205, null, v197, v205, vcc_lo
	s_clause 0x1
	global_load_dword v0, v[204:205], off
	global_load_dword v199, v[196:197], off offset:116
	s_waitcnt vmcnt(1)
	global_store_dword v[196:197], v0, off offset:116
	s_waitcnt vmcnt(0)
	global_store_dword v[204:205], v199, off
.LBB92_623:
	s_or_b32 exec_lo, exec_lo, s8
	v_mov_b32_e32 v204, v198
	v_mov_b32_e32 v0, v198
.LBB92_624:
	s_or_b32 exec_lo, exec_lo, s7
.LBB92_625:
	s_andn2_saveexec_b32 s0, s0
	s_cbranch_execz .LBB92_627
; %bb.626:
	v_mov_b32_e32 v204, 29
	ds_write2_b64 v1, v[70:71], v[72:73] offset0:60 offset1:61
	ds_write2_b64 v1, v[66:67], v[68:69] offset0:62 offset1:63
	;; [unrolled: 1-line block ×17, first 2 shown]
.LBB92_627:
	s_or_b32 exec_lo, exec_lo, s0
	s_mov_b32 s0, exec_lo
	s_waitcnt lgkmcnt(0)
	s_waitcnt_vscnt null, 0x0
	s_barrier
	buffer_gl0_inv
	v_cmpx_lt_i32_e32 29, v204
	s_cbranch_execz .LBB92_629
; %bb.628:
	v_mul_f64 v[198:199], v[192:193], v[88:89]
	v_mul_f64 v[88:89], v[190:191], v[88:89]
	v_fma_f64 v[198:199], v[190:191], v[86:87], -v[198:199]
	v_fma_f64 v[88:89], v[192:193], v[86:87], v[88:89]
	ds_read2_b64 v[190:193], v1 offset0:60 offset1:61
	s_waitcnt lgkmcnt(0)
	v_mul_f64 v[86:87], v[192:193], v[88:89]
	v_fma_f64 v[86:87], v[190:191], v[198:199], -v[86:87]
	v_mul_f64 v[190:191], v[190:191], v[88:89]
	v_add_f64 v[70:71], v[70:71], -v[86:87]
	v_fma_f64 v[190:191], v[192:193], v[198:199], v[190:191]
	v_add_f64 v[72:73], v[72:73], -v[190:191]
	ds_read2_b64 v[190:193], v1 offset0:62 offset1:63
	s_waitcnt lgkmcnt(0)
	v_mul_f64 v[86:87], v[192:193], v[88:89]
	v_fma_f64 v[86:87], v[190:191], v[198:199], -v[86:87]
	v_mul_f64 v[190:191], v[190:191], v[88:89]
	v_add_f64 v[66:67], v[66:67], -v[86:87]
	v_fma_f64 v[190:191], v[192:193], v[198:199], v[190:191]
	v_add_f64 v[68:69], v[68:69], -v[190:191]
	;; [unrolled: 8-line block ×16, first 2 shown]
	ds_read2_b64 v[190:193], v1 offset0:92 offset1:93
	s_waitcnt lgkmcnt(0)
	v_mul_f64 v[86:87], v[192:193], v[88:89]
	v_fma_f64 v[86:87], v[190:191], v[198:199], -v[86:87]
	v_mul_f64 v[190:191], v[190:191], v[88:89]
	v_add_f64 v[2:3], v[2:3], -v[86:87]
	v_fma_f64 v[190:191], v[192:193], v[198:199], v[190:191]
	v_mov_b32_e32 v86, v198
	v_mov_b32_e32 v87, v199
	v_add_f64 v[4:5], v[4:5], -v[190:191]
.LBB92_629:
	s_or_b32 exec_lo, exec_lo, s0
	v_lshl_add_u32 v190, v204, 4, v1
	s_barrier
	buffer_gl0_inv
	v_mov_b32_e32 v198, 30
	ds_write2_b64 v190, v[70:71], v[72:73] offset1:1
	s_waitcnt lgkmcnt(0)
	s_barrier
	buffer_gl0_inv
	ds_read2_b64 v[190:193], v1 offset0:60 offset1:61
	s_cmp_lt_i32 s1, 32
	s_cbranch_scc1 .LBB92_632
; %bb.630:
	v_add3_u32 v199, v200, 0, 0x1f0
	v_mov_b32_e32 v198, 30
	s_mov_b32 s7, 31
	s_inst_prefetch 0x1
	.p2align	6
.LBB92_631:                             ; =>This Inner Loop Header: Depth=1
	s_waitcnt lgkmcnt(0)
	v_cmp_gt_f64_e32 vcc_lo, 0, v[192:193]
	v_cmp_gt_f64_e64 s0, 0, v[190:191]
	ds_read2_b64 v[205:208], v199 offset1:1
	v_xor_b32_e32 v210, 0x80000000, v191
	v_xor_b32_e32 v212, 0x80000000, v193
	v_mov_b32_e32 v209, v190
	v_mov_b32_e32 v211, v192
	v_add_nc_u32_e32 v199, 16, v199
	s_waitcnt lgkmcnt(0)
	v_xor_b32_e32 v214, 0x80000000, v208
	v_cndmask_b32_e64 v210, v191, v210, s0
	v_cndmask_b32_e32 v212, v193, v212, vcc_lo
	v_cmp_gt_f64_e32 vcc_lo, 0, v[207:208]
	v_cmp_gt_f64_e64 s0, 0, v[205:206]
	v_mov_b32_e32 v213, v207
	v_add_f64 v[209:210], v[209:210], v[211:212]
	v_xor_b32_e32 v212, 0x80000000, v206
	v_mov_b32_e32 v211, v205
	v_cndmask_b32_e32 v214, v208, v214, vcc_lo
	v_cndmask_b32_e64 v212, v206, v212, s0
	v_add_f64 v[211:212], v[211:212], v[213:214]
	v_cmp_lt_f64_e32 vcc_lo, v[209:210], v[211:212]
	v_cndmask_b32_e32 v191, v191, v206, vcc_lo
	v_cndmask_b32_e32 v190, v190, v205, vcc_lo
	;; [unrolled: 1-line block ×4, first 2 shown]
	v_cndmask_b32_e64 v198, v198, s7, vcc_lo
	s_add_i32 s7, s7, 1
	s_cmp_lg_u32 s1, s7
	s_cbranch_scc1 .LBB92_631
.LBB92_632:
	s_inst_prefetch 0x2
	s_waitcnt lgkmcnt(0)
	v_cmp_eq_f64_e32 vcc_lo, 0, v[190:191]
	v_cmp_eq_f64_e64 s0, 0, v[192:193]
	s_and_b32 s0, vcc_lo, s0
	s_and_saveexec_b32 s7, s0
	s_xor_b32 s0, exec_lo, s7
; %bb.633:
	v_cmp_ne_u32_e32 vcc_lo, 0, v203
	v_cndmask_b32_e32 v203, 31, v203, vcc_lo
; %bb.634:
	s_andn2_saveexec_b32 s0, s0
	s_cbranch_execz .LBB92_640
; %bb.635:
	v_cmp_ngt_f64_e64 s7, |v[190:191]|, |v[192:193]|
	s_and_saveexec_b32 s8, s7
	s_xor_b32 s7, exec_lo, s8
	s_cbranch_execz .LBB92_637
; %bb.636:
	v_div_scale_f64 v[205:206], null, v[192:193], v[192:193], v[190:191]
	v_div_scale_f64 v[211:212], vcc_lo, v[190:191], v[192:193], v[190:191]
	v_rcp_f64_e32 v[207:208], v[205:206]
	v_fma_f64 v[209:210], -v[205:206], v[207:208], 1.0
	v_fma_f64 v[207:208], v[207:208], v[209:210], v[207:208]
	v_fma_f64 v[209:210], -v[205:206], v[207:208], 1.0
	v_fma_f64 v[207:208], v[207:208], v[209:210], v[207:208]
	v_mul_f64 v[209:210], v[211:212], v[207:208]
	v_fma_f64 v[205:206], -v[205:206], v[209:210], v[211:212]
	v_div_fmas_f64 v[205:206], v[205:206], v[207:208], v[209:210]
	v_div_fixup_f64 v[205:206], v[205:206], v[192:193], v[190:191]
	v_fma_f64 v[190:191], v[190:191], v[205:206], v[192:193]
	v_div_scale_f64 v[192:193], null, v[190:191], v[190:191], 1.0
	v_rcp_f64_e32 v[207:208], v[192:193]
	v_fma_f64 v[209:210], -v[192:193], v[207:208], 1.0
	v_fma_f64 v[207:208], v[207:208], v[209:210], v[207:208]
	v_fma_f64 v[209:210], -v[192:193], v[207:208], 1.0
	v_fma_f64 v[207:208], v[207:208], v[209:210], v[207:208]
	v_div_scale_f64 v[209:210], vcc_lo, 1.0, v[190:191], 1.0
	v_mul_f64 v[211:212], v[209:210], v[207:208]
	v_fma_f64 v[192:193], -v[192:193], v[211:212], v[209:210]
	v_div_fmas_f64 v[192:193], v[192:193], v[207:208], v[211:212]
	v_div_fixup_f64 v[192:193], v[192:193], v[190:191], 1.0
	v_mul_f64 v[190:191], v[205:206], v[192:193]
	v_xor_b32_e32 v193, 0x80000000, v193
.LBB92_637:
	s_andn2_saveexec_b32 s7, s7
	s_cbranch_execz .LBB92_639
; %bb.638:
	v_div_scale_f64 v[205:206], null, v[190:191], v[190:191], v[192:193]
	v_div_scale_f64 v[211:212], vcc_lo, v[192:193], v[190:191], v[192:193]
	v_rcp_f64_e32 v[207:208], v[205:206]
	v_fma_f64 v[209:210], -v[205:206], v[207:208], 1.0
	v_fma_f64 v[207:208], v[207:208], v[209:210], v[207:208]
	v_fma_f64 v[209:210], -v[205:206], v[207:208], 1.0
	v_fma_f64 v[207:208], v[207:208], v[209:210], v[207:208]
	v_mul_f64 v[209:210], v[211:212], v[207:208]
	v_fma_f64 v[205:206], -v[205:206], v[209:210], v[211:212]
	v_div_fmas_f64 v[205:206], v[205:206], v[207:208], v[209:210]
	v_div_fixup_f64 v[205:206], v[205:206], v[190:191], v[192:193]
	v_fma_f64 v[190:191], v[192:193], v[205:206], v[190:191]
	v_div_scale_f64 v[192:193], null, v[190:191], v[190:191], 1.0
	v_rcp_f64_e32 v[207:208], v[192:193]
	v_fma_f64 v[209:210], -v[192:193], v[207:208], 1.0
	v_fma_f64 v[207:208], v[207:208], v[209:210], v[207:208]
	v_fma_f64 v[209:210], -v[192:193], v[207:208], 1.0
	v_fma_f64 v[207:208], v[207:208], v[209:210], v[207:208]
	v_div_scale_f64 v[209:210], vcc_lo, 1.0, v[190:191], 1.0
	v_mul_f64 v[211:212], v[209:210], v[207:208]
	v_fma_f64 v[192:193], -v[192:193], v[211:212], v[209:210]
	v_div_fmas_f64 v[192:193], v[192:193], v[207:208], v[211:212]
	v_div_fixup_f64 v[190:191], v[192:193], v[190:191], 1.0
	v_mul_f64 v[192:193], v[205:206], -v[190:191]
.LBB92_639:
	s_or_b32 exec_lo, exec_lo, s7
.LBB92_640:
	s_or_b32 exec_lo, exec_lo, s0
	s_mov_b32 s0, exec_lo
	v_cmpx_ne_u32_e64 v204, v198
	s_xor_b32 s0, exec_lo, s0
	s_cbranch_execz .LBB92_646
; %bb.641:
	s_mov_b32 s7, exec_lo
	v_cmpx_eq_u32_e32 30, v204
	s_cbranch_execz .LBB92_645
; %bb.642:
	v_cmp_ne_u32_e32 vcc_lo, 30, v198
	s_xor_b32 s8, s16, -1
	s_and_b32 s9, s8, vcc_lo
	s_and_saveexec_b32 s8, s9
	s_cbranch_execz .LBB92_644
; %bb.643:
	v_ashrrev_i32_e32 v199, 31, v198
	v_lshlrev_b64 v[204:205], 2, v[198:199]
	v_add_co_u32 v204, vcc_lo, v196, v204
	v_add_co_ci_u32_e64 v205, null, v197, v205, vcc_lo
	s_clause 0x1
	global_load_dword v0, v[204:205], off
	global_load_dword v199, v[196:197], off offset:120
	s_waitcnt vmcnt(1)
	global_store_dword v[196:197], v0, off offset:120
	s_waitcnt vmcnt(0)
	global_store_dword v[204:205], v199, off
.LBB92_644:
	s_or_b32 exec_lo, exec_lo, s8
	v_mov_b32_e32 v204, v198
	v_mov_b32_e32 v0, v198
.LBB92_645:
	s_or_b32 exec_lo, exec_lo, s7
.LBB92_646:
	s_andn2_saveexec_b32 s0, s0
	s_cbranch_execz .LBB92_648
; %bb.647:
	v_mov_b32_e32 v204, 30
	ds_write2_b64 v1, v[66:67], v[68:69] offset0:62 offset1:63
	ds_write2_b64 v1, v[58:59], v[60:61] offset0:64 offset1:65
	;; [unrolled: 1-line block ×16, first 2 shown]
.LBB92_648:
	s_or_b32 exec_lo, exec_lo, s0
	s_mov_b32 s0, exec_lo
	s_waitcnt lgkmcnt(0)
	s_waitcnt_vscnt null, 0x0
	s_barrier
	buffer_gl0_inv
	v_cmpx_lt_i32_e32 30, v204
	s_cbranch_execz .LBB92_650
; %bb.649:
	v_mul_f64 v[198:199], v[190:191], v[72:73]
	v_mul_f64 v[72:73], v[192:193], v[72:73]
	v_fma_f64 v[198:199], v[192:193], v[70:71], v[198:199]
	v_fma_f64 v[70:71], v[190:191], v[70:71], -v[72:73]
	ds_read2_b64 v[190:193], v1 offset0:62 offset1:63
	s_waitcnt lgkmcnt(0)
	v_mul_f64 v[72:73], v[192:193], v[198:199]
	v_fma_f64 v[72:73], v[190:191], v[70:71], -v[72:73]
	v_mul_f64 v[190:191], v[190:191], v[198:199]
	v_add_f64 v[66:67], v[66:67], -v[72:73]
	v_fma_f64 v[190:191], v[192:193], v[70:71], v[190:191]
	v_add_f64 v[68:69], v[68:69], -v[190:191]
	ds_read2_b64 v[190:193], v1 offset0:64 offset1:65
	s_waitcnt lgkmcnt(0)
	v_mul_f64 v[72:73], v[192:193], v[198:199]
	v_fma_f64 v[72:73], v[190:191], v[70:71], -v[72:73]
	v_mul_f64 v[190:191], v[190:191], v[198:199]
	v_add_f64 v[58:59], v[58:59], -v[72:73]
	v_fma_f64 v[190:191], v[192:193], v[70:71], v[190:191]
	v_add_f64 v[60:61], v[60:61], -v[190:191]
	;; [unrolled: 8-line block ×15, first 2 shown]
	ds_read2_b64 v[190:193], v1 offset0:92 offset1:93
	s_waitcnt lgkmcnt(0)
	v_mul_f64 v[72:73], v[192:193], v[198:199]
	v_fma_f64 v[72:73], v[190:191], v[70:71], -v[72:73]
	v_mul_f64 v[190:191], v[190:191], v[198:199]
	v_add_f64 v[2:3], v[2:3], -v[72:73]
	v_fma_f64 v[190:191], v[192:193], v[70:71], v[190:191]
	v_mov_b32_e32 v72, v198
	v_mov_b32_e32 v73, v199
	v_add_f64 v[4:5], v[4:5], -v[190:191]
.LBB92_650:
	s_or_b32 exec_lo, exec_lo, s0
	v_lshl_add_u32 v190, v204, 4, v1
	s_barrier
	buffer_gl0_inv
	v_mov_b32_e32 v198, 31
	ds_write2_b64 v190, v[66:67], v[68:69] offset1:1
	s_waitcnt lgkmcnt(0)
	s_barrier
	buffer_gl0_inv
	ds_read2_b64 v[190:193], v1 offset0:62 offset1:63
	s_cmp_lt_i32 s1, 33
	s_cbranch_scc1 .LBB92_653
; %bb.651:
	v_add3_u32 v199, v200, 0, 0x200
	v_mov_b32_e32 v198, 31
	s_mov_b32 s7, 32
	s_inst_prefetch 0x1
	.p2align	6
.LBB92_652:                             ; =>This Inner Loop Header: Depth=1
	s_waitcnt lgkmcnt(0)
	v_cmp_gt_f64_e32 vcc_lo, 0, v[192:193]
	v_cmp_gt_f64_e64 s0, 0, v[190:191]
	ds_read2_b64 v[205:208], v199 offset1:1
	v_xor_b32_e32 v210, 0x80000000, v191
	v_xor_b32_e32 v212, 0x80000000, v193
	v_mov_b32_e32 v209, v190
	v_mov_b32_e32 v211, v192
	v_add_nc_u32_e32 v199, 16, v199
	s_waitcnt lgkmcnt(0)
	v_xor_b32_e32 v214, 0x80000000, v208
	v_cndmask_b32_e64 v210, v191, v210, s0
	v_cndmask_b32_e32 v212, v193, v212, vcc_lo
	v_cmp_gt_f64_e32 vcc_lo, 0, v[207:208]
	v_cmp_gt_f64_e64 s0, 0, v[205:206]
	v_mov_b32_e32 v213, v207
	v_add_f64 v[209:210], v[209:210], v[211:212]
	v_xor_b32_e32 v212, 0x80000000, v206
	v_mov_b32_e32 v211, v205
	v_cndmask_b32_e32 v214, v208, v214, vcc_lo
	v_cndmask_b32_e64 v212, v206, v212, s0
	v_add_f64 v[211:212], v[211:212], v[213:214]
	v_cmp_lt_f64_e32 vcc_lo, v[209:210], v[211:212]
	v_cndmask_b32_e32 v191, v191, v206, vcc_lo
	v_cndmask_b32_e32 v190, v190, v205, vcc_lo
	;; [unrolled: 1-line block ×4, first 2 shown]
	v_cndmask_b32_e64 v198, v198, s7, vcc_lo
	s_add_i32 s7, s7, 1
	s_cmp_lg_u32 s1, s7
	s_cbranch_scc1 .LBB92_652
.LBB92_653:
	s_inst_prefetch 0x2
	s_waitcnt lgkmcnt(0)
	v_cmp_eq_f64_e32 vcc_lo, 0, v[190:191]
	v_cmp_eq_f64_e64 s0, 0, v[192:193]
	s_and_b32 s0, vcc_lo, s0
	s_and_saveexec_b32 s7, s0
	s_xor_b32 s0, exec_lo, s7
; %bb.654:
	v_cmp_ne_u32_e32 vcc_lo, 0, v203
	v_cndmask_b32_e32 v203, 32, v203, vcc_lo
; %bb.655:
	s_andn2_saveexec_b32 s0, s0
	s_cbranch_execz .LBB92_661
; %bb.656:
	v_cmp_ngt_f64_e64 s7, |v[190:191]|, |v[192:193]|
	s_and_saveexec_b32 s8, s7
	s_xor_b32 s7, exec_lo, s8
	s_cbranch_execz .LBB92_658
; %bb.657:
	v_div_scale_f64 v[205:206], null, v[192:193], v[192:193], v[190:191]
	v_div_scale_f64 v[211:212], vcc_lo, v[190:191], v[192:193], v[190:191]
	v_rcp_f64_e32 v[207:208], v[205:206]
	v_fma_f64 v[209:210], -v[205:206], v[207:208], 1.0
	v_fma_f64 v[207:208], v[207:208], v[209:210], v[207:208]
	v_fma_f64 v[209:210], -v[205:206], v[207:208], 1.0
	v_fma_f64 v[207:208], v[207:208], v[209:210], v[207:208]
	v_mul_f64 v[209:210], v[211:212], v[207:208]
	v_fma_f64 v[205:206], -v[205:206], v[209:210], v[211:212]
	v_div_fmas_f64 v[205:206], v[205:206], v[207:208], v[209:210]
	v_div_fixup_f64 v[205:206], v[205:206], v[192:193], v[190:191]
	v_fma_f64 v[190:191], v[190:191], v[205:206], v[192:193]
	v_div_scale_f64 v[192:193], null, v[190:191], v[190:191], 1.0
	v_rcp_f64_e32 v[207:208], v[192:193]
	v_fma_f64 v[209:210], -v[192:193], v[207:208], 1.0
	v_fma_f64 v[207:208], v[207:208], v[209:210], v[207:208]
	v_fma_f64 v[209:210], -v[192:193], v[207:208], 1.0
	v_fma_f64 v[207:208], v[207:208], v[209:210], v[207:208]
	v_div_scale_f64 v[209:210], vcc_lo, 1.0, v[190:191], 1.0
	v_mul_f64 v[211:212], v[209:210], v[207:208]
	v_fma_f64 v[192:193], -v[192:193], v[211:212], v[209:210]
	v_div_fmas_f64 v[192:193], v[192:193], v[207:208], v[211:212]
	v_div_fixup_f64 v[192:193], v[192:193], v[190:191], 1.0
	v_mul_f64 v[190:191], v[205:206], v[192:193]
	v_xor_b32_e32 v193, 0x80000000, v193
.LBB92_658:
	s_andn2_saveexec_b32 s7, s7
	s_cbranch_execz .LBB92_660
; %bb.659:
	v_div_scale_f64 v[205:206], null, v[190:191], v[190:191], v[192:193]
	v_div_scale_f64 v[211:212], vcc_lo, v[192:193], v[190:191], v[192:193]
	v_rcp_f64_e32 v[207:208], v[205:206]
	v_fma_f64 v[209:210], -v[205:206], v[207:208], 1.0
	v_fma_f64 v[207:208], v[207:208], v[209:210], v[207:208]
	v_fma_f64 v[209:210], -v[205:206], v[207:208], 1.0
	v_fma_f64 v[207:208], v[207:208], v[209:210], v[207:208]
	v_mul_f64 v[209:210], v[211:212], v[207:208]
	v_fma_f64 v[205:206], -v[205:206], v[209:210], v[211:212]
	v_div_fmas_f64 v[205:206], v[205:206], v[207:208], v[209:210]
	v_div_fixup_f64 v[205:206], v[205:206], v[190:191], v[192:193]
	v_fma_f64 v[190:191], v[192:193], v[205:206], v[190:191]
	v_div_scale_f64 v[192:193], null, v[190:191], v[190:191], 1.0
	v_rcp_f64_e32 v[207:208], v[192:193]
	v_fma_f64 v[209:210], -v[192:193], v[207:208], 1.0
	v_fma_f64 v[207:208], v[207:208], v[209:210], v[207:208]
	v_fma_f64 v[209:210], -v[192:193], v[207:208], 1.0
	v_fma_f64 v[207:208], v[207:208], v[209:210], v[207:208]
	v_div_scale_f64 v[209:210], vcc_lo, 1.0, v[190:191], 1.0
	v_mul_f64 v[211:212], v[209:210], v[207:208]
	v_fma_f64 v[192:193], -v[192:193], v[211:212], v[209:210]
	v_div_fmas_f64 v[192:193], v[192:193], v[207:208], v[211:212]
	v_div_fixup_f64 v[190:191], v[192:193], v[190:191], 1.0
	v_mul_f64 v[192:193], v[205:206], -v[190:191]
.LBB92_660:
	s_or_b32 exec_lo, exec_lo, s7
.LBB92_661:
	s_or_b32 exec_lo, exec_lo, s0
	s_mov_b32 s0, exec_lo
	v_cmpx_ne_u32_e64 v204, v198
	s_xor_b32 s0, exec_lo, s0
	s_cbranch_execz .LBB92_667
; %bb.662:
	s_mov_b32 s7, exec_lo
	v_cmpx_eq_u32_e32 31, v204
	s_cbranch_execz .LBB92_666
; %bb.663:
	v_cmp_ne_u32_e32 vcc_lo, 31, v198
	s_xor_b32 s8, s16, -1
	s_and_b32 s9, s8, vcc_lo
	s_and_saveexec_b32 s8, s9
	s_cbranch_execz .LBB92_665
; %bb.664:
	v_ashrrev_i32_e32 v199, 31, v198
	v_lshlrev_b64 v[204:205], 2, v[198:199]
	v_add_co_u32 v204, vcc_lo, v196, v204
	v_add_co_ci_u32_e64 v205, null, v197, v205, vcc_lo
	s_clause 0x1
	global_load_dword v0, v[204:205], off
	global_load_dword v199, v[196:197], off offset:124
	s_waitcnt vmcnt(1)
	global_store_dword v[196:197], v0, off offset:124
	s_waitcnt vmcnt(0)
	global_store_dword v[204:205], v199, off
.LBB92_665:
	s_or_b32 exec_lo, exec_lo, s8
	v_mov_b32_e32 v204, v198
	v_mov_b32_e32 v0, v198
.LBB92_666:
	s_or_b32 exec_lo, exec_lo, s7
.LBB92_667:
	s_andn2_saveexec_b32 s0, s0
	s_cbranch_execz .LBB92_669
; %bb.668:
	v_mov_b32_e32 v204, 31
	ds_write2_b64 v1, v[58:59], v[60:61] offset0:64 offset1:65
	ds_write2_b64 v1, v[54:55], v[56:57] offset0:66 offset1:67
	ds_write2_b64 v1, v[50:51], v[52:53] offset0:68 offset1:69
	ds_write2_b64 v1, v[46:47], v[48:49] offset0:70 offset1:71
	ds_write2_b64 v1, v[42:43], v[44:45] offset0:72 offset1:73
	ds_write2_b64 v1, v[38:39], v[40:41] offset0:74 offset1:75
	ds_write2_b64 v1, v[34:35], v[36:37] offset0:76 offset1:77
	ds_write2_b64 v1, v[30:31], v[32:33] offset0:78 offset1:79
	ds_write2_b64 v1, v[26:27], v[28:29] offset0:80 offset1:81
	ds_write2_b64 v1, v[22:23], v[24:25] offset0:82 offset1:83
	ds_write2_b64 v1, v[18:19], v[20:21] offset0:84 offset1:85
	ds_write2_b64 v1, v[14:15], v[16:17] offset0:86 offset1:87
	ds_write2_b64 v1, v[10:11], v[12:13] offset0:88 offset1:89
	ds_write2_b64 v1, v[6:7], v[8:9] offset0:90 offset1:91
	ds_write2_b64 v1, v[2:3], v[4:5] offset0:92 offset1:93
.LBB92_669:
	s_or_b32 exec_lo, exec_lo, s0
	s_mov_b32 s0, exec_lo
	s_waitcnt lgkmcnt(0)
	s_waitcnt_vscnt null, 0x0
	s_barrier
	buffer_gl0_inv
	v_cmpx_lt_i32_e32 31, v204
	s_cbranch_execz .LBB92_671
; %bb.670:
	v_mul_f64 v[198:199], v[190:191], v[68:69]
	v_mul_f64 v[68:69], v[192:193], v[68:69]
	v_fma_f64 v[198:199], v[192:193], v[66:67], v[198:199]
	v_fma_f64 v[66:67], v[190:191], v[66:67], -v[68:69]
	ds_read2_b64 v[190:193], v1 offset0:64 offset1:65
	s_waitcnt lgkmcnt(0)
	v_mul_f64 v[68:69], v[192:193], v[198:199]
	v_fma_f64 v[68:69], v[190:191], v[66:67], -v[68:69]
	v_mul_f64 v[190:191], v[190:191], v[198:199]
	v_add_f64 v[58:59], v[58:59], -v[68:69]
	v_fma_f64 v[190:191], v[192:193], v[66:67], v[190:191]
	v_add_f64 v[60:61], v[60:61], -v[190:191]
	ds_read2_b64 v[190:193], v1 offset0:66 offset1:67
	s_waitcnt lgkmcnt(0)
	v_mul_f64 v[68:69], v[192:193], v[198:199]
	v_fma_f64 v[68:69], v[190:191], v[66:67], -v[68:69]
	v_mul_f64 v[190:191], v[190:191], v[198:199]
	v_add_f64 v[54:55], v[54:55], -v[68:69]
	v_fma_f64 v[190:191], v[192:193], v[66:67], v[190:191]
	v_add_f64 v[56:57], v[56:57], -v[190:191]
	;; [unrolled: 8-line block ×14, first 2 shown]
	ds_read2_b64 v[190:193], v1 offset0:92 offset1:93
	s_waitcnt lgkmcnt(0)
	v_mul_f64 v[68:69], v[192:193], v[198:199]
	v_fma_f64 v[68:69], v[190:191], v[66:67], -v[68:69]
	v_mul_f64 v[190:191], v[190:191], v[198:199]
	v_add_f64 v[2:3], v[2:3], -v[68:69]
	v_fma_f64 v[190:191], v[192:193], v[66:67], v[190:191]
	v_mov_b32_e32 v68, v198
	v_mov_b32_e32 v69, v199
	v_add_f64 v[4:5], v[4:5], -v[190:191]
.LBB92_671:
	s_or_b32 exec_lo, exec_lo, s0
	v_lshl_add_u32 v190, v204, 4, v1
	s_barrier
	buffer_gl0_inv
	v_mov_b32_e32 v198, 32
	ds_write2_b64 v190, v[58:59], v[60:61] offset1:1
	s_waitcnt lgkmcnt(0)
	s_barrier
	buffer_gl0_inv
	ds_read2_b64 v[190:193], v1 offset0:64 offset1:65
	s_cmp_lt_i32 s1, 34
	s_cbranch_scc1 .LBB92_674
; %bb.672:
	v_add3_u32 v199, v200, 0, 0x210
	v_mov_b32_e32 v198, 32
	s_mov_b32 s7, 33
	s_inst_prefetch 0x1
	.p2align	6
.LBB92_673:                             ; =>This Inner Loop Header: Depth=1
	s_waitcnt lgkmcnt(0)
	v_cmp_gt_f64_e32 vcc_lo, 0, v[192:193]
	v_cmp_gt_f64_e64 s0, 0, v[190:191]
	ds_read2_b64 v[205:208], v199 offset1:1
	v_xor_b32_e32 v210, 0x80000000, v191
	v_xor_b32_e32 v212, 0x80000000, v193
	v_mov_b32_e32 v209, v190
	v_mov_b32_e32 v211, v192
	v_add_nc_u32_e32 v199, 16, v199
	s_waitcnt lgkmcnt(0)
	v_xor_b32_e32 v214, 0x80000000, v208
	v_cndmask_b32_e64 v210, v191, v210, s0
	v_cndmask_b32_e32 v212, v193, v212, vcc_lo
	v_cmp_gt_f64_e32 vcc_lo, 0, v[207:208]
	v_cmp_gt_f64_e64 s0, 0, v[205:206]
	v_mov_b32_e32 v213, v207
	v_add_f64 v[209:210], v[209:210], v[211:212]
	v_xor_b32_e32 v212, 0x80000000, v206
	v_mov_b32_e32 v211, v205
	v_cndmask_b32_e32 v214, v208, v214, vcc_lo
	v_cndmask_b32_e64 v212, v206, v212, s0
	v_add_f64 v[211:212], v[211:212], v[213:214]
	v_cmp_lt_f64_e32 vcc_lo, v[209:210], v[211:212]
	v_cndmask_b32_e32 v191, v191, v206, vcc_lo
	v_cndmask_b32_e32 v190, v190, v205, vcc_lo
	;; [unrolled: 1-line block ×4, first 2 shown]
	v_cndmask_b32_e64 v198, v198, s7, vcc_lo
	s_add_i32 s7, s7, 1
	s_cmp_lg_u32 s1, s7
	s_cbranch_scc1 .LBB92_673
.LBB92_674:
	s_inst_prefetch 0x2
	s_waitcnt lgkmcnt(0)
	v_cmp_eq_f64_e32 vcc_lo, 0, v[190:191]
	v_cmp_eq_f64_e64 s0, 0, v[192:193]
	s_and_b32 s0, vcc_lo, s0
	s_and_saveexec_b32 s7, s0
	s_xor_b32 s0, exec_lo, s7
; %bb.675:
	v_cmp_ne_u32_e32 vcc_lo, 0, v203
	v_cndmask_b32_e32 v203, 33, v203, vcc_lo
; %bb.676:
	s_andn2_saveexec_b32 s0, s0
	s_cbranch_execz .LBB92_682
; %bb.677:
	v_cmp_ngt_f64_e64 s7, |v[190:191]|, |v[192:193]|
	s_and_saveexec_b32 s8, s7
	s_xor_b32 s7, exec_lo, s8
	s_cbranch_execz .LBB92_679
; %bb.678:
	v_div_scale_f64 v[205:206], null, v[192:193], v[192:193], v[190:191]
	v_div_scale_f64 v[211:212], vcc_lo, v[190:191], v[192:193], v[190:191]
	v_rcp_f64_e32 v[207:208], v[205:206]
	v_fma_f64 v[209:210], -v[205:206], v[207:208], 1.0
	v_fma_f64 v[207:208], v[207:208], v[209:210], v[207:208]
	v_fma_f64 v[209:210], -v[205:206], v[207:208], 1.0
	v_fma_f64 v[207:208], v[207:208], v[209:210], v[207:208]
	v_mul_f64 v[209:210], v[211:212], v[207:208]
	v_fma_f64 v[205:206], -v[205:206], v[209:210], v[211:212]
	v_div_fmas_f64 v[205:206], v[205:206], v[207:208], v[209:210]
	v_div_fixup_f64 v[205:206], v[205:206], v[192:193], v[190:191]
	v_fma_f64 v[190:191], v[190:191], v[205:206], v[192:193]
	v_div_scale_f64 v[192:193], null, v[190:191], v[190:191], 1.0
	v_rcp_f64_e32 v[207:208], v[192:193]
	v_fma_f64 v[209:210], -v[192:193], v[207:208], 1.0
	v_fma_f64 v[207:208], v[207:208], v[209:210], v[207:208]
	v_fma_f64 v[209:210], -v[192:193], v[207:208], 1.0
	v_fma_f64 v[207:208], v[207:208], v[209:210], v[207:208]
	v_div_scale_f64 v[209:210], vcc_lo, 1.0, v[190:191], 1.0
	v_mul_f64 v[211:212], v[209:210], v[207:208]
	v_fma_f64 v[192:193], -v[192:193], v[211:212], v[209:210]
	v_div_fmas_f64 v[192:193], v[192:193], v[207:208], v[211:212]
	v_div_fixup_f64 v[192:193], v[192:193], v[190:191], 1.0
	v_mul_f64 v[190:191], v[205:206], v[192:193]
	v_xor_b32_e32 v193, 0x80000000, v193
.LBB92_679:
	s_andn2_saveexec_b32 s7, s7
	s_cbranch_execz .LBB92_681
; %bb.680:
	v_div_scale_f64 v[205:206], null, v[190:191], v[190:191], v[192:193]
	v_div_scale_f64 v[211:212], vcc_lo, v[192:193], v[190:191], v[192:193]
	v_rcp_f64_e32 v[207:208], v[205:206]
	v_fma_f64 v[209:210], -v[205:206], v[207:208], 1.0
	v_fma_f64 v[207:208], v[207:208], v[209:210], v[207:208]
	v_fma_f64 v[209:210], -v[205:206], v[207:208], 1.0
	v_fma_f64 v[207:208], v[207:208], v[209:210], v[207:208]
	v_mul_f64 v[209:210], v[211:212], v[207:208]
	v_fma_f64 v[205:206], -v[205:206], v[209:210], v[211:212]
	v_div_fmas_f64 v[205:206], v[205:206], v[207:208], v[209:210]
	v_div_fixup_f64 v[205:206], v[205:206], v[190:191], v[192:193]
	v_fma_f64 v[190:191], v[192:193], v[205:206], v[190:191]
	v_div_scale_f64 v[192:193], null, v[190:191], v[190:191], 1.0
	v_rcp_f64_e32 v[207:208], v[192:193]
	v_fma_f64 v[209:210], -v[192:193], v[207:208], 1.0
	v_fma_f64 v[207:208], v[207:208], v[209:210], v[207:208]
	v_fma_f64 v[209:210], -v[192:193], v[207:208], 1.0
	v_fma_f64 v[207:208], v[207:208], v[209:210], v[207:208]
	v_div_scale_f64 v[209:210], vcc_lo, 1.0, v[190:191], 1.0
	v_mul_f64 v[211:212], v[209:210], v[207:208]
	v_fma_f64 v[192:193], -v[192:193], v[211:212], v[209:210]
	v_div_fmas_f64 v[192:193], v[192:193], v[207:208], v[211:212]
	v_div_fixup_f64 v[190:191], v[192:193], v[190:191], 1.0
	v_mul_f64 v[192:193], v[205:206], -v[190:191]
.LBB92_681:
	s_or_b32 exec_lo, exec_lo, s7
.LBB92_682:
	s_or_b32 exec_lo, exec_lo, s0
	s_mov_b32 s0, exec_lo
	v_cmpx_ne_u32_e64 v204, v198
	s_xor_b32 s0, exec_lo, s0
	s_cbranch_execz .LBB92_688
; %bb.683:
	s_mov_b32 s7, exec_lo
	v_cmpx_eq_u32_e32 32, v204
	s_cbranch_execz .LBB92_687
; %bb.684:
	v_cmp_ne_u32_e32 vcc_lo, 32, v198
	s_xor_b32 s8, s16, -1
	s_and_b32 s9, s8, vcc_lo
	s_and_saveexec_b32 s8, s9
	s_cbranch_execz .LBB92_686
; %bb.685:
	v_ashrrev_i32_e32 v199, 31, v198
	v_lshlrev_b64 v[204:205], 2, v[198:199]
	v_add_co_u32 v204, vcc_lo, v196, v204
	v_add_co_ci_u32_e64 v205, null, v197, v205, vcc_lo
	s_clause 0x1
	global_load_dword v0, v[204:205], off
	global_load_dword v199, v[196:197], off offset:128
	s_waitcnt vmcnt(1)
	global_store_dword v[196:197], v0, off offset:128
	s_waitcnt vmcnt(0)
	global_store_dword v[204:205], v199, off
.LBB92_686:
	s_or_b32 exec_lo, exec_lo, s8
	v_mov_b32_e32 v204, v198
	v_mov_b32_e32 v0, v198
.LBB92_687:
	s_or_b32 exec_lo, exec_lo, s7
.LBB92_688:
	s_andn2_saveexec_b32 s0, s0
	s_cbranch_execz .LBB92_690
; %bb.689:
	v_mov_b32_e32 v204, 32
	ds_write2_b64 v1, v[54:55], v[56:57] offset0:66 offset1:67
	ds_write2_b64 v1, v[50:51], v[52:53] offset0:68 offset1:69
	;; [unrolled: 1-line block ×14, first 2 shown]
.LBB92_690:
	s_or_b32 exec_lo, exec_lo, s0
	s_mov_b32 s0, exec_lo
	s_waitcnt lgkmcnt(0)
	s_waitcnt_vscnt null, 0x0
	s_barrier
	buffer_gl0_inv
	v_cmpx_lt_i32_e32 32, v204
	s_cbranch_execz .LBB92_692
; %bb.691:
	v_mul_f64 v[198:199], v[190:191], v[60:61]
	v_mul_f64 v[60:61], v[192:193], v[60:61]
	v_fma_f64 v[198:199], v[192:193], v[58:59], v[198:199]
	v_fma_f64 v[58:59], v[190:191], v[58:59], -v[60:61]
	ds_read2_b64 v[190:193], v1 offset0:66 offset1:67
	s_waitcnt lgkmcnt(0)
	v_mul_f64 v[60:61], v[192:193], v[198:199]
	v_fma_f64 v[60:61], v[190:191], v[58:59], -v[60:61]
	v_mul_f64 v[190:191], v[190:191], v[198:199]
	v_add_f64 v[54:55], v[54:55], -v[60:61]
	v_fma_f64 v[190:191], v[192:193], v[58:59], v[190:191]
	v_add_f64 v[56:57], v[56:57], -v[190:191]
	ds_read2_b64 v[190:193], v1 offset0:68 offset1:69
	s_waitcnt lgkmcnt(0)
	v_mul_f64 v[60:61], v[192:193], v[198:199]
	v_fma_f64 v[60:61], v[190:191], v[58:59], -v[60:61]
	v_mul_f64 v[190:191], v[190:191], v[198:199]
	v_add_f64 v[50:51], v[50:51], -v[60:61]
	v_fma_f64 v[190:191], v[192:193], v[58:59], v[190:191]
	v_add_f64 v[52:53], v[52:53], -v[190:191]
	;; [unrolled: 8-line block ×13, first 2 shown]
	ds_read2_b64 v[190:193], v1 offset0:92 offset1:93
	s_waitcnt lgkmcnt(0)
	v_mul_f64 v[60:61], v[192:193], v[198:199]
	v_fma_f64 v[60:61], v[190:191], v[58:59], -v[60:61]
	v_mul_f64 v[190:191], v[190:191], v[198:199]
	v_add_f64 v[2:3], v[2:3], -v[60:61]
	v_fma_f64 v[190:191], v[192:193], v[58:59], v[190:191]
	v_mov_b32_e32 v60, v198
	v_mov_b32_e32 v61, v199
	v_add_f64 v[4:5], v[4:5], -v[190:191]
.LBB92_692:
	s_or_b32 exec_lo, exec_lo, s0
	v_lshl_add_u32 v190, v204, 4, v1
	s_barrier
	buffer_gl0_inv
	v_mov_b32_e32 v198, 33
	ds_write2_b64 v190, v[54:55], v[56:57] offset1:1
	s_waitcnt lgkmcnt(0)
	s_barrier
	buffer_gl0_inv
	ds_read2_b64 v[190:193], v1 offset0:66 offset1:67
	s_cmp_lt_i32 s1, 35
	s_cbranch_scc1 .LBB92_695
; %bb.693:
	v_add3_u32 v199, v200, 0, 0x220
	v_mov_b32_e32 v198, 33
	s_mov_b32 s7, 34
	s_inst_prefetch 0x1
	.p2align	6
.LBB92_694:                             ; =>This Inner Loop Header: Depth=1
	s_waitcnt lgkmcnt(0)
	v_cmp_gt_f64_e32 vcc_lo, 0, v[192:193]
	v_cmp_gt_f64_e64 s0, 0, v[190:191]
	ds_read2_b64 v[205:208], v199 offset1:1
	v_xor_b32_e32 v210, 0x80000000, v191
	v_xor_b32_e32 v212, 0x80000000, v193
	v_mov_b32_e32 v209, v190
	v_mov_b32_e32 v211, v192
	v_add_nc_u32_e32 v199, 16, v199
	s_waitcnt lgkmcnt(0)
	v_xor_b32_e32 v214, 0x80000000, v208
	v_cndmask_b32_e64 v210, v191, v210, s0
	v_cndmask_b32_e32 v212, v193, v212, vcc_lo
	v_cmp_gt_f64_e32 vcc_lo, 0, v[207:208]
	v_cmp_gt_f64_e64 s0, 0, v[205:206]
	v_mov_b32_e32 v213, v207
	v_add_f64 v[209:210], v[209:210], v[211:212]
	v_xor_b32_e32 v212, 0x80000000, v206
	v_mov_b32_e32 v211, v205
	v_cndmask_b32_e32 v214, v208, v214, vcc_lo
	v_cndmask_b32_e64 v212, v206, v212, s0
	v_add_f64 v[211:212], v[211:212], v[213:214]
	v_cmp_lt_f64_e32 vcc_lo, v[209:210], v[211:212]
	v_cndmask_b32_e32 v191, v191, v206, vcc_lo
	v_cndmask_b32_e32 v190, v190, v205, vcc_lo
	;; [unrolled: 1-line block ×4, first 2 shown]
	v_cndmask_b32_e64 v198, v198, s7, vcc_lo
	s_add_i32 s7, s7, 1
	s_cmp_lg_u32 s1, s7
	s_cbranch_scc1 .LBB92_694
.LBB92_695:
	s_inst_prefetch 0x2
	s_waitcnt lgkmcnt(0)
	v_cmp_eq_f64_e32 vcc_lo, 0, v[190:191]
	v_cmp_eq_f64_e64 s0, 0, v[192:193]
	s_and_b32 s0, vcc_lo, s0
	s_and_saveexec_b32 s7, s0
	s_xor_b32 s0, exec_lo, s7
; %bb.696:
	v_cmp_ne_u32_e32 vcc_lo, 0, v203
	v_cndmask_b32_e32 v203, 34, v203, vcc_lo
; %bb.697:
	s_andn2_saveexec_b32 s0, s0
	s_cbranch_execz .LBB92_703
; %bb.698:
	v_cmp_ngt_f64_e64 s7, |v[190:191]|, |v[192:193]|
	s_and_saveexec_b32 s8, s7
	s_xor_b32 s7, exec_lo, s8
	s_cbranch_execz .LBB92_700
; %bb.699:
	v_div_scale_f64 v[205:206], null, v[192:193], v[192:193], v[190:191]
	v_div_scale_f64 v[211:212], vcc_lo, v[190:191], v[192:193], v[190:191]
	v_rcp_f64_e32 v[207:208], v[205:206]
	v_fma_f64 v[209:210], -v[205:206], v[207:208], 1.0
	v_fma_f64 v[207:208], v[207:208], v[209:210], v[207:208]
	v_fma_f64 v[209:210], -v[205:206], v[207:208], 1.0
	v_fma_f64 v[207:208], v[207:208], v[209:210], v[207:208]
	v_mul_f64 v[209:210], v[211:212], v[207:208]
	v_fma_f64 v[205:206], -v[205:206], v[209:210], v[211:212]
	v_div_fmas_f64 v[205:206], v[205:206], v[207:208], v[209:210]
	v_div_fixup_f64 v[205:206], v[205:206], v[192:193], v[190:191]
	v_fma_f64 v[190:191], v[190:191], v[205:206], v[192:193]
	v_div_scale_f64 v[192:193], null, v[190:191], v[190:191], 1.0
	v_rcp_f64_e32 v[207:208], v[192:193]
	v_fma_f64 v[209:210], -v[192:193], v[207:208], 1.0
	v_fma_f64 v[207:208], v[207:208], v[209:210], v[207:208]
	v_fma_f64 v[209:210], -v[192:193], v[207:208], 1.0
	v_fma_f64 v[207:208], v[207:208], v[209:210], v[207:208]
	v_div_scale_f64 v[209:210], vcc_lo, 1.0, v[190:191], 1.0
	v_mul_f64 v[211:212], v[209:210], v[207:208]
	v_fma_f64 v[192:193], -v[192:193], v[211:212], v[209:210]
	v_div_fmas_f64 v[192:193], v[192:193], v[207:208], v[211:212]
	v_div_fixup_f64 v[192:193], v[192:193], v[190:191], 1.0
	v_mul_f64 v[190:191], v[205:206], v[192:193]
	v_xor_b32_e32 v193, 0x80000000, v193
.LBB92_700:
	s_andn2_saveexec_b32 s7, s7
	s_cbranch_execz .LBB92_702
; %bb.701:
	v_div_scale_f64 v[205:206], null, v[190:191], v[190:191], v[192:193]
	v_div_scale_f64 v[211:212], vcc_lo, v[192:193], v[190:191], v[192:193]
	v_rcp_f64_e32 v[207:208], v[205:206]
	v_fma_f64 v[209:210], -v[205:206], v[207:208], 1.0
	v_fma_f64 v[207:208], v[207:208], v[209:210], v[207:208]
	v_fma_f64 v[209:210], -v[205:206], v[207:208], 1.0
	v_fma_f64 v[207:208], v[207:208], v[209:210], v[207:208]
	v_mul_f64 v[209:210], v[211:212], v[207:208]
	v_fma_f64 v[205:206], -v[205:206], v[209:210], v[211:212]
	v_div_fmas_f64 v[205:206], v[205:206], v[207:208], v[209:210]
	v_div_fixup_f64 v[205:206], v[205:206], v[190:191], v[192:193]
	v_fma_f64 v[190:191], v[192:193], v[205:206], v[190:191]
	v_div_scale_f64 v[192:193], null, v[190:191], v[190:191], 1.0
	v_rcp_f64_e32 v[207:208], v[192:193]
	v_fma_f64 v[209:210], -v[192:193], v[207:208], 1.0
	v_fma_f64 v[207:208], v[207:208], v[209:210], v[207:208]
	v_fma_f64 v[209:210], -v[192:193], v[207:208], 1.0
	v_fma_f64 v[207:208], v[207:208], v[209:210], v[207:208]
	v_div_scale_f64 v[209:210], vcc_lo, 1.0, v[190:191], 1.0
	v_mul_f64 v[211:212], v[209:210], v[207:208]
	v_fma_f64 v[192:193], -v[192:193], v[211:212], v[209:210]
	v_div_fmas_f64 v[192:193], v[192:193], v[207:208], v[211:212]
	v_div_fixup_f64 v[190:191], v[192:193], v[190:191], 1.0
	v_mul_f64 v[192:193], v[205:206], -v[190:191]
.LBB92_702:
	s_or_b32 exec_lo, exec_lo, s7
.LBB92_703:
	s_or_b32 exec_lo, exec_lo, s0
	s_mov_b32 s0, exec_lo
	v_cmpx_ne_u32_e64 v204, v198
	s_xor_b32 s0, exec_lo, s0
	s_cbranch_execz .LBB92_709
; %bb.704:
	s_mov_b32 s7, exec_lo
	v_cmpx_eq_u32_e32 33, v204
	s_cbranch_execz .LBB92_708
; %bb.705:
	v_cmp_ne_u32_e32 vcc_lo, 33, v198
	s_xor_b32 s8, s16, -1
	s_and_b32 s9, s8, vcc_lo
	s_and_saveexec_b32 s8, s9
	s_cbranch_execz .LBB92_707
; %bb.706:
	v_ashrrev_i32_e32 v199, 31, v198
	v_lshlrev_b64 v[204:205], 2, v[198:199]
	v_add_co_u32 v204, vcc_lo, v196, v204
	v_add_co_ci_u32_e64 v205, null, v197, v205, vcc_lo
	s_clause 0x1
	global_load_dword v0, v[204:205], off
	global_load_dword v199, v[196:197], off offset:132
	s_waitcnt vmcnt(1)
	global_store_dword v[196:197], v0, off offset:132
	s_waitcnt vmcnt(0)
	global_store_dword v[204:205], v199, off
.LBB92_707:
	s_or_b32 exec_lo, exec_lo, s8
	v_mov_b32_e32 v204, v198
	v_mov_b32_e32 v0, v198
.LBB92_708:
	s_or_b32 exec_lo, exec_lo, s7
.LBB92_709:
	s_andn2_saveexec_b32 s0, s0
	s_cbranch_execz .LBB92_711
; %bb.710:
	v_mov_b32_e32 v204, 33
	ds_write2_b64 v1, v[50:51], v[52:53] offset0:68 offset1:69
	ds_write2_b64 v1, v[46:47], v[48:49] offset0:70 offset1:71
	ds_write2_b64 v1, v[42:43], v[44:45] offset0:72 offset1:73
	ds_write2_b64 v1, v[38:39], v[40:41] offset0:74 offset1:75
	ds_write2_b64 v1, v[34:35], v[36:37] offset0:76 offset1:77
	ds_write2_b64 v1, v[30:31], v[32:33] offset0:78 offset1:79
	ds_write2_b64 v1, v[26:27], v[28:29] offset0:80 offset1:81
	ds_write2_b64 v1, v[22:23], v[24:25] offset0:82 offset1:83
	ds_write2_b64 v1, v[18:19], v[20:21] offset0:84 offset1:85
	ds_write2_b64 v1, v[14:15], v[16:17] offset0:86 offset1:87
	ds_write2_b64 v1, v[10:11], v[12:13] offset0:88 offset1:89
	ds_write2_b64 v1, v[6:7], v[8:9] offset0:90 offset1:91
	ds_write2_b64 v1, v[2:3], v[4:5] offset0:92 offset1:93
.LBB92_711:
	s_or_b32 exec_lo, exec_lo, s0
	s_mov_b32 s0, exec_lo
	s_waitcnt lgkmcnt(0)
	s_waitcnt_vscnt null, 0x0
	s_barrier
	buffer_gl0_inv
	v_cmpx_lt_i32_e32 33, v204
	s_cbranch_execz .LBB92_713
; %bb.712:
	v_mul_f64 v[198:199], v[190:191], v[56:57]
	v_mul_f64 v[56:57], v[192:193], v[56:57]
	v_fma_f64 v[198:199], v[192:193], v[54:55], v[198:199]
	v_fma_f64 v[54:55], v[190:191], v[54:55], -v[56:57]
	ds_read2_b64 v[190:193], v1 offset0:68 offset1:69
	s_waitcnt lgkmcnt(0)
	v_mul_f64 v[56:57], v[192:193], v[198:199]
	v_fma_f64 v[56:57], v[190:191], v[54:55], -v[56:57]
	v_mul_f64 v[190:191], v[190:191], v[198:199]
	v_add_f64 v[50:51], v[50:51], -v[56:57]
	v_fma_f64 v[190:191], v[192:193], v[54:55], v[190:191]
	v_add_f64 v[52:53], v[52:53], -v[190:191]
	ds_read2_b64 v[190:193], v1 offset0:70 offset1:71
	s_waitcnt lgkmcnt(0)
	v_mul_f64 v[56:57], v[192:193], v[198:199]
	v_fma_f64 v[56:57], v[190:191], v[54:55], -v[56:57]
	v_mul_f64 v[190:191], v[190:191], v[198:199]
	v_add_f64 v[46:47], v[46:47], -v[56:57]
	v_fma_f64 v[190:191], v[192:193], v[54:55], v[190:191]
	v_add_f64 v[48:49], v[48:49], -v[190:191]
	;; [unrolled: 8-line block ×12, first 2 shown]
	ds_read2_b64 v[190:193], v1 offset0:92 offset1:93
	s_waitcnt lgkmcnt(0)
	v_mul_f64 v[56:57], v[192:193], v[198:199]
	v_fma_f64 v[56:57], v[190:191], v[54:55], -v[56:57]
	v_mul_f64 v[190:191], v[190:191], v[198:199]
	v_add_f64 v[2:3], v[2:3], -v[56:57]
	v_fma_f64 v[190:191], v[192:193], v[54:55], v[190:191]
	v_mov_b32_e32 v56, v198
	v_mov_b32_e32 v57, v199
	v_add_f64 v[4:5], v[4:5], -v[190:191]
.LBB92_713:
	s_or_b32 exec_lo, exec_lo, s0
	v_lshl_add_u32 v190, v204, 4, v1
	s_barrier
	buffer_gl0_inv
	v_mov_b32_e32 v198, 34
	ds_write2_b64 v190, v[50:51], v[52:53] offset1:1
	s_waitcnt lgkmcnt(0)
	s_barrier
	buffer_gl0_inv
	ds_read2_b64 v[190:193], v1 offset0:68 offset1:69
	s_cmp_lt_i32 s1, 36
	s_cbranch_scc1 .LBB92_716
; %bb.714:
	v_add3_u32 v199, v200, 0, 0x230
	v_mov_b32_e32 v198, 34
	s_mov_b32 s7, 35
	s_inst_prefetch 0x1
	.p2align	6
.LBB92_715:                             ; =>This Inner Loop Header: Depth=1
	s_waitcnt lgkmcnt(0)
	v_cmp_gt_f64_e32 vcc_lo, 0, v[192:193]
	v_cmp_gt_f64_e64 s0, 0, v[190:191]
	ds_read2_b64 v[205:208], v199 offset1:1
	v_xor_b32_e32 v210, 0x80000000, v191
	v_xor_b32_e32 v212, 0x80000000, v193
	v_mov_b32_e32 v209, v190
	v_mov_b32_e32 v211, v192
	v_add_nc_u32_e32 v199, 16, v199
	s_waitcnt lgkmcnt(0)
	v_xor_b32_e32 v214, 0x80000000, v208
	v_cndmask_b32_e64 v210, v191, v210, s0
	v_cndmask_b32_e32 v212, v193, v212, vcc_lo
	v_cmp_gt_f64_e32 vcc_lo, 0, v[207:208]
	v_cmp_gt_f64_e64 s0, 0, v[205:206]
	v_mov_b32_e32 v213, v207
	v_add_f64 v[209:210], v[209:210], v[211:212]
	v_xor_b32_e32 v212, 0x80000000, v206
	v_mov_b32_e32 v211, v205
	v_cndmask_b32_e32 v214, v208, v214, vcc_lo
	v_cndmask_b32_e64 v212, v206, v212, s0
	v_add_f64 v[211:212], v[211:212], v[213:214]
	v_cmp_lt_f64_e32 vcc_lo, v[209:210], v[211:212]
	v_cndmask_b32_e32 v191, v191, v206, vcc_lo
	v_cndmask_b32_e32 v190, v190, v205, vcc_lo
	;; [unrolled: 1-line block ×4, first 2 shown]
	v_cndmask_b32_e64 v198, v198, s7, vcc_lo
	s_add_i32 s7, s7, 1
	s_cmp_lg_u32 s1, s7
	s_cbranch_scc1 .LBB92_715
.LBB92_716:
	s_inst_prefetch 0x2
	s_waitcnt lgkmcnt(0)
	v_cmp_eq_f64_e32 vcc_lo, 0, v[190:191]
	v_cmp_eq_f64_e64 s0, 0, v[192:193]
	s_and_b32 s0, vcc_lo, s0
	s_and_saveexec_b32 s7, s0
	s_xor_b32 s0, exec_lo, s7
; %bb.717:
	v_cmp_ne_u32_e32 vcc_lo, 0, v203
	v_cndmask_b32_e32 v203, 35, v203, vcc_lo
; %bb.718:
	s_andn2_saveexec_b32 s0, s0
	s_cbranch_execz .LBB92_724
; %bb.719:
	v_cmp_ngt_f64_e64 s7, |v[190:191]|, |v[192:193]|
	s_and_saveexec_b32 s8, s7
	s_xor_b32 s7, exec_lo, s8
	s_cbranch_execz .LBB92_721
; %bb.720:
	v_div_scale_f64 v[205:206], null, v[192:193], v[192:193], v[190:191]
	v_div_scale_f64 v[211:212], vcc_lo, v[190:191], v[192:193], v[190:191]
	v_rcp_f64_e32 v[207:208], v[205:206]
	v_fma_f64 v[209:210], -v[205:206], v[207:208], 1.0
	v_fma_f64 v[207:208], v[207:208], v[209:210], v[207:208]
	v_fma_f64 v[209:210], -v[205:206], v[207:208], 1.0
	v_fma_f64 v[207:208], v[207:208], v[209:210], v[207:208]
	v_mul_f64 v[209:210], v[211:212], v[207:208]
	v_fma_f64 v[205:206], -v[205:206], v[209:210], v[211:212]
	v_div_fmas_f64 v[205:206], v[205:206], v[207:208], v[209:210]
	v_div_fixup_f64 v[205:206], v[205:206], v[192:193], v[190:191]
	v_fma_f64 v[190:191], v[190:191], v[205:206], v[192:193]
	v_div_scale_f64 v[192:193], null, v[190:191], v[190:191], 1.0
	v_rcp_f64_e32 v[207:208], v[192:193]
	v_fma_f64 v[209:210], -v[192:193], v[207:208], 1.0
	v_fma_f64 v[207:208], v[207:208], v[209:210], v[207:208]
	v_fma_f64 v[209:210], -v[192:193], v[207:208], 1.0
	v_fma_f64 v[207:208], v[207:208], v[209:210], v[207:208]
	v_div_scale_f64 v[209:210], vcc_lo, 1.0, v[190:191], 1.0
	v_mul_f64 v[211:212], v[209:210], v[207:208]
	v_fma_f64 v[192:193], -v[192:193], v[211:212], v[209:210]
	v_div_fmas_f64 v[192:193], v[192:193], v[207:208], v[211:212]
	v_div_fixup_f64 v[192:193], v[192:193], v[190:191], 1.0
	v_mul_f64 v[190:191], v[205:206], v[192:193]
	v_xor_b32_e32 v193, 0x80000000, v193
.LBB92_721:
	s_andn2_saveexec_b32 s7, s7
	s_cbranch_execz .LBB92_723
; %bb.722:
	v_div_scale_f64 v[205:206], null, v[190:191], v[190:191], v[192:193]
	v_div_scale_f64 v[211:212], vcc_lo, v[192:193], v[190:191], v[192:193]
	v_rcp_f64_e32 v[207:208], v[205:206]
	v_fma_f64 v[209:210], -v[205:206], v[207:208], 1.0
	v_fma_f64 v[207:208], v[207:208], v[209:210], v[207:208]
	v_fma_f64 v[209:210], -v[205:206], v[207:208], 1.0
	v_fma_f64 v[207:208], v[207:208], v[209:210], v[207:208]
	v_mul_f64 v[209:210], v[211:212], v[207:208]
	v_fma_f64 v[205:206], -v[205:206], v[209:210], v[211:212]
	v_div_fmas_f64 v[205:206], v[205:206], v[207:208], v[209:210]
	v_div_fixup_f64 v[205:206], v[205:206], v[190:191], v[192:193]
	v_fma_f64 v[190:191], v[192:193], v[205:206], v[190:191]
	v_div_scale_f64 v[192:193], null, v[190:191], v[190:191], 1.0
	v_rcp_f64_e32 v[207:208], v[192:193]
	v_fma_f64 v[209:210], -v[192:193], v[207:208], 1.0
	v_fma_f64 v[207:208], v[207:208], v[209:210], v[207:208]
	v_fma_f64 v[209:210], -v[192:193], v[207:208], 1.0
	v_fma_f64 v[207:208], v[207:208], v[209:210], v[207:208]
	v_div_scale_f64 v[209:210], vcc_lo, 1.0, v[190:191], 1.0
	v_mul_f64 v[211:212], v[209:210], v[207:208]
	v_fma_f64 v[192:193], -v[192:193], v[211:212], v[209:210]
	v_div_fmas_f64 v[192:193], v[192:193], v[207:208], v[211:212]
	v_div_fixup_f64 v[190:191], v[192:193], v[190:191], 1.0
	v_mul_f64 v[192:193], v[205:206], -v[190:191]
.LBB92_723:
	s_or_b32 exec_lo, exec_lo, s7
.LBB92_724:
	s_or_b32 exec_lo, exec_lo, s0
	s_mov_b32 s0, exec_lo
	v_cmpx_ne_u32_e64 v204, v198
	s_xor_b32 s0, exec_lo, s0
	s_cbranch_execz .LBB92_730
; %bb.725:
	s_mov_b32 s7, exec_lo
	v_cmpx_eq_u32_e32 34, v204
	s_cbranch_execz .LBB92_729
; %bb.726:
	v_cmp_ne_u32_e32 vcc_lo, 34, v198
	s_xor_b32 s8, s16, -1
	s_and_b32 s9, s8, vcc_lo
	s_and_saveexec_b32 s8, s9
	s_cbranch_execz .LBB92_728
; %bb.727:
	v_ashrrev_i32_e32 v199, 31, v198
	v_lshlrev_b64 v[204:205], 2, v[198:199]
	v_add_co_u32 v204, vcc_lo, v196, v204
	v_add_co_ci_u32_e64 v205, null, v197, v205, vcc_lo
	s_clause 0x1
	global_load_dword v0, v[204:205], off
	global_load_dword v199, v[196:197], off offset:136
	s_waitcnt vmcnt(1)
	global_store_dword v[196:197], v0, off offset:136
	s_waitcnt vmcnt(0)
	global_store_dword v[204:205], v199, off
.LBB92_728:
	s_or_b32 exec_lo, exec_lo, s8
	v_mov_b32_e32 v204, v198
	v_mov_b32_e32 v0, v198
.LBB92_729:
	s_or_b32 exec_lo, exec_lo, s7
.LBB92_730:
	s_andn2_saveexec_b32 s0, s0
	s_cbranch_execz .LBB92_732
; %bb.731:
	v_mov_b32_e32 v204, 34
	ds_write2_b64 v1, v[46:47], v[48:49] offset0:70 offset1:71
	ds_write2_b64 v1, v[42:43], v[44:45] offset0:72 offset1:73
	;; [unrolled: 1-line block ×12, first 2 shown]
.LBB92_732:
	s_or_b32 exec_lo, exec_lo, s0
	s_mov_b32 s0, exec_lo
	s_waitcnt lgkmcnt(0)
	s_waitcnt_vscnt null, 0x0
	s_barrier
	buffer_gl0_inv
	v_cmpx_lt_i32_e32 34, v204
	s_cbranch_execz .LBB92_734
; %bb.733:
	v_mul_f64 v[198:199], v[190:191], v[52:53]
	v_mul_f64 v[52:53], v[192:193], v[52:53]
	v_fma_f64 v[198:199], v[192:193], v[50:51], v[198:199]
	v_fma_f64 v[50:51], v[190:191], v[50:51], -v[52:53]
	ds_read2_b64 v[190:193], v1 offset0:70 offset1:71
	s_waitcnt lgkmcnt(0)
	v_mul_f64 v[52:53], v[192:193], v[198:199]
	v_fma_f64 v[52:53], v[190:191], v[50:51], -v[52:53]
	v_mul_f64 v[190:191], v[190:191], v[198:199]
	v_add_f64 v[46:47], v[46:47], -v[52:53]
	v_fma_f64 v[190:191], v[192:193], v[50:51], v[190:191]
	v_add_f64 v[48:49], v[48:49], -v[190:191]
	ds_read2_b64 v[190:193], v1 offset0:72 offset1:73
	s_waitcnt lgkmcnt(0)
	v_mul_f64 v[52:53], v[192:193], v[198:199]
	v_fma_f64 v[52:53], v[190:191], v[50:51], -v[52:53]
	v_mul_f64 v[190:191], v[190:191], v[198:199]
	v_add_f64 v[42:43], v[42:43], -v[52:53]
	v_fma_f64 v[190:191], v[192:193], v[50:51], v[190:191]
	v_add_f64 v[44:45], v[44:45], -v[190:191]
	;; [unrolled: 8-line block ×11, first 2 shown]
	ds_read2_b64 v[190:193], v1 offset0:92 offset1:93
	s_waitcnt lgkmcnt(0)
	v_mul_f64 v[52:53], v[192:193], v[198:199]
	v_fma_f64 v[52:53], v[190:191], v[50:51], -v[52:53]
	v_mul_f64 v[190:191], v[190:191], v[198:199]
	v_add_f64 v[2:3], v[2:3], -v[52:53]
	v_fma_f64 v[190:191], v[192:193], v[50:51], v[190:191]
	v_mov_b32_e32 v52, v198
	v_mov_b32_e32 v53, v199
	v_add_f64 v[4:5], v[4:5], -v[190:191]
.LBB92_734:
	s_or_b32 exec_lo, exec_lo, s0
	v_lshl_add_u32 v190, v204, 4, v1
	s_barrier
	buffer_gl0_inv
	v_mov_b32_e32 v198, 35
	ds_write2_b64 v190, v[46:47], v[48:49] offset1:1
	s_waitcnt lgkmcnt(0)
	s_barrier
	buffer_gl0_inv
	ds_read2_b64 v[190:193], v1 offset0:70 offset1:71
	s_cmp_lt_i32 s1, 37
	s_cbranch_scc1 .LBB92_737
; %bb.735:
	v_add3_u32 v199, v200, 0, 0x240
	v_mov_b32_e32 v198, 35
	s_mov_b32 s7, 36
	s_inst_prefetch 0x1
	.p2align	6
.LBB92_736:                             ; =>This Inner Loop Header: Depth=1
	s_waitcnt lgkmcnt(0)
	v_cmp_gt_f64_e32 vcc_lo, 0, v[192:193]
	v_cmp_gt_f64_e64 s0, 0, v[190:191]
	ds_read2_b64 v[205:208], v199 offset1:1
	v_xor_b32_e32 v210, 0x80000000, v191
	v_xor_b32_e32 v212, 0x80000000, v193
	v_mov_b32_e32 v209, v190
	v_mov_b32_e32 v211, v192
	v_add_nc_u32_e32 v199, 16, v199
	s_waitcnt lgkmcnt(0)
	v_xor_b32_e32 v214, 0x80000000, v208
	v_cndmask_b32_e64 v210, v191, v210, s0
	v_cndmask_b32_e32 v212, v193, v212, vcc_lo
	v_cmp_gt_f64_e32 vcc_lo, 0, v[207:208]
	v_cmp_gt_f64_e64 s0, 0, v[205:206]
	v_mov_b32_e32 v213, v207
	v_add_f64 v[209:210], v[209:210], v[211:212]
	v_xor_b32_e32 v212, 0x80000000, v206
	v_mov_b32_e32 v211, v205
	v_cndmask_b32_e32 v214, v208, v214, vcc_lo
	v_cndmask_b32_e64 v212, v206, v212, s0
	v_add_f64 v[211:212], v[211:212], v[213:214]
	v_cmp_lt_f64_e32 vcc_lo, v[209:210], v[211:212]
	v_cndmask_b32_e32 v191, v191, v206, vcc_lo
	v_cndmask_b32_e32 v190, v190, v205, vcc_lo
	;; [unrolled: 1-line block ×4, first 2 shown]
	v_cndmask_b32_e64 v198, v198, s7, vcc_lo
	s_add_i32 s7, s7, 1
	s_cmp_lg_u32 s1, s7
	s_cbranch_scc1 .LBB92_736
.LBB92_737:
	s_inst_prefetch 0x2
	s_waitcnt lgkmcnt(0)
	v_cmp_eq_f64_e32 vcc_lo, 0, v[190:191]
	v_cmp_eq_f64_e64 s0, 0, v[192:193]
	s_and_b32 s0, vcc_lo, s0
	s_and_saveexec_b32 s7, s0
	s_xor_b32 s0, exec_lo, s7
; %bb.738:
	v_cmp_ne_u32_e32 vcc_lo, 0, v203
	v_cndmask_b32_e32 v203, 36, v203, vcc_lo
; %bb.739:
	s_andn2_saveexec_b32 s0, s0
	s_cbranch_execz .LBB92_745
; %bb.740:
	v_cmp_ngt_f64_e64 s7, |v[190:191]|, |v[192:193]|
	s_and_saveexec_b32 s8, s7
	s_xor_b32 s7, exec_lo, s8
	s_cbranch_execz .LBB92_742
; %bb.741:
	v_div_scale_f64 v[205:206], null, v[192:193], v[192:193], v[190:191]
	v_div_scale_f64 v[211:212], vcc_lo, v[190:191], v[192:193], v[190:191]
	v_rcp_f64_e32 v[207:208], v[205:206]
	v_fma_f64 v[209:210], -v[205:206], v[207:208], 1.0
	v_fma_f64 v[207:208], v[207:208], v[209:210], v[207:208]
	v_fma_f64 v[209:210], -v[205:206], v[207:208], 1.0
	v_fma_f64 v[207:208], v[207:208], v[209:210], v[207:208]
	v_mul_f64 v[209:210], v[211:212], v[207:208]
	v_fma_f64 v[205:206], -v[205:206], v[209:210], v[211:212]
	v_div_fmas_f64 v[205:206], v[205:206], v[207:208], v[209:210]
	v_div_fixup_f64 v[205:206], v[205:206], v[192:193], v[190:191]
	v_fma_f64 v[190:191], v[190:191], v[205:206], v[192:193]
	v_div_scale_f64 v[192:193], null, v[190:191], v[190:191], 1.0
	v_rcp_f64_e32 v[207:208], v[192:193]
	v_fma_f64 v[209:210], -v[192:193], v[207:208], 1.0
	v_fma_f64 v[207:208], v[207:208], v[209:210], v[207:208]
	v_fma_f64 v[209:210], -v[192:193], v[207:208], 1.0
	v_fma_f64 v[207:208], v[207:208], v[209:210], v[207:208]
	v_div_scale_f64 v[209:210], vcc_lo, 1.0, v[190:191], 1.0
	v_mul_f64 v[211:212], v[209:210], v[207:208]
	v_fma_f64 v[192:193], -v[192:193], v[211:212], v[209:210]
	v_div_fmas_f64 v[192:193], v[192:193], v[207:208], v[211:212]
	v_div_fixup_f64 v[192:193], v[192:193], v[190:191], 1.0
	v_mul_f64 v[190:191], v[205:206], v[192:193]
	v_xor_b32_e32 v193, 0x80000000, v193
.LBB92_742:
	s_andn2_saveexec_b32 s7, s7
	s_cbranch_execz .LBB92_744
; %bb.743:
	v_div_scale_f64 v[205:206], null, v[190:191], v[190:191], v[192:193]
	v_div_scale_f64 v[211:212], vcc_lo, v[192:193], v[190:191], v[192:193]
	v_rcp_f64_e32 v[207:208], v[205:206]
	v_fma_f64 v[209:210], -v[205:206], v[207:208], 1.0
	v_fma_f64 v[207:208], v[207:208], v[209:210], v[207:208]
	v_fma_f64 v[209:210], -v[205:206], v[207:208], 1.0
	v_fma_f64 v[207:208], v[207:208], v[209:210], v[207:208]
	v_mul_f64 v[209:210], v[211:212], v[207:208]
	v_fma_f64 v[205:206], -v[205:206], v[209:210], v[211:212]
	v_div_fmas_f64 v[205:206], v[205:206], v[207:208], v[209:210]
	v_div_fixup_f64 v[205:206], v[205:206], v[190:191], v[192:193]
	v_fma_f64 v[190:191], v[192:193], v[205:206], v[190:191]
	v_div_scale_f64 v[192:193], null, v[190:191], v[190:191], 1.0
	v_rcp_f64_e32 v[207:208], v[192:193]
	v_fma_f64 v[209:210], -v[192:193], v[207:208], 1.0
	v_fma_f64 v[207:208], v[207:208], v[209:210], v[207:208]
	v_fma_f64 v[209:210], -v[192:193], v[207:208], 1.0
	v_fma_f64 v[207:208], v[207:208], v[209:210], v[207:208]
	v_div_scale_f64 v[209:210], vcc_lo, 1.0, v[190:191], 1.0
	v_mul_f64 v[211:212], v[209:210], v[207:208]
	v_fma_f64 v[192:193], -v[192:193], v[211:212], v[209:210]
	v_div_fmas_f64 v[192:193], v[192:193], v[207:208], v[211:212]
	v_div_fixup_f64 v[190:191], v[192:193], v[190:191], 1.0
	v_mul_f64 v[192:193], v[205:206], -v[190:191]
.LBB92_744:
	s_or_b32 exec_lo, exec_lo, s7
.LBB92_745:
	s_or_b32 exec_lo, exec_lo, s0
	s_mov_b32 s0, exec_lo
	v_cmpx_ne_u32_e64 v204, v198
	s_xor_b32 s0, exec_lo, s0
	s_cbranch_execz .LBB92_751
; %bb.746:
	s_mov_b32 s7, exec_lo
	v_cmpx_eq_u32_e32 35, v204
	s_cbranch_execz .LBB92_750
; %bb.747:
	v_cmp_ne_u32_e32 vcc_lo, 35, v198
	s_xor_b32 s8, s16, -1
	s_and_b32 s9, s8, vcc_lo
	s_and_saveexec_b32 s8, s9
	s_cbranch_execz .LBB92_749
; %bb.748:
	v_ashrrev_i32_e32 v199, 31, v198
	v_lshlrev_b64 v[204:205], 2, v[198:199]
	v_add_co_u32 v204, vcc_lo, v196, v204
	v_add_co_ci_u32_e64 v205, null, v197, v205, vcc_lo
	s_clause 0x1
	global_load_dword v0, v[204:205], off
	global_load_dword v199, v[196:197], off offset:140
	s_waitcnt vmcnt(1)
	global_store_dword v[196:197], v0, off offset:140
	s_waitcnt vmcnt(0)
	global_store_dword v[204:205], v199, off
.LBB92_749:
	s_or_b32 exec_lo, exec_lo, s8
	v_mov_b32_e32 v204, v198
	v_mov_b32_e32 v0, v198
.LBB92_750:
	s_or_b32 exec_lo, exec_lo, s7
.LBB92_751:
	s_andn2_saveexec_b32 s0, s0
	s_cbranch_execz .LBB92_753
; %bb.752:
	v_mov_b32_e32 v204, 35
	ds_write2_b64 v1, v[42:43], v[44:45] offset0:72 offset1:73
	ds_write2_b64 v1, v[38:39], v[40:41] offset0:74 offset1:75
	;; [unrolled: 1-line block ×11, first 2 shown]
.LBB92_753:
	s_or_b32 exec_lo, exec_lo, s0
	s_mov_b32 s0, exec_lo
	s_waitcnt lgkmcnt(0)
	s_waitcnt_vscnt null, 0x0
	s_barrier
	buffer_gl0_inv
	v_cmpx_lt_i32_e32 35, v204
	s_cbranch_execz .LBB92_755
; %bb.754:
	v_mul_f64 v[198:199], v[190:191], v[48:49]
	v_mul_f64 v[48:49], v[192:193], v[48:49]
	v_fma_f64 v[198:199], v[192:193], v[46:47], v[198:199]
	v_fma_f64 v[46:47], v[190:191], v[46:47], -v[48:49]
	ds_read2_b64 v[190:193], v1 offset0:72 offset1:73
	s_waitcnt lgkmcnt(0)
	v_mul_f64 v[48:49], v[192:193], v[198:199]
	v_fma_f64 v[48:49], v[190:191], v[46:47], -v[48:49]
	v_mul_f64 v[190:191], v[190:191], v[198:199]
	v_add_f64 v[42:43], v[42:43], -v[48:49]
	v_fma_f64 v[190:191], v[192:193], v[46:47], v[190:191]
	v_add_f64 v[44:45], v[44:45], -v[190:191]
	ds_read2_b64 v[190:193], v1 offset0:74 offset1:75
	s_waitcnt lgkmcnt(0)
	v_mul_f64 v[48:49], v[192:193], v[198:199]
	v_fma_f64 v[48:49], v[190:191], v[46:47], -v[48:49]
	v_mul_f64 v[190:191], v[190:191], v[198:199]
	v_add_f64 v[38:39], v[38:39], -v[48:49]
	v_fma_f64 v[190:191], v[192:193], v[46:47], v[190:191]
	v_add_f64 v[40:41], v[40:41], -v[190:191]
	;; [unrolled: 8-line block ×10, first 2 shown]
	ds_read2_b64 v[190:193], v1 offset0:92 offset1:93
	s_waitcnt lgkmcnt(0)
	v_mul_f64 v[48:49], v[192:193], v[198:199]
	v_fma_f64 v[48:49], v[190:191], v[46:47], -v[48:49]
	v_mul_f64 v[190:191], v[190:191], v[198:199]
	v_add_f64 v[2:3], v[2:3], -v[48:49]
	v_fma_f64 v[190:191], v[192:193], v[46:47], v[190:191]
	v_mov_b32_e32 v48, v198
	v_mov_b32_e32 v49, v199
	v_add_f64 v[4:5], v[4:5], -v[190:191]
.LBB92_755:
	s_or_b32 exec_lo, exec_lo, s0
	v_lshl_add_u32 v190, v204, 4, v1
	s_barrier
	buffer_gl0_inv
	v_mov_b32_e32 v198, 36
	ds_write2_b64 v190, v[42:43], v[44:45] offset1:1
	s_waitcnt lgkmcnt(0)
	s_barrier
	buffer_gl0_inv
	ds_read2_b64 v[190:193], v1 offset0:72 offset1:73
	s_cmp_lt_i32 s1, 38
	s_cbranch_scc1 .LBB92_758
; %bb.756:
	v_add3_u32 v199, v200, 0, 0x250
	v_mov_b32_e32 v198, 36
	s_mov_b32 s7, 37
	s_inst_prefetch 0x1
	.p2align	6
.LBB92_757:                             ; =>This Inner Loop Header: Depth=1
	s_waitcnt lgkmcnt(0)
	v_cmp_gt_f64_e32 vcc_lo, 0, v[192:193]
	v_cmp_gt_f64_e64 s0, 0, v[190:191]
	ds_read2_b64 v[205:208], v199 offset1:1
	v_xor_b32_e32 v210, 0x80000000, v191
	v_xor_b32_e32 v212, 0x80000000, v193
	v_mov_b32_e32 v209, v190
	v_mov_b32_e32 v211, v192
	v_add_nc_u32_e32 v199, 16, v199
	s_waitcnt lgkmcnt(0)
	v_xor_b32_e32 v214, 0x80000000, v208
	v_cndmask_b32_e64 v210, v191, v210, s0
	v_cndmask_b32_e32 v212, v193, v212, vcc_lo
	v_cmp_gt_f64_e32 vcc_lo, 0, v[207:208]
	v_cmp_gt_f64_e64 s0, 0, v[205:206]
	v_mov_b32_e32 v213, v207
	v_add_f64 v[209:210], v[209:210], v[211:212]
	v_xor_b32_e32 v212, 0x80000000, v206
	v_mov_b32_e32 v211, v205
	v_cndmask_b32_e32 v214, v208, v214, vcc_lo
	v_cndmask_b32_e64 v212, v206, v212, s0
	v_add_f64 v[211:212], v[211:212], v[213:214]
	v_cmp_lt_f64_e32 vcc_lo, v[209:210], v[211:212]
	v_cndmask_b32_e32 v191, v191, v206, vcc_lo
	v_cndmask_b32_e32 v190, v190, v205, vcc_lo
	;; [unrolled: 1-line block ×4, first 2 shown]
	v_cndmask_b32_e64 v198, v198, s7, vcc_lo
	s_add_i32 s7, s7, 1
	s_cmp_lg_u32 s1, s7
	s_cbranch_scc1 .LBB92_757
.LBB92_758:
	s_inst_prefetch 0x2
	s_waitcnt lgkmcnt(0)
	v_cmp_eq_f64_e32 vcc_lo, 0, v[190:191]
	v_cmp_eq_f64_e64 s0, 0, v[192:193]
	s_and_b32 s0, vcc_lo, s0
	s_and_saveexec_b32 s7, s0
	s_xor_b32 s0, exec_lo, s7
; %bb.759:
	v_cmp_ne_u32_e32 vcc_lo, 0, v203
	v_cndmask_b32_e32 v203, 37, v203, vcc_lo
; %bb.760:
	s_andn2_saveexec_b32 s0, s0
	s_cbranch_execz .LBB92_766
; %bb.761:
	v_cmp_ngt_f64_e64 s7, |v[190:191]|, |v[192:193]|
	s_and_saveexec_b32 s8, s7
	s_xor_b32 s7, exec_lo, s8
	s_cbranch_execz .LBB92_763
; %bb.762:
	v_div_scale_f64 v[205:206], null, v[192:193], v[192:193], v[190:191]
	v_div_scale_f64 v[211:212], vcc_lo, v[190:191], v[192:193], v[190:191]
	v_rcp_f64_e32 v[207:208], v[205:206]
	v_fma_f64 v[209:210], -v[205:206], v[207:208], 1.0
	v_fma_f64 v[207:208], v[207:208], v[209:210], v[207:208]
	v_fma_f64 v[209:210], -v[205:206], v[207:208], 1.0
	v_fma_f64 v[207:208], v[207:208], v[209:210], v[207:208]
	v_mul_f64 v[209:210], v[211:212], v[207:208]
	v_fma_f64 v[205:206], -v[205:206], v[209:210], v[211:212]
	v_div_fmas_f64 v[205:206], v[205:206], v[207:208], v[209:210]
	v_div_fixup_f64 v[205:206], v[205:206], v[192:193], v[190:191]
	v_fma_f64 v[190:191], v[190:191], v[205:206], v[192:193]
	v_div_scale_f64 v[192:193], null, v[190:191], v[190:191], 1.0
	v_rcp_f64_e32 v[207:208], v[192:193]
	v_fma_f64 v[209:210], -v[192:193], v[207:208], 1.0
	v_fma_f64 v[207:208], v[207:208], v[209:210], v[207:208]
	v_fma_f64 v[209:210], -v[192:193], v[207:208], 1.0
	v_fma_f64 v[207:208], v[207:208], v[209:210], v[207:208]
	v_div_scale_f64 v[209:210], vcc_lo, 1.0, v[190:191], 1.0
	v_mul_f64 v[211:212], v[209:210], v[207:208]
	v_fma_f64 v[192:193], -v[192:193], v[211:212], v[209:210]
	v_div_fmas_f64 v[192:193], v[192:193], v[207:208], v[211:212]
	v_div_fixup_f64 v[192:193], v[192:193], v[190:191], 1.0
	v_mul_f64 v[190:191], v[205:206], v[192:193]
	v_xor_b32_e32 v193, 0x80000000, v193
.LBB92_763:
	s_andn2_saveexec_b32 s7, s7
	s_cbranch_execz .LBB92_765
; %bb.764:
	v_div_scale_f64 v[205:206], null, v[190:191], v[190:191], v[192:193]
	v_div_scale_f64 v[211:212], vcc_lo, v[192:193], v[190:191], v[192:193]
	v_rcp_f64_e32 v[207:208], v[205:206]
	v_fma_f64 v[209:210], -v[205:206], v[207:208], 1.0
	v_fma_f64 v[207:208], v[207:208], v[209:210], v[207:208]
	v_fma_f64 v[209:210], -v[205:206], v[207:208], 1.0
	v_fma_f64 v[207:208], v[207:208], v[209:210], v[207:208]
	v_mul_f64 v[209:210], v[211:212], v[207:208]
	v_fma_f64 v[205:206], -v[205:206], v[209:210], v[211:212]
	v_div_fmas_f64 v[205:206], v[205:206], v[207:208], v[209:210]
	v_div_fixup_f64 v[205:206], v[205:206], v[190:191], v[192:193]
	v_fma_f64 v[190:191], v[192:193], v[205:206], v[190:191]
	v_div_scale_f64 v[192:193], null, v[190:191], v[190:191], 1.0
	v_rcp_f64_e32 v[207:208], v[192:193]
	v_fma_f64 v[209:210], -v[192:193], v[207:208], 1.0
	v_fma_f64 v[207:208], v[207:208], v[209:210], v[207:208]
	v_fma_f64 v[209:210], -v[192:193], v[207:208], 1.0
	v_fma_f64 v[207:208], v[207:208], v[209:210], v[207:208]
	v_div_scale_f64 v[209:210], vcc_lo, 1.0, v[190:191], 1.0
	v_mul_f64 v[211:212], v[209:210], v[207:208]
	v_fma_f64 v[192:193], -v[192:193], v[211:212], v[209:210]
	v_div_fmas_f64 v[192:193], v[192:193], v[207:208], v[211:212]
	v_div_fixup_f64 v[190:191], v[192:193], v[190:191], 1.0
	v_mul_f64 v[192:193], v[205:206], -v[190:191]
.LBB92_765:
	s_or_b32 exec_lo, exec_lo, s7
.LBB92_766:
	s_or_b32 exec_lo, exec_lo, s0
	s_mov_b32 s0, exec_lo
	v_cmpx_ne_u32_e64 v204, v198
	s_xor_b32 s0, exec_lo, s0
	s_cbranch_execz .LBB92_772
; %bb.767:
	s_mov_b32 s7, exec_lo
	v_cmpx_eq_u32_e32 36, v204
	s_cbranch_execz .LBB92_771
; %bb.768:
	v_cmp_ne_u32_e32 vcc_lo, 36, v198
	s_xor_b32 s8, s16, -1
	s_and_b32 s9, s8, vcc_lo
	s_and_saveexec_b32 s8, s9
	s_cbranch_execz .LBB92_770
; %bb.769:
	v_ashrrev_i32_e32 v199, 31, v198
	v_lshlrev_b64 v[204:205], 2, v[198:199]
	v_add_co_u32 v204, vcc_lo, v196, v204
	v_add_co_ci_u32_e64 v205, null, v197, v205, vcc_lo
	s_clause 0x1
	global_load_dword v0, v[204:205], off
	global_load_dword v199, v[196:197], off offset:144
	s_waitcnt vmcnt(1)
	global_store_dword v[196:197], v0, off offset:144
	s_waitcnt vmcnt(0)
	global_store_dword v[204:205], v199, off
.LBB92_770:
	s_or_b32 exec_lo, exec_lo, s8
	v_mov_b32_e32 v204, v198
	v_mov_b32_e32 v0, v198
.LBB92_771:
	s_or_b32 exec_lo, exec_lo, s7
.LBB92_772:
	s_andn2_saveexec_b32 s0, s0
	s_cbranch_execz .LBB92_774
; %bb.773:
	v_mov_b32_e32 v204, 36
	ds_write2_b64 v1, v[38:39], v[40:41] offset0:74 offset1:75
	ds_write2_b64 v1, v[34:35], v[36:37] offset0:76 offset1:77
	;; [unrolled: 1-line block ×10, first 2 shown]
.LBB92_774:
	s_or_b32 exec_lo, exec_lo, s0
	s_mov_b32 s0, exec_lo
	s_waitcnt lgkmcnt(0)
	s_waitcnt_vscnt null, 0x0
	s_barrier
	buffer_gl0_inv
	v_cmpx_lt_i32_e32 36, v204
	s_cbranch_execz .LBB92_776
; %bb.775:
	v_mul_f64 v[198:199], v[190:191], v[44:45]
	v_mul_f64 v[44:45], v[192:193], v[44:45]
	v_fma_f64 v[198:199], v[192:193], v[42:43], v[198:199]
	v_fma_f64 v[42:43], v[190:191], v[42:43], -v[44:45]
	ds_read2_b64 v[190:193], v1 offset0:74 offset1:75
	s_waitcnt lgkmcnt(0)
	v_mul_f64 v[44:45], v[192:193], v[198:199]
	v_fma_f64 v[44:45], v[190:191], v[42:43], -v[44:45]
	v_mul_f64 v[190:191], v[190:191], v[198:199]
	v_add_f64 v[38:39], v[38:39], -v[44:45]
	v_fma_f64 v[190:191], v[192:193], v[42:43], v[190:191]
	v_add_f64 v[40:41], v[40:41], -v[190:191]
	ds_read2_b64 v[190:193], v1 offset0:76 offset1:77
	s_waitcnt lgkmcnt(0)
	v_mul_f64 v[44:45], v[192:193], v[198:199]
	v_fma_f64 v[44:45], v[190:191], v[42:43], -v[44:45]
	v_mul_f64 v[190:191], v[190:191], v[198:199]
	v_add_f64 v[34:35], v[34:35], -v[44:45]
	v_fma_f64 v[190:191], v[192:193], v[42:43], v[190:191]
	v_add_f64 v[36:37], v[36:37], -v[190:191]
	;; [unrolled: 8-line block ×9, first 2 shown]
	ds_read2_b64 v[190:193], v1 offset0:92 offset1:93
	s_waitcnt lgkmcnt(0)
	v_mul_f64 v[44:45], v[192:193], v[198:199]
	v_fma_f64 v[44:45], v[190:191], v[42:43], -v[44:45]
	v_mul_f64 v[190:191], v[190:191], v[198:199]
	v_add_f64 v[2:3], v[2:3], -v[44:45]
	v_fma_f64 v[190:191], v[192:193], v[42:43], v[190:191]
	v_mov_b32_e32 v44, v198
	v_mov_b32_e32 v45, v199
	v_add_f64 v[4:5], v[4:5], -v[190:191]
.LBB92_776:
	s_or_b32 exec_lo, exec_lo, s0
	v_lshl_add_u32 v190, v204, 4, v1
	s_barrier
	buffer_gl0_inv
	v_mov_b32_e32 v198, 37
	ds_write2_b64 v190, v[38:39], v[40:41] offset1:1
	s_waitcnt lgkmcnt(0)
	s_barrier
	buffer_gl0_inv
	ds_read2_b64 v[190:193], v1 offset0:74 offset1:75
	s_cmp_lt_i32 s1, 39
	s_cbranch_scc1 .LBB92_779
; %bb.777:
	v_add3_u32 v199, v200, 0, 0x260
	v_mov_b32_e32 v198, 37
	s_mov_b32 s7, 38
	s_inst_prefetch 0x1
	.p2align	6
.LBB92_778:                             ; =>This Inner Loop Header: Depth=1
	s_waitcnt lgkmcnt(0)
	v_cmp_gt_f64_e32 vcc_lo, 0, v[192:193]
	v_cmp_gt_f64_e64 s0, 0, v[190:191]
	ds_read2_b64 v[205:208], v199 offset1:1
	v_xor_b32_e32 v210, 0x80000000, v191
	v_xor_b32_e32 v212, 0x80000000, v193
	v_mov_b32_e32 v209, v190
	v_mov_b32_e32 v211, v192
	v_add_nc_u32_e32 v199, 16, v199
	s_waitcnt lgkmcnt(0)
	v_xor_b32_e32 v214, 0x80000000, v208
	v_cndmask_b32_e64 v210, v191, v210, s0
	v_cndmask_b32_e32 v212, v193, v212, vcc_lo
	v_cmp_gt_f64_e32 vcc_lo, 0, v[207:208]
	v_cmp_gt_f64_e64 s0, 0, v[205:206]
	v_mov_b32_e32 v213, v207
	v_add_f64 v[209:210], v[209:210], v[211:212]
	v_xor_b32_e32 v212, 0x80000000, v206
	v_mov_b32_e32 v211, v205
	v_cndmask_b32_e32 v214, v208, v214, vcc_lo
	v_cndmask_b32_e64 v212, v206, v212, s0
	v_add_f64 v[211:212], v[211:212], v[213:214]
	v_cmp_lt_f64_e32 vcc_lo, v[209:210], v[211:212]
	v_cndmask_b32_e32 v191, v191, v206, vcc_lo
	v_cndmask_b32_e32 v190, v190, v205, vcc_lo
	;; [unrolled: 1-line block ×4, first 2 shown]
	v_cndmask_b32_e64 v198, v198, s7, vcc_lo
	s_add_i32 s7, s7, 1
	s_cmp_lg_u32 s1, s7
	s_cbranch_scc1 .LBB92_778
.LBB92_779:
	s_inst_prefetch 0x2
	s_waitcnt lgkmcnt(0)
	v_cmp_eq_f64_e32 vcc_lo, 0, v[190:191]
	v_cmp_eq_f64_e64 s0, 0, v[192:193]
	s_and_b32 s0, vcc_lo, s0
	s_and_saveexec_b32 s7, s0
	s_xor_b32 s0, exec_lo, s7
; %bb.780:
	v_cmp_ne_u32_e32 vcc_lo, 0, v203
	v_cndmask_b32_e32 v203, 38, v203, vcc_lo
; %bb.781:
	s_andn2_saveexec_b32 s0, s0
	s_cbranch_execz .LBB92_787
; %bb.782:
	v_cmp_ngt_f64_e64 s7, |v[190:191]|, |v[192:193]|
	s_and_saveexec_b32 s8, s7
	s_xor_b32 s7, exec_lo, s8
	s_cbranch_execz .LBB92_784
; %bb.783:
	v_div_scale_f64 v[205:206], null, v[192:193], v[192:193], v[190:191]
	v_div_scale_f64 v[211:212], vcc_lo, v[190:191], v[192:193], v[190:191]
	v_rcp_f64_e32 v[207:208], v[205:206]
	v_fma_f64 v[209:210], -v[205:206], v[207:208], 1.0
	v_fma_f64 v[207:208], v[207:208], v[209:210], v[207:208]
	v_fma_f64 v[209:210], -v[205:206], v[207:208], 1.0
	v_fma_f64 v[207:208], v[207:208], v[209:210], v[207:208]
	v_mul_f64 v[209:210], v[211:212], v[207:208]
	v_fma_f64 v[205:206], -v[205:206], v[209:210], v[211:212]
	v_div_fmas_f64 v[205:206], v[205:206], v[207:208], v[209:210]
	v_div_fixup_f64 v[205:206], v[205:206], v[192:193], v[190:191]
	v_fma_f64 v[190:191], v[190:191], v[205:206], v[192:193]
	v_div_scale_f64 v[192:193], null, v[190:191], v[190:191], 1.0
	v_rcp_f64_e32 v[207:208], v[192:193]
	v_fma_f64 v[209:210], -v[192:193], v[207:208], 1.0
	v_fma_f64 v[207:208], v[207:208], v[209:210], v[207:208]
	v_fma_f64 v[209:210], -v[192:193], v[207:208], 1.0
	v_fma_f64 v[207:208], v[207:208], v[209:210], v[207:208]
	v_div_scale_f64 v[209:210], vcc_lo, 1.0, v[190:191], 1.0
	v_mul_f64 v[211:212], v[209:210], v[207:208]
	v_fma_f64 v[192:193], -v[192:193], v[211:212], v[209:210]
	v_div_fmas_f64 v[192:193], v[192:193], v[207:208], v[211:212]
	v_div_fixup_f64 v[192:193], v[192:193], v[190:191], 1.0
	v_mul_f64 v[190:191], v[205:206], v[192:193]
	v_xor_b32_e32 v193, 0x80000000, v193
.LBB92_784:
	s_andn2_saveexec_b32 s7, s7
	s_cbranch_execz .LBB92_786
; %bb.785:
	v_div_scale_f64 v[205:206], null, v[190:191], v[190:191], v[192:193]
	v_div_scale_f64 v[211:212], vcc_lo, v[192:193], v[190:191], v[192:193]
	v_rcp_f64_e32 v[207:208], v[205:206]
	v_fma_f64 v[209:210], -v[205:206], v[207:208], 1.0
	v_fma_f64 v[207:208], v[207:208], v[209:210], v[207:208]
	v_fma_f64 v[209:210], -v[205:206], v[207:208], 1.0
	v_fma_f64 v[207:208], v[207:208], v[209:210], v[207:208]
	v_mul_f64 v[209:210], v[211:212], v[207:208]
	v_fma_f64 v[205:206], -v[205:206], v[209:210], v[211:212]
	v_div_fmas_f64 v[205:206], v[205:206], v[207:208], v[209:210]
	v_div_fixup_f64 v[205:206], v[205:206], v[190:191], v[192:193]
	v_fma_f64 v[190:191], v[192:193], v[205:206], v[190:191]
	v_div_scale_f64 v[192:193], null, v[190:191], v[190:191], 1.0
	v_rcp_f64_e32 v[207:208], v[192:193]
	v_fma_f64 v[209:210], -v[192:193], v[207:208], 1.0
	v_fma_f64 v[207:208], v[207:208], v[209:210], v[207:208]
	v_fma_f64 v[209:210], -v[192:193], v[207:208], 1.0
	v_fma_f64 v[207:208], v[207:208], v[209:210], v[207:208]
	v_div_scale_f64 v[209:210], vcc_lo, 1.0, v[190:191], 1.0
	v_mul_f64 v[211:212], v[209:210], v[207:208]
	v_fma_f64 v[192:193], -v[192:193], v[211:212], v[209:210]
	v_div_fmas_f64 v[192:193], v[192:193], v[207:208], v[211:212]
	v_div_fixup_f64 v[190:191], v[192:193], v[190:191], 1.0
	v_mul_f64 v[192:193], v[205:206], -v[190:191]
.LBB92_786:
	s_or_b32 exec_lo, exec_lo, s7
.LBB92_787:
	s_or_b32 exec_lo, exec_lo, s0
	s_mov_b32 s0, exec_lo
	v_cmpx_ne_u32_e64 v204, v198
	s_xor_b32 s0, exec_lo, s0
	s_cbranch_execz .LBB92_793
; %bb.788:
	s_mov_b32 s7, exec_lo
	v_cmpx_eq_u32_e32 37, v204
	s_cbranch_execz .LBB92_792
; %bb.789:
	v_cmp_ne_u32_e32 vcc_lo, 37, v198
	s_xor_b32 s8, s16, -1
	s_and_b32 s9, s8, vcc_lo
	s_and_saveexec_b32 s8, s9
	s_cbranch_execz .LBB92_791
; %bb.790:
	v_ashrrev_i32_e32 v199, 31, v198
	v_lshlrev_b64 v[204:205], 2, v[198:199]
	v_add_co_u32 v204, vcc_lo, v196, v204
	v_add_co_ci_u32_e64 v205, null, v197, v205, vcc_lo
	s_clause 0x1
	global_load_dword v0, v[204:205], off
	global_load_dword v199, v[196:197], off offset:148
	s_waitcnt vmcnt(1)
	global_store_dword v[196:197], v0, off offset:148
	s_waitcnt vmcnt(0)
	global_store_dword v[204:205], v199, off
.LBB92_791:
	s_or_b32 exec_lo, exec_lo, s8
	v_mov_b32_e32 v204, v198
	v_mov_b32_e32 v0, v198
.LBB92_792:
	s_or_b32 exec_lo, exec_lo, s7
.LBB92_793:
	s_andn2_saveexec_b32 s0, s0
	s_cbranch_execz .LBB92_795
; %bb.794:
	v_mov_b32_e32 v204, 37
	ds_write2_b64 v1, v[34:35], v[36:37] offset0:76 offset1:77
	ds_write2_b64 v1, v[30:31], v[32:33] offset0:78 offset1:79
	;; [unrolled: 1-line block ×9, first 2 shown]
.LBB92_795:
	s_or_b32 exec_lo, exec_lo, s0
	s_mov_b32 s0, exec_lo
	s_waitcnt lgkmcnt(0)
	s_waitcnt_vscnt null, 0x0
	s_barrier
	buffer_gl0_inv
	v_cmpx_lt_i32_e32 37, v204
	s_cbranch_execz .LBB92_797
; %bb.796:
	v_mul_f64 v[198:199], v[190:191], v[40:41]
	v_mul_f64 v[40:41], v[192:193], v[40:41]
	v_fma_f64 v[198:199], v[192:193], v[38:39], v[198:199]
	v_fma_f64 v[38:39], v[190:191], v[38:39], -v[40:41]
	ds_read2_b64 v[190:193], v1 offset0:76 offset1:77
	s_waitcnt lgkmcnt(0)
	v_mul_f64 v[40:41], v[192:193], v[198:199]
	v_fma_f64 v[40:41], v[190:191], v[38:39], -v[40:41]
	v_mul_f64 v[190:191], v[190:191], v[198:199]
	v_add_f64 v[34:35], v[34:35], -v[40:41]
	v_fma_f64 v[190:191], v[192:193], v[38:39], v[190:191]
	v_add_f64 v[36:37], v[36:37], -v[190:191]
	ds_read2_b64 v[190:193], v1 offset0:78 offset1:79
	s_waitcnt lgkmcnt(0)
	v_mul_f64 v[40:41], v[192:193], v[198:199]
	v_fma_f64 v[40:41], v[190:191], v[38:39], -v[40:41]
	v_mul_f64 v[190:191], v[190:191], v[198:199]
	v_add_f64 v[30:31], v[30:31], -v[40:41]
	v_fma_f64 v[190:191], v[192:193], v[38:39], v[190:191]
	v_add_f64 v[32:33], v[32:33], -v[190:191]
	;; [unrolled: 8-line block ×8, first 2 shown]
	ds_read2_b64 v[190:193], v1 offset0:92 offset1:93
	s_waitcnt lgkmcnt(0)
	v_mul_f64 v[40:41], v[192:193], v[198:199]
	v_fma_f64 v[40:41], v[190:191], v[38:39], -v[40:41]
	v_mul_f64 v[190:191], v[190:191], v[198:199]
	v_add_f64 v[2:3], v[2:3], -v[40:41]
	v_fma_f64 v[190:191], v[192:193], v[38:39], v[190:191]
	v_mov_b32_e32 v40, v198
	v_mov_b32_e32 v41, v199
	v_add_f64 v[4:5], v[4:5], -v[190:191]
.LBB92_797:
	s_or_b32 exec_lo, exec_lo, s0
	v_lshl_add_u32 v190, v204, 4, v1
	s_barrier
	buffer_gl0_inv
	v_mov_b32_e32 v198, 38
	ds_write2_b64 v190, v[34:35], v[36:37] offset1:1
	s_waitcnt lgkmcnt(0)
	s_barrier
	buffer_gl0_inv
	ds_read2_b64 v[190:193], v1 offset0:76 offset1:77
	s_cmp_lt_i32 s1, 40
	s_cbranch_scc1 .LBB92_800
; %bb.798:
	v_add3_u32 v199, v200, 0, 0x270
	v_mov_b32_e32 v198, 38
	s_mov_b32 s7, 39
	s_inst_prefetch 0x1
	.p2align	6
.LBB92_799:                             ; =>This Inner Loop Header: Depth=1
	s_waitcnt lgkmcnt(0)
	v_cmp_gt_f64_e32 vcc_lo, 0, v[192:193]
	v_cmp_gt_f64_e64 s0, 0, v[190:191]
	ds_read2_b64 v[205:208], v199 offset1:1
	v_xor_b32_e32 v210, 0x80000000, v191
	v_xor_b32_e32 v212, 0x80000000, v193
	v_mov_b32_e32 v209, v190
	v_mov_b32_e32 v211, v192
	v_add_nc_u32_e32 v199, 16, v199
	s_waitcnt lgkmcnt(0)
	v_xor_b32_e32 v214, 0x80000000, v208
	v_cndmask_b32_e64 v210, v191, v210, s0
	v_cndmask_b32_e32 v212, v193, v212, vcc_lo
	v_cmp_gt_f64_e32 vcc_lo, 0, v[207:208]
	v_cmp_gt_f64_e64 s0, 0, v[205:206]
	v_mov_b32_e32 v213, v207
	v_add_f64 v[209:210], v[209:210], v[211:212]
	v_xor_b32_e32 v212, 0x80000000, v206
	v_mov_b32_e32 v211, v205
	v_cndmask_b32_e32 v214, v208, v214, vcc_lo
	v_cndmask_b32_e64 v212, v206, v212, s0
	v_add_f64 v[211:212], v[211:212], v[213:214]
	v_cmp_lt_f64_e32 vcc_lo, v[209:210], v[211:212]
	v_cndmask_b32_e32 v191, v191, v206, vcc_lo
	v_cndmask_b32_e32 v190, v190, v205, vcc_lo
	;; [unrolled: 1-line block ×4, first 2 shown]
	v_cndmask_b32_e64 v198, v198, s7, vcc_lo
	s_add_i32 s7, s7, 1
	s_cmp_lg_u32 s1, s7
	s_cbranch_scc1 .LBB92_799
.LBB92_800:
	s_inst_prefetch 0x2
	s_waitcnt lgkmcnt(0)
	v_cmp_eq_f64_e32 vcc_lo, 0, v[190:191]
	v_cmp_eq_f64_e64 s0, 0, v[192:193]
	s_and_b32 s0, vcc_lo, s0
	s_and_saveexec_b32 s7, s0
	s_xor_b32 s0, exec_lo, s7
; %bb.801:
	v_cmp_ne_u32_e32 vcc_lo, 0, v203
	v_cndmask_b32_e32 v203, 39, v203, vcc_lo
; %bb.802:
	s_andn2_saveexec_b32 s0, s0
	s_cbranch_execz .LBB92_808
; %bb.803:
	v_cmp_ngt_f64_e64 s7, |v[190:191]|, |v[192:193]|
	s_and_saveexec_b32 s8, s7
	s_xor_b32 s7, exec_lo, s8
	s_cbranch_execz .LBB92_805
; %bb.804:
	v_div_scale_f64 v[205:206], null, v[192:193], v[192:193], v[190:191]
	v_div_scale_f64 v[211:212], vcc_lo, v[190:191], v[192:193], v[190:191]
	v_rcp_f64_e32 v[207:208], v[205:206]
	v_fma_f64 v[209:210], -v[205:206], v[207:208], 1.0
	v_fma_f64 v[207:208], v[207:208], v[209:210], v[207:208]
	v_fma_f64 v[209:210], -v[205:206], v[207:208], 1.0
	v_fma_f64 v[207:208], v[207:208], v[209:210], v[207:208]
	v_mul_f64 v[209:210], v[211:212], v[207:208]
	v_fma_f64 v[205:206], -v[205:206], v[209:210], v[211:212]
	v_div_fmas_f64 v[205:206], v[205:206], v[207:208], v[209:210]
	v_div_fixup_f64 v[205:206], v[205:206], v[192:193], v[190:191]
	v_fma_f64 v[190:191], v[190:191], v[205:206], v[192:193]
	v_div_scale_f64 v[192:193], null, v[190:191], v[190:191], 1.0
	v_rcp_f64_e32 v[207:208], v[192:193]
	v_fma_f64 v[209:210], -v[192:193], v[207:208], 1.0
	v_fma_f64 v[207:208], v[207:208], v[209:210], v[207:208]
	v_fma_f64 v[209:210], -v[192:193], v[207:208], 1.0
	v_fma_f64 v[207:208], v[207:208], v[209:210], v[207:208]
	v_div_scale_f64 v[209:210], vcc_lo, 1.0, v[190:191], 1.0
	v_mul_f64 v[211:212], v[209:210], v[207:208]
	v_fma_f64 v[192:193], -v[192:193], v[211:212], v[209:210]
	v_div_fmas_f64 v[192:193], v[192:193], v[207:208], v[211:212]
	v_div_fixup_f64 v[192:193], v[192:193], v[190:191], 1.0
	v_mul_f64 v[190:191], v[205:206], v[192:193]
	v_xor_b32_e32 v193, 0x80000000, v193
.LBB92_805:
	s_andn2_saveexec_b32 s7, s7
	s_cbranch_execz .LBB92_807
; %bb.806:
	v_div_scale_f64 v[205:206], null, v[190:191], v[190:191], v[192:193]
	v_div_scale_f64 v[211:212], vcc_lo, v[192:193], v[190:191], v[192:193]
	v_rcp_f64_e32 v[207:208], v[205:206]
	v_fma_f64 v[209:210], -v[205:206], v[207:208], 1.0
	v_fma_f64 v[207:208], v[207:208], v[209:210], v[207:208]
	v_fma_f64 v[209:210], -v[205:206], v[207:208], 1.0
	v_fma_f64 v[207:208], v[207:208], v[209:210], v[207:208]
	v_mul_f64 v[209:210], v[211:212], v[207:208]
	v_fma_f64 v[205:206], -v[205:206], v[209:210], v[211:212]
	v_div_fmas_f64 v[205:206], v[205:206], v[207:208], v[209:210]
	v_div_fixup_f64 v[205:206], v[205:206], v[190:191], v[192:193]
	v_fma_f64 v[190:191], v[192:193], v[205:206], v[190:191]
	v_div_scale_f64 v[192:193], null, v[190:191], v[190:191], 1.0
	v_rcp_f64_e32 v[207:208], v[192:193]
	v_fma_f64 v[209:210], -v[192:193], v[207:208], 1.0
	v_fma_f64 v[207:208], v[207:208], v[209:210], v[207:208]
	v_fma_f64 v[209:210], -v[192:193], v[207:208], 1.0
	v_fma_f64 v[207:208], v[207:208], v[209:210], v[207:208]
	v_div_scale_f64 v[209:210], vcc_lo, 1.0, v[190:191], 1.0
	v_mul_f64 v[211:212], v[209:210], v[207:208]
	v_fma_f64 v[192:193], -v[192:193], v[211:212], v[209:210]
	v_div_fmas_f64 v[192:193], v[192:193], v[207:208], v[211:212]
	v_div_fixup_f64 v[190:191], v[192:193], v[190:191], 1.0
	v_mul_f64 v[192:193], v[205:206], -v[190:191]
.LBB92_807:
	s_or_b32 exec_lo, exec_lo, s7
.LBB92_808:
	s_or_b32 exec_lo, exec_lo, s0
	s_mov_b32 s0, exec_lo
	v_cmpx_ne_u32_e64 v204, v198
	s_xor_b32 s0, exec_lo, s0
	s_cbranch_execz .LBB92_814
; %bb.809:
	s_mov_b32 s7, exec_lo
	v_cmpx_eq_u32_e32 38, v204
	s_cbranch_execz .LBB92_813
; %bb.810:
	v_cmp_ne_u32_e32 vcc_lo, 38, v198
	s_xor_b32 s8, s16, -1
	s_and_b32 s9, s8, vcc_lo
	s_and_saveexec_b32 s8, s9
	s_cbranch_execz .LBB92_812
; %bb.811:
	v_ashrrev_i32_e32 v199, 31, v198
	v_lshlrev_b64 v[204:205], 2, v[198:199]
	v_add_co_u32 v204, vcc_lo, v196, v204
	v_add_co_ci_u32_e64 v205, null, v197, v205, vcc_lo
	s_clause 0x1
	global_load_dword v0, v[204:205], off
	global_load_dword v199, v[196:197], off offset:152
	s_waitcnt vmcnt(1)
	global_store_dword v[196:197], v0, off offset:152
	s_waitcnt vmcnt(0)
	global_store_dword v[204:205], v199, off
.LBB92_812:
	s_or_b32 exec_lo, exec_lo, s8
	v_mov_b32_e32 v204, v198
	v_mov_b32_e32 v0, v198
.LBB92_813:
	s_or_b32 exec_lo, exec_lo, s7
.LBB92_814:
	s_andn2_saveexec_b32 s0, s0
	s_cbranch_execz .LBB92_816
; %bb.815:
	v_mov_b32_e32 v204, 38
	ds_write2_b64 v1, v[30:31], v[32:33] offset0:78 offset1:79
	ds_write2_b64 v1, v[26:27], v[28:29] offset0:80 offset1:81
	;; [unrolled: 1-line block ×8, first 2 shown]
.LBB92_816:
	s_or_b32 exec_lo, exec_lo, s0
	s_mov_b32 s0, exec_lo
	s_waitcnt lgkmcnt(0)
	s_waitcnt_vscnt null, 0x0
	s_barrier
	buffer_gl0_inv
	v_cmpx_lt_i32_e32 38, v204
	s_cbranch_execz .LBB92_818
; %bb.817:
	v_mul_f64 v[198:199], v[190:191], v[36:37]
	v_mul_f64 v[36:37], v[192:193], v[36:37]
	v_fma_f64 v[198:199], v[192:193], v[34:35], v[198:199]
	v_fma_f64 v[34:35], v[190:191], v[34:35], -v[36:37]
	ds_read2_b64 v[190:193], v1 offset0:78 offset1:79
	s_waitcnt lgkmcnt(0)
	v_mul_f64 v[36:37], v[192:193], v[198:199]
	v_fma_f64 v[36:37], v[190:191], v[34:35], -v[36:37]
	v_mul_f64 v[190:191], v[190:191], v[198:199]
	v_add_f64 v[30:31], v[30:31], -v[36:37]
	v_fma_f64 v[190:191], v[192:193], v[34:35], v[190:191]
	v_add_f64 v[32:33], v[32:33], -v[190:191]
	ds_read2_b64 v[190:193], v1 offset0:80 offset1:81
	s_waitcnt lgkmcnt(0)
	v_mul_f64 v[36:37], v[192:193], v[198:199]
	v_fma_f64 v[36:37], v[190:191], v[34:35], -v[36:37]
	v_mul_f64 v[190:191], v[190:191], v[198:199]
	v_add_f64 v[26:27], v[26:27], -v[36:37]
	v_fma_f64 v[190:191], v[192:193], v[34:35], v[190:191]
	v_add_f64 v[28:29], v[28:29], -v[190:191]
	;; [unrolled: 8-line block ×7, first 2 shown]
	ds_read2_b64 v[190:193], v1 offset0:92 offset1:93
	s_waitcnt lgkmcnt(0)
	v_mul_f64 v[36:37], v[192:193], v[198:199]
	v_fma_f64 v[36:37], v[190:191], v[34:35], -v[36:37]
	v_mul_f64 v[190:191], v[190:191], v[198:199]
	v_add_f64 v[2:3], v[2:3], -v[36:37]
	v_fma_f64 v[190:191], v[192:193], v[34:35], v[190:191]
	v_mov_b32_e32 v36, v198
	v_mov_b32_e32 v37, v199
	v_add_f64 v[4:5], v[4:5], -v[190:191]
.LBB92_818:
	s_or_b32 exec_lo, exec_lo, s0
	v_lshl_add_u32 v190, v204, 4, v1
	s_barrier
	buffer_gl0_inv
	v_mov_b32_e32 v198, 39
	ds_write2_b64 v190, v[30:31], v[32:33] offset1:1
	s_waitcnt lgkmcnt(0)
	s_barrier
	buffer_gl0_inv
	ds_read2_b64 v[190:193], v1 offset0:78 offset1:79
	s_cmp_lt_i32 s1, 41
	s_cbranch_scc1 .LBB92_821
; %bb.819:
	v_add3_u32 v199, v200, 0, 0x280
	v_mov_b32_e32 v198, 39
	s_mov_b32 s7, 40
	s_inst_prefetch 0x1
	.p2align	6
.LBB92_820:                             ; =>This Inner Loop Header: Depth=1
	s_waitcnt lgkmcnt(0)
	v_cmp_gt_f64_e32 vcc_lo, 0, v[192:193]
	v_cmp_gt_f64_e64 s0, 0, v[190:191]
	ds_read2_b64 v[205:208], v199 offset1:1
	v_xor_b32_e32 v210, 0x80000000, v191
	v_xor_b32_e32 v212, 0x80000000, v193
	v_mov_b32_e32 v209, v190
	v_mov_b32_e32 v211, v192
	v_add_nc_u32_e32 v199, 16, v199
	s_waitcnt lgkmcnt(0)
	v_xor_b32_e32 v214, 0x80000000, v208
	v_cndmask_b32_e64 v210, v191, v210, s0
	v_cndmask_b32_e32 v212, v193, v212, vcc_lo
	v_cmp_gt_f64_e32 vcc_lo, 0, v[207:208]
	v_cmp_gt_f64_e64 s0, 0, v[205:206]
	v_mov_b32_e32 v213, v207
	v_add_f64 v[209:210], v[209:210], v[211:212]
	v_xor_b32_e32 v212, 0x80000000, v206
	v_mov_b32_e32 v211, v205
	v_cndmask_b32_e32 v214, v208, v214, vcc_lo
	v_cndmask_b32_e64 v212, v206, v212, s0
	v_add_f64 v[211:212], v[211:212], v[213:214]
	v_cmp_lt_f64_e32 vcc_lo, v[209:210], v[211:212]
	v_cndmask_b32_e32 v191, v191, v206, vcc_lo
	v_cndmask_b32_e32 v190, v190, v205, vcc_lo
	;; [unrolled: 1-line block ×4, first 2 shown]
	v_cndmask_b32_e64 v198, v198, s7, vcc_lo
	s_add_i32 s7, s7, 1
	s_cmp_lg_u32 s1, s7
	s_cbranch_scc1 .LBB92_820
.LBB92_821:
	s_inst_prefetch 0x2
	s_waitcnt lgkmcnt(0)
	v_cmp_eq_f64_e32 vcc_lo, 0, v[190:191]
	v_cmp_eq_f64_e64 s0, 0, v[192:193]
	s_and_b32 s0, vcc_lo, s0
	s_and_saveexec_b32 s7, s0
	s_xor_b32 s0, exec_lo, s7
; %bb.822:
	v_cmp_ne_u32_e32 vcc_lo, 0, v203
	v_cndmask_b32_e32 v203, 40, v203, vcc_lo
; %bb.823:
	s_andn2_saveexec_b32 s0, s0
	s_cbranch_execz .LBB92_829
; %bb.824:
	v_cmp_ngt_f64_e64 s7, |v[190:191]|, |v[192:193]|
	s_and_saveexec_b32 s8, s7
	s_xor_b32 s7, exec_lo, s8
	s_cbranch_execz .LBB92_826
; %bb.825:
	v_div_scale_f64 v[205:206], null, v[192:193], v[192:193], v[190:191]
	v_div_scale_f64 v[211:212], vcc_lo, v[190:191], v[192:193], v[190:191]
	v_rcp_f64_e32 v[207:208], v[205:206]
	v_fma_f64 v[209:210], -v[205:206], v[207:208], 1.0
	v_fma_f64 v[207:208], v[207:208], v[209:210], v[207:208]
	v_fma_f64 v[209:210], -v[205:206], v[207:208], 1.0
	v_fma_f64 v[207:208], v[207:208], v[209:210], v[207:208]
	v_mul_f64 v[209:210], v[211:212], v[207:208]
	v_fma_f64 v[205:206], -v[205:206], v[209:210], v[211:212]
	v_div_fmas_f64 v[205:206], v[205:206], v[207:208], v[209:210]
	v_div_fixup_f64 v[205:206], v[205:206], v[192:193], v[190:191]
	v_fma_f64 v[190:191], v[190:191], v[205:206], v[192:193]
	v_div_scale_f64 v[192:193], null, v[190:191], v[190:191], 1.0
	v_rcp_f64_e32 v[207:208], v[192:193]
	v_fma_f64 v[209:210], -v[192:193], v[207:208], 1.0
	v_fma_f64 v[207:208], v[207:208], v[209:210], v[207:208]
	v_fma_f64 v[209:210], -v[192:193], v[207:208], 1.0
	v_fma_f64 v[207:208], v[207:208], v[209:210], v[207:208]
	v_div_scale_f64 v[209:210], vcc_lo, 1.0, v[190:191], 1.0
	v_mul_f64 v[211:212], v[209:210], v[207:208]
	v_fma_f64 v[192:193], -v[192:193], v[211:212], v[209:210]
	v_div_fmas_f64 v[192:193], v[192:193], v[207:208], v[211:212]
	v_div_fixup_f64 v[192:193], v[192:193], v[190:191], 1.0
	v_mul_f64 v[190:191], v[205:206], v[192:193]
	v_xor_b32_e32 v193, 0x80000000, v193
.LBB92_826:
	s_andn2_saveexec_b32 s7, s7
	s_cbranch_execz .LBB92_828
; %bb.827:
	v_div_scale_f64 v[205:206], null, v[190:191], v[190:191], v[192:193]
	v_div_scale_f64 v[211:212], vcc_lo, v[192:193], v[190:191], v[192:193]
	v_rcp_f64_e32 v[207:208], v[205:206]
	v_fma_f64 v[209:210], -v[205:206], v[207:208], 1.0
	v_fma_f64 v[207:208], v[207:208], v[209:210], v[207:208]
	v_fma_f64 v[209:210], -v[205:206], v[207:208], 1.0
	v_fma_f64 v[207:208], v[207:208], v[209:210], v[207:208]
	v_mul_f64 v[209:210], v[211:212], v[207:208]
	v_fma_f64 v[205:206], -v[205:206], v[209:210], v[211:212]
	v_div_fmas_f64 v[205:206], v[205:206], v[207:208], v[209:210]
	v_div_fixup_f64 v[205:206], v[205:206], v[190:191], v[192:193]
	v_fma_f64 v[190:191], v[192:193], v[205:206], v[190:191]
	v_div_scale_f64 v[192:193], null, v[190:191], v[190:191], 1.0
	v_rcp_f64_e32 v[207:208], v[192:193]
	v_fma_f64 v[209:210], -v[192:193], v[207:208], 1.0
	v_fma_f64 v[207:208], v[207:208], v[209:210], v[207:208]
	v_fma_f64 v[209:210], -v[192:193], v[207:208], 1.0
	v_fma_f64 v[207:208], v[207:208], v[209:210], v[207:208]
	v_div_scale_f64 v[209:210], vcc_lo, 1.0, v[190:191], 1.0
	v_mul_f64 v[211:212], v[209:210], v[207:208]
	v_fma_f64 v[192:193], -v[192:193], v[211:212], v[209:210]
	v_div_fmas_f64 v[192:193], v[192:193], v[207:208], v[211:212]
	v_div_fixup_f64 v[190:191], v[192:193], v[190:191], 1.0
	v_mul_f64 v[192:193], v[205:206], -v[190:191]
.LBB92_828:
	s_or_b32 exec_lo, exec_lo, s7
.LBB92_829:
	s_or_b32 exec_lo, exec_lo, s0
	s_mov_b32 s0, exec_lo
	v_cmpx_ne_u32_e64 v204, v198
	s_xor_b32 s0, exec_lo, s0
	s_cbranch_execz .LBB92_835
; %bb.830:
	s_mov_b32 s7, exec_lo
	v_cmpx_eq_u32_e32 39, v204
	s_cbranch_execz .LBB92_834
; %bb.831:
	v_cmp_ne_u32_e32 vcc_lo, 39, v198
	s_xor_b32 s8, s16, -1
	s_and_b32 s9, s8, vcc_lo
	s_and_saveexec_b32 s8, s9
	s_cbranch_execz .LBB92_833
; %bb.832:
	v_ashrrev_i32_e32 v199, 31, v198
	v_lshlrev_b64 v[204:205], 2, v[198:199]
	v_add_co_u32 v204, vcc_lo, v196, v204
	v_add_co_ci_u32_e64 v205, null, v197, v205, vcc_lo
	s_clause 0x1
	global_load_dword v0, v[204:205], off
	global_load_dword v199, v[196:197], off offset:156
	s_waitcnt vmcnt(1)
	global_store_dword v[196:197], v0, off offset:156
	s_waitcnt vmcnt(0)
	global_store_dword v[204:205], v199, off
.LBB92_833:
	s_or_b32 exec_lo, exec_lo, s8
	v_mov_b32_e32 v204, v198
	v_mov_b32_e32 v0, v198
.LBB92_834:
	s_or_b32 exec_lo, exec_lo, s7
.LBB92_835:
	s_andn2_saveexec_b32 s0, s0
	s_cbranch_execz .LBB92_837
; %bb.836:
	v_mov_b32_e32 v204, 39
	ds_write2_b64 v1, v[26:27], v[28:29] offset0:80 offset1:81
	ds_write2_b64 v1, v[22:23], v[24:25] offset0:82 offset1:83
	;; [unrolled: 1-line block ×7, first 2 shown]
.LBB92_837:
	s_or_b32 exec_lo, exec_lo, s0
	s_mov_b32 s0, exec_lo
	s_waitcnt lgkmcnt(0)
	s_waitcnt_vscnt null, 0x0
	s_barrier
	buffer_gl0_inv
	v_cmpx_lt_i32_e32 39, v204
	s_cbranch_execz .LBB92_839
; %bb.838:
	v_mul_f64 v[198:199], v[190:191], v[32:33]
	v_mul_f64 v[32:33], v[192:193], v[32:33]
	v_fma_f64 v[198:199], v[192:193], v[30:31], v[198:199]
	v_fma_f64 v[30:31], v[190:191], v[30:31], -v[32:33]
	ds_read2_b64 v[190:193], v1 offset0:80 offset1:81
	s_waitcnt lgkmcnt(0)
	v_mul_f64 v[32:33], v[192:193], v[198:199]
	v_fma_f64 v[32:33], v[190:191], v[30:31], -v[32:33]
	v_mul_f64 v[190:191], v[190:191], v[198:199]
	v_add_f64 v[26:27], v[26:27], -v[32:33]
	v_fma_f64 v[190:191], v[192:193], v[30:31], v[190:191]
	v_add_f64 v[28:29], v[28:29], -v[190:191]
	ds_read2_b64 v[190:193], v1 offset0:82 offset1:83
	s_waitcnt lgkmcnt(0)
	v_mul_f64 v[32:33], v[192:193], v[198:199]
	v_fma_f64 v[32:33], v[190:191], v[30:31], -v[32:33]
	v_mul_f64 v[190:191], v[190:191], v[198:199]
	v_add_f64 v[22:23], v[22:23], -v[32:33]
	v_fma_f64 v[190:191], v[192:193], v[30:31], v[190:191]
	v_add_f64 v[24:25], v[24:25], -v[190:191]
	;; [unrolled: 8-line block ×6, first 2 shown]
	ds_read2_b64 v[190:193], v1 offset0:92 offset1:93
	s_waitcnt lgkmcnt(0)
	v_mul_f64 v[32:33], v[192:193], v[198:199]
	v_fma_f64 v[32:33], v[190:191], v[30:31], -v[32:33]
	v_mul_f64 v[190:191], v[190:191], v[198:199]
	v_add_f64 v[2:3], v[2:3], -v[32:33]
	v_fma_f64 v[190:191], v[192:193], v[30:31], v[190:191]
	v_mov_b32_e32 v32, v198
	v_mov_b32_e32 v33, v199
	v_add_f64 v[4:5], v[4:5], -v[190:191]
.LBB92_839:
	s_or_b32 exec_lo, exec_lo, s0
	v_lshl_add_u32 v190, v204, 4, v1
	s_barrier
	buffer_gl0_inv
	v_mov_b32_e32 v198, 40
	ds_write2_b64 v190, v[26:27], v[28:29] offset1:1
	s_waitcnt lgkmcnt(0)
	s_barrier
	buffer_gl0_inv
	ds_read2_b64 v[190:193], v1 offset0:80 offset1:81
	s_cmp_lt_i32 s1, 42
	s_cbranch_scc1 .LBB92_842
; %bb.840:
	v_add3_u32 v199, v200, 0, 0x290
	v_mov_b32_e32 v198, 40
	s_mov_b32 s7, 41
	s_inst_prefetch 0x1
	.p2align	6
.LBB92_841:                             ; =>This Inner Loop Header: Depth=1
	s_waitcnt lgkmcnt(0)
	v_cmp_gt_f64_e32 vcc_lo, 0, v[192:193]
	v_cmp_gt_f64_e64 s0, 0, v[190:191]
	ds_read2_b64 v[205:208], v199 offset1:1
	v_xor_b32_e32 v210, 0x80000000, v191
	v_xor_b32_e32 v212, 0x80000000, v193
	v_mov_b32_e32 v209, v190
	v_mov_b32_e32 v211, v192
	v_add_nc_u32_e32 v199, 16, v199
	s_waitcnt lgkmcnt(0)
	v_xor_b32_e32 v214, 0x80000000, v208
	v_cndmask_b32_e64 v210, v191, v210, s0
	v_cndmask_b32_e32 v212, v193, v212, vcc_lo
	v_cmp_gt_f64_e32 vcc_lo, 0, v[207:208]
	v_cmp_gt_f64_e64 s0, 0, v[205:206]
	v_mov_b32_e32 v213, v207
	v_add_f64 v[209:210], v[209:210], v[211:212]
	v_xor_b32_e32 v212, 0x80000000, v206
	v_mov_b32_e32 v211, v205
	v_cndmask_b32_e32 v214, v208, v214, vcc_lo
	v_cndmask_b32_e64 v212, v206, v212, s0
	v_add_f64 v[211:212], v[211:212], v[213:214]
	v_cmp_lt_f64_e32 vcc_lo, v[209:210], v[211:212]
	v_cndmask_b32_e32 v191, v191, v206, vcc_lo
	v_cndmask_b32_e32 v190, v190, v205, vcc_lo
	;; [unrolled: 1-line block ×4, first 2 shown]
	v_cndmask_b32_e64 v198, v198, s7, vcc_lo
	s_add_i32 s7, s7, 1
	s_cmp_lg_u32 s1, s7
	s_cbranch_scc1 .LBB92_841
.LBB92_842:
	s_inst_prefetch 0x2
	s_waitcnt lgkmcnt(0)
	v_cmp_eq_f64_e32 vcc_lo, 0, v[190:191]
	v_cmp_eq_f64_e64 s0, 0, v[192:193]
	s_and_b32 s0, vcc_lo, s0
	s_and_saveexec_b32 s7, s0
	s_xor_b32 s0, exec_lo, s7
; %bb.843:
	v_cmp_ne_u32_e32 vcc_lo, 0, v203
	v_cndmask_b32_e32 v203, 41, v203, vcc_lo
; %bb.844:
	s_andn2_saveexec_b32 s0, s0
	s_cbranch_execz .LBB92_850
; %bb.845:
	v_cmp_ngt_f64_e64 s7, |v[190:191]|, |v[192:193]|
	s_and_saveexec_b32 s8, s7
	s_xor_b32 s7, exec_lo, s8
	s_cbranch_execz .LBB92_847
; %bb.846:
	v_div_scale_f64 v[205:206], null, v[192:193], v[192:193], v[190:191]
	v_div_scale_f64 v[211:212], vcc_lo, v[190:191], v[192:193], v[190:191]
	v_rcp_f64_e32 v[207:208], v[205:206]
	v_fma_f64 v[209:210], -v[205:206], v[207:208], 1.0
	v_fma_f64 v[207:208], v[207:208], v[209:210], v[207:208]
	v_fma_f64 v[209:210], -v[205:206], v[207:208], 1.0
	v_fma_f64 v[207:208], v[207:208], v[209:210], v[207:208]
	v_mul_f64 v[209:210], v[211:212], v[207:208]
	v_fma_f64 v[205:206], -v[205:206], v[209:210], v[211:212]
	v_div_fmas_f64 v[205:206], v[205:206], v[207:208], v[209:210]
	v_div_fixup_f64 v[205:206], v[205:206], v[192:193], v[190:191]
	v_fma_f64 v[190:191], v[190:191], v[205:206], v[192:193]
	v_div_scale_f64 v[192:193], null, v[190:191], v[190:191], 1.0
	v_rcp_f64_e32 v[207:208], v[192:193]
	v_fma_f64 v[209:210], -v[192:193], v[207:208], 1.0
	v_fma_f64 v[207:208], v[207:208], v[209:210], v[207:208]
	v_fma_f64 v[209:210], -v[192:193], v[207:208], 1.0
	v_fma_f64 v[207:208], v[207:208], v[209:210], v[207:208]
	v_div_scale_f64 v[209:210], vcc_lo, 1.0, v[190:191], 1.0
	v_mul_f64 v[211:212], v[209:210], v[207:208]
	v_fma_f64 v[192:193], -v[192:193], v[211:212], v[209:210]
	v_div_fmas_f64 v[192:193], v[192:193], v[207:208], v[211:212]
	v_div_fixup_f64 v[192:193], v[192:193], v[190:191], 1.0
	v_mul_f64 v[190:191], v[205:206], v[192:193]
	v_xor_b32_e32 v193, 0x80000000, v193
.LBB92_847:
	s_andn2_saveexec_b32 s7, s7
	s_cbranch_execz .LBB92_849
; %bb.848:
	v_div_scale_f64 v[205:206], null, v[190:191], v[190:191], v[192:193]
	v_div_scale_f64 v[211:212], vcc_lo, v[192:193], v[190:191], v[192:193]
	v_rcp_f64_e32 v[207:208], v[205:206]
	v_fma_f64 v[209:210], -v[205:206], v[207:208], 1.0
	v_fma_f64 v[207:208], v[207:208], v[209:210], v[207:208]
	v_fma_f64 v[209:210], -v[205:206], v[207:208], 1.0
	v_fma_f64 v[207:208], v[207:208], v[209:210], v[207:208]
	v_mul_f64 v[209:210], v[211:212], v[207:208]
	v_fma_f64 v[205:206], -v[205:206], v[209:210], v[211:212]
	v_div_fmas_f64 v[205:206], v[205:206], v[207:208], v[209:210]
	v_div_fixup_f64 v[205:206], v[205:206], v[190:191], v[192:193]
	v_fma_f64 v[190:191], v[192:193], v[205:206], v[190:191]
	v_div_scale_f64 v[192:193], null, v[190:191], v[190:191], 1.0
	v_rcp_f64_e32 v[207:208], v[192:193]
	v_fma_f64 v[209:210], -v[192:193], v[207:208], 1.0
	v_fma_f64 v[207:208], v[207:208], v[209:210], v[207:208]
	v_fma_f64 v[209:210], -v[192:193], v[207:208], 1.0
	v_fma_f64 v[207:208], v[207:208], v[209:210], v[207:208]
	v_div_scale_f64 v[209:210], vcc_lo, 1.0, v[190:191], 1.0
	v_mul_f64 v[211:212], v[209:210], v[207:208]
	v_fma_f64 v[192:193], -v[192:193], v[211:212], v[209:210]
	v_div_fmas_f64 v[192:193], v[192:193], v[207:208], v[211:212]
	v_div_fixup_f64 v[190:191], v[192:193], v[190:191], 1.0
	v_mul_f64 v[192:193], v[205:206], -v[190:191]
.LBB92_849:
	s_or_b32 exec_lo, exec_lo, s7
.LBB92_850:
	s_or_b32 exec_lo, exec_lo, s0
	s_mov_b32 s0, exec_lo
	v_cmpx_ne_u32_e64 v204, v198
	s_xor_b32 s0, exec_lo, s0
	s_cbranch_execz .LBB92_856
; %bb.851:
	s_mov_b32 s7, exec_lo
	v_cmpx_eq_u32_e32 40, v204
	s_cbranch_execz .LBB92_855
; %bb.852:
	v_cmp_ne_u32_e32 vcc_lo, 40, v198
	s_xor_b32 s8, s16, -1
	s_and_b32 s9, s8, vcc_lo
	s_and_saveexec_b32 s8, s9
	s_cbranch_execz .LBB92_854
; %bb.853:
	v_ashrrev_i32_e32 v199, 31, v198
	v_lshlrev_b64 v[204:205], 2, v[198:199]
	v_add_co_u32 v204, vcc_lo, v196, v204
	v_add_co_ci_u32_e64 v205, null, v197, v205, vcc_lo
	s_clause 0x1
	global_load_dword v0, v[204:205], off
	global_load_dword v199, v[196:197], off offset:160
	s_waitcnt vmcnt(1)
	global_store_dword v[196:197], v0, off offset:160
	s_waitcnt vmcnt(0)
	global_store_dword v[204:205], v199, off
.LBB92_854:
	s_or_b32 exec_lo, exec_lo, s8
	v_mov_b32_e32 v204, v198
	v_mov_b32_e32 v0, v198
.LBB92_855:
	s_or_b32 exec_lo, exec_lo, s7
.LBB92_856:
	s_andn2_saveexec_b32 s0, s0
	s_cbranch_execz .LBB92_858
; %bb.857:
	v_mov_b32_e32 v204, 40
	ds_write2_b64 v1, v[22:23], v[24:25] offset0:82 offset1:83
	ds_write2_b64 v1, v[18:19], v[20:21] offset0:84 offset1:85
	;; [unrolled: 1-line block ×6, first 2 shown]
.LBB92_858:
	s_or_b32 exec_lo, exec_lo, s0
	s_mov_b32 s0, exec_lo
	s_waitcnt lgkmcnt(0)
	s_waitcnt_vscnt null, 0x0
	s_barrier
	buffer_gl0_inv
	v_cmpx_lt_i32_e32 40, v204
	s_cbranch_execz .LBB92_860
; %bb.859:
	v_mul_f64 v[198:199], v[190:191], v[28:29]
	v_mul_f64 v[28:29], v[192:193], v[28:29]
	ds_read2_b64 v[205:208], v1 offset0:82 offset1:83
	ds_read2_b64 v[209:212], v1 offset0:84 offset1:85
	;; [unrolled: 1-line block ×6, first 2 shown]
	v_fma_f64 v[192:193], v[192:193], v[26:27], v[198:199]
	v_fma_f64 v[26:27], v[190:191], v[26:27], -v[28:29]
	s_waitcnt lgkmcnt(5)
	v_mul_f64 v[28:29], v[207:208], v[192:193]
	v_mul_f64 v[190:191], v[205:206], v[192:193]
	s_waitcnt lgkmcnt(4)
	v_mul_f64 v[198:199], v[211:212], v[192:193]
	v_mul_f64 v[229:230], v[209:210], v[192:193]
	s_waitcnt lgkmcnt(3)
	v_mul_f64 v[231:232], v[215:216], v[192:193]
	v_mul_f64 v[233:234], v[213:214], v[192:193]
	s_waitcnt lgkmcnt(2)
	v_mul_f64 v[235:236], v[219:220], v[192:193]
	v_mul_f64 v[237:238], v[217:218], v[192:193]
	s_waitcnt lgkmcnt(1)
	v_mul_f64 v[239:240], v[223:224], v[192:193]
	v_mul_f64 v[241:242], v[221:222], v[192:193]
	s_waitcnt lgkmcnt(0)
	v_mul_f64 v[243:244], v[227:228], v[192:193]
	v_mul_f64 v[245:246], v[225:226], v[192:193]
	v_fma_f64 v[28:29], v[205:206], v[26:27], -v[28:29]
	v_fma_f64 v[190:191], v[207:208], v[26:27], v[190:191]
	v_fma_f64 v[198:199], v[209:210], v[26:27], -v[198:199]
	v_fma_f64 v[205:206], v[211:212], v[26:27], v[229:230]
	;; [unrolled: 2-line block ×6, first 2 shown]
	v_add_f64 v[22:23], v[22:23], -v[28:29]
	v_add_f64 v[24:25], v[24:25], -v[190:191]
	;; [unrolled: 1-line block ×12, first 2 shown]
	v_mov_b32_e32 v28, v192
	v_mov_b32_e32 v29, v193
.LBB92_860:
	s_or_b32 exec_lo, exec_lo, s0
	v_lshl_add_u32 v190, v204, 4, v1
	s_barrier
	buffer_gl0_inv
	v_mov_b32_e32 v198, 41
	ds_write2_b64 v190, v[22:23], v[24:25] offset1:1
	s_waitcnt lgkmcnt(0)
	s_barrier
	buffer_gl0_inv
	ds_read2_b64 v[190:193], v1 offset0:82 offset1:83
	s_cmp_lt_i32 s1, 43
	s_cbranch_scc1 .LBB92_863
; %bb.861:
	v_add3_u32 v199, v200, 0, 0x2a0
	v_mov_b32_e32 v198, 41
	s_mov_b32 s7, 42
	s_inst_prefetch 0x1
	.p2align	6
.LBB92_862:                             ; =>This Inner Loop Header: Depth=1
	s_waitcnt lgkmcnt(0)
	v_cmp_gt_f64_e32 vcc_lo, 0, v[192:193]
	v_cmp_gt_f64_e64 s0, 0, v[190:191]
	ds_read2_b64 v[205:208], v199 offset1:1
	v_xor_b32_e32 v210, 0x80000000, v191
	v_xor_b32_e32 v212, 0x80000000, v193
	v_mov_b32_e32 v209, v190
	v_mov_b32_e32 v211, v192
	v_add_nc_u32_e32 v199, 16, v199
	s_waitcnt lgkmcnt(0)
	v_xor_b32_e32 v214, 0x80000000, v208
	v_cndmask_b32_e64 v210, v191, v210, s0
	v_cndmask_b32_e32 v212, v193, v212, vcc_lo
	v_cmp_gt_f64_e32 vcc_lo, 0, v[207:208]
	v_cmp_gt_f64_e64 s0, 0, v[205:206]
	v_mov_b32_e32 v213, v207
	v_add_f64 v[209:210], v[209:210], v[211:212]
	v_xor_b32_e32 v212, 0x80000000, v206
	v_mov_b32_e32 v211, v205
	v_cndmask_b32_e32 v214, v208, v214, vcc_lo
	v_cndmask_b32_e64 v212, v206, v212, s0
	v_add_f64 v[211:212], v[211:212], v[213:214]
	v_cmp_lt_f64_e32 vcc_lo, v[209:210], v[211:212]
	v_cndmask_b32_e32 v191, v191, v206, vcc_lo
	v_cndmask_b32_e32 v190, v190, v205, vcc_lo
	;; [unrolled: 1-line block ×4, first 2 shown]
	v_cndmask_b32_e64 v198, v198, s7, vcc_lo
	s_add_i32 s7, s7, 1
	s_cmp_lg_u32 s1, s7
	s_cbranch_scc1 .LBB92_862
.LBB92_863:
	s_inst_prefetch 0x2
	s_waitcnt lgkmcnt(0)
	v_cmp_eq_f64_e32 vcc_lo, 0, v[190:191]
	v_cmp_eq_f64_e64 s0, 0, v[192:193]
	s_and_b32 s0, vcc_lo, s0
	s_and_saveexec_b32 s7, s0
	s_xor_b32 s0, exec_lo, s7
; %bb.864:
	v_cmp_ne_u32_e32 vcc_lo, 0, v203
	v_cndmask_b32_e32 v203, 42, v203, vcc_lo
; %bb.865:
	s_andn2_saveexec_b32 s0, s0
	s_cbranch_execz .LBB92_871
; %bb.866:
	v_cmp_ngt_f64_e64 s7, |v[190:191]|, |v[192:193]|
	s_and_saveexec_b32 s8, s7
	s_xor_b32 s7, exec_lo, s8
	s_cbranch_execz .LBB92_868
; %bb.867:
	v_div_scale_f64 v[205:206], null, v[192:193], v[192:193], v[190:191]
	v_div_scale_f64 v[211:212], vcc_lo, v[190:191], v[192:193], v[190:191]
	v_rcp_f64_e32 v[207:208], v[205:206]
	v_fma_f64 v[209:210], -v[205:206], v[207:208], 1.0
	v_fma_f64 v[207:208], v[207:208], v[209:210], v[207:208]
	v_fma_f64 v[209:210], -v[205:206], v[207:208], 1.0
	v_fma_f64 v[207:208], v[207:208], v[209:210], v[207:208]
	v_mul_f64 v[209:210], v[211:212], v[207:208]
	v_fma_f64 v[205:206], -v[205:206], v[209:210], v[211:212]
	v_div_fmas_f64 v[205:206], v[205:206], v[207:208], v[209:210]
	v_div_fixup_f64 v[205:206], v[205:206], v[192:193], v[190:191]
	v_fma_f64 v[190:191], v[190:191], v[205:206], v[192:193]
	v_div_scale_f64 v[192:193], null, v[190:191], v[190:191], 1.0
	v_rcp_f64_e32 v[207:208], v[192:193]
	v_fma_f64 v[209:210], -v[192:193], v[207:208], 1.0
	v_fma_f64 v[207:208], v[207:208], v[209:210], v[207:208]
	v_fma_f64 v[209:210], -v[192:193], v[207:208], 1.0
	v_fma_f64 v[207:208], v[207:208], v[209:210], v[207:208]
	v_div_scale_f64 v[209:210], vcc_lo, 1.0, v[190:191], 1.0
	v_mul_f64 v[211:212], v[209:210], v[207:208]
	v_fma_f64 v[192:193], -v[192:193], v[211:212], v[209:210]
	v_div_fmas_f64 v[192:193], v[192:193], v[207:208], v[211:212]
	v_div_fixup_f64 v[192:193], v[192:193], v[190:191], 1.0
	v_mul_f64 v[190:191], v[205:206], v[192:193]
	v_xor_b32_e32 v193, 0x80000000, v193
.LBB92_868:
	s_andn2_saveexec_b32 s7, s7
	s_cbranch_execz .LBB92_870
; %bb.869:
	v_div_scale_f64 v[205:206], null, v[190:191], v[190:191], v[192:193]
	v_div_scale_f64 v[211:212], vcc_lo, v[192:193], v[190:191], v[192:193]
	v_rcp_f64_e32 v[207:208], v[205:206]
	v_fma_f64 v[209:210], -v[205:206], v[207:208], 1.0
	v_fma_f64 v[207:208], v[207:208], v[209:210], v[207:208]
	v_fma_f64 v[209:210], -v[205:206], v[207:208], 1.0
	v_fma_f64 v[207:208], v[207:208], v[209:210], v[207:208]
	v_mul_f64 v[209:210], v[211:212], v[207:208]
	v_fma_f64 v[205:206], -v[205:206], v[209:210], v[211:212]
	v_div_fmas_f64 v[205:206], v[205:206], v[207:208], v[209:210]
	v_div_fixup_f64 v[205:206], v[205:206], v[190:191], v[192:193]
	v_fma_f64 v[190:191], v[192:193], v[205:206], v[190:191]
	v_div_scale_f64 v[192:193], null, v[190:191], v[190:191], 1.0
	v_rcp_f64_e32 v[207:208], v[192:193]
	v_fma_f64 v[209:210], -v[192:193], v[207:208], 1.0
	v_fma_f64 v[207:208], v[207:208], v[209:210], v[207:208]
	v_fma_f64 v[209:210], -v[192:193], v[207:208], 1.0
	v_fma_f64 v[207:208], v[207:208], v[209:210], v[207:208]
	v_div_scale_f64 v[209:210], vcc_lo, 1.0, v[190:191], 1.0
	v_mul_f64 v[211:212], v[209:210], v[207:208]
	v_fma_f64 v[192:193], -v[192:193], v[211:212], v[209:210]
	v_div_fmas_f64 v[192:193], v[192:193], v[207:208], v[211:212]
	v_div_fixup_f64 v[190:191], v[192:193], v[190:191], 1.0
	v_mul_f64 v[192:193], v[205:206], -v[190:191]
.LBB92_870:
	s_or_b32 exec_lo, exec_lo, s7
.LBB92_871:
	s_or_b32 exec_lo, exec_lo, s0
	s_mov_b32 s0, exec_lo
	v_cmpx_ne_u32_e64 v204, v198
	s_xor_b32 s0, exec_lo, s0
	s_cbranch_execz .LBB92_877
; %bb.872:
	s_mov_b32 s7, exec_lo
	v_cmpx_eq_u32_e32 41, v204
	s_cbranch_execz .LBB92_876
; %bb.873:
	v_cmp_ne_u32_e32 vcc_lo, 41, v198
	s_xor_b32 s8, s16, -1
	s_and_b32 s9, s8, vcc_lo
	s_and_saveexec_b32 s8, s9
	s_cbranch_execz .LBB92_875
; %bb.874:
	v_ashrrev_i32_e32 v199, 31, v198
	v_lshlrev_b64 v[204:205], 2, v[198:199]
	v_add_co_u32 v204, vcc_lo, v196, v204
	v_add_co_ci_u32_e64 v205, null, v197, v205, vcc_lo
	s_clause 0x1
	global_load_dword v0, v[204:205], off
	global_load_dword v199, v[196:197], off offset:164
	s_waitcnt vmcnt(1)
	global_store_dword v[196:197], v0, off offset:164
	s_waitcnt vmcnt(0)
	global_store_dword v[204:205], v199, off
.LBB92_875:
	s_or_b32 exec_lo, exec_lo, s8
	v_mov_b32_e32 v204, v198
	v_mov_b32_e32 v0, v198
.LBB92_876:
	s_or_b32 exec_lo, exec_lo, s7
.LBB92_877:
	s_andn2_saveexec_b32 s0, s0
	s_cbranch_execz .LBB92_879
; %bb.878:
	v_mov_b32_e32 v204, 41
	ds_write2_b64 v1, v[18:19], v[20:21] offset0:84 offset1:85
	ds_write2_b64 v1, v[14:15], v[16:17] offset0:86 offset1:87
	;; [unrolled: 1-line block ×5, first 2 shown]
.LBB92_879:
	s_or_b32 exec_lo, exec_lo, s0
	s_mov_b32 s0, exec_lo
	s_waitcnt lgkmcnt(0)
	s_waitcnt_vscnt null, 0x0
	s_barrier
	buffer_gl0_inv
	v_cmpx_lt_i32_e32 41, v204
	s_cbranch_execz .LBB92_881
; %bb.880:
	v_mul_f64 v[198:199], v[190:191], v[24:25]
	v_mul_f64 v[24:25], v[192:193], v[24:25]
	ds_read2_b64 v[205:208], v1 offset0:84 offset1:85
	ds_read2_b64 v[209:212], v1 offset0:86 offset1:87
	;; [unrolled: 1-line block ×5, first 2 shown]
	v_fma_f64 v[192:193], v[192:193], v[22:23], v[198:199]
	v_fma_f64 v[22:23], v[190:191], v[22:23], -v[24:25]
	s_waitcnt lgkmcnt(4)
	v_mul_f64 v[24:25], v[207:208], v[192:193]
	v_mul_f64 v[190:191], v[205:206], v[192:193]
	s_waitcnt lgkmcnt(3)
	v_mul_f64 v[198:199], v[211:212], v[192:193]
	v_mul_f64 v[225:226], v[209:210], v[192:193]
	;; [unrolled: 3-line block ×5, first 2 shown]
	v_fma_f64 v[24:25], v[205:206], v[22:23], -v[24:25]
	v_fma_f64 v[190:191], v[207:208], v[22:23], v[190:191]
	v_fma_f64 v[198:199], v[209:210], v[22:23], -v[198:199]
	v_fma_f64 v[205:206], v[211:212], v[22:23], v[225:226]
	;; [unrolled: 2-line block ×5, first 2 shown]
	v_add_f64 v[18:19], v[18:19], -v[24:25]
	v_add_f64 v[20:21], v[20:21], -v[190:191]
	;; [unrolled: 1-line block ×10, first 2 shown]
	v_mov_b32_e32 v24, v192
	v_mov_b32_e32 v25, v193
.LBB92_881:
	s_or_b32 exec_lo, exec_lo, s0
	v_lshl_add_u32 v190, v204, 4, v1
	s_barrier
	buffer_gl0_inv
	v_mov_b32_e32 v198, 42
	ds_write2_b64 v190, v[18:19], v[20:21] offset1:1
	s_waitcnt lgkmcnt(0)
	s_barrier
	buffer_gl0_inv
	ds_read2_b64 v[190:193], v1 offset0:84 offset1:85
	s_cmp_lt_i32 s1, 44
	s_cbranch_scc1 .LBB92_884
; %bb.882:
	v_add3_u32 v199, v200, 0, 0x2b0
	v_mov_b32_e32 v198, 42
	s_mov_b32 s7, 43
	s_inst_prefetch 0x1
	.p2align	6
.LBB92_883:                             ; =>This Inner Loop Header: Depth=1
	s_waitcnt lgkmcnt(0)
	v_cmp_gt_f64_e32 vcc_lo, 0, v[192:193]
	v_cmp_gt_f64_e64 s0, 0, v[190:191]
	ds_read2_b64 v[205:208], v199 offset1:1
	v_xor_b32_e32 v210, 0x80000000, v191
	v_xor_b32_e32 v212, 0x80000000, v193
	v_mov_b32_e32 v209, v190
	v_mov_b32_e32 v211, v192
	v_add_nc_u32_e32 v199, 16, v199
	s_waitcnt lgkmcnt(0)
	v_xor_b32_e32 v214, 0x80000000, v208
	v_cndmask_b32_e64 v210, v191, v210, s0
	v_cndmask_b32_e32 v212, v193, v212, vcc_lo
	v_cmp_gt_f64_e32 vcc_lo, 0, v[207:208]
	v_cmp_gt_f64_e64 s0, 0, v[205:206]
	v_mov_b32_e32 v213, v207
	v_add_f64 v[209:210], v[209:210], v[211:212]
	v_xor_b32_e32 v212, 0x80000000, v206
	v_mov_b32_e32 v211, v205
	v_cndmask_b32_e32 v214, v208, v214, vcc_lo
	v_cndmask_b32_e64 v212, v206, v212, s0
	v_add_f64 v[211:212], v[211:212], v[213:214]
	v_cmp_lt_f64_e32 vcc_lo, v[209:210], v[211:212]
	v_cndmask_b32_e32 v191, v191, v206, vcc_lo
	v_cndmask_b32_e32 v190, v190, v205, vcc_lo
	;; [unrolled: 1-line block ×4, first 2 shown]
	v_cndmask_b32_e64 v198, v198, s7, vcc_lo
	s_add_i32 s7, s7, 1
	s_cmp_lg_u32 s1, s7
	s_cbranch_scc1 .LBB92_883
.LBB92_884:
	s_inst_prefetch 0x2
	s_waitcnt lgkmcnt(0)
	v_cmp_eq_f64_e32 vcc_lo, 0, v[190:191]
	v_cmp_eq_f64_e64 s0, 0, v[192:193]
	s_and_b32 s0, vcc_lo, s0
	s_and_saveexec_b32 s7, s0
	s_xor_b32 s0, exec_lo, s7
; %bb.885:
	v_cmp_ne_u32_e32 vcc_lo, 0, v203
	v_cndmask_b32_e32 v203, 43, v203, vcc_lo
; %bb.886:
	s_andn2_saveexec_b32 s0, s0
	s_cbranch_execz .LBB92_892
; %bb.887:
	v_cmp_ngt_f64_e64 s7, |v[190:191]|, |v[192:193]|
	s_and_saveexec_b32 s8, s7
	s_xor_b32 s7, exec_lo, s8
	s_cbranch_execz .LBB92_889
; %bb.888:
	v_div_scale_f64 v[205:206], null, v[192:193], v[192:193], v[190:191]
	v_div_scale_f64 v[211:212], vcc_lo, v[190:191], v[192:193], v[190:191]
	v_rcp_f64_e32 v[207:208], v[205:206]
	v_fma_f64 v[209:210], -v[205:206], v[207:208], 1.0
	v_fma_f64 v[207:208], v[207:208], v[209:210], v[207:208]
	v_fma_f64 v[209:210], -v[205:206], v[207:208], 1.0
	v_fma_f64 v[207:208], v[207:208], v[209:210], v[207:208]
	v_mul_f64 v[209:210], v[211:212], v[207:208]
	v_fma_f64 v[205:206], -v[205:206], v[209:210], v[211:212]
	v_div_fmas_f64 v[205:206], v[205:206], v[207:208], v[209:210]
	v_div_fixup_f64 v[205:206], v[205:206], v[192:193], v[190:191]
	v_fma_f64 v[190:191], v[190:191], v[205:206], v[192:193]
	v_div_scale_f64 v[192:193], null, v[190:191], v[190:191], 1.0
	v_rcp_f64_e32 v[207:208], v[192:193]
	v_fma_f64 v[209:210], -v[192:193], v[207:208], 1.0
	v_fma_f64 v[207:208], v[207:208], v[209:210], v[207:208]
	v_fma_f64 v[209:210], -v[192:193], v[207:208], 1.0
	v_fma_f64 v[207:208], v[207:208], v[209:210], v[207:208]
	v_div_scale_f64 v[209:210], vcc_lo, 1.0, v[190:191], 1.0
	v_mul_f64 v[211:212], v[209:210], v[207:208]
	v_fma_f64 v[192:193], -v[192:193], v[211:212], v[209:210]
	v_div_fmas_f64 v[192:193], v[192:193], v[207:208], v[211:212]
	v_div_fixup_f64 v[192:193], v[192:193], v[190:191], 1.0
	v_mul_f64 v[190:191], v[205:206], v[192:193]
	v_xor_b32_e32 v193, 0x80000000, v193
.LBB92_889:
	s_andn2_saveexec_b32 s7, s7
	s_cbranch_execz .LBB92_891
; %bb.890:
	v_div_scale_f64 v[205:206], null, v[190:191], v[190:191], v[192:193]
	v_div_scale_f64 v[211:212], vcc_lo, v[192:193], v[190:191], v[192:193]
	v_rcp_f64_e32 v[207:208], v[205:206]
	v_fma_f64 v[209:210], -v[205:206], v[207:208], 1.0
	v_fma_f64 v[207:208], v[207:208], v[209:210], v[207:208]
	v_fma_f64 v[209:210], -v[205:206], v[207:208], 1.0
	v_fma_f64 v[207:208], v[207:208], v[209:210], v[207:208]
	v_mul_f64 v[209:210], v[211:212], v[207:208]
	v_fma_f64 v[205:206], -v[205:206], v[209:210], v[211:212]
	v_div_fmas_f64 v[205:206], v[205:206], v[207:208], v[209:210]
	v_div_fixup_f64 v[205:206], v[205:206], v[190:191], v[192:193]
	v_fma_f64 v[190:191], v[192:193], v[205:206], v[190:191]
	v_div_scale_f64 v[192:193], null, v[190:191], v[190:191], 1.0
	v_rcp_f64_e32 v[207:208], v[192:193]
	v_fma_f64 v[209:210], -v[192:193], v[207:208], 1.0
	v_fma_f64 v[207:208], v[207:208], v[209:210], v[207:208]
	v_fma_f64 v[209:210], -v[192:193], v[207:208], 1.0
	v_fma_f64 v[207:208], v[207:208], v[209:210], v[207:208]
	v_div_scale_f64 v[209:210], vcc_lo, 1.0, v[190:191], 1.0
	v_mul_f64 v[211:212], v[209:210], v[207:208]
	v_fma_f64 v[192:193], -v[192:193], v[211:212], v[209:210]
	v_div_fmas_f64 v[192:193], v[192:193], v[207:208], v[211:212]
	v_div_fixup_f64 v[190:191], v[192:193], v[190:191], 1.0
	v_mul_f64 v[192:193], v[205:206], -v[190:191]
.LBB92_891:
	s_or_b32 exec_lo, exec_lo, s7
.LBB92_892:
	s_or_b32 exec_lo, exec_lo, s0
	s_mov_b32 s0, exec_lo
	v_cmpx_ne_u32_e64 v204, v198
	s_xor_b32 s0, exec_lo, s0
	s_cbranch_execz .LBB92_898
; %bb.893:
	s_mov_b32 s7, exec_lo
	v_cmpx_eq_u32_e32 42, v204
	s_cbranch_execz .LBB92_897
; %bb.894:
	v_cmp_ne_u32_e32 vcc_lo, 42, v198
	s_xor_b32 s8, s16, -1
	s_and_b32 s9, s8, vcc_lo
	s_and_saveexec_b32 s8, s9
	s_cbranch_execz .LBB92_896
; %bb.895:
	v_ashrrev_i32_e32 v199, 31, v198
	v_lshlrev_b64 v[204:205], 2, v[198:199]
	v_add_co_u32 v204, vcc_lo, v196, v204
	v_add_co_ci_u32_e64 v205, null, v197, v205, vcc_lo
	s_clause 0x1
	global_load_dword v0, v[204:205], off
	global_load_dword v199, v[196:197], off offset:168
	s_waitcnt vmcnt(1)
	global_store_dword v[196:197], v0, off offset:168
	s_waitcnt vmcnt(0)
	global_store_dword v[204:205], v199, off
.LBB92_896:
	s_or_b32 exec_lo, exec_lo, s8
	v_mov_b32_e32 v204, v198
	v_mov_b32_e32 v0, v198
.LBB92_897:
	s_or_b32 exec_lo, exec_lo, s7
.LBB92_898:
	s_andn2_saveexec_b32 s0, s0
	s_cbranch_execz .LBB92_900
; %bb.899:
	v_mov_b32_e32 v204, 42
	ds_write2_b64 v1, v[14:15], v[16:17] offset0:86 offset1:87
	ds_write2_b64 v1, v[10:11], v[12:13] offset0:88 offset1:89
	;; [unrolled: 1-line block ×4, first 2 shown]
.LBB92_900:
	s_or_b32 exec_lo, exec_lo, s0
	s_mov_b32 s0, exec_lo
	s_waitcnt lgkmcnt(0)
	s_waitcnt_vscnt null, 0x0
	s_barrier
	buffer_gl0_inv
	v_cmpx_lt_i32_e32 42, v204
	s_cbranch_execz .LBB92_902
; %bb.901:
	v_mul_f64 v[198:199], v[190:191], v[20:21]
	v_mul_f64 v[20:21], v[192:193], v[20:21]
	ds_read2_b64 v[205:208], v1 offset0:86 offset1:87
	ds_read2_b64 v[209:212], v1 offset0:88 offset1:89
	ds_read2_b64 v[213:216], v1 offset0:90 offset1:91
	ds_read2_b64 v[217:220], v1 offset0:92 offset1:93
	v_fma_f64 v[192:193], v[192:193], v[18:19], v[198:199]
	v_fma_f64 v[18:19], v[190:191], v[18:19], -v[20:21]
	s_waitcnt lgkmcnt(3)
	v_mul_f64 v[20:21], v[207:208], v[192:193]
	v_mul_f64 v[190:191], v[205:206], v[192:193]
	s_waitcnt lgkmcnt(2)
	v_mul_f64 v[198:199], v[211:212], v[192:193]
	v_mul_f64 v[221:222], v[209:210], v[192:193]
	s_waitcnt lgkmcnt(1)
	v_mul_f64 v[223:224], v[215:216], v[192:193]
	v_mul_f64 v[225:226], v[213:214], v[192:193]
	s_waitcnt lgkmcnt(0)
	v_mul_f64 v[227:228], v[219:220], v[192:193]
	v_mul_f64 v[229:230], v[217:218], v[192:193]
	v_fma_f64 v[20:21], v[205:206], v[18:19], -v[20:21]
	v_fma_f64 v[190:191], v[207:208], v[18:19], v[190:191]
	v_fma_f64 v[198:199], v[209:210], v[18:19], -v[198:199]
	v_fma_f64 v[205:206], v[211:212], v[18:19], v[221:222]
	v_fma_f64 v[207:208], v[213:214], v[18:19], -v[223:224]
	v_fma_f64 v[209:210], v[215:216], v[18:19], v[225:226]
	v_fma_f64 v[211:212], v[217:218], v[18:19], -v[227:228]
	v_fma_f64 v[213:214], v[219:220], v[18:19], v[229:230]
	v_add_f64 v[14:15], v[14:15], -v[20:21]
	v_add_f64 v[16:17], v[16:17], -v[190:191]
	;; [unrolled: 1-line block ×8, first 2 shown]
	v_mov_b32_e32 v20, v192
	v_mov_b32_e32 v21, v193
.LBB92_902:
	s_or_b32 exec_lo, exec_lo, s0
	v_lshl_add_u32 v190, v204, 4, v1
	s_barrier
	buffer_gl0_inv
	v_mov_b32_e32 v198, 43
	ds_write2_b64 v190, v[14:15], v[16:17] offset1:1
	s_waitcnt lgkmcnt(0)
	s_barrier
	buffer_gl0_inv
	ds_read2_b64 v[190:193], v1 offset0:86 offset1:87
	s_cmp_lt_i32 s1, 45
	s_cbranch_scc1 .LBB92_905
; %bb.903:
	v_add3_u32 v199, v200, 0, 0x2c0
	v_mov_b32_e32 v198, 43
	s_mov_b32 s7, 44
	s_inst_prefetch 0x1
	.p2align	6
.LBB92_904:                             ; =>This Inner Loop Header: Depth=1
	s_waitcnt lgkmcnt(0)
	v_cmp_gt_f64_e32 vcc_lo, 0, v[192:193]
	v_cmp_gt_f64_e64 s0, 0, v[190:191]
	ds_read2_b64 v[205:208], v199 offset1:1
	v_xor_b32_e32 v210, 0x80000000, v191
	v_xor_b32_e32 v212, 0x80000000, v193
	v_mov_b32_e32 v209, v190
	v_mov_b32_e32 v211, v192
	v_add_nc_u32_e32 v199, 16, v199
	s_waitcnt lgkmcnt(0)
	v_xor_b32_e32 v214, 0x80000000, v208
	v_cndmask_b32_e64 v210, v191, v210, s0
	v_cndmask_b32_e32 v212, v193, v212, vcc_lo
	v_cmp_gt_f64_e32 vcc_lo, 0, v[207:208]
	v_cmp_gt_f64_e64 s0, 0, v[205:206]
	v_mov_b32_e32 v213, v207
	v_add_f64 v[209:210], v[209:210], v[211:212]
	v_xor_b32_e32 v212, 0x80000000, v206
	v_mov_b32_e32 v211, v205
	v_cndmask_b32_e32 v214, v208, v214, vcc_lo
	v_cndmask_b32_e64 v212, v206, v212, s0
	v_add_f64 v[211:212], v[211:212], v[213:214]
	v_cmp_lt_f64_e32 vcc_lo, v[209:210], v[211:212]
	v_cndmask_b32_e32 v191, v191, v206, vcc_lo
	v_cndmask_b32_e32 v190, v190, v205, vcc_lo
	;; [unrolled: 1-line block ×4, first 2 shown]
	v_cndmask_b32_e64 v198, v198, s7, vcc_lo
	s_add_i32 s7, s7, 1
	s_cmp_lg_u32 s1, s7
	s_cbranch_scc1 .LBB92_904
.LBB92_905:
	s_inst_prefetch 0x2
	s_waitcnt lgkmcnt(0)
	v_cmp_eq_f64_e32 vcc_lo, 0, v[190:191]
	v_cmp_eq_f64_e64 s0, 0, v[192:193]
	s_and_b32 s0, vcc_lo, s0
	s_and_saveexec_b32 s7, s0
	s_xor_b32 s0, exec_lo, s7
; %bb.906:
	v_cmp_ne_u32_e32 vcc_lo, 0, v203
	v_cndmask_b32_e32 v203, 44, v203, vcc_lo
; %bb.907:
	s_andn2_saveexec_b32 s0, s0
	s_cbranch_execz .LBB92_913
; %bb.908:
	v_cmp_ngt_f64_e64 s7, |v[190:191]|, |v[192:193]|
	s_and_saveexec_b32 s8, s7
	s_xor_b32 s7, exec_lo, s8
	s_cbranch_execz .LBB92_910
; %bb.909:
	v_div_scale_f64 v[205:206], null, v[192:193], v[192:193], v[190:191]
	v_div_scale_f64 v[211:212], vcc_lo, v[190:191], v[192:193], v[190:191]
	v_rcp_f64_e32 v[207:208], v[205:206]
	v_fma_f64 v[209:210], -v[205:206], v[207:208], 1.0
	v_fma_f64 v[207:208], v[207:208], v[209:210], v[207:208]
	v_fma_f64 v[209:210], -v[205:206], v[207:208], 1.0
	v_fma_f64 v[207:208], v[207:208], v[209:210], v[207:208]
	v_mul_f64 v[209:210], v[211:212], v[207:208]
	v_fma_f64 v[205:206], -v[205:206], v[209:210], v[211:212]
	v_div_fmas_f64 v[205:206], v[205:206], v[207:208], v[209:210]
	v_div_fixup_f64 v[205:206], v[205:206], v[192:193], v[190:191]
	v_fma_f64 v[190:191], v[190:191], v[205:206], v[192:193]
	v_div_scale_f64 v[192:193], null, v[190:191], v[190:191], 1.0
	v_rcp_f64_e32 v[207:208], v[192:193]
	v_fma_f64 v[209:210], -v[192:193], v[207:208], 1.0
	v_fma_f64 v[207:208], v[207:208], v[209:210], v[207:208]
	v_fma_f64 v[209:210], -v[192:193], v[207:208], 1.0
	v_fma_f64 v[207:208], v[207:208], v[209:210], v[207:208]
	v_div_scale_f64 v[209:210], vcc_lo, 1.0, v[190:191], 1.0
	v_mul_f64 v[211:212], v[209:210], v[207:208]
	v_fma_f64 v[192:193], -v[192:193], v[211:212], v[209:210]
	v_div_fmas_f64 v[192:193], v[192:193], v[207:208], v[211:212]
	v_div_fixup_f64 v[192:193], v[192:193], v[190:191], 1.0
	v_mul_f64 v[190:191], v[205:206], v[192:193]
	v_xor_b32_e32 v193, 0x80000000, v193
.LBB92_910:
	s_andn2_saveexec_b32 s7, s7
	s_cbranch_execz .LBB92_912
; %bb.911:
	v_div_scale_f64 v[205:206], null, v[190:191], v[190:191], v[192:193]
	v_div_scale_f64 v[211:212], vcc_lo, v[192:193], v[190:191], v[192:193]
	v_rcp_f64_e32 v[207:208], v[205:206]
	v_fma_f64 v[209:210], -v[205:206], v[207:208], 1.0
	v_fma_f64 v[207:208], v[207:208], v[209:210], v[207:208]
	v_fma_f64 v[209:210], -v[205:206], v[207:208], 1.0
	v_fma_f64 v[207:208], v[207:208], v[209:210], v[207:208]
	v_mul_f64 v[209:210], v[211:212], v[207:208]
	v_fma_f64 v[205:206], -v[205:206], v[209:210], v[211:212]
	v_div_fmas_f64 v[205:206], v[205:206], v[207:208], v[209:210]
	v_div_fixup_f64 v[205:206], v[205:206], v[190:191], v[192:193]
	v_fma_f64 v[190:191], v[192:193], v[205:206], v[190:191]
	v_div_scale_f64 v[192:193], null, v[190:191], v[190:191], 1.0
	v_rcp_f64_e32 v[207:208], v[192:193]
	v_fma_f64 v[209:210], -v[192:193], v[207:208], 1.0
	v_fma_f64 v[207:208], v[207:208], v[209:210], v[207:208]
	v_fma_f64 v[209:210], -v[192:193], v[207:208], 1.0
	v_fma_f64 v[207:208], v[207:208], v[209:210], v[207:208]
	v_div_scale_f64 v[209:210], vcc_lo, 1.0, v[190:191], 1.0
	v_mul_f64 v[211:212], v[209:210], v[207:208]
	v_fma_f64 v[192:193], -v[192:193], v[211:212], v[209:210]
	v_div_fmas_f64 v[192:193], v[192:193], v[207:208], v[211:212]
	v_div_fixup_f64 v[190:191], v[192:193], v[190:191], 1.0
	v_mul_f64 v[192:193], v[205:206], -v[190:191]
.LBB92_912:
	s_or_b32 exec_lo, exec_lo, s7
.LBB92_913:
	s_or_b32 exec_lo, exec_lo, s0
	s_mov_b32 s0, exec_lo
	v_cmpx_ne_u32_e64 v204, v198
	s_xor_b32 s0, exec_lo, s0
	s_cbranch_execz .LBB92_919
; %bb.914:
	s_mov_b32 s7, exec_lo
	v_cmpx_eq_u32_e32 43, v204
	s_cbranch_execz .LBB92_918
; %bb.915:
	v_cmp_ne_u32_e32 vcc_lo, 43, v198
	s_xor_b32 s8, s16, -1
	s_and_b32 s9, s8, vcc_lo
	s_and_saveexec_b32 s8, s9
	s_cbranch_execz .LBB92_917
; %bb.916:
	v_ashrrev_i32_e32 v199, 31, v198
	v_lshlrev_b64 v[204:205], 2, v[198:199]
	v_add_co_u32 v204, vcc_lo, v196, v204
	v_add_co_ci_u32_e64 v205, null, v197, v205, vcc_lo
	s_clause 0x1
	global_load_dword v0, v[204:205], off
	global_load_dword v199, v[196:197], off offset:172
	s_waitcnt vmcnt(1)
	global_store_dword v[196:197], v0, off offset:172
	s_waitcnt vmcnt(0)
	global_store_dword v[204:205], v199, off
.LBB92_917:
	s_or_b32 exec_lo, exec_lo, s8
	v_mov_b32_e32 v204, v198
	v_mov_b32_e32 v0, v198
.LBB92_918:
	s_or_b32 exec_lo, exec_lo, s7
.LBB92_919:
	s_andn2_saveexec_b32 s0, s0
	s_cbranch_execz .LBB92_921
; %bb.920:
	v_mov_b32_e32 v204, 43
	ds_write2_b64 v1, v[10:11], v[12:13] offset0:88 offset1:89
	ds_write2_b64 v1, v[6:7], v[8:9] offset0:90 offset1:91
	ds_write2_b64 v1, v[2:3], v[4:5] offset0:92 offset1:93
.LBB92_921:
	s_or_b32 exec_lo, exec_lo, s0
	s_mov_b32 s0, exec_lo
	s_waitcnt lgkmcnt(0)
	s_waitcnt_vscnt null, 0x0
	s_barrier
	buffer_gl0_inv
	v_cmpx_lt_i32_e32 43, v204
	s_cbranch_execz .LBB92_923
; %bb.922:
	v_mul_f64 v[198:199], v[190:191], v[16:17]
	v_mul_f64 v[16:17], v[192:193], v[16:17]
	ds_read2_b64 v[205:208], v1 offset0:88 offset1:89
	ds_read2_b64 v[209:212], v1 offset0:90 offset1:91
	;; [unrolled: 1-line block ×3, first 2 shown]
	v_fma_f64 v[192:193], v[192:193], v[14:15], v[198:199]
	v_fma_f64 v[14:15], v[190:191], v[14:15], -v[16:17]
	s_waitcnt lgkmcnt(2)
	v_mul_f64 v[16:17], v[207:208], v[192:193]
	v_mul_f64 v[190:191], v[205:206], v[192:193]
	s_waitcnt lgkmcnt(1)
	v_mul_f64 v[198:199], v[211:212], v[192:193]
	v_mul_f64 v[217:218], v[209:210], v[192:193]
	;; [unrolled: 3-line block ×3, first 2 shown]
	v_fma_f64 v[16:17], v[205:206], v[14:15], -v[16:17]
	v_fma_f64 v[190:191], v[207:208], v[14:15], v[190:191]
	v_fma_f64 v[198:199], v[209:210], v[14:15], -v[198:199]
	v_fma_f64 v[205:206], v[211:212], v[14:15], v[217:218]
	;; [unrolled: 2-line block ×3, first 2 shown]
	v_add_f64 v[10:11], v[10:11], -v[16:17]
	v_add_f64 v[12:13], v[12:13], -v[190:191]
	;; [unrolled: 1-line block ×6, first 2 shown]
	v_mov_b32_e32 v16, v192
	v_mov_b32_e32 v17, v193
.LBB92_923:
	s_or_b32 exec_lo, exec_lo, s0
	v_lshl_add_u32 v190, v204, 4, v1
	s_barrier
	buffer_gl0_inv
	v_mov_b32_e32 v198, 44
	ds_write2_b64 v190, v[10:11], v[12:13] offset1:1
	s_waitcnt lgkmcnt(0)
	s_barrier
	buffer_gl0_inv
	ds_read2_b64 v[190:193], v1 offset0:88 offset1:89
	s_cmp_lt_i32 s1, 46
	s_cbranch_scc1 .LBB92_926
; %bb.924:
	v_add3_u32 v199, v200, 0, 0x2d0
	v_mov_b32_e32 v198, 44
	s_mov_b32 s7, 45
	s_inst_prefetch 0x1
	.p2align	6
.LBB92_925:                             ; =>This Inner Loop Header: Depth=1
	s_waitcnt lgkmcnt(0)
	v_cmp_gt_f64_e32 vcc_lo, 0, v[192:193]
	v_cmp_gt_f64_e64 s0, 0, v[190:191]
	ds_read2_b64 v[205:208], v199 offset1:1
	v_xor_b32_e32 v210, 0x80000000, v191
	v_xor_b32_e32 v212, 0x80000000, v193
	v_mov_b32_e32 v209, v190
	v_mov_b32_e32 v211, v192
	v_add_nc_u32_e32 v199, 16, v199
	s_waitcnt lgkmcnt(0)
	v_xor_b32_e32 v214, 0x80000000, v208
	v_cndmask_b32_e64 v210, v191, v210, s0
	v_cndmask_b32_e32 v212, v193, v212, vcc_lo
	v_cmp_gt_f64_e32 vcc_lo, 0, v[207:208]
	v_cmp_gt_f64_e64 s0, 0, v[205:206]
	v_mov_b32_e32 v213, v207
	v_add_f64 v[209:210], v[209:210], v[211:212]
	v_xor_b32_e32 v212, 0x80000000, v206
	v_mov_b32_e32 v211, v205
	v_cndmask_b32_e32 v214, v208, v214, vcc_lo
	v_cndmask_b32_e64 v212, v206, v212, s0
	v_add_f64 v[211:212], v[211:212], v[213:214]
	v_cmp_lt_f64_e32 vcc_lo, v[209:210], v[211:212]
	v_cndmask_b32_e32 v191, v191, v206, vcc_lo
	v_cndmask_b32_e32 v190, v190, v205, vcc_lo
	;; [unrolled: 1-line block ×4, first 2 shown]
	v_cndmask_b32_e64 v198, v198, s7, vcc_lo
	s_add_i32 s7, s7, 1
	s_cmp_lg_u32 s1, s7
	s_cbranch_scc1 .LBB92_925
.LBB92_926:
	s_inst_prefetch 0x2
	s_waitcnt lgkmcnt(0)
	v_cmp_eq_f64_e32 vcc_lo, 0, v[190:191]
	v_cmp_eq_f64_e64 s0, 0, v[192:193]
	s_and_b32 s0, vcc_lo, s0
	s_and_saveexec_b32 s7, s0
	s_xor_b32 s0, exec_lo, s7
; %bb.927:
	v_cmp_ne_u32_e32 vcc_lo, 0, v203
	v_cndmask_b32_e32 v203, 45, v203, vcc_lo
; %bb.928:
	s_andn2_saveexec_b32 s0, s0
	s_cbranch_execz .LBB92_934
; %bb.929:
	v_cmp_ngt_f64_e64 s7, |v[190:191]|, |v[192:193]|
	s_and_saveexec_b32 s8, s7
	s_xor_b32 s7, exec_lo, s8
	s_cbranch_execz .LBB92_931
; %bb.930:
	v_div_scale_f64 v[205:206], null, v[192:193], v[192:193], v[190:191]
	v_div_scale_f64 v[211:212], vcc_lo, v[190:191], v[192:193], v[190:191]
	v_rcp_f64_e32 v[207:208], v[205:206]
	v_fma_f64 v[209:210], -v[205:206], v[207:208], 1.0
	v_fma_f64 v[207:208], v[207:208], v[209:210], v[207:208]
	v_fma_f64 v[209:210], -v[205:206], v[207:208], 1.0
	v_fma_f64 v[207:208], v[207:208], v[209:210], v[207:208]
	v_mul_f64 v[209:210], v[211:212], v[207:208]
	v_fma_f64 v[205:206], -v[205:206], v[209:210], v[211:212]
	v_div_fmas_f64 v[205:206], v[205:206], v[207:208], v[209:210]
	v_div_fixup_f64 v[205:206], v[205:206], v[192:193], v[190:191]
	v_fma_f64 v[190:191], v[190:191], v[205:206], v[192:193]
	v_div_scale_f64 v[192:193], null, v[190:191], v[190:191], 1.0
	v_rcp_f64_e32 v[207:208], v[192:193]
	v_fma_f64 v[209:210], -v[192:193], v[207:208], 1.0
	v_fma_f64 v[207:208], v[207:208], v[209:210], v[207:208]
	v_fma_f64 v[209:210], -v[192:193], v[207:208], 1.0
	v_fma_f64 v[207:208], v[207:208], v[209:210], v[207:208]
	v_div_scale_f64 v[209:210], vcc_lo, 1.0, v[190:191], 1.0
	v_mul_f64 v[211:212], v[209:210], v[207:208]
	v_fma_f64 v[192:193], -v[192:193], v[211:212], v[209:210]
	v_div_fmas_f64 v[192:193], v[192:193], v[207:208], v[211:212]
	v_div_fixup_f64 v[192:193], v[192:193], v[190:191], 1.0
	v_mul_f64 v[190:191], v[205:206], v[192:193]
	v_xor_b32_e32 v193, 0x80000000, v193
.LBB92_931:
	s_andn2_saveexec_b32 s7, s7
	s_cbranch_execz .LBB92_933
; %bb.932:
	v_div_scale_f64 v[205:206], null, v[190:191], v[190:191], v[192:193]
	v_div_scale_f64 v[211:212], vcc_lo, v[192:193], v[190:191], v[192:193]
	v_rcp_f64_e32 v[207:208], v[205:206]
	v_fma_f64 v[209:210], -v[205:206], v[207:208], 1.0
	v_fma_f64 v[207:208], v[207:208], v[209:210], v[207:208]
	v_fma_f64 v[209:210], -v[205:206], v[207:208], 1.0
	v_fma_f64 v[207:208], v[207:208], v[209:210], v[207:208]
	v_mul_f64 v[209:210], v[211:212], v[207:208]
	v_fma_f64 v[205:206], -v[205:206], v[209:210], v[211:212]
	v_div_fmas_f64 v[205:206], v[205:206], v[207:208], v[209:210]
	v_div_fixup_f64 v[205:206], v[205:206], v[190:191], v[192:193]
	v_fma_f64 v[190:191], v[192:193], v[205:206], v[190:191]
	v_div_scale_f64 v[192:193], null, v[190:191], v[190:191], 1.0
	v_rcp_f64_e32 v[207:208], v[192:193]
	v_fma_f64 v[209:210], -v[192:193], v[207:208], 1.0
	v_fma_f64 v[207:208], v[207:208], v[209:210], v[207:208]
	v_fma_f64 v[209:210], -v[192:193], v[207:208], 1.0
	v_fma_f64 v[207:208], v[207:208], v[209:210], v[207:208]
	v_div_scale_f64 v[209:210], vcc_lo, 1.0, v[190:191], 1.0
	v_mul_f64 v[211:212], v[209:210], v[207:208]
	v_fma_f64 v[192:193], -v[192:193], v[211:212], v[209:210]
	v_div_fmas_f64 v[192:193], v[192:193], v[207:208], v[211:212]
	v_div_fixup_f64 v[190:191], v[192:193], v[190:191], 1.0
	v_mul_f64 v[192:193], v[205:206], -v[190:191]
.LBB92_933:
	s_or_b32 exec_lo, exec_lo, s7
.LBB92_934:
	s_or_b32 exec_lo, exec_lo, s0
	s_mov_b32 s0, exec_lo
	v_cmpx_ne_u32_e64 v204, v198
	s_xor_b32 s0, exec_lo, s0
	s_cbranch_execz .LBB92_940
; %bb.935:
	s_mov_b32 s7, exec_lo
	v_cmpx_eq_u32_e32 44, v204
	s_cbranch_execz .LBB92_939
; %bb.936:
	v_cmp_ne_u32_e32 vcc_lo, 44, v198
	s_xor_b32 s8, s16, -1
	s_and_b32 s9, s8, vcc_lo
	s_and_saveexec_b32 s8, s9
	s_cbranch_execz .LBB92_938
; %bb.937:
	v_ashrrev_i32_e32 v199, 31, v198
	v_lshlrev_b64 v[204:205], 2, v[198:199]
	v_add_co_u32 v204, vcc_lo, v196, v204
	v_add_co_ci_u32_e64 v205, null, v197, v205, vcc_lo
	s_clause 0x1
	global_load_dword v0, v[204:205], off
	global_load_dword v199, v[196:197], off offset:176
	s_waitcnt vmcnt(1)
	global_store_dword v[196:197], v0, off offset:176
	s_waitcnt vmcnt(0)
	global_store_dword v[204:205], v199, off
.LBB92_938:
	s_or_b32 exec_lo, exec_lo, s8
	v_mov_b32_e32 v204, v198
	v_mov_b32_e32 v0, v198
.LBB92_939:
	s_or_b32 exec_lo, exec_lo, s7
.LBB92_940:
	s_andn2_saveexec_b32 s0, s0
	s_cbranch_execz .LBB92_942
; %bb.941:
	v_mov_b32_e32 v204, 44
	ds_write2_b64 v1, v[6:7], v[8:9] offset0:90 offset1:91
	ds_write2_b64 v1, v[2:3], v[4:5] offset0:92 offset1:93
.LBB92_942:
	s_or_b32 exec_lo, exec_lo, s0
	s_mov_b32 s0, exec_lo
	s_waitcnt lgkmcnt(0)
	s_waitcnt_vscnt null, 0x0
	s_barrier
	buffer_gl0_inv
	v_cmpx_lt_i32_e32 44, v204
	s_cbranch_execz .LBB92_944
; %bb.943:
	v_mul_f64 v[198:199], v[190:191], v[12:13]
	v_mul_f64 v[12:13], v[192:193], v[12:13]
	ds_read2_b64 v[205:208], v1 offset0:90 offset1:91
	ds_read2_b64 v[209:212], v1 offset0:92 offset1:93
	v_fma_f64 v[192:193], v[192:193], v[10:11], v[198:199]
	v_fma_f64 v[10:11], v[190:191], v[10:11], -v[12:13]
	s_waitcnt lgkmcnt(1)
	v_mul_f64 v[12:13], v[207:208], v[192:193]
	v_mul_f64 v[190:191], v[205:206], v[192:193]
	s_waitcnt lgkmcnt(0)
	v_mul_f64 v[198:199], v[211:212], v[192:193]
	v_mul_f64 v[213:214], v[209:210], v[192:193]
	v_fma_f64 v[12:13], v[205:206], v[10:11], -v[12:13]
	v_fma_f64 v[190:191], v[207:208], v[10:11], v[190:191]
	v_fma_f64 v[198:199], v[209:210], v[10:11], -v[198:199]
	v_fma_f64 v[205:206], v[211:212], v[10:11], v[213:214]
	v_add_f64 v[6:7], v[6:7], -v[12:13]
	v_add_f64 v[8:9], v[8:9], -v[190:191]
	;; [unrolled: 1-line block ×4, first 2 shown]
	v_mov_b32_e32 v12, v192
	v_mov_b32_e32 v13, v193
.LBB92_944:
	s_or_b32 exec_lo, exec_lo, s0
	v_lshl_add_u32 v190, v204, 4, v1
	s_barrier
	buffer_gl0_inv
	v_mov_b32_e32 v198, 45
	ds_write2_b64 v190, v[6:7], v[8:9] offset1:1
	s_waitcnt lgkmcnt(0)
	s_barrier
	buffer_gl0_inv
	ds_read2_b64 v[190:193], v1 offset0:90 offset1:91
	s_cmp_lt_i32 s1, 47
	s_cbranch_scc1 .LBB92_947
; %bb.945:
	v_add3_u32 v199, v200, 0, 0x2e0
	v_mov_b32_e32 v198, 45
	s_mov_b32 s7, 46
	s_inst_prefetch 0x1
	.p2align	6
.LBB92_946:                             ; =>This Inner Loop Header: Depth=1
	s_waitcnt lgkmcnt(0)
	v_cmp_gt_f64_e32 vcc_lo, 0, v[192:193]
	v_cmp_gt_f64_e64 s0, 0, v[190:191]
	ds_read2_b64 v[205:208], v199 offset1:1
	v_xor_b32_e32 v210, 0x80000000, v191
	v_xor_b32_e32 v212, 0x80000000, v193
	v_mov_b32_e32 v209, v190
	v_mov_b32_e32 v211, v192
	v_add_nc_u32_e32 v199, 16, v199
	s_waitcnt lgkmcnt(0)
	v_xor_b32_e32 v214, 0x80000000, v208
	v_cndmask_b32_e64 v210, v191, v210, s0
	v_cndmask_b32_e32 v212, v193, v212, vcc_lo
	v_cmp_gt_f64_e32 vcc_lo, 0, v[207:208]
	v_cmp_gt_f64_e64 s0, 0, v[205:206]
	v_mov_b32_e32 v213, v207
	v_add_f64 v[209:210], v[209:210], v[211:212]
	v_xor_b32_e32 v212, 0x80000000, v206
	v_mov_b32_e32 v211, v205
	v_cndmask_b32_e32 v214, v208, v214, vcc_lo
	v_cndmask_b32_e64 v212, v206, v212, s0
	v_add_f64 v[211:212], v[211:212], v[213:214]
	v_cmp_lt_f64_e32 vcc_lo, v[209:210], v[211:212]
	v_cndmask_b32_e32 v191, v191, v206, vcc_lo
	v_cndmask_b32_e32 v190, v190, v205, vcc_lo
	;; [unrolled: 1-line block ×4, first 2 shown]
	v_cndmask_b32_e64 v198, v198, s7, vcc_lo
	s_add_i32 s7, s7, 1
	s_cmp_lg_u32 s1, s7
	s_cbranch_scc1 .LBB92_946
.LBB92_947:
	s_inst_prefetch 0x2
	s_waitcnt lgkmcnt(0)
	v_cmp_eq_f64_e32 vcc_lo, 0, v[190:191]
	v_cmp_eq_f64_e64 s0, 0, v[192:193]
	s_and_b32 s0, vcc_lo, s0
	s_and_saveexec_b32 s7, s0
	s_xor_b32 s0, exec_lo, s7
; %bb.948:
	v_cmp_ne_u32_e32 vcc_lo, 0, v203
	v_cndmask_b32_e32 v203, 46, v203, vcc_lo
; %bb.949:
	s_andn2_saveexec_b32 s0, s0
	s_cbranch_execz .LBB92_955
; %bb.950:
	v_cmp_ngt_f64_e64 s7, |v[190:191]|, |v[192:193]|
	s_and_saveexec_b32 s8, s7
	s_xor_b32 s7, exec_lo, s8
	s_cbranch_execz .LBB92_952
; %bb.951:
	v_div_scale_f64 v[205:206], null, v[192:193], v[192:193], v[190:191]
	v_div_scale_f64 v[211:212], vcc_lo, v[190:191], v[192:193], v[190:191]
	v_rcp_f64_e32 v[207:208], v[205:206]
	v_fma_f64 v[209:210], -v[205:206], v[207:208], 1.0
	v_fma_f64 v[207:208], v[207:208], v[209:210], v[207:208]
	v_fma_f64 v[209:210], -v[205:206], v[207:208], 1.0
	v_fma_f64 v[207:208], v[207:208], v[209:210], v[207:208]
	v_mul_f64 v[209:210], v[211:212], v[207:208]
	v_fma_f64 v[205:206], -v[205:206], v[209:210], v[211:212]
	v_div_fmas_f64 v[205:206], v[205:206], v[207:208], v[209:210]
	v_div_fixup_f64 v[205:206], v[205:206], v[192:193], v[190:191]
	v_fma_f64 v[190:191], v[190:191], v[205:206], v[192:193]
	v_div_scale_f64 v[192:193], null, v[190:191], v[190:191], 1.0
	v_rcp_f64_e32 v[207:208], v[192:193]
	v_fma_f64 v[209:210], -v[192:193], v[207:208], 1.0
	v_fma_f64 v[207:208], v[207:208], v[209:210], v[207:208]
	v_fma_f64 v[209:210], -v[192:193], v[207:208], 1.0
	v_fma_f64 v[207:208], v[207:208], v[209:210], v[207:208]
	v_div_scale_f64 v[209:210], vcc_lo, 1.0, v[190:191], 1.0
	v_mul_f64 v[211:212], v[209:210], v[207:208]
	v_fma_f64 v[192:193], -v[192:193], v[211:212], v[209:210]
	v_div_fmas_f64 v[192:193], v[192:193], v[207:208], v[211:212]
	v_div_fixup_f64 v[192:193], v[192:193], v[190:191], 1.0
	v_mul_f64 v[190:191], v[205:206], v[192:193]
	v_xor_b32_e32 v193, 0x80000000, v193
.LBB92_952:
	s_andn2_saveexec_b32 s7, s7
	s_cbranch_execz .LBB92_954
; %bb.953:
	v_div_scale_f64 v[205:206], null, v[190:191], v[190:191], v[192:193]
	v_div_scale_f64 v[211:212], vcc_lo, v[192:193], v[190:191], v[192:193]
	v_rcp_f64_e32 v[207:208], v[205:206]
	v_fma_f64 v[209:210], -v[205:206], v[207:208], 1.0
	v_fma_f64 v[207:208], v[207:208], v[209:210], v[207:208]
	v_fma_f64 v[209:210], -v[205:206], v[207:208], 1.0
	v_fma_f64 v[207:208], v[207:208], v[209:210], v[207:208]
	v_mul_f64 v[209:210], v[211:212], v[207:208]
	v_fma_f64 v[205:206], -v[205:206], v[209:210], v[211:212]
	v_div_fmas_f64 v[205:206], v[205:206], v[207:208], v[209:210]
	v_div_fixup_f64 v[205:206], v[205:206], v[190:191], v[192:193]
	v_fma_f64 v[190:191], v[192:193], v[205:206], v[190:191]
	v_div_scale_f64 v[192:193], null, v[190:191], v[190:191], 1.0
	v_rcp_f64_e32 v[207:208], v[192:193]
	v_fma_f64 v[209:210], -v[192:193], v[207:208], 1.0
	v_fma_f64 v[207:208], v[207:208], v[209:210], v[207:208]
	v_fma_f64 v[209:210], -v[192:193], v[207:208], 1.0
	v_fma_f64 v[207:208], v[207:208], v[209:210], v[207:208]
	v_div_scale_f64 v[209:210], vcc_lo, 1.0, v[190:191], 1.0
	v_mul_f64 v[211:212], v[209:210], v[207:208]
	v_fma_f64 v[192:193], -v[192:193], v[211:212], v[209:210]
	v_div_fmas_f64 v[192:193], v[192:193], v[207:208], v[211:212]
	v_div_fixup_f64 v[190:191], v[192:193], v[190:191], 1.0
	v_mul_f64 v[192:193], v[205:206], -v[190:191]
.LBB92_954:
	s_or_b32 exec_lo, exec_lo, s7
.LBB92_955:
	s_or_b32 exec_lo, exec_lo, s0
	s_mov_b32 s0, exec_lo
	v_cmpx_ne_u32_e64 v204, v198
	s_xor_b32 s0, exec_lo, s0
	s_cbranch_execz .LBB92_961
; %bb.956:
	s_mov_b32 s7, exec_lo
	v_cmpx_eq_u32_e32 45, v204
	s_cbranch_execz .LBB92_960
; %bb.957:
	v_cmp_ne_u32_e32 vcc_lo, 45, v198
	s_xor_b32 s8, s16, -1
	s_and_b32 s9, s8, vcc_lo
	s_and_saveexec_b32 s8, s9
	s_cbranch_execz .LBB92_959
; %bb.958:
	v_ashrrev_i32_e32 v199, 31, v198
	v_lshlrev_b64 v[204:205], 2, v[198:199]
	v_add_co_u32 v204, vcc_lo, v196, v204
	v_add_co_ci_u32_e64 v205, null, v197, v205, vcc_lo
	s_clause 0x1
	global_load_dword v0, v[204:205], off
	global_load_dword v199, v[196:197], off offset:180
	s_waitcnt vmcnt(1)
	global_store_dword v[196:197], v0, off offset:180
	s_waitcnt vmcnt(0)
	global_store_dword v[204:205], v199, off
.LBB92_959:
	s_or_b32 exec_lo, exec_lo, s8
	v_mov_b32_e32 v204, v198
	v_mov_b32_e32 v0, v198
.LBB92_960:
	s_or_b32 exec_lo, exec_lo, s7
.LBB92_961:
	s_andn2_saveexec_b32 s0, s0
; %bb.962:
	v_mov_b32_e32 v204, 45
	ds_write2_b64 v1, v[2:3], v[4:5] offset0:92 offset1:93
; %bb.963:
	s_or_b32 exec_lo, exec_lo, s0
	s_mov_b32 s0, exec_lo
	s_waitcnt lgkmcnt(0)
	s_waitcnt_vscnt null, 0x0
	s_barrier
	buffer_gl0_inv
	v_cmpx_lt_i32_e32 45, v204
	s_cbranch_execz .LBB92_965
; %bb.964:
	v_mul_f64 v[198:199], v[190:191], v[8:9]
	v_mul_f64 v[8:9], v[192:193], v[8:9]
	ds_read2_b64 v[205:208], v1 offset0:92 offset1:93
	v_fma_f64 v[192:193], v[192:193], v[6:7], v[198:199]
	v_fma_f64 v[6:7], v[190:191], v[6:7], -v[8:9]
	s_waitcnt lgkmcnt(0)
	v_mul_f64 v[8:9], v[207:208], v[192:193]
	v_mul_f64 v[190:191], v[205:206], v[192:193]
	v_fma_f64 v[8:9], v[205:206], v[6:7], -v[8:9]
	v_fma_f64 v[190:191], v[207:208], v[6:7], v[190:191]
	v_add_f64 v[2:3], v[2:3], -v[8:9]
	v_add_f64 v[4:5], v[4:5], -v[190:191]
	v_mov_b32_e32 v8, v192
	v_mov_b32_e32 v9, v193
.LBB92_965:
	s_or_b32 exec_lo, exec_lo, s0
	v_lshl_add_u32 v190, v204, 4, v1
	s_barrier
	buffer_gl0_inv
	v_mov_b32_e32 v198, 46
	ds_write2_b64 v190, v[2:3], v[4:5] offset1:1
	s_waitcnt lgkmcnt(0)
	s_barrier
	buffer_gl0_inv
	ds_read2_b64 v[190:193], v1 offset0:92 offset1:93
	s_cmp_lt_i32 s1, 48
	s_cbranch_scc1 .LBB92_968
; %bb.966:
	v_add3_u32 v1, v200, 0, 0x2f0
	v_mov_b32_e32 v198, 46
	s_mov_b32 s7, 47
	s_inst_prefetch 0x1
	.p2align	6
.LBB92_967:                             ; =>This Inner Loop Header: Depth=1
	s_waitcnt lgkmcnt(0)
	v_cmp_gt_f64_e32 vcc_lo, 0, v[192:193]
	v_cmp_gt_f64_e64 s0, 0, v[190:191]
	ds_read2_b64 v[205:208], v1 offset1:1
	v_xor_b32_e32 v200, 0x80000000, v191
	v_xor_b32_e32 v210, 0x80000000, v193
	v_mov_b32_e32 v199, v190
	v_mov_b32_e32 v209, v192
	v_add_nc_u32_e32 v1, 16, v1
	s_waitcnt lgkmcnt(0)
	v_xor_b32_e32 v212, 0x80000000, v208
	v_cndmask_b32_e64 v200, v191, v200, s0
	v_cndmask_b32_e32 v210, v193, v210, vcc_lo
	v_cmp_gt_f64_e32 vcc_lo, 0, v[207:208]
	v_cmp_gt_f64_e64 s0, 0, v[205:206]
	v_mov_b32_e32 v211, v207
	v_add_f64 v[199:200], v[199:200], v[209:210]
	v_xor_b32_e32 v210, 0x80000000, v206
	v_mov_b32_e32 v209, v205
	v_cndmask_b32_e32 v212, v208, v212, vcc_lo
	v_cndmask_b32_e64 v210, v206, v210, s0
	v_add_f64 v[209:210], v[209:210], v[211:212]
	v_cmp_lt_f64_e32 vcc_lo, v[199:200], v[209:210]
	v_cndmask_b32_e32 v191, v191, v206, vcc_lo
	v_cndmask_b32_e32 v190, v190, v205, vcc_lo
	;; [unrolled: 1-line block ×4, first 2 shown]
	v_cndmask_b32_e64 v198, v198, s7, vcc_lo
	s_add_i32 s7, s7, 1
	s_cmp_lg_u32 s1, s7
	s_cbranch_scc1 .LBB92_967
.LBB92_968:
	s_inst_prefetch 0x2
	s_waitcnt lgkmcnt(0)
	v_cmp_eq_f64_e32 vcc_lo, 0, v[190:191]
	v_cmp_eq_f64_e64 s0, 0, v[192:193]
	s_and_b32 s0, vcc_lo, s0
	s_and_saveexec_b32 s1, s0
	s_xor_b32 s0, exec_lo, s1
; %bb.969:
	v_cmp_ne_u32_e32 vcc_lo, 0, v203
	v_cndmask_b32_e32 v203, 47, v203, vcc_lo
; %bb.970:
	s_andn2_saveexec_b32 s0, s0
	s_cbranch_execz .LBB92_976
; %bb.971:
	v_cmp_ngt_f64_e64 s1, |v[190:191]|, |v[192:193]|
	s_and_saveexec_b32 s7, s1
	s_xor_b32 s1, exec_lo, s7
	s_cbranch_execz .LBB92_973
; %bb.972:
	v_div_scale_f64 v[199:200], null, v[192:193], v[192:193], v[190:191]
	v_div_scale_f64 v[209:210], vcc_lo, v[190:191], v[192:193], v[190:191]
	v_rcp_f64_e32 v[205:206], v[199:200]
	v_fma_f64 v[207:208], -v[199:200], v[205:206], 1.0
	v_fma_f64 v[205:206], v[205:206], v[207:208], v[205:206]
	v_fma_f64 v[207:208], -v[199:200], v[205:206], 1.0
	v_fma_f64 v[205:206], v[205:206], v[207:208], v[205:206]
	v_mul_f64 v[207:208], v[209:210], v[205:206]
	v_fma_f64 v[199:200], -v[199:200], v[207:208], v[209:210]
	v_div_fmas_f64 v[199:200], v[199:200], v[205:206], v[207:208]
	v_div_fixup_f64 v[199:200], v[199:200], v[192:193], v[190:191]
	v_fma_f64 v[190:191], v[190:191], v[199:200], v[192:193]
	v_div_scale_f64 v[192:193], null, v[190:191], v[190:191], 1.0
	v_rcp_f64_e32 v[205:206], v[192:193]
	v_fma_f64 v[207:208], -v[192:193], v[205:206], 1.0
	v_fma_f64 v[205:206], v[205:206], v[207:208], v[205:206]
	v_fma_f64 v[207:208], -v[192:193], v[205:206], 1.0
	v_fma_f64 v[205:206], v[205:206], v[207:208], v[205:206]
	v_div_scale_f64 v[207:208], vcc_lo, 1.0, v[190:191], 1.0
	v_mul_f64 v[209:210], v[207:208], v[205:206]
	v_fma_f64 v[192:193], -v[192:193], v[209:210], v[207:208]
	v_div_fmas_f64 v[192:193], v[192:193], v[205:206], v[209:210]
	v_div_fixup_f64 v[192:193], v[192:193], v[190:191], 1.0
	v_mul_f64 v[190:191], v[199:200], v[192:193]
	v_xor_b32_e32 v193, 0x80000000, v193
.LBB92_973:
	s_andn2_saveexec_b32 s1, s1
	s_cbranch_execz .LBB92_975
; %bb.974:
	v_div_scale_f64 v[199:200], null, v[190:191], v[190:191], v[192:193]
	v_div_scale_f64 v[209:210], vcc_lo, v[192:193], v[190:191], v[192:193]
	v_rcp_f64_e32 v[205:206], v[199:200]
	v_fma_f64 v[207:208], -v[199:200], v[205:206], 1.0
	v_fma_f64 v[205:206], v[205:206], v[207:208], v[205:206]
	v_fma_f64 v[207:208], -v[199:200], v[205:206], 1.0
	v_fma_f64 v[205:206], v[205:206], v[207:208], v[205:206]
	v_mul_f64 v[207:208], v[209:210], v[205:206]
	v_fma_f64 v[199:200], -v[199:200], v[207:208], v[209:210]
	v_div_fmas_f64 v[199:200], v[199:200], v[205:206], v[207:208]
	v_div_fixup_f64 v[199:200], v[199:200], v[190:191], v[192:193]
	v_fma_f64 v[190:191], v[192:193], v[199:200], v[190:191]
	v_div_scale_f64 v[192:193], null, v[190:191], v[190:191], 1.0
	v_rcp_f64_e32 v[205:206], v[192:193]
	v_fma_f64 v[207:208], -v[192:193], v[205:206], 1.0
	v_fma_f64 v[205:206], v[205:206], v[207:208], v[205:206]
	v_fma_f64 v[207:208], -v[192:193], v[205:206], 1.0
	v_fma_f64 v[205:206], v[205:206], v[207:208], v[205:206]
	v_div_scale_f64 v[207:208], vcc_lo, 1.0, v[190:191], 1.0
	v_mul_f64 v[209:210], v[207:208], v[205:206]
	v_fma_f64 v[192:193], -v[192:193], v[209:210], v[207:208]
	v_div_fmas_f64 v[192:193], v[192:193], v[205:206], v[209:210]
	v_div_fixup_f64 v[190:191], v[192:193], v[190:191], 1.0
	v_mul_f64 v[192:193], v[199:200], -v[190:191]
.LBB92_975:
	s_or_b32 exec_lo, exec_lo, s1
.LBB92_976:
	s_or_b32 exec_lo, exec_lo, s0
	v_mov_b32_e32 v199, 46
	s_mov_b32 s0, exec_lo
	v_cmpx_ne_u32_e64 v204, v198
	s_cbranch_execz .LBB92_982
; %bb.977:
	s_mov_b32 s1, exec_lo
	v_cmpx_eq_u32_e32 46, v204
	s_cbranch_execz .LBB92_981
; %bb.978:
	v_cmp_ne_u32_e32 vcc_lo, 46, v198
	s_xor_b32 s7, s16, -1
	s_and_b32 s8, s7, vcc_lo
	s_and_saveexec_b32 s7, s8
	s_cbranch_execz .LBB92_980
; %bb.979:
	v_ashrrev_i32_e32 v199, 31, v198
	v_lshlrev_b64 v[0:1], 2, v[198:199]
	v_add_co_u32 v0, vcc_lo, v196, v0
	v_add_co_ci_u32_e64 v1, null, v197, v1, vcc_lo
	s_clause 0x1
	global_load_dword v199, v[0:1], off
	global_load_dword v200, v[196:197], off offset:184
	s_waitcnt vmcnt(1)
	global_store_dword v[196:197], v199, off offset:184
	s_waitcnt vmcnt(0)
	global_store_dword v[0:1], v200, off
.LBB92_980:
	s_or_b32 exec_lo, exec_lo, s7
	v_mov_b32_e32 v204, v198
	v_mov_b32_e32 v0, v198
.LBB92_981:
	s_or_b32 exec_lo, exec_lo, s1
	v_mov_b32_e32 v199, v204
.LBB92_982:
	s_or_b32 exec_lo, exec_lo, s0
	s_mov_b32 s0, exec_lo
	s_waitcnt_vscnt null, 0x0
	s_barrier
	buffer_gl0_inv
	v_cmpx_lt_i32_e32 46, v199
	s_cbranch_execz .LBB92_984
; %bb.983:
	v_mul_f64 v[196:197], v[192:193], v[4:5]
	v_mul_f64 v[4:5], v[190:191], v[4:5]
	v_fma_f64 v[190:191], v[190:191], v[2:3], -v[196:197]
	v_fma_f64 v[4:5], v[192:193], v[2:3], v[4:5]
	v_mov_b32_e32 v2, v190
	v_mov_b32_e32 v3, v191
.LBB92_984:
	s_or_b32 exec_lo, exec_lo, s0
	v_ashrrev_i32_e32 v200, 31, v199
	s_mov_b32 s0, exec_lo
	s_barrier
	buffer_gl0_inv
	v_cmpx_gt_i32_e32 47, v199
	s_cbranch_execz .LBB92_986
; %bb.985:
	v_mul_lo_u32 v1, s15, v194
	v_mul_lo_u32 v192, s14, v195
	v_mad_u64_u32 v[190:191], null, s14, v194, 0
	s_lshl_b64 s[8:9], s[12:13], 2
	v_add3_u32 v0, v0, s17, 1
	v_add3_u32 v191, v191, v192, v1
	v_lshlrev_b64 v[190:191], 2, v[190:191]
	v_add_co_u32 v1, vcc_lo, s10, v190
	v_add_co_ci_u32_e64 v192, null, s11, v191, vcc_lo
	v_lshlrev_b64 v[190:191], 2, v[199:200]
	v_add_co_u32 v1, vcc_lo, v1, s8
	v_add_co_ci_u32_e64 v192, null, s9, v192, vcc_lo
	v_add_co_u32 v190, vcc_lo, v1, v190
	v_add_co_ci_u32_e64 v191, null, v192, v191, vcc_lo
	global_store_dword v[190:191], v0, off
.LBB92_986:
	s_or_b32 exec_lo, exec_lo, s0
	s_mov_b32 s1, exec_lo
	v_cmpx_eq_u32_e32 0, v199
	s_cbranch_execz .LBB92_989
; %bb.987:
	v_lshlrev_b64 v[0:1], 2, v[194:195]
	v_cmp_ne_u32_e64 s0, 0, v203
	v_add_co_u32 v0, vcc_lo, s4, v0
	v_add_co_ci_u32_e64 v1, null, s5, v1, vcc_lo
	global_load_dword v190, v[0:1], off
	s_waitcnt vmcnt(0)
	v_cmp_eq_u32_e32 vcc_lo, 0, v190
	s_and_b32 s0, vcc_lo, s0
	s_and_b32 exec_lo, exec_lo, s0
	s_cbranch_execz .LBB92_989
; %bb.988:
	v_add_nc_u32_e32 v190, s17, v203
	global_store_dword v[0:1], v190, off
.LBB92_989:
	s_or_b32 exec_lo, exec_lo, s1
	v_add3_u32 v0, s6, s6, v199
	v_lshlrev_b64 v[190:191], 4, v[199:200]
	v_add_nc_u32_e32 v192, s6, v0
	v_ashrrev_i32_e32 v1, 31, v0
	v_add_co_u32 v190, vcc_lo, v201, v190
	v_add_co_ci_u32_e64 v191, null, v202, v191, vcc_lo
	v_add_nc_u32_e32 v196, s6, v192
	v_add_co_u32 v194, vcc_lo, v190, s2
	v_ashrrev_i32_e32 v193, 31, v192
	v_add_co_ci_u32_e64 v195, null, s3, v191, vcc_lo
	v_ashrrev_i32_e32 v197, 31, v196
	v_lshlrev_b64 v[0:1], 4, v[0:1]
	global_store_dwordx4 v[190:191], v[182:185], off
	global_store_dwordx4 v[194:195], v[186:189], off
	v_lshlrev_b64 v[182:183], 4, v[192:193]
	v_add_nc_u32_e32 v186, s6, v196
	v_lshlrev_b64 v[184:185], 4, v[196:197]
	v_add_co_u32 v0, vcc_lo, v201, v0
	v_add_co_ci_u32_e64 v1, null, v202, v1, vcc_lo
	v_add_co_u32 v182, vcc_lo, v201, v182
	v_add_co_ci_u32_e64 v183, null, v202, v183, vcc_lo
	v_add_co_u32 v184, vcc_lo, v201, v184
	v_add_nc_u32_e32 v188, s6, v186
	v_add_co_ci_u32_e64 v185, null, v202, v185, vcc_lo
	v_ashrrev_i32_e32 v187, 31, v186
	global_store_dwordx4 v[0:1], v[174:177], off
	v_ashrrev_i32_e32 v189, 31, v188
	global_store_dwordx4 v[182:183], v[170:173], off
	global_store_dwordx4 v[184:185], v[178:181], off
	v_add_nc_u32_e32 v172, s6, v188
	v_lshlrev_b64 v[0:1], 4, v[186:187]
	v_lshlrev_b64 v[170:171], 4, v[188:189]
	v_add_nc_u32_e32 v174, s6, v172
	v_ashrrev_i32_e32 v173, 31, v172
	v_add_co_u32 v0, vcc_lo, v201, v0
	v_add_co_ci_u32_e64 v1, null, v202, v1, vcc_lo
	v_add_nc_u32_e32 v176, s6, v174
	v_add_co_u32 v170, vcc_lo, v201, v170
	v_add_co_ci_u32_e64 v171, null, v202, v171, vcc_lo
	v_ashrrev_i32_e32 v175, 31, v174
	v_lshlrev_b64 v[172:173], 4, v[172:173]
	v_ashrrev_i32_e32 v177, 31, v176
	global_store_dwordx4 v[0:1], v[162:165], off
	global_store_dwordx4 v[170:171], v[166:169], off
	v_add_nc_u32_e32 v166, s6, v176
	v_lshlrev_b64 v[0:1], 4, v[174:175]
	v_add_co_u32 v162, vcc_lo, v201, v172
	v_lshlrev_b64 v[164:165], 4, v[176:177]
	v_add_co_ci_u32_e64 v163, null, v202, v173, vcc_lo
	v_add_nc_u32_e32 v168, s6, v166
	v_add_co_u32 v0, vcc_lo, v201, v0
	v_add_co_ci_u32_e64 v1, null, v202, v1, vcc_lo
	v_ashrrev_i32_e32 v167, 31, v166
	v_add_co_u32 v164, vcc_lo, v201, v164
	global_store_dwordx4 v[162:163], v[150:153], off
	v_add_nc_u32_e32 v152, s6, v168
	v_add_co_ci_u32_e64 v165, null, v202, v165, vcc_lo
	v_ashrrev_i32_e32 v169, 31, v168
	v_lshlrev_b64 v[150:151], 4, v[166:167]
	global_store_dwordx4 v[0:1], v[158:161], off
	global_store_dwordx4 v[164:165], v[154:157], off
	v_add_nc_u32_e32 v154, s6, v152
	v_ashrrev_i32_e32 v153, 31, v152
	v_lshlrev_b64 v[0:1], 4, v[168:169]
	v_add_co_u32 v150, vcc_lo, v201, v150
	v_add_nc_u32_e32 v156, s6, v154
	v_add_co_ci_u32_e64 v151, null, v202, v151, vcc_lo
	v_add_co_u32 v0, vcc_lo, v201, v0
	v_ashrrev_i32_e32 v155, 31, v154
	v_add_co_ci_u32_e64 v1, null, v202, v1, vcc_lo
	v_ashrrev_i32_e32 v157, 31, v156
	v_lshlrev_b64 v[152:153], 4, v[152:153]
	global_store_dwordx4 v[150:151], v[146:149], off
	global_store_dwordx4 v[0:1], v[142:145], off
	v_lshlrev_b64 v[0:1], 4, v[154:155]
	v_add_nc_u32_e32 v146, s6, v156
	v_lshlrev_b64 v[144:145], 4, v[156:157]
	v_add_co_u32 v142, vcc_lo, v201, v152
	v_add_co_ci_u32_e64 v143, null, v202, v153, vcc_lo
	v_add_co_u32 v0, vcc_lo, v201, v0
	v_add_co_ci_u32_e64 v1, null, v202, v1, vcc_lo
	v_ashrrev_i32_e32 v147, 31, v146
	v_add_co_u32 v144, vcc_lo, v201, v144
	v_add_nc_u32_e32 v148, s6, v146
	v_add_co_ci_u32_e64 v145, null, v202, v145, vcc_lo
	global_store_dwordx4 v[142:143], v[134:137], off
	v_lshlrev_b64 v[134:135], 4, v[146:147]
	v_ashrrev_i32_e32 v149, 31, v148
	global_store_dwordx4 v[0:1], v[130:133], off
	global_store_dwordx4 v[144:145], v[138:141], off
	v_add_nc_u32_e32 v130, s6, v148
	v_lshlrev_b64 v[0:1], 4, v[148:149]
	v_add_co_u32 v132, vcc_lo, v201, v134
	v_add_nc_u32_e32 v134, s6, v130
	v_ashrrev_i32_e32 v131, 31, v130
	v_add_co_ci_u32_e64 v133, null, v202, v135, vcc_lo
	v_add_co_u32 v0, vcc_lo, v201, v0
	v_add_nc_u32_e32 v136, s6, v134
	v_add_co_ci_u32_e64 v1, null, v202, v1, vcc_lo
	v_ashrrev_i32_e32 v135, 31, v134
	v_lshlrev_b64 v[130:131], 4, v[130:131]
	v_ashrrev_i32_e32 v137, 31, v136
	global_store_dwordx4 v[132:133], v[122:125], off
	global_store_dwordx4 v[0:1], v[126:129], off
	v_add_nc_u32_e32 v126, s6, v136
	v_lshlrev_b64 v[0:1], 4, v[134:135]
	v_add_co_u32 v122, vcc_lo, v201, v130
	v_lshlrev_b64 v[124:125], 4, v[136:137]
	v_add_co_ci_u32_e64 v123, null, v202, v131, vcc_lo
	v_add_nc_u32_e32 v128, s6, v126
	v_add_co_u32 v0, vcc_lo, v201, v0
	v_add_co_ci_u32_e64 v1, null, v202, v1, vcc_lo
	v_ashrrev_i32_e32 v127, 31, v126
	v_add_co_u32 v124, vcc_lo, v201, v124
	global_store_dwordx4 v[122:123], v[106:109], off
	v_add_nc_u32_e32 v108, s6, v128
	v_add_co_ci_u32_e64 v125, null, v202, v125, vcc_lo
	v_ashrrev_i32_e32 v129, 31, v128
	v_lshlrev_b64 v[106:107], 4, v[126:127]
	global_store_dwordx4 v[0:1], v[118:121], off
	global_store_dwordx4 v[124:125], v[114:117], off
	v_add_nc_u32_e32 v114, s6, v108
	v_ashrrev_i32_e32 v109, 31, v108
	v_lshlrev_b64 v[0:1], 4, v[128:129]
	v_add_co_u32 v106, vcc_lo, v201, v106
	v_add_nc_u32_e32 v116, s6, v114
	v_add_co_ci_u32_e64 v107, null, v202, v107, vcc_lo
	v_add_co_u32 v0, vcc_lo, v201, v0
	v_ashrrev_i32_e32 v115, 31, v114
	v_add_co_ci_u32_e64 v1, null, v202, v1, vcc_lo
	v_ashrrev_i32_e32 v117, 31, v116
	v_lshlrev_b64 v[108:109], 4, v[108:109]
	global_store_dwordx4 v[106:107], v[102:105], off
	global_store_dwordx4 v[0:1], v[98:101], off
	v_lshlrev_b64 v[0:1], 4, v[114:115]
	v_add_nc_u32_e32 v102, s6, v116
	v_lshlrev_b64 v[100:101], 4, v[116:117]
	v_add_co_u32 v98, vcc_lo, v201, v108
	v_add_co_ci_u32_e64 v99, null, v202, v109, vcc_lo
	v_add_co_u32 v0, vcc_lo, v201, v0
	v_add_co_ci_u32_e64 v1, null, v202, v1, vcc_lo
	v_ashrrev_i32_e32 v103, 31, v102
	v_add_co_u32 v100, vcc_lo, v201, v100
	v_add_nc_u32_e32 v104, s6, v102
	v_add_co_ci_u32_e64 v101, null, v202, v101, vcc_lo
	global_store_dwordx4 v[98:99], v[78:81], off
	v_lshlrev_b64 v[78:79], 4, v[102:103]
	global_store_dwordx4 v[0:1], v[74:77], off
	global_store_dwordx4 v[100:101], v[82:85], off
	v_add_nc_u32_e32 v74, s6, v104
	v_ashrrev_i32_e32 v105, 31, v104
	v_add_co_u32 v76, vcc_lo, v201, v78
	v_add_nc_u32_e32 v78, s6, v74
	v_lshlrev_b64 v[0:1], 4, v[104:105]
	v_ashrrev_i32_e32 v75, 31, v74
	v_add_co_ci_u32_e64 v77, null, v202, v79, vcc_lo
	v_add_nc_u32_e32 v80, s6, v78
	v_ashrrev_i32_e32 v79, 31, v78
	v_add_co_u32 v0, vcc_lo, v201, v0
	v_add_co_ci_u32_e64 v1, null, v202, v1, vcc_lo
	v_ashrrev_i32_e32 v81, 31, v80
	v_lshlrev_b64 v[74:75], 4, v[74:75]
	global_store_dwordx4 v[76:77], v[62:65], off
	global_store_dwordx4 v[0:1], v[110:113], off
	v_lshlrev_b64 v[0:1], 4, v[78:79]
	v_lshlrev_b64 v[64:65], 4, v[80:81]
	v_add_co_u32 v62, vcc_lo, v201, v74
	v_add_nc_u32_e32 v74, s6, v80
	v_add_co_ci_u32_e64 v63, null, v202, v75, vcc_lo
	v_add_co_u32 v0, vcc_lo, v201, v0
	v_add_co_ci_u32_e64 v1, null, v202, v1, vcc_lo
	v_add_co_u32 v64, vcc_lo, v201, v64
	v_add_nc_u32_e32 v76, s6, v74
	v_add_co_ci_u32_e64 v65, null, v202, v65, vcc_lo
	v_ashrrev_i32_e32 v75, 31, v74
	global_store_dwordx4 v[62:63], v[94:97], off
	global_store_dwordx4 v[0:1], v[90:93], off
	;; [unrolled: 1-line block ×3, first 2 shown]
	v_add_nc_u32_e32 v64, s6, v76
	v_ashrrev_i32_e32 v77, 31, v76
	v_lshlrev_b64 v[62:63], 4, v[74:75]
	v_add_nc_u32_e32 v74, s6, v64
	v_lshlrev_b64 v[0:1], 4, v[76:77]
	v_ashrrev_i32_e32 v65, 31, v64
	v_add_co_u32 v62, vcc_lo, v201, v62
	v_add_nc_u32_e32 v76, s6, v74
	v_add_co_ci_u32_e64 v63, null, v202, v63, vcc_lo
	v_add_co_u32 v0, vcc_lo, v201, v0
	v_lshlrev_b64 v[64:65], 4, v[64:65]
	v_ashrrev_i32_e32 v75, 31, v74
	v_add_co_ci_u32_e64 v1, null, v202, v1, vcc_lo
	v_ashrrev_i32_e32 v77, 31, v76
	global_store_dwordx4 v[62:63], v[70:73], off
	global_store_dwordx4 v[0:1], v[66:69], off
	v_lshlrev_b64 v[0:1], 4, v[74:75]
	v_add_co_u32 v62, vcc_lo, v201, v64
	v_add_co_ci_u32_e64 v63, null, v202, v65, vcc_lo
	v_lshlrev_b64 v[64:65], 4, v[76:77]
	v_add_nc_u32_e32 v66, s6, v76
	v_add_co_u32 v0, vcc_lo, v201, v0
	v_add_co_ci_u32_e64 v1, null, v202, v1, vcc_lo
	v_add_co_u32 v64, vcc_lo, v201, v64
	v_add_nc_u32_e32 v68, s6, v66
	v_add_co_ci_u32_e64 v65, null, v202, v65, vcc_lo
	v_ashrrev_i32_e32 v67, 31, v66
	global_store_dwordx4 v[62:63], v[58:61], off
	global_store_dwordx4 v[0:1], v[54:57], off
	;; [unrolled: 1-line block ×3, first 2 shown]
	v_add_nc_u32_e32 v50, s6, v68
	v_ashrrev_i32_e32 v69, 31, v68
	v_lshlrev_b64 v[58:59], 4, v[66:67]
	v_add_nc_u32_e32 v54, s6, v50
	v_lshlrev_b64 v[0:1], 4, v[68:69]
	v_ashrrev_i32_e32 v51, 31, v50
	v_add_co_u32 v52, vcc_lo, v201, v58
	v_add_nc_u32_e32 v56, s6, v54
	v_add_co_ci_u32_e64 v53, null, v202, v59, vcc_lo
	v_add_co_u32 v0, vcc_lo, v201, v0
	v_ashrrev_i32_e32 v55, 31, v54
	v_add_co_ci_u32_e64 v1, null, v202, v1, vcc_lo
	v_ashrrev_i32_e32 v57, 31, v56
	v_lshlrev_b64 v[50:51], 4, v[50:51]
	global_store_dwordx4 v[52:53], v[46:49], off
	global_store_dwordx4 v[0:1], v[42:45], off
	v_lshlrev_b64 v[0:1], 4, v[54:55]
	v_add_nc_u32_e32 v46, s6, v56
	v_lshlrev_b64 v[44:45], 4, v[56:57]
	v_add_co_u32 v42, vcc_lo, v201, v50
	v_add_co_ci_u32_e64 v43, null, v202, v51, vcc_lo
	v_add_co_u32 v0, vcc_lo, v201, v0
	v_add_nc_u32_e32 v48, s6, v46
	v_add_co_ci_u32_e64 v1, null, v202, v1, vcc_lo
	v_add_co_u32 v44, vcc_lo, v201, v44
	v_ashrrev_i32_e32 v47, 31, v46
	v_add_co_ci_u32_e64 v45, null, v202, v45, vcc_lo
	v_ashrrev_i32_e32 v49, 31, v48
	global_store_dwordx4 v[42:43], v[38:41], off
	v_lshlrev_b64 v[38:39], 4, v[46:47]
	global_store_dwordx4 v[0:1], v[34:37], off
	global_store_dwordx4 v[44:45], v[30:33], off
	v_add_nc_u32_e32 v30, s6, v48
	v_lshlrev_b64 v[0:1], 4, v[48:49]
	v_add_co_u32 v32, vcc_lo, v201, v38
	v_add_nc_u32_e32 v34, s6, v30
	v_add_co_ci_u32_e64 v33, null, v202, v39, vcc_lo
	v_add_co_u32 v0, vcc_lo, v201, v0
	v_add_co_ci_u32_e64 v1, null, v202, v1, vcc_lo
	v_add_nc_u32_e32 v36, s6, v34
	v_ashrrev_i32_e32 v31, 31, v30
	global_store_dwordx4 v[32:33], v[26:29], off
	global_store_dwordx4 v[0:1], v[22:25], off
	v_ashrrev_i32_e32 v35, 31, v34
	v_add_nc_u32_e32 v22, s6, v36
	v_lshlrev_b64 v[26:27], 4, v[30:31]
	v_ashrrev_i32_e32 v37, 31, v36
	v_lshlrev_b64 v[0:1], 4, v[34:35]
	v_add_nc_u32_e32 v28, s6, v22
	v_ashrrev_i32_e32 v23, 31, v22
	v_add_co_u32 v24, vcc_lo, v201, v26
	v_add_co_ci_u32_e64 v25, null, v202, v27, vcc_lo
	v_ashrrev_i32_e32 v29, 31, v28
	v_lshlrev_b64 v[26:27], 4, v[36:37]
	v_lshlrev_b64 v[22:23], 4, v[22:23]
	v_add_co_u32 v0, vcc_lo, v201, v0
	v_lshlrev_b64 v[28:29], 4, v[28:29]
	v_add_co_ci_u32_e64 v1, null, v202, v1, vcc_lo
	v_add_co_u32 v26, vcc_lo, v201, v26
	v_add_co_ci_u32_e64 v27, null, v202, v27, vcc_lo
	v_add_co_u32 v22, vcc_lo, v201, v22
	;; [unrolled: 2-line block ×3, first 2 shown]
	v_add_co_ci_u32_e64 v29, null, v202, v29, vcc_lo
	global_store_dwordx4 v[24:25], v[18:21], off
	global_store_dwordx4 v[0:1], v[14:17], off
	;; [unrolled: 1-line block ×5, first 2 shown]
.LBB92_990:
	s_endpgm
	.section	.rodata,"a",@progbits
	.p2align	6, 0x0
	.amdhsa_kernel _ZN9rocsolver6v33100L18getf2_small_kernelILi47E19rocblas_complex_numIdEiiPS3_EEvT1_T3_lS5_lPS5_llPT2_S5_S5_S7_l
		.amdhsa_group_segment_fixed_size 0
		.amdhsa_private_segment_fixed_size 0
		.amdhsa_kernarg_size 352
		.amdhsa_user_sgpr_count 6
		.amdhsa_user_sgpr_private_segment_buffer 1
		.amdhsa_user_sgpr_dispatch_ptr 0
		.amdhsa_user_sgpr_queue_ptr 0
		.amdhsa_user_sgpr_kernarg_segment_ptr 1
		.amdhsa_user_sgpr_dispatch_id 0
		.amdhsa_user_sgpr_flat_scratch_init 0
		.amdhsa_user_sgpr_private_segment_size 0
		.amdhsa_wavefront_size32 1
		.amdhsa_uses_dynamic_stack 0
		.amdhsa_system_sgpr_private_segment_wavefront_offset 0
		.amdhsa_system_sgpr_workgroup_id_x 1
		.amdhsa_system_sgpr_workgroup_id_y 1
		.amdhsa_system_sgpr_workgroup_id_z 0
		.amdhsa_system_sgpr_workgroup_info 0
		.amdhsa_system_vgpr_workitem_id 1
		.amdhsa_next_free_vgpr 247
		.amdhsa_next_free_sgpr 18
		.amdhsa_reserve_vcc 1
		.amdhsa_reserve_flat_scratch 0
		.amdhsa_float_round_mode_32 0
		.amdhsa_float_round_mode_16_64 0
		.amdhsa_float_denorm_mode_32 3
		.amdhsa_float_denorm_mode_16_64 3
		.amdhsa_dx10_clamp 1
		.amdhsa_ieee_mode 1
		.amdhsa_fp16_overflow 0
		.amdhsa_workgroup_processor_mode 1
		.amdhsa_memory_ordered 1
		.amdhsa_forward_progress 1
		.amdhsa_shared_vgpr_count 0
		.amdhsa_exception_fp_ieee_invalid_op 0
		.amdhsa_exception_fp_denorm_src 0
		.amdhsa_exception_fp_ieee_div_zero 0
		.amdhsa_exception_fp_ieee_overflow 0
		.amdhsa_exception_fp_ieee_underflow 0
		.amdhsa_exception_fp_ieee_inexact 0
		.amdhsa_exception_int_div_zero 0
	.end_amdhsa_kernel
	.section	.text._ZN9rocsolver6v33100L18getf2_small_kernelILi47E19rocblas_complex_numIdEiiPS3_EEvT1_T3_lS5_lPS5_llPT2_S5_S5_S7_l,"axG",@progbits,_ZN9rocsolver6v33100L18getf2_small_kernelILi47E19rocblas_complex_numIdEiiPS3_EEvT1_T3_lS5_lPS5_llPT2_S5_S5_S7_l,comdat
.Lfunc_end92:
	.size	_ZN9rocsolver6v33100L18getf2_small_kernelILi47E19rocblas_complex_numIdEiiPS3_EEvT1_T3_lS5_lPS5_llPT2_S5_S5_S7_l, .Lfunc_end92-_ZN9rocsolver6v33100L18getf2_small_kernelILi47E19rocblas_complex_numIdEiiPS3_EEvT1_T3_lS5_lPS5_llPT2_S5_S5_S7_l
                                        ; -- End function
	.set _ZN9rocsolver6v33100L18getf2_small_kernelILi47E19rocblas_complex_numIdEiiPS3_EEvT1_T3_lS5_lPS5_llPT2_S5_S5_S7_l.num_vgpr, 247
	.set _ZN9rocsolver6v33100L18getf2_small_kernelILi47E19rocblas_complex_numIdEiiPS3_EEvT1_T3_lS5_lPS5_llPT2_S5_S5_S7_l.num_agpr, 0
	.set _ZN9rocsolver6v33100L18getf2_small_kernelILi47E19rocblas_complex_numIdEiiPS3_EEvT1_T3_lS5_lPS5_llPT2_S5_S5_S7_l.numbered_sgpr, 18
	.set _ZN9rocsolver6v33100L18getf2_small_kernelILi47E19rocblas_complex_numIdEiiPS3_EEvT1_T3_lS5_lPS5_llPT2_S5_S5_S7_l.num_named_barrier, 0
	.set _ZN9rocsolver6v33100L18getf2_small_kernelILi47E19rocblas_complex_numIdEiiPS3_EEvT1_T3_lS5_lPS5_llPT2_S5_S5_S7_l.private_seg_size, 0
	.set _ZN9rocsolver6v33100L18getf2_small_kernelILi47E19rocblas_complex_numIdEiiPS3_EEvT1_T3_lS5_lPS5_llPT2_S5_S5_S7_l.uses_vcc, 1
	.set _ZN9rocsolver6v33100L18getf2_small_kernelILi47E19rocblas_complex_numIdEiiPS3_EEvT1_T3_lS5_lPS5_llPT2_S5_S5_S7_l.uses_flat_scratch, 0
	.set _ZN9rocsolver6v33100L18getf2_small_kernelILi47E19rocblas_complex_numIdEiiPS3_EEvT1_T3_lS5_lPS5_llPT2_S5_S5_S7_l.has_dyn_sized_stack, 0
	.set _ZN9rocsolver6v33100L18getf2_small_kernelILi47E19rocblas_complex_numIdEiiPS3_EEvT1_T3_lS5_lPS5_llPT2_S5_S5_S7_l.has_recursion, 0
	.set _ZN9rocsolver6v33100L18getf2_small_kernelILi47E19rocblas_complex_numIdEiiPS3_EEvT1_T3_lS5_lPS5_llPT2_S5_S5_S7_l.has_indirect_call, 0
	.section	.AMDGPU.csdata,"",@progbits
; Kernel info:
; codeLenInByte = 123976
; TotalNumSgprs: 20
; NumVgprs: 247
; ScratchSize: 0
; MemoryBound: 0
; FloatMode: 240
; IeeeMode: 1
; LDSByteSize: 0 bytes/workgroup (compile time only)
; SGPRBlocks: 0
; VGPRBlocks: 30
; NumSGPRsForWavesPerEU: 20
; NumVGPRsForWavesPerEU: 247
; Occupancy: 4
; WaveLimiterHint : 0
; COMPUTE_PGM_RSRC2:SCRATCH_EN: 0
; COMPUTE_PGM_RSRC2:USER_SGPR: 6
; COMPUTE_PGM_RSRC2:TRAP_HANDLER: 0
; COMPUTE_PGM_RSRC2:TGID_X_EN: 1
; COMPUTE_PGM_RSRC2:TGID_Y_EN: 1
; COMPUTE_PGM_RSRC2:TGID_Z_EN: 0
; COMPUTE_PGM_RSRC2:TIDIG_COMP_CNT: 1
	.section	.text._ZN9rocsolver6v33100L23getf2_npvt_small_kernelILi47E19rocblas_complex_numIdEiiPS3_EEvT1_T3_lS5_lPT2_S5_S5_,"axG",@progbits,_ZN9rocsolver6v33100L23getf2_npvt_small_kernelILi47E19rocblas_complex_numIdEiiPS3_EEvT1_T3_lS5_lPT2_S5_S5_,comdat
	.globl	_ZN9rocsolver6v33100L23getf2_npvt_small_kernelILi47E19rocblas_complex_numIdEiiPS3_EEvT1_T3_lS5_lPT2_S5_S5_ ; -- Begin function _ZN9rocsolver6v33100L23getf2_npvt_small_kernelILi47E19rocblas_complex_numIdEiiPS3_EEvT1_T3_lS5_lPT2_S5_S5_
	.p2align	8
	.type	_ZN9rocsolver6v33100L23getf2_npvt_small_kernelILi47E19rocblas_complex_numIdEiiPS3_EEvT1_T3_lS5_lPT2_S5_S5_,@function
_ZN9rocsolver6v33100L23getf2_npvt_small_kernelILi47E19rocblas_complex_numIdEiiPS3_EEvT1_T3_lS5_lPT2_S5_S5_: ; @_ZN9rocsolver6v33100L23getf2_npvt_small_kernelILi47E19rocblas_complex_numIdEiiPS3_EEvT1_T3_lS5_lPT2_S5_S5_
; %bb.0:
	s_mov_b64 s[18:19], s[2:3]
	s_mov_b64 s[16:17], s[0:1]
	s_clause 0x1
	s_load_dword s0, s[4:5], 0x44
	s_load_dwordx2 s[12:13], s[4:5], 0x30
	s_add_u32 s16, s16, s8
	s_addc_u32 s17, s17, 0
	s_waitcnt lgkmcnt(0)
	s_lshr_b32 s14, s0, 16
	s_mov_b32 s0, exec_lo
	v_mad_u64_u32 v[2:3], null, s7, s14, v[1:2]
	v_cmpx_gt_i32_e64 s12, v2
	s_cbranch_execz .LBB93_428
; %bb.1:
	s_clause 0x2
	s_load_dwordx4 s[8:11], s[4:5], 0x20
	s_load_dword s6, s[4:5], 0x18
	s_load_dwordx4 s[0:3], s[4:5], 0x8
	v_ashrrev_i32_e32 v3, 31, v2
	v_mad_u32_u24 v253, 0x2f0, v1, 0
	v_lshlrev_b32_e32 v1, 4, v1
	s_mulk_i32 s14, 0x2f0
	v_add3_u32 v255, 0, s14, v1
	s_waitcnt lgkmcnt(0)
	v_mul_lo_u32 v5, s9, v2
	v_mul_lo_u32 v7, s8, v3
	buffer_store_dword v2, off, s[16:19], 0 offset:904 ; 4-byte Folded Spill
	buffer_store_dword v3, off, s[16:19], 0 offset:908 ; 4-byte Folded Spill
	v_add3_u32 v4, s6, s6, v0
	s_lshl_b64 s[2:3], s[2:3], 4
	s_ashr_i32 s7, s6, 31
	v_add_nc_u32_e32 v6, s6, v4
	v_add_nc_u32_e32 v8, s6, v6
	;; [unrolled: 1-line block ×3, first 2 shown]
	v_ashrrev_i32_e32 v9, 31, v8
	v_add_nc_u32_e32 v12, s6, v10
	v_ashrrev_i32_e32 v11, 31, v10
	v_lshlrev_b64 v[8:9], 4, v[8:9]
	v_add_nc_u32_e32 v14, s6, v12
	v_ashrrev_i32_e32 v13, 31, v12
	v_lshlrev_b64 v[10:11], 4, v[10:11]
	v_ashrrev_i32_e32 v15, 31, v14
	v_mad_u64_u32 v[2:3], null, s8, v2, 0
	v_add3_u32 v3, v3, v7, v5
	v_ashrrev_i32_e32 v5, 31, v4
	v_ashrrev_i32_e32 v7, 31, v6
	v_lshlrev_b64 v[2:3], 4, v[2:3]
	v_lshlrev_b64 v[4:5], 4, v[4:5]
	;; [unrolled: 1-line block ×3, first 2 shown]
	v_add_co_u32 v2, vcc_lo, s0, v2
	v_add_co_ci_u32_e64 v3, null, s1, v3, vcc_lo
	s_lshl_b64 s[0:1], s[6:7], 4
	v_add_co_u32 v2, vcc_lo, v2, s2
	v_add_co_ci_u32_e64 v3, null, s3, v3, vcc_lo
	v_add_co_u32 v18, vcc_lo, v2, v4
	v_add_co_ci_u32_e64 v19, null, v3, v5, vcc_lo
	v_add_co_u32 v16, vcc_lo, v2, v6
	v_add_nc_u32_e32 v6, s6, v14
	v_lshlrev_b64 v[4:5], 4, v[12:13]
	v_add_co_ci_u32_e64 v17, null, v3, v7, vcc_lo
	v_add_co_u32 v68, vcc_lo, v2, v8
	v_add_co_ci_u32_e64 v69, null, v3, v9, vcc_lo
	v_add_co_u32 v12, vcc_lo, v2, v10
	v_ashrrev_i32_e32 v7, 31, v6
	v_add_nc_u32_e32 v10, s6, v6
	v_lshlrev_b64 v[8:9], 4, v[14:15]
	v_add_co_ci_u32_e64 v13, null, v3, v11, vcc_lo
	v_add_co_u32 v14, vcc_lo, v2, v4
	v_add_co_ci_u32_e64 v15, null, v3, v5, vcc_lo
	v_lshlrev_b64 v[4:5], 4, v[6:7]
	v_ashrrev_i32_e32 v11, 31, v10
	v_add_nc_u32_e32 v6, s6, v10
	v_add_co_u32 v20, vcc_lo, v2, v8
	v_add_co_ci_u32_e64 v21, null, v3, v9, vcc_lo
	v_lshlrev_b64 v[8:9], 4, v[10:11]
	v_ashrrev_i32_e32 v7, 31, v6
	v_add_nc_u32_e32 v10, s6, v6
	;; [unrolled: 5-line block ×36, first 2 shown]
	v_add_co_u32 v211, vcc_lo, v2, v4
	v_add_co_ci_u32_e64 v212, null, v3, v5, vcc_lo
	v_lshlrev_b64 v[4:5], 4, v[6:7]
	v_add_nc_u32_e32 v6, s6, v10
	v_ashrrev_i32_e32 v11, 31, v10
	v_add_co_u32 v215, vcc_lo, v2, v8
	v_add_co_ci_u32_e64 v216, null, v3, v9, vcc_lo
	v_ashrrev_i32_e32 v7, 31, v6
	v_lshlrev_b64 v[8:9], 4, v[10:11]
	v_add_co_u32 v10, vcc_lo, v2, v4
	v_add_co_ci_u32_e64 v11, null, v3, v5, vcc_lo
	v_lshlrev_b64 v[4:5], 4, v[6:7]
	v_lshlrev_b32_e32 v6, 4, v0
	v_add_co_u32 v7, vcc_lo, v2, v8
	v_add_co_ci_u32_e64 v8, null, v3, v9, vcc_lo
	v_add_co_u32 v213, vcc_lo, v2, v4
	v_add_co_ci_u32_e64 v214, null, v3, v5, vcc_lo
	;; [unrolled: 2-line block ×4, first 2 shown]
	buffer_store_dword v2, off, s[16:19], 0 offset:352 ; 4-byte Folded Spill
	buffer_store_dword v3, off, s[16:19], 0 offset:356 ; 4-byte Folded Spill
	v_cmp_ne_u32_e64 s1, 0, v0
	v_cmp_eq_u32_e64 s0, 0, v0
	global_load_dwordx4 v[185:188], v[2:3], off
	buffer_store_dword v4, off, s[16:19], 0 offset:360 ; 4-byte Folded Spill
	buffer_store_dword v5, off, s[16:19], 0 offset:364 ; 4-byte Folded Spill
	global_load_dwordx4 v[181:184], v[4:5], off
	buffer_store_dword v18, off, s[16:19], 0 offset:8 ; 4-byte Folded Spill
	buffer_store_dword v19, off, s[16:19], 0 offset:12 ; 4-byte Folded Spill
	global_load_dwordx4 v[177:180], v[18:19], off
	buffer_store_dword v16, off, s[16:19], 0 ; 4-byte Folded Spill
	buffer_store_dword v17, off, s[16:19], 0 offset:4 ; 4-byte Folded Spill
	global_load_dwordx4 v[173:176], v[16:17], off
	buffer_store_dword v68, off, s[16:19], 0 offset:896 ; 4-byte Folded Spill
	buffer_store_dword v69, off, s[16:19], 0 offset:900 ; 4-byte Folded Spill
	global_load_dwordx4 v[169:172], v[68:69], off
	buffer_store_dword v12, off, s[16:19], 0 offset:16 ; 4-byte Folded Spill
	buffer_store_dword v13, off, s[16:19], 0 offset:20 ; 4-byte Folded Spill
	global_load_dwordx4 v[165:168], v[12:13], off
	buffer_store_dword v14, off, s[16:19], 0 offset:24 ; 4-byte Folded Spill
	buffer_store_dword v15, off, s[16:19], 0 offset:28 ; 4-byte Folded Spill
	global_load_dwordx4 v[161:164], v[14:15], off
	buffer_store_dword v20, off, s[16:19], 0 offset:32 ; 4-byte Folded Spill
	buffer_store_dword v21, off, s[16:19], 0 offset:36 ; 4-byte Folded Spill
	global_load_dwordx4 v[157:160], v[20:21], off
	buffer_store_dword v22, off, s[16:19], 0 offset:40 ; 4-byte Folded Spill
	buffer_store_dword v23, off, s[16:19], 0 offset:44 ; 4-byte Folded Spill
	global_load_dwordx4 v[153:156], v[22:23], off
	buffer_store_dword v24, off, s[16:19], 0 offset:48 ; 4-byte Folded Spill
	buffer_store_dword v25, off, s[16:19], 0 offset:52 ; 4-byte Folded Spill
	global_load_dwordx4 v[149:152], v[24:25], off
	buffer_store_dword v26, off, s[16:19], 0 offset:56 ; 4-byte Folded Spill
	buffer_store_dword v27, off, s[16:19], 0 offset:60 ; 4-byte Folded Spill
	global_load_dwordx4 v[145:148], v[26:27], off
	buffer_store_dword v28, off, s[16:19], 0 offset:64 ; 4-byte Folded Spill
	buffer_store_dword v29, off, s[16:19], 0 offset:68 ; 4-byte Folded Spill
	global_load_dwordx4 v[141:144], v[28:29], off
	buffer_store_dword v30, off, s[16:19], 0 offset:72 ; 4-byte Folded Spill
	buffer_store_dword v31, off, s[16:19], 0 offset:76 ; 4-byte Folded Spill
	global_load_dwordx4 v[137:140], v[30:31], off
	buffer_store_dword v32, off, s[16:19], 0 offset:80 ; 4-byte Folded Spill
	buffer_store_dword v33, off, s[16:19], 0 offset:84 ; 4-byte Folded Spill
	global_load_dwordx4 v[133:136], v[32:33], off
	buffer_store_dword v34, off, s[16:19], 0 offset:88 ; 4-byte Folded Spill
	buffer_store_dword v35, off, s[16:19], 0 offset:92 ; 4-byte Folded Spill
	global_load_dwordx4 v[129:132], v[34:35], off
	buffer_store_dword v36, off, s[16:19], 0 offset:96 ; 4-byte Folded Spill
	buffer_store_dword v37, off, s[16:19], 0 offset:100 ; 4-byte Folded Spill
	global_load_dwordx4 v[125:128], v[36:37], off
	buffer_store_dword v38, off, s[16:19], 0 offset:104 ; 4-byte Folded Spill
	buffer_store_dword v39, off, s[16:19], 0 offset:108 ; 4-byte Folded Spill
	global_load_dwordx4 v[121:124], v[38:39], off
	buffer_store_dword v40, off, s[16:19], 0 offset:112 ; 4-byte Folded Spill
	buffer_store_dword v41, off, s[16:19], 0 offset:116 ; 4-byte Folded Spill
	global_load_dwordx4 v[117:120], v[40:41], off
	buffer_store_dword v42, off, s[16:19], 0 offset:120 ; 4-byte Folded Spill
	buffer_store_dword v43, off, s[16:19], 0 offset:124 ; 4-byte Folded Spill
	global_load_dwordx4 v[113:116], v[42:43], off
	buffer_store_dword v44, off, s[16:19], 0 offset:128 ; 4-byte Folded Spill
	buffer_store_dword v45, off, s[16:19], 0 offset:132 ; 4-byte Folded Spill
	global_load_dwordx4 v[109:112], v[44:45], off
	buffer_store_dword v46, off, s[16:19], 0 offset:136 ; 4-byte Folded Spill
	buffer_store_dword v47, off, s[16:19], 0 offset:140 ; 4-byte Folded Spill
	global_load_dwordx4 v[105:108], v[46:47], off
	buffer_store_dword v48, off, s[16:19], 0 offset:144 ; 4-byte Folded Spill
	buffer_store_dword v49, off, s[16:19], 0 offset:148 ; 4-byte Folded Spill
	global_load_dwordx4 v[101:104], v[48:49], off
	buffer_store_dword v50, off, s[16:19], 0 offset:152 ; 4-byte Folded Spill
	buffer_store_dword v51, off, s[16:19], 0 offset:156 ; 4-byte Folded Spill
	global_load_dwordx4 v[97:100], v[50:51], off
	buffer_store_dword v52, off, s[16:19], 0 offset:160 ; 4-byte Folded Spill
	buffer_store_dword v53, off, s[16:19], 0 offset:164 ; 4-byte Folded Spill
	global_load_dwordx4 v[93:96], v[52:53], off
	buffer_store_dword v54, off, s[16:19], 0 offset:168 ; 4-byte Folded Spill
	buffer_store_dword v55, off, s[16:19], 0 offset:172 ; 4-byte Folded Spill
	global_load_dwordx4 v[89:92], v[54:55], off
	buffer_store_dword v56, off, s[16:19], 0 offset:176 ; 4-byte Folded Spill
	buffer_store_dword v57, off, s[16:19], 0 offset:180 ; 4-byte Folded Spill
	global_load_dwordx4 v[85:88], v[56:57], off
	buffer_store_dword v58, off, s[16:19], 0 offset:184 ; 4-byte Folded Spill
	buffer_store_dword v59, off, s[16:19], 0 offset:188 ; 4-byte Folded Spill
	global_load_dwordx4 v[81:84], v[58:59], off
	buffer_store_dword v60, off, s[16:19], 0 offset:192 ; 4-byte Folded Spill
	buffer_store_dword v61, off, s[16:19], 0 offset:196 ; 4-byte Folded Spill
	global_load_dwordx4 v[77:80], v[60:61], off
	buffer_store_dword v62, off, s[16:19], 0 offset:200 ; 4-byte Folded Spill
	buffer_store_dword v63, off, s[16:19], 0 offset:204 ; 4-byte Folded Spill
	global_load_dwordx4 v[73:76], v[62:63], off
	buffer_store_dword v64, off, s[16:19], 0 offset:208 ; 4-byte Folded Spill
	buffer_store_dword v65, off, s[16:19], 0 offset:212 ; 4-byte Folded Spill
	global_load_dwordx4 v[69:72], v[64:65], off
	buffer_store_dword v66, off, s[16:19], 0 offset:216 ; 4-byte Folded Spill
	buffer_store_dword v67, off, s[16:19], 0 offset:220 ; 4-byte Folded Spill
	global_load_dwordx4 v[65:68], v[66:67], off
	buffer_store_dword v189, off, s[16:19], 0 offset:224 ; 4-byte Folded Spill
	buffer_store_dword v190, off, s[16:19], 0 offset:228 ; 4-byte Folded Spill
	global_load_dwordx4 v[61:64], v[189:190], off
	buffer_store_dword v191, off, s[16:19], 0 offset:232 ; 4-byte Folded Spill
	buffer_store_dword v192, off, s[16:19], 0 offset:236 ; 4-byte Folded Spill
	global_load_dwordx4 v[57:60], v[191:192], off
	buffer_store_dword v193, off, s[16:19], 0 offset:240 ; 4-byte Folded Spill
	buffer_store_dword v194, off, s[16:19], 0 offset:244 ; 4-byte Folded Spill
	global_load_dwordx4 v[53:56], v[193:194], off
	buffer_store_dword v195, off, s[16:19], 0 offset:248 ; 4-byte Folded Spill
	buffer_store_dword v196, off, s[16:19], 0 offset:252 ; 4-byte Folded Spill
	global_load_dwordx4 v[49:52], v[195:196], off
	buffer_store_dword v197, off, s[16:19], 0 offset:256 ; 4-byte Folded Spill
	buffer_store_dword v198, off, s[16:19], 0 offset:260 ; 4-byte Folded Spill
	global_load_dwordx4 v[45:48], v[197:198], off
	buffer_store_dword v199, off, s[16:19], 0 offset:264 ; 4-byte Folded Spill
	buffer_store_dword v200, off, s[16:19], 0 offset:268 ; 4-byte Folded Spill
	global_load_dwordx4 v[41:44], v[199:200], off
	buffer_store_dword v201, off, s[16:19], 0 offset:272 ; 4-byte Folded Spill
	buffer_store_dword v202, off, s[16:19], 0 offset:276 ; 4-byte Folded Spill
	global_load_dwordx4 v[37:40], v[201:202], off
	buffer_store_dword v203, off, s[16:19], 0 offset:280 ; 4-byte Folded Spill
	buffer_store_dword v204, off, s[16:19], 0 offset:284 ; 4-byte Folded Spill
	global_load_dwordx4 v[33:36], v[203:204], off
	buffer_store_dword v205, off, s[16:19], 0 offset:288 ; 4-byte Folded Spill
	buffer_store_dword v206, off, s[16:19], 0 offset:292 ; 4-byte Folded Spill
	global_load_dwordx4 v[29:32], v[205:206], off
	buffer_store_dword v207, off, s[16:19], 0 offset:296 ; 4-byte Folded Spill
	buffer_store_dword v208, off, s[16:19], 0 offset:300 ; 4-byte Folded Spill
	global_load_dwordx4 v[25:28], v[207:208], off
	buffer_store_dword v209, off, s[16:19], 0 offset:304 ; 4-byte Folded Spill
	buffer_store_dword v210, off, s[16:19], 0 offset:308 ; 4-byte Folded Spill
	global_load_dwordx4 v[21:24], v[209:210], off
	buffer_store_dword v211, off, s[16:19], 0 offset:312 ; 4-byte Folded Spill
	buffer_store_dword v212, off, s[16:19], 0 offset:316 ; 4-byte Folded Spill
	global_load_dwordx4 v[17:20], v[211:212], off
	buffer_store_dword v215, off, s[16:19], 0 offset:344 ; 4-byte Folded Spill
	buffer_store_dword v216, off, s[16:19], 0 offset:348 ; 4-byte Folded Spill
	global_load_dwordx4 v[13:16], v[215:216], off
	buffer_store_dword v10, off, s[16:19], 0 offset:320 ; 4-byte Folded Spill
	buffer_store_dword v11, off, s[16:19], 0 offset:324 ; 4-byte Folded Spill
	global_load_dwordx4 v[9:12], v[10:11], off
	buffer_store_dword v7, off, s[16:19], 0 offset:328 ; 4-byte Folded Spill
	buffer_store_dword v8, off, s[16:19], 0 offset:332 ; 4-byte Folded Spill
	global_load_dwordx4 v[5:8], v[7:8], off
	buffer_store_dword v213, off, s[16:19], 0 offset:336 ; 4-byte Folded Spill
	buffer_store_dword v214, off, s[16:19], 0 offset:340 ; 4-byte Folded Spill
	global_load_dwordx4 v[1:4], v[213:214], off
	s_and_saveexec_b32 s3, s0
	s_cbranch_execz .LBB93_8
; %bb.2:
	s_waitcnt vmcnt(46)
	ds_write2_b64 v255, v[185:186], v[187:188] offset1:1
	s_waitcnt vmcnt(45)
	ds_write2_b64 v253, v[181:182], v[183:184] offset0:2 offset1:3
	s_waitcnt vmcnt(44)
	ds_write2_b64 v253, v[177:178], v[179:180] offset0:4 offset1:5
	;; [unrolled: 2-line block ×46, first 2 shown]
	ds_read2_b64 v[189:192], v255 offset1:1
	s_waitcnt lgkmcnt(0)
	v_cmp_neq_f64_e32 vcc_lo, 0, v[189:190]
	v_cmp_neq_f64_e64 s2, 0, v[191:192]
	s_or_b32 s2, vcc_lo, s2
	s_and_b32 exec_lo, exec_lo, s2
	s_cbranch_execz .LBB93_8
; %bb.3:
	v_cmp_ngt_f64_e64 s2, |v[189:190]|, |v[191:192]|
                                        ; implicit-def: $vgpr193_vgpr194
	s_and_saveexec_b32 s4, s2
	s_xor_b32 s2, exec_lo, s4
                                        ; implicit-def: $vgpr195_vgpr196
	s_cbranch_execz .LBB93_5
; %bb.4:
	v_div_scale_f64 v[193:194], null, v[191:192], v[191:192], v[189:190]
	v_div_scale_f64 v[199:200], vcc_lo, v[189:190], v[191:192], v[189:190]
	v_rcp_f64_e32 v[195:196], v[193:194]
	v_fma_f64 v[197:198], -v[193:194], v[195:196], 1.0
	v_fma_f64 v[195:196], v[195:196], v[197:198], v[195:196]
	v_fma_f64 v[197:198], -v[193:194], v[195:196], 1.0
	v_fma_f64 v[195:196], v[195:196], v[197:198], v[195:196]
	v_mul_f64 v[197:198], v[199:200], v[195:196]
	v_fma_f64 v[193:194], -v[193:194], v[197:198], v[199:200]
	v_div_fmas_f64 v[193:194], v[193:194], v[195:196], v[197:198]
	v_div_fixup_f64 v[193:194], v[193:194], v[191:192], v[189:190]
	v_fma_f64 v[189:190], v[189:190], v[193:194], v[191:192]
	v_div_scale_f64 v[191:192], null, v[189:190], v[189:190], 1.0
	v_rcp_f64_e32 v[195:196], v[191:192]
	v_fma_f64 v[197:198], -v[191:192], v[195:196], 1.0
	v_fma_f64 v[195:196], v[195:196], v[197:198], v[195:196]
	v_fma_f64 v[197:198], -v[191:192], v[195:196], 1.0
	v_fma_f64 v[195:196], v[195:196], v[197:198], v[195:196]
	v_div_scale_f64 v[197:198], vcc_lo, 1.0, v[189:190], 1.0
	v_mul_f64 v[199:200], v[197:198], v[195:196]
	v_fma_f64 v[191:192], -v[191:192], v[199:200], v[197:198]
	v_div_fmas_f64 v[191:192], v[191:192], v[195:196], v[199:200]
	v_div_fixup_f64 v[195:196], v[191:192], v[189:190], 1.0
                                        ; implicit-def: $vgpr189_vgpr190
	v_mul_f64 v[193:194], v[193:194], v[195:196]
	v_xor_b32_e32 v196, 0x80000000, v196
.LBB93_5:
	s_andn2_saveexec_b32 s2, s2
	s_cbranch_execz .LBB93_7
; %bb.6:
	v_div_scale_f64 v[193:194], null, v[189:190], v[189:190], v[191:192]
	v_div_scale_f64 v[199:200], vcc_lo, v[191:192], v[189:190], v[191:192]
	v_rcp_f64_e32 v[195:196], v[193:194]
	v_fma_f64 v[197:198], -v[193:194], v[195:196], 1.0
	v_fma_f64 v[195:196], v[195:196], v[197:198], v[195:196]
	v_fma_f64 v[197:198], -v[193:194], v[195:196], 1.0
	v_fma_f64 v[195:196], v[195:196], v[197:198], v[195:196]
	v_mul_f64 v[197:198], v[199:200], v[195:196]
	v_fma_f64 v[193:194], -v[193:194], v[197:198], v[199:200]
	v_div_fmas_f64 v[193:194], v[193:194], v[195:196], v[197:198]
	v_div_fixup_f64 v[195:196], v[193:194], v[189:190], v[191:192]
	v_fma_f64 v[189:190], v[191:192], v[195:196], v[189:190]
	v_div_scale_f64 v[191:192], null, v[189:190], v[189:190], 1.0
	v_rcp_f64_e32 v[193:194], v[191:192]
	v_fma_f64 v[197:198], -v[191:192], v[193:194], 1.0
	v_fma_f64 v[193:194], v[193:194], v[197:198], v[193:194]
	v_fma_f64 v[197:198], -v[191:192], v[193:194], 1.0
	v_fma_f64 v[193:194], v[193:194], v[197:198], v[193:194]
	v_div_scale_f64 v[197:198], vcc_lo, 1.0, v[189:190], 1.0
	v_mul_f64 v[199:200], v[197:198], v[193:194]
	v_fma_f64 v[191:192], -v[191:192], v[199:200], v[197:198]
	v_div_fmas_f64 v[191:192], v[191:192], v[193:194], v[199:200]
	v_div_fixup_f64 v[193:194], v[191:192], v[189:190], 1.0
	v_mul_f64 v[195:196], v[195:196], -v[193:194]
.LBB93_7:
	s_or_b32 exec_lo, exec_lo, s2
	ds_write2_b64 v255, v[193:194], v[195:196] offset1:1
.LBB93_8:
	s_or_b32 exec_lo, exec_lo, s3
	s_waitcnt vmcnt(0) lgkmcnt(0)
	s_waitcnt_vscnt null, 0x0
	s_barrier
	buffer_gl0_inv
	ds_read2_b64 v[189:192], v255 offset1:1
	s_waitcnt lgkmcnt(0)
	buffer_store_dword v189, off, s[16:19], 0 offset:368 ; 4-byte Folded Spill
	buffer_store_dword v190, off, s[16:19], 0 offset:372 ; 4-byte Folded Spill
	;; [unrolled: 1-line block ×4, first 2 shown]
	s_and_saveexec_b32 s2, s1
	s_cbranch_execz .LBB93_10
; %bb.9:
	s_clause 0x3
	buffer_load_dword v191, off, s[16:19], 0 offset:368
	buffer_load_dword v192, off, s[16:19], 0 offset:372
	;; [unrolled: 1-line block ×4, first 2 shown]
	s_waitcnt vmcnt(0)
	v_mul_f64 v[189:190], v[193:194], v[187:188]
	v_mul_f64 v[187:188], v[191:192], v[187:188]
	v_fma_f64 v[189:190], v[191:192], v[185:186], -v[189:190]
	v_fma_f64 v[187:188], v[193:194], v[185:186], v[187:188]
	ds_read2_b64 v[191:194], v253 offset0:2 offset1:3
	s_waitcnt lgkmcnt(0)
	v_mul_f64 v[185:186], v[193:194], v[187:188]
	v_fma_f64 v[185:186], v[191:192], v[189:190], -v[185:186]
	v_mul_f64 v[191:192], v[191:192], v[187:188]
	v_add_f64 v[181:182], v[181:182], -v[185:186]
	v_fma_f64 v[191:192], v[193:194], v[189:190], v[191:192]
	v_add_f64 v[183:184], v[183:184], -v[191:192]
	ds_read2_b64 v[191:194], v253 offset0:4 offset1:5
	s_waitcnt lgkmcnt(0)
	v_mul_f64 v[185:186], v[193:194], v[187:188]
	v_fma_f64 v[185:186], v[191:192], v[189:190], -v[185:186]
	v_mul_f64 v[191:192], v[191:192], v[187:188]
	v_add_f64 v[177:178], v[177:178], -v[185:186]
	v_fma_f64 v[191:192], v[193:194], v[189:190], v[191:192]
	v_add_f64 v[179:180], v[179:180], -v[191:192]
	;; [unrolled: 8-line block ×45, first 2 shown]
	ds_read2_b64 v[191:194], v253 offset0:92 offset1:93
	s_waitcnt lgkmcnt(0)
	v_mul_f64 v[185:186], v[193:194], v[187:188]
	v_fma_f64 v[185:186], v[191:192], v[189:190], -v[185:186]
	v_mul_f64 v[191:192], v[191:192], v[187:188]
	v_add_f64 v[1:2], v[1:2], -v[185:186]
	v_fma_f64 v[191:192], v[193:194], v[189:190], v[191:192]
	v_mov_b32_e32 v185, v189
	v_mov_b32_e32 v186, v190
	v_add_f64 v[3:4], v[3:4], -v[191:192]
.LBB93_10:
	s_or_b32 exec_lo, exec_lo, s2
	s_mov_b32 s2, exec_lo
	s_waitcnt_vscnt null, 0x0
	s_barrier
	buffer_gl0_inv
	v_cmpx_eq_u32_e32 1, v0
	s_cbranch_execz .LBB93_17
; %bb.11:
	ds_write2_b64 v255, v[181:182], v[183:184] offset1:1
	ds_write2_b64 v253, v[177:178], v[179:180] offset0:4 offset1:5
	ds_write2_b64 v253, v[173:174], v[175:176] offset0:6 offset1:7
	;; [unrolled: 1-line block ×45, first 2 shown]
	ds_read2_b64 v[189:192], v255 offset1:1
	s_waitcnt lgkmcnt(0)
	v_cmp_neq_f64_e32 vcc_lo, 0, v[189:190]
	v_cmp_neq_f64_e64 s1, 0, v[191:192]
	s_or_b32 s1, vcc_lo, s1
	s_and_b32 exec_lo, exec_lo, s1
	s_cbranch_execz .LBB93_17
; %bb.12:
	v_cmp_ngt_f64_e64 s1, |v[189:190]|, |v[191:192]|
                                        ; implicit-def: $vgpr193_vgpr194
	s_and_saveexec_b32 s3, s1
	s_xor_b32 s1, exec_lo, s3
                                        ; implicit-def: $vgpr195_vgpr196
	s_cbranch_execz .LBB93_14
; %bb.13:
	v_div_scale_f64 v[193:194], null, v[191:192], v[191:192], v[189:190]
	v_div_scale_f64 v[199:200], vcc_lo, v[189:190], v[191:192], v[189:190]
	v_rcp_f64_e32 v[195:196], v[193:194]
	v_fma_f64 v[197:198], -v[193:194], v[195:196], 1.0
	v_fma_f64 v[195:196], v[195:196], v[197:198], v[195:196]
	v_fma_f64 v[197:198], -v[193:194], v[195:196], 1.0
	v_fma_f64 v[195:196], v[195:196], v[197:198], v[195:196]
	v_mul_f64 v[197:198], v[199:200], v[195:196]
	v_fma_f64 v[193:194], -v[193:194], v[197:198], v[199:200]
	v_div_fmas_f64 v[193:194], v[193:194], v[195:196], v[197:198]
	v_div_fixup_f64 v[193:194], v[193:194], v[191:192], v[189:190]
	v_fma_f64 v[189:190], v[189:190], v[193:194], v[191:192]
	v_div_scale_f64 v[191:192], null, v[189:190], v[189:190], 1.0
	v_rcp_f64_e32 v[195:196], v[191:192]
	v_fma_f64 v[197:198], -v[191:192], v[195:196], 1.0
	v_fma_f64 v[195:196], v[195:196], v[197:198], v[195:196]
	v_fma_f64 v[197:198], -v[191:192], v[195:196], 1.0
	v_fma_f64 v[195:196], v[195:196], v[197:198], v[195:196]
	v_div_scale_f64 v[197:198], vcc_lo, 1.0, v[189:190], 1.0
	v_mul_f64 v[199:200], v[197:198], v[195:196]
	v_fma_f64 v[191:192], -v[191:192], v[199:200], v[197:198]
	v_div_fmas_f64 v[191:192], v[191:192], v[195:196], v[199:200]
	v_div_fixup_f64 v[195:196], v[191:192], v[189:190], 1.0
                                        ; implicit-def: $vgpr189_vgpr190
	v_mul_f64 v[193:194], v[193:194], v[195:196]
	v_xor_b32_e32 v196, 0x80000000, v196
.LBB93_14:
	s_andn2_saveexec_b32 s1, s1
	s_cbranch_execz .LBB93_16
; %bb.15:
	v_div_scale_f64 v[193:194], null, v[189:190], v[189:190], v[191:192]
	v_div_scale_f64 v[199:200], vcc_lo, v[191:192], v[189:190], v[191:192]
	v_rcp_f64_e32 v[195:196], v[193:194]
	v_fma_f64 v[197:198], -v[193:194], v[195:196], 1.0
	v_fma_f64 v[195:196], v[195:196], v[197:198], v[195:196]
	v_fma_f64 v[197:198], -v[193:194], v[195:196], 1.0
	v_fma_f64 v[195:196], v[195:196], v[197:198], v[195:196]
	v_mul_f64 v[197:198], v[199:200], v[195:196]
	v_fma_f64 v[193:194], -v[193:194], v[197:198], v[199:200]
	v_div_fmas_f64 v[193:194], v[193:194], v[195:196], v[197:198]
	v_div_fixup_f64 v[195:196], v[193:194], v[189:190], v[191:192]
	v_fma_f64 v[189:190], v[191:192], v[195:196], v[189:190]
	v_div_scale_f64 v[191:192], null, v[189:190], v[189:190], 1.0
	v_rcp_f64_e32 v[193:194], v[191:192]
	v_fma_f64 v[197:198], -v[191:192], v[193:194], 1.0
	v_fma_f64 v[193:194], v[193:194], v[197:198], v[193:194]
	v_fma_f64 v[197:198], -v[191:192], v[193:194], 1.0
	v_fma_f64 v[193:194], v[193:194], v[197:198], v[193:194]
	v_div_scale_f64 v[197:198], vcc_lo, 1.0, v[189:190], 1.0
	v_mul_f64 v[199:200], v[197:198], v[193:194]
	v_fma_f64 v[191:192], -v[191:192], v[199:200], v[197:198]
	v_div_fmas_f64 v[191:192], v[191:192], v[193:194], v[199:200]
	v_div_fixup_f64 v[193:194], v[191:192], v[189:190], 1.0
	v_mul_f64 v[195:196], v[195:196], -v[193:194]
.LBB93_16:
	s_or_b32 exec_lo, exec_lo, s1
	ds_write2_b64 v255, v[193:194], v[195:196] offset1:1
.LBB93_17:
	s_or_b32 exec_lo, exec_lo, s2
	s_waitcnt lgkmcnt(0)
	s_barrier
	buffer_gl0_inv
	ds_read2_b64 v[189:192], v255 offset1:1
	s_mov_b32 s1, exec_lo
	s_waitcnt lgkmcnt(0)
	buffer_store_dword v189, off, s[16:19], 0 offset:384 ; 4-byte Folded Spill
	buffer_store_dword v190, off, s[16:19], 0 offset:388 ; 4-byte Folded Spill
	;; [unrolled: 1-line block ×4, first 2 shown]
	v_cmpx_lt_u32_e32 1, v0
	s_cbranch_execz .LBB93_19
; %bb.18:
	s_clause 0x3
	buffer_load_dword v191, off, s[16:19], 0 offset:384
	buffer_load_dword v192, off, s[16:19], 0 offset:388
	;; [unrolled: 1-line block ×4, first 2 shown]
	s_waitcnt vmcnt(0)
	v_mul_f64 v[189:190], v[193:194], v[183:184]
	v_mul_f64 v[183:184], v[191:192], v[183:184]
	v_fma_f64 v[189:190], v[191:192], v[181:182], -v[189:190]
	v_fma_f64 v[183:184], v[193:194], v[181:182], v[183:184]
	ds_read2_b64 v[191:194], v253 offset0:4 offset1:5
	s_waitcnt lgkmcnt(0)
	v_mul_f64 v[181:182], v[193:194], v[183:184]
	v_fma_f64 v[181:182], v[191:192], v[189:190], -v[181:182]
	v_mul_f64 v[191:192], v[191:192], v[183:184]
	v_add_f64 v[177:178], v[177:178], -v[181:182]
	v_fma_f64 v[191:192], v[193:194], v[189:190], v[191:192]
	v_add_f64 v[179:180], v[179:180], -v[191:192]
	ds_read2_b64 v[191:194], v253 offset0:6 offset1:7
	s_waitcnt lgkmcnt(0)
	v_mul_f64 v[181:182], v[193:194], v[183:184]
	v_fma_f64 v[181:182], v[191:192], v[189:190], -v[181:182]
	v_mul_f64 v[191:192], v[191:192], v[183:184]
	v_add_f64 v[173:174], v[173:174], -v[181:182]
	v_fma_f64 v[191:192], v[193:194], v[189:190], v[191:192]
	v_add_f64 v[175:176], v[175:176], -v[191:192]
	;; [unrolled: 8-line block ×44, first 2 shown]
	ds_read2_b64 v[191:194], v253 offset0:92 offset1:93
	s_waitcnt lgkmcnt(0)
	v_mul_f64 v[181:182], v[193:194], v[183:184]
	v_fma_f64 v[181:182], v[191:192], v[189:190], -v[181:182]
	v_mul_f64 v[191:192], v[191:192], v[183:184]
	v_add_f64 v[1:2], v[1:2], -v[181:182]
	v_fma_f64 v[191:192], v[193:194], v[189:190], v[191:192]
	v_mov_b32_e32 v181, v189
	v_mov_b32_e32 v182, v190
	v_add_f64 v[3:4], v[3:4], -v[191:192]
.LBB93_19:
	s_or_b32 exec_lo, exec_lo, s1
	s_mov_b32 s2, exec_lo
	s_waitcnt_vscnt null, 0x0
	s_barrier
	buffer_gl0_inv
	v_cmpx_eq_u32_e32 2, v0
	s_cbranch_execz .LBB93_26
; %bb.20:
	ds_write2_b64 v255, v[177:178], v[179:180] offset1:1
	ds_write2_b64 v253, v[173:174], v[175:176] offset0:6 offset1:7
	ds_write2_b64 v253, v[169:170], v[171:172] offset0:8 offset1:9
	;; [unrolled: 1-line block ×44, first 2 shown]
	ds_read2_b64 v[189:192], v255 offset1:1
	s_waitcnt lgkmcnt(0)
	v_cmp_neq_f64_e32 vcc_lo, 0, v[189:190]
	v_cmp_neq_f64_e64 s1, 0, v[191:192]
	s_or_b32 s1, vcc_lo, s1
	s_and_b32 exec_lo, exec_lo, s1
	s_cbranch_execz .LBB93_26
; %bb.21:
	v_cmp_ngt_f64_e64 s1, |v[189:190]|, |v[191:192]|
                                        ; implicit-def: $vgpr193_vgpr194
	s_and_saveexec_b32 s3, s1
	s_xor_b32 s1, exec_lo, s3
                                        ; implicit-def: $vgpr195_vgpr196
	s_cbranch_execz .LBB93_23
; %bb.22:
	v_div_scale_f64 v[193:194], null, v[191:192], v[191:192], v[189:190]
	v_div_scale_f64 v[199:200], vcc_lo, v[189:190], v[191:192], v[189:190]
	v_rcp_f64_e32 v[195:196], v[193:194]
	v_fma_f64 v[197:198], -v[193:194], v[195:196], 1.0
	v_fma_f64 v[195:196], v[195:196], v[197:198], v[195:196]
	v_fma_f64 v[197:198], -v[193:194], v[195:196], 1.0
	v_fma_f64 v[195:196], v[195:196], v[197:198], v[195:196]
	v_mul_f64 v[197:198], v[199:200], v[195:196]
	v_fma_f64 v[193:194], -v[193:194], v[197:198], v[199:200]
	v_div_fmas_f64 v[193:194], v[193:194], v[195:196], v[197:198]
	v_div_fixup_f64 v[193:194], v[193:194], v[191:192], v[189:190]
	v_fma_f64 v[189:190], v[189:190], v[193:194], v[191:192]
	v_div_scale_f64 v[191:192], null, v[189:190], v[189:190], 1.0
	v_rcp_f64_e32 v[195:196], v[191:192]
	v_fma_f64 v[197:198], -v[191:192], v[195:196], 1.0
	v_fma_f64 v[195:196], v[195:196], v[197:198], v[195:196]
	v_fma_f64 v[197:198], -v[191:192], v[195:196], 1.0
	v_fma_f64 v[195:196], v[195:196], v[197:198], v[195:196]
	v_div_scale_f64 v[197:198], vcc_lo, 1.0, v[189:190], 1.0
	v_mul_f64 v[199:200], v[197:198], v[195:196]
	v_fma_f64 v[191:192], -v[191:192], v[199:200], v[197:198]
	v_div_fmas_f64 v[191:192], v[191:192], v[195:196], v[199:200]
	v_div_fixup_f64 v[195:196], v[191:192], v[189:190], 1.0
                                        ; implicit-def: $vgpr189_vgpr190
	v_mul_f64 v[193:194], v[193:194], v[195:196]
	v_xor_b32_e32 v196, 0x80000000, v196
.LBB93_23:
	s_andn2_saveexec_b32 s1, s1
	s_cbranch_execz .LBB93_25
; %bb.24:
	v_div_scale_f64 v[193:194], null, v[189:190], v[189:190], v[191:192]
	v_div_scale_f64 v[199:200], vcc_lo, v[191:192], v[189:190], v[191:192]
	v_rcp_f64_e32 v[195:196], v[193:194]
	v_fma_f64 v[197:198], -v[193:194], v[195:196], 1.0
	v_fma_f64 v[195:196], v[195:196], v[197:198], v[195:196]
	v_fma_f64 v[197:198], -v[193:194], v[195:196], 1.0
	v_fma_f64 v[195:196], v[195:196], v[197:198], v[195:196]
	v_mul_f64 v[197:198], v[199:200], v[195:196]
	v_fma_f64 v[193:194], -v[193:194], v[197:198], v[199:200]
	v_div_fmas_f64 v[193:194], v[193:194], v[195:196], v[197:198]
	v_div_fixup_f64 v[195:196], v[193:194], v[189:190], v[191:192]
	v_fma_f64 v[189:190], v[191:192], v[195:196], v[189:190]
	v_div_scale_f64 v[191:192], null, v[189:190], v[189:190], 1.0
	v_rcp_f64_e32 v[193:194], v[191:192]
	v_fma_f64 v[197:198], -v[191:192], v[193:194], 1.0
	v_fma_f64 v[193:194], v[193:194], v[197:198], v[193:194]
	v_fma_f64 v[197:198], -v[191:192], v[193:194], 1.0
	v_fma_f64 v[193:194], v[193:194], v[197:198], v[193:194]
	v_div_scale_f64 v[197:198], vcc_lo, 1.0, v[189:190], 1.0
	v_mul_f64 v[199:200], v[197:198], v[193:194]
	v_fma_f64 v[191:192], -v[191:192], v[199:200], v[197:198]
	v_div_fmas_f64 v[191:192], v[191:192], v[193:194], v[199:200]
	v_div_fixup_f64 v[193:194], v[191:192], v[189:190], 1.0
	v_mul_f64 v[195:196], v[195:196], -v[193:194]
.LBB93_25:
	s_or_b32 exec_lo, exec_lo, s1
	ds_write2_b64 v255, v[193:194], v[195:196] offset1:1
.LBB93_26:
	s_or_b32 exec_lo, exec_lo, s2
	s_waitcnt lgkmcnt(0)
	s_barrier
	buffer_gl0_inv
	ds_read2_b64 v[189:192], v255 offset1:1
	s_mov_b32 s1, exec_lo
	s_waitcnt lgkmcnt(0)
	buffer_store_dword v189, off, s[16:19], 0 offset:400 ; 4-byte Folded Spill
	buffer_store_dword v190, off, s[16:19], 0 offset:404 ; 4-byte Folded Spill
	;; [unrolled: 1-line block ×4, first 2 shown]
	v_cmpx_lt_u32_e32 2, v0
	s_cbranch_execz .LBB93_28
; %bb.27:
	s_clause 0x3
	buffer_load_dword v191, off, s[16:19], 0 offset:400
	buffer_load_dword v192, off, s[16:19], 0 offset:404
	;; [unrolled: 1-line block ×4, first 2 shown]
	s_waitcnt vmcnt(0)
	v_mul_f64 v[189:190], v[193:194], v[179:180]
	v_mul_f64 v[179:180], v[191:192], v[179:180]
	v_fma_f64 v[189:190], v[191:192], v[177:178], -v[189:190]
	v_fma_f64 v[179:180], v[193:194], v[177:178], v[179:180]
	ds_read2_b64 v[191:194], v253 offset0:6 offset1:7
	s_waitcnt lgkmcnt(0)
	v_mul_f64 v[177:178], v[193:194], v[179:180]
	v_fma_f64 v[177:178], v[191:192], v[189:190], -v[177:178]
	v_mul_f64 v[191:192], v[191:192], v[179:180]
	v_add_f64 v[173:174], v[173:174], -v[177:178]
	v_fma_f64 v[191:192], v[193:194], v[189:190], v[191:192]
	v_add_f64 v[175:176], v[175:176], -v[191:192]
	ds_read2_b64 v[191:194], v253 offset0:8 offset1:9
	s_waitcnt lgkmcnt(0)
	v_mul_f64 v[177:178], v[193:194], v[179:180]
	v_fma_f64 v[177:178], v[191:192], v[189:190], -v[177:178]
	v_mul_f64 v[191:192], v[191:192], v[179:180]
	v_add_f64 v[169:170], v[169:170], -v[177:178]
	v_fma_f64 v[191:192], v[193:194], v[189:190], v[191:192]
	v_add_f64 v[171:172], v[171:172], -v[191:192]
	;; [unrolled: 8-line block ×43, first 2 shown]
	ds_read2_b64 v[191:194], v253 offset0:92 offset1:93
	s_waitcnt lgkmcnt(0)
	v_mul_f64 v[177:178], v[193:194], v[179:180]
	v_fma_f64 v[177:178], v[191:192], v[189:190], -v[177:178]
	v_mul_f64 v[191:192], v[191:192], v[179:180]
	v_add_f64 v[1:2], v[1:2], -v[177:178]
	v_fma_f64 v[191:192], v[193:194], v[189:190], v[191:192]
	v_mov_b32_e32 v177, v189
	v_mov_b32_e32 v178, v190
	v_add_f64 v[3:4], v[3:4], -v[191:192]
.LBB93_28:
	s_or_b32 exec_lo, exec_lo, s1
	s_mov_b32 s2, exec_lo
	s_waitcnt_vscnt null, 0x0
	s_barrier
	buffer_gl0_inv
	v_cmpx_eq_u32_e32 3, v0
	s_cbranch_execz .LBB93_35
; %bb.29:
	ds_write2_b64 v255, v[173:174], v[175:176] offset1:1
	ds_write2_b64 v253, v[169:170], v[171:172] offset0:8 offset1:9
	ds_write2_b64 v253, v[165:166], v[167:168] offset0:10 offset1:11
	;; [unrolled: 1-line block ×43, first 2 shown]
	ds_read2_b64 v[189:192], v255 offset1:1
	s_waitcnt lgkmcnt(0)
	v_cmp_neq_f64_e32 vcc_lo, 0, v[189:190]
	v_cmp_neq_f64_e64 s1, 0, v[191:192]
	s_or_b32 s1, vcc_lo, s1
	s_and_b32 exec_lo, exec_lo, s1
	s_cbranch_execz .LBB93_35
; %bb.30:
	v_cmp_ngt_f64_e64 s1, |v[189:190]|, |v[191:192]|
                                        ; implicit-def: $vgpr193_vgpr194
	s_and_saveexec_b32 s3, s1
	s_xor_b32 s1, exec_lo, s3
                                        ; implicit-def: $vgpr195_vgpr196
	s_cbranch_execz .LBB93_32
; %bb.31:
	v_div_scale_f64 v[193:194], null, v[191:192], v[191:192], v[189:190]
	v_div_scale_f64 v[199:200], vcc_lo, v[189:190], v[191:192], v[189:190]
	v_rcp_f64_e32 v[195:196], v[193:194]
	v_fma_f64 v[197:198], -v[193:194], v[195:196], 1.0
	v_fma_f64 v[195:196], v[195:196], v[197:198], v[195:196]
	v_fma_f64 v[197:198], -v[193:194], v[195:196], 1.0
	v_fma_f64 v[195:196], v[195:196], v[197:198], v[195:196]
	v_mul_f64 v[197:198], v[199:200], v[195:196]
	v_fma_f64 v[193:194], -v[193:194], v[197:198], v[199:200]
	v_div_fmas_f64 v[193:194], v[193:194], v[195:196], v[197:198]
	v_div_fixup_f64 v[193:194], v[193:194], v[191:192], v[189:190]
	v_fma_f64 v[189:190], v[189:190], v[193:194], v[191:192]
	v_div_scale_f64 v[191:192], null, v[189:190], v[189:190], 1.0
	v_rcp_f64_e32 v[195:196], v[191:192]
	v_fma_f64 v[197:198], -v[191:192], v[195:196], 1.0
	v_fma_f64 v[195:196], v[195:196], v[197:198], v[195:196]
	v_fma_f64 v[197:198], -v[191:192], v[195:196], 1.0
	v_fma_f64 v[195:196], v[195:196], v[197:198], v[195:196]
	v_div_scale_f64 v[197:198], vcc_lo, 1.0, v[189:190], 1.0
	v_mul_f64 v[199:200], v[197:198], v[195:196]
	v_fma_f64 v[191:192], -v[191:192], v[199:200], v[197:198]
	v_div_fmas_f64 v[191:192], v[191:192], v[195:196], v[199:200]
	v_div_fixup_f64 v[195:196], v[191:192], v[189:190], 1.0
                                        ; implicit-def: $vgpr189_vgpr190
	v_mul_f64 v[193:194], v[193:194], v[195:196]
	v_xor_b32_e32 v196, 0x80000000, v196
.LBB93_32:
	s_andn2_saveexec_b32 s1, s1
	s_cbranch_execz .LBB93_34
; %bb.33:
	v_div_scale_f64 v[193:194], null, v[189:190], v[189:190], v[191:192]
	v_div_scale_f64 v[199:200], vcc_lo, v[191:192], v[189:190], v[191:192]
	v_rcp_f64_e32 v[195:196], v[193:194]
	v_fma_f64 v[197:198], -v[193:194], v[195:196], 1.0
	v_fma_f64 v[195:196], v[195:196], v[197:198], v[195:196]
	v_fma_f64 v[197:198], -v[193:194], v[195:196], 1.0
	v_fma_f64 v[195:196], v[195:196], v[197:198], v[195:196]
	v_mul_f64 v[197:198], v[199:200], v[195:196]
	v_fma_f64 v[193:194], -v[193:194], v[197:198], v[199:200]
	v_div_fmas_f64 v[193:194], v[193:194], v[195:196], v[197:198]
	v_div_fixup_f64 v[195:196], v[193:194], v[189:190], v[191:192]
	v_fma_f64 v[189:190], v[191:192], v[195:196], v[189:190]
	v_div_scale_f64 v[191:192], null, v[189:190], v[189:190], 1.0
	v_rcp_f64_e32 v[193:194], v[191:192]
	v_fma_f64 v[197:198], -v[191:192], v[193:194], 1.0
	v_fma_f64 v[193:194], v[193:194], v[197:198], v[193:194]
	v_fma_f64 v[197:198], -v[191:192], v[193:194], 1.0
	v_fma_f64 v[193:194], v[193:194], v[197:198], v[193:194]
	v_div_scale_f64 v[197:198], vcc_lo, 1.0, v[189:190], 1.0
	v_mul_f64 v[199:200], v[197:198], v[193:194]
	v_fma_f64 v[191:192], -v[191:192], v[199:200], v[197:198]
	v_div_fmas_f64 v[191:192], v[191:192], v[193:194], v[199:200]
	v_div_fixup_f64 v[193:194], v[191:192], v[189:190], 1.0
	v_mul_f64 v[195:196], v[195:196], -v[193:194]
.LBB93_34:
	s_or_b32 exec_lo, exec_lo, s1
	ds_write2_b64 v255, v[193:194], v[195:196] offset1:1
.LBB93_35:
	s_or_b32 exec_lo, exec_lo, s2
	s_waitcnt lgkmcnt(0)
	s_barrier
	buffer_gl0_inv
	ds_read2_b64 v[189:192], v255 offset1:1
	s_mov_b32 s1, exec_lo
	s_waitcnt lgkmcnt(0)
	buffer_store_dword v189, off, s[16:19], 0 offset:416 ; 4-byte Folded Spill
	buffer_store_dword v190, off, s[16:19], 0 offset:420 ; 4-byte Folded Spill
	;; [unrolled: 1-line block ×4, first 2 shown]
	v_cmpx_lt_u32_e32 3, v0
	s_cbranch_execz .LBB93_37
; %bb.36:
	s_clause 0x3
	buffer_load_dword v191, off, s[16:19], 0 offset:416
	buffer_load_dword v192, off, s[16:19], 0 offset:420
	;; [unrolled: 1-line block ×4, first 2 shown]
	s_waitcnt vmcnt(0)
	v_mul_f64 v[189:190], v[193:194], v[175:176]
	v_mul_f64 v[175:176], v[191:192], v[175:176]
	v_fma_f64 v[189:190], v[191:192], v[173:174], -v[189:190]
	v_fma_f64 v[175:176], v[193:194], v[173:174], v[175:176]
	ds_read2_b64 v[191:194], v253 offset0:8 offset1:9
	s_waitcnt lgkmcnt(0)
	v_mul_f64 v[173:174], v[193:194], v[175:176]
	v_fma_f64 v[173:174], v[191:192], v[189:190], -v[173:174]
	v_mul_f64 v[191:192], v[191:192], v[175:176]
	v_add_f64 v[169:170], v[169:170], -v[173:174]
	v_fma_f64 v[191:192], v[193:194], v[189:190], v[191:192]
	v_add_f64 v[171:172], v[171:172], -v[191:192]
	ds_read2_b64 v[191:194], v253 offset0:10 offset1:11
	s_waitcnt lgkmcnt(0)
	v_mul_f64 v[173:174], v[193:194], v[175:176]
	v_fma_f64 v[173:174], v[191:192], v[189:190], -v[173:174]
	v_mul_f64 v[191:192], v[191:192], v[175:176]
	v_add_f64 v[165:166], v[165:166], -v[173:174]
	v_fma_f64 v[191:192], v[193:194], v[189:190], v[191:192]
	v_add_f64 v[167:168], v[167:168], -v[191:192]
	;; [unrolled: 8-line block ×42, first 2 shown]
	ds_read2_b64 v[191:194], v253 offset0:92 offset1:93
	s_waitcnt lgkmcnt(0)
	v_mul_f64 v[173:174], v[193:194], v[175:176]
	v_fma_f64 v[173:174], v[191:192], v[189:190], -v[173:174]
	v_mul_f64 v[191:192], v[191:192], v[175:176]
	v_add_f64 v[1:2], v[1:2], -v[173:174]
	v_fma_f64 v[191:192], v[193:194], v[189:190], v[191:192]
	v_mov_b32_e32 v173, v189
	v_mov_b32_e32 v174, v190
	v_add_f64 v[3:4], v[3:4], -v[191:192]
.LBB93_37:
	s_or_b32 exec_lo, exec_lo, s1
	s_mov_b32 s2, exec_lo
	s_waitcnt_vscnt null, 0x0
	s_barrier
	buffer_gl0_inv
	v_cmpx_eq_u32_e32 4, v0
	s_cbranch_execz .LBB93_44
; %bb.38:
	ds_write2_b64 v255, v[169:170], v[171:172] offset1:1
	ds_write2_b64 v253, v[165:166], v[167:168] offset0:10 offset1:11
	ds_write2_b64 v253, v[161:162], v[163:164] offset0:12 offset1:13
	;; [unrolled: 1-line block ×42, first 2 shown]
	ds_read2_b64 v[189:192], v255 offset1:1
	s_waitcnt lgkmcnt(0)
	v_cmp_neq_f64_e32 vcc_lo, 0, v[189:190]
	v_cmp_neq_f64_e64 s1, 0, v[191:192]
	s_or_b32 s1, vcc_lo, s1
	s_and_b32 exec_lo, exec_lo, s1
	s_cbranch_execz .LBB93_44
; %bb.39:
	v_cmp_ngt_f64_e64 s1, |v[189:190]|, |v[191:192]|
                                        ; implicit-def: $vgpr193_vgpr194
	s_and_saveexec_b32 s3, s1
	s_xor_b32 s1, exec_lo, s3
                                        ; implicit-def: $vgpr195_vgpr196
	s_cbranch_execz .LBB93_41
; %bb.40:
	v_div_scale_f64 v[193:194], null, v[191:192], v[191:192], v[189:190]
	v_div_scale_f64 v[199:200], vcc_lo, v[189:190], v[191:192], v[189:190]
	v_rcp_f64_e32 v[195:196], v[193:194]
	v_fma_f64 v[197:198], -v[193:194], v[195:196], 1.0
	v_fma_f64 v[195:196], v[195:196], v[197:198], v[195:196]
	v_fma_f64 v[197:198], -v[193:194], v[195:196], 1.0
	v_fma_f64 v[195:196], v[195:196], v[197:198], v[195:196]
	v_mul_f64 v[197:198], v[199:200], v[195:196]
	v_fma_f64 v[193:194], -v[193:194], v[197:198], v[199:200]
	v_div_fmas_f64 v[193:194], v[193:194], v[195:196], v[197:198]
	v_div_fixup_f64 v[193:194], v[193:194], v[191:192], v[189:190]
	v_fma_f64 v[189:190], v[189:190], v[193:194], v[191:192]
	v_div_scale_f64 v[191:192], null, v[189:190], v[189:190], 1.0
	v_rcp_f64_e32 v[195:196], v[191:192]
	v_fma_f64 v[197:198], -v[191:192], v[195:196], 1.0
	v_fma_f64 v[195:196], v[195:196], v[197:198], v[195:196]
	v_fma_f64 v[197:198], -v[191:192], v[195:196], 1.0
	v_fma_f64 v[195:196], v[195:196], v[197:198], v[195:196]
	v_div_scale_f64 v[197:198], vcc_lo, 1.0, v[189:190], 1.0
	v_mul_f64 v[199:200], v[197:198], v[195:196]
	v_fma_f64 v[191:192], -v[191:192], v[199:200], v[197:198]
	v_div_fmas_f64 v[191:192], v[191:192], v[195:196], v[199:200]
	v_div_fixup_f64 v[195:196], v[191:192], v[189:190], 1.0
                                        ; implicit-def: $vgpr189_vgpr190
	v_mul_f64 v[193:194], v[193:194], v[195:196]
	v_xor_b32_e32 v196, 0x80000000, v196
.LBB93_41:
	s_andn2_saveexec_b32 s1, s1
	s_cbranch_execz .LBB93_43
; %bb.42:
	v_div_scale_f64 v[193:194], null, v[189:190], v[189:190], v[191:192]
	v_div_scale_f64 v[199:200], vcc_lo, v[191:192], v[189:190], v[191:192]
	v_rcp_f64_e32 v[195:196], v[193:194]
	v_fma_f64 v[197:198], -v[193:194], v[195:196], 1.0
	v_fma_f64 v[195:196], v[195:196], v[197:198], v[195:196]
	v_fma_f64 v[197:198], -v[193:194], v[195:196], 1.0
	v_fma_f64 v[195:196], v[195:196], v[197:198], v[195:196]
	v_mul_f64 v[197:198], v[199:200], v[195:196]
	v_fma_f64 v[193:194], -v[193:194], v[197:198], v[199:200]
	v_div_fmas_f64 v[193:194], v[193:194], v[195:196], v[197:198]
	v_div_fixup_f64 v[195:196], v[193:194], v[189:190], v[191:192]
	v_fma_f64 v[189:190], v[191:192], v[195:196], v[189:190]
	v_div_scale_f64 v[191:192], null, v[189:190], v[189:190], 1.0
	v_rcp_f64_e32 v[193:194], v[191:192]
	v_fma_f64 v[197:198], -v[191:192], v[193:194], 1.0
	v_fma_f64 v[193:194], v[193:194], v[197:198], v[193:194]
	v_fma_f64 v[197:198], -v[191:192], v[193:194], 1.0
	v_fma_f64 v[193:194], v[193:194], v[197:198], v[193:194]
	v_div_scale_f64 v[197:198], vcc_lo, 1.0, v[189:190], 1.0
	v_mul_f64 v[199:200], v[197:198], v[193:194]
	v_fma_f64 v[191:192], -v[191:192], v[199:200], v[197:198]
	v_div_fmas_f64 v[191:192], v[191:192], v[193:194], v[199:200]
	v_div_fixup_f64 v[193:194], v[191:192], v[189:190], 1.0
	v_mul_f64 v[195:196], v[195:196], -v[193:194]
.LBB93_43:
	s_or_b32 exec_lo, exec_lo, s1
	ds_write2_b64 v255, v[193:194], v[195:196] offset1:1
.LBB93_44:
	s_or_b32 exec_lo, exec_lo, s2
	s_waitcnt lgkmcnt(0)
	s_barrier
	buffer_gl0_inv
	ds_read2_b64 v[189:192], v255 offset1:1
	s_mov_b32 s1, exec_lo
	s_waitcnt lgkmcnt(0)
	buffer_store_dword v189, off, s[16:19], 0 offset:432 ; 4-byte Folded Spill
	buffer_store_dword v190, off, s[16:19], 0 offset:436 ; 4-byte Folded Spill
	buffer_store_dword v191, off, s[16:19], 0 offset:440 ; 4-byte Folded Spill
	buffer_store_dword v192, off, s[16:19], 0 offset:444 ; 4-byte Folded Spill
	v_cmpx_lt_u32_e32 4, v0
	s_cbranch_execz .LBB93_46
; %bb.45:
	s_clause 0x3
	buffer_load_dword v191, off, s[16:19], 0 offset:432
	buffer_load_dword v192, off, s[16:19], 0 offset:436
	;; [unrolled: 1-line block ×4, first 2 shown]
	s_waitcnt vmcnt(0)
	v_mul_f64 v[189:190], v[193:194], v[171:172]
	v_mul_f64 v[171:172], v[191:192], v[171:172]
	v_fma_f64 v[189:190], v[191:192], v[169:170], -v[189:190]
	v_fma_f64 v[171:172], v[193:194], v[169:170], v[171:172]
	ds_read2_b64 v[191:194], v253 offset0:10 offset1:11
	s_waitcnt lgkmcnt(0)
	v_mul_f64 v[169:170], v[193:194], v[171:172]
	v_fma_f64 v[169:170], v[191:192], v[189:190], -v[169:170]
	v_mul_f64 v[191:192], v[191:192], v[171:172]
	v_add_f64 v[165:166], v[165:166], -v[169:170]
	v_fma_f64 v[191:192], v[193:194], v[189:190], v[191:192]
	v_add_f64 v[167:168], v[167:168], -v[191:192]
	ds_read2_b64 v[191:194], v253 offset0:12 offset1:13
	s_waitcnt lgkmcnt(0)
	v_mul_f64 v[169:170], v[193:194], v[171:172]
	v_fma_f64 v[169:170], v[191:192], v[189:190], -v[169:170]
	v_mul_f64 v[191:192], v[191:192], v[171:172]
	v_add_f64 v[161:162], v[161:162], -v[169:170]
	v_fma_f64 v[191:192], v[193:194], v[189:190], v[191:192]
	v_add_f64 v[163:164], v[163:164], -v[191:192]
	;; [unrolled: 8-line block ×41, first 2 shown]
	ds_read2_b64 v[191:194], v253 offset0:92 offset1:93
	s_waitcnt lgkmcnt(0)
	v_mul_f64 v[169:170], v[193:194], v[171:172]
	v_fma_f64 v[169:170], v[191:192], v[189:190], -v[169:170]
	v_mul_f64 v[191:192], v[191:192], v[171:172]
	v_add_f64 v[1:2], v[1:2], -v[169:170]
	v_fma_f64 v[191:192], v[193:194], v[189:190], v[191:192]
	v_mov_b32_e32 v169, v189
	v_mov_b32_e32 v170, v190
	v_add_f64 v[3:4], v[3:4], -v[191:192]
.LBB93_46:
	s_or_b32 exec_lo, exec_lo, s1
	s_mov_b32 s2, exec_lo
	s_waitcnt_vscnt null, 0x0
	s_barrier
	buffer_gl0_inv
	v_cmpx_eq_u32_e32 5, v0
	s_cbranch_execz .LBB93_53
; %bb.47:
	ds_write2_b64 v255, v[165:166], v[167:168] offset1:1
	ds_write2_b64 v253, v[161:162], v[163:164] offset0:12 offset1:13
	ds_write2_b64 v253, v[157:158], v[159:160] offset0:14 offset1:15
	;; [unrolled: 1-line block ×41, first 2 shown]
	ds_read2_b64 v[189:192], v255 offset1:1
	s_waitcnt lgkmcnt(0)
	v_cmp_neq_f64_e32 vcc_lo, 0, v[189:190]
	v_cmp_neq_f64_e64 s1, 0, v[191:192]
	s_or_b32 s1, vcc_lo, s1
	s_and_b32 exec_lo, exec_lo, s1
	s_cbranch_execz .LBB93_53
; %bb.48:
	v_cmp_ngt_f64_e64 s1, |v[189:190]|, |v[191:192]|
                                        ; implicit-def: $vgpr193_vgpr194
	s_and_saveexec_b32 s3, s1
	s_xor_b32 s1, exec_lo, s3
                                        ; implicit-def: $vgpr195_vgpr196
	s_cbranch_execz .LBB93_50
; %bb.49:
	v_div_scale_f64 v[193:194], null, v[191:192], v[191:192], v[189:190]
	v_div_scale_f64 v[199:200], vcc_lo, v[189:190], v[191:192], v[189:190]
	v_rcp_f64_e32 v[195:196], v[193:194]
	v_fma_f64 v[197:198], -v[193:194], v[195:196], 1.0
	v_fma_f64 v[195:196], v[195:196], v[197:198], v[195:196]
	v_fma_f64 v[197:198], -v[193:194], v[195:196], 1.0
	v_fma_f64 v[195:196], v[195:196], v[197:198], v[195:196]
	v_mul_f64 v[197:198], v[199:200], v[195:196]
	v_fma_f64 v[193:194], -v[193:194], v[197:198], v[199:200]
	v_div_fmas_f64 v[193:194], v[193:194], v[195:196], v[197:198]
	v_div_fixup_f64 v[193:194], v[193:194], v[191:192], v[189:190]
	v_fma_f64 v[189:190], v[189:190], v[193:194], v[191:192]
	v_div_scale_f64 v[191:192], null, v[189:190], v[189:190], 1.0
	v_rcp_f64_e32 v[195:196], v[191:192]
	v_fma_f64 v[197:198], -v[191:192], v[195:196], 1.0
	v_fma_f64 v[195:196], v[195:196], v[197:198], v[195:196]
	v_fma_f64 v[197:198], -v[191:192], v[195:196], 1.0
	v_fma_f64 v[195:196], v[195:196], v[197:198], v[195:196]
	v_div_scale_f64 v[197:198], vcc_lo, 1.0, v[189:190], 1.0
	v_mul_f64 v[199:200], v[197:198], v[195:196]
	v_fma_f64 v[191:192], -v[191:192], v[199:200], v[197:198]
	v_div_fmas_f64 v[191:192], v[191:192], v[195:196], v[199:200]
	v_div_fixup_f64 v[195:196], v[191:192], v[189:190], 1.0
                                        ; implicit-def: $vgpr189_vgpr190
	v_mul_f64 v[193:194], v[193:194], v[195:196]
	v_xor_b32_e32 v196, 0x80000000, v196
.LBB93_50:
	s_andn2_saveexec_b32 s1, s1
	s_cbranch_execz .LBB93_52
; %bb.51:
	v_div_scale_f64 v[193:194], null, v[189:190], v[189:190], v[191:192]
	v_div_scale_f64 v[199:200], vcc_lo, v[191:192], v[189:190], v[191:192]
	v_rcp_f64_e32 v[195:196], v[193:194]
	v_fma_f64 v[197:198], -v[193:194], v[195:196], 1.0
	v_fma_f64 v[195:196], v[195:196], v[197:198], v[195:196]
	v_fma_f64 v[197:198], -v[193:194], v[195:196], 1.0
	v_fma_f64 v[195:196], v[195:196], v[197:198], v[195:196]
	v_mul_f64 v[197:198], v[199:200], v[195:196]
	v_fma_f64 v[193:194], -v[193:194], v[197:198], v[199:200]
	v_div_fmas_f64 v[193:194], v[193:194], v[195:196], v[197:198]
	v_div_fixup_f64 v[195:196], v[193:194], v[189:190], v[191:192]
	v_fma_f64 v[189:190], v[191:192], v[195:196], v[189:190]
	v_div_scale_f64 v[191:192], null, v[189:190], v[189:190], 1.0
	v_rcp_f64_e32 v[193:194], v[191:192]
	v_fma_f64 v[197:198], -v[191:192], v[193:194], 1.0
	v_fma_f64 v[193:194], v[193:194], v[197:198], v[193:194]
	v_fma_f64 v[197:198], -v[191:192], v[193:194], 1.0
	v_fma_f64 v[193:194], v[193:194], v[197:198], v[193:194]
	v_div_scale_f64 v[197:198], vcc_lo, 1.0, v[189:190], 1.0
	v_mul_f64 v[199:200], v[197:198], v[193:194]
	v_fma_f64 v[191:192], -v[191:192], v[199:200], v[197:198]
	v_div_fmas_f64 v[191:192], v[191:192], v[193:194], v[199:200]
	v_div_fixup_f64 v[193:194], v[191:192], v[189:190], 1.0
	v_mul_f64 v[195:196], v[195:196], -v[193:194]
.LBB93_52:
	s_or_b32 exec_lo, exec_lo, s1
	ds_write2_b64 v255, v[193:194], v[195:196] offset1:1
.LBB93_53:
	s_or_b32 exec_lo, exec_lo, s2
	s_waitcnt lgkmcnt(0)
	s_barrier
	buffer_gl0_inv
	ds_read2_b64 v[189:192], v255 offset1:1
	s_mov_b32 s1, exec_lo
	s_waitcnt lgkmcnt(0)
	buffer_store_dword v189, off, s[16:19], 0 offset:448 ; 4-byte Folded Spill
	buffer_store_dword v190, off, s[16:19], 0 offset:452 ; 4-byte Folded Spill
	;; [unrolled: 1-line block ×4, first 2 shown]
	v_cmpx_lt_u32_e32 5, v0
	s_cbranch_execz .LBB93_55
; %bb.54:
	s_clause 0x3
	buffer_load_dword v191, off, s[16:19], 0 offset:448
	buffer_load_dword v192, off, s[16:19], 0 offset:452
	;; [unrolled: 1-line block ×4, first 2 shown]
	s_waitcnt vmcnt(0)
	v_mul_f64 v[189:190], v[193:194], v[167:168]
	v_mul_f64 v[167:168], v[191:192], v[167:168]
	v_fma_f64 v[189:190], v[191:192], v[165:166], -v[189:190]
	v_fma_f64 v[167:168], v[193:194], v[165:166], v[167:168]
	ds_read2_b64 v[191:194], v253 offset0:12 offset1:13
	s_waitcnt lgkmcnt(0)
	v_mul_f64 v[165:166], v[193:194], v[167:168]
	v_fma_f64 v[165:166], v[191:192], v[189:190], -v[165:166]
	v_mul_f64 v[191:192], v[191:192], v[167:168]
	v_add_f64 v[161:162], v[161:162], -v[165:166]
	v_fma_f64 v[191:192], v[193:194], v[189:190], v[191:192]
	v_add_f64 v[163:164], v[163:164], -v[191:192]
	ds_read2_b64 v[191:194], v253 offset0:14 offset1:15
	s_waitcnt lgkmcnt(0)
	v_mul_f64 v[165:166], v[193:194], v[167:168]
	v_fma_f64 v[165:166], v[191:192], v[189:190], -v[165:166]
	v_mul_f64 v[191:192], v[191:192], v[167:168]
	v_add_f64 v[157:158], v[157:158], -v[165:166]
	v_fma_f64 v[191:192], v[193:194], v[189:190], v[191:192]
	v_add_f64 v[159:160], v[159:160], -v[191:192]
	;; [unrolled: 8-line block ×40, first 2 shown]
	ds_read2_b64 v[191:194], v253 offset0:92 offset1:93
	s_waitcnt lgkmcnt(0)
	v_mul_f64 v[165:166], v[193:194], v[167:168]
	v_fma_f64 v[165:166], v[191:192], v[189:190], -v[165:166]
	v_mul_f64 v[191:192], v[191:192], v[167:168]
	v_add_f64 v[1:2], v[1:2], -v[165:166]
	v_fma_f64 v[191:192], v[193:194], v[189:190], v[191:192]
	v_mov_b32_e32 v165, v189
	v_mov_b32_e32 v166, v190
	v_add_f64 v[3:4], v[3:4], -v[191:192]
.LBB93_55:
	s_or_b32 exec_lo, exec_lo, s1
	s_mov_b32 s2, exec_lo
	s_waitcnt_vscnt null, 0x0
	s_barrier
	buffer_gl0_inv
	v_cmpx_eq_u32_e32 6, v0
	s_cbranch_execz .LBB93_62
; %bb.56:
	ds_write2_b64 v255, v[161:162], v[163:164] offset1:1
	ds_write2_b64 v253, v[157:158], v[159:160] offset0:14 offset1:15
	ds_write2_b64 v253, v[153:154], v[155:156] offset0:16 offset1:17
	;; [unrolled: 1-line block ×40, first 2 shown]
	ds_read2_b64 v[189:192], v255 offset1:1
	s_waitcnt lgkmcnt(0)
	v_cmp_neq_f64_e32 vcc_lo, 0, v[189:190]
	v_cmp_neq_f64_e64 s1, 0, v[191:192]
	s_or_b32 s1, vcc_lo, s1
	s_and_b32 exec_lo, exec_lo, s1
	s_cbranch_execz .LBB93_62
; %bb.57:
	v_cmp_ngt_f64_e64 s1, |v[189:190]|, |v[191:192]|
                                        ; implicit-def: $vgpr193_vgpr194
	s_and_saveexec_b32 s3, s1
	s_xor_b32 s1, exec_lo, s3
                                        ; implicit-def: $vgpr195_vgpr196
	s_cbranch_execz .LBB93_59
; %bb.58:
	v_div_scale_f64 v[193:194], null, v[191:192], v[191:192], v[189:190]
	v_div_scale_f64 v[199:200], vcc_lo, v[189:190], v[191:192], v[189:190]
	v_rcp_f64_e32 v[195:196], v[193:194]
	v_fma_f64 v[197:198], -v[193:194], v[195:196], 1.0
	v_fma_f64 v[195:196], v[195:196], v[197:198], v[195:196]
	v_fma_f64 v[197:198], -v[193:194], v[195:196], 1.0
	v_fma_f64 v[195:196], v[195:196], v[197:198], v[195:196]
	v_mul_f64 v[197:198], v[199:200], v[195:196]
	v_fma_f64 v[193:194], -v[193:194], v[197:198], v[199:200]
	v_div_fmas_f64 v[193:194], v[193:194], v[195:196], v[197:198]
	v_div_fixup_f64 v[193:194], v[193:194], v[191:192], v[189:190]
	v_fma_f64 v[189:190], v[189:190], v[193:194], v[191:192]
	v_div_scale_f64 v[191:192], null, v[189:190], v[189:190], 1.0
	v_rcp_f64_e32 v[195:196], v[191:192]
	v_fma_f64 v[197:198], -v[191:192], v[195:196], 1.0
	v_fma_f64 v[195:196], v[195:196], v[197:198], v[195:196]
	v_fma_f64 v[197:198], -v[191:192], v[195:196], 1.0
	v_fma_f64 v[195:196], v[195:196], v[197:198], v[195:196]
	v_div_scale_f64 v[197:198], vcc_lo, 1.0, v[189:190], 1.0
	v_mul_f64 v[199:200], v[197:198], v[195:196]
	v_fma_f64 v[191:192], -v[191:192], v[199:200], v[197:198]
	v_div_fmas_f64 v[191:192], v[191:192], v[195:196], v[199:200]
	v_div_fixup_f64 v[195:196], v[191:192], v[189:190], 1.0
                                        ; implicit-def: $vgpr189_vgpr190
	v_mul_f64 v[193:194], v[193:194], v[195:196]
	v_xor_b32_e32 v196, 0x80000000, v196
.LBB93_59:
	s_andn2_saveexec_b32 s1, s1
	s_cbranch_execz .LBB93_61
; %bb.60:
	v_div_scale_f64 v[193:194], null, v[189:190], v[189:190], v[191:192]
	v_div_scale_f64 v[199:200], vcc_lo, v[191:192], v[189:190], v[191:192]
	v_rcp_f64_e32 v[195:196], v[193:194]
	v_fma_f64 v[197:198], -v[193:194], v[195:196], 1.0
	v_fma_f64 v[195:196], v[195:196], v[197:198], v[195:196]
	v_fma_f64 v[197:198], -v[193:194], v[195:196], 1.0
	v_fma_f64 v[195:196], v[195:196], v[197:198], v[195:196]
	v_mul_f64 v[197:198], v[199:200], v[195:196]
	v_fma_f64 v[193:194], -v[193:194], v[197:198], v[199:200]
	v_div_fmas_f64 v[193:194], v[193:194], v[195:196], v[197:198]
	v_div_fixup_f64 v[195:196], v[193:194], v[189:190], v[191:192]
	v_fma_f64 v[189:190], v[191:192], v[195:196], v[189:190]
	v_div_scale_f64 v[191:192], null, v[189:190], v[189:190], 1.0
	v_rcp_f64_e32 v[193:194], v[191:192]
	v_fma_f64 v[197:198], -v[191:192], v[193:194], 1.0
	v_fma_f64 v[193:194], v[193:194], v[197:198], v[193:194]
	v_fma_f64 v[197:198], -v[191:192], v[193:194], 1.0
	v_fma_f64 v[193:194], v[193:194], v[197:198], v[193:194]
	v_div_scale_f64 v[197:198], vcc_lo, 1.0, v[189:190], 1.0
	v_mul_f64 v[199:200], v[197:198], v[193:194]
	v_fma_f64 v[191:192], -v[191:192], v[199:200], v[197:198]
	v_div_fmas_f64 v[191:192], v[191:192], v[193:194], v[199:200]
	v_div_fixup_f64 v[193:194], v[191:192], v[189:190], 1.0
	v_mul_f64 v[195:196], v[195:196], -v[193:194]
.LBB93_61:
	s_or_b32 exec_lo, exec_lo, s1
	ds_write2_b64 v255, v[193:194], v[195:196] offset1:1
.LBB93_62:
	s_or_b32 exec_lo, exec_lo, s2
	s_waitcnt lgkmcnt(0)
	s_barrier
	buffer_gl0_inv
	ds_read2_b64 v[189:192], v255 offset1:1
	s_mov_b32 s1, exec_lo
	s_waitcnt lgkmcnt(0)
	buffer_store_dword v189, off, s[16:19], 0 offset:464 ; 4-byte Folded Spill
	buffer_store_dword v190, off, s[16:19], 0 offset:468 ; 4-byte Folded Spill
	;; [unrolled: 1-line block ×4, first 2 shown]
	v_cmpx_lt_u32_e32 6, v0
	s_cbranch_execz .LBB93_64
; %bb.63:
	s_clause 0x3
	buffer_load_dword v191, off, s[16:19], 0 offset:464
	buffer_load_dword v192, off, s[16:19], 0 offset:468
	;; [unrolled: 1-line block ×4, first 2 shown]
	s_waitcnt vmcnt(0)
	v_mul_f64 v[189:190], v[193:194], v[163:164]
	v_mul_f64 v[163:164], v[191:192], v[163:164]
	v_fma_f64 v[189:190], v[191:192], v[161:162], -v[189:190]
	v_fma_f64 v[163:164], v[193:194], v[161:162], v[163:164]
	ds_read2_b64 v[191:194], v253 offset0:14 offset1:15
	s_waitcnt lgkmcnt(0)
	v_mul_f64 v[161:162], v[193:194], v[163:164]
	v_fma_f64 v[161:162], v[191:192], v[189:190], -v[161:162]
	v_mul_f64 v[191:192], v[191:192], v[163:164]
	v_add_f64 v[157:158], v[157:158], -v[161:162]
	v_fma_f64 v[191:192], v[193:194], v[189:190], v[191:192]
	v_add_f64 v[159:160], v[159:160], -v[191:192]
	ds_read2_b64 v[191:194], v253 offset0:16 offset1:17
	s_waitcnt lgkmcnt(0)
	v_mul_f64 v[161:162], v[193:194], v[163:164]
	v_fma_f64 v[161:162], v[191:192], v[189:190], -v[161:162]
	v_mul_f64 v[191:192], v[191:192], v[163:164]
	v_add_f64 v[153:154], v[153:154], -v[161:162]
	v_fma_f64 v[191:192], v[193:194], v[189:190], v[191:192]
	v_add_f64 v[155:156], v[155:156], -v[191:192]
	;; [unrolled: 8-line block ×39, first 2 shown]
	ds_read2_b64 v[191:194], v253 offset0:92 offset1:93
	s_waitcnt lgkmcnt(0)
	v_mul_f64 v[161:162], v[193:194], v[163:164]
	v_fma_f64 v[161:162], v[191:192], v[189:190], -v[161:162]
	v_mul_f64 v[191:192], v[191:192], v[163:164]
	v_add_f64 v[1:2], v[1:2], -v[161:162]
	v_fma_f64 v[191:192], v[193:194], v[189:190], v[191:192]
	v_mov_b32_e32 v161, v189
	v_mov_b32_e32 v162, v190
	v_add_f64 v[3:4], v[3:4], -v[191:192]
.LBB93_64:
	s_or_b32 exec_lo, exec_lo, s1
	s_mov_b32 s2, exec_lo
	s_waitcnt_vscnt null, 0x0
	s_barrier
	buffer_gl0_inv
	v_cmpx_eq_u32_e32 7, v0
	s_cbranch_execz .LBB93_71
; %bb.65:
	ds_write2_b64 v255, v[157:158], v[159:160] offset1:1
	ds_write2_b64 v253, v[153:154], v[155:156] offset0:16 offset1:17
	ds_write2_b64 v253, v[149:150], v[151:152] offset0:18 offset1:19
	;; [unrolled: 1-line block ×39, first 2 shown]
	ds_read2_b64 v[189:192], v255 offset1:1
	s_waitcnt lgkmcnt(0)
	v_cmp_neq_f64_e32 vcc_lo, 0, v[189:190]
	v_cmp_neq_f64_e64 s1, 0, v[191:192]
	s_or_b32 s1, vcc_lo, s1
	s_and_b32 exec_lo, exec_lo, s1
	s_cbranch_execz .LBB93_71
; %bb.66:
	v_cmp_ngt_f64_e64 s1, |v[189:190]|, |v[191:192]|
                                        ; implicit-def: $vgpr193_vgpr194
	s_and_saveexec_b32 s3, s1
	s_xor_b32 s1, exec_lo, s3
                                        ; implicit-def: $vgpr195_vgpr196
	s_cbranch_execz .LBB93_68
; %bb.67:
	v_div_scale_f64 v[193:194], null, v[191:192], v[191:192], v[189:190]
	v_div_scale_f64 v[199:200], vcc_lo, v[189:190], v[191:192], v[189:190]
	v_rcp_f64_e32 v[195:196], v[193:194]
	v_fma_f64 v[197:198], -v[193:194], v[195:196], 1.0
	v_fma_f64 v[195:196], v[195:196], v[197:198], v[195:196]
	v_fma_f64 v[197:198], -v[193:194], v[195:196], 1.0
	v_fma_f64 v[195:196], v[195:196], v[197:198], v[195:196]
	v_mul_f64 v[197:198], v[199:200], v[195:196]
	v_fma_f64 v[193:194], -v[193:194], v[197:198], v[199:200]
	v_div_fmas_f64 v[193:194], v[193:194], v[195:196], v[197:198]
	v_div_fixup_f64 v[193:194], v[193:194], v[191:192], v[189:190]
	v_fma_f64 v[189:190], v[189:190], v[193:194], v[191:192]
	v_div_scale_f64 v[191:192], null, v[189:190], v[189:190], 1.0
	v_rcp_f64_e32 v[195:196], v[191:192]
	v_fma_f64 v[197:198], -v[191:192], v[195:196], 1.0
	v_fma_f64 v[195:196], v[195:196], v[197:198], v[195:196]
	v_fma_f64 v[197:198], -v[191:192], v[195:196], 1.0
	v_fma_f64 v[195:196], v[195:196], v[197:198], v[195:196]
	v_div_scale_f64 v[197:198], vcc_lo, 1.0, v[189:190], 1.0
	v_mul_f64 v[199:200], v[197:198], v[195:196]
	v_fma_f64 v[191:192], -v[191:192], v[199:200], v[197:198]
	v_div_fmas_f64 v[191:192], v[191:192], v[195:196], v[199:200]
	v_div_fixup_f64 v[195:196], v[191:192], v[189:190], 1.0
                                        ; implicit-def: $vgpr189_vgpr190
	v_mul_f64 v[193:194], v[193:194], v[195:196]
	v_xor_b32_e32 v196, 0x80000000, v196
.LBB93_68:
	s_andn2_saveexec_b32 s1, s1
	s_cbranch_execz .LBB93_70
; %bb.69:
	v_div_scale_f64 v[193:194], null, v[189:190], v[189:190], v[191:192]
	v_div_scale_f64 v[199:200], vcc_lo, v[191:192], v[189:190], v[191:192]
	v_rcp_f64_e32 v[195:196], v[193:194]
	v_fma_f64 v[197:198], -v[193:194], v[195:196], 1.0
	v_fma_f64 v[195:196], v[195:196], v[197:198], v[195:196]
	v_fma_f64 v[197:198], -v[193:194], v[195:196], 1.0
	v_fma_f64 v[195:196], v[195:196], v[197:198], v[195:196]
	v_mul_f64 v[197:198], v[199:200], v[195:196]
	v_fma_f64 v[193:194], -v[193:194], v[197:198], v[199:200]
	v_div_fmas_f64 v[193:194], v[193:194], v[195:196], v[197:198]
	v_div_fixup_f64 v[195:196], v[193:194], v[189:190], v[191:192]
	v_fma_f64 v[189:190], v[191:192], v[195:196], v[189:190]
	v_div_scale_f64 v[191:192], null, v[189:190], v[189:190], 1.0
	v_rcp_f64_e32 v[193:194], v[191:192]
	v_fma_f64 v[197:198], -v[191:192], v[193:194], 1.0
	v_fma_f64 v[193:194], v[193:194], v[197:198], v[193:194]
	v_fma_f64 v[197:198], -v[191:192], v[193:194], 1.0
	v_fma_f64 v[193:194], v[193:194], v[197:198], v[193:194]
	v_div_scale_f64 v[197:198], vcc_lo, 1.0, v[189:190], 1.0
	v_mul_f64 v[199:200], v[197:198], v[193:194]
	v_fma_f64 v[191:192], -v[191:192], v[199:200], v[197:198]
	v_div_fmas_f64 v[191:192], v[191:192], v[193:194], v[199:200]
	v_div_fixup_f64 v[193:194], v[191:192], v[189:190], 1.0
	v_mul_f64 v[195:196], v[195:196], -v[193:194]
.LBB93_70:
	s_or_b32 exec_lo, exec_lo, s1
	ds_write2_b64 v255, v[193:194], v[195:196] offset1:1
.LBB93_71:
	s_or_b32 exec_lo, exec_lo, s2
	s_waitcnt lgkmcnt(0)
	s_barrier
	buffer_gl0_inv
	ds_read2_b64 v[189:192], v255 offset1:1
	s_mov_b32 s1, exec_lo
	s_waitcnt lgkmcnt(0)
	buffer_store_dword v189, off, s[16:19], 0 offset:480 ; 4-byte Folded Spill
	buffer_store_dword v190, off, s[16:19], 0 offset:484 ; 4-byte Folded Spill
	;; [unrolled: 1-line block ×4, first 2 shown]
	v_cmpx_lt_u32_e32 7, v0
	s_cbranch_execz .LBB93_73
; %bb.72:
	s_clause 0x3
	buffer_load_dword v191, off, s[16:19], 0 offset:480
	buffer_load_dword v192, off, s[16:19], 0 offset:484
	;; [unrolled: 1-line block ×4, first 2 shown]
	s_waitcnt vmcnt(0)
	v_mul_f64 v[189:190], v[193:194], v[159:160]
	v_mul_f64 v[159:160], v[191:192], v[159:160]
	v_fma_f64 v[189:190], v[191:192], v[157:158], -v[189:190]
	v_fma_f64 v[159:160], v[193:194], v[157:158], v[159:160]
	ds_read2_b64 v[191:194], v253 offset0:16 offset1:17
	s_waitcnt lgkmcnt(0)
	v_mul_f64 v[157:158], v[193:194], v[159:160]
	v_fma_f64 v[157:158], v[191:192], v[189:190], -v[157:158]
	v_mul_f64 v[191:192], v[191:192], v[159:160]
	v_add_f64 v[153:154], v[153:154], -v[157:158]
	v_fma_f64 v[191:192], v[193:194], v[189:190], v[191:192]
	v_add_f64 v[155:156], v[155:156], -v[191:192]
	ds_read2_b64 v[191:194], v253 offset0:18 offset1:19
	s_waitcnt lgkmcnt(0)
	v_mul_f64 v[157:158], v[193:194], v[159:160]
	v_fma_f64 v[157:158], v[191:192], v[189:190], -v[157:158]
	v_mul_f64 v[191:192], v[191:192], v[159:160]
	v_add_f64 v[149:150], v[149:150], -v[157:158]
	v_fma_f64 v[191:192], v[193:194], v[189:190], v[191:192]
	v_add_f64 v[151:152], v[151:152], -v[191:192]
	;; [unrolled: 8-line block ×38, first 2 shown]
	ds_read2_b64 v[191:194], v253 offset0:92 offset1:93
	s_waitcnt lgkmcnt(0)
	v_mul_f64 v[157:158], v[193:194], v[159:160]
	v_fma_f64 v[157:158], v[191:192], v[189:190], -v[157:158]
	v_mul_f64 v[191:192], v[191:192], v[159:160]
	v_add_f64 v[1:2], v[1:2], -v[157:158]
	v_fma_f64 v[191:192], v[193:194], v[189:190], v[191:192]
	v_mov_b32_e32 v157, v189
	v_mov_b32_e32 v158, v190
	v_add_f64 v[3:4], v[3:4], -v[191:192]
.LBB93_73:
	s_or_b32 exec_lo, exec_lo, s1
	s_mov_b32 s2, exec_lo
	s_waitcnt_vscnt null, 0x0
	s_barrier
	buffer_gl0_inv
	v_cmpx_eq_u32_e32 8, v0
	s_cbranch_execz .LBB93_80
; %bb.74:
	ds_write2_b64 v255, v[153:154], v[155:156] offset1:1
	ds_write2_b64 v253, v[149:150], v[151:152] offset0:18 offset1:19
	ds_write2_b64 v253, v[145:146], v[147:148] offset0:20 offset1:21
	;; [unrolled: 1-line block ×38, first 2 shown]
	ds_read2_b64 v[189:192], v255 offset1:1
	s_waitcnt lgkmcnt(0)
	v_cmp_neq_f64_e32 vcc_lo, 0, v[189:190]
	v_cmp_neq_f64_e64 s1, 0, v[191:192]
	s_or_b32 s1, vcc_lo, s1
	s_and_b32 exec_lo, exec_lo, s1
	s_cbranch_execz .LBB93_80
; %bb.75:
	v_cmp_ngt_f64_e64 s1, |v[189:190]|, |v[191:192]|
                                        ; implicit-def: $vgpr193_vgpr194
	s_and_saveexec_b32 s3, s1
	s_xor_b32 s1, exec_lo, s3
                                        ; implicit-def: $vgpr195_vgpr196
	s_cbranch_execz .LBB93_77
; %bb.76:
	v_div_scale_f64 v[193:194], null, v[191:192], v[191:192], v[189:190]
	v_div_scale_f64 v[199:200], vcc_lo, v[189:190], v[191:192], v[189:190]
	v_rcp_f64_e32 v[195:196], v[193:194]
	v_fma_f64 v[197:198], -v[193:194], v[195:196], 1.0
	v_fma_f64 v[195:196], v[195:196], v[197:198], v[195:196]
	v_fma_f64 v[197:198], -v[193:194], v[195:196], 1.0
	v_fma_f64 v[195:196], v[195:196], v[197:198], v[195:196]
	v_mul_f64 v[197:198], v[199:200], v[195:196]
	v_fma_f64 v[193:194], -v[193:194], v[197:198], v[199:200]
	v_div_fmas_f64 v[193:194], v[193:194], v[195:196], v[197:198]
	v_div_fixup_f64 v[193:194], v[193:194], v[191:192], v[189:190]
	v_fma_f64 v[189:190], v[189:190], v[193:194], v[191:192]
	v_div_scale_f64 v[191:192], null, v[189:190], v[189:190], 1.0
	v_rcp_f64_e32 v[195:196], v[191:192]
	v_fma_f64 v[197:198], -v[191:192], v[195:196], 1.0
	v_fma_f64 v[195:196], v[195:196], v[197:198], v[195:196]
	v_fma_f64 v[197:198], -v[191:192], v[195:196], 1.0
	v_fma_f64 v[195:196], v[195:196], v[197:198], v[195:196]
	v_div_scale_f64 v[197:198], vcc_lo, 1.0, v[189:190], 1.0
	v_mul_f64 v[199:200], v[197:198], v[195:196]
	v_fma_f64 v[191:192], -v[191:192], v[199:200], v[197:198]
	v_div_fmas_f64 v[191:192], v[191:192], v[195:196], v[199:200]
	v_div_fixup_f64 v[195:196], v[191:192], v[189:190], 1.0
                                        ; implicit-def: $vgpr189_vgpr190
	v_mul_f64 v[193:194], v[193:194], v[195:196]
	v_xor_b32_e32 v196, 0x80000000, v196
.LBB93_77:
	s_andn2_saveexec_b32 s1, s1
	s_cbranch_execz .LBB93_79
; %bb.78:
	v_div_scale_f64 v[193:194], null, v[189:190], v[189:190], v[191:192]
	v_div_scale_f64 v[199:200], vcc_lo, v[191:192], v[189:190], v[191:192]
	v_rcp_f64_e32 v[195:196], v[193:194]
	v_fma_f64 v[197:198], -v[193:194], v[195:196], 1.0
	v_fma_f64 v[195:196], v[195:196], v[197:198], v[195:196]
	v_fma_f64 v[197:198], -v[193:194], v[195:196], 1.0
	v_fma_f64 v[195:196], v[195:196], v[197:198], v[195:196]
	v_mul_f64 v[197:198], v[199:200], v[195:196]
	v_fma_f64 v[193:194], -v[193:194], v[197:198], v[199:200]
	v_div_fmas_f64 v[193:194], v[193:194], v[195:196], v[197:198]
	v_div_fixup_f64 v[195:196], v[193:194], v[189:190], v[191:192]
	v_fma_f64 v[189:190], v[191:192], v[195:196], v[189:190]
	v_div_scale_f64 v[191:192], null, v[189:190], v[189:190], 1.0
	v_rcp_f64_e32 v[193:194], v[191:192]
	v_fma_f64 v[197:198], -v[191:192], v[193:194], 1.0
	v_fma_f64 v[193:194], v[193:194], v[197:198], v[193:194]
	v_fma_f64 v[197:198], -v[191:192], v[193:194], 1.0
	v_fma_f64 v[193:194], v[193:194], v[197:198], v[193:194]
	v_div_scale_f64 v[197:198], vcc_lo, 1.0, v[189:190], 1.0
	v_mul_f64 v[199:200], v[197:198], v[193:194]
	v_fma_f64 v[191:192], -v[191:192], v[199:200], v[197:198]
	v_div_fmas_f64 v[191:192], v[191:192], v[193:194], v[199:200]
	v_div_fixup_f64 v[193:194], v[191:192], v[189:190], 1.0
	v_mul_f64 v[195:196], v[195:196], -v[193:194]
.LBB93_79:
	s_or_b32 exec_lo, exec_lo, s1
	ds_write2_b64 v255, v[193:194], v[195:196] offset1:1
.LBB93_80:
	s_or_b32 exec_lo, exec_lo, s2
	s_waitcnt lgkmcnt(0)
	s_barrier
	buffer_gl0_inv
	ds_read2_b64 v[189:192], v255 offset1:1
	s_mov_b32 s1, exec_lo
	s_waitcnt lgkmcnt(0)
	buffer_store_dword v189, off, s[16:19], 0 offset:496 ; 4-byte Folded Spill
	buffer_store_dword v190, off, s[16:19], 0 offset:500 ; 4-byte Folded Spill
	;; [unrolled: 1-line block ×4, first 2 shown]
	v_cmpx_lt_u32_e32 8, v0
	s_cbranch_execz .LBB93_82
; %bb.81:
	s_clause 0x3
	buffer_load_dword v191, off, s[16:19], 0 offset:496
	buffer_load_dword v192, off, s[16:19], 0 offset:500
	;; [unrolled: 1-line block ×4, first 2 shown]
	s_waitcnt vmcnt(0)
	v_mul_f64 v[189:190], v[193:194], v[155:156]
	v_mul_f64 v[155:156], v[191:192], v[155:156]
	v_fma_f64 v[189:190], v[191:192], v[153:154], -v[189:190]
	v_fma_f64 v[155:156], v[193:194], v[153:154], v[155:156]
	ds_read2_b64 v[191:194], v253 offset0:18 offset1:19
	s_waitcnt lgkmcnt(0)
	v_mul_f64 v[153:154], v[193:194], v[155:156]
	v_fma_f64 v[153:154], v[191:192], v[189:190], -v[153:154]
	v_mul_f64 v[191:192], v[191:192], v[155:156]
	v_add_f64 v[149:150], v[149:150], -v[153:154]
	v_fma_f64 v[191:192], v[193:194], v[189:190], v[191:192]
	v_add_f64 v[151:152], v[151:152], -v[191:192]
	ds_read2_b64 v[191:194], v253 offset0:20 offset1:21
	s_waitcnt lgkmcnt(0)
	v_mul_f64 v[153:154], v[193:194], v[155:156]
	v_fma_f64 v[153:154], v[191:192], v[189:190], -v[153:154]
	v_mul_f64 v[191:192], v[191:192], v[155:156]
	v_add_f64 v[145:146], v[145:146], -v[153:154]
	v_fma_f64 v[191:192], v[193:194], v[189:190], v[191:192]
	v_add_f64 v[147:148], v[147:148], -v[191:192]
	;; [unrolled: 8-line block ×37, first 2 shown]
	ds_read2_b64 v[191:194], v253 offset0:92 offset1:93
	s_waitcnt lgkmcnt(0)
	v_mul_f64 v[153:154], v[193:194], v[155:156]
	v_fma_f64 v[153:154], v[191:192], v[189:190], -v[153:154]
	v_mul_f64 v[191:192], v[191:192], v[155:156]
	v_add_f64 v[1:2], v[1:2], -v[153:154]
	v_fma_f64 v[191:192], v[193:194], v[189:190], v[191:192]
	v_mov_b32_e32 v153, v189
	v_mov_b32_e32 v154, v190
	v_add_f64 v[3:4], v[3:4], -v[191:192]
.LBB93_82:
	s_or_b32 exec_lo, exec_lo, s1
	s_mov_b32 s2, exec_lo
	s_waitcnt_vscnt null, 0x0
	s_barrier
	buffer_gl0_inv
	v_cmpx_eq_u32_e32 9, v0
	s_cbranch_execz .LBB93_89
; %bb.83:
	ds_write2_b64 v255, v[149:150], v[151:152] offset1:1
	ds_write2_b64 v253, v[145:146], v[147:148] offset0:20 offset1:21
	ds_write2_b64 v253, v[141:142], v[143:144] offset0:22 offset1:23
	ds_write2_b64 v253, v[137:138], v[139:140] offset0:24 offset1:25
	ds_write2_b64 v253, v[133:134], v[135:136] offset0:26 offset1:27
	ds_write2_b64 v253, v[129:130], v[131:132] offset0:28 offset1:29
	ds_write2_b64 v253, v[125:126], v[127:128] offset0:30 offset1:31
	ds_write2_b64 v253, v[121:122], v[123:124] offset0:32 offset1:33
	ds_write2_b64 v253, v[117:118], v[119:120] offset0:34 offset1:35
	ds_write2_b64 v253, v[113:114], v[115:116] offset0:36 offset1:37
	ds_write2_b64 v253, v[109:110], v[111:112] offset0:38 offset1:39
	ds_write2_b64 v253, v[105:106], v[107:108] offset0:40 offset1:41
	ds_write2_b64 v253, v[101:102], v[103:104] offset0:42 offset1:43
	ds_write2_b64 v253, v[97:98], v[99:100] offset0:44 offset1:45
	ds_write2_b64 v253, v[93:94], v[95:96] offset0:46 offset1:47
	ds_write2_b64 v253, v[89:90], v[91:92] offset0:48 offset1:49
	ds_write2_b64 v253, v[85:86], v[87:88] offset0:50 offset1:51
	ds_write2_b64 v253, v[81:82], v[83:84] offset0:52 offset1:53
	ds_write2_b64 v253, v[77:78], v[79:80] offset0:54 offset1:55
	ds_write2_b64 v253, v[73:74], v[75:76] offset0:56 offset1:57
	ds_write2_b64 v253, v[69:70], v[71:72] offset0:58 offset1:59
	ds_write2_b64 v253, v[65:66], v[67:68] offset0:60 offset1:61
	ds_write2_b64 v253, v[61:62], v[63:64] offset0:62 offset1:63
	ds_write2_b64 v253, v[57:58], v[59:60] offset0:64 offset1:65
	ds_write2_b64 v253, v[53:54], v[55:56] offset0:66 offset1:67
	ds_write2_b64 v253, v[49:50], v[51:52] offset0:68 offset1:69
	ds_write2_b64 v253, v[45:46], v[47:48] offset0:70 offset1:71
	ds_write2_b64 v253, v[41:42], v[43:44] offset0:72 offset1:73
	ds_write2_b64 v253, v[37:38], v[39:40] offset0:74 offset1:75
	ds_write2_b64 v253, v[33:34], v[35:36] offset0:76 offset1:77
	ds_write2_b64 v253, v[29:30], v[31:32] offset0:78 offset1:79
	ds_write2_b64 v253, v[25:26], v[27:28] offset0:80 offset1:81
	ds_write2_b64 v253, v[21:22], v[23:24] offset0:82 offset1:83
	ds_write2_b64 v253, v[17:18], v[19:20] offset0:84 offset1:85
	ds_write2_b64 v253, v[13:14], v[15:16] offset0:86 offset1:87
	ds_write2_b64 v253, v[9:10], v[11:12] offset0:88 offset1:89
	ds_write2_b64 v253, v[5:6], v[7:8] offset0:90 offset1:91
	ds_write2_b64 v253, v[1:2], v[3:4] offset0:92 offset1:93
	ds_read2_b64 v[189:192], v255 offset1:1
	s_waitcnt lgkmcnt(0)
	v_cmp_neq_f64_e32 vcc_lo, 0, v[189:190]
	v_cmp_neq_f64_e64 s1, 0, v[191:192]
	s_or_b32 s1, vcc_lo, s1
	s_and_b32 exec_lo, exec_lo, s1
	s_cbranch_execz .LBB93_89
; %bb.84:
	v_cmp_ngt_f64_e64 s1, |v[189:190]|, |v[191:192]|
                                        ; implicit-def: $vgpr193_vgpr194
	s_and_saveexec_b32 s3, s1
	s_xor_b32 s1, exec_lo, s3
                                        ; implicit-def: $vgpr195_vgpr196
	s_cbranch_execz .LBB93_86
; %bb.85:
	v_div_scale_f64 v[193:194], null, v[191:192], v[191:192], v[189:190]
	v_div_scale_f64 v[199:200], vcc_lo, v[189:190], v[191:192], v[189:190]
	v_rcp_f64_e32 v[195:196], v[193:194]
	v_fma_f64 v[197:198], -v[193:194], v[195:196], 1.0
	v_fma_f64 v[195:196], v[195:196], v[197:198], v[195:196]
	v_fma_f64 v[197:198], -v[193:194], v[195:196], 1.0
	v_fma_f64 v[195:196], v[195:196], v[197:198], v[195:196]
	v_mul_f64 v[197:198], v[199:200], v[195:196]
	v_fma_f64 v[193:194], -v[193:194], v[197:198], v[199:200]
	v_div_fmas_f64 v[193:194], v[193:194], v[195:196], v[197:198]
	v_div_fixup_f64 v[193:194], v[193:194], v[191:192], v[189:190]
	v_fma_f64 v[189:190], v[189:190], v[193:194], v[191:192]
	v_div_scale_f64 v[191:192], null, v[189:190], v[189:190], 1.0
	v_rcp_f64_e32 v[195:196], v[191:192]
	v_fma_f64 v[197:198], -v[191:192], v[195:196], 1.0
	v_fma_f64 v[195:196], v[195:196], v[197:198], v[195:196]
	v_fma_f64 v[197:198], -v[191:192], v[195:196], 1.0
	v_fma_f64 v[195:196], v[195:196], v[197:198], v[195:196]
	v_div_scale_f64 v[197:198], vcc_lo, 1.0, v[189:190], 1.0
	v_mul_f64 v[199:200], v[197:198], v[195:196]
	v_fma_f64 v[191:192], -v[191:192], v[199:200], v[197:198]
	v_div_fmas_f64 v[191:192], v[191:192], v[195:196], v[199:200]
	v_div_fixup_f64 v[195:196], v[191:192], v[189:190], 1.0
                                        ; implicit-def: $vgpr189_vgpr190
	v_mul_f64 v[193:194], v[193:194], v[195:196]
	v_xor_b32_e32 v196, 0x80000000, v196
.LBB93_86:
	s_andn2_saveexec_b32 s1, s1
	s_cbranch_execz .LBB93_88
; %bb.87:
	v_div_scale_f64 v[193:194], null, v[189:190], v[189:190], v[191:192]
	v_div_scale_f64 v[199:200], vcc_lo, v[191:192], v[189:190], v[191:192]
	v_rcp_f64_e32 v[195:196], v[193:194]
	v_fma_f64 v[197:198], -v[193:194], v[195:196], 1.0
	v_fma_f64 v[195:196], v[195:196], v[197:198], v[195:196]
	v_fma_f64 v[197:198], -v[193:194], v[195:196], 1.0
	v_fma_f64 v[195:196], v[195:196], v[197:198], v[195:196]
	v_mul_f64 v[197:198], v[199:200], v[195:196]
	v_fma_f64 v[193:194], -v[193:194], v[197:198], v[199:200]
	v_div_fmas_f64 v[193:194], v[193:194], v[195:196], v[197:198]
	v_div_fixup_f64 v[195:196], v[193:194], v[189:190], v[191:192]
	v_fma_f64 v[189:190], v[191:192], v[195:196], v[189:190]
	v_div_scale_f64 v[191:192], null, v[189:190], v[189:190], 1.0
	v_rcp_f64_e32 v[193:194], v[191:192]
	v_fma_f64 v[197:198], -v[191:192], v[193:194], 1.0
	v_fma_f64 v[193:194], v[193:194], v[197:198], v[193:194]
	v_fma_f64 v[197:198], -v[191:192], v[193:194], 1.0
	v_fma_f64 v[193:194], v[193:194], v[197:198], v[193:194]
	v_div_scale_f64 v[197:198], vcc_lo, 1.0, v[189:190], 1.0
	v_mul_f64 v[199:200], v[197:198], v[193:194]
	v_fma_f64 v[191:192], -v[191:192], v[199:200], v[197:198]
	v_div_fmas_f64 v[191:192], v[191:192], v[193:194], v[199:200]
	v_div_fixup_f64 v[193:194], v[191:192], v[189:190], 1.0
	v_mul_f64 v[195:196], v[195:196], -v[193:194]
.LBB93_88:
	s_or_b32 exec_lo, exec_lo, s1
	ds_write2_b64 v255, v[193:194], v[195:196] offset1:1
.LBB93_89:
	s_or_b32 exec_lo, exec_lo, s2
	s_waitcnt lgkmcnt(0)
	s_barrier
	buffer_gl0_inv
	ds_read2_b64 v[189:192], v255 offset1:1
	s_mov_b32 s1, exec_lo
	s_waitcnt lgkmcnt(0)
	buffer_store_dword v189, off, s[16:19], 0 offset:512 ; 4-byte Folded Spill
	buffer_store_dword v190, off, s[16:19], 0 offset:516 ; 4-byte Folded Spill
	;; [unrolled: 1-line block ×4, first 2 shown]
	v_cmpx_lt_u32_e32 9, v0
	s_cbranch_execz .LBB93_91
; %bb.90:
	s_clause 0x3
	buffer_load_dword v191, off, s[16:19], 0 offset:512
	buffer_load_dword v192, off, s[16:19], 0 offset:516
	;; [unrolled: 1-line block ×4, first 2 shown]
	s_waitcnt vmcnt(0)
	v_mul_f64 v[189:190], v[193:194], v[151:152]
	v_mul_f64 v[151:152], v[191:192], v[151:152]
	v_fma_f64 v[189:190], v[191:192], v[149:150], -v[189:190]
	v_fma_f64 v[151:152], v[193:194], v[149:150], v[151:152]
	ds_read2_b64 v[191:194], v253 offset0:20 offset1:21
	s_waitcnt lgkmcnt(0)
	v_mul_f64 v[149:150], v[193:194], v[151:152]
	v_fma_f64 v[149:150], v[191:192], v[189:190], -v[149:150]
	v_mul_f64 v[191:192], v[191:192], v[151:152]
	v_add_f64 v[145:146], v[145:146], -v[149:150]
	v_fma_f64 v[191:192], v[193:194], v[189:190], v[191:192]
	v_add_f64 v[147:148], v[147:148], -v[191:192]
	ds_read2_b64 v[191:194], v253 offset0:22 offset1:23
	s_waitcnt lgkmcnt(0)
	v_mul_f64 v[149:150], v[193:194], v[151:152]
	v_fma_f64 v[149:150], v[191:192], v[189:190], -v[149:150]
	v_mul_f64 v[191:192], v[191:192], v[151:152]
	v_add_f64 v[141:142], v[141:142], -v[149:150]
	v_fma_f64 v[191:192], v[193:194], v[189:190], v[191:192]
	v_add_f64 v[143:144], v[143:144], -v[191:192]
	;; [unrolled: 8-line block ×36, first 2 shown]
	ds_read2_b64 v[191:194], v253 offset0:92 offset1:93
	s_waitcnt lgkmcnt(0)
	v_mul_f64 v[149:150], v[193:194], v[151:152]
	v_fma_f64 v[149:150], v[191:192], v[189:190], -v[149:150]
	v_mul_f64 v[191:192], v[191:192], v[151:152]
	v_add_f64 v[1:2], v[1:2], -v[149:150]
	v_fma_f64 v[191:192], v[193:194], v[189:190], v[191:192]
	v_mov_b32_e32 v149, v189
	v_mov_b32_e32 v150, v190
	v_add_f64 v[3:4], v[3:4], -v[191:192]
.LBB93_91:
	s_or_b32 exec_lo, exec_lo, s1
	s_mov_b32 s2, exec_lo
	s_waitcnt_vscnt null, 0x0
	s_barrier
	buffer_gl0_inv
	v_cmpx_eq_u32_e32 10, v0
	s_cbranch_execz .LBB93_98
; %bb.92:
	ds_write2_b64 v255, v[145:146], v[147:148] offset1:1
	ds_write2_b64 v253, v[141:142], v[143:144] offset0:22 offset1:23
	ds_write2_b64 v253, v[137:138], v[139:140] offset0:24 offset1:25
	ds_write2_b64 v253, v[133:134], v[135:136] offset0:26 offset1:27
	ds_write2_b64 v253, v[129:130], v[131:132] offset0:28 offset1:29
	ds_write2_b64 v253, v[125:126], v[127:128] offset0:30 offset1:31
	ds_write2_b64 v253, v[121:122], v[123:124] offset0:32 offset1:33
	ds_write2_b64 v253, v[117:118], v[119:120] offset0:34 offset1:35
	ds_write2_b64 v253, v[113:114], v[115:116] offset0:36 offset1:37
	ds_write2_b64 v253, v[109:110], v[111:112] offset0:38 offset1:39
	ds_write2_b64 v253, v[105:106], v[107:108] offset0:40 offset1:41
	ds_write2_b64 v253, v[101:102], v[103:104] offset0:42 offset1:43
	ds_write2_b64 v253, v[97:98], v[99:100] offset0:44 offset1:45
	ds_write2_b64 v253, v[93:94], v[95:96] offset0:46 offset1:47
	ds_write2_b64 v253, v[89:90], v[91:92] offset0:48 offset1:49
	ds_write2_b64 v253, v[85:86], v[87:88] offset0:50 offset1:51
	ds_write2_b64 v253, v[81:82], v[83:84] offset0:52 offset1:53
	ds_write2_b64 v253, v[77:78], v[79:80] offset0:54 offset1:55
	ds_write2_b64 v253, v[73:74], v[75:76] offset0:56 offset1:57
	ds_write2_b64 v253, v[69:70], v[71:72] offset0:58 offset1:59
	ds_write2_b64 v253, v[65:66], v[67:68] offset0:60 offset1:61
	ds_write2_b64 v253, v[61:62], v[63:64] offset0:62 offset1:63
	ds_write2_b64 v253, v[57:58], v[59:60] offset0:64 offset1:65
	ds_write2_b64 v253, v[53:54], v[55:56] offset0:66 offset1:67
	ds_write2_b64 v253, v[49:50], v[51:52] offset0:68 offset1:69
	ds_write2_b64 v253, v[45:46], v[47:48] offset0:70 offset1:71
	ds_write2_b64 v253, v[41:42], v[43:44] offset0:72 offset1:73
	ds_write2_b64 v253, v[37:38], v[39:40] offset0:74 offset1:75
	ds_write2_b64 v253, v[33:34], v[35:36] offset0:76 offset1:77
	ds_write2_b64 v253, v[29:30], v[31:32] offset0:78 offset1:79
	ds_write2_b64 v253, v[25:26], v[27:28] offset0:80 offset1:81
	ds_write2_b64 v253, v[21:22], v[23:24] offset0:82 offset1:83
	ds_write2_b64 v253, v[17:18], v[19:20] offset0:84 offset1:85
	ds_write2_b64 v253, v[13:14], v[15:16] offset0:86 offset1:87
	ds_write2_b64 v253, v[9:10], v[11:12] offset0:88 offset1:89
	ds_write2_b64 v253, v[5:6], v[7:8] offset0:90 offset1:91
	ds_write2_b64 v253, v[1:2], v[3:4] offset0:92 offset1:93
	ds_read2_b64 v[189:192], v255 offset1:1
	s_waitcnt lgkmcnt(0)
	v_cmp_neq_f64_e32 vcc_lo, 0, v[189:190]
	v_cmp_neq_f64_e64 s1, 0, v[191:192]
	s_or_b32 s1, vcc_lo, s1
	s_and_b32 exec_lo, exec_lo, s1
	s_cbranch_execz .LBB93_98
; %bb.93:
	v_cmp_ngt_f64_e64 s1, |v[189:190]|, |v[191:192]|
                                        ; implicit-def: $vgpr193_vgpr194
	s_and_saveexec_b32 s3, s1
	s_xor_b32 s1, exec_lo, s3
                                        ; implicit-def: $vgpr195_vgpr196
	s_cbranch_execz .LBB93_95
; %bb.94:
	v_div_scale_f64 v[193:194], null, v[191:192], v[191:192], v[189:190]
	v_div_scale_f64 v[199:200], vcc_lo, v[189:190], v[191:192], v[189:190]
	v_rcp_f64_e32 v[195:196], v[193:194]
	v_fma_f64 v[197:198], -v[193:194], v[195:196], 1.0
	v_fma_f64 v[195:196], v[195:196], v[197:198], v[195:196]
	v_fma_f64 v[197:198], -v[193:194], v[195:196], 1.0
	v_fma_f64 v[195:196], v[195:196], v[197:198], v[195:196]
	v_mul_f64 v[197:198], v[199:200], v[195:196]
	v_fma_f64 v[193:194], -v[193:194], v[197:198], v[199:200]
	v_div_fmas_f64 v[193:194], v[193:194], v[195:196], v[197:198]
	v_div_fixup_f64 v[193:194], v[193:194], v[191:192], v[189:190]
	v_fma_f64 v[189:190], v[189:190], v[193:194], v[191:192]
	v_div_scale_f64 v[191:192], null, v[189:190], v[189:190], 1.0
	v_rcp_f64_e32 v[195:196], v[191:192]
	v_fma_f64 v[197:198], -v[191:192], v[195:196], 1.0
	v_fma_f64 v[195:196], v[195:196], v[197:198], v[195:196]
	v_fma_f64 v[197:198], -v[191:192], v[195:196], 1.0
	v_fma_f64 v[195:196], v[195:196], v[197:198], v[195:196]
	v_div_scale_f64 v[197:198], vcc_lo, 1.0, v[189:190], 1.0
	v_mul_f64 v[199:200], v[197:198], v[195:196]
	v_fma_f64 v[191:192], -v[191:192], v[199:200], v[197:198]
	v_div_fmas_f64 v[191:192], v[191:192], v[195:196], v[199:200]
	v_div_fixup_f64 v[195:196], v[191:192], v[189:190], 1.0
                                        ; implicit-def: $vgpr189_vgpr190
	v_mul_f64 v[193:194], v[193:194], v[195:196]
	v_xor_b32_e32 v196, 0x80000000, v196
.LBB93_95:
	s_andn2_saveexec_b32 s1, s1
	s_cbranch_execz .LBB93_97
; %bb.96:
	v_div_scale_f64 v[193:194], null, v[189:190], v[189:190], v[191:192]
	v_div_scale_f64 v[199:200], vcc_lo, v[191:192], v[189:190], v[191:192]
	v_rcp_f64_e32 v[195:196], v[193:194]
	v_fma_f64 v[197:198], -v[193:194], v[195:196], 1.0
	v_fma_f64 v[195:196], v[195:196], v[197:198], v[195:196]
	v_fma_f64 v[197:198], -v[193:194], v[195:196], 1.0
	v_fma_f64 v[195:196], v[195:196], v[197:198], v[195:196]
	v_mul_f64 v[197:198], v[199:200], v[195:196]
	v_fma_f64 v[193:194], -v[193:194], v[197:198], v[199:200]
	v_div_fmas_f64 v[193:194], v[193:194], v[195:196], v[197:198]
	v_div_fixup_f64 v[195:196], v[193:194], v[189:190], v[191:192]
	v_fma_f64 v[189:190], v[191:192], v[195:196], v[189:190]
	v_div_scale_f64 v[191:192], null, v[189:190], v[189:190], 1.0
	v_rcp_f64_e32 v[193:194], v[191:192]
	v_fma_f64 v[197:198], -v[191:192], v[193:194], 1.0
	v_fma_f64 v[193:194], v[193:194], v[197:198], v[193:194]
	v_fma_f64 v[197:198], -v[191:192], v[193:194], 1.0
	v_fma_f64 v[193:194], v[193:194], v[197:198], v[193:194]
	v_div_scale_f64 v[197:198], vcc_lo, 1.0, v[189:190], 1.0
	v_mul_f64 v[199:200], v[197:198], v[193:194]
	v_fma_f64 v[191:192], -v[191:192], v[199:200], v[197:198]
	v_div_fmas_f64 v[191:192], v[191:192], v[193:194], v[199:200]
	v_div_fixup_f64 v[193:194], v[191:192], v[189:190], 1.0
	v_mul_f64 v[195:196], v[195:196], -v[193:194]
.LBB93_97:
	s_or_b32 exec_lo, exec_lo, s1
	ds_write2_b64 v255, v[193:194], v[195:196] offset1:1
.LBB93_98:
	s_or_b32 exec_lo, exec_lo, s2
	s_waitcnt lgkmcnt(0)
	s_barrier
	buffer_gl0_inv
	ds_read2_b64 v[189:192], v255 offset1:1
	s_mov_b32 s1, exec_lo
	s_waitcnt lgkmcnt(0)
	buffer_store_dword v189, off, s[16:19], 0 offset:528 ; 4-byte Folded Spill
	buffer_store_dword v190, off, s[16:19], 0 offset:532 ; 4-byte Folded Spill
	;; [unrolled: 1-line block ×4, first 2 shown]
	v_cmpx_lt_u32_e32 10, v0
	s_cbranch_execz .LBB93_100
; %bb.99:
	s_clause 0x3
	buffer_load_dword v191, off, s[16:19], 0 offset:528
	buffer_load_dword v192, off, s[16:19], 0 offset:532
	;; [unrolled: 1-line block ×4, first 2 shown]
	s_waitcnt vmcnt(0)
	v_mul_f64 v[189:190], v[193:194], v[147:148]
	v_mul_f64 v[147:148], v[191:192], v[147:148]
	v_fma_f64 v[189:190], v[191:192], v[145:146], -v[189:190]
	v_fma_f64 v[147:148], v[193:194], v[145:146], v[147:148]
	ds_read2_b64 v[191:194], v253 offset0:22 offset1:23
	s_waitcnt lgkmcnt(0)
	v_mul_f64 v[145:146], v[193:194], v[147:148]
	v_fma_f64 v[145:146], v[191:192], v[189:190], -v[145:146]
	v_mul_f64 v[191:192], v[191:192], v[147:148]
	v_add_f64 v[141:142], v[141:142], -v[145:146]
	v_fma_f64 v[191:192], v[193:194], v[189:190], v[191:192]
	v_add_f64 v[143:144], v[143:144], -v[191:192]
	ds_read2_b64 v[191:194], v253 offset0:24 offset1:25
	s_waitcnt lgkmcnt(0)
	v_mul_f64 v[145:146], v[193:194], v[147:148]
	v_fma_f64 v[145:146], v[191:192], v[189:190], -v[145:146]
	v_mul_f64 v[191:192], v[191:192], v[147:148]
	v_add_f64 v[137:138], v[137:138], -v[145:146]
	v_fma_f64 v[191:192], v[193:194], v[189:190], v[191:192]
	v_add_f64 v[139:140], v[139:140], -v[191:192]
	;; [unrolled: 8-line block ×35, first 2 shown]
	ds_read2_b64 v[191:194], v253 offset0:92 offset1:93
	s_waitcnt lgkmcnt(0)
	v_mul_f64 v[145:146], v[193:194], v[147:148]
	v_fma_f64 v[145:146], v[191:192], v[189:190], -v[145:146]
	v_mul_f64 v[191:192], v[191:192], v[147:148]
	v_add_f64 v[1:2], v[1:2], -v[145:146]
	v_fma_f64 v[191:192], v[193:194], v[189:190], v[191:192]
	v_mov_b32_e32 v145, v189
	v_mov_b32_e32 v146, v190
	v_add_f64 v[3:4], v[3:4], -v[191:192]
.LBB93_100:
	s_or_b32 exec_lo, exec_lo, s1
	s_mov_b32 s2, exec_lo
	s_waitcnt_vscnt null, 0x0
	s_barrier
	buffer_gl0_inv
	v_cmpx_eq_u32_e32 11, v0
	s_cbranch_execz .LBB93_107
; %bb.101:
	ds_write2_b64 v255, v[141:142], v[143:144] offset1:1
	ds_write2_b64 v253, v[137:138], v[139:140] offset0:24 offset1:25
	ds_write2_b64 v253, v[133:134], v[135:136] offset0:26 offset1:27
	;; [unrolled: 1-line block ×35, first 2 shown]
	ds_read2_b64 v[189:192], v255 offset1:1
	s_waitcnt lgkmcnt(0)
	v_cmp_neq_f64_e32 vcc_lo, 0, v[189:190]
	v_cmp_neq_f64_e64 s1, 0, v[191:192]
	s_or_b32 s1, vcc_lo, s1
	s_and_b32 exec_lo, exec_lo, s1
	s_cbranch_execz .LBB93_107
; %bb.102:
	v_cmp_ngt_f64_e64 s1, |v[189:190]|, |v[191:192]|
                                        ; implicit-def: $vgpr193_vgpr194
	s_and_saveexec_b32 s3, s1
	s_xor_b32 s1, exec_lo, s3
                                        ; implicit-def: $vgpr195_vgpr196
	s_cbranch_execz .LBB93_104
; %bb.103:
	v_div_scale_f64 v[193:194], null, v[191:192], v[191:192], v[189:190]
	v_div_scale_f64 v[199:200], vcc_lo, v[189:190], v[191:192], v[189:190]
	v_rcp_f64_e32 v[195:196], v[193:194]
	v_fma_f64 v[197:198], -v[193:194], v[195:196], 1.0
	v_fma_f64 v[195:196], v[195:196], v[197:198], v[195:196]
	v_fma_f64 v[197:198], -v[193:194], v[195:196], 1.0
	v_fma_f64 v[195:196], v[195:196], v[197:198], v[195:196]
	v_mul_f64 v[197:198], v[199:200], v[195:196]
	v_fma_f64 v[193:194], -v[193:194], v[197:198], v[199:200]
	v_div_fmas_f64 v[193:194], v[193:194], v[195:196], v[197:198]
	v_div_fixup_f64 v[193:194], v[193:194], v[191:192], v[189:190]
	v_fma_f64 v[189:190], v[189:190], v[193:194], v[191:192]
	v_div_scale_f64 v[191:192], null, v[189:190], v[189:190], 1.0
	v_rcp_f64_e32 v[195:196], v[191:192]
	v_fma_f64 v[197:198], -v[191:192], v[195:196], 1.0
	v_fma_f64 v[195:196], v[195:196], v[197:198], v[195:196]
	v_fma_f64 v[197:198], -v[191:192], v[195:196], 1.0
	v_fma_f64 v[195:196], v[195:196], v[197:198], v[195:196]
	v_div_scale_f64 v[197:198], vcc_lo, 1.0, v[189:190], 1.0
	v_mul_f64 v[199:200], v[197:198], v[195:196]
	v_fma_f64 v[191:192], -v[191:192], v[199:200], v[197:198]
	v_div_fmas_f64 v[191:192], v[191:192], v[195:196], v[199:200]
	v_div_fixup_f64 v[195:196], v[191:192], v[189:190], 1.0
                                        ; implicit-def: $vgpr189_vgpr190
	v_mul_f64 v[193:194], v[193:194], v[195:196]
	v_xor_b32_e32 v196, 0x80000000, v196
.LBB93_104:
	s_andn2_saveexec_b32 s1, s1
	s_cbranch_execz .LBB93_106
; %bb.105:
	v_div_scale_f64 v[193:194], null, v[189:190], v[189:190], v[191:192]
	v_div_scale_f64 v[199:200], vcc_lo, v[191:192], v[189:190], v[191:192]
	v_rcp_f64_e32 v[195:196], v[193:194]
	v_fma_f64 v[197:198], -v[193:194], v[195:196], 1.0
	v_fma_f64 v[195:196], v[195:196], v[197:198], v[195:196]
	v_fma_f64 v[197:198], -v[193:194], v[195:196], 1.0
	v_fma_f64 v[195:196], v[195:196], v[197:198], v[195:196]
	v_mul_f64 v[197:198], v[199:200], v[195:196]
	v_fma_f64 v[193:194], -v[193:194], v[197:198], v[199:200]
	v_div_fmas_f64 v[193:194], v[193:194], v[195:196], v[197:198]
	v_div_fixup_f64 v[195:196], v[193:194], v[189:190], v[191:192]
	v_fma_f64 v[189:190], v[191:192], v[195:196], v[189:190]
	v_div_scale_f64 v[191:192], null, v[189:190], v[189:190], 1.0
	v_rcp_f64_e32 v[193:194], v[191:192]
	v_fma_f64 v[197:198], -v[191:192], v[193:194], 1.0
	v_fma_f64 v[193:194], v[193:194], v[197:198], v[193:194]
	v_fma_f64 v[197:198], -v[191:192], v[193:194], 1.0
	v_fma_f64 v[193:194], v[193:194], v[197:198], v[193:194]
	v_div_scale_f64 v[197:198], vcc_lo, 1.0, v[189:190], 1.0
	v_mul_f64 v[199:200], v[197:198], v[193:194]
	v_fma_f64 v[191:192], -v[191:192], v[199:200], v[197:198]
	v_div_fmas_f64 v[191:192], v[191:192], v[193:194], v[199:200]
	v_div_fixup_f64 v[193:194], v[191:192], v[189:190], 1.0
	v_mul_f64 v[195:196], v[195:196], -v[193:194]
.LBB93_106:
	s_or_b32 exec_lo, exec_lo, s1
	ds_write2_b64 v255, v[193:194], v[195:196] offset1:1
.LBB93_107:
	s_or_b32 exec_lo, exec_lo, s2
	s_waitcnt lgkmcnt(0)
	s_barrier
	buffer_gl0_inv
	ds_read2_b64 v[189:192], v255 offset1:1
	s_mov_b32 s1, exec_lo
	s_waitcnt lgkmcnt(0)
	buffer_store_dword v189, off, s[16:19], 0 offset:544 ; 4-byte Folded Spill
	buffer_store_dword v190, off, s[16:19], 0 offset:548 ; 4-byte Folded Spill
	;; [unrolled: 1-line block ×4, first 2 shown]
	v_cmpx_lt_u32_e32 11, v0
	s_cbranch_execz .LBB93_109
; %bb.108:
	s_clause 0x3
	buffer_load_dword v191, off, s[16:19], 0 offset:544
	buffer_load_dword v192, off, s[16:19], 0 offset:548
	;; [unrolled: 1-line block ×4, first 2 shown]
	s_waitcnt vmcnt(0)
	v_mul_f64 v[189:190], v[193:194], v[143:144]
	v_mul_f64 v[143:144], v[191:192], v[143:144]
	v_fma_f64 v[189:190], v[191:192], v[141:142], -v[189:190]
	v_fma_f64 v[143:144], v[193:194], v[141:142], v[143:144]
	ds_read2_b64 v[191:194], v253 offset0:24 offset1:25
	s_waitcnt lgkmcnt(0)
	v_mul_f64 v[141:142], v[193:194], v[143:144]
	v_fma_f64 v[141:142], v[191:192], v[189:190], -v[141:142]
	v_mul_f64 v[191:192], v[191:192], v[143:144]
	v_add_f64 v[137:138], v[137:138], -v[141:142]
	v_fma_f64 v[191:192], v[193:194], v[189:190], v[191:192]
	v_add_f64 v[139:140], v[139:140], -v[191:192]
	ds_read2_b64 v[191:194], v253 offset0:26 offset1:27
	s_waitcnt lgkmcnt(0)
	v_mul_f64 v[141:142], v[193:194], v[143:144]
	v_fma_f64 v[141:142], v[191:192], v[189:190], -v[141:142]
	v_mul_f64 v[191:192], v[191:192], v[143:144]
	v_add_f64 v[133:134], v[133:134], -v[141:142]
	v_fma_f64 v[191:192], v[193:194], v[189:190], v[191:192]
	v_add_f64 v[135:136], v[135:136], -v[191:192]
	;; [unrolled: 8-line block ×34, first 2 shown]
	ds_read2_b64 v[191:194], v253 offset0:92 offset1:93
	s_waitcnt lgkmcnt(0)
	v_mul_f64 v[141:142], v[193:194], v[143:144]
	v_fma_f64 v[141:142], v[191:192], v[189:190], -v[141:142]
	v_mul_f64 v[191:192], v[191:192], v[143:144]
	v_add_f64 v[1:2], v[1:2], -v[141:142]
	v_fma_f64 v[191:192], v[193:194], v[189:190], v[191:192]
	v_mov_b32_e32 v141, v189
	v_mov_b32_e32 v142, v190
	v_add_f64 v[3:4], v[3:4], -v[191:192]
.LBB93_109:
	s_or_b32 exec_lo, exec_lo, s1
	s_mov_b32 s2, exec_lo
	s_waitcnt_vscnt null, 0x0
	s_barrier
	buffer_gl0_inv
	v_cmpx_eq_u32_e32 12, v0
	s_cbranch_execz .LBB93_116
; %bb.110:
	ds_write2_b64 v255, v[137:138], v[139:140] offset1:1
	ds_write2_b64 v253, v[133:134], v[135:136] offset0:26 offset1:27
	ds_write2_b64 v253, v[129:130], v[131:132] offset0:28 offset1:29
	;; [unrolled: 1-line block ×34, first 2 shown]
	ds_read2_b64 v[189:192], v255 offset1:1
	s_waitcnt lgkmcnt(0)
	v_cmp_neq_f64_e32 vcc_lo, 0, v[189:190]
	v_cmp_neq_f64_e64 s1, 0, v[191:192]
	s_or_b32 s1, vcc_lo, s1
	s_and_b32 exec_lo, exec_lo, s1
	s_cbranch_execz .LBB93_116
; %bb.111:
	v_cmp_ngt_f64_e64 s1, |v[189:190]|, |v[191:192]|
                                        ; implicit-def: $vgpr193_vgpr194
	s_and_saveexec_b32 s3, s1
	s_xor_b32 s1, exec_lo, s3
                                        ; implicit-def: $vgpr195_vgpr196
	s_cbranch_execz .LBB93_113
; %bb.112:
	v_div_scale_f64 v[193:194], null, v[191:192], v[191:192], v[189:190]
	v_div_scale_f64 v[199:200], vcc_lo, v[189:190], v[191:192], v[189:190]
	v_rcp_f64_e32 v[195:196], v[193:194]
	v_fma_f64 v[197:198], -v[193:194], v[195:196], 1.0
	v_fma_f64 v[195:196], v[195:196], v[197:198], v[195:196]
	v_fma_f64 v[197:198], -v[193:194], v[195:196], 1.0
	v_fma_f64 v[195:196], v[195:196], v[197:198], v[195:196]
	v_mul_f64 v[197:198], v[199:200], v[195:196]
	v_fma_f64 v[193:194], -v[193:194], v[197:198], v[199:200]
	v_div_fmas_f64 v[193:194], v[193:194], v[195:196], v[197:198]
	v_div_fixup_f64 v[193:194], v[193:194], v[191:192], v[189:190]
	v_fma_f64 v[189:190], v[189:190], v[193:194], v[191:192]
	v_div_scale_f64 v[191:192], null, v[189:190], v[189:190], 1.0
	v_rcp_f64_e32 v[195:196], v[191:192]
	v_fma_f64 v[197:198], -v[191:192], v[195:196], 1.0
	v_fma_f64 v[195:196], v[195:196], v[197:198], v[195:196]
	v_fma_f64 v[197:198], -v[191:192], v[195:196], 1.0
	v_fma_f64 v[195:196], v[195:196], v[197:198], v[195:196]
	v_div_scale_f64 v[197:198], vcc_lo, 1.0, v[189:190], 1.0
	v_mul_f64 v[199:200], v[197:198], v[195:196]
	v_fma_f64 v[191:192], -v[191:192], v[199:200], v[197:198]
	v_div_fmas_f64 v[191:192], v[191:192], v[195:196], v[199:200]
	v_div_fixup_f64 v[195:196], v[191:192], v[189:190], 1.0
                                        ; implicit-def: $vgpr189_vgpr190
	v_mul_f64 v[193:194], v[193:194], v[195:196]
	v_xor_b32_e32 v196, 0x80000000, v196
.LBB93_113:
	s_andn2_saveexec_b32 s1, s1
	s_cbranch_execz .LBB93_115
; %bb.114:
	v_div_scale_f64 v[193:194], null, v[189:190], v[189:190], v[191:192]
	v_div_scale_f64 v[199:200], vcc_lo, v[191:192], v[189:190], v[191:192]
	v_rcp_f64_e32 v[195:196], v[193:194]
	v_fma_f64 v[197:198], -v[193:194], v[195:196], 1.0
	v_fma_f64 v[195:196], v[195:196], v[197:198], v[195:196]
	v_fma_f64 v[197:198], -v[193:194], v[195:196], 1.0
	v_fma_f64 v[195:196], v[195:196], v[197:198], v[195:196]
	v_mul_f64 v[197:198], v[199:200], v[195:196]
	v_fma_f64 v[193:194], -v[193:194], v[197:198], v[199:200]
	v_div_fmas_f64 v[193:194], v[193:194], v[195:196], v[197:198]
	v_div_fixup_f64 v[195:196], v[193:194], v[189:190], v[191:192]
	v_fma_f64 v[189:190], v[191:192], v[195:196], v[189:190]
	v_div_scale_f64 v[191:192], null, v[189:190], v[189:190], 1.0
	v_rcp_f64_e32 v[193:194], v[191:192]
	v_fma_f64 v[197:198], -v[191:192], v[193:194], 1.0
	v_fma_f64 v[193:194], v[193:194], v[197:198], v[193:194]
	v_fma_f64 v[197:198], -v[191:192], v[193:194], 1.0
	v_fma_f64 v[193:194], v[193:194], v[197:198], v[193:194]
	v_div_scale_f64 v[197:198], vcc_lo, 1.0, v[189:190], 1.0
	v_mul_f64 v[199:200], v[197:198], v[193:194]
	v_fma_f64 v[191:192], -v[191:192], v[199:200], v[197:198]
	v_div_fmas_f64 v[191:192], v[191:192], v[193:194], v[199:200]
	v_div_fixup_f64 v[193:194], v[191:192], v[189:190], 1.0
	v_mul_f64 v[195:196], v[195:196], -v[193:194]
.LBB93_115:
	s_or_b32 exec_lo, exec_lo, s1
	ds_write2_b64 v255, v[193:194], v[195:196] offset1:1
.LBB93_116:
	s_or_b32 exec_lo, exec_lo, s2
	s_waitcnt lgkmcnt(0)
	s_barrier
	buffer_gl0_inv
	ds_read2_b64 v[189:192], v255 offset1:1
	s_mov_b32 s1, exec_lo
	s_waitcnt lgkmcnt(0)
	buffer_store_dword v189, off, s[16:19], 0 offset:560 ; 4-byte Folded Spill
	buffer_store_dword v190, off, s[16:19], 0 offset:564 ; 4-byte Folded Spill
	;; [unrolled: 1-line block ×4, first 2 shown]
	v_cmpx_lt_u32_e32 12, v0
	s_cbranch_execz .LBB93_118
; %bb.117:
	s_clause 0x3
	buffer_load_dword v191, off, s[16:19], 0 offset:560
	buffer_load_dword v192, off, s[16:19], 0 offset:564
	;; [unrolled: 1-line block ×4, first 2 shown]
	s_waitcnt vmcnt(0)
	v_mul_f64 v[189:190], v[193:194], v[139:140]
	v_mul_f64 v[139:140], v[191:192], v[139:140]
	v_fma_f64 v[189:190], v[191:192], v[137:138], -v[189:190]
	v_fma_f64 v[139:140], v[193:194], v[137:138], v[139:140]
	ds_read2_b64 v[191:194], v253 offset0:26 offset1:27
	s_waitcnt lgkmcnt(0)
	v_mul_f64 v[137:138], v[193:194], v[139:140]
	v_fma_f64 v[137:138], v[191:192], v[189:190], -v[137:138]
	v_mul_f64 v[191:192], v[191:192], v[139:140]
	v_add_f64 v[133:134], v[133:134], -v[137:138]
	v_fma_f64 v[191:192], v[193:194], v[189:190], v[191:192]
	v_add_f64 v[135:136], v[135:136], -v[191:192]
	ds_read2_b64 v[191:194], v253 offset0:28 offset1:29
	s_waitcnt lgkmcnt(0)
	v_mul_f64 v[137:138], v[193:194], v[139:140]
	v_fma_f64 v[137:138], v[191:192], v[189:190], -v[137:138]
	v_mul_f64 v[191:192], v[191:192], v[139:140]
	v_add_f64 v[129:130], v[129:130], -v[137:138]
	v_fma_f64 v[191:192], v[193:194], v[189:190], v[191:192]
	v_add_f64 v[131:132], v[131:132], -v[191:192]
	;; [unrolled: 8-line block ×33, first 2 shown]
	ds_read2_b64 v[191:194], v253 offset0:92 offset1:93
	s_waitcnt lgkmcnt(0)
	v_mul_f64 v[137:138], v[193:194], v[139:140]
	v_fma_f64 v[137:138], v[191:192], v[189:190], -v[137:138]
	v_mul_f64 v[191:192], v[191:192], v[139:140]
	v_add_f64 v[1:2], v[1:2], -v[137:138]
	v_fma_f64 v[191:192], v[193:194], v[189:190], v[191:192]
	v_mov_b32_e32 v137, v189
	v_mov_b32_e32 v138, v190
	v_add_f64 v[3:4], v[3:4], -v[191:192]
.LBB93_118:
	s_or_b32 exec_lo, exec_lo, s1
	s_mov_b32 s2, exec_lo
	s_waitcnt_vscnt null, 0x0
	s_barrier
	buffer_gl0_inv
	v_cmpx_eq_u32_e32 13, v0
	s_cbranch_execz .LBB93_125
; %bb.119:
	ds_write2_b64 v255, v[133:134], v[135:136] offset1:1
	ds_write2_b64 v253, v[129:130], v[131:132] offset0:28 offset1:29
	ds_write2_b64 v253, v[125:126], v[127:128] offset0:30 offset1:31
	;; [unrolled: 1-line block ×33, first 2 shown]
	ds_read2_b64 v[189:192], v255 offset1:1
	s_waitcnt lgkmcnt(0)
	v_cmp_neq_f64_e32 vcc_lo, 0, v[189:190]
	v_cmp_neq_f64_e64 s1, 0, v[191:192]
	s_or_b32 s1, vcc_lo, s1
	s_and_b32 exec_lo, exec_lo, s1
	s_cbranch_execz .LBB93_125
; %bb.120:
	v_cmp_ngt_f64_e64 s1, |v[189:190]|, |v[191:192]|
                                        ; implicit-def: $vgpr193_vgpr194
	s_and_saveexec_b32 s3, s1
	s_xor_b32 s1, exec_lo, s3
                                        ; implicit-def: $vgpr195_vgpr196
	s_cbranch_execz .LBB93_122
; %bb.121:
	v_div_scale_f64 v[193:194], null, v[191:192], v[191:192], v[189:190]
	v_div_scale_f64 v[199:200], vcc_lo, v[189:190], v[191:192], v[189:190]
	v_rcp_f64_e32 v[195:196], v[193:194]
	v_fma_f64 v[197:198], -v[193:194], v[195:196], 1.0
	v_fma_f64 v[195:196], v[195:196], v[197:198], v[195:196]
	v_fma_f64 v[197:198], -v[193:194], v[195:196], 1.0
	v_fma_f64 v[195:196], v[195:196], v[197:198], v[195:196]
	v_mul_f64 v[197:198], v[199:200], v[195:196]
	v_fma_f64 v[193:194], -v[193:194], v[197:198], v[199:200]
	v_div_fmas_f64 v[193:194], v[193:194], v[195:196], v[197:198]
	v_div_fixup_f64 v[193:194], v[193:194], v[191:192], v[189:190]
	v_fma_f64 v[189:190], v[189:190], v[193:194], v[191:192]
	v_div_scale_f64 v[191:192], null, v[189:190], v[189:190], 1.0
	v_rcp_f64_e32 v[195:196], v[191:192]
	v_fma_f64 v[197:198], -v[191:192], v[195:196], 1.0
	v_fma_f64 v[195:196], v[195:196], v[197:198], v[195:196]
	v_fma_f64 v[197:198], -v[191:192], v[195:196], 1.0
	v_fma_f64 v[195:196], v[195:196], v[197:198], v[195:196]
	v_div_scale_f64 v[197:198], vcc_lo, 1.0, v[189:190], 1.0
	v_mul_f64 v[199:200], v[197:198], v[195:196]
	v_fma_f64 v[191:192], -v[191:192], v[199:200], v[197:198]
	v_div_fmas_f64 v[191:192], v[191:192], v[195:196], v[199:200]
	v_div_fixup_f64 v[195:196], v[191:192], v[189:190], 1.0
                                        ; implicit-def: $vgpr189_vgpr190
	v_mul_f64 v[193:194], v[193:194], v[195:196]
	v_xor_b32_e32 v196, 0x80000000, v196
.LBB93_122:
	s_andn2_saveexec_b32 s1, s1
	s_cbranch_execz .LBB93_124
; %bb.123:
	v_div_scale_f64 v[193:194], null, v[189:190], v[189:190], v[191:192]
	v_div_scale_f64 v[199:200], vcc_lo, v[191:192], v[189:190], v[191:192]
	v_rcp_f64_e32 v[195:196], v[193:194]
	v_fma_f64 v[197:198], -v[193:194], v[195:196], 1.0
	v_fma_f64 v[195:196], v[195:196], v[197:198], v[195:196]
	v_fma_f64 v[197:198], -v[193:194], v[195:196], 1.0
	v_fma_f64 v[195:196], v[195:196], v[197:198], v[195:196]
	v_mul_f64 v[197:198], v[199:200], v[195:196]
	v_fma_f64 v[193:194], -v[193:194], v[197:198], v[199:200]
	v_div_fmas_f64 v[193:194], v[193:194], v[195:196], v[197:198]
	v_div_fixup_f64 v[195:196], v[193:194], v[189:190], v[191:192]
	v_fma_f64 v[189:190], v[191:192], v[195:196], v[189:190]
	v_div_scale_f64 v[191:192], null, v[189:190], v[189:190], 1.0
	v_rcp_f64_e32 v[193:194], v[191:192]
	v_fma_f64 v[197:198], -v[191:192], v[193:194], 1.0
	v_fma_f64 v[193:194], v[193:194], v[197:198], v[193:194]
	v_fma_f64 v[197:198], -v[191:192], v[193:194], 1.0
	v_fma_f64 v[193:194], v[193:194], v[197:198], v[193:194]
	v_div_scale_f64 v[197:198], vcc_lo, 1.0, v[189:190], 1.0
	v_mul_f64 v[199:200], v[197:198], v[193:194]
	v_fma_f64 v[191:192], -v[191:192], v[199:200], v[197:198]
	v_div_fmas_f64 v[191:192], v[191:192], v[193:194], v[199:200]
	v_div_fixup_f64 v[193:194], v[191:192], v[189:190], 1.0
	v_mul_f64 v[195:196], v[195:196], -v[193:194]
.LBB93_124:
	s_or_b32 exec_lo, exec_lo, s1
	ds_write2_b64 v255, v[193:194], v[195:196] offset1:1
.LBB93_125:
	s_or_b32 exec_lo, exec_lo, s2
	s_waitcnt lgkmcnt(0)
	s_barrier
	buffer_gl0_inv
	ds_read2_b64 v[189:192], v255 offset1:1
	s_mov_b32 s1, exec_lo
	s_waitcnt lgkmcnt(0)
	buffer_store_dword v189, off, s[16:19], 0 offset:576 ; 4-byte Folded Spill
	buffer_store_dword v190, off, s[16:19], 0 offset:580 ; 4-byte Folded Spill
	;; [unrolled: 1-line block ×4, first 2 shown]
	v_cmpx_lt_u32_e32 13, v0
	s_cbranch_execz .LBB93_127
; %bb.126:
	s_clause 0x3
	buffer_load_dword v191, off, s[16:19], 0 offset:576
	buffer_load_dword v192, off, s[16:19], 0 offset:580
	;; [unrolled: 1-line block ×4, first 2 shown]
	s_waitcnt vmcnt(0)
	v_mul_f64 v[189:190], v[193:194], v[135:136]
	v_mul_f64 v[135:136], v[191:192], v[135:136]
	v_fma_f64 v[189:190], v[191:192], v[133:134], -v[189:190]
	v_fma_f64 v[135:136], v[193:194], v[133:134], v[135:136]
	ds_read2_b64 v[191:194], v253 offset0:28 offset1:29
	s_waitcnt lgkmcnt(0)
	v_mul_f64 v[133:134], v[193:194], v[135:136]
	v_fma_f64 v[133:134], v[191:192], v[189:190], -v[133:134]
	v_mul_f64 v[191:192], v[191:192], v[135:136]
	v_add_f64 v[129:130], v[129:130], -v[133:134]
	v_fma_f64 v[191:192], v[193:194], v[189:190], v[191:192]
	v_add_f64 v[131:132], v[131:132], -v[191:192]
	ds_read2_b64 v[191:194], v253 offset0:30 offset1:31
	s_waitcnt lgkmcnt(0)
	v_mul_f64 v[133:134], v[193:194], v[135:136]
	v_fma_f64 v[133:134], v[191:192], v[189:190], -v[133:134]
	v_mul_f64 v[191:192], v[191:192], v[135:136]
	v_add_f64 v[125:126], v[125:126], -v[133:134]
	v_fma_f64 v[191:192], v[193:194], v[189:190], v[191:192]
	v_add_f64 v[127:128], v[127:128], -v[191:192]
	;; [unrolled: 8-line block ×32, first 2 shown]
	ds_read2_b64 v[191:194], v253 offset0:92 offset1:93
	s_waitcnt lgkmcnt(0)
	v_mul_f64 v[133:134], v[193:194], v[135:136]
	v_fma_f64 v[133:134], v[191:192], v[189:190], -v[133:134]
	v_mul_f64 v[191:192], v[191:192], v[135:136]
	v_add_f64 v[1:2], v[1:2], -v[133:134]
	v_fma_f64 v[191:192], v[193:194], v[189:190], v[191:192]
	v_mov_b32_e32 v133, v189
	v_mov_b32_e32 v134, v190
	v_add_f64 v[3:4], v[3:4], -v[191:192]
.LBB93_127:
	s_or_b32 exec_lo, exec_lo, s1
	s_mov_b32 s2, exec_lo
	s_waitcnt_vscnt null, 0x0
	s_barrier
	buffer_gl0_inv
	v_cmpx_eq_u32_e32 14, v0
	s_cbranch_execz .LBB93_134
; %bb.128:
	ds_write2_b64 v255, v[129:130], v[131:132] offset1:1
	ds_write2_b64 v253, v[125:126], v[127:128] offset0:30 offset1:31
	ds_write2_b64 v253, v[121:122], v[123:124] offset0:32 offset1:33
	;; [unrolled: 1-line block ×32, first 2 shown]
	ds_read2_b64 v[189:192], v255 offset1:1
	s_waitcnt lgkmcnt(0)
	v_cmp_neq_f64_e32 vcc_lo, 0, v[189:190]
	v_cmp_neq_f64_e64 s1, 0, v[191:192]
	s_or_b32 s1, vcc_lo, s1
	s_and_b32 exec_lo, exec_lo, s1
	s_cbranch_execz .LBB93_134
; %bb.129:
	v_cmp_ngt_f64_e64 s1, |v[189:190]|, |v[191:192]|
                                        ; implicit-def: $vgpr193_vgpr194
	s_and_saveexec_b32 s3, s1
	s_xor_b32 s1, exec_lo, s3
                                        ; implicit-def: $vgpr195_vgpr196
	s_cbranch_execz .LBB93_131
; %bb.130:
	v_div_scale_f64 v[193:194], null, v[191:192], v[191:192], v[189:190]
	v_div_scale_f64 v[199:200], vcc_lo, v[189:190], v[191:192], v[189:190]
	v_rcp_f64_e32 v[195:196], v[193:194]
	v_fma_f64 v[197:198], -v[193:194], v[195:196], 1.0
	v_fma_f64 v[195:196], v[195:196], v[197:198], v[195:196]
	v_fma_f64 v[197:198], -v[193:194], v[195:196], 1.0
	v_fma_f64 v[195:196], v[195:196], v[197:198], v[195:196]
	v_mul_f64 v[197:198], v[199:200], v[195:196]
	v_fma_f64 v[193:194], -v[193:194], v[197:198], v[199:200]
	v_div_fmas_f64 v[193:194], v[193:194], v[195:196], v[197:198]
	v_div_fixup_f64 v[193:194], v[193:194], v[191:192], v[189:190]
	v_fma_f64 v[189:190], v[189:190], v[193:194], v[191:192]
	v_div_scale_f64 v[191:192], null, v[189:190], v[189:190], 1.0
	v_rcp_f64_e32 v[195:196], v[191:192]
	v_fma_f64 v[197:198], -v[191:192], v[195:196], 1.0
	v_fma_f64 v[195:196], v[195:196], v[197:198], v[195:196]
	v_fma_f64 v[197:198], -v[191:192], v[195:196], 1.0
	v_fma_f64 v[195:196], v[195:196], v[197:198], v[195:196]
	v_div_scale_f64 v[197:198], vcc_lo, 1.0, v[189:190], 1.0
	v_mul_f64 v[199:200], v[197:198], v[195:196]
	v_fma_f64 v[191:192], -v[191:192], v[199:200], v[197:198]
	v_div_fmas_f64 v[191:192], v[191:192], v[195:196], v[199:200]
	v_div_fixup_f64 v[195:196], v[191:192], v[189:190], 1.0
                                        ; implicit-def: $vgpr189_vgpr190
	v_mul_f64 v[193:194], v[193:194], v[195:196]
	v_xor_b32_e32 v196, 0x80000000, v196
.LBB93_131:
	s_andn2_saveexec_b32 s1, s1
	s_cbranch_execz .LBB93_133
; %bb.132:
	v_div_scale_f64 v[193:194], null, v[189:190], v[189:190], v[191:192]
	v_div_scale_f64 v[199:200], vcc_lo, v[191:192], v[189:190], v[191:192]
	v_rcp_f64_e32 v[195:196], v[193:194]
	v_fma_f64 v[197:198], -v[193:194], v[195:196], 1.0
	v_fma_f64 v[195:196], v[195:196], v[197:198], v[195:196]
	v_fma_f64 v[197:198], -v[193:194], v[195:196], 1.0
	v_fma_f64 v[195:196], v[195:196], v[197:198], v[195:196]
	v_mul_f64 v[197:198], v[199:200], v[195:196]
	v_fma_f64 v[193:194], -v[193:194], v[197:198], v[199:200]
	v_div_fmas_f64 v[193:194], v[193:194], v[195:196], v[197:198]
	v_div_fixup_f64 v[195:196], v[193:194], v[189:190], v[191:192]
	v_fma_f64 v[189:190], v[191:192], v[195:196], v[189:190]
	v_div_scale_f64 v[191:192], null, v[189:190], v[189:190], 1.0
	v_rcp_f64_e32 v[193:194], v[191:192]
	v_fma_f64 v[197:198], -v[191:192], v[193:194], 1.0
	v_fma_f64 v[193:194], v[193:194], v[197:198], v[193:194]
	v_fma_f64 v[197:198], -v[191:192], v[193:194], 1.0
	v_fma_f64 v[193:194], v[193:194], v[197:198], v[193:194]
	v_div_scale_f64 v[197:198], vcc_lo, 1.0, v[189:190], 1.0
	v_mul_f64 v[199:200], v[197:198], v[193:194]
	v_fma_f64 v[191:192], -v[191:192], v[199:200], v[197:198]
	v_div_fmas_f64 v[191:192], v[191:192], v[193:194], v[199:200]
	v_div_fixup_f64 v[193:194], v[191:192], v[189:190], 1.0
	v_mul_f64 v[195:196], v[195:196], -v[193:194]
.LBB93_133:
	s_or_b32 exec_lo, exec_lo, s1
	ds_write2_b64 v255, v[193:194], v[195:196] offset1:1
.LBB93_134:
	s_or_b32 exec_lo, exec_lo, s2
	s_waitcnt lgkmcnt(0)
	s_barrier
	buffer_gl0_inv
	ds_read2_b64 v[189:192], v255 offset1:1
	s_mov_b32 s1, exec_lo
	s_waitcnt lgkmcnt(0)
	buffer_store_dword v189, off, s[16:19], 0 offset:592 ; 4-byte Folded Spill
	buffer_store_dword v190, off, s[16:19], 0 offset:596 ; 4-byte Folded Spill
	;; [unrolled: 1-line block ×4, first 2 shown]
	v_cmpx_lt_u32_e32 14, v0
	s_cbranch_execz .LBB93_136
; %bb.135:
	s_clause 0x3
	buffer_load_dword v191, off, s[16:19], 0 offset:592
	buffer_load_dword v192, off, s[16:19], 0 offset:596
	;; [unrolled: 1-line block ×4, first 2 shown]
	s_waitcnt vmcnt(0)
	v_mul_f64 v[189:190], v[193:194], v[131:132]
	v_mul_f64 v[131:132], v[191:192], v[131:132]
	v_fma_f64 v[189:190], v[191:192], v[129:130], -v[189:190]
	v_fma_f64 v[131:132], v[193:194], v[129:130], v[131:132]
	ds_read2_b64 v[191:194], v253 offset0:30 offset1:31
	s_waitcnt lgkmcnt(0)
	v_mul_f64 v[129:130], v[193:194], v[131:132]
	v_fma_f64 v[129:130], v[191:192], v[189:190], -v[129:130]
	v_mul_f64 v[191:192], v[191:192], v[131:132]
	v_add_f64 v[125:126], v[125:126], -v[129:130]
	v_fma_f64 v[191:192], v[193:194], v[189:190], v[191:192]
	v_add_f64 v[127:128], v[127:128], -v[191:192]
	ds_read2_b64 v[191:194], v253 offset0:32 offset1:33
	s_waitcnt lgkmcnt(0)
	v_mul_f64 v[129:130], v[193:194], v[131:132]
	v_fma_f64 v[129:130], v[191:192], v[189:190], -v[129:130]
	v_mul_f64 v[191:192], v[191:192], v[131:132]
	v_add_f64 v[121:122], v[121:122], -v[129:130]
	v_fma_f64 v[191:192], v[193:194], v[189:190], v[191:192]
	v_add_f64 v[123:124], v[123:124], -v[191:192]
	;; [unrolled: 8-line block ×31, first 2 shown]
	ds_read2_b64 v[191:194], v253 offset0:92 offset1:93
	s_waitcnt lgkmcnt(0)
	v_mul_f64 v[129:130], v[193:194], v[131:132]
	v_fma_f64 v[129:130], v[191:192], v[189:190], -v[129:130]
	v_mul_f64 v[191:192], v[191:192], v[131:132]
	v_add_f64 v[1:2], v[1:2], -v[129:130]
	v_fma_f64 v[191:192], v[193:194], v[189:190], v[191:192]
	v_mov_b32_e32 v129, v189
	v_mov_b32_e32 v130, v190
	v_add_f64 v[3:4], v[3:4], -v[191:192]
.LBB93_136:
	s_or_b32 exec_lo, exec_lo, s1
	s_mov_b32 s2, exec_lo
	s_waitcnt_vscnt null, 0x0
	s_barrier
	buffer_gl0_inv
	v_cmpx_eq_u32_e32 15, v0
	s_cbranch_execz .LBB93_143
; %bb.137:
	ds_write2_b64 v255, v[125:126], v[127:128] offset1:1
	ds_write2_b64 v253, v[121:122], v[123:124] offset0:32 offset1:33
	ds_write2_b64 v253, v[117:118], v[119:120] offset0:34 offset1:35
	;; [unrolled: 1-line block ×31, first 2 shown]
	ds_read2_b64 v[189:192], v255 offset1:1
	s_waitcnt lgkmcnt(0)
	v_cmp_neq_f64_e32 vcc_lo, 0, v[189:190]
	v_cmp_neq_f64_e64 s1, 0, v[191:192]
	s_or_b32 s1, vcc_lo, s1
	s_and_b32 exec_lo, exec_lo, s1
	s_cbranch_execz .LBB93_143
; %bb.138:
	v_cmp_ngt_f64_e64 s1, |v[189:190]|, |v[191:192]|
                                        ; implicit-def: $vgpr193_vgpr194
	s_and_saveexec_b32 s3, s1
	s_xor_b32 s1, exec_lo, s3
                                        ; implicit-def: $vgpr195_vgpr196
	s_cbranch_execz .LBB93_140
; %bb.139:
	v_div_scale_f64 v[193:194], null, v[191:192], v[191:192], v[189:190]
	v_div_scale_f64 v[199:200], vcc_lo, v[189:190], v[191:192], v[189:190]
	v_rcp_f64_e32 v[195:196], v[193:194]
	v_fma_f64 v[197:198], -v[193:194], v[195:196], 1.0
	v_fma_f64 v[195:196], v[195:196], v[197:198], v[195:196]
	v_fma_f64 v[197:198], -v[193:194], v[195:196], 1.0
	v_fma_f64 v[195:196], v[195:196], v[197:198], v[195:196]
	v_mul_f64 v[197:198], v[199:200], v[195:196]
	v_fma_f64 v[193:194], -v[193:194], v[197:198], v[199:200]
	v_div_fmas_f64 v[193:194], v[193:194], v[195:196], v[197:198]
	v_div_fixup_f64 v[193:194], v[193:194], v[191:192], v[189:190]
	v_fma_f64 v[189:190], v[189:190], v[193:194], v[191:192]
	v_div_scale_f64 v[191:192], null, v[189:190], v[189:190], 1.0
	v_rcp_f64_e32 v[195:196], v[191:192]
	v_fma_f64 v[197:198], -v[191:192], v[195:196], 1.0
	v_fma_f64 v[195:196], v[195:196], v[197:198], v[195:196]
	v_fma_f64 v[197:198], -v[191:192], v[195:196], 1.0
	v_fma_f64 v[195:196], v[195:196], v[197:198], v[195:196]
	v_div_scale_f64 v[197:198], vcc_lo, 1.0, v[189:190], 1.0
	v_mul_f64 v[199:200], v[197:198], v[195:196]
	v_fma_f64 v[191:192], -v[191:192], v[199:200], v[197:198]
	v_div_fmas_f64 v[191:192], v[191:192], v[195:196], v[199:200]
	v_div_fixup_f64 v[195:196], v[191:192], v[189:190], 1.0
                                        ; implicit-def: $vgpr189_vgpr190
	v_mul_f64 v[193:194], v[193:194], v[195:196]
	v_xor_b32_e32 v196, 0x80000000, v196
.LBB93_140:
	s_andn2_saveexec_b32 s1, s1
	s_cbranch_execz .LBB93_142
; %bb.141:
	v_div_scale_f64 v[193:194], null, v[189:190], v[189:190], v[191:192]
	v_div_scale_f64 v[199:200], vcc_lo, v[191:192], v[189:190], v[191:192]
	v_rcp_f64_e32 v[195:196], v[193:194]
	v_fma_f64 v[197:198], -v[193:194], v[195:196], 1.0
	v_fma_f64 v[195:196], v[195:196], v[197:198], v[195:196]
	v_fma_f64 v[197:198], -v[193:194], v[195:196], 1.0
	v_fma_f64 v[195:196], v[195:196], v[197:198], v[195:196]
	v_mul_f64 v[197:198], v[199:200], v[195:196]
	v_fma_f64 v[193:194], -v[193:194], v[197:198], v[199:200]
	v_div_fmas_f64 v[193:194], v[193:194], v[195:196], v[197:198]
	v_div_fixup_f64 v[195:196], v[193:194], v[189:190], v[191:192]
	v_fma_f64 v[189:190], v[191:192], v[195:196], v[189:190]
	v_div_scale_f64 v[191:192], null, v[189:190], v[189:190], 1.0
	v_rcp_f64_e32 v[193:194], v[191:192]
	v_fma_f64 v[197:198], -v[191:192], v[193:194], 1.0
	v_fma_f64 v[193:194], v[193:194], v[197:198], v[193:194]
	v_fma_f64 v[197:198], -v[191:192], v[193:194], 1.0
	v_fma_f64 v[193:194], v[193:194], v[197:198], v[193:194]
	v_div_scale_f64 v[197:198], vcc_lo, 1.0, v[189:190], 1.0
	v_mul_f64 v[199:200], v[197:198], v[193:194]
	v_fma_f64 v[191:192], -v[191:192], v[199:200], v[197:198]
	v_div_fmas_f64 v[191:192], v[191:192], v[193:194], v[199:200]
	v_div_fixup_f64 v[193:194], v[191:192], v[189:190], 1.0
	v_mul_f64 v[195:196], v[195:196], -v[193:194]
.LBB93_142:
	s_or_b32 exec_lo, exec_lo, s1
	ds_write2_b64 v255, v[193:194], v[195:196] offset1:1
.LBB93_143:
	s_or_b32 exec_lo, exec_lo, s2
	s_waitcnt lgkmcnt(0)
	s_barrier
	buffer_gl0_inv
	ds_read2_b64 v[189:192], v255 offset1:1
	s_mov_b32 s1, exec_lo
	s_waitcnt lgkmcnt(0)
	buffer_store_dword v189, off, s[16:19], 0 offset:608 ; 4-byte Folded Spill
	buffer_store_dword v190, off, s[16:19], 0 offset:612 ; 4-byte Folded Spill
	;; [unrolled: 1-line block ×4, first 2 shown]
	v_cmpx_lt_u32_e32 15, v0
	s_cbranch_execz .LBB93_145
; %bb.144:
	s_clause 0x3
	buffer_load_dword v191, off, s[16:19], 0 offset:608
	buffer_load_dword v192, off, s[16:19], 0 offset:612
	;; [unrolled: 1-line block ×4, first 2 shown]
	s_waitcnt vmcnt(0)
	v_mul_f64 v[189:190], v[193:194], v[127:128]
	v_mul_f64 v[127:128], v[191:192], v[127:128]
	v_fma_f64 v[189:190], v[191:192], v[125:126], -v[189:190]
	v_fma_f64 v[127:128], v[193:194], v[125:126], v[127:128]
	ds_read2_b64 v[191:194], v253 offset0:32 offset1:33
	s_waitcnt lgkmcnt(0)
	v_mul_f64 v[125:126], v[193:194], v[127:128]
	v_fma_f64 v[125:126], v[191:192], v[189:190], -v[125:126]
	v_mul_f64 v[191:192], v[191:192], v[127:128]
	v_add_f64 v[121:122], v[121:122], -v[125:126]
	v_fma_f64 v[191:192], v[193:194], v[189:190], v[191:192]
	v_add_f64 v[123:124], v[123:124], -v[191:192]
	ds_read2_b64 v[191:194], v253 offset0:34 offset1:35
	s_waitcnt lgkmcnt(0)
	v_mul_f64 v[125:126], v[193:194], v[127:128]
	v_fma_f64 v[125:126], v[191:192], v[189:190], -v[125:126]
	v_mul_f64 v[191:192], v[191:192], v[127:128]
	v_add_f64 v[117:118], v[117:118], -v[125:126]
	v_fma_f64 v[191:192], v[193:194], v[189:190], v[191:192]
	v_add_f64 v[119:120], v[119:120], -v[191:192]
	ds_read2_b64 v[191:194], v253 offset0:36 offset1:37
	s_waitcnt lgkmcnt(0)
	v_mul_f64 v[125:126], v[193:194], v[127:128]
	v_fma_f64 v[125:126], v[191:192], v[189:190], -v[125:126]
	v_mul_f64 v[191:192], v[191:192], v[127:128]
	v_add_f64 v[113:114], v[113:114], -v[125:126]
	v_fma_f64 v[191:192], v[193:194], v[189:190], v[191:192]
	v_add_f64 v[115:116], v[115:116], -v[191:192]
	ds_read2_b64 v[191:194], v253 offset0:38 offset1:39
	s_waitcnt lgkmcnt(0)
	v_mul_f64 v[125:126], v[193:194], v[127:128]
	v_fma_f64 v[125:126], v[191:192], v[189:190], -v[125:126]
	v_mul_f64 v[191:192], v[191:192], v[127:128]
	v_add_f64 v[109:110], v[109:110], -v[125:126]
	v_fma_f64 v[191:192], v[193:194], v[189:190], v[191:192]
	v_add_f64 v[111:112], v[111:112], -v[191:192]
	ds_read2_b64 v[191:194], v253 offset0:40 offset1:41
	s_waitcnt lgkmcnt(0)
	v_mul_f64 v[125:126], v[193:194], v[127:128]
	v_fma_f64 v[125:126], v[191:192], v[189:190], -v[125:126]
	v_mul_f64 v[191:192], v[191:192], v[127:128]
	v_add_f64 v[105:106], v[105:106], -v[125:126]
	v_fma_f64 v[191:192], v[193:194], v[189:190], v[191:192]
	v_add_f64 v[107:108], v[107:108], -v[191:192]
	ds_read2_b64 v[191:194], v253 offset0:42 offset1:43
	s_waitcnt lgkmcnt(0)
	v_mul_f64 v[125:126], v[193:194], v[127:128]
	v_fma_f64 v[125:126], v[191:192], v[189:190], -v[125:126]
	v_mul_f64 v[191:192], v[191:192], v[127:128]
	v_add_f64 v[101:102], v[101:102], -v[125:126]
	v_fma_f64 v[191:192], v[193:194], v[189:190], v[191:192]
	v_add_f64 v[103:104], v[103:104], -v[191:192]
	ds_read2_b64 v[191:194], v253 offset0:44 offset1:45
	s_waitcnt lgkmcnt(0)
	v_mul_f64 v[125:126], v[193:194], v[127:128]
	v_fma_f64 v[125:126], v[191:192], v[189:190], -v[125:126]
	v_mul_f64 v[191:192], v[191:192], v[127:128]
	v_add_f64 v[97:98], v[97:98], -v[125:126]
	v_fma_f64 v[191:192], v[193:194], v[189:190], v[191:192]
	v_add_f64 v[99:100], v[99:100], -v[191:192]
	ds_read2_b64 v[191:194], v253 offset0:46 offset1:47
	s_waitcnt lgkmcnt(0)
	v_mul_f64 v[125:126], v[193:194], v[127:128]
	v_fma_f64 v[125:126], v[191:192], v[189:190], -v[125:126]
	v_mul_f64 v[191:192], v[191:192], v[127:128]
	v_add_f64 v[93:94], v[93:94], -v[125:126]
	v_fma_f64 v[191:192], v[193:194], v[189:190], v[191:192]
	v_add_f64 v[95:96], v[95:96], -v[191:192]
	ds_read2_b64 v[191:194], v253 offset0:48 offset1:49
	s_waitcnt lgkmcnt(0)
	v_mul_f64 v[125:126], v[193:194], v[127:128]
	v_fma_f64 v[125:126], v[191:192], v[189:190], -v[125:126]
	v_mul_f64 v[191:192], v[191:192], v[127:128]
	v_add_f64 v[89:90], v[89:90], -v[125:126]
	v_fma_f64 v[191:192], v[193:194], v[189:190], v[191:192]
	v_add_f64 v[91:92], v[91:92], -v[191:192]
	ds_read2_b64 v[191:194], v253 offset0:50 offset1:51
	s_waitcnt lgkmcnt(0)
	v_mul_f64 v[125:126], v[193:194], v[127:128]
	v_fma_f64 v[125:126], v[191:192], v[189:190], -v[125:126]
	v_mul_f64 v[191:192], v[191:192], v[127:128]
	v_add_f64 v[85:86], v[85:86], -v[125:126]
	v_fma_f64 v[191:192], v[193:194], v[189:190], v[191:192]
	v_add_f64 v[87:88], v[87:88], -v[191:192]
	ds_read2_b64 v[191:194], v253 offset0:52 offset1:53
	s_waitcnt lgkmcnt(0)
	v_mul_f64 v[125:126], v[193:194], v[127:128]
	v_fma_f64 v[125:126], v[191:192], v[189:190], -v[125:126]
	v_mul_f64 v[191:192], v[191:192], v[127:128]
	v_add_f64 v[81:82], v[81:82], -v[125:126]
	v_fma_f64 v[191:192], v[193:194], v[189:190], v[191:192]
	v_add_f64 v[83:84], v[83:84], -v[191:192]
	ds_read2_b64 v[191:194], v253 offset0:54 offset1:55
	s_waitcnt lgkmcnt(0)
	v_mul_f64 v[125:126], v[193:194], v[127:128]
	v_fma_f64 v[125:126], v[191:192], v[189:190], -v[125:126]
	v_mul_f64 v[191:192], v[191:192], v[127:128]
	v_add_f64 v[77:78], v[77:78], -v[125:126]
	v_fma_f64 v[191:192], v[193:194], v[189:190], v[191:192]
	v_add_f64 v[79:80], v[79:80], -v[191:192]
	ds_read2_b64 v[191:194], v253 offset0:56 offset1:57
	s_waitcnt lgkmcnt(0)
	v_mul_f64 v[125:126], v[193:194], v[127:128]
	v_fma_f64 v[125:126], v[191:192], v[189:190], -v[125:126]
	v_mul_f64 v[191:192], v[191:192], v[127:128]
	v_add_f64 v[73:74], v[73:74], -v[125:126]
	v_fma_f64 v[191:192], v[193:194], v[189:190], v[191:192]
	v_add_f64 v[75:76], v[75:76], -v[191:192]
	ds_read2_b64 v[191:194], v253 offset0:58 offset1:59
	s_waitcnt lgkmcnt(0)
	v_mul_f64 v[125:126], v[193:194], v[127:128]
	v_fma_f64 v[125:126], v[191:192], v[189:190], -v[125:126]
	v_mul_f64 v[191:192], v[191:192], v[127:128]
	v_add_f64 v[69:70], v[69:70], -v[125:126]
	v_fma_f64 v[191:192], v[193:194], v[189:190], v[191:192]
	v_add_f64 v[71:72], v[71:72], -v[191:192]
	ds_read2_b64 v[191:194], v253 offset0:60 offset1:61
	s_waitcnt lgkmcnt(0)
	v_mul_f64 v[125:126], v[193:194], v[127:128]
	v_fma_f64 v[125:126], v[191:192], v[189:190], -v[125:126]
	v_mul_f64 v[191:192], v[191:192], v[127:128]
	v_add_f64 v[65:66], v[65:66], -v[125:126]
	v_fma_f64 v[191:192], v[193:194], v[189:190], v[191:192]
	v_add_f64 v[67:68], v[67:68], -v[191:192]
	ds_read2_b64 v[191:194], v253 offset0:62 offset1:63
	s_waitcnt lgkmcnt(0)
	v_mul_f64 v[125:126], v[193:194], v[127:128]
	v_fma_f64 v[125:126], v[191:192], v[189:190], -v[125:126]
	v_mul_f64 v[191:192], v[191:192], v[127:128]
	v_add_f64 v[61:62], v[61:62], -v[125:126]
	v_fma_f64 v[191:192], v[193:194], v[189:190], v[191:192]
	v_add_f64 v[63:64], v[63:64], -v[191:192]
	ds_read2_b64 v[191:194], v253 offset0:64 offset1:65
	s_waitcnt lgkmcnt(0)
	v_mul_f64 v[125:126], v[193:194], v[127:128]
	v_fma_f64 v[125:126], v[191:192], v[189:190], -v[125:126]
	v_mul_f64 v[191:192], v[191:192], v[127:128]
	v_add_f64 v[57:58], v[57:58], -v[125:126]
	v_fma_f64 v[191:192], v[193:194], v[189:190], v[191:192]
	v_add_f64 v[59:60], v[59:60], -v[191:192]
	ds_read2_b64 v[191:194], v253 offset0:66 offset1:67
	s_waitcnt lgkmcnt(0)
	v_mul_f64 v[125:126], v[193:194], v[127:128]
	v_fma_f64 v[125:126], v[191:192], v[189:190], -v[125:126]
	v_mul_f64 v[191:192], v[191:192], v[127:128]
	v_add_f64 v[53:54], v[53:54], -v[125:126]
	v_fma_f64 v[191:192], v[193:194], v[189:190], v[191:192]
	v_add_f64 v[55:56], v[55:56], -v[191:192]
	ds_read2_b64 v[191:194], v253 offset0:68 offset1:69
	s_waitcnt lgkmcnt(0)
	v_mul_f64 v[125:126], v[193:194], v[127:128]
	v_fma_f64 v[125:126], v[191:192], v[189:190], -v[125:126]
	v_mul_f64 v[191:192], v[191:192], v[127:128]
	v_add_f64 v[49:50], v[49:50], -v[125:126]
	v_fma_f64 v[191:192], v[193:194], v[189:190], v[191:192]
	v_add_f64 v[51:52], v[51:52], -v[191:192]
	ds_read2_b64 v[191:194], v253 offset0:70 offset1:71
	s_waitcnt lgkmcnt(0)
	v_mul_f64 v[125:126], v[193:194], v[127:128]
	v_fma_f64 v[125:126], v[191:192], v[189:190], -v[125:126]
	v_mul_f64 v[191:192], v[191:192], v[127:128]
	v_add_f64 v[45:46], v[45:46], -v[125:126]
	v_fma_f64 v[191:192], v[193:194], v[189:190], v[191:192]
	v_add_f64 v[47:48], v[47:48], -v[191:192]
	ds_read2_b64 v[191:194], v253 offset0:72 offset1:73
	s_waitcnt lgkmcnt(0)
	v_mul_f64 v[125:126], v[193:194], v[127:128]
	v_fma_f64 v[125:126], v[191:192], v[189:190], -v[125:126]
	v_mul_f64 v[191:192], v[191:192], v[127:128]
	v_add_f64 v[41:42], v[41:42], -v[125:126]
	v_fma_f64 v[191:192], v[193:194], v[189:190], v[191:192]
	v_add_f64 v[43:44], v[43:44], -v[191:192]
	ds_read2_b64 v[191:194], v253 offset0:74 offset1:75
	s_waitcnt lgkmcnt(0)
	v_mul_f64 v[125:126], v[193:194], v[127:128]
	v_fma_f64 v[125:126], v[191:192], v[189:190], -v[125:126]
	v_mul_f64 v[191:192], v[191:192], v[127:128]
	v_add_f64 v[37:38], v[37:38], -v[125:126]
	v_fma_f64 v[191:192], v[193:194], v[189:190], v[191:192]
	v_add_f64 v[39:40], v[39:40], -v[191:192]
	ds_read2_b64 v[191:194], v253 offset0:76 offset1:77
	s_waitcnt lgkmcnt(0)
	v_mul_f64 v[125:126], v[193:194], v[127:128]
	v_fma_f64 v[125:126], v[191:192], v[189:190], -v[125:126]
	v_mul_f64 v[191:192], v[191:192], v[127:128]
	v_add_f64 v[33:34], v[33:34], -v[125:126]
	v_fma_f64 v[191:192], v[193:194], v[189:190], v[191:192]
	v_add_f64 v[35:36], v[35:36], -v[191:192]
	ds_read2_b64 v[191:194], v253 offset0:78 offset1:79
	s_waitcnt lgkmcnt(0)
	v_mul_f64 v[125:126], v[193:194], v[127:128]
	v_fma_f64 v[125:126], v[191:192], v[189:190], -v[125:126]
	v_mul_f64 v[191:192], v[191:192], v[127:128]
	v_add_f64 v[29:30], v[29:30], -v[125:126]
	v_fma_f64 v[191:192], v[193:194], v[189:190], v[191:192]
	v_add_f64 v[31:32], v[31:32], -v[191:192]
	ds_read2_b64 v[191:194], v253 offset0:80 offset1:81
	s_waitcnt lgkmcnt(0)
	v_mul_f64 v[125:126], v[193:194], v[127:128]
	v_fma_f64 v[125:126], v[191:192], v[189:190], -v[125:126]
	v_mul_f64 v[191:192], v[191:192], v[127:128]
	v_add_f64 v[25:26], v[25:26], -v[125:126]
	v_fma_f64 v[191:192], v[193:194], v[189:190], v[191:192]
	v_add_f64 v[27:28], v[27:28], -v[191:192]
	ds_read2_b64 v[191:194], v253 offset0:82 offset1:83
	s_waitcnt lgkmcnt(0)
	v_mul_f64 v[125:126], v[193:194], v[127:128]
	v_fma_f64 v[125:126], v[191:192], v[189:190], -v[125:126]
	v_mul_f64 v[191:192], v[191:192], v[127:128]
	v_add_f64 v[21:22], v[21:22], -v[125:126]
	v_fma_f64 v[191:192], v[193:194], v[189:190], v[191:192]
	v_add_f64 v[23:24], v[23:24], -v[191:192]
	ds_read2_b64 v[191:194], v253 offset0:84 offset1:85
	s_waitcnt lgkmcnt(0)
	v_mul_f64 v[125:126], v[193:194], v[127:128]
	v_fma_f64 v[125:126], v[191:192], v[189:190], -v[125:126]
	v_mul_f64 v[191:192], v[191:192], v[127:128]
	v_add_f64 v[17:18], v[17:18], -v[125:126]
	v_fma_f64 v[191:192], v[193:194], v[189:190], v[191:192]
	v_add_f64 v[19:20], v[19:20], -v[191:192]
	ds_read2_b64 v[191:194], v253 offset0:86 offset1:87
	s_waitcnt lgkmcnt(0)
	v_mul_f64 v[125:126], v[193:194], v[127:128]
	v_fma_f64 v[125:126], v[191:192], v[189:190], -v[125:126]
	v_mul_f64 v[191:192], v[191:192], v[127:128]
	v_add_f64 v[13:14], v[13:14], -v[125:126]
	v_fma_f64 v[191:192], v[193:194], v[189:190], v[191:192]
	v_add_f64 v[15:16], v[15:16], -v[191:192]
	ds_read2_b64 v[191:194], v253 offset0:88 offset1:89
	s_waitcnt lgkmcnt(0)
	v_mul_f64 v[125:126], v[193:194], v[127:128]
	v_fma_f64 v[125:126], v[191:192], v[189:190], -v[125:126]
	v_mul_f64 v[191:192], v[191:192], v[127:128]
	v_add_f64 v[9:10], v[9:10], -v[125:126]
	v_fma_f64 v[191:192], v[193:194], v[189:190], v[191:192]
	v_add_f64 v[11:12], v[11:12], -v[191:192]
	ds_read2_b64 v[191:194], v253 offset0:90 offset1:91
	s_waitcnt lgkmcnt(0)
	v_mul_f64 v[125:126], v[193:194], v[127:128]
	v_fma_f64 v[125:126], v[191:192], v[189:190], -v[125:126]
	v_mul_f64 v[191:192], v[191:192], v[127:128]
	v_add_f64 v[5:6], v[5:6], -v[125:126]
	v_fma_f64 v[191:192], v[193:194], v[189:190], v[191:192]
	v_add_f64 v[7:8], v[7:8], -v[191:192]
	ds_read2_b64 v[191:194], v253 offset0:92 offset1:93
	s_waitcnt lgkmcnt(0)
	v_mul_f64 v[125:126], v[193:194], v[127:128]
	v_fma_f64 v[125:126], v[191:192], v[189:190], -v[125:126]
	v_mul_f64 v[191:192], v[191:192], v[127:128]
	v_add_f64 v[1:2], v[1:2], -v[125:126]
	v_fma_f64 v[191:192], v[193:194], v[189:190], v[191:192]
	v_mov_b32_e32 v125, v189
	v_mov_b32_e32 v126, v190
	v_add_f64 v[3:4], v[3:4], -v[191:192]
.LBB93_145:
	s_or_b32 exec_lo, exec_lo, s1
	s_mov_b32 s2, exec_lo
	s_waitcnt_vscnt null, 0x0
	s_barrier
	buffer_gl0_inv
	v_cmpx_eq_u32_e32 16, v0
	s_cbranch_execz .LBB93_152
; %bb.146:
	ds_write2_b64 v255, v[121:122], v[123:124] offset1:1
	ds_write2_b64 v253, v[117:118], v[119:120] offset0:34 offset1:35
	ds_write2_b64 v253, v[113:114], v[115:116] offset0:36 offset1:37
	;; [unrolled: 1-line block ×30, first 2 shown]
	ds_read2_b64 v[189:192], v255 offset1:1
	s_waitcnt lgkmcnt(0)
	v_cmp_neq_f64_e32 vcc_lo, 0, v[189:190]
	v_cmp_neq_f64_e64 s1, 0, v[191:192]
	s_or_b32 s1, vcc_lo, s1
	s_and_b32 exec_lo, exec_lo, s1
	s_cbranch_execz .LBB93_152
; %bb.147:
	v_cmp_ngt_f64_e64 s1, |v[189:190]|, |v[191:192]|
                                        ; implicit-def: $vgpr193_vgpr194
	s_and_saveexec_b32 s3, s1
	s_xor_b32 s1, exec_lo, s3
                                        ; implicit-def: $vgpr195_vgpr196
	s_cbranch_execz .LBB93_149
; %bb.148:
	v_div_scale_f64 v[193:194], null, v[191:192], v[191:192], v[189:190]
	v_div_scale_f64 v[199:200], vcc_lo, v[189:190], v[191:192], v[189:190]
	v_rcp_f64_e32 v[195:196], v[193:194]
	v_fma_f64 v[197:198], -v[193:194], v[195:196], 1.0
	v_fma_f64 v[195:196], v[195:196], v[197:198], v[195:196]
	v_fma_f64 v[197:198], -v[193:194], v[195:196], 1.0
	v_fma_f64 v[195:196], v[195:196], v[197:198], v[195:196]
	v_mul_f64 v[197:198], v[199:200], v[195:196]
	v_fma_f64 v[193:194], -v[193:194], v[197:198], v[199:200]
	v_div_fmas_f64 v[193:194], v[193:194], v[195:196], v[197:198]
	v_div_fixup_f64 v[193:194], v[193:194], v[191:192], v[189:190]
	v_fma_f64 v[189:190], v[189:190], v[193:194], v[191:192]
	v_div_scale_f64 v[191:192], null, v[189:190], v[189:190], 1.0
	v_rcp_f64_e32 v[195:196], v[191:192]
	v_fma_f64 v[197:198], -v[191:192], v[195:196], 1.0
	v_fma_f64 v[195:196], v[195:196], v[197:198], v[195:196]
	v_fma_f64 v[197:198], -v[191:192], v[195:196], 1.0
	v_fma_f64 v[195:196], v[195:196], v[197:198], v[195:196]
	v_div_scale_f64 v[197:198], vcc_lo, 1.0, v[189:190], 1.0
	v_mul_f64 v[199:200], v[197:198], v[195:196]
	v_fma_f64 v[191:192], -v[191:192], v[199:200], v[197:198]
	v_div_fmas_f64 v[191:192], v[191:192], v[195:196], v[199:200]
	v_div_fixup_f64 v[195:196], v[191:192], v[189:190], 1.0
                                        ; implicit-def: $vgpr189_vgpr190
	v_mul_f64 v[193:194], v[193:194], v[195:196]
	v_xor_b32_e32 v196, 0x80000000, v196
.LBB93_149:
	s_andn2_saveexec_b32 s1, s1
	s_cbranch_execz .LBB93_151
; %bb.150:
	v_div_scale_f64 v[193:194], null, v[189:190], v[189:190], v[191:192]
	v_div_scale_f64 v[199:200], vcc_lo, v[191:192], v[189:190], v[191:192]
	v_rcp_f64_e32 v[195:196], v[193:194]
	v_fma_f64 v[197:198], -v[193:194], v[195:196], 1.0
	v_fma_f64 v[195:196], v[195:196], v[197:198], v[195:196]
	v_fma_f64 v[197:198], -v[193:194], v[195:196], 1.0
	v_fma_f64 v[195:196], v[195:196], v[197:198], v[195:196]
	v_mul_f64 v[197:198], v[199:200], v[195:196]
	v_fma_f64 v[193:194], -v[193:194], v[197:198], v[199:200]
	v_div_fmas_f64 v[193:194], v[193:194], v[195:196], v[197:198]
	v_div_fixup_f64 v[195:196], v[193:194], v[189:190], v[191:192]
	v_fma_f64 v[189:190], v[191:192], v[195:196], v[189:190]
	v_div_scale_f64 v[191:192], null, v[189:190], v[189:190], 1.0
	v_rcp_f64_e32 v[193:194], v[191:192]
	v_fma_f64 v[197:198], -v[191:192], v[193:194], 1.0
	v_fma_f64 v[193:194], v[193:194], v[197:198], v[193:194]
	v_fma_f64 v[197:198], -v[191:192], v[193:194], 1.0
	v_fma_f64 v[193:194], v[193:194], v[197:198], v[193:194]
	v_div_scale_f64 v[197:198], vcc_lo, 1.0, v[189:190], 1.0
	v_mul_f64 v[199:200], v[197:198], v[193:194]
	v_fma_f64 v[191:192], -v[191:192], v[199:200], v[197:198]
	v_div_fmas_f64 v[191:192], v[191:192], v[193:194], v[199:200]
	v_div_fixup_f64 v[193:194], v[191:192], v[189:190], 1.0
	v_mul_f64 v[195:196], v[195:196], -v[193:194]
.LBB93_151:
	s_or_b32 exec_lo, exec_lo, s1
	ds_write2_b64 v255, v[193:194], v[195:196] offset1:1
.LBB93_152:
	s_or_b32 exec_lo, exec_lo, s2
	s_waitcnt lgkmcnt(0)
	s_barrier
	buffer_gl0_inv
	ds_read2_b64 v[189:192], v255 offset1:1
	s_mov_b32 s1, exec_lo
	s_waitcnt lgkmcnt(0)
	buffer_store_dword v189, off, s[16:19], 0 offset:624 ; 4-byte Folded Spill
	buffer_store_dword v190, off, s[16:19], 0 offset:628 ; 4-byte Folded Spill
	;; [unrolled: 1-line block ×4, first 2 shown]
	v_cmpx_lt_u32_e32 16, v0
	s_cbranch_execz .LBB93_154
; %bb.153:
	s_clause 0x3
	buffer_load_dword v191, off, s[16:19], 0 offset:624
	buffer_load_dword v192, off, s[16:19], 0 offset:628
	;; [unrolled: 1-line block ×4, first 2 shown]
	s_waitcnt vmcnt(0)
	v_mul_f64 v[189:190], v[193:194], v[123:124]
	v_mul_f64 v[123:124], v[191:192], v[123:124]
	v_fma_f64 v[189:190], v[191:192], v[121:122], -v[189:190]
	v_fma_f64 v[123:124], v[193:194], v[121:122], v[123:124]
	ds_read2_b64 v[191:194], v253 offset0:34 offset1:35
	s_waitcnt lgkmcnt(0)
	v_mul_f64 v[121:122], v[193:194], v[123:124]
	v_fma_f64 v[121:122], v[191:192], v[189:190], -v[121:122]
	v_mul_f64 v[191:192], v[191:192], v[123:124]
	v_add_f64 v[117:118], v[117:118], -v[121:122]
	v_fma_f64 v[191:192], v[193:194], v[189:190], v[191:192]
	v_add_f64 v[119:120], v[119:120], -v[191:192]
	ds_read2_b64 v[191:194], v253 offset0:36 offset1:37
	s_waitcnt lgkmcnt(0)
	v_mul_f64 v[121:122], v[193:194], v[123:124]
	v_fma_f64 v[121:122], v[191:192], v[189:190], -v[121:122]
	v_mul_f64 v[191:192], v[191:192], v[123:124]
	v_add_f64 v[113:114], v[113:114], -v[121:122]
	v_fma_f64 v[191:192], v[193:194], v[189:190], v[191:192]
	v_add_f64 v[115:116], v[115:116], -v[191:192]
	;; [unrolled: 8-line block ×29, first 2 shown]
	ds_read2_b64 v[191:194], v253 offset0:92 offset1:93
	s_waitcnt lgkmcnt(0)
	v_mul_f64 v[121:122], v[193:194], v[123:124]
	v_fma_f64 v[121:122], v[191:192], v[189:190], -v[121:122]
	v_mul_f64 v[191:192], v[191:192], v[123:124]
	v_add_f64 v[1:2], v[1:2], -v[121:122]
	v_fma_f64 v[191:192], v[193:194], v[189:190], v[191:192]
	v_mov_b32_e32 v121, v189
	v_mov_b32_e32 v122, v190
	v_add_f64 v[3:4], v[3:4], -v[191:192]
.LBB93_154:
	s_or_b32 exec_lo, exec_lo, s1
	s_mov_b32 s2, exec_lo
	s_waitcnt_vscnt null, 0x0
	s_barrier
	buffer_gl0_inv
	v_cmpx_eq_u32_e32 17, v0
	s_cbranch_execz .LBB93_161
; %bb.155:
	ds_write2_b64 v255, v[117:118], v[119:120] offset1:1
	ds_write2_b64 v253, v[113:114], v[115:116] offset0:36 offset1:37
	ds_write2_b64 v253, v[109:110], v[111:112] offset0:38 offset1:39
	;; [unrolled: 1-line block ×29, first 2 shown]
	ds_read2_b64 v[189:192], v255 offset1:1
	s_waitcnt lgkmcnt(0)
	v_cmp_neq_f64_e32 vcc_lo, 0, v[189:190]
	v_cmp_neq_f64_e64 s1, 0, v[191:192]
	s_or_b32 s1, vcc_lo, s1
	s_and_b32 exec_lo, exec_lo, s1
	s_cbranch_execz .LBB93_161
; %bb.156:
	v_cmp_ngt_f64_e64 s1, |v[189:190]|, |v[191:192]|
                                        ; implicit-def: $vgpr193_vgpr194
	s_and_saveexec_b32 s3, s1
	s_xor_b32 s1, exec_lo, s3
                                        ; implicit-def: $vgpr195_vgpr196
	s_cbranch_execz .LBB93_158
; %bb.157:
	v_div_scale_f64 v[193:194], null, v[191:192], v[191:192], v[189:190]
	v_div_scale_f64 v[199:200], vcc_lo, v[189:190], v[191:192], v[189:190]
	v_rcp_f64_e32 v[195:196], v[193:194]
	v_fma_f64 v[197:198], -v[193:194], v[195:196], 1.0
	v_fma_f64 v[195:196], v[195:196], v[197:198], v[195:196]
	v_fma_f64 v[197:198], -v[193:194], v[195:196], 1.0
	v_fma_f64 v[195:196], v[195:196], v[197:198], v[195:196]
	v_mul_f64 v[197:198], v[199:200], v[195:196]
	v_fma_f64 v[193:194], -v[193:194], v[197:198], v[199:200]
	v_div_fmas_f64 v[193:194], v[193:194], v[195:196], v[197:198]
	v_div_fixup_f64 v[193:194], v[193:194], v[191:192], v[189:190]
	v_fma_f64 v[189:190], v[189:190], v[193:194], v[191:192]
	v_div_scale_f64 v[191:192], null, v[189:190], v[189:190], 1.0
	v_rcp_f64_e32 v[195:196], v[191:192]
	v_fma_f64 v[197:198], -v[191:192], v[195:196], 1.0
	v_fma_f64 v[195:196], v[195:196], v[197:198], v[195:196]
	v_fma_f64 v[197:198], -v[191:192], v[195:196], 1.0
	v_fma_f64 v[195:196], v[195:196], v[197:198], v[195:196]
	v_div_scale_f64 v[197:198], vcc_lo, 1.0, v[189:190], 1.0
	v_mul_f64 v[199:200], v[197:198], v[195:196]
	v_fma_f64 v[191:192], -v[191:192], v[199:200], v[197:198]
	v_div_fmas_f64 v[191:192], v[191:192], v[195:196], v[199:200]
	v_div_fixup_f64 v[195:196], v[191:192], v[189:190], 1.0
                                        ; implicit-def: $vgpr189_vgpr190
	v_mul_f64 v[193:194], v[193:194], v[195:196]
	v_xor_b32_e32 v196, 0x80000000, v196
.LBB93_158:
	s_andn2_saveexec_b32 s1, s1
	s_cbranch_execz .LBB93_160
; %bb.159:
	v_div_scale_f64 v[193:194], null, v[189:190], v[189:190], v[191:192]
	v_div_scale_f64 v[199:200], vcc_lo, v[191:192], v[189:190], v[191:192]
	v_rcp_f64_e32 v[195:196], v[193:194]
	v_fma_f64 v[197:198], -v[193:194], v[195:196], 1.0
	v_fma_f64 v[195:196], v[195:196], v[197:198], v[195:196]
	v_fma_f64 v[197:198], -v[193:194], v[195:196], 1.0
	v_fma_f64 v[195:196], v[195:196], v[197:198], v[195:196]
	v_mul_f64 v[197:198], v[199:200], v[195:196]
	v_fma_f64 v[193:194], -v[193:194], v[197:198], v[199:200]
	v_div_fmas_f64 v[193:194], v[193:194], v[195:196], v[197:198]
	v_div_fixup_f64 v[195:196], v[193:194], v[189:190], v[191:192]
	v_fma_f64 v[189:190], v[191:192], v[195:196], v[189:190]
	v_div_scale_f64 v[191:192], null, v[189:190], v[189:190], 1.0
	v_rcp_f64_e32 v[193:194], v[191:192]
	v_fma_f64 v[197:198], -v[191:192], v[193:194], 1.0
	v_fma_f64 v[193:194], v[193:194], v[197:198], v[193:194]
	v_fma_f64 v[197:198], -v[191:192], v[193:194], 1.0
	v_fma_f64 v[193:194], v[193:194], v[197:198], v[193:194]
	v_div_scale_f64 v[197:198], vcc_lo, 1.0, v[189:190], 1.0
	v_mul_f64 v[199:200], v[197:198], v[193:194]
	v_fma_f64 v[191:192], -v[191:192], v[199:200], v[197:198]
	v_div_fmas_f64 v[191:192], v[191:192], v[193:194], v[199:200]
	v_div_fixup_f64 v[193:194], v[191:192], v[189:190], 1.0
	v_mul_f64 v[195:196], v[195:196], -v[193:194]
.LBB93_160:
	s_or_b32 exec_lo, exec_lo, s1
	ds_write2_b64 v255, v[193:194], v[195:196] offset1:1
.LBB93_161:
	s_or_b32 exec_lo, exec_lo, s2
	s_waitcnt lgkmcnt(0)
	s_barrier
	buffer_gl0_inv
	ds_read2_b64 v[189:192], v255 offset1:1
	s_mov_b32 s1, exec_lo
	s_waitcnt lgkmcnt(0)
	buffer_store_dword v189, off, s[16:19], 0 offset:640 ; 4-byte Folded Spill
	buffer_store_dword v190, off, s[16:19], 0 offset:644 ; 4-byte Folded Spill
	buffer_store_dword v191, off, s[16:19], 0 offset:648 ; 4-byte Folded Spill
	buffer_store_dword v192, off, s[16:19], 0 offset:652 ; 4-byte Folded Spill
	v_cmpx_lt_u32_e32 17, v0
	s_cbranch_execz .LBB93_163
; %bb.162:
	s_clause 0x3
	buffer_load_dword v191, off, s[16:19], 0 offset:640
	buffer_load_dword v192, off, s[16:19], 0 offset:644
	;; [unrolled: 1-line block ×4, first 2 shown]
	s_waitcnt vmcnt(0)
	v_mul_f64 v[189:190], v[193:194], v[119:120]
	v_mul_f64 v[119:120], v[191:192], v[119:120]
	v_fma_f64 v[189:190], v[191:192], v[117:118], -v[189:190]
	v_fma_f64 v[119:120], v[193:194], v[117:118], v[119:120]
	ds_read2_b64 v[191:194], v253 offset0:36 offset1:37
	s_waitcnt lgkmcnt(0)
	v_mul_f64 v[117:118], v[193:194], v[119:120]
	v_fma_f64 v[117:118], v[191:192], v[189:190], -v[117:118]
	v_mul_f64 v[191:192], v[191:192], v[119:120]
	v_add_f64 v[113:114], v[113:114], -v[117:118]
	v_fma_f64 v[191:192], v[193:194], v[189:190], v[191:192]
	v_add_f64 v[115:116], v[115:116], -v[191:192]
	ds_read2_b64 v[191:194], v253 offset0:38 offset1:39
	s_waitcnt lgkmcnt(0)
	v_mul_f64 v[117:118], v[193:194], v[119:120]
	v_fma_f64 v[117:118], v[191:192], v[189:190], -v[117:118]
	v_mul_f64 v[191:192], v[191:192], v[119:120]
	v_add_f64 v[109:110], v[109:110], -v[117:118]
	v_fma_f64 v[191:192], v[193:194], v[189:190], v[191:192]
	v_add_f64 v[111:112], v[111:112], -v[191:192]
	;; [unrolled: 8-line block ×28, first 2 shown]
	ds_read2_b64 v[191:194], v253 offset0:92 offset1:93
	s_waitcnt lgkmcnt(0)
	v_mul_f64 v[117:118], v[193:194], v[119:120]
	v_fma_f64 v[117:118], v[191:192], v[189:190], -v[117:118]
	v_mul_f64 v[191:192], v[191:192], v[119:120]
	v_add_f64 v[1:2], v[1:2], -v[117:118]
	v_fma_f64 v[191:192], v[193:194], v[189:190], v[191:192]
	v_mov_b32_e32 v117, v189
	v_mov_b32_e32 v118, v190
	v_add_f64 v[3:4], v[3:4], -v[191:192]
.LBB93_163:
	s_or_b32 exec_lo, exec_lo, s1
	s_mov_b32 s2, exec_lo
	s_waitcnt_vscnt null, 0x0
	s_barrier
	buffer_gl0_inv
	v_cmpx_eq_u32_e32 18, v0
	s_cbranch_execz .LBB93_170
; %bb.164:
	ds_write2_b64 v255, v[113:114], v[115:116] offset1:1
	ds_write2_b64 v253, v[109:110], v[111:112] offset0:38 offset1:39
	ds_write2_b64 v253, v[105:106], v[107:108] offset0:40 offset1:41
	;; [unrolled: 1-line block ×28, first 2 shown]
	ds_read2_b64 v[189:192], v255 offset1:1
	s_waitcnt lgkmcnt(0)
	v_cmp_neq_f64_e32 vcc_lo, 0, v[189:190]
	v_cmp_neq_f64_e64 s1, 0, v[191:192]
	s_or_b32 s1, vcc_lo, s1
	s_and_b32 exec_lo, exec_lo, s1
	s_cbranch_execz .LBB93_170
; %bb.165:
	v_cmp_ngt_f64_e64 s1, |v[189:190]|, |v[191:192]|
                                        ; implicit-def: $vgpr193_vgpr194
	s_and_saveexec_b32 s3, s1
	s_xor_b32 s1, exec_lo, s3
                                        ; implicit-def: $vgpr195_vgpr196
	s_cbranch_execz .LBB93_167
; %bb.166:
	v_div_scale_f64 v[193:194], null, v[191:192], v[191:192], v[189:190]
	v_div_scale_f64 v[199:200], vcc_lo, v[189:190], v[191:192], v[189:190]
	v_rcp_f64_e32 v[195:196], v[193:194]
	v_fma_f64 v[197:198], -v[193:194], v[195:196], 1.0
	v_fma_f64 v[195:196], v[195:196], v[197:198], v[195:196]
	v_fma_f64 v[197:198], -v[193:194], v[195:196], 1.0
	v_fma_f64 v[195:196], v[195:196], v[197:198], v[195:196]
	v_mul_f64 v[197:198], v[199:200], v[195:196]
	v_fma_f64 v[193:194], -v[193:194], v[197:198], v[199:200]
	v_div_fmas_f64 v[193:194], v[193:194], v[195:196], v[197:198]
	v_div_fixup_f64 v[193:194], v[193:194], v[191:192], v[189:190]
	v_fma_f64 v[189:190], v[189:190], v[193:194], v[191:192]
	v_div_scale_f64 v[191:192], null, v[189:190], v[189:190], 1.0
	v_rcp_f64_e32 v[195:196], v[191:192]
	v_fma_f64 v[197:198], -v[191:192], v[195:196], 1.0
	v_fma_f64 v[195:196], v[195:196], v[197:198], v[195:196]
	v_fma_f64 v[197:198], -v[191:192], v[195:196], 1.0
	v_fma_f64 v[195:196], v[195:196], v[197:198], v[195:196]
	v_div_scale_f64 v[197:198], vcc_lo, 1.0, v[189:190], 1.0
	v_mul_f64 v[199:200], v[197:198], v[195:196]
	v_fma_f64 v[191:192], -v[191:192], v[199:200], v[197:198]
	v_div_fmas_f64 v[191:192], v[191:192], v[195:196], v[199:200]
	v_div_fixup_f64 v[195:196], v[191:192], v[189:190], 1.0
                                        ; implicit-def: $vgpr189_vgpr190
	v_mul_f64 v[193:194], v[193:194], v[195:196]
	v_xor_b32_e32 v196, 0x80000000, v196
.LBB93_167:
	s_andn2_saveexec_b32 s1, s1
	s_cbranch_execz .LBB93_169
; %bb.168:
	v_div_scale_f64 v[193:194], null, v[189:190], v[189:190], v[191:192]
	v_div_scale_f64 v[199:200], vcc_lo, v[191:192], v[189:190], v[191:192]
	v_rcp_f64_e32 v[195:196], v[193:194]
	v_fma_f64 v[197:198], -v[193:194], v[195:196], 1.0
	v_fma_f64 v[195:196], v[195:196], v[197:198], v[195:196]
	v_fma_f64 v[197:198], -v[193:194], v[195:196], 1.0
	v_fma_f64 v[195:196], v[195:196], v[197:198], v[195:196]
	v_mul_f64 v[197:198], v[199:200], v[195:196]
	v_fma_f64 v[193:194], -v[193:194], v[197:198], v[199:200]
	v_div_fmas_f64 v[193:194], v[193:194], v[195:196], v[197:198]
	v_div_fixup_f64 v[195:196], v[193:194], v[189:190], v[191:192]
	v_fma_f64 v[189:190], v[191:192], v[195:196], v[189:190]
	v_div_scale_f64 v[191:192], null, v[189:190], v[189:190], 1.0
	v_rcp_f64_e32 v[193:194], v[191:192]
	v_fma_f64 v[197:198], -v[191:192], v[193:194], 1.0
	v_fma_f64 v[193:194], v[193:194], v[197:198], v[193:194]
	v_fma_f64 v[197:198], -v[191:192], v[193:194], 1.0
	v_fma_f64 v[193:194], v[193:194], v[197:198], v[193:194]
	v_div_scale_f64 v[197:198], vcc_lo, 1.0, v[189:190], 1.0
	v_mul_f64 v[199:200], v[197:198], v[193:194]
	v_fma_f64 v[191:192], -v[191:192], v[199:200], v[197:198]
	v_div_fmas_f64 v[191:192], v[191:192], v[193:194], v[199:200]
	v_div_fixup_f64 v[193:194], v[191:192], v[189:190], 1.0
	v_mul_f64 v[195:196], v[195:196], -v[193:194]
.LBB93_169:
	s_or_b32 exec_lo, exec_lo, s1
	ds_write2_b64 v255, v[193:194], v[195:196] offset1:1
.LBB93_170:
	s_or_b32 exec_lo, exec_lo, s2
	s_waitcnt lgkmcnt(0)
	s_barrier
	buffer_gl0_inv
	ds_read2_b64 v[189:192], v255 offset1:1
	s_mov_b32 s1, exec_lo
	s_waitcnt lgkmcnt(0)
	buffer_store_dword v189, off, s[16:19], 0 offset:656 ; 4-byte Folded Spill
	buffer_store_dword v190, off, s[16:19], 0 offset:660 ; 4-byte Folded Spill
	;; [unrolled: 1-line block ×4, first 2 shown]
	v_cmpx_lt_u32_e32 18, v0
	s_cbranch_execz .LBB93_172
; %bb.171:
	s_clause 0x3
	buffer_load_dword v191, off, s[16:19], 0 offset:656
	buffer_load_dword v192, off, s[16:19], 0 offset:660
	;; [unrolled: 1-line block ×4, first 2 shown]
	s_waitcnt vmcnt(0)
	v_mul_f64 v[189:190], v[193:194], v[115:116]
	v_mul_f64 v[115:116], v[191:192], v[115:116]
	v_fma_f64 v[189:190], v[191:192], v[113:114], -v[189:190]
	v_fma_f64 v[115:116], v[193:194], v[113:114], v[115:116]
	ds_read2_b64 v[191:194], v253 offset0:38 offset1:39
	s_waitcnt lgkmcnt(0)
	v_mul_f64 v[113:114], v[193:194], v[115:116]
	v_fma_f64 v[113:114], v[191:192], v[189:190], -v[113:114]
	v_mul_f64 v[191:192], v[191:192], v[115:116]
	v_add_f64 v[109:110], v[109:110], -v[113:114]
	v_fma_f64 v[191:192], v[193:194], v[189:190], v[191:192]
	v_add_f64 v[111:112], v[111:112], -v[191:192]
	ds_read2_b64 v[191:194], v253 offset0:40 offset1:41
	s_waitcnt lgkmcnt(0)
	v_mul_f64 v[113:114], v[193:194], v[115:116]
	v_fma_f64 v[113:114], v[191:192], v[189:190], -v[113:114]
	v_mul_f64 v[191:192], v[191:192], v[115:116]
	v_add_f64 v[105:106], v[105:106], -v[113:114]
	v_fma_f64 v[191:192], v[193:194], v[189:190], v[191:192]
	v_add_f64 v[107:108], v[107:108], -v[191:192]
	;; [unrolled: 8-line block ×27, first 2 shown]
	ds_read2_b64 v[191:194], v253 offset0:92 offset1:93
	s_waitcnt lgkmcnt(0)
	v_mul_f64 v[113:114], v[193:194], v[115:116]
	v_fma_f64 v[113:114], v[191:192], v[189:190], -v[113:114]
	v_mul_f64 v[191:192], v[191:192], v[115:116]
	v_add_f64 v[1:2], v[1:2], -v[113:114]
	v_fma_f64 v[191:192], v[193:194], v[189:190], v[191:192]
	v_mov_b32_e32 v113, v189
	v_mov_b32_e32 v114, v190
	v_add_f64 v[3:4], v[3:4], -v[191:192]
.LBB93_172:
	s_or_b32 exec_lo, exec_lo, s1
	s_mov_b32 s2, exec_lo
	s_waitcnt_vscnt null, 0x0
	s_barrier
	buffer_gl0_inv
	v_cmpx_eq_u32_e32 19, v0
	s_cbranch_execz .LBB93_179
; %bb.173:
	ds_write2_b64 v255, v[109:110], v[111:112] offset1:1
	ds_write2_b64 v253, v[105:106], v[107:108] offset0:40 offset1:41
	ds_write2_b64 v253, v[101:102], v[103:104] offset0:42 offset1:43
	;; [unrolled: 1-line block ×27, first 2 shown]
	ds_read2_b64 v[189:192], v255 offset1:1
	s_waitcnt lgkmcnt(0)
	v_cmp_neq_f64_e32 vcc_lo, 0, v[189:190]
	v_cmp_neq_f64_e64 s1, 0, v[191:192]
	s_or_b32 s1, vcc_lo, s1
	s_and_b32 exec_lo, exec_lo, s1
	s_cbranch_execz .LBB93_179
; %bb.174:
	v_cmp_ngt_f64_e64 s1, |v[189:190]|, |v[191:192]|
                                        ; implicit-def: $vgpr193_vgpr194
	s_and_saveexec_b32 s3, s1
	s_xor_b32 s1, exec_lo, s3
                                        ; implicit-def: $vgpr195_vgpr196
	s_cbranch_execz .LBB93_176
; %bb.175:
	v_div_scale_f64 v[193:194], null, v[191:192], v[191:192], v[189:190]
	v_div_scale_f64 v[199:200], vcc_lo, v[189:190], v[191:192], v[189:190]
	v_rcp_f64_e32 v[195:196], v[193:194]
	v_fma_f64 v[197:198], -v[193:194], v[195:196], 1.0
	v_fma_f64 v[195:196], v[195:196], v[197:198], v[195:196]
	v_fma_f64 v[197:198], -v[193:194], v[195:196], 1.0
	v_fma_f64 v[195:196], v[195:196], v[197:198], v[195:196]
	v_mul_f64 v[197:198], v[199:200], v[195:196]
	v_fma_f64 v[193:194], -v[193:194], v[197:198], v[199:200]
	v_div_fmas_f64 v[193:194], v[193:194], v[195:196], v[197:198]
	v_div_fixup_f64 v[193:194], v[193:194], v[191:192], v[189:190]
	v_fma_f64 v[189:190], v[189:190], v[193:194], v[191:192]
	v_div_scale_f64 v[191:192], null, v[189:190], v[189:190], 1.0
	v_rcp_f64_e32 v[195:196], v[191:192]
	v_fma_f64 v[197:198], -v[191:192], v[195:196], 1.0
	v_fma_f64 v[195:196], v[195:196], v[197:198], v[195:196]
	v_fma_f64 v[197:198], -v[191:192], v[195:196], 1.0
	v_fma_f64 v[195:196], v[195:196], v[197:198], v[195:196]
	v_div_scale_f64 v[197:198], vcc_lo, 1.0, v[189:190], 1.0
	v_mul_f64 v[199:200], v[197:198], v[195:196]
	v_fma_f64 v[191:192], -v[191:192], v[199:200], v[197:198]
	v_div_fmas_f64 v[191:192], v[191:192], v[195:196], v[199:200]
	v_div_fixup_f64 v[195:196], v[191:192], v[189:190], 1.0
                                        ; implicit-def: $vgpr189_vgpr190
	v_mul_f64 v[193:194], v[193:194], v[195:196]
	v_xor_b32_e32 v196, 0x80000000, v196
.LBB93_176:
	s_andn2_saveexec_b32 s1, s1
	s_cbranch_execz .LBB93_178
; %bb.177:
	v_div_scale_f64 v[193:194], null, v[189:190], v[189:190], v[191:192]
	v_div_scale_f64 v[199:200], vcc_lo, v[191:192], v[189:190], v[191:192]
	v_rcp_f64_e32 v[195:196], v[193:194]
	v_fma_f64 v[197:198], -v[193:194], v[195:196], 1.0
	v_fma_f64 v[195:196], v[195:196], v[197:198], v[195:196]
	v_fma_f64 v[197:198], -v[193:194], v[195:196], 1.0
	v_fma_f64 v[195:196], v[195:196], v[197:198], v[195:196]
	v_mul_f64 v[197:198], v[199:200], v[195:196]
	v_fma_f64 v[193:194], -v[193:194], v[197:198], v[199:200]
	v_div_fmas_f64 v[193:194], v[193:194], v[195:196], v[197:198]
	v_div_fixup_f64 v[195:196], v[193:194], v[189:190], v[191:192]
	v_fma_f64 v[189:190], v[191:192], v[195:196], v[189:190]
	v_div_scale_f64 v[191:192], null, v[189:190], v[189:190], 1.0
	v_rcp_f64_e32 v[193:194], v[191:192]
	v_fma_f64 v[197:198], -v[191:192], v[193:194], 1.0
	v_fma_f64 v[193:194], v[193:194], v[197:198], v[193:194]
	v_fma_f64 v[197:198], -v[191:192], v[193:194], 1.0
	v_fma_f64 v[193:194], v[193:194], v[197:198], v[193:194]
	v_div_scale_f64 v[197:198], vcc_lo, 1.0, v[189:190], 1.0
	v_mul_f64 v[199:200], v[197:198], v[193:194]
	v_fma_f64 v[191:192], -v[191:192], v[199:200], v[197:198]
	v_div_fmas_f64 v[191:192], v[191:192], v[193:194], v[199:200]
	v_div_fixup_f64 v[193:194], v[191:192], v[189:190], 1.0
	v_mul_f64 v[195:196], v[195:196], -v[193:194]
.LBB93_178:
	s_or_b32 exec_lo, exec_lo, s1
	ds_write2_b64 v255, v[193:194], v[195:196] offset1:1
.LBB93_179:
	s_or_b32 exec_lo, exec_lo, s2
	s_waitcnt lgkmcnt(0)
	s_barrier
	buffer_gl0_inv
	ds_read2_b64 v[189:192], v255 offset1:1
	s_mov_b32 s1, exec_lo
	s_waitcnt lgkmcnt(0)
	buffer_store_dword v189, off, s[16:19], 0 offset:672 ; 4-byte Folded Spill
	buffer_store_dword v190, off, s[16:19], 0 offset:676 ; 4-byte Folded Spill
	;; [unrolled: 1-line block ×4, first 2 shown]
	v_cmpx_lt_u32_e32 19, v0
	s_cbranch_execz .LBB93_181
; %bb.180:
	s_clause 0x3
	buffer_load_dword v191, off, s[16:19], 0 offset:672
	buffer_load_dword v192, off, s[16:19], 0 offset:676
	;; [unrolled: 1-line block ×4, first 2 shown]
	s_waitcnt vmcnt(0)
	v_mul_f64 v[189:190], v[193:194], v[111:112]
	v_mul_f64 v[111:112], v[191:192], v[111:112]
	v_fma_f64 v[189:190], v[191:192], v[109:110], -v[189:190]
	v_fma_f64 v[111:112], v[193:194], v[109:110], v[111:112]
	ds_read2_b64 v[191:194], v253 offset0:40 offset1:41
	s_waitcnt lgkmcnt(0)
	v_mul_f64 v[109:110], v[193:194], v[111:112]
	v_fma_f64 v[109:110], v[191:192], v[189:190], -v[109:110]
	v_mul_f64 v[191:192], v[191:192], v[111:112]
	v_add_f64 v[105:106], v[105:106], -v[109:110]
	v_fma_f64 v[191:192], v[193:194], v[189:190], v[191:192]
	v_add_f64 v[107:108], v[107:108], -v[191:192]
	ds_read2_b64 v[191:194], v253 offset0:42 offset1:43
	s_waitcnt lgkmcnt(0)
	v_mul_f64 v[109:110], v[193:194], v[111:112]
	v_fma_f64 v[109:110], v[191:192], v[189:190], -v[109:110]
	v_mul_f64 v[191:192], v[191:192], v[111:112]
	v_add_f64 v[101:102], v[101:102], -v[109:110]
	v_fma_f64 v[191:192], v[193:194], v[189:190], v[191:192]
	v_add_f64 v[103:104], v[103:104], -v[191:192]
	;; [unrolled: 8-line block ×26, first 2 shown]
	ds_read2_b64 v[191:194], v253 offset0:92 offset1:93
	s_waitcnt lgkmcnt(0)
	v_mul_f64 v[109:110], v[193:194], v[111:112]
	v_fma_f64 v[109:110], v[191:192], v[189:190], -v[109:110]
	v_mul_f64 v[191:192], v[191:192], v[111:112]
	v_add_f64 v[1:2], v[1:2], -v[109:110]
	v_fma_f64 v[191:192], v[193:194], v[189:190], v[191:192]
	v_mov_b32_e32 v109, v189
	v_mov_b32_e32 v110, v190
	v_add_f64 v[3:4], v[3:4], -v[191:192]
.LBB93_181:
	s_or_b32 exec_lo, exec_lo, s1
	s_mov_b32 s2, exec_lo
	s_waitcnt_vscnt null, 0x0
	s_barrier
	buffer_gl0_inv
	v_cmpx_eq_u32_e32 20, v0
	s_cbranch_execz .LBB93_188
; %bb.182:
	ds_write2_b64 v255, v[105:106], v[107:108] offset1:1
	ds_write2_b64 v253, v[101:102], v[103:104] offset0:42 offset1:43
	ds_write2_b64 v253, v[97:98], v[99:100] offset0:44 offset1:45
	;; [unrolled: 1-line block ×26, first 2 shown]
	ds_read2_b64 v[189:192], v255 offset1:1
	s_waitcnt lgkmcnt(0)
	v_cmp_neq_f64_e32 vcc_lo, 0, v[189:190]
	v_cmp_neq_f64_e64 s1, 0, v[191:192]
	s_or_b32 s1, vcc_lo, s1
	s_and_b32 exec_lo, exec_lo, s1
	s_cbranch_execz .LBB93_188
; %bb.183:
	v_cmp_ngt_f64_e64 s1, |v[189:190]|, |v[191:192]|
                                        ; implicit-def: $vgpr193_vgpr194
	s_and_saveexec_b32 s3, s1
	s_xor_b32 s1, exec_lo, s3
                                        ; implicit-def: $vgpr195_vgpr196
	s_cbranch_execz .LBB93_185
; %bb.184:
	v_div_scale_f64 v[193:194], null, v[191:192], v[191:192], v[189:190]
	v_div_scale_f64 v[199:200], vcc_lo, v[189:190], v[191:192], v[189:190]
	v_rcp_f64_e32 v[195:196], v[193:194]
	v_fma_f64 v[197:198], -v[193:194], v[195:196], 1.0
	v_fma_f64 v[195:196], v[195:196], v[197:198], v[195:196]
	v_fma_f64 v[197:198], -v[193:194], v[195:196], 1.0
	v_fma_f64 v[195:196], v[195:196], v[197:198], v[195:196]
	v_mul_f64 v[197:198], v[199:200], v[195:196]
	v_fma_f64 v[193:194], -v[193:194], v[197:198], v[199:200]
	v_div_fmas_f64 v[193:194], v[193:194], v[195:196], v[197:198]
	v_div_fixup_f64 v[193:194], v[193:194], v[191:192], v[189:190]
	v_fma_f64 v[189:190], v[189:190], v[193:194], v[191:192]
	v_div_scale_f64 v[191:192], null, v[189:190], v[189:190], 1.0
	v_rcp_f64_e32 v[195:196], v[191:192]
	v_fma_f64 v[197:198], -v[191:192], v[195:196], 1.0
	v_fma_f64 v[195:196], v[195:196], v[197:198], v[195:196]
	v_fma_f64 v[197:198], -v[191:192], v[195:196], 1.0
	v_fma_f64 v[195:196], v[195:196], v[197:198], v[195:196]
	v_div_scale_f64 v[197:198], vcc_lo, 1.0, v[189:190], 1.0
	v_mul_f64 v[199:200], v[197:198], v[195:196]
	v_fma_f64 v[191:192], -v[191:192], v[199:200], v[197:198]
	v_div_fmas_f64 v[191:192], v[191:192], v[195:196], v[199:200]
	v_div_fixup_f64 v[195:196], v[191:192], v[189:190], 1.0
                                        ; implicit-def: $vgpr189_vgpr190
	v_mul_f64 v[193:194], v[193:194], v[195:196]
	v_xor_b32_e32 v196, 0x80000000, v196
.LBB93_185:
	s_andn2_saveexec_b32 s1, s1
	s_cbranch_execz .LBB93_187
; %bb.186:
	v_div_scale_f64 v[193:194], null, v[189:190], v[189:190], v[191:192]
	v_div_scale_f64 v[199:200], vcc_lo, v[191:192], v[189:190], v[191:192]
	v_rcp_f64_e32 v[195:196], v[193:194]
	v_fma_f64 v[197:198], -v[193:194], v[195:196], 1.0
	v_fma_f64 v[195:196], v[195:196], v[197:198], v[195:196]
	v_fma_f64 v[197:198], -v[193:194], v[195:196], 1.0
	v_fma_f64 v[195:196], v[195:196], v[197:198], v[195:196]
	v_mul_f64 v[197:198], v[199:200], v[195:196]
	v_fma_f64 v[193:194], -v[193:194], v[197:198], v[199:200]
	v_div_fmas_f64 v[193:194], v[193:194], v[195:196], v[197:198]
	v_div_fixup_f64 v[195:196], v[193:194], v[189:190], v[191:192]
	v_fma_f64 v[189:190], v[191:192], v[195:196], v[189:190]
	v_div_scale_f64 v[191:192], null, v[189:190], v[189:190], 1.0
	v_rcp_f64_e32 v[193:194], v[191:192]
	v_fma_f64 v[197:198], -v[191:192], v[193:194], 1.0
	v_fma_f64 v[193:194], v[193:194], v[197:198], v[193:194]
	v_fma_f64 v[197:198], -v[191:192], v[193:194], 1.0
	v_fma_f64 v[193:194], v[193:194], v[197:198], v[193:194]
	v_div_scale_f64 v[197:198], vcc_lo, 1.0, v[189:190], 1.0
	v_mul_f64 v[199:200], v[197:198], v[193:194]
	v_fma_f64 v[191:192], -v[191:192], v[199:200], v[197:198]
	v_div_fmas_f64 v[191:192], v[191:192], v[193:194], v[199:200]
	v_div_fixup_f64 v[193:194], v[191:192], v[189:190], 1.0
	v_mul_f64 v[195:196], v[195:196], -v[193:194]
.LBB93_187:
	s_or_b32 exec_lo, exec_lo, s1
	ds_write2_b64 v255, v[193:194], v[195:196] offset1:1
.LBB93_188:
	s_or_b32 exec_lo, exec_lo, s2
	s_waitcnt lgkmcnt(0)
	s_barrier
	buffer_gl0_inv
	ds_read2_b64 v[189:192], v255 offset1:1
	s_mov_b32 s1, exec_lo
	s_waitcnt lgkmcnt(0)
	buffer_store_dword v189, off, s[16:19], 0 offset:688 ; 4-byte Folded Spill
	buffer_store_dword v190, off, s[16:19], 0 offset:692 ; 4-byte Folded Spill
	;; [unrolled: 1-line block ×4, first 2 shown]
	v_cmpx_lt_u32_e32 20, v0
	s_cbranch_execz .LBB93_190
; %bb.189:
	s_clause 0x3
	buffer_load_dword v191, off, s[16:19], 0 offset:688
	buffer_load_dword v192, off, s[16:19], 0 offset:692
	;; [unrolled: 1-line block ×4, first 2 shown]
	s_waitcnt vmcnt(0)
	v_mul_f64 v[189:190], v[193:194], v[107:108]
	v_mul_f64 v[107:108], v[191:192], v[107:108]
	v_fma_f64 v[189:190], v[191:192], v[105:106], -v[189:190]
	v_fma_f64 v[107:108], v[193:194], v[105:106], v[107:108]
	ds_read2_b64 v[191:194], v253 offset0:42 offset1:43
	s_waitcnt lgkmcnt(0)
	v_mul_f64 v[105:106], v[193:194], v[107:108]
	v_fma_f64 v[105:106], v[191:192], v[189:190], -v[105:106]
	v_mul_f64 v[191:192], v[191:192], v[107:108]
	v_add_f64 v[101:102], v[101:102], -v[105:106]
	v_fma_f64 v[191:192], v[193:194], v[189:190], v[191:192]
	v_add_f64 v[103:104], v[103:104], -v[191:192]
	ds_read2_b64 v[191:194], v253 offset0:44 offset1:45
	s_waitcnt lgkmcnt(0)
	v_mul_f64 v[105:106], v[193:194], v[107:108]
	v_fma_f64 v[105:106], v[191:192], v[189:190], -v[105:106]
	v_mul_f64 v[191:192], v[191:192], v[107:108]
	v_add_f64 v[97:98], v[97:98], -v[105:106]
	v_fma_f64 v[191:192], v[193:194], v[189:190], v[191:192]
	v_add_f64 v[99:100], v[99:100], -v[191:192]
	;; [unrolled: 8-line block ×25, first 2 shown]
	ds_read2_b64 v[191:194], v253 offset0:92 offset1:93
	s_waitcnt lgkmcnt(0)
	v_mul_f64 v[105:106], v[193:194], v[107:108]
	v_fma_f64 v[105:106], v[191:192], v[189:190], -v[105:106]
	v_mul_f64 v[191:192], v[191:192], v[107:108]
	v_add_f64 v[1:2], v[1:2], -v[105:106]
	v_fma_f64 v[191:192], v[193:194], v[189:190], v[191:192]
	v_mov_b32_e32 v105, v189
	v_mov_b32_e32 v106, v190
	v_add_f64 v[3:4], v[3:4], -v[191:192]
.LBB93_190:
	s_or_b32 exec_lo, exec_lo, s1
	s_mov_b32 s2, exec_lo
	s_waitcnt_vscnt null, 0x0
	s_barrier
	buffer_gl0_inv
	v_cmpx_eq_u32_e32 21, v0
	s_cbranch_execz .LBB93_197
; %bb.191:
	ds_write2_b64 v255, v[101:102], v[103:104] offset1:1
	ds_write2_b64 v253, v[97:98], v[99:100] offset0:44 offset1:45
	ds_write2_b64 v253, v[93:94], v[95:96] offset0:46 offset1:47
	;; [unrolled: 1-line block ×25, first 2 shown]
	ds_read2_b64 v[189:192], v255 offset1:1
	s_waitcnt lgkmcnt(0)
	v_cmp_neq_f64_e32 vcc_lo, 0, v[189:190]
	v_cmp_neq_f64_e64 s1, 0, v[191:192]
	s_or_b32 s1, vcc_lo, s1
	s_and_b32 exec_lo, exec_lo, s1
	s_cbranch_execz .LBB93_197
; %bb.192:
	v_cmp_ngt_f64_e64 s1, |v[189:190]|, |v[191:192]|
                                        ; implicit-def: $vgpr193_vgpr194
	s_and_saveexec_b32 s3, s1
	s_xor_b32 s1, exec_lo, s3
                                        ; implicit-def: $vgpr195_vgpr196
	s_cbranch_execz .LBB93_194
; %bb.193:
	v_div_scale_f64 v[193:194], null, v[191:192], v[191:192], v[189:190]
	v_div_scale_f64 v[199:200], vcc_lo, v[189:190], v[191:192], v[189:190]
	v_rcp_f64_e32 v[195:196], v[193:194]
	v_fma_f64 v[197:198], -v[193:194], v[195:196], 1.0
	v_fma_f64 v[195:196], v[195:196], v[197:198], v[195:196]
	v_fma_f64 v[197:198], -v[193:194], v[195:196], 1.0
	v_fma_f64 v[195:196], v[195:196], v[197:198], v[195:196]
	v_mul_f64 v[197:198], v[199:200], v[195:196]
	v_fma_f64 v[193:194], -v[193:194], v[197:198], v[199:200]
	v_div_fmas_f64 v[193:194], v[193:194], v[195:196], v[197:198]
	v_div_fixup_f64 v[193:194], v[193:194], v[191:192], v[189:190]
	v_fma_f64 v[189:190], v[189:190], v[193:194], v[191:192]
	v_div_scale_f64 v[191:192], null, v[189:190], v[189:190], 1.0
	v_rcp_f64_e32 v[195:196], v[191:192]
	v_fma_f64 v[197:198], -v[191:192], v[195:196], 1.0
	v_fma_f64 v[195:196], v[195:196], v[197:198], v[195:196]
	v_fma_f64 v[197:198], -v[191:192], v[195:196], 1.0
	v_fma_f64 v[195:196], v[195:196], v[197:198], v[195:196]
	v_div_scale_f64 v[197:198], vcc_lo, 1.0, v[189:190], 1.0
	v_mul_f64 v[199:200], v[197:198], v[195:196]
	v_fma_f64 v[191:192], -v[191:192], v[199:200], v[197:198]
	v_div_fmas_f64 v[191:192], v[191:192], v[195:196], v[199:200]
	v_div_fixup_f64 v[195:196], v[191:192], v[189:190], 1.0
                                        ; implicit-def: $vgpr189_vgpr190
	v_mul_f64 v[193:194], v[193:194], v[195:196]
	v_xor_b32_e32 v196, 0x80000000, v196
.LBB93_194:
	s_andn2_saveexec_b32 s1, s1
	s_cbranch_execz .LBB93_196
; %bb.195:
	v_div_scale_f64 v[193:194], null, v[189:190], v[189:190], v[191:192]
	v_div_scale_f64 v[199:200], vcc_lo, v[191:192], v[189:190], v[191:192]
	v_rcp_f64_e32 v[195:196], v[193:194]
	v_fma_f64 v[197:198], -v[193:194], v[195:196], 1.0
	v_fma_f64 v[195:196], v[195:196], v[197:198], v[195:196]
	v_fma_f64 v[197:198], -v[193:194], v[195:196], 1.0
	v_fma_f64 v[195:196], v[195:196], v[197:198], v[195:196]
	v_mul_f64 v[197:198], v[199:200], v[195:196]
	v_fma_f64 v[193:194], -v[193:194], v[197:198], v[199:200]
	v_div_fmas_f64 v[193:194], v[193:194], v[195:196], v[197:198]
	v_div_fixup_f64 v[195:196], v[193:194], v[189:190], v[191:192]
	v_fma_f64 v[189:190], v[191:192], v[195:196], v[189:190]
	v_div_scale_f64 v[191:192], null, v[189:190], v[189:190], 1.0
	v_rcp_f64_e32 v[193:194], v[191:192]
	v_fma_f64 v[197:198], -v[191:192], v[193:194], 1.0
	v_fma_f64 v[193:194], v[193:194], v[197:198], v[193:194]
	v_fma_f64 v[197:198], -v[191:192], v[193:194], 1.0
	v_fma_f64 v[193:194], v[193:194], v[197:198], v[193:194]
	v_div_scale_f64 v[197:198], vcc_lo, 1.0, v[189:190], 1.0
	v_mul_f64 v[199:200], v[197:198], v[193:194]
	v_fma_f64 v[191:192], -v[191:192], v[199:200], v[197:198]
	v_div_fmas_f64 v[191:192], v[191:192], v[193:194], v[199:200]
	v_div_fixup_f64 v[193:194], v[191:192], v[189:190], 1.0
	v_mul_f64 v[195:196], v[195:196], -v[193:194]
.LBB93_196:
	s_or_b32 exec_lo, exec_lo, s1
	ds_write2_b64 v255, v[193:194], v[195:196] offset1:1
.LBB93_197:
	s_or_b32 exec_lo, exec_lo, s2
	s_waitcnt lgkmcnt(0)
	s_barrier
	buffer_gl0_inv
	ds_read2_b64 v[189:192], v255 offset1:1
	s_mov_b32 s1, exec_lo
	s_waitcnt lgkmcnt(0)
	buffer_store_dword v189, off, s[16:19], 0 offset:704 ; 4-byte Folded Spill
	buffer_store_dword v190, off, s[16:19], 0 offset:708 ; 4-byte Folded Spill
	;; [unrolled: 1-line block ×4, first 2 shown]
	v_cmpx_lt_u32_e32 21, v0
	s_cbranch_execz .LBB93_199
; %bb.198:
	s_clause 0x3
	buffer_load_dword v191, off, s[16:19], 0 offset:704
	buffer_load_dword v192, off, s[16:19], 0 offset:708
	;; [unrolled: 1-line block ×4, first 2 shown]
	s_waitcnt vmcnt(0)
	v_mul_f64 v[189:190], v[193:194], v[103:104]
	v_mul_f64 v[103:104], v[191:192], v[103:104]
	v_fma_f64 v[189:190], v[191:192], v[101:102], -v[189:190]
	v_fma_f64 v[103:104], v[193:194], v[101:102], v[103:104]
	ds_read2_b64 v[191:194], v253 offset0:44 offset1:45
	s_waitcnt lgkmcnt(0)
	v_mul_f64 v[101:102], v[193:194], v[103:104]
	v_fma_f64 v[101:102], v[191:192], v[189:190], -v[101:102]
	v_mul_f64 v[191:192], v[191:192], v[103:104]
	v_add_f64 v[97:98], v[97:98], -v[101:102]
	v_fma_f64 v[191:192], v[193:194], v[189:190], v[191:192]
	v_add_f64 v[99:100], v[99:100], -v[191:192]
	ds_read2_b64 v[191:194], v253 offset0:46 offset1:47
	s_waitcnt lgkmcnt(0)
	v_mul_f64 v[101:102], v[193:194], v[103:104]
	v_fma_f64 v[101:102], v[191:192], v[189:190], -v[101:102]
	v_mul_f64 v[191:192], v[191:192], v[103:104]
	v_add_f64 v[93:94], v[93:94], -v[101:102]
	v_fma_f64 v[191:192], v[193:194], v[189:190], v[191:192]
	v_add_f64 v[95:96], v[95:96], -v[191:192]
	;; [unrolled: 8-line block ×24, first 2 shown]
	ds_read2_b64 v[191:194], v253 offset0:92 offset1:93
	s_waitcnt lgkmcnt(0)
	v_mul_f64 v[101:102], v[193:194], v[103:104]
	v_fma_f64 v[101:102], v[191:192], v[189:190], -v[101:102]
	v_mul_f64 v[191:192], v[191:192], v[103:104]
	v_add_f64 v[1:2], v[1:2], -v[101:102]
	v_fma_f64 v[191:192], v[193:194], v[189:190], v[191:192]
	v_mov_b32_e32 v101, v189
	v_mov_b32_e32 v102, v190
	v_add_f64 v[3:4], v[3:4], -v[191:192]
.LBB93_199:
	s_or_b32 exec_lo, exec_lo, s1
	s_mov_b32 s2, exec_lo
	s_waitcnt_vscnt null, 0x0
	s_barrier
	buffer_gl0_inv
	v_cmpx_eq_u32_e32 22, v0
	s_cbranch_execz .LBB93_206
; %bb.200:
	ds_write2_b64 v255, v[97:98], v[99:100] offset1:1
	ds_write2_b64 v253, v[93:94], v[95:96] offset0:46 offset1:47
	ds_write2_b64 v253, v[89:90], v[91:92] offset0:48 offset1:49
	;; [unrolled: 1-line block ×24, first 2 shown]
	ds_read2_b64 v[189:192], v255 offset1:1
	s_waitcnt lgkmcnt(0)
	v_cmp_neq_f64_e32 vcc_lo, 0, v[189:190]
	v_cmp_neq_f64_e64 s1, 0, v[191:192]
	s_or_b32 s1, vcc_lo, s1
	s_and_b32 exec_lo, exec_lo, s1
	s_cbranch_execz .LBB93_206
; %bb.201:
	v_cmp_ngt_f64_e64 s1, |v[189:190]|, |v[191:192]|
                                        ; implicit-def: $vgpr193_vgpr194
	s_and_saveexec_b32 s3, s1
	s_xor_b32 s1, exec_lo, s3
                                        ; implicit-def: $vgpr195_vgpr196
	s_cbranch_execz .LBB93_203
; %bb.202:
	v_div_scale_f64 v[193:194], null, v[191:192], v[191:192], v[189:190]
	v_div_scale_f64 v[199:200], vcc_lo, v[189:190], v[191:192], v[189:190]
	v_rcp_f64_e32 v[195:196], v[193:194]
	v_fma_f64 v[197:198], -v[193:194], v[195:196], 1.0
	v_fma_f64 v[195:196], v[195:196], v[197:198], v[195:196]
	v_fma_f64 v[197:198], -v[193:194], v[195:196], 1.0
	v_fma_f64 v[195:196], v[195:196], v[197:198], v[195:196]
	v_mul_f64 v[197:198], v[199:200], v[195:196]
	v_fma_f64 v[193:194], -v[193:194], v[197:198], v[199:200]
	v_div_fmas_f64 v[193:194], v[193:194], v[195:196], v[197:198]
	v_div_fixup_f64 v[193:194], v[193:194], v[191:192], v[189:190]
	v_fma_f64 v[189:190], v[189:190], v[193:194], v[191:192]
	v_div_scale_f64 v[191:192], null, v[189:190], v[189:190], 1.0
	v_rcp_f64_e32 v[195:196], v[191:192]
	v_fma_f64 v[197:198], -v[191:192], v[195:196], 1.0
	v_fma_f64 v[195:196], v[195:196], v[197:198], v[195:196]
	v_fma_f64 v[197:198], -v[191:192], v[195:196], 1.0
	v_fma_f64 v[195:196], v[195:196], v[197:198], v[195:196]
	v_div_scale_f64 v[197:198], vcc_lo, 1.0, v[189:190], 1.0
	v_mul_f64 v[199:200], v[197:198], v[195:196]
	v_fma_f64 v[191:192], -v[191:192], v[199:200], v[197:198]
	v_div_fmas_f64 v[191:192], v[191:192], v[195:196], v[199:200]
	v_div_fixup_f64 v[195:196], v[191:192], v[189:190], 1.0
                                        ; implicit-def: $vgpr189_vgpr190
	v_mul_f64 v[193:194], v[193:194], v[195:196]
	v_xor_b32_e32 v196, 0x80000000, v196
.LBB93_203:
	s_andn2_saveexec_b32 s1, s1
	s_cbranch_execz .LBB93_205
; %bb.204:
	v_div_scale_f64 v[193:194], null, v[189:190], v[189:190], v[191:192]
	v_div_scale_f64 v[199:200], vcc_lo, v[191:192], v[189:190], v[191:192]
	v_rcp_f64_e32 v[195:196], v[193:194]
	v_fma_f64 v[197:198], -v[193:194], v[195:196], 1.0
	v_fma_f64 v[195:196], v[195:196], v[197:198], v[195:196]
	v_fma_f64 v[197:198], -v[193:194], v[195:196], 1.0
	v_fma_f64 v[195:196], v[195:196], v[197:198], v[195:196]
	v_mul_f64 v[197:198], v[199:200], v[195:196]
	v_fma_f64 v[193:194], -v[193:194], v[197:198], v[199:200]
	v_div_fmas_f64 v[193:194], v[193:194], v[195:196], v[197:198]
	v_div_fixup_f64 v[195:196], v[193:194], v[189:190], v[191:192]
	v_fma_f64 v[189:190], v[191:192], v[195:196], v[189:190]
	v_div_scale_f64 v[191:192], null, v[189:190], v[189:190], 1.0
	v_rcp_f64_e32 v[193:194], v[191:192]
	v_fma_f64 v[197:198], -v[191:192], v[193:194], 1.0
	v_fma_f64 v[193:194], v[193:194], v[197:198], v[193:194]
	v_fma_f64 v[197:198], -v[191:192], v[193:194], 1.0
	v_fma_f64 v[193:194], v[193:194], v[197:198], v[193:194]
	v_div_scale_f64 v[197:198], vcc_lo, 1.0, v[189:190], 1.0
	v_mul_f64 v[199:200], v[197:198], v[193:194]
	v_fma_f64 v[191:192], -v[191:192], v[199:200], v[197:198]
	v_div_fmas_f64 v[191:192], v[191:192], v[193:194], v[199:200]
	v_div_fixup_f64 v[193:194], v[191:192], v[189:190], 1.0
	v_mul_f64 v[195:196], v[195:196], -v[193:194]
.LBB93_205:
	s_or_b32 exec_lo, exec_lo, s1
	ds_write2_b64 v255, v[193:194], v[195:196] offset1:1
.LBB93_206:
	s_or_b32 exec_lo, exec_lo, s2
	s_waitcnt lgkmcnt(0)
	s_barrier
	buffer_gl0_inv
	ds_read2_b64 v[189:192], v255 offset1:1
	s_mov_b32 s1, exec_lo
	s_waitcnt lgkmcnt(0)
	buffer_store_dword v189, off, s[16:19], 0 offset:720 ; 4-byte Folded Spill
	buffer_store_dword v190, off, s[16:19], 0 offset:724 ; 4-byte Folded Spill
	buffer_store_dword v191, off, s[16:19], 0 offset:728 ; 4-byte Folded Spill
	buffer_store_dword v192, off, s[16:19], 0 offset:732 ; 4-byte Folded Spill
	v_cmpx_lt_u32_e32 22, v0
	s_cbranch_execz .LBB93_208
; %bb.207:
	s_clause 0x3
	buffer_load_dword v191, off, s[16:19], 0 offset:720
	buffer_load_dword v192, off, s[16:19], 0 offset:724
	;; [unrolled: 1-line block ×4, first 2 shown]
	s_waitcnt vmcnt(0)
	v_mul_f64 v[189:190], v[193:194], v[99:100]
	v_mul_f64 v[99:100], v[191:192], v[99:100]
	v_fma_f64 v[189:190], v[191:192], v[97:98], -v[189:190]
	v_fma_f64 v[99:100], v[193:194], v[97:98], v[99:100]
	ds_read2_b64 v[191:194], v253 offset0:46 offset1:47
	s_waitcnt lgkmcnt(0)
	v_mul_f64 v[97:98], v[193:194], v[99:100]
	v_fma_f64 v[97:98], v[191:192], v[189:190], -v[97:98]
	v_mul_f64 v[191:192], v[191:192], v[99:100]
	v_add_f64 v[93:94], v[93:94], -v[97:98]
	v_fma_f64 v[191:192], v[193:194], v[189:190], v[191:192]
	v_add_f64 v[95:96], v[95:96], -v[191:192]
	ds_read2_b64 v[191:194], v253 offset0:48 offset1:49
	s_waitcnt lgkmcnt(0)
	v_mul_f64 v[97:98], v[193:194], v[99:100]
	v_fma_f64 v[97:98], v[191:192], v[189:190], -v[97:98]
	v_mul_f64 v[191:192], v[191:192], v[99:100]
	v_add_f64 v[89:90], v[89:90], -v[97:98]
	v_fma_f64 v[191:192], v[193:194], v[189:190], v[191:192]
	v_add_f64 v[91:92], v[91:92], -v[191:192]
	;; [unrolled: 8-line block ×23, first 2 shown]
	ds_read2_b64 v[191:194], v253 offset0:92 offset1:93
	s_waitcnt lgkmcnt(0)
	v_mul_f64 v[97:98], v[193:194], v[99:100]
	v_fma_f64 v[97:98], v[191:192], v[189:190], -v[97:98]
	v_mul_f64 v[191:192], v[191:192], v[99:100]
	v_add_f64 v[1:2], v[1:2], -v[97:98]
	v_fma_f64 v[191:192], v[193:194], v[189:190], v[191:192]
	v_mov_b32_e32 v97, v189
	v_mov_b32_e32 v98, v190
	v_add_f64 v[3:4], v[3:4], -v[191:192]
.LBB93_208:
	s_or_b32 exec_lo, exec_lo, s1
	s_mov_b32 s2, exec_lo
	s_waitcnt_vscnt null, 0x0
	s_barrier
	buffer_gl0_inv
	v_cmpx_eq_u32_e32 23, v0
	s_cbranch_execz .LBB93_215
; %bb.209:
	ds_write2_b64 v255, v[93:94], v[95:96] offset1:1
	ds_write2_b64 v253, v[89:90], v[91:92] offset0:48 offset1:49
	ds_write2_b64 v253, v[85:86], v[87:88] offset0:50 offset1:51
	;; [unrolled: 1-line block ×23, first 2 shown]
	ds_read2_b64 v[189:192], v255 offset1:1
	s_waitcnt lgkmcnt(0)
	v_cmp_neq_f64_e32 vcc_lo, 0, v[189:190]
	v_cmp_neq_f64_e64 s1, 0, v[191:192]
	s_or_b32 s1, vcc_lo, s1
	s_and_b32 exec_lo, exec_lo, s1
	s_cbranch_execz .LBB93_215
; %bb.210:
	v_cmp_ngt_f64_e64 s1, |v[189:190]|, |v[191:192]|
                                        ; implicit-def: $vgpr193_vgpr194
	s_and_saveexec_b32 s3, s1
	s_xor_b32 s1, exec_lo, s3
                                        ; implicit-def: $vgpr195_vgpr196
	s_cbranch_execz .LBB93_212
; %bb.211:
	v_div_scale_f64 v[193:194], null, v[191:192], v[191:192], v[189:190]
	v_div_scale_f64 v[199:200], vcc_lo, v[189:190], v[191:192], v[189:190]
	v_rcp_f64_e32 v[195:196], v[193:194]
	v_fma_f64 v[197:198], -v[193:194], v[195:196], 1.0
	v_fma_f64 v[195:196], v[195:196], v[197:198], v[195:196]
	v_fma_f64 v[197:198], -v[193:194], v[195:196], 1.0
	v_fma_f64 v[195:196], v[195:196], v[197:198], v[195:196]
	v_mul_f64 v[197:198], v[199:200], v[195:196]
	v_fma_f64 v[193:194], -v[193:194], v[197:198], v[199:200]
	v_div_fmas_f64 v[193:194], v[193:194], v[195:196], v[197:198]
	v_div_fixup_f64 v[193:194], v[193:194], v[191:192], v[189:190]
	v_fma_f64 v[189:190], v[189:190], v[193:194], v[191:192]
	v_div_scale_f64 v[191:192], null, v[189:190], v[189:190], 1.0
	v_rcp_f64_e32 v[195:196], v[191:192]
	v_fma_f64 v[197:198], -v[191:192], v[195:196], 1.0
	v_fma_f64 v[195:196], v[195:196], v[197:198], v[195:196]
	v_fma_f64 v[197:198], -v[191:192], v[195:196], 1.0
	v_fma_f64 v[195:196], v[195:196], v[197:198], v[195:196]
	v_div_scale_f64 v[197:198], vcc_lo, 1.0, v[189:190], 1.0
	v_mul_f64 v[199:200], v[197:198], v[195:196]
	v_fma_f64 v[191:192], -v[191:192], v[199:200], v[197:198]
	v_div_fmas_f64 v[191:192], v[191:192], v[195:196], v[199:200]
	v_div_fixup_f64 v[195:196], v[191:192], v[189:190], 1.0
                                        ; implicit-def: $vgpr189_vgpr190
	v_mul_f64 v[193:194], v[193:194], v[195:196]
	v_xor_b32_e32 v196, 0x80000000, v196
.LBB93_212:
	s_andn2_saveexec_b32 s1, s1
	s_cbranch_execz .LBB93_214
; %bb.213:
	v_div_scale_f64 v[193:194], null, v[189:190], v[189:190], v[191:192]
	v_div_scale_f64 v[199:200], vcc_lo, v[191:192], v[189:190], v[191:192]
	v_rcp_f64_e32 v[195:196], v[193:194]
	v_fma_f64 v[197:198], -v[193:194], v[195:196], 1.0
	v_fma_f64 v[195:196], v[195:196], v[197:198], v[195:196]
	v_fma_f64 v[197:198], -v[193:194], v[195:196], 1.0
	v_fma_f64 v[195:196], v[195:196], v[197:198], v[195:196]
	v_mul_f64 v[197:198], v[199:200], v[195:196]
	v_fma_f64 v[193:194], -v[193:194], v[197:198], v[199:200]
	v_div_fmas_f64 v[193:194], v[193:194], v[195:196], v[197:198]
	v_div_fixup_f64 v[195:196], v[193:194], v[189:190], v[191:192]
	v_fma_f64 v[189:190], v[191:192], v[195:196], v[189:190]
	v_div_scale_f64 v[191:192], null, v[189:190], v[189:190], 1.0
	v_rcp_f64_e32 v[193:194], v[191:192]
	v_fma_f64 v[197:198], -v[191:192], v[193:194], 1.0
	v_fma_f64 v[193:194], v[193:194], v[197:198], v[193:194]
	v_fma_f64 v[197:198], -v[191:192], v[193:194], 1.0
	v_fma_f64 v[193:194], v[193:194], v[197:198], v[193:194]
	v_div_scale_f64 v[197:198], vcc_lo, 1.0, v[189:190], 1.0
	v_mul_f64 v[199:200], v[197:198], v[193:194]
	v_fma_f64 v[191:192], -v[191:192], v[199:200], v[197:198]
	v_div_fmas_f64 v[191:192], v[191:192], v[193:194], v[199:200]
	v_div_fixup_f64 v[193:194], v[191:192], v[189:190], 1.0
	v_mul_f64 v[195:196], v[195:196], -v[193:194]
.LBB93_214:
	s_or_b32 exec_lo, exec_lo, s1
	ds_write2_b64 v255, v[193:194], v[195:196] offset1:1
.LBB93_215:
	s_or_b32 exec_lo, exec_lo, s2
	s_waitcnt lgkmcnt(0)
	s_barrier
	buffer_gl0_inv
	ds_read2_b64 v[189:192], v255 offset1:1
	s_mov_b32 s1, exec_lo
	s_waitcnt lgkmcnt(0)
	buffer_store_dword v189, off, s[16:19], 0 offset:736 ; 4-byte Folded Spill
	buffer_store_dword v190, off, s[16:19], 0 offset:740 ; 4-byte Folded Spill
	;; [unrolled: 1-line block ×4, first 2 shown]
	v_cmpx_lt_u32_e32 23, v0
	s_cbranch_execz .LBB93_217
; %bb.216:
	s_clause 0x3
	buffer_load_dword v191, off, s[16:19], 0 offset:736
	buffer_load_dword v192, off, s[16:19], 0 offset:740
	;; [unrolled: 1-line block ×4, first 2 shown]
	s_waitcnt vmcnt(0)
	v_mul_f64 v[189:190], v[193:194], v[95:96]
	v_mul_f64 v[95:96], v[191:192], v[95:96]
	v_fma_f64 v[189:190], v[191:192], v[93:94], -v[189:190]
	v_fma_f64 v[95:96], v[193:194], v[93:94], v[95:96]
	ds_read2_b64 v[191:194], v253 offset0:48 offset1:49
	s_waitcnt lgkmcnt(0)
	v_mul_f64 v[93:94], v[193:194], v[95:96]
	v_fma_f64 v[93:94], v[191:192], v[189:190], -v[93:94]
	v_mul_f64 v[191:192], v[191:192], v[95:96]
	v_add_f64 v[89:90], v[89:90], -v[93:94]
	v_fma_f64 v[191:192], v[193:194], v[189:190], v[191:192]
	v_add_f64 v[91:92], v[91:92], -v[191:192]
	ds_read2_b64 v[191:194], v253 offset0:50 offset1:51
	s_waitcnt lgkmcnt(0)
	v_mul_f64 v[93:94], v[193:194], v[95:96]
	v_fma_f64 v[93:94], v[191:192], v[189:190], -v[93:94]
	v_mul_f64 v[191:192], v[191:192], v[95:96]
	v_add_f64 v[85:86], v[85:86], -v[93:94]
	v_fma_f64 v[191:192], v[193:194], v[189:190], v[191:192]
	v_add_f64 v[87:88], v[87:88], -v[191:192]
	;; [unrolled: 8-line block ×22, first 2 shown]
	ds_read2_b64 v[191:194], v253 offset0:92 offset1:93
	s_waitcnt lgkmcnt(0)
	v_mul_f64 v[93:94], v[193:194], v[95:96]
	v_fma_f64 v[93:94], v[191:192], v[189:190], -v[93:94]
	v_mul_f64 v[191:192], v[191:192], v[95:96]
	v_add_f64 v[1:2], v[1:2], -v[93:94]
	v_fma_f64 v[191:192], v[193:194], v[189:190], v[191:192]
	v_mov_b32_e32 v93, v189
	v_mov_b32_e32 v94, v190
	v_add_f64 v[3:4], v[3:4], -v[191:192]
.LBB93_217:
	s_or_b32 exec_lo, exec_lo, s1
	s_mov_b32 s2, exec_lo
	s_waitcnt_vscnt null, 0x0
	s_barrier
	buffer_gl0_inv
	v_cmpx_eq_u32_e32 24, v0
	s_cbranch_execz .LBB93_224
; %bb.218:
	ds_write2_b64 v255, v[89:90], v[91:92] offset1:1
	ds_write2_b64 v253, v[85:86], v[87:88] offset0:50 offset1:51
	ds_write2_b64 v253, v[81:82], v[83:84] offset0:52 offset1:53
	;; [unrolled: 1-line block ×22, first 2 shown]
	ds_read2_b64 v[189:192], v255 offset1:1
	s_waitcnt lgkmcnt(0)
	v_cmp_neq_f64_e32 vcc_lo, 0, v[189:190]
	v_cmp_neq_f64_e64 s1, 0, v[191:192]
	s_or_b32 s1, vcc_lo, s1
	s_and_b32 exec_lo, exec_lo, s1
	s_cbranch_execz .LBB93_224
; %bb.219:
	v_cmp_ngt_f64_e64 s1, |v[189:190]|, |v[191:192]|
                                        ; implicit-def: $vgpr193_vgpr194
	s_and_saveexec_b32 s3, s1
	s_xor_b32 s1, exec_lo, s3
                                        ; implicit-def: $vgpr195_vgpr196
	s_cbranch_execz .LBB93_221
; %bb.220:
	v_div_scale_f64 v[193:194], null, v[191:192], v[191:192], v[189:190]
	v_div_scale_f64 v[199:200], vcc_lo, v[189:190], v[191:192], v[189:190]
	v_rcp_f64_e32 v[195:196], v[193:194]
	v_fma_f64 v[197:198], -v[193:194], v[195:196], 1.0
	v_fma_f64 v[195:196], v[195:196], v[197:198], v[195:196]
	v_fma_f64 v[197:198], -v[193:194], v[195:196], 1.0
	v_fma_f64 v[195:196], v[195:196], v[197:198], v[195:196]
	v_mul_f64 v[197:198], v[199:200], v[195:196]
	v_fma_f64 v[193:194], -v[193:194], v[197:198], v[199:200]
	v_div_fmas_f64 v[193:194], v[193:194], v[195:196], v[197:198]
	v_div_fixup_f64 v[193:194], v[193:194], v[191:192], v[189:190]
	v_fma_f64 v[189:190], v[189:190], v[193:194], v[191:192]
	v_div_scale_f64 v[191:192], null, v[189:190], v[189:190], 1.0
	v_rcp_f64_e32 v[195:196], v[191:192]
	v_fma_f64 v[197:198], -v[191:192], v[195:196], 1.0
	v_fma_f64 v[195:196], v[195:196], v[197:198], v[195:196]
	v_fma_f64 v[197:198], -v[191:192], v[195:196], 1.0
	v_fma_f64 v[195:196], v[195:196], v[197:198], v[195:196]
	v_div_scale_f64 v[197:198], vcc_lo, 1.0, v[189:190], 1.0
	v_mul_f64 v[199:200], v[197:198], v[195:196]
	v_fma_f64 v[191:192], -v[191:192], v[199:200], v[197:198]
	v_div_fmas_f64 v[191:192], v[191:192], v[195:196], v[199:200]
	v_div_fixup_f64 v[195:196], v[191:192], v[189:190], 1.0
                                        ; implicit-def: $vgpr189_vgpr190
	v_mul_f64 v[193:194], v[193:194], v[195:196]
	v_xor_b32_e32 v196, 0x80000000, v196
.LBB93_221:
	s_andn2_saveexec_b32 s1, s1
	s_cbranch_execz .LBB93_223
; %bb.222:
	v_div_scale_f64 v[193:194], null, v[189:190], v[189:190], v[191:192]
	v_div_scale_f64 v[199:200], vcc_lo, v[191:192], v[189:190], v[191:192]
	v_rcp_f64_e32 v[195:196], v[193:194]
	v_fma_f64 v[197:198], -v[193:194], v[195:196], 1.0
	v_fma_f64 v[195:196], v[195:196], v[197:198], v[195:196]
	v_fma_f64 v[197:198], -v[193:194], v[195:196], 1.0
	v_fma_f64 v[195:196], v[195:196], v[197:198], v[195:196]
	v_mul_f64 v[197:198], v[199:200], v[195:196]
	v_fma_f64 v[193:194], -v[193:194], v[197:198], v[199:200]
	v_div_fmas_f64 v[193:194], v[193:194], v[195:196], v[197:198]
	v_div_fixup_f64 v[195:196], v[193:194], v[189:190], v[191:192]
	v_fma_f64 v[189:190], v[191:192], v[195:196], v[189:190]
	v_div_scale_f64 v[191:192], null, v[189:190], v[189:190], 1.0
	v_rcp_f64_e32 v[193:194], v[191:192]
	v_fma_f64 v[197:198], -v[191:192], v[193:194], 1.0
	v_fma_f64 v[193:194], v[193:194], v[197:198], v[193:194]
	v_fma_f64 v[197:198], -v[191:192], v[193:194], 1.0
	v_fma_f64 v[193:194], v[193:194], v[197:198], v[193:194]
	v_div_scale_f64 v[197:198], vcc_lo, 1.0, v[189:190], 1.0
	v_mul_f64 v[199:200], v[197:198], v[193:194]
	v_fma_f64 v[191:192], -v[191:192], v[199:200], v[197:198]
	v_div_fmas_f64 v[191:192], v[191:192], v[193:194], v[199:200]
	v_div_fixup_f64 v[193:194], v[191:192], v[189:190], 1.0
	v_mul_f64 v[195:196], v[195:196], -v[193:194]
.LBB93_223:
	s_or_b32 exec_lo, exec_lo, s1
	ds_write2_b64 v255, v[193:194], v[195:196] offset1:1
.LBB93_224:
	s_or_b32 exec_lo, exec_lo, s2
	s_waitcnt lgkmcnt(0)
	s_barrier
	buffer_gl0_inv
	ds_read2_b64 v[189:192], v255 offset1:1
	s_mov_b32 s1, exec_lo
	s_waitcnt lgkmcnt(0)
	buffer_store_dword v189, off, s[16:19], 0 offset:752 ; 4-byte Folded Spill
	buffer_store_dword v190, off, s[16:19], 0 offset:756 ; 4-byte Folded Spill
	;; [unrolled: 1-line block ×4, first 2 shown]
	v_cmpx_lt_u32_e32 24, v0
	s_cbranch_execz .LBB93_226
; %bb.225:
	s_clause 0x3
	buffer_load_dword v191, off, s[16:19], 0 offset:752
	buffer_load_dword v192, off, s[16:19], 0 offset:756
	;; [unrolled: 1-line block ×4, first 2 shown]
	s_waitcnt vmcnt(0)
	v_mul_f64 v[189:190], v[193:194], v[91:92]
	v_mul_f64 v[91:92], v[191:192], v[91:92]
	v_fma_f64 v[189:190], v[191:192], v[89:90], -v[189:190]
	v_fma_f64 v[91:92], v[193:194], v[89:90], v[91:92]
	ds_read2_b64 v[191:194], v253 offset0:50 offset1:51
	s_waitcnt lgkmcnt(0)
	v_mul_f64 v[89:90], v[193:194], v[91:92]
	v_fma_f64 v[89:90], v[191:192], v[189:190], -v[89:90]
	v_mul_f64 v[191:192], v[191:192], v[91:92]
	v_add_f64 v[85:86], v[85:86], -v[89:90]
	v_fma_f64 v[191:192], v[193:194], v[189:190], v[191:192]
	v_add_f64 v[87:88], v[87:88], -v[191:192]
	ds_read2_b64 v[191:194], v253 offset0:52 offset1:53
	s_waitcnt lgkmcnt(0)
	v_mul_f64 v[89:90], v[193:194], v[91:92]
	v_fma_f64 v[89:90], v[191:192], v[189:190], -v[89:90]
	v_mul_f64 v[191:192], v[191:192], v[91:92]
	v_add_f64 v[81:82], v[81:82], -v[89:90]
	v_fma_f64 v[191:192], v[193:194], v[189:190], v[191:192]
	v_add_f64 v[83:84], v[83:84], -v[191:192]
	;; [unrolled: 8-line block ×21, first 2 shown]
	ds_read2_b64 v[191:194], v253 offset0:92 offset1:93
	s_waitcnt lgkmcnt(0)
	v_mul_f64 v[89:90], v[193:194], v[91:92]
	v_fma_f64 v[89:90], v[191:192], v[189:190], -v[89:90]
	v_mul_f64 v[191:192], v[191:192], v[91:92]
	v_add_f64 v[1:2], v[1:2], -v[89:90]
	v_fma_f64 v[191:192], v[193:194], v[189:190], v[191:192]
	v_mov_b32_e32 v89, v189
	v_mov_b32_e32 v90, v190
	v_add_f64 v[3:4], v[3:4], -v[191:192]
.LBB93_226:
	s_or_b32 exec_lo, exec_lo, s1
	s_mov_b32 s2, exec_lo
	s_waitcnt_vscnt null, 0x0
	s_barrier
	buffer_gl0_inv
	v_cmpx_eq_u32_e32 25, v0
	s_cbranch_execz .LBB93_233
; %bb.227:
	ds_write2_b64 v255, v[85:86], v[87:88] offset1:1
	ds_write2_b64 v253, v[81:82], v[83:84] offset0:52 offset1:53
	ds_write2_b64 v253, v[77:78], v[79:80] offset0:54 offset1:55
	;; [unrolled: 1-line block ×21, first 2 shown]
	ds_read2_b64 v[189:192], v255 offset1:1
	s_waitcnt lgkmcnt(0)
	v_cmp_neq_f64_e32 vcc_lo, 0, v[189:190]
	v_cmp_neq_f64_e64 s1, 0, v[191:192]
	s_or_b32 s1, vcc_lo, s1
	s_and_b32 exec_lo, exec_lo, s1
	s_cbranch_execz .LBB93_233
; %bb.228:
	v_cmp_ngt_f64_e64 s1, |v[189:190]|, |v[191:192]|
                                        ; implicit-def: $vgpr193_vgpr194
	s_and_saveexec_b32 s3, s1
	s_xor_b32 s1, exec_lo, s3
                                        ; implicit-def: $vgpr195_vgpr196
	s_cbranch_execz .LBB93_230
; %bb.229:
	v_div_scale_f64 v[193:194], null, v[191:192], v[191:192], v[189:190]
	v_div_scale_f64 v[199:200], vcc_lo, v[189:190], v[191:192], v[189:190]
	v_rcp_f64_e32 v[195:196], v[193:194]
	v_fma_f64 v[197:198], -v[193:194], v[195:196], 1.0
	v_fma_f64 v[195:196], v[195:196], v[197:198], v[195:196]
	v_fma_f64 v[197:198], -v[193:194], v[195:196], 1.0
	v_fma_f64 v[195:196], v[195:196], v[197:198], v[195:196]
	v_mul_f64 v[197:198], v[199:200], v[195:196]
	v_fma_f64 v[193:194], -v[193:194], v[197:198], v[199:200]
	v_div_fmas_f64 v[193:194], v[193:194], v[195:196], v[197:198]
	v_div_fixup_f64 v[193:194], v[193:194], v[191:192], v[189:190]
	v_fma_f64 v[189:190], v[189:190], v[193:194], v[191:192]
	v_div_scale_f64 v[191:192], null, v[189:190], v[189:190], 1.0
	v_rcp_f64_e32 v[195:196], v[191:192]
	v_fma_f64 v[197:198], -v[191:192], v[195:196], 1.0
	v_fma_f64 v[195:196], v[195:196], v[197:198], v[195:196]
	v_fma_f64 v[197:198], -v[191:192], v[195:196], 1.0
	v_fma_f64 v[195:196], v[195:196], v[197:198], v[195:196]
	v_div_scale_f64 v[197:198], vcc_lo, 1.0, v[189:190], 1.0
	v_mul_f64 v[199:200], v[197:198], v[195:196]
	v_fma_f64 v[191:192], -v[191:192], v[199:200], v[197:198]
	v_div_fmas_f64 v[191:192], v[191:192], v[195:196], v[199:200]
	v_div_fixup_f64 v[195:196], v[191:192], v[189:190], 1.0
                                        ; implicit-def: $vgpr189_vgpr190
	v_mul_f64 v[193:194], v[193:194], v[195:196]
	v_xor_b32_e32 v196, 0x80000000, v196
.LBB93_230:
	s_andn2_saveexec_b32 s1, s1
	s_cbranch_execz .LBB93_232
; %bb.231:
	v_div_scale_f64 v[193:194], null, v[189:190], v[189:190], v[191:192]
	v_div_scale_f64 v[199:200], vcc_lo, v[191:192], v[189:190], v[191:192]
	v_rcp_f64_e32 v[195:196], v[193:194]
	v_fma_f64 v[197:198], -v[193:194], v[195:196], 1.0
	v_fma_f64 v[195:196], v[195:196], v[197:198], v[195:196]
	v_fma_f64 v[197:198], -v[193:194], v[195:196], 1.0
	v_fma_f64 v[195:196], v[195:196], v[197:198], v[195:196]
	v_mul_f64 v[197:198], v[199:200], v[195:196]
	v_fma_f64 v[193:194], -v[193:194], v[197:198], v[199:200]
	v_div_fmas_f64 v[193:194], v[193:194], v[195:196], v[197:198]
	v_div_fixup_f64 v[195:196], v[193:194], v[189:190], v[191:192]
	v_fma_f64 v[189:190], v[191:192], v[195:196], v[189:190]
	v_div_scale_f64 v[191:192], null, v[189:190], v[189:190], 1.0
	v_rcp_f64_e32 v[193:194], v[191:192]
	v_fma_f64 v[197:198], -v[191:192], v[193:194], 1.0
	v_fma_f64 v[193:194], v[193:194], v[197:198], v[193:194]
	v_fma_f64 v[197:198], -v[191:192], v[193:194], 1.0
	v_fma_f64 v[193:194], v[193:194], v[197:198], v[193:194]
	v_div_scale_f64 v[197:198], vcc_lo, 1.0, v[189:190], 1.0
	v_mul_f64 v[199:200], v[197:198], v[193:194]
	v_fma_f64 v[191:192], -v[191:192], v[199:200], v[197:198]
	v_div_fmas_f64 v[191:192], v[191:192], v[193:194], v[199:200]
	v_div_fixup_f64 v[193:194], v[191:192], v[189:190], 1.0
	v_mul_f64 v[195:196], v[195:196], -v[193:194]
.LBB93_232:
	s_or_b32 exec_lo, exec_lo, s1
	ds_write2_b64 v255, v[193:194], v[195:196] offset1:1
.LBB93_233:
	s_or_b32 exec_lo, exec_lo, s2
	s_waitcnt lgkmcnt(0)
	s_barrier
	buffer_gl0_inv
	ds_read2_b64 v[189:192], v255 offset1:1
	s_mov_b32 s1, exec_lo
	s_waitcnt lgkmcnt(0)
	buffer_store_dword v189, off, s[16:19], 0 offset:768 ; 4-byte Folded Spill
	buffer_store_dword v190, off, s[16:19], 0 offset:772 ; 4-byte Folded Spill
	;; [unrolled: 1-line block ×4, first 2 shown]
	v_cmpx_lt_u32_e32 25, v0
	s_cbranch_execz .LBB93_235
; %bb.234:
	s_clause 0x3
	buffer_load_dword v191, off, s[16:19], 0 offset:768
	buffer_load_dword v192, off, s[16:19], 0 offset:772
	;; [unrolled: 1-line block ×4, first 2 shown]
	s_waitcnt vmcnt(0)
	v_mul_f64 v[189:190], v[193:194], v[87:88]
	v_mul_f64 v[87:88], v[191:192], v[87:88]
	v_fma_f64 v[189:190], v[191:192], v[85:86], -v[189:190]
	v_fma_f64 v[87:88], v[193:194], v[85:86], v[87:88]
	ds_read2_b64 v[191:194], v253 offset0:52 offset1:53
	s_waitcnt lgkmcnt(0)
	v_mul_f64 v[85:86], v[193:194], v[87:88]
	v_fma_f64 v[85:86], v[191:192], v[189:190], -v[85:86]
	v_mul_f64 v[191:192], v[191:192], v[87:88]
	v_add_f64 v[81:82], v[81:82], -v[85:86]
	v_fma_f64 v[191:192], v[193:194], v[189:190], v[191:192]
	v_add_f64 v[83:84], v[83:84], -v[191:192]
	ds_read2_b64 v[191:194], v253 offset0:54 offset1:55
	s_waitcnt lgkmcnt(0)
	v_mul_f64 v[85:86], v[193:194], v[87:88]
	v_fma_f64 v[85:86], v[191:192], v[189:190], -v[85:86]
	v_mul_f64 v[191:192], v[191:192], v[87:88]
	v_add_f64 v[77:78], v[77:78], -v[85:86]
	v_fma_f64 v[191:192], v[193:194], v[189:190], v[191:192]
	v_add_f64 v[79:80], v[79:80], -v[191:192]
	;; [unrolled: 8-line block ×20, first 2 shown]
	ds_read2_b64 v[191:194], v253 offset0:92 offset1:93
	s_waitcnt lgkmcnt(0)
	v_mul_f64 v[85:86], v[193:194], v[87:88]
	v_fma_f64 v[85:86], v[191:192], v[189:190], -v[85:86]
	v_mul_f64 v[191:192], v[191:192], v[87:88]
	v_add_f64 v[1:2], v[1:2], -v[85:86]
	v_fma_f64 v[191:192], v[193:194], v[189:190], v[191:192]
	v_mov_b32_e32 v85, v189
	v_mov_b32_e32 v86, v190
	v_add_f64 v[3:4], v[3:4], -v[191:192]
.LBB93_235:
	s_or_b32 exec_lo, exec_lo, s1
	s_mov_b32 s2, exec_lo
	s_waitcnt_vscnt null, 0x0
	s_barrier
	buffer_gl0_inv
	v_cmpx_eq_u32_e32 26, v0
	s_cbranch_execz .LBB93_242
; %bb.236:
	ds_write2_b64 v255, v[81:82], v[83:84] offset1:1
	ds_write2_b64 v253, v[77:78], v[79:80] offset0:54 offset1:55
	ds_write2_b64 v253, v[73:74], v[75:76] offset0:56 offset1:57
	;; [unrolled: 1-line block ×20, first 2 shown]
	ds_read2_b64 v[189:192], v255 offset1:1
	s_waitcnt lgkmcnt(0)
	v_cmp_neq_f64_e32 vcc_lo, 0, v[189:190]
	v_cmp_neq_f64_e64 s1, 0, v[191:192]
	s_or_b32 s1, vcc_lo, s1
	s_and_b32 exec_lo, exec_lo, s1
	s_cbranch_execz .LBB93_242
; %bb.237:
	v_cmp_ngt_f64_e64 s1, |v[189:190]|, |v[191:192]|
                                        ; implicit-def: $vgpr193_vgpr194
	s_and_saveexec_b32 s3, s1
	s_xor_b32 s1, exec_lo, s3
                                        ; implicit-def: $vgpr195_vgpr196
	s_cbranch_execz .LBB93_239
; %bb.238:
	v_div_scale_f64 v[193:194], null, v[191:192], v[191:192], v[189:190]
	v_div_scale_f64 v[199:200], vcc_lo, v[189:190], v[191:192], v[189:190]
	v_rcp_f64_e32 v[195:196], v[193:194]
	v_fma_f64 v[197:198], -v[193:194], v[195:196], 1.0
	v_fma_f64 v[195:196], v[195:196], v[197:198], v[195:196]
	v_fma_f64 v[197:198], -v[193:194], v[195:196], 1.0
	v_fma_f64 v[195:196], v[195:196], v[197:198], v[195:196]
	v_mul_f64 v[197:198], v[199:200], v[195:196]
	v_fma_f64 v[193:194], -v[193:194], v[197:198], v[199:200]
	v_div_fmas_f64 v[193:194], v[193:194], v[195:196], v[197:198]
	v_div_fixup_f64 v[193:194], v[193:194], v[191:192], v[189:190]
	v_fma_f64 v[189:190], v[189:190], v[193:194], v[191:192]
	v_div_scale_f64 v[191:192], null, v[189:190], v[189:190], 1.0
	v_rcp_f64_e32 v[195:196], v[191:192]
	v_fma_f64 v[197:198], -v[191:192], v[195:196], 1.0
	v_fma_f64 v[195:196], v[195:196], v[197:198], v[195:196]
	v_fma_f64 v[197:198], -v[191:192], v[195:196], 1.0
	v_fma_f64 v[195:196], v[195:196], v[197:198], v[195:196]
	v_div_scale_f64 v[197:198], vcc_lo, 1.0, v[189:190], 1.0
	v_mul_f64 v[199:200], v[197:198], v[195:196]
	v_fma_f64 v[191:192], -v[191:192], v[199:200], v[197:198]
	v_div_fmas_f64 v[191:192], v[191:192], v[195:196], v[199:200]
	v_div_fixup_f64 v[195:196], v[191:192], v[189:190], 1.0
                                        ; implicit-def: $vgpr189_vgpr190
	v_mul_f64 v[193:194], v[193:194], v[195:196]
	v_xor_b32_e32 v196, 0x80000000, v196
.LBB93_239:
	s_andn2_saveexec_b32 s1, s1
	s_cbranch_execz .LBB93_241
; %bb.240:
	v_div_scale_f64 v[193:194], null, v[189:190], v[189:190], v[191:192]
	v_div_scale_f64 v[199:200], vcc_lo, v[191:192], v[189:190], v[191:192]
	v_rcp_f64_e32 v[195:196], v[193:194]
	v_fma_f64 v[197:198], -v[193:194], v[195:196], 1.0
	v_fma_f64 v[195:196], v[195:196], v[197:198], v[195:196]
	v_fma_f64 v[197:198], -v[193:194], v[195:196], 1.0
	v_fma_f64 v[195:196], v[195:196], v[197:198], v[195:196]
	v_mul_f64 v[197:198], v[199:200], v[195:196]
	v_fma_f64 v[193:194], -v[193:194], v[197:198], v[199:200]
	v_div_fmas_f64 v[193:194], v[193:194], v[195:196], v[197:198]
	v_div_fixup_f64 v[195:196], v[193:194], v[189:190], v[191:192]
	v_fma_f64 v[189:190], v[191:192], v[195:196], v[189:190]
	v_div_scale_f64 v[191:192], null, v[189:190], v[189:190], 1.0
	v_rcp_f64_e32 v[193:194], v[191:192]
	v_fma_f64 v[197:198], -v[191:192], v[193:194], 1.0
	v_fma_f64 v[193:194], v[193:194], v[197:198], v[193:194]
	v_fma_f64 v[197:198], -v[191:192], v[193:194], 1.0
	v_fma_f64 v[193:194], v[193:194], v[197:198], v[193:194]
	v_div_scale_f64 v[197:198], vcc_lo, 1.0, v[189:190], 1.0
	v_mul_f64 v[199:200], v[197:198], v[193:194]
	v_fma_f64 v[191:192], -v[191:192], v[199:200], v[197:198]
	v_div_fmas_f64 v[191:192], v[191:192], v[193:194], v[199:200]
	v_div_fixup_f64 v[193:194], v[191:192], v[189:190], 1.0
	v_mul_f64 v[195:196], v[195:196], -v[193:194]
.LBB93_241:
	s_or_b32 exec_lo, exec_lo, s1
	ds_write2_b64 v255, v[193:194], v[195:196] offset1:1
.LBB93_242:
	s_or_b32 exec_lo, exec_lo, s2
	s_waitcnt lgkmcnt(0)
	s_barrier
	buffer_gl0_inv
	ds_read2_b64 v[189:192], v255 offset1:1
	s_mov_b32 s1, exec_lo
	s_waitcnt lgkmcnt(0)
	buffer_store_dword v189, off, s[16:19], 0 offset:784 ; 4-byte Folded Spill
	buffer_store_dword v190, off, s[16:19], 0 offset:788 ; 4-byte Folded Spill
	buffer_store_dword v191, off, s[16:19], 0 offset:792 ; 4-byte Folded Spill
	buffer_store_dword v192, off, s[16:19], 0 offset:796 ; 4-byte Folded Spill
	v_cmpx_lt_u32_e32 26, v0
	s_cbranch_execz .LBB93_244
; %bb.243:
	s_clause 0x3
	buffer_load_dword v191, off, s[16:19], 0 offset:784
	buffer_load_dword v192, off, s[16:19], 0 offset:788
	;; [unrolled: 1-line block ×4, first 2 shown]
	s_waitcnt vmcnt(0)
	v_mul_f64 v[189:190], v[193:194], v[83:84]
	v_mul_f64 v[83:84], v[191:192], v[83:84]
	v_fma_f64 v[189:190], v[191:192], v[81:82], -v[189:190]
	v_fma_f64 v[83:84], v[193:194], v[81:82], v[83:84]
	ds_read2_b64 v[191:194], v253 offset0:54 offset1:55
	s_waitcnt lgkmcnt(0)
	v_mul_f64 v[81:82], v[193:194], v[83:84]
	v_fma_f64 v[81:82], v[191:192], v[189:190], -v[81:82]
	v_mul_f64 v[191:192], v[191:192], v[83:84]
	v_add_f64 v[77:78], v[77:78], -v[81:82]
	v_fma_f64 v[191:192], v[193:194], v[189:190], v[191:192]
	v_add_f64 v[79:80], v[79:80], -v[191:192]
	ds_read2_b64 v[191:194], v253 offset0:56 offset1:57
	s_waitcnt lgkmcnt(0)
	v_mul_f64 v[81:82], v[193:194], v[83:84]
	v_fma_f64 v[81:82], v[191:192], v[189:190], -v[81:82]
	v_mul_f64 v[191:192], v[191:192], v[83:84]
	v_add_f64 v[73:74], v[73:74], -v[81:82]
	v_fma_f64 v[191:192], v[193:194], v[189:190], v[191:192]
	v_add_f64 v[75:76], v[75:76], -v[191:192]
	;; [unrolled: 8-line block ×19, first 2 shown]
	ds_read2_b64 v[191:194], v253 offset0:92 offset1:93
	s_waitcnt lgkmcnt(0)
	v_mul_f64 v[81:82], v[193:194], v[83:84]
	v_fma_f64 v[81:82], v[191:192], v[189:190], -v[81:82]
	v_mul_f64 v[191:192], v[191:192], v[83:84]
	v_add_f64 v[1:2], v[1:2], -v[81:82]
	v_fma_f64 v[191:192], v[193:194], v[189:190], v[191:192]
	v_mov_b32_e32 v81, v189
	v_mov_b32_e32 v82, v190
	v_add_f64 v[3:4], v[3:4], -v[191:192]
.LBB93_244:
	s_or_b32 exec_lo, exec_lo, s1
	s_mov_b32 s2, exec_lo
	s_waitcnt_vscnt null, 0x0
	s_barrier
	buffer_gl0_inv
	v_cmpx_eq_u32_e32 27, v0
	s_cbranch_execz .LBB93_251
; %bb.245:
	ds_write2_b64 v255, v[77:78], v[79:80] offset1:1
	ds_write2_b64 v253, v[73:74], v[75:76] offset0:56 offset1:57
	ds_write2_b64 v253, v[69:70], v[71:72] offset0:58 offset1:59
	;; [unrolled: 1-line block ×19, first 2 shown]
	ds_read2_b64 v[189:192], v255 offset1:1
	s_waitcnt lgkmcnt(0)
	v_cmp_neq_f64_e32 vcc_lo, 0, v[189:190]
	v_cmp_neq_f64_e64 s1, 0, v[191:192]
	s_or_b32 s1, vcc_lo, s1
	s_and_b32 exec_lo, exec_lo, s1
	s_cbranch_execz .LBB93_251
; %bb.246:
	v_cmp_ngt_f64_e64 s1, |v[189:190]|, |v[191:192]|
                                        ; implicit-def: $vgpr193_vgpr194
	s_and_saveexec_b32 s3, s1
	s_xor_b32 s1, exec_lo, s3
                                        ; implicit-def: $vgpr195_vgpr196
	s_cbranch_execz .LBB93_248
; %bb.247:
	v_div_scale_f64 v[193:194], null, v[191:192], v[191:192], v[189:190]
	v_div_scale_f64 v[199:200], vcc_lo, v[189:190], v[191:192], v[189:190]
	v_rcp_f64_e32 v[195:196], v[193:194]
	v_fma_f64 v[197:198], -v[193:194], v[195:196], 1.0
	v_fma_f64 v[195:196], v[195:196], v[197:198], v[195:196]
	v_fma_f64 v[197:198], -v[193:194], v[195:196], 1.0
	v_fma_f64 v[195:196], v[195:196], v[197:198], v[195:196]
	v_mul_f64 v[197:198], v[199:200], v[195:196]
	v_fma_f64 v[193:194], -v[193:194], v[197:198], v[199:200]
	v_div_fmas_f64 v[193:194], v[193:194], v[195:196], v[197:198]
	v_div_fixup_f64 v[193:194], v[193:194], v[191:192], v[189:190]
	v_fma_f64 v[189:190], v[189:190], v[193:194], v[191:192]
	v_div_scale_f64 v[191:192], null, v[189:190], v[189:190], 1.0
	v_rcp_f64_e32 v[195:196], v[191:192]
	v_fma_f64 v[197:198], -v[191:192], v[195:196], 1.0
	v_fma_f64 v[195:196], v[195:196], v[197:198], v[195:196]
	v_fma_f64 v[197:198], -v[191:192], v[195:196], 1.0
	v_fma_f64 v[195:196], v[195:196], v[197:198], v[195:196]
	v_div_scale_f64 v[197:198], vcc_lo, 1.0, v[189:190], 1.0
	v_mul_f64 v[199:200], v[197:198], v[195:196]
	v_fma_f64 v[191:192], -v[191:192], v[199:200], v[197:198]
	v_div_fmas_f64 v[191:192], v[191:192], v[195:196], v[199:200]
	v_div_fixup_f64 v[195:196], v[191:192], v[189:190], 1.0
                                        ; implicit-def: $vgpr189_vgpr190
	v_mul_f64 v[193:194], v[193:194], v[195:196]
	v_xor_b32_e32 v196, 0x80000000, v196
.LBB93_248:
	s_andn2_saveexec_b32 s1, s1
	s_cbranch_execz .LBB93_250
; %bb.249:
	v_div_scale_f64 v[193:194], null, v[189:190], v[189:190], v[191:192]
	v_div_scale_f64 v[199:200], vcc_lo, v[191:192], v[189:190], v[191:192]
	v_rcp_f64_e32 v[195:196], v[193:194]
	v_fma_f64 v[197:198], -v[193:194], v[195:196], 1.0
	v_fma_f64 v[195:196], v[195:196], v[197:198], v[195:196]
	v_fma_f64 v[197:198], -v[193:194], v[195:196], 1.0
	v_fma_f64 v[195:196], v[195:196], v[197:198], v[195:196]
	v_mul_f64 v[197:198], v[199:200], v[195:196]
	v_fma_f64 v[193:194], -v[193:194], v[197:198], v[199:200]
	v_div_fmas_f64 v[193:194], v[193:194], v[195:196], v[197:198]
	v_div_fixup_f64 v[195:196], v[193:194], v[189:190], v[191:192]
	v_fma_f64 v[189:190], v[191:192], v[195:196], v[189:190]
	v_div_scale_f64 v[191:192], null, v[189:190], v[189:190], 1.0
	v_rcp_f64_e32 v[193:194], v[191:192]
	v_fma_f64 v[197:198], -v[191:192], v[193:194], 1.0
	v_fma_f64 v[193:194], v[193:194], v[197:198], v[193:194]
	v_fma_f64 v[197:198], -v[191:192], v[193:194], 1.0
	v_fma_f64 v[193:194], v[193:194], v[197:198], v[193:194]
	v_div_scale_f64 v[197:198], vcc_lo, 1.0, v[189:190], 1.0
	v_mul_f64 v[199:200], v[197:198], v[193:194]
	v_fma_f64 v[191:192], -v[191:192], v[199:200], v[197:198]
	v_div_fmas_f64 v[191:192], v[191:192], v[193:194], v[199:200]
	v_div_fixup_f64 v[193:194], v[191:192], v[189:190], 1.0
	v_mul_f64 v[195:196], v[195:196], -v[193:194]
.LBB93_250:
	s_or_b32 exec_lo, exec_lo, s1
	ds_write2_b64 v255, v[193:194], v[195:196] offset1:1
.LBB93_251:
	s_or_b32 exec_lo, exec_lo, s2
	s_waitcnt lgkmcnt(0)
	s_barrier
	buffer_gl0_inv
	ds_read2_b64 v[189:192], v255 offset1:1
	s_mov_b32 s1, exec_lo
	s_waitcnt lgkmcnt(0)
	buffer_store_dword v189, off, s[16:19], 0 offset:800 ; 4-byte Folded Spill
	buffer_store_dword v190, off, s[16:19], 0 offset:804 ; 4-byte Folded Spill
	;; [unrolled: 1-line block ×4, first 2 shown]
	v_cmpx_lt_u32_e32 27, v0
	s_cbranch_execz .LBB93_253
; %bb.252:
	s_clause 0x3
	buffer_load_dword v191, off, s[16:19], 0 offset:800
	buffer_load_dword v192, off, s[16:19], 0 offset:804
	;; [unrolled: 1-line block ×4, first 2 shown]
	s_waitcnt vmcnt(0)
	v_mul_f64 v[189:190], v[193:194], v[79:80]
	v_mul_f64 v[79:80], v[191:192], v[79:80]
	v_fma_f64 v[189:190], v[191:192], v[77:78], -v[189:190]
	v_fma_f64 v[79:80], v[193:194], v[77:78], v[79:80]
	ds_read2_b64 v[191:194], v253 offset0:56 offset1:57
	s_waitcnt lgkmcnt(0)
	v_mul_f64 v[77:78], v[193:194], v[79:80]
	v_fma_f64 v[77:78], v[191:192], v[189:190], -v[77:78]
	v_mul_f64 v[191:192], v[191:192], v[79:80]
	v_add_f64 v[73:74], v[73:74], -v[77:78]
	v_fma_f64 v[191:192], v[193:194], v[189:190], v[191:192]
	v_add_f64 v[75:76], v[75:76], -v[191:192]
	ds_read2_b64 v[191:194], v253 offset0:58 offset1:59
	s_waitcnt lgkmcnt(0)
	v_mul_f64 v[77:78], v[193:194], v[79:80]
	v_fma_f64 v[77:78], v[191:192], v[189:190], -v[77:78]
	v_mul_f64 v[191:192], v[191:192], v[79:80]
	v_add_f64 v[69:70], v[69:70], -v[77:78]
	v_fma_f64 v[191:192], v[193:194], v[189:190], v[191:192]
	v_add_f64 v[71:72], v[71:72], -v[191:192]
	;; [unrolled: 8-line block ×18, first 2 shown]
	ds_read2_b64 v[191:194], v253 offset0:92 offset1:93
	s_waitcnt lgkmcnt(0)
	v_mul_f64 v[77:78], v[193:194], v[79:80]
	v_fma_f64 v[77:78], v[191:192], v[189:190], -v[77:78]
	v_mul_f64 v[191:192], v[191:192], v[79:80]
	v_add_f64 v[1:2], v[1:2], -v[77:78]
	v_fma_f64 v[191:192], v[193:194], v[189:190], v[191:192]
	v_mov_b32_e32 v77, v189
	v_mov_b32_e32 v78, v190
	v_add_f64 v[3:4], v[3:4], -v[191:192]
.LBB93_253:
	s_or_b32 exec_lo, exec_lo, s1
	s_mov_b32 s2, exec_lo
	s_waitcnt_vscnt null, 0x0
	s_barrier
	buffer_gl0_inv
	v_cmpx_eq_u32_e32 28, v0
	s_cbranch_execz .LBB93_260
; %bb.254:
	ds_write2_b64 v255, v[73:74], v[75:76] offset1:1
	ds_write2_b64 v253, v[69:70], v[71:72] offset0:58 offset1:59
	ds_write2_b64 v253, v[65:66], v[67:68] offset0:60 offset1:61
	;; [unrolled: 1-line block ×18, first 2 shown]
	ds_read2_b64 v[189:192], v255 offset1:1
	s_waitcnt lgkmcnt(0)
	v_cmp_neq_f64_e32 vcc_lo, 0, v[189:190]
	v_cmp_neq_f64_e64 s1, 0, v[191:192]
	s_or_b32 s1, vcc_lo, s1
	s_and_b32 exec_lo, exec_lo, s1
	s_cbranch_execz .LBB93_260
; %bb.255:
	v_cmp_ngt_f64_e64 s1, |v[189:190]|, |v[191:192]|
                                        ; implicit-def: $vgpr193_vgpr194
	s_and_saveexec_b32 s3, s1
	s_xor_b32 s1, exec_lo, s3
                                        ; implicit-def: $vgpr195_vgpr196
	s_cbranch_execz .LBB93_257
; %bb.256:
	v_div_scale_f64 v[193:194], null, v[191:192], v[191:192], v[189:190]
	v_div_scale_f64 v[199:200], vcc_lo, v[189:190], v[191:192], v[189:190]
	v_rcp_f64_e32 v[195:196], v[193:194]
	v_fma_f64 v[197:198], -v[193:194], v[195:196], 1.0
	v_fma_f64 v[195:196], v[195:196], v[197:198], v[195:196]
	v_fma_f64 v[197:198], -v[193:194], v[195:196], 1.0
	v_fma_f64 v[195:196], v[195:196], v[197:198], v[195:196]
	v_mul_f64 v[197:198], v[199:200], v[195:196]
	v_fma_f64 v[193:194], -v[193:194], v[197:198], v[199:200]
	v_div_fmas_f64 v[193:194], v[193:194], v[195:196], v[197:198]
	v_div_fixup_f64 v[193:194], v[193:194], v[191:192], v[189:190]
	v_fma_f64 v[189:190], v[189:190], v[193:194], v[191:192]
	v_div_scale_f64 v[191:192], null, v[189:190], v[189:190], 1.0
	v_rcp_f64_e32 v[195:196], v[191:192]
	v_fma_f64 v[197:198], -v[191:192], v[195:196], 1.0
	v_fma_f64 v[195:196], v[195:196], v[197:198], v[195:196]
	v_fma_f64 v[197:198], -v[191:192], v[195:196], 1.0
	v_fma_f64 v[195:196], v[195:196], v[197:198], v[195:196]
	v_div_scale_f64 v[197:198], vcc_lo, 1.0, v[189:190], 1.0
	v_mul_f64 v[199:200], v[197:198], v[195:196]
	v_fma_f64 v[191:192], -v[191:192], v[199:200], v[197:198]
	v_div_fmas_f64 v[191:192], v[191:192], v[195:196], v[199:200]
	v_div_fixup_f64 v[195:196], v[191:192], v[189:190], 1.0
                                        ; implicit-def: $vgpr189_vgpr190
	v_mul_f64 v[193:194], v[193:194], v[195:196]
	v_xor_b32_e32 v196, 0x80000000, v196
.LBB93_257:
	s_andn2_saveexec_b32 s1, s1
	s_cbranch_execz .LBB93_259
; %bb.258:
	v_div_scale_f64 v[193:194], null, v[189:190], v[189:190], v[191:192]
	v_div_scale_f64 v[199:200], vcc_lo, v[191:192], v[189:190], v[191:192]
	v_rcp_f64_e32 v[195:196], v[193:194]
	v_fma_f64 v[197:198], -v[193:194], v[195:196], 1.0
	v_fma_f64 v[195:196], v[195:196], v[197:198], v[195:196]
	v_fma_f64 v[197:198], -v[193:194], v[195:196], 1.0
	v_fma_f64 v[195:196], v[195:196], v[197:198], v[195:196]
	v_mul_f64 v[197:198], v[199:200], v[195:196]
	v_fma_f64 v[193:194], -v[193:194], v[197:198], v[199:200]
	v_div_fmas_f64 v[193:194], v[193:194], v[195:196], v[197:198]
	v_div_fixup_f64 v[195:196], v[193:194], v[189:190], v[191:192]
	v_fma_f64 v[189:190], v[191:192], v[195:196], v[189:190]
	v_div_scale_f64 v[191:192], null, v[189:190], v[189:190], 1.0
	v_rcp_f64_e32 v[193:194], v[191:192]
	v_fma_f64 v[197:198], -v[191:192], v[193:194], 1.0
	v_fma_f64 v[193:194], v[193:194], v[197:198], v[193:194]
	v_fma_f64 v[197:198], -v[191:192], v[193:194], 1.0
	v_fma_f64 v[193:194], v[193:194], v[197:198], v[193:194]
	v_div_scale_f64 v[197:198], vcc_lo, 1.0, v[189:190], 1.0
	v_mul_f64 v[199:200], v[197:198], v[193:194]
	v_fma_f64 v[191:192], -v[191:192], v[199:200], v[197:198]
	v_div_fmas_f64 v[191:192], v[191:192], v[193:194], v[199:200]
	v_div_fixup_f64 v[193:194], v[191:192], v[189:190], 1.0
	v_mul_f64 v[195:196], v[195:196], -v[193:194]
.LBB93_259:
	s_or_b32 exec_lo, exec_lo, s1
	ds_write2_b64 v255, v[193:194], v[195:196] offset1:1
.LBB93_260:
	s_or_b32 exec_lo, exec_lo, s2
	s_waitcnt lgkmcnt(0)
	s_barrier
	buffer_gl0_inv
	ds_read2_b64 v[189:192], v255 offset1:1
	s_mov_b32 s1, exec_lo
	s_waitcnt lgkmcnt(0)
	buffer_store_dword v189, off, s[16:19], 0 offset:816 ; 4-byte Folded Spill
	buffer_store_dword v190, off, s[16:19], 0 offset:820 ; 4-byte Folded Spill
	;; [unrolled: 1-line block ×4, first 2 shown]
	v_cmpx_lt_u32_e32 28, v0
	s_cbranch_execz .LBB93_262
; %bb.261:
	s_clause 0x3
	buffer_load_dword v191, off, s[16:19], 0 offset:816
	buffer_load_dword v192, off, s[16:19], 0 offset:820
	;; [unrolled: 1-line block ×4, first 2 shown]
	s_waitcnt vmcnt(0)
	v_mul_f64 v[189:190], v[193:194], v[75:76]
	v_mul_f64 v[75:76], v[191:192], v[75:76]
	v_fma_f64 v[189:190], v[191:192], v[73:74], -v[189:190]
	v_fma_f64 v[75:76], v[193:194], v[73:74], v[75:76]
	ds_read2_b64 v[191:194], v253 offset0:58 offset1:59
	s_waitcnt lgkmcnt(0)
	v_mul_f64 v[73:74], v[193:194], v[75:76]
	v_fma_f64 v[73:74], v[191:192], v[189:190], -v[73:74]
	v_mul_f64 v[191:192], v[191:192], v[75:76]
	v_add_f64 v[69:70], v[69:70], -v[73:74]
	v_fma_f64 v[191:192], v[193:194], v[189:190], v[191:192]
	v_add_f64 v[71:72], v[71:72], -v[191:192]
	ds_read2_b64 v[191:194], v253 offset0:60 offset1:61
	s_waitcnt lgkmcnt(0)
	v_mul_f64 v[73:74], v[193:194], v[75:76]
	v_fma_f64 v[73:74], v[191:192], v[189:190], -v[73:74]
	v_mul_f64 v[191:192], v[191:192], v[75:76]
	v_add_f64 v[65:66], v[65:66], -v[73:74]
	v_fma_f64 v[191:192], v[193:194], v[189:190], v[191:192]
	v_add_f64 v[67:68], v[67:68], -v[191:192]
	;; [unrolled: 8-line block ×17, first 2 shown]
	ds_read2_b64 v[191:194], v253 offset0:92 offset1:93
	s_waitcnt lgkmcnt(0)
	v_mul_f64 v[73:74], v[193:194], v[75:76]
	v_fma_f64 v[73:74], v[191:192], v[189:190], -v[73:74]
	v_mul_f64 v[191:192], v[191:192], v[75:76]
	v_add_f64 v[1:2], v[1:2], -v[73:74]
	v_fma_f64 v[191:192], v[193:194], v[189:190], v[191:192]
	v_mov_b32_e32 v73, v189
	v_mov_b32_e32 v74, v190
	v_add_f64 v[3:4], v[3:4], -v[191:192]
.LBB93_262:
	s_or_b32 exec_lo, exec_lo, s1
	s_mov_b32 s2, exec_lo
	s_waitcnt_vscnt null, 0x0
	s_barrier
	buffer_gl0_inv
	v_cmpx_eq_u32_e32 29, v0
	s_cbranch_execz .LBB93_269
; %bb.263:
	ds_write2_b64 v255, v[69:70], v[71:72] offset1:1
	ds_write2_b64 v253, v[65:66], v[67:68] offset0:60 offset1:61
	ds_write2_b64 v253, v[61:62], v[63:64] offset0:62 offset1:63
	;; [unrolled: 1-line block ×17, first 2 shown]
	ds_read2_b64 v[189:192], v255 offset1:1
	s_waitcnt lgkmcnt(0)
	v_cmp_neq_f64_e32 vcc_lo, 0, v[189:190]
	v_cmp_neq_f64_e64 s1, 0, v[191:192]
	s_or_b32 s1, vcc_lo, s1
	s_and_b32 exec_lo, exec_lo, s1
	s_cbranch_execz .LBB93_269
; %bb.264:
	v_cmp_ngt_f64_e64 s1, |v[189:190]|, |v[191:192]|
                                        ; implicit-def: $vgpr193_vgpr194
	s_and_saveexec_b32 s3, s1
	s_xor_b32 s1, exec_lo, s3
                                        ; implicit-def: $vgpr195_vgpr196
	s_cbranch_execz .LBB93_266
; %bb.265:
	v_div_scale_f64 v[193:194], null, v[191:192], v[191:192], v[189:190]
	v_div_scale_f64 v[199:200], vcc_lo, v[189:190], v[191:192], v[189:190]
	v_rcp_f64_e32 v[195:196], v[193:194]
	v_fma_f64 v[197:198], -v[193:194], v[195:196], 1.0
	v_fma_f64 v[195:196], v[195:196], v[197:198], v[195:196]
	v_fma_f64 v[197:198], -v[193:194], v[195:196], 1.0
	v_fma_f64 v[195:196], v[195:196], v[197:198], v[195:196]
	v_mul_f64 v[197:198], v[199:200], v[195:196]
	v_fma_f64 v[193:194], -v[193:194], v[197:198], v[199:200]
	v_div_fmas_f64 v[193:194], v[193:194], v[195:196], v[197:198]
	v_div_fixup_f64 v[193:194], v[193:194], v[191:192], v[189:190]
	v_fma_f64 v[189:190], v[189:190], v[193:194], v[191:192]
	v_div_scale_f64 v[191:192], null, v[189:190], v[189:190], 1.0
	v_rcp_f64_e32 v[195:196], v[191:192]
	v_fma_f64 v[197:198], -v[191:192], v[195:196], 1.0
	v_fma_f64 v[195:196], v[195:196], v[197:198], v[195:196]
	v_fma_f64 v[197:198], -v[191:192], v[195:196], 1.0
	v_fma_f64 v[195:196], v[195:196], v[197:198], v[195:196]
	v_div_scale_f64 v[197:198], vcc_lo, 1.0, v[189:190], 1.0
	v_mul_f64 v[199:200], v[197:198], v[195:196]
	v_fma_f64 v[191:192], -v[191:192], v[199:200], v[197:198]
	v_div_fmas_f64 v[191:192], v[191:192], v[195:196], v[199:200]
	v_div_fixup_f64 v[195:196], v[191:192], v[189:190], 1.0
                                        ; implicit-def: $vgpr189_vgpr190
	v_mul_f64 v[193:194], v[193:194], v[195:196]
	v_xor_b32_e32 v196, 0x80000000, v196
.LBB93_266:
	s_andn2_saveexec_b32 s1, s1
	s_cbranch_execz .LBB93_268
; %bb.267:
	v_div_scale_f64 v[193:194], null, v[189:190], v[189:190], v[191:192]
	v_div_scale_f64 v[199:200], vcc_lo, v[191:192], v[189:190], v[191:192]
	v_rcp_f64_e32 v[195:196], v[193:194]
	v_fma_f64 v[197:198], -v[193:194], v[195:196], 1.0
	v_fma_f64 v[195:196], v[195:196], v[197:198], v[195:196]
	v_fma_f64 v[197:198], -v[193:194], v[195:196], 1.0
	v_fma_f64 v[195:196], v[195:196], v[197:198], v[195:196]
	v_mul_f64 v[197:198], v[199:200], v[195:196]
	v_fma_f64 v[193:194], -v[193:194], v[197:198], v[199:200]
	v_div_fmas_f64 v[193:194], v[193:194], v[195:196], v[197:198]
	v_div_fixup_f64 v[195:196], v[193:194], v[189:190], v[191:192]
	v_fma_f64 v[189:190], v[191:192], v[195:196], v[189:190]
	v_div_scale_f64 v[191:192], null, v[189:190], v[189:190], 1.0
	v_rcp_f64_e32 v[193:194], v[191:192]
	v_fma_f64 v[197:198], -v[191:192], v[193:194], 1.0
	v_fma_f64 v[193:194], v[193:194], v[197:198], v[193:194]
	v_fma_f64 v[197:198], -v[191:192], v[193:194], 1.0
	v_fma_f64 v[193:194], v[193:194], v[197:198], v[193:194]
	v_div_scale_f64 v[197:198], vcc_lo, 1.0, v[189:190], 1.0
	v_mul_f64 v[199:200], v[197:198], v[193:194]
	v_fma_f64 v[191:192], -v[191:192], v[199:200], v[197:198]
	v_div_fmas_f64 v[191:192], v[191:192], v[193:194], v[199:200]
	v_div_fixup_f64 v[193:194], v[191:192], v[189:190], 1.0
	v_mul_f64 v[195:196], v[195:196], -v[193:194]
.LBB93_268:
	s_or_b32 exec_lo, exec_lo, s1
	ds_write2_b64 v255, v[193:194], v[195:196] offset1:1
.LBB93_269:
	s_or_b32 exec_lo, exec_lo, s2
	s_waitcnt lgkmcnt(0)
	s_barrier
	buffer_gl0_inv
	ds_read2_b64 v[189:192], v255 offset1:1
	s_mov_b32 s1, exec_lo
	s_waitcnt lgkmcnt(0)
	buffer_store_dword v189, off, s[16:19], 0 offset:832 ; 4-byte Folded Spill
	buffer_store_dword v190, off, s[16:19], 0 offset:836 ; 4-byte Folded Spill
	;; [unrolled: 1-line block ×4, first 2 shown]
	v_cmpx_lt_u32_e32 29, v0
	s_cbranch_execz .LBB93_271
; %bb.270:
	s_clause 0x3
	buffer_load_dword v191, off, s[16:19], 0 offset:832
	buffer_load_dword v192, off, s[16:19], 0 offset:836
	;; [unrolled: 1-line block ×4, first 2 shown]
	s_waitcnt vmcnt(0)
	v_mul_f64 v[189:190], v[193:194], v[71:72]
	v_mul_f64 v[71:72], v[191:192], v[71:72]
	v_fma_f64 v[189:190], v[191:192], v[69:70], -v[189:190]
	v_fma_f64 v[71:72], v[193:194], v[69:70], v[71:72]
	ds_read2_b64 v[191:194], v253 offset0:60 offset1:61
	s_waitcnt lgkmcnt(0)
	v_mul_f64 v[69:70], v[193:194], v[71:72]
	v_fma_f64 v[69:70], v[191:192], v[189:190], -v[69:70]
	v_mul_f64 v[191:192], v[191:192], v[71:72]
	v_add_f64 v[65:66], v[65:66], -v[69:70]
	v_fma_f64 v[191:192], v[193:194], v[189:190], v[191:192]
	v_add_f64 v[67:68], v[67:68], -v[191:192]
	ds_read2_b64 v[191:194], v253 offset0:62 offset1:63
	s_waitcnt lgkmcnt(0)
	v_mul_f64 v[69:70], v[193:194], v[71:72]
	v_fma_f64 v[69:70], v[191:192], v[189:190], -v[69:70]
	v_mul_f64 v[191:192], v[191:192], v[71:72]
	v_add_f64 v[61:62], v[61:62], -v[69:70]
	v_fma_f64 v[191:192], v[193:194], v[189:190], v[191:192]
	v_add_f64 v[63:64], v[63:64], -v[191:192]
	;; [unrolled: 8-line block ×16, first 2 shown]
	ds_read2_b64 v[191:194], v253 offset0:92 offset1:93
	s_waitcnt lgkmcnt(0)
	v_mul_f64 v[69:70], v[193:194], v[71:72]
	v_fma_f64 v[69:70], v[191:192], v[189:190], -v[69:70]
	v_mul_f64 v[191:192], v[191:192], v[71:72]
	v_add_f64 v[1:2], v[1:2], -v[69:70]
	v_fma_f64 v[191:192], v[193:194], v[189:190], v[191:192]
	v_mov_b32_e32 v69, v189
	v_mov_b32_e32 v70, v190
	v_add_f64 v[3:4], v[3:4], -v[191:192]
.LBB93_271:
	s_or_b32 exec_lo, exec_lo, s1
	s_mov_b32 s2, exec_lo
	s_waitcnt_vscnt null, 0x0
	s_barrier
	buffer_gl0_inv
	v_cmpx_eq_u32_e32 30, v0
	s_cbranch_execz .LBB93_278
; %bb.272:
	ds_write2_b64 v255, v[65:66], v[67:68] offset1:1
	ds_write2_b64 v253, v[61:62], v[63:64] offset0:62 offset1:63
	ds_write2_b64 v253, v[57:58], v[59:60] offset0:64 offset1:65
	ds_write2_b64 v253, v[53:54], v[55:56] offset0:66 offset1:67
	ds_write2_b64 v253, v[49:50], v[51:52] offset0:68 offset1:69
	ds_write2_b64 v253, v[45:46], v[47:48] offset0:70 offset1:71
	ds_write2_b64 v253, v[41:42], v[43:44] offset0:72 offset1:73
	ds_write2_b64 v253, v[37:38], v[39:40] offset0:74 offset1:75
	ds_write2_b64 v253, v[33:34], v[35:36] offset0:76 offset1:77
	ds_write2_b64 v253, v[29:30], v[31:32] offset0:78 offset1:79
	ds_write2_b64 v253, v[25:26], v[27:28] offset0:80 offset1:81
	ds_write2_b64 v253, v[21:22], v[23:24] offset0:82 offset1:83
	ds_write2_b64 v253, v[17:18], v[19:20] offset0:84 offset1:85
	ds_write2_b64 v253, v[13:14], v[15:16] offset0:86 offset1:87
	ds_write2_b64 v253, v[9:10], v[11:12] offset0:88 offset1:89
	ds_write2_b64 v253, v[5:6], v[7:8] offset0:90 offset1:91
	ds_write2_b64 v253, v[1:2], v[3:4] offset0:92 offset1:93
	ds_read2_b64 v[189:192], v255 offset1:1
	s_waitcnt lgkmcnt(0)
	v_cmp_neq_f64_e32 vcc_lo, 0, v[189:190]
	v_cmp_neq_f64_e64 s1, 0, v[191:192]
	s_or_b32 s1, vcc_lo, s1
	s_and_b32 exec_lo, exec_lo, s1
	s_cbranch_execz .LBB93_278
; %bb.273:
	v_cmp_ngt_f64_e64 s1, |v[189:190]|, |v[191:192]|
                                        ; implicit-def: $vgpr193_vgpr194
	s_and_saveexec_b32 s3, s1
	s_xor_b32 s1, exec_lo, s3
                                        ; implicit-def: $vgpr195_vgpr196
	s_cbranch_execz .LBB93_275
; %bb.274:
	v_div_scale_f64 v[193:194], null, v[191:192], v[191:192], v[189:190]
	v_div_scale_f64 v[199:200], vcc_lo, v[189:190], v[191:192], v[189:190]
	v_rcp_f64_e32 v[195:196], v[193:194]
	v_fma_f64 v[197:198], -v[193:194], v[195:196], 1.0
	v_fma_f64 v[195:196], v[195:196], v[197:198], v[195:196]
	v_fma_f64 v[197:198], -v[193:194], v[195:196], 1.0
	v_fma_f64 v[195:196], v[195:196], v[197:198], v[195:196]
	v_mul_f64 v[197:198], v[199:200], v[195:196]
	v_fma_f64 v[193:194], -v[193:194], v[197:198], v[199:200]
	v_div_fmas_f64 v[193:194], v[193:194], v[195:196], v[197:198]
	v_div_fixup_f64 v[193:194], v[193:194], v[191:192], v[189:190]
	v_fma_f64 v[189:190], v[189:190], v[193:194], v[191:192]
	v_div_scale_f64 v[191:192], null, v[189:190], v[189:190], 1.0
	v_rcp_f64_e32 v[195:196], v[191:192]
	v_fma_f64 v[197:198], -v[191:192], v[195:196], 1.0
	v_fma_f64 v[195:196], v[195:196], v[197:198], v[195:196]
	v_fma_f64 v[197:198], -v[191:192], v[195:196], 1.0
	v_fma_f64 v[195:196], v[195:196], v[197:198], v[195:196]
	v_div_scale_f64 v[197:198], vcc_lo, 1.0, v[189:190], 1.0
	v_mul_f64 v[199:200], v[197:198], v[195:196]
	v_fma_f64 v[191:192], -v[191:192], v[199:200], v[197:198]
	v_div_fmas_f64 v[191:192], v[191:192], v[195:196], v[199:200]
	v_div_fixup_f64 v[195:196], v[191:192], v[189:190], 1.0
                                        ; implicit-def: $vgpr189_vgpr190
	v_mul_f64 v[193:194], v[193:194], v[195:196]
	v_xor_b32_e32 v196, 0x80000000, v196
.LBB93_275:
	s_andn2_saveexec_b32 s1, s1
	s_cbranch_execz .LBB93_277
; %bb.276:
	v_div_scale_f64 v[193:194], null, v[189:190], v[189:190], v[191:192]
	v_div_scale_f64 v[199:200], vcc_lo, v[191:192], v[189:190], v[191:192]
	v_rcp_f64_e32 v[195:196], v[193:194]
	v_fma_f64 v[197:198], -v[193:194], v[195:196], 1.0
	v_fma_f64 v[195:196], v[195:196], v[197:198], v[195:196]
	v_fma_f64 v[197:198], -v[193:194], v[195:196], 1.0
	v_fma_f64 v[195:196], v[195:196], v[197:198], v[195:196]
	v_mul_f64 v[197:198], v[199:200], v[195:196]
	v_fma_f64 v[193:194], -v[193:194], v[197:198], v[199:200]
	v_div_fmas_f64 v[193:194], v[193:194], v[195:196], v[197:198]
	v_div_fixup_f64 v[195:196], v[193:194], v[189:190], v[191:192]
	v_fma_f64 v[189:190], v[191:192], v[195:196], v[189:190]
	v_div_scale_f64 v[191:192], null, v[189:190], v[189:190], 1.0
	v_rcp_f64_e32 v[193:194], v[191:192]
	v_fma_f64 v[197:198], -v[191:192], v[193:194], 1.0
	v_fma_f64 v[193:194], v[193:194], v[197:198], v[193:194]
	v_fma_f64 v[197:198], -v[191:192], v[193:194], 1.0
	v_fma_f64 v[193:194], v[193:194], v[197:198], v[193:194]
	v_div_scale_f64 v[197:198], vcc_lo, 1.0, v[189:190], 1.0
	v_mul_f64 v[199:200], v[197:198], v[193:194]
	v_fma_f64 v[191:192], -v[191:192], v[199:200], v[197:198]
	v_div_fmas_f64 v[191:192], v[191:192], v[193:194], v[199:200]
	v_div_fixup_f64 v[193:194], v[191:192], v[189:190], 1.0
	v_mul_f64 v[195:196], v[195:196], -v[193:194]
.LBB93_277:
	s_or_b32 exec_lo, exec_lo, s1
	ds_write2_b64 v255, v[193:194], v[195:196] offset1:1
.LBB93_278:
	s_or_b32 exec_lo, exec_lo, s2
	s_waitcnt lgkmcnt(0)
	s_barrier
	buffer_gl0_inv
	ds_read2_b64 v[189:192], v255 offset1:1
	s_mov_b32 s1, exec_lo
	s_waitcnt lgkmcnt(0)
	buffer_store_dword v189, off, s[16:19], 0 offset:848 ; 4-byte Folded Spill
	buffer_store_dword v190, off, s[16:19], 0 offset:852 ; 4-byte Folded Spill
	;; [unrolled: 1-line block ×4, first 2 shown]
	v_cmpx_lt_u32_e32 30, v0
	s_cbranch_execz .LBB93_280
; %bb.279:
	s_clause 0x3
	buffer_load_dword v191, off, s[16:19], 0 offset:848
	buffer_load_dword v192, off, s[16:19], 0 offset:852
	;; [unrolled: 1-line block ×4, first 2 shown]
	s_waitcnt vmcnt(2)
	v_mul_f64 v[189:190], v[191:192], v[67:68]
	s_waitcnt vmcnt(0)
	v_mul_f64 v[67:68], v[193:194], v[67:68]
	v_fma_f64 v[189:190], v[193:194], v[65:66], v[189:190]
	v_fma_f64 v[65:66], v[191:192], v[65:66], -v[67:68]
	ds_read2_b64 v[191:194], v253 offset0:62 offset1:63
	s_waitcnt lgkmcnt(0)
	v_mul_f64 v[67:68], v[193:194], v[189:190]
	v_fma_f64 v[67:68], v[191:192], v[65:66], -v[67:68]
	v_mul_f64 v[191:192], v[191:192], v[189:190]
	v_add_f64 v[61:62], v[61:62], -v[67:68]
	v_fma_f64 v[191:192], v[193:194], v[65:66], v[191:192]
	v_add_f64 v[63:64], v[63:64], -v[191:192]
	ds_read2_b64 v[191:194], v253 offset0:64 offset1:65
	s_waitcnt lgkmcnt(0)
	v_mul_f64 v[67:68], v[193:194], v[189:190]
	v_fma_f64 v[67:68], v[191:192], v[65:66], -v[67:68]
	v_mul_f64 v[191:192], v[191:192], v[189:190]
	v_add_f64 v[57:58], v[57:58], -v[67:68]
	v_fma_f64 v[191:192], v[193:194], v[65:66], v[191:192]
	v_add_f64 v[59:60], v[59:60], -v[191:192]
	;; [unrolled: 8-line block ×15, first 2 shown]
	ds_read2_b64 v[191:194], v253 offset0:92 offset1:93
	s_waitcnt lgkmcnt(0)
	v_mul_f64 v[67:68], v[193:194], v[189:190]
	v_fma_f64 v[67:68], v[191:192], v[65:66], -v[67:68]
	v_mul_f64 v[191:192], v[191:192], v[189:190]
	v_add_f64 v[1:2], v[1:2], -v[67:68]
	v_fma_f64 v[191:192], v[193:194], v[65:66], v[191:192]
	v_mov_b32_e32 v67, v189
	v_mov_b32_e32 v68, v190
	v_add_f64 v[3:4], v[3:4], -v[191:192]
.LBB93_280:
	s_or_b32 exec_lo, exec_lo, s1
	s_mov_b32 s2, exec_lo
	s_waitcnt_vscnt null, 0x0
	s_barrier
	buffer_gl0_inv
	v_cmpx_eq_u32_e32 31, v0
	s_cbranch_execz .LBB93_287
; %bb.281:
	ds_write2_b64 v255, v[61:62], v[63:64] offset1:1
	ds_write2_b64 v253, v[57:58], v[59:60] offset0:64 offset1:65
	ds_write2_b64 v253, v[53:54], v[55:56] offset0:66 offset1:67
	;; [unrolled: 1-line block ×15, first 2 shown]
	ds_read2_b64 v[189:192], v255 offset1:1
	s_waitcnt lgkmcnt(0)
	v_cmp_neq_f64_e32 vcc_lo, 0, v[189:190]
	v_cmp_neq_f64_e64 s1, 0, v[191:192]
	s_or_b32 s1, vcc_lo, s1
	s_and_b32 exec_lo, exec_lo, s1
	s_cbranch_execz .LBB93_287
; %bb.282:
	v_cmp_ngt_f64_e64 s1, |v[189:190]|, |v[191:192]|
                                        ; implicit-def: $vgpr193_vgpr194
	s_and_saveexec_b32 s3, s1
	s_xor_b32 s1, exec_lo, s3
                                        ; implicit-def: $vgpr195_vgpr196
	s_cbranch_execz .LBB93_284
; %bb.283:
	v_div_scale_f64 v[193:194], null, v[191:192], v[191:192], v[189:190]
	v_div_scale_f64 v[199:200], vcc_lo, v[189:190], v[191:192], v[189:190]
	v_rcp_f64_e32 v[195:196], v[193:194]
	v_fma_f64 v[197:198], -v[193:194], v[195:196], 1.0
	v_fma_f64 v[195:196], v[195:196], v[197:198], v[195:196]
	v_fma_f64 v[197:198], -v[193:194], v[195:196], 1.0
	v_fma_f64 v[195:196], v[195:196], v[197:198], v[195:196]
	v_mul_f64 v[197:198], v[199:200], v[195:196]
	v_fma_f64 v[193:194], -v[193:194], v[197:198], v[199:200]
	v_div_fmas_f64 v[193:194], v[193:194], v[195:196], v[197:198]
	v_div_fixup_f64 v[193:194], v[193:194], v[191:192], v[189:190]
	v_fma_f64 v[189:190], v[189:190], v[193:194], v[191:192]
	v_div_scale_f64 v[191:192], null, v[189:190], v[189:190], 1.0
	v_rcp_f64_e32 v[195:196], v[191:192]
	v_fma_f64 v[197:198], -v[191:192], v[195:196], 1.0
	v_fma_f64 v[195:196], v[195:196], v[197:198], v[195:196]
	v_fma_f64 v[197:198], -v[191:192], v[195:196], 1.0
	v_fma_f64 v[195:196], v[195:196], v[197:198], v[195:196]
	v_div_scale_f64 v[197:198], vcc_lo, 1.0, v[189:190], 1.0
	v_mul_f64 v[199:200], v[197:198], v[195:196]
	v_fma_f64 v[191:192], -v[191:192], v[199:200], v[197:198]
	v_div_fmas_f64 v[191:192], v[191:192], v[195:196], v[199:200]
	v_div_fixup_f64 v[195:196], v[191:192], v[189:190], 1.0
                                        ; implicit-def: $vgpr189_vgpr190
	v_mul_f64 v[193:194], v[193:194], v[195:196]
	v_xor_b32_e32 v196, 0x80000000, v196
.LBB93_284:
	s_andn2_saveexec_b32 s1, s1
	s_cbranch_execz .LBB93_286
; %bb.285:
	v_div_scale_f64 v[193:194], null, v[189:190], v[189:190], v[191:192]
	v_div_scale_f64 v[199:200], vcc_lo, v[191:192], v[189:190], v[191:192]
	v_rcp_f64_e32 v[195:196], v[193:194]
	v_fma_f64 v[197:198], -v[193:194], v[195:196], 1.0
	v_fma_f64 v[195:196], v[195:196], v[197:198], v[195:196]
	v_fma_f64 v[197:198], -v[193:194], v[195:196], 1.0
	v_fma_f64 v[195:196], v[195:196], v[197:198], v[195:196]
	v_mul_f64 v[197:198], v[199:200], v[195:196]
	v_fma_f64 v[193:194], -v[193:194], v[197:198], v[199:200]
	v_div_fmas_f64 v[193:194], v[193:194], v[195:196], v[197:198]
	v_div_fixup_f64 v[195:196], v[193:194], v[189:190], v[191:192]
	v_fma_f64 v[189:190], v[191:192], v[195:196], v[189:190]
	v_div_scale_f64 v[191:192], null, v[189:190], v[189:190], 1.0
	v_rcp_f64_e32 v[193:194], v[191:192]
	v_fma_f64 v[197:198], -v[191:192], v[193:194], 1.0
	v_fma_f64 v[193:194], v[193:194], v[197:198], v[193:194]
	v_fma_f64 v[197:198], -v[191:192], v[193:194], 1.0
	v_fma_f64 v[193:194], v[193:194], v[197:198], v[193:194]
	v_div_scale_f64 v[197:198], vcc_lo, 1.0, v[189:190], 1.0
	v_mul_f64 v[199:200], v[197:198], v[193:194]
	v_fma_f64 v[191:192], -v[191:192], v[199:200], v[197:198]
	v_div_fmas_f64 v[191:192], v[191:192], v[193:194], v[199:200]
	v_div_fixup_f64 v[193:194], v[191:192], v[189:190], 1.0
	v_mul_f64 v[195:196], v[195:196], -v[193:194]
.LBB93_286:
	s_or_b32 exec_lo, exec_lo, s1
	ds_write2_b64 v255, v[193:194], v[195:196] offset1:1
.LBB93_287:
	s_or_b32 exec_lo, exec_lo, s2
	s_waitcnt lgkmcnt(0)
	s_barrier
	buffer_gl0_inv
	ds_read2_b64 v[189:192], v255 offset1:1
	s_mov_b32 s1, exec_lo
	s_waitcnt lgkmcnt(0)
	buffer_store_dword v189, off, s[16:19], 0 offset:864 ; 4-byte Folded Spill
	buffer_store_dword v190, off, s[16:19], 0 offset:868 ; 4-byte Folded Spill
	;; [unrolled: 1-line block ×4, first 2 shown]
	v_cmpx_lt_u32_e32 31, v0
	s_cbranch_execz .LBB93_289
; %bb.288:
	s_clause 0x3
	buffer_load_dword v191, off, s[16:19], 0 offset:864
	buffer_load_dword v192, off, s[16:19], 0 offset:868
	;; [unrolled: 1-line block ×4, first 2 shown]
	s_waitcnt vmcnt(2)
	v_mul_f64 v[189:190], v[191:192], v[63:64]
	s_waitcnt vmcnt(0)
	v_mul_f64 v[63:64], v[193:194], v[63:64]
	v_fma_f64 v[189:190], v[193:194], v[61:62], v[189:190]
	v_fma_f64 v[61:62], v[191:192], v[61:62], -v[63:64]
	ds_read2_b64 v[191:194], v253 offset0:64 offset1:65
	s_waitcnt lgkmcnt(0)
	v_mul_f64 v[63:64], v[193:194], v[189:190]
	v_fma_f64 v[63:64], v[191:192], v[61:62], -v[63:64]
	v_mul_f64 v[191:192], v[191:192], v[189:190]
	v_add_f64 v[57:58], v[57:58], -v[63:64]
	v_fma_f64 v[191:192], v[193:194], v[61:62], v[191:192]
	v_add_f64 v[59:60], v[59:60], -v[191:192]
	ds_read2_b64 v[191:194], v253 offset0:66 offset1:67
	s_waitcnt lgkmcnt(0)
	v_mul_f64 v[63:64], v[193:194], v[189:190]
	v_fma_f64 v[63:64], v[191:192], v[61:62], -v[63:64]
	v_mul_f64 v[191:192], v[191:192], v[189:190]
	v_add_f64 v[53:54], v[53:54], -v[63:64]
	v_fma_f64 v[191:192], v[193:194], v[61:62], v[191:192]
	v_add_f64 v[55:56], v[55:56], -v[191:192]
	;; [unrolled: 8-line block ×14, first 2 shown]
	ds_read2_b64 v[191:194], v253 offset0:92 offset1:93
	s_waitcnt lgkmcnt(0)
	v_mul_f64 v[63:64], v[193:194], v[189:190]
	v_fma_f64 v[63:64], v[191:192], v[61:62], -v[63:64]
	v_mul_f64 v[191:192], v[191:192], v[189:190]
	v_add_f64 v[1:2], v[1:2], -v[63:64]
	v_fma_f64 v[191:192], v[193:194], v[61:62], v[191:192]
	v_mov_b32_e32 v63, v189
	v_mov_b32_e32 v64, v190
	v_add_f64 v[3:4], v[3:4], -v[191:192]
.LBB93_289:
	s_or_b32 exec_lo, exec_lo, s1
	s_mov_b32 s2, exec_lo
	s_waitcnt_vscnt null, 0x0
	s_barrier
	buffer_gl0_inv
	v_cmpx_eq_u32_e32 32, v0
	s_cbranch_execz .LBB93_296
; %bb.290:
	ds_write2_b64 v255, v[57:58], v[59:60] offset1:1
	ds_write2_b64 v253, v[53:54], v[55:56] offset0:66 offset1:67
	ds_write2_b64 v253, v[49:50], v[51:52] offset0:68 offset1:69
	;; [unrolled: 1-line block ×14, first 2 shown]
	ds_read2_b64 v[189:192], v255 offset1:1
	s_waitcnt lgkmcnt(0)
	v_cmp_neq_f64_e32 vcc_lo, 0, v[189:190]
	v_cmp_neq_f64_e64 s1, 0, v[191:192]
	s_or_b32 s1, vcc_lo, s1
	s_and_b32 exec_lo, exec_lo, s1
	s_cbranch_execz .LBB93_296
; %bb.291:
	v_cmp_ngt_f64_e64 s1, |v[189:190]|, |v[191:192]|
                                        ; implicit-def: $vgpr193_vgpr194
	s_and_saveexec_b32 s3, s1
	s_xor_b32 s1, exec_lo, s3
                                        ; implicit-def: $vgpr195_vgpr196
	s_cbranch_execz .LBB93_293
; %bb.292:
	v_div_scale_f64 v[193:194], null, v[191:192], v[191:192], v[189:190]
	v_div_scale_f64 v[199:200], vcc_lo, v[189:190], v[191:192], v[189:190]
	v_rcp_f64_e32 v[195:196], v[193:194]
	v_fma_f64 v[197:198], -v[193:194], v[195:196], 1.0
	v_fma_f64 v[195:196], v[195:196], v[197:198], v[195:196]
	v_fma_f64 v[197:198], -v[193:194], v[195:196], 1.0
	v_fma_f64 v[195:196], v[195:196], v[197:198], v[195:196]
	v_mul_f64 v[197:198], v[199:200], v[195:196]
	v_fma_f64 v[193:194], -v[193:194], v[197:198], v[199:200]
	v_div_fmas_f64 v[193:194], v[193:194], v[195:196], v[197:198]
	v_div_fixup_f64 v[193:194], v[193:194], v[191:192], v[189:190]
	v_fma_f64 v[189:190], v[189:190], v[193:194], v[191:192]
	v_div_scale_f64 v[191:192], null, v[189:190], v[189:190], 1.0
	v_rcp_f64_e32 v[195:196], v[191:192]
	v_fma_f64 v[197:198], -v[191:192], v[195:196], 1.0
	v_fma_f64 v[195:196], v[195:196], v[197:198], v[195:196]
	v_fma_f64 v[197:198], -v[191:192], v[195:196], 1.0
	v_fma_f64 v[195:196], v[195:196], v[197:198], v[195:196]
	v_div_scale_f64 v[197:198], vcc_lo, 1.0, v[189:190], 1.0
	v_mul_f64 v[199:200], v[197:198], v[195:196]
	v_fma_f64 v[191:192], -v[191:192], v[199:200], v[197:198]
	v_div_fmas_f64 v[191:192], v[191:192], v[195:196], v[199:200]
	v_div_fixup_f64 v[195:196], v[191:192], v[189:190], 1.0
                                        ; implicit-def: $vgpr189_vgpr190
	v_mul_f64 v[193:194], v[193:194], v[195:196]
	v_xor_b32_e32 v196, 0x80000000, v196
.LBB93_293:
	s_andn2_saveexec_b32 s1, s1
	s_cbranch_execz .LBB93_295
; %bb.294:
	v_div_scale_f64 v[193:194], null, v[189:190], v[189:190], v[191:192]
	v_div_scale_f64 v[199:200], vcc_lo, v[191:192], v[189:190], v[191:192]
	v_rcp_f64_e32 v[195:196], v[193:194]
	v_fma_f64 v[197:198], -v[193:194], v[195:196], 1.0
	v_fma_f64 v[195:196], v[195:196], v[197:198], v[195:196]
	v_fma_f64 v[197:198], -v[193:194], v[195:196], 1.0
	v_fma_f64 v[195:196], v[195:196], v[197:198], v[195:196]
	v_mul_f64 v[197:198], v[199:200], v[195:196]
	v_fma_f64 v[193:194], -v[193:194], v[197:198], v[199:200]
	v_div_fmas_f64 v[193:194], v[193:194], v[195:196], v[197:198]
	v_div_fixup_f64 v[195:196], v[193:194], v[189:190], v[191:192]
	v_fma_f64 v[189:190], v[191:192], v[195:196], v[189:190]
	v_div_scale_f64 v[191:192], null, v[189:190], v[189:190], 1.0
	v_rcp_f64_e32 v[193:194], v[191:192]
	v_fma_f64 v[197:198], -v[191:192], v[193:194], 1.0
	v_fma_f64 v[193:194], v[193:194], v[197:198], v[193:194]
	v_fma_f64 v[197:198], -v[191:192], v[193:194], 1.0
	v_fma_f64 v[193:194], v[193:194], v[197:198], v[193:194]
	v_div_scale_f64 v[197:198], vcc_lo, 1.0, v[189:190], 1.0
	v_mul_f64 v[199:200], v[197:198], v[193:194]
	v_fma_f64 v[191:192], -v[191:192], v[199:200], v[197:198]
	v_div_fmas_f64 v[191:192], v[191:192], v[193:194], v[199:200]
	v_div_fixup_f64 v[193:194], v[191:192], v[189:190], 1.0
	v_mul_f64 v[195:196], v[195:196], -v[193:194]
.LBB93_295:
	s_or_b32 exec_lo, exec_lo, s1
	ds_write2_b64 v255, v[193:194], v[195:196] offset1:1
.LBB93_296:
	s_or_b32 exec_lo, exec_lo, s2
	s_waitcnt lgkmcnt(0)
	s_barrier
	buffer_gl0_inv
	ds_read2_b64 v[189:192], v255 offset1:1
	s_mov_b32 s1, exec_lo
	s_waitcnt lgkmcnt(0)
	buffer_store_dword v189, off, s[16:19], 0 offset:880 ; 4-byte Folded Spill
	buffer_store_dword v190, off, s[16:19], 0 offset:884 ; 4-byte Folded Spill
	;; [unrolled: 1-line block ×4, first 2 shown]
	v_cmpx_lt_u32_e32 32, v0
	s_cbranch_execz .LBB93_298
; %bb.297:
	s_clause 0x3
	buffer_load_dword v189, off, s[16:19], 0 offset:880
	buffer_load_dword v190, off, s[16:19], 0 offset:884
	;; [unrolled: 1-line block ×4, first 2 shown]
	ds_read2_b64 v[195:198], v253 offset0:66 offset1:67
	s_waitcnt vmcnt(2)
	v_mul_f64 v[193:194], v[189:190], v[59:60]
	s_waitcnt vmcnt(0)
	v_mul_f64 v[59:60], v[191:192], v[59:60]
	v_fma_f64 v[193:194], v[191:192], v[57:58], v[193:194]
	v_fma_f64 v[57:58], v[189:190], v[57:58], -v[59:60]
	s_waitcnt lgkmcnt(0)
	v_mul_f64 v[59:60], v[197:198], v[193:194]
	v_fma_f64 v[59:60], v[195:196], v[57:58], -v[59:60]
	v_mul_f64 v[195:196], v[195:196], v[193:194]
	v_add_f64 v[53:54], v[53:54], -v[59:60]
	v_fma_f64 v[195:196], v[197:198], v[57:58], v[195:196]
	v_add_f64 v[55:56], v[55:56], -v[195:196]
	ds_read2_b64 v[195:198], v253 offset0:68 offset1:69
	s_waitcnt lgkmcnt(0)
	v_mul_f64 v[59:60], v[197:198], v[193:194]
	v_fma_f64 v[59:60], v[195:196], v[57:58], -v[59:60]
	v_mul_f64 v[195:196], v[195:196], v[193:194]
	v_add_f64 v[49:50], v[49:50], -v[59:60]
	v_fma_f64 v[195:196], v[197:198], v[57:58], v[195:196]
	v_add_f64 v[51:52], v[51:52], -v[195:196]
	ds_read2_b64 v[195:198], v253 offset0:70 offset1:71
	;; [unrolled: 8-line block ×13, first 2 shown]
	s_waitcnt lgkmcnt(0)
	v_mul_f64 v[59:60], v[197:198], v[193:194]
	v_fma_f64 v[59:60], v[195:196], v[57:58], -v[59:60]
	v_mul_f64 v[195:196], v[195:196], v[193:194]
	v_add_f64 v[1:2], v[1:2], -v[59:60]
	v_fma_f64 v[195:196], v[197:198], v[57:58], v[195:196]
	v_mov_b32_e32 v59, v193
	v_mov_b32_e32 v60, v194
	v_add_f64 v[3:4], v[3:4], -v[195:196]
.LBB93_298:
	s_or_b32 exec_lo, exec_lo, s1
	s_mov_b32 s2, exec_lo
	s_waitcnt_vscnt null, 0x0
	s_barrier
	buffer_gl0_inv
	v_cmpx_eq_u32_e32 33, v0
	s_cbranch_execz .LBB93_305
; %bb.299:
	ds_write2_b64 v255, v[53:54], v[55:56] offset1:1
	ds_write2_b64 v253, v[49:50], v[51:52] offset0:68 offset1:69
	ds_write2_b64 v253, v[45:46], v[47:48] offset0:70 offset1:71
	ds_write2_b64 v253, v[41:42], v[43:44] offset0:72 offset1:73
	ds_write2_b64 v253, v[37:38], v[39:40] offset0:74 offset1:75
	ds_write2_b64 v253, v[33:34], v[35:36] offset0:76 offset1:77
	ds_write2_b64 v253, v[29:30], v[31:32] offset0:78 offset1:79
	ds_write2_b64 v253, v[25:26], v[27:28] offset0:80 offset1:81
	ds_write2_b64 v253, v[21:22], v[23:24] offset0:82 offset1:83
	ds_write2_b64 v253, v[17:18], v[19:20] offset0:84 offset1:85
	ds_write2_b64 v253, v[13:14], v[15:16] offset0:86 offset1:87
	ds_write2_b64 v253, v[9:10], v[11:12] offset0:88 offset1:89
	ds_write2_b64 v253, v[5:6], v[7:8] offset0:90 offset1:91
	ds_write2_b64 v253, v[1:2], v[3:4] offset0:92 offset1:93
	ds_read2_b64 v[193:196], v255 offset1:1
	s_waitcnt lgkmcnt(0)
	v_cmp_neq_f64_e32 vcc_lo, 0, v[193:194]
	v_cmp_neq_f64_e64 s1, 0, v[195:196]
	s_or_b32 s1, vcc_lo, s1
	s_and_b32 exec_lo, exec_lo, s1
	s_cbranch_execz .LBB93_305
; %bb.300:
	v_cmp_ngt_f64_e64 s1, |v[193:194]|, |v[195:196]|
                                        ; implicit-def: $vgpr197_vgpr198
	s_and_saveexec_b32 s3, s1
	s_xor_b32 s1, exec_lo, s3
                                        ; implicit-def: $vgpr199_vgpr200
	s_cbranch_execz .LBB93_302
; %bb.301:
	v_div_scale_f64 v[197:198], null, v[195:196], v[195:196], v[193:194]
	v_div_scale_f64 v[203:204], vcc_lo, v[193:194], v[195:196], v[193:194]
	v_rcp_f64_e32 v[199:200], v[197:198]
	v_fma_f64 v[201:202], -v[197:198], v[199:200], 1.0
	v_fma_f64 v[199:200], v[199:200], v[201:202], v[199:200]
	v_fma_f64 v[201:202], -v[197:198], v[199:200], 1.0
	v_fma_f64 v[199:200], v[199:200], v[201:202], v[199:200]
	v_mul_f64 v[201:202], v[203:204], v[199:200]
	v_fma_f64 v[197:198], -v[197:198], v[201:202], v[203:204]
	v_div_fmas_f64 v[197:198], v[197:198], v[199:200], v[201:202]
	v_div_fixup_f64 v[197:198], v[197:198], v[195:196], v[193:194]
	v_fma_f64 v[193:194], v[193:194], v[197:198], v[195:196]
	v_div_scale_f64 v[195:196], null, v[193:194], v[193:194], 1.0
	v_rcp_f64_e32 v[199:200], v[195:196]
	v_fma_f64 v[201:202], -v[195:196], v[199:200], 1.0
	v_fma_f64 v[199:200], v[199:200], v[201:202], v[199:200]
	v_fma_f64 v[201:202], -v[195:196], v[199:200], 1.0
	v_fma_f64 v[199:200], v[199:200], v[201:202], v[199:200]
	v_div_scale_f64 v[201:202], vcc_lo, 1.0, v[193:194], 1.0
	v_mul_f64 v[203:204], v[201:202], v[199:200]
	v_fma_f64 v[195:196], -v[195:196], v[203:204], v[201:202]
	v_div_fmas_f64 v[195:196], v[195:196], v[199:200], v[203:204]
	v_div_fixup_f64 v[199:200], v[195:196], v[193:194], 1.0
                                        ; implicit-def: $vgpr193_vgpr194
	v_mul_f64 v[197:198], v[197:198], v[199:200]
	v_xor_b32_e32 v200, 0x80000000, v200
.LBB93_302:
	s_andn2_saveexec_b32 s1, s1
	s_cbranch_execz .LBB93_304
; %bb.303:
	v_div_scale_f64 v[197:198], null, v[193:194], v[193:194], v[195:196]
	v_div_scale_f64 v[203:204], vcc_lo, v[195:196], v[193:194], v[195:196]
	v_rcp_f64_e32 v[199:200], v[197:198]
	v_fma_f64 v[201:202], -v[197:198], v[199:200], 1.0
	v_fma_f64 v[199:200], v[199:200], v[201:202], v[199:200]
	v_fma_f64 v[201:202], -v[197:198], v[199:200], 1.0
	v_fma_f64 v[199:200], v[199:200], v[201:202], v[199:200]
	v_mul_f64 v[201:202], v[203:204], v[199:200]
	v_fma_f64 v[197:198], -v[197:198], v[201:202], v[203:204]
	v_div_fmas_f64 v[197:198], v[197:198], v[199:200], v[201:202]
	v_div_fixup_f64 v[199:200], v[197:198], v[193:194], v[195:196]
	v_fma_f64 v[193:194], v[195:196], v[199:200], v[193:194]
	v_div_scale_f64 v[195:196], null, v[193:194], v[193:194], 1.0
	v_rcp_f64_e32 v[197:198], v[195:196]
	v_fma_f64 v[201:202], -v[195:196], v[197:198], 1.0
	v_fma_f64 v[197:198], v[197:198], v[201:202], v[197:198]
	v_fma_f64 v[201:202], -v[195:196], v[197:198], 1.0
	v_fma_f64 v[197:198], v[197:198], v[201:202], v[197:198]
	v_div_scale_f64 v[201:202], vcc_lo, 1.0, v[193:194], 1.0
	v_mul_f64 v[203:204], v[201:202], v[197:198]
	v_fma_f64 v[195:196], -v[195:196], v[203:204], v[201:202]
	v_div_fmas_f64 v[195:196], v[195:196], v[197:198], v[203:204]
	v_div_fixup_f64 v[197:198], v[195:196], v[193:194], 1.0
	v_mul_f64 v[199:200], v[199:200], -v[197:198]
.LBB93_304:
	s_or_b32 exec_lo, exec_lo, s1
	ds_write2_b64 v255, v[197:198], v[199:200] offset1:1
.LBB93_305:
	s_or_b32 exec_lo, exec_lo, s2
	s_waitcnt lgkmcnt(0)
	s_barrier
	buffer_gl0_inv
	ds_read2_b64 v[191:194], v255 offset1:1
	s_mov_b32 s1, exec_lo
	v_cmpx_lt_u32_e32 33, v0
	s_cbranch_execz .LBB93_307
; %bb.306:
	s_waitcnt lgkmcnt(0)
	v_mul_f64 v[197:198], v[191:192], v[55:56]
	v_mul_f64 v[55:56], v[193:194], v[55:56]
	ds_read2_b64 v[199:202], v253 offset0:68 offset1:69
	v_fma_f64 v[197:198], v[193:194], v[53:54], v[197:198]
	v_fma_f64 v[53:54], v[191:192], v[53:54], -v[55:56]
	s_waitcnt lgkmcnt(0)
	v_mul_f64 v[55:56], v[201:202], v[197:198]
	v_fma_f64 v[55:56], v[199:200], v[53:54], -v[55:56]
	v_mul_f64 v[199:200], v[199:200], v[197:198]
	v_add_f64 v[49:50], v[49:50], -v[55:56]
	v_fma_f64 v[199:200], v[201:202], v[53:54], v[199:200]
	v_add_f64 v[51:52], v[51:52], -v[199:200]
	ds_read2_b64 v[199:202], v253 offset0:70 offset1:71
	s_waitcnt lgkmcnt(0)
	v_mul_f64 v[55:56], v[201:202], v[197:198]
	v_fma_f64 v[55:56], v[199:200], v[53:54], -v[55:56]
	v_mul_f64 v[199:200], v[199:200], v[197:198]
	v_add_f64 v[45:46], v[45:46], -v[55:56]
	v_fma_f64 v[199:200], v[201:202], v[53:54], v[199:200]
	v_add_f64 v[47:48], v[47:48], -v[199:200]
	ds_read2_b64 v[199:202], v253 offset0:72 offset1:73
	;; [unrolled: 8-line block ×12, first 2 shown]
	s_waitcnt lgkmcnt(0)
	v_mul_f64 v[55:56], v[201:202], v[197:198]
	v_fma_f64 v[55:56], v[199:200], v[53:54], -v[55:56]
	v_mul_f64 v[199:200], v[199:200], v[197:198]
	v_add_f64 v[1:2], v[1:2], -v[55:56]
	v_fma_f64 v[199:200], v[201:202], v[53:54], v[199:200]
	v_mov_b32_e32 v55, v197
	v_mov_b32_e32 v56, v198
	v_add_f64 v[3:4], v[3:4], -v[199:200]
.LBB93_307:
	s_or_b32 exec_lo, exec_lo, s1
	s_mov_b32 s2, exec_lo
	s_waitcnt lgkmcnt(0)
	s_barrier
	buffer_gl0_inv
	v_cmpx_eq_u32_e32 34, v0
	s_cbranch_execz .LBB93_314
; %bb.308:
	ds_write2_b64 v255, v[49:50], v[51:52] offset1:1
	ds_write2_b64 v253, v[45:46], v[47:48] offset0:70 offset1:71
	ds_write2_b64 v253, v[41:42], v[43:44] offset0:72 offset1:73
	;; [unrolled: 1-line block ×12, first 2 shown]
	ds_read2_b64 v[197:200], v255 offset1:1
	s_waitcnt lgkmcnt(0)
	v_cmp_neq_f64_e32 vcc_lo, 0, v[197:198]
	v_cmp_neq_f64_e64 s1, 0, v[199:200]
	s_or_b32 s1, vcc_lo, s1
	s_and_b32 exec_lo, exec_lo, s1
	s_cbranch_execz .LBB93_314
; %bb.309:
	v_cmp_ngt_f64_e64 s1, |v[197:198]|, |v[199:200]|
                                        ; implicit-def: $vgpr201_vgpr202
	s_and_saveexec_b32 s3, s1
	s_xor_b32 s1, exec_lo, s3
                                        ; implicit-def: $vgpr203_vgpr204
	s_cbranch_execz .LBB93_311
; %bb.310:
	v_div_scale_f64 v[201:202], null, v[199:200], v[199:200], v[197:198]
	v_div_scale_f64 v[207:208], vcc_lo, v[197:198], v[199:200], v[197:198]
	v_rcp_f64_e32 v[203:204], v[201:202]
	v_fma_f64 v[205:206], -v[201:202], v[203:204], 1.0
	v_fma_f64 v[203:204], v[203:204], v[205:206], v[203:204]
	v_fma_f64 v[205:206], -v[201:202], v[203:204], 1.0
	v_fma_f64 v[203:204], v[203:204], v[205:206], v[203:204]
	v_mul_f64 v[205:206], v[207:208], v[203:204]
	v_fma_f64 v[201:202], -v[201:202], v[205:206], v[207:208]
	v_div_fmas_f64 v[201:202], v[201:202], v[203:204], v[205:206]
	v_div_fixup_f64 v[201:202], v[201:202], v[199:200], v[197:198]
	v_fma_f64 v[197:198], v[197:198], v[201:202], v[199:200]
	v_div_scale_f64 v[199:200], null, v[197:198], v[197:198], 1.0
	v_rcp_f64_e32 v[203:204], v[199:200]
	v_fma_f64 v[205:206], -v[199:200], v[203:204], 1.0
	v_fma_f64 v[203:204], v[203:204], v[205:206], v[203:204]
	v_fma_f64 v[205:206], -v[199:200], v[203:204], 1.0
	v_fma_f64 v[203:204], v[203:204], v[205:206], v[203:204]
	v_div_scale_f64 v[205:206], vcc_lo, 1.0, v[197:198], 1.0
	v_mul_f64 v[207:208], v[205:206], v[203:204]
	v_fma_f64 v[199:200], -v[199:200], v[207:208], v[205:206]
	v_div_fmas_f64 v[199:200], v[199:200], v[203:204], v[207:208]
	v_div_fixup_f64 v[203:204], v[199:200], v[197:198], 1.0
                                        ; implicit-def: $vgpr197_vgpr198
	v_mul_f64 v[201:202], v[201:202], v[203:204]
	v_xor_b32_e32 v204, 0x80000000, v204
.LBB93_311:
	s_andn2_saveexec_b32 s1, s1
	s_cbranch_execz .LBB93_313
; %bb.312:
	v_div_scale_f64 v[201:202], null, v[197:198], v[197:198], v[199:200]
	v_div_scale_f64 v[207:208], vcc_lo, v[199:200], v[197:198], v[199:200]
	v_rcp_f64_e32 v[203:204], v[201:202]
	v_fma_f64 v[205:206], -v[201:202], v[203:204], 1.0
	v_fma_f64 v[203:204], v[203:204], v[205:206], v[203:204]
	v_fma_f64 v[205:206], -v[201:202], v[203:204], 1.0
	v_fma_f64 v[203:204], v[203:204], v[205:206], v[203:204]
	v_mul_f64 v[205:206], v[207:208], v[203:204]
	v_fma_f64 v[201:202], -v[201:202], v[205:206], v[207:208]
	v_div_fmas_f64 v[201:202], v[201:202], v[203:204], v[205:206]
	v_div_fixup_f64 v[203:204], v[201:202], v[197:198], v[199:200]
	v_fma_f64 v[197:198], v[199:200], v[203:204], v[197:198]
	v_div_scale_f64 v[199:200], null, v[197:198], v[197:198], 1.0
	v_rcp_f64_e32 v[201:202], v[199:200]
	v_fma_f64 v[205:206], -v[199:200], v[201:202], 1.0
	v_fma_f64 v[201:202], v[201:202], v[205:206], v[201:202]
	v_fma_f64 v[205:206], -v[199:200], v[201:202], 1.0
	v_fma_f64 v[201:202], v[201:202], v[205:206], v[201:202]
	v_div_scale_f64 v[205:206], vcc_lo, 1.0, v[197:198], 1.0
	v_mul_f64 v[207:208], v[205:206], v[201:202]
	v_fma_f64 v[199:200], -v[199:200], v[207:208], v[205:206]
	v_div_fmas_f64 v[199:200], v[199:200], v[201:202], v[207:208]
	v_div_fixup_f64 v[201:202], v[199:200], v[197:198], 1.0
	v_mul_f64 v[203:204], v[203:204], -v[201:202]
.LBB93_313:
	s_or_b32 exec_lo, exec_lo, s1
	ds_write2_b64 v255, v[201:202], v[203:204] offset1:1
.LBB93_314:
	s_or_b32 exec_lo, exec_lo, s2
	s_waitcnt lgkmcnt(0)
	s_barrier
	buffer_gl0_inv
	ds_read2_b64 v[195:198], v255 offset1:1
	s_mov_b32 s1, exec_lo
	v_cmpx_lt_u32_e32 34, v0
	s_cbranch_execz .LBB93_316
; %bb.315:
	s_waitcnt lgkmcnt(0)
	v_mul_f64 v[201:202], v[195:196], v[51:52]
	v_mul_f64 v[51:52], v[197:198], v[51:52]
	ds_read2_b64 v[203:206], v253 offset0:70 offset1:71
	v_fma_f64 v[201:202], v[197:198], v[49:50], v[201:202]
	v_fma_f64 v[49:50], v[195:196], v[49:50], -v[51:52]
	s_waitcnt lgkmcnt(0)
	v_mul_f64 v[51:52], v[205:206], v[201:202]
	v_fma_f64 v[51:52], v[203:204], v[49:50], -v[51:52]
	v_mul_f64 v[203:204], v[203:204], v[201:202]
	v_add_f64 v[45:46], v[45:46], -v[51:52]
	v_fma_f64 v[203:204], v[205:206], v[49:50], v[203:204]
	v_add_f64 v[47:48], v[47:48], -v[203:204]
	ds_read2_b64 v[203:206], v253 offset0:72 offset1:73
	s_waitcnt lgkmcnt(0)
	v_mul_f64 v[51:52], v[205:206], v[201:202]
	v_fma_f64 v[51:52], v[203:204], v[49:50], -v[51:52]
	v_mul_f64 v[203:204], v[203:204], v[201:202]
	v_add_f64 v[41:42], v[41:42], -v[51:52]
	v_fma_f64 v[203:204], v[205:206], v[49:50], v[203:204]
	v_add_f64 v[43:44], v[43:44], -v[203:204]
	ds_read2_b64 v[203:206], v253 offset0:74 offset1:75
	;; [unrolled: 8-line block ×11, first 2 shown]
	s_waitcnt lgkmcnt(0)
	v_mul_f64 v[51:52], v[205:206], v[201:202]
	v_fma_f64 v[51:52], v[203:204], v[49:50], -v[51:52]
	v_mul_f64 v[203:204], v[203:204], v[201:202]
	v_add_f64 v[1:2], v[1:2], -v[51:52]
	v_fma_f64 v[203:204], v[205:206], v[49:50], v[203:204]
	v_mov_b32_e32 v51, v201
	v_mov_b32_e32 v52, v202
	v_add_f64 v[3:4], v[3:4], -v[203:204]
.LBB93_316:
	s_or_b32 exec_lo, exec_lo, s1
	s_mov_b32 s2, exec_lo
	s_waitcnt lgkmcnt(0)
	s_barrier
	buffer_gl0_inv
	v_cmpx_eq_u32_e32 35, v0
	s_cbranch_execz .LBB93_323
; %bb.317:
	ds_write2_b64 v255, v[45:46], v[47:48] offset1:1
	ds_write2_b64 v253, v[41:42], v[43:44] offset0:72 offset1:73
	ds_write2_b64 v253, v[37:38], v[39:40] offset0:74 offset1:75
	;; [unrolled: 1-line block ×11, first 2 shown]
	ds_read2_b64 v[201:204], v255 offset1:1
	s_waitcnt lgkmcnt(0)
	v_cmp_neq_f64_e32 vcc_lo, 0, v[201:202]
	v_cmp_neq_f64_e64 s1, 0, v[203:204]
	s_or_b32 s1, vcc_lo, s1
	s_and_b32 exec_lo, exec_lo, s1
	s_cbranch_execz .LBB93_323
; %bb.318:
	v_cmp_ngt_f64_e64 s1, |v[201:202]|, |v[203:204]|
                                        ; implicit-def: $vgpr205_vgpr206
	s_and_saveexec_b32 s3, s1
	s_xor_b32 s1, exec_lo, s3
                                        ; implicit-def: $vgpr207_vgpr208
	s_cbranch_execz .LBB93_320
; %bb.319:
	v_div_scale_f64 v[205:206], null, v[203:204], v[203:204], v[201:202]
	v_div_scale_f64 v[211:212], vcc_lo, v[201:202], v[203:204], v[201:202]
	v_rcp_f64_e32 v[207:208], v[205:206]
	v_fma_f64 v[209:210], -v[205:206], v[207:208], 1.0
	v_fma_f64 v[207:208], v[207:208], v[209:210], v[207:208]
	v_fma_f64 v[209:210], -v[205:206], v[207:208], 1.0
	v_fma_f64 v[207:208], v[207:208], v[209:210], v[207:208]
	v_mul_f64 v[209:210], v[211:212], v[207:208]
	v_fma_f64 v[205:206], -v[205:206], v[209:210], v[211:212]
	v_div_fmas_f64 v[205:206], v[205:206], v[207:208], v[209:210]
	v_div_fixup_f64 v[205:206], v[205:206], v[203:204], v[201:202]
	v_fma_f64 v[201:202], v[201:202], v[205:206], v[203:204]
	v_div_scale_f64 v[203:204], null, v[201:202], v[201:202], 1.0
	v_rcp_f64_e32 v[207:208], v[203:204]
	v_fma_f64 v[209:210], -v[203:204], v[207:208], 1.0
	v_fma_f64 v[207:208], v[207:208], v[209:210], v[207:208]
	v_fma_f64 v[209:210], -v[203:204], v[207:208], 1.0
	v_fma_f64 v[207:208], v[207:208], v[209:210], v[207:208]
	v_div_scale_f64 v[209:210], vcc_lo, 1.0, v[201:202], 1.0
	v_mul_f64 v[211:212], v[209:210], v[207:208]
	v_fma_f64 v[203:204], -v[203:204], v[211:212], v[209:210]
	v_div_fmas_f64 v[203:204], v[203:204], v[207:208], v[211:212]
	v_div_fixup_f64 v[207:208], v[203:204], v[201:202], 1.0
                                        ; implicit-def: $vgpr201_vgpr202
	v_mul_f64 v[205:206], v[205:206], v[207:208]
	v_xor_b32_e32 v208, 0x80000000, v208
.LBB93_320:
	s_andn2_saveexec_b32 s1, s1
	s_cbranch_execz .LBB93_322
; %bb.321:
	v_div_scale_f64 v[205:206], null, v[201:202], v[201:202], v[203:204]
	v_div_scale_f64 v[211:212], vcc_lo, v[203:204], v[201:202], v[203:204]
	v_rcp_f64_e32 v[207:208], v[205:206]
	v_fma_f64 v[209:210], -v[205:206], v[207:208], 1.0
	v_fma_f64 v[207:208], v[207:208], v[209:210], v[207:208]
	v_fma_f64 v[209:210], -v[205:206], v[207:208], 1.0
	v_fma_f64 v[207:208], v[207:208], v[209:210], v[207:208]
	v_mul_f64 v[209:210], v[211:212], v[207:208]
	v_fma_f64 v[205:206], -v[205:206], v[209:210], v[211:212]
	v_div_fmas_f64 v[205:206], v[205:206], v[207:208], v[209:210]
	v_div_fixup_f64 v[207:208], v[205:206], v[201:202], v[203:204]
	v_fma_f64 v[201:202], v[203:204], v[207:208], v[201:202]
	v_div_scale_f64 v[203:204], null, v[201:202], v[201:202], 1.0
	v_rcp_f64_e32 v[205:206], v[203:204]
	v_fma_f64 v[209:210], -v[203:204], v[205:206], 1.0
	v_fma_f64 v[205:206], v[205:206], v[209:210], v[205:206]
	v_fma_f64 v[209:210], -v[203:204], v[205:206], 1.0
	v_fma_f64 v[205:206], v[205:206], v[209:210], v[205:206]
	v_div_scale_f64 v[209:210], vcc_lo, 1.0, v[201:202], 1.0
	v_mul_f64 v[211:212], v[209:210], v[205:206]
	v_fma_f64 v[203:204], -v[203:204], v[211:212], v[209:210]
	v_div_fmas_f64 v[203:204], v[203:204], v[205:206], v[211:212]
	v_div_fixup_f64 v[205:206], v[203:204], v[201:202], 1.0
	v_mul_f64 v[207:208], v[207:208], -v[205:206]
.LBB93_322:
	s_or_b32 exec_lo, exec_lo, s1
	ds_write2_b64 v255, v[205:206], v[207:208] offset1:1
.LBB93_323:
	s_or_b32 exec_lo, exec_lo, s2
	s_waitcnt lgkmcnt(0)
	s_barrier
	buffer_gl0_inv
	ds_read2_b64 v[199:202], v255 offset1:1
	s_mov_b32 s1, exec_lo
	v_cmpx_lt_u32_e32 35, v0
	s_cbranch_execz .LBB93_325
; %bb.324:
	s_waitcnt lgkmcnt(0)
	v_mul_f64 v[205:206], v[199:200], v[47:48]
	v_mul_f64 v[47:48], v[201:202], v[47:48]
	ds_read2_b64 v[207:210], v253 offset0:72 offset1:73
	v_fma_f64 v[205:206], v[201:202], v[45:46], v[205:206]
	v_fma_f64 v[45:46], v[199:200], v[45:46], -v[47:48]
	s_waitcnt lgkmcnt(0)
	v_mul_f64 v[47:48], v[209:210], v[205:206]
	v_fma_f64 v[47:48], v[207:208], v[45:46], -v[47:48]
	v_mul_f64 v[207:208], v[207:208], v[205:206]
	v_add_f64 v[41:42], v[41:42], -v[47:48]
	v_fma_f64 v[207:208], v[209:210], v[45:46], v[207:208]
	v_add_f64 v[43:44], v[43:44], -v[207:208]
	ds_read2_b64 v[207:210], v253 offset0:74 offset1:75
	s_waitcnt lgkmcnt(0)
	v_mul_f64 v[47:48], v[209:210], v[205:206]
	v_fma_f64 v[47:48], v[207:208], v[45:46], -v[47:48]
	v_mul_f64 v[207:208], v[207:208], v[205:206]
	v_add_f64 v[37:38], v[37:38], -v[47:48]
	v_fma_f64 v[207:208], v[209:210], v[45:46], v[207:208]
	v_add_f64 v[39:40], v[39:40], -v[207:208]
	ds_read2_b64 v[207:210], v253 offset0:76 offset1:77
	;; [unrolled: 8-line block ×10, first 2 shown]
	s_waitcnt lgkmcnt(0)
	v_mul_f64 v[47:48], v[209:210], v[205:206]
	v_fma_f64 v[47:48], v[207:208], v[45:46], -v[47:48]
	v_mul_f64 v[207:208], v[207:208], v[205:206]
	v_add_f64 v[1:2], v[1:2], -v[47:48]
	v_fma_f64 v[207:208], v[209:210], v[45:46], v[207:208]
	v_mov_b32_e32 v47, v205
	v_mov_b32_e32 v48, v206
	v_add_f64 v[3:4], v[3:4], -v[207:208]
.LBB93_325:
	s_or_b32 exec_lo, exec_lo, s1
	s_mov_b32 s2, exec_lo
	s_waitcnt lgkmcnt(0)
	s_barrier
	buffer_gl0_inv
	v_cmpx_eq_u32_e32 36, v0
	s_cbranch_execz .LBB93_332
; %bb.326:
	ds_write2_b64 v255, v[41:42], v[43:44] offset1:1
	ds_write2_b64 v253, v[37:38], v[39:40] offset0:74 offset1:75
	ds_write2_b64 v253, v[33:34], v[35:36] offset0:76 offset1:77
	;; [unrolled: 1-line block ×10, first 2 shown]
	ds_read2_b64 v[205:208], v255 offset1:1
	s_waitcnt lgkmcnt(0)
	v_cmp_neq_f64_e32 vcc_lo, 0, v[205:206]
	v_cmp_neq_f64_e64 s1, 0, v[207:208]
	s_or_b32 s1, vcc_lo, s1
	s_and_b32 exec_lo, exec_lo, s1
	s_cbranch_execz .LBB93_332
; %bb.327:
	v_cmp_ngt_f64_e64 s1, |v[205:206]|, |v[207:208]|
                                        ; implicit-def: $vgpr209_vgpr210
	s_and_saveexec_b32 s3, s1
	s_xor_b32 s1, exec_lo, s3
                                        ; implicit-def: $vgpr211_vgpr212
	s_cbranch_execz .LBB93_329
; %bb.328:
	v_div_scale_f64 v[209:210], null, v[207:208], v[207:208], v[205:206]
	v_div_scale_f64 v[215:216], vcc_lo, v[205:206], v[207:208], v[205:206]
	v_rcp_f64_e32 v[211:212], v[209:210]
	v_fma_f64 v[213:214], -v[209:210], v[211:212], 1.0
	v_fma_f64 v[211:212], v[211:212], v[213:214], v[211:212]
	v_fma_f64 v[213:214], -v[209:210], v[211:212], 1.0
	v_fma_f64 v[211:212], v[211:212], v[213:214], v[211:212]
	v_mul_f64 v[213:214], v[215:216], v[211:212]
	v_fma_f64 v[209:210], -v[209:210], v[213:214], v[215:216]
	v_div_fmas_f64 v[209:210], v[209:210], v[211:212], v[213:214]
	v_div_fixup_f64 v[209:210], v[209:210], v[207:208], v[205:206]
	v_fma_f64 v[205:206], v[205:206], v[209:210], v[207:208]
	v_div_scale_f64 v[207:208], null, v[205:206], v[205:206], 1.0
	v_rcp_f64_e32 v[211:212], v[207:208]
	v_fma_f64 v[213:214], -v[207:208], v[211:212], 1.0
	v_fma_f64 v[211:212], v[211:212], v[213:214], v[211:212]
	v_fma_f64 v[213:214], -v[207:208], v[211:212], 1.0
	v_fma_f64 v[211:212], v[211:212], v[213:214], v[211:212]
	v_div_scale_f64 v[213:214], vcc_lo, 1.0, v[205:206], 1.0
	v_mul_f64 v[215:216], v[213:214], v[211:212]
	v_fma_f64 v[207:208], -v[207:208], v[215:216], v[213:214]
	v_div_fmas_f64 v[207:208], v[207:208], v[211:212], v[215:216]
	v_div_fixup_f64 v[211:212], v[207:208], v[205:206], 1.0
                                        ; implicit-def: $vgpr205_vgpr206
	v_mul_f64 v[209:210], v[209:210], v[211:212]
	v_xor_b32_e32 v212, 0x80000000, v212
.LBB93_329:
	s_andn2_saveexec_b32 s1, s1
	s_cbranch_execz .LBB93_331
; %bb.330:
	v_div_scale_f64 v[209:210], null, v[205:206], v[205:206], v[207:208]
	v_div_scale_f64 v[215:216], vcc_lo, v[207:208], v[205:206], v[207:208]
	v_rcp_f64_e32 v[211:212], v[209:210]
	v_fma_f64 v[213:214], -v[209:210], v[211:212], 1.0
	v_fma_f64 v[211:212], v[211:212], v[213:214], v[211:212]
	v_fma_f64 v[213:214], -v[209:210], v[211:212], 1.0
	v_fma_f64 v[211:212], v[211:212], v[213:214], v[211:212]
	v_mul_f64 v[213:214], v[215:216], v[211:212]
	v_fma_f64 v[209:210], -v[209:210], v[213:214], v[215:216]
	v_div_fmas_f64 v[209:210], v[209:210], v[211:212], v[213:214]
	v_div_fixup_f64 v[211:212], v[209:210], v[205:206], v[207:208]
	v_fma_f64 v[205:206], v[207:208], v[211:212], v[205:206]
	v_div_scale_f64 v[207:208], null, v[205:206], v[205:206], 1.0
	v_rcp_f64_e32 v[209:210], v[207:208]
	v_fma_f64 v[213:214], -v[207:208], v[209:210], 1.0
	v_fma_f64 v[209:210], v[209:210], v[213:214], v[209:210]
	v_fma_f64 v[213:214], -v[207:208], v[209:210], 1.0
	v_fma_f64 v[209:210], v[209:210], v[213:214], v[209:210]
	v_div_scale_f64 v[213:214], vcc_lo, 1.0, v[205:206], 1.0
	v_mul_f64 v[215:216], v[213:214], v[209:210]
	v_fma_f64 v[207:208], -v[207:208], v[215:216], v[213:214]
	v_div_fmas_f64 v[207:208], v[207:208], v[209:210], v[215:216]
	v_div_fixup_f64 v[209:210], v[207:208], v[205:206], 1.0
	v_mul_f64 v[211:212], v[211:212], -v[209:210]
.LBB93_331:
	s_or_b32 exec_lo, exec_lo, s1
	ds_write2_b64 v255, v[209:210], v[211:212] offset1:1
.LBB93_332:
	s_or_b32 exec_lo, exec_lo, s2
	s_waitcnt lgkmcnt(0)
	s_barrier
	buffer_gl0_inv
	ds_read2_b64 v[203:206], v255 offset1:1
	s_mov_b32 s1, exec_lo
	v_cmpx_lt_u32_e32 36, v0
	s_cbranch_execz .LBB93_334
; %bb.333:
	s_waitcnt lgkmcnt(0)
	v_mul_f64 v[209:210], v[203:204], v[43:44]
	v_mul_f64 v[43:44], v[205:206], v[43:44]
	v_fma_f64 v[213:214], v[205:206], v[41:42], v[209:210]
	ds_read2_b64 v[209:212], v253 offset0:74 offset1:75
	v_fma_f64 v[41:42], v[203:204], v[41:42], -v[43:44]
	s_waitcnt lgkmcnt(0)
	v_mul_f64 v[43:44], v[211:212], v[213:214]
	v_fma_f64 v[43:44], v[209:210], v[41:42], -v[43:44]
	v_mul_f64 v[209:210], v[209:210], v[213:214]
	v_add_f64 v[37:38], v[37:38], -v[43:44]
	v_fma_f64 v[209:210], v[211:212], v[41:42], v[209:210]
	v_add_f64 v[39:40], v[39:40], -v[209:210]
	ds_read2_b64 v[209:212], v253 offset0:76 offset1:77
	s_waitcnt lgkmcnt(0)
	v_mul_f64 v[43:44], v[211:212], v[213:214]
	v_fma_f64 v[43:44], v[209:210], v[41:42], -v[43:44]
	v_mul_f64 v[209:210], v[209:210], v[213:214]
	v_add_f64 v[33:34], v[33:34], -v[43:44]
	v_fma_f64 v[209:210], v[211:212], v[41:42], v[209:210]
	v_add_f64 v[35:36], v[35:36], -v[209:210]
	ds_read2_b64 v[209:212], v253 offset0:78 offset1:79
	;; [unrolled: 8-line block ×9, first 2 shown]
	s_waitcnt lgkmcnt(0)
	v_mul_f64 v[43:44], v[211:212], v[213:214]
	v_fma_f64 v[43:44], v[209:210], v[41:42], -v[43:44]
	v_mul_f64 v[209:210], v[209:210], v[213:214]
	v_add_f64 v[1:2], v[1:2], -v[43:44]
	v_fma_f64 v[209:210], v[211:212], v[41:42], v[209:210]
	v_mov_b32_e32 v43, v213
	v_mov_b32_e32 v44, v214
	v_add_f64 v[3:4], v[3:4], -v[209:210]
.LBB93_334:
	s_or_b32 exec_lo, exec_lo, s1
	s_mov_b32 s2, exec_lo
	s_waitcnt lgkmcnt(0)
	s_barrier
	buffer_gl0_inv
	v_cmpx_eq_u32_e32 37, v0
	s_cbranch_execz .LBB93_341
; %bb.335:
	ds_write2_b64 v255, v[37:38], v[39:40] offset1:1
	ds_write2_b64 v253, v[33:34], v[35:36] offset0:76 offset1:77
	ds_write2_b64 v253, v[29:30], v[31:32] offset0:78 offset1:79
	ds_write2_b64 v253, v[25:26], v[27:28] offset0:80 offset1:81
	ds_write2_b64 v253, v[21:22], v[23:24] offset0:82 offset1:83
	ds_write2_b64 v253, v[17:18], v[19:20] offset0:84 offset1:85
	ds_write2_b64 v253, v[13:14], v[15:16] offset0:86 offset1:87
	ds_write2_b64 v253, v[9:10], v[11:12] offset0:88 offset1:89
	ds_write2_b64 v253, v[5:6], v[7:8] offset0:90 offset1:91
	ds_write2_b64 v253, v[1:2], v[3:4] offset0:92 offset1:93
	ds_read2_b64 v[209:212], v255 offset1:1
	s_waitcnt lgkmcnt(0)
	v_cmp_neq_f64_e32 vcc_lo, 0, v[209:210]
	v_cmp_neq_f64_e64 s1, 0, v[211:212]
	s_or_b32 s1, vcc_lo, s1
	s_and_b32 exec_lo, exec_lo, s1
	s_cbranch_execz .LBB93_341
; %bb.336:
	v_cmp_ngt_f64_e64 s1, |v[209:210]|, |v[211:212]|
                                        ; implicit-def: $vgpr213_vgpr214
	s_and_saveexec_b32 s3, s1
	s_xor_b32 s1, exec_lo, s3
                                        ; implicit-def: $vgpr215_vgpr216
	s_cbranch_execz .LBB93_338
; %bb.337:
	v_div_scale_f64 v[213:214], null, v[211:212], v[211:212], v[209:210]
	v_div_scale_f64 v[219:220], vcc_lo, v[209:210], v[211:212], v[209:210]
	v_rcp_f64_e32 v[215:216], v[213:214]
	v_fma_f64 v[217:218], -v[213:214], v[215:216], 1.0
	v_fma_f64 v[215:216], v[215:216], v[217:218], v[215:216]
	v_fma_f64 v[217:218], -v[213:214], v[215:216], 1.0
	v_fma_f64 v[215:216], v[215:216], v[217:218], v[215:216]
	v_mul_f64 v[217:218], v[219:220], v[215:216]
	v_fma_f64 v[213:214], -v[213:214], v[217:218], v[219:220]
	v_div_fmas_f64 v[213:214], v[213:214], v[215:216], v[217:218]
	v_div_fixup_f64 v[213:214], v[213:214], v[211:212], v[209:210]
	v_fma_f64 v[209:210], v[209:210], v[213:214], v[211:212]
	v_div_scale_f64 v[211:212], null, v[209:210], v[209:210], 1.0
	v_rcp_f64_e32 v[215:216], v[211:212]
	v_fma_f64 v[217:218], -v[211:212], v[215:216], 1.0
	v_fma_f64 v[215:216], v[215:216], v[217:218], v[215:216]
	v_fma_f64 v[217:218], -v[211:212], v[215:216], 1.0
	v_fma_f64 v[215:216], v[215:216], v[217:218], v[215:216]
	v_div_scale_f64 v[217:218], vcc_lo, 1.0, v[209:210], 1.0
	v_mul_f64 v[219:220], v[217:218], v[215:216]
	v_fma_f64 v[211:212], -v[211:212], v[219:220], v[217:218]
	v_div_fmas_f64 v[211:212], v[211:212], v[215:216], v[219:220]
	v_div_fixup_f64 v[215:216], v[211:212], v[209:210], 1.0
                                        ; implicit-def: $vgpr209_vgpr210
	v_mul_f64 v[213:214], v[213:214], v[215:216]
	v_xor_b32_e32 v216, 0x80000000, v216
.LBB93_338:
	s_andn2_saveexec_b32 s1, s1
	s_cbranch_execz .LBB93_340
; %bb.339:
	v_div_scale_f64 v[213:214], null, v[209:210], v[209:210], v[211:212]
	v_div_scale_f64 v[219:220], vcc_lo, v[211:212], v[209:210], v[211:212]
	v_rcp_f64_e32 v[215:216], v[213:214]
	v_fma_f64 v[217:218], -v[213:214], v[215:216], 1.0
	v_fma_f64 v[215:216], v[215:216], v[217:218], v[215:216]
	v_fma_f64 v[217:218], -v[213:214], v[215:216], 1.0
	v_fma_f64 v[215:216], v[215:216], v[217:218], v[215:216]
	v_mul_f64 v[217:218], v[219:220], v[215:216]
	v_fma_f64 v[213:214], -v[213:214], v[217:218], v[219:220]
	v_div_fmas_f64 v[213:214], v[213:214], v[215:216], v[217:218]
	v_div_fixup_f64 v[215:216], v[213:214], v[209:210], v[211:212]
	v_fma_f64 v[209:210], v[211:212], v[215:216], v[209:210]
	v_div_scale_f64 v[211:212], null, v[209:210], v[209:210], 1.0
	v_rcp_f64_e32 v[213:214], v[211:212]
	v_fma_f64 v[217:218], -v[211:212], v[213:214], 1.0
	v_fma_f64 v[213:214], v[213:214], v[217:218], v[213:214]
	v_fma_f64 v[217:218], -v[211:212], v[213:214], 1.0
	v_fma_f64 v[213:214], v[213:214], v[217:218], v[213:214]
	v_div_scale_f64 v[217:218], vcc_lo, 1.0, v[209:210], 1.0
	v_mul_f64 v[219:220], v[217:218], v[213:214]
	v_fma_f64 v[211:212], -v[211:212], v[219:220], v[217:218]
	v_div_fmas_f64 v[211:212], v[211:212], v[213:214], v[219:220]
	v_div_fixup_f64 v[213:214], v[211:212], v[209:210], 1.0
	v_mul_f64 v[215:216], v[215:216], -v[213:214]
.LBB93_340:
	s_or_b32 exec_lo, exec_lo, s1
	ds_write2_b64 v255, v[213:214], v[215:216] offset1:1
.LBB93_341:
	s_or_b32 exec_lo, exec_lo, s2
	s_waitcnt lgkmcnt(0)
	s_barrier
	buffer_gl0_inv
	ds_read2_b64 v[207:210], v255 offset1:1
	s_mov_b32 s1, exec_lo
	v_cmpx_lt_u32_e32 37, v0
	s_cbranch_execz .LBB93_343
; %bb.342:
	s_waitcnt lgkmcnt(0)
	v_mul_f64 v[213:214], v[207:208], v[39:40]
	v_mul_f64 v[39:40], v[209:210], v[39:40]
	v_fma_f64 v[217:218], v[209:210], v[37:38], v[213:214]
	ds_read2_b64 v[213:216], v253 offset0:76 offset1:77
	v_fma_f64 v[37:38], v[207:208], v[37:38], -v[39:40]
	s_waitcnt lgkmcnt(0)
	v_mul_f64 v[39:40], v[215:216], v[217:218]
	v_fma_f64 v[39:40], v[213:214], v[37:38], -v[39:40]
	v_mul_f64 v[213:214], v[213:214], v[217:218]
	v_add_f64 v[33:34], v[33:34], -v[39:40]
	v_fma_f64 v[213:214], v[215:216], v[37:38], v[213:214]
	v_add_f64 v[35:36], v[35:36], -v[213:214]
	ds_read2_b64 v[213:216], v253 offset0:78 offset1:79
	s_waitcnt lgkmcnt(0)
	v_mul_f64 v[39:40], v[215:216], v[217:218]
	v_fma_f64 v[39:40], v[213:214], v[37:38], -v[39:40]
	v_mul_f64 v[213:214], v[213:214], v[217:218]
	v_add_f64 v[29:30], v[29:30], -v[39:40]
	v_fma_f64 v[213:214], v[215:216], v[37:38], v[213:214]
	v_add_f64 v[31:32], v[31:32], -v[213:214]
	ds_read2_b64 v[213:216], v253 offset0:80 offset1:81
	;; [unrolled: 8-line block ×8, first 2 shown]
	s_waitcnt lgkmcnt(0)
	v_mul_f64 v[39:40], v[215:216], v[217:218]
	v_fma_f64 v[39:40], v[213:214], v[37:38], -v[39:40]
	v_mul_f64 v[213:214], v[213:214], v[217:218]
	v_add_f64 v[1:2], v[1:2], -v[39:40]
	v_fma_f64 v[213:214], v[215:216], v[37:38], v[213:214]
	v_mov_b32_e32 v39, v217
	v_mov_b32_e32 v40, v218
	v_add_f64 v[3:4], v[3:4], -v[213:214]
.LBB93_343:
	s_or_b32 exec_lo, exec_lo, s1
	s_mov_b32 s2, exec_lo
	s_waitcnt lgkmcnt(0)
	s_barrier
	buffer_gl0_inv
	v_cmpx_eq_u32_e32 38, v0
	s_cbranch_execz .LBB93_350
; %bb.344:
	ds_write2_b64 v255, v[33:34], v[35:36] offset1:1
	ds_write2_b64 v253, v[29:30], v[31:32] offset0:78 offset1:79
	ds_write2_b64 v253, v[25:26], v[27:28] offset0:80 offset1:81
	;; [unrolled: 1-line block ×8, first 2 shown]
	ds_read2_b64 v[213:216], v255 offset1:1
	s_waitcnt lgkmcnt(0)
	v_cmp_neq_f64_e32 vcc_lo, 0, v[213:214]
	v_cmp_neq_f64_e64 s1, 0, v[215:216]
	s_or_b32 s1, vcc_lo, s1
	s_and_b32 exec_lo, exec_lo, s1
	s_cbranch_execz .LBB93_350
; %bb.345:
	v_cmp_ngt_f64_e64 s1, |v[213:214]|, |v[215:216]|
                                        ; implicit-def: $vgpr217_vgpr218
	s_and_saveexec_b32 s3, s1
	s_xor_b32 s1, exec_lo, s3
                                        ; implicit-def: $vgpr219_vgpr220
	s_cbranch_execz .LBB93_347
; %bb.346:
	v_div_scale_f64 v[217:218], null, v[215:216], v[215:216], v[213:214]
	v_div_scale_f64 v[223:224], vcc_lo, v[213:214], v[215:216], v[213:214]
	v_rcp_f64_e32 v[219:220], v[217:218]
	v_fma_f64 v[221:222], -v[217:218], v[219:220], 1.0
	v_fma_f64 v[219:220], v[219:220], v[221:222], v[219:220]
	v_fma_f64 v[221:222], -v[217:218], v[219:220], 1.0
	v_fma_f64 v[219:220], v[219:220], v[221:222], v[219:220]
	v_mul_f64 v[221:222], v[223:224], v[219:220]
	v_fma_f64 v[217:218], -v[217:218], v[221:222], v[223:224]
	v_div_fmas_f64 v[217:218], v[217:218], v[219:220], v[221:222]
	v_div_fixup_f64 v[217:218], v[217:218], v[215:216], v[213:214]
	v_fma_f64 v[213:214], v[213:214], v[217:218], v[215:216]
	v_div_scale_f64 v[215:216], null, v[213:214], v[213:214], 1.0
	v_rcp_f64_e32 v[219:220], v[215:216]
	v_fma_f64 v[221:222], -v[215:216], v[219:220], 1.0
	v_fma_f64 v[219:220], v[219:220], v[221:222], v[219:220]
	v_fma_f64 v[221:222], -v[215:216], v[219:220], 1.0
	v_fma_f64 v[219:220], v[219:220], v[221:222], v[219:220]
	v_div_scale_f64 v[221:222], vcc_lo, 1.0, v[213:214], 1.0
	v_mul_f64 v[223:224], v[221:222], v[219:220]
	v_fma_f64 v[215:216], -v[215:216], v[223:224], v[221:222]
	v_div_fmas_f64 v[215:216], v[215:216], v[219:220], v[223:224]
	v_div_fixup_f64 v[219:220], v[215:216], v[213:214], 1.0
                                        ; implicit-def: $vgpr213_vgpr214
	v_mul_f64 v[217:218], v[217:218], v[219:220]
	v_xor_b32_e32 v220, 0x80000000, v220
.LBB93_347:
	s_andn2_saveexec_b32 s1, s1
	s_cbranch_execz .LBB93_349
; %bb.348:
	v_div_scale_f64 v[217:218], null, v[213:214], v[213:214], v[215:216]
	v_div_scale_f64 v[223:224], vcc_lo, v[215:216], v[213:214], v[215:216]
	v_rcp_f64_e32 v[219:220], v[217:218]
	v_fma_f64 v[221:222], -v[217:218], v[219:220], 1.0
	v_fma_f64 v[219:220], v[219:220], v[221:222], v[219:220]
	v_fma_f64 v[221:222], -v[217:218], v[219:220], 1.0
	v_fma_f64 v[219:220], v[219:220], v[221:222], v[219:220]
	v_mul_f64 v[221:222], v[223:224], v[219:220]
	v_fma_f64 v[217:218], -v[217:218], v[221:222], v[223:224]
	v_div_fmas_f64 v[217:218], v[217:218], v[219:220], v[221:222]
	v_div_fixup_f64 v[219:220], v[217:218], v[213:214], v[215:216]
	v_fma_f64 v[213:214], v[215:216], v[219:220], v[213:214]
	v_div_scale_f64 v[215:216], null, v[213:214], v[213:214], 1.0
	v_rcp_f64_e32 v[217:218], v[215:216]
	v_fma_f64 v[221:222], -v[215:216], v[217:218], 1.0
	v_fma_f64 v[217:218], v[217:218], v[221:222], v[217:218]
	v_fma_f64 v[221:222], -v[215:216], v[217:218], 1.0
	v_fma_f64 v[217:218], v[217:218], v[221:222], v[217:218]
	v_div_scale_f64 v[221:222], vcc_lo, 1.0, v[213:214], 1.0
	v_mul_f64 v[223:224], v[221:222], v[217:218]
	v_fma_f64 v[215:216], -v[215:216], v[223:224], v[221:222]
	v_div_fmas_f64 v[215:216], v[215:216], v[217:218], v[223:224]
	v_div_fixup_f64 v[217:218], v[215:216], v[213:214], 1.0
	v_mul_f64 v[219:220], v[219:220], -v[217:218]
.LBB93_349:
	s_or_b32 exec_lo, exec_lo, s1
	ds_write2_b64 v255, v[217:218], v[219:220] offset1:1
.LBB93_350:
	s_or_b32 exec_lo, exec_lo, s2
	s_waitcnt lgkmcnt(0)
	s_barrier
	buffer_gl0_inv
	ds_read2_b64 v[211:214], v255 offset1:1
	s_mov_b32 s1, exec_lo
	v_cmpx_lt_u32_e32 38, v0
	s_cbranch_execz .LBB93_352
; %bb.351:
	s_waitcnt lgkmcnt(0)
	v_mul_f64 v[217:218], v[211:212], v[35:36]
	v_mul_f64 v[35:36], v[213:214], v[35:36]
	v_fma_f64 v[221:222], v[213:214], v[33:34], v[217:218]
	ds_read2_b64 v[217:220], v253 offset0:78 offset1:79
	v_fma_f64 v[33:34], v[211:212], v[33:34], -v[35:36]
	s_waitcnt lgkmcnt(0)
	v_mul_f64 v[35:36], v[219:220], v[221:222]
	v_fma_f64 v[35:36], v[217:218], v[33:34], -v[35:36]
	v_mul_f64 v[217:218], v[217:218], v[221:222]
	v_add_f64 v[29:30], v[29:30], -v[35:36]
	v_fma_f64 v[217:218], v[219:220], v[33:34], v[217:218]
	v_add_f64 v[31:32], v[31:32], -v[217:218]
	ds_read2_b64 v[217:220], v253 offset0:80 offset1:81
	s_waitcnt lgkmcnt(0)
	v_mul_f64 v[35:36], v[219:220], v[221:222]
	v_fma_f64 v[35:36], v[217:218], v[33:34], -v[35:36]
	v_mul_f64 v[217:218], v[217:218], v[221:222]
	v_add_f64 v[25:26], v[25:26], -v[35:36]
	v_fma_f64 v[217:218], v[219:220], v[33:34], v[217:218]
	v_add_f64 v[27:28], v[27:28], -v[217:218]
	ds_read2_b64 v[217:220], v253 offset0:82 offset1:83
	;; [unrolled: 8-line block ×7, first 2 shown]
	s_waitcnt lgkmcnt(0)
	v_mul_f64 v[35:36], v[219:220], v[221:222]
	v_fma_f64 v[35:36], v[217:218], v[33:34], -v[35:36]
	v_mul_f64 v[217:218], v[217:218], v[221:222]
	v_add_f64 v[1:2], v[1:2], -v[35:36]
	v_fma_f64 v[217:218], v[219:220], v[33:34], v[217:218]
	v_mov_b32_e32 v35, v221
	v_mov_b32_e32 v36, v222
	v_add_f64 v[3:4], v[3:4], -v[217:218]
.LBB93_352:
	s_or_b32 exec_lo, exec_lo, s1
	s_mov_b32 s2, exec_lo
	s_waitcnt lgkmcnt(0)
	s_barrier
	buffer_gl0_inv
	v_cmpx_eq_u32_e32 39, v0
	s_cbranch_execz .LBB93_359
; %bb.353:
	ds_write2_b64 v255, v[29:30], v[31:32] offset1:1
	ds_write2_b64 v253, v[25:26], v[27:28] offset0:80 offset1:81
	ds_write2_b64 v253, v[21:22], v[23:24] offset0:82 offset1:83
	;; [unrolled: 1-line block ×7, first 2 shown]
	ds_read2_b64 v[217:220], v255 offset1:1
	s_waitcnt lgkmcnt(0)
	v_cmp_neq_f64_e32 vcc_lo, 0, v[217:218]
	v_cmp_neq_f64_e64 s1, 0, v[219:220]
	s_or_b32 s1, vcc_lo, s1
	s_and_b32 exec_lo, exec_lo, s1
	s_cbranch_execz .LBB93_359
; %bb.354:
	v_cmp_ngt_f64_e64 s1, |v[217:218]|, |v[219:220]|
                                        ; implicit-def: $vgpr221_vgpr222
	s_and_saveexec_b32 s3, s1
	s_xor_b32 s1, exec_lo, s3
                                        ; implicit-def: $vgpr223_vgpr224
	s_cbranch_execz .LBB93_356
; %bb.355:
	v_div_scale_f64 v[221:222], null, v[219:220], v[219:220], v[217:218]
	v_div_scale_f64 v[227:228], vcc_lo, v[217:218], v[219:220], v[217:218]
	v_rcp_f64_e32 v[223:224], v[221:222]
	v_fma_f64 v[225:226], -v[221:222], v[223:224], 1.0
	v_fma_f64 v[223:224], v[223:224], v[225:226], v[223:224]
	v_fma_f64 v[225:226], -v[221:222], v[223:224], 1.0
	v_fma_f64 v[223:224], v[223:224], v[225:226], v[223:224]
	v_mul_f64 v[225:226], v[227:228], v[223:224]
	v_fma_f64 v[221:222], -v[221:222], v[225:226], v[227:228]
	v_div_fmas_f64 v[221:222], v[221:222], v[223:224], v[225:226]
	v_div_fixup_f64 v[221:222], v[221:222], v[219:220], v[217:218]
	v_fma_f64 v[217:218], v[217:218], v[221:222], v[219:220]
	v_div_scale_f64 v[219:220], null, v[217:218], v[217:218], 1.0
	v_rcp_f64_e32 v[223:224], v[219:220]
	v_fma_f64 v[225:226], -v[219:220], v[223:224], 1.0
	v_fma_f64 v[223:224], v[223:224], v[225:226], v[223:224]
	v_fma_f64 v[225:226], -v[219:220], v[223:224], 1.0
	v_fma_f64 v[223:224], v[223:224], v[225:226], v[223:224]
	v_div_scale_f64 v[225:226], vcc_lo, 1.0, v[217:218], 1.0
	v_mul_f64 v[227:228], v[225:226], v[223:224]
	v_fma_f64 v[219:220], -v[219:220], v[227:228], v[225:226]
	v_div_fmas_f64 v[219:220], v[219:220], v[223:224], v[227:228]
	v_div_fixup_f64 v[223:224], v[219:220], v[217:218], 1.0
                                        ; implicit-def: $vgpr217_vgpr218
	v_mul_f64 v[221:222], v[221:222], v[223:224]
	v_xor_b32_e32 v224, 0x80000000, v224
.LBB93_356:
	s_andn2_saveexec_b32 s1, s1
	s_cbranch_execz .LBB93_358
; %bb.357:
	v_div_scale_f64 v[221:222], null, v[217:218], v[217:218], v[219:220]
	v_div_scale_f64 v[227:228], vcc_lo, v[219:220], v[217:218], v[219:220]
	v_rcp_f64_e32 v[223:224], v[221:222]
	v_fma_f64 v[225:226], -v[221:222], v[223:224], 1.0
	v_fma_f64 v[223:224], v[223:224], v[225:226], v[223:224]
	v_fma_f64 v[225:226], -v[221:222], v[223:224], 1.0
	v_fma_f64 v[223:224], v[223:224], v[225:226], v[223:224]
	v_mul_f64 v[225:226], v[227:228], v[223:224]
	v_fma_f64 v[221:222], -v[221:222], v[225:226], v[227:228]
	v_div_fmas_f64 v[221:222], v[221:222], v[223:224], v[225:226]
	v_div_fixup_f64 v[223:224], v[221:222], v[217:218], v[219:220]
	v_fma_f64 v[217:218], v[219:220], v[223:224], v[217:218]
	v_div_scale_f64 v[219:220], null, v[217:218], v[217:218], 1.0
	v_rcp_f64_e32 v[221:222], v[219:220]
	v_fma_f64 v[225:226], -v[219:220], v[221:222], 1.0
	v_fma_f64 v[221:222], v[221:222], v[225:226], v[221:222]
	v_fma_f64 v[225:226], -v[219:220], v[221:222], 1.0
	v_fma_f64 v[221:222], v[221:222], v[225:226], v[221:222]
	v_div_scale_f64 v[225:226], vcc_lo, 1.0, v[217:218], 1.0
	v_mul_f64 v[227:228], v[225:226], v[221:222]
	v_fma_f64 v[219:220], -v[219:220], v[227:228], v[225:226]
	v_div_fmas_f64 v[219:220], v[219:220], v[221:222], v[227:228]
	v_div_fixup_f64 v[221:222], v[219:220], v[217:218], 1.0
	v_mul_f64 v[223:224], v[223:224], -v[221:222]
.LBB93_358:
	s_or_b32 exec_lo, exec_lo, s1
	ds_write2_b64 v255, v[221:222], v[223:224] offset1:1
.LBB93_359:
	s_or_b32 exec_lo, exec_lo, s2
	s_waitcnt lgkmcnt(0)
	s_barrier
	buffer_gl0_inv
	ds_read2_b64 v[215:218], v255 offset1:1
	s_mov_b32 s1, exec_lo
	v_cmpx_lt_u32_e32 39, v0
	s_cbranch_execz .LBB93_361
; %bb.360:
	s_waitcnt lgkmcnt(0)
	v_mul_f64 v[221:222], v[215:216], v[31:32]
	v_mul_f64 v[31:32], v[217:218], v[31:32]
	v_fma_f64 v[225:226], v[217:218], v[29:30], v[221:222]
	ds_read2_b64 v[221:224], v253 offset0:80 offset1:81
	v_fma_f64 v[29:30], v[215:216], v[29:30], -v[31:32]
	s_waitcnt lgkmcnt(0)
	v_mul_f64 v[31:32], v[223:224], v[225:226]
	v_fma_f64 v[31:32], v[221:222], v[29:30], -v[31:32]
	v_mul_f64 v[221:222], v[221:222], v[225:226]
	v_add_f64 v[25:26], v[25:26], -v[31:32]
	v_fma_f64 v[221:222], v[223:224], v[29:30], v[221:222]
	v_add_f64 v[27:28], v[27:28], -v[221:222]
	ds_read2_b64 v[221:224], v253 offset0:82 offset1:83
	s_waitcnt lgkmcnt(0)
	v_mul_f64 v[31:32], v[223:224], v[225:226]
	v_fma_f64 v[31:32], v[221:222], v[29:30], -v[31:32]
	v_mul_f64 v[221:222], v[221:222], v[225:226]
	v_add_f64 v[21:22], v[21:22], -v[31:32]
	v_fma_f64 v[221:222], v[223:224], v[29:30], v[221:222]
	v_add_f64 v[23:24], v[23:24], -v[221:222]
	ds_read2_b64 v[221:224], v253 offset0:84 offset1:85
	;; [unrolled: 8-line block ×6, first 2 shown]
	s_waitcnt lgkmcnt(0)
	v_mul_f64 v[31:32], v[223:224], v[225:226]
	v_fma_f64 v[31:32], v[221:222], v[29:30], -v[31:32]
	v_mul_f64 v[221:222], v[221:222], v[225:226]
	v_add_f64 v[1:2], v[1:2], -v[31:32]
	v_fma_f64 v[221:222], v[223:224], v[29:30], v[221:222]
	v_mov_b32_e32 v31, v225
	v_mov_b32_e32 v32, v226
	v_add_f64 v[3:4], v[3:4], -v[221:222]
.LBB93_361:
	s_or_b32 exec_lo, exec_lo, s1
	s_mov_b32 s2, exec_lo
	s_waitcnt lgkmcnt(0)
	s_barrier
	buffer_gl0_inv
	v_cmpx_eq_u32_e32 40, v0
	s_cbranch_execz .LBB93_368
; %bb.362:
	ds_write2_b64 v255, v[25:26], v[27:28] offset1:1
	ds_write2_b64 v253, v[21:22], v[23:24] offset0:82 offset1:83
	ds_write2_b64 v253, v[17:18], v[19:20] offset0:84 offset1:85
	;; [unrolled: 1-line block ×6, first 2 shown]
	ds_read2_b64 v[221:224], v255 offset1:1
	s_waitcnt lgkmcnt(0)
	v_cmp_neq_f64_e32 vcc_lo, 0, v[221:222]
	v_cmp_neq_f64_e64 s1, 0, v[223:224]
	s_or_b32 s1, vcc_lo, s1
	s_and_b32 exec_lo, exec_lo, s1
	s_cbranch_execz .LBB93_368
; %bb.363:
	v_cmp_ngt_f64_e64 s1, |v[221:222]|, |v[223:224]|
                                        ; implicit-def: $vgpr225_vgpr226
	s_and_saveexec_b32 s3, s1
	s_xor_b32 s1, exec_lo, s3
                                        ; implicit-def: $vgpr227_vgpr228
	s_cbranch_execz .LBB93_365
; %bb.364:
	v_div_scale_f64 v[225:226], null, v[223:224], v[223:224], v[221:222]
	v_div_scale_f64 v[231:232], vcc_lo, v[221:222], v[223:224], v[221:222]
	v_rcp_f64_e32 v[227:228], v[225:226]
	v_fma_f64 v[229:230], -v[225:226], v[227:228], 1.0
	v_fma_f64 v[227:228], v[227:228], v[229:230], v[227:228]
	v_fma_f64 v[229:230], -v[225:226], v[227:228], 1.0
	v_fma_f64 v[227:228], v[227:228], v[229:230], v[227:228]
	v_mul_f64 v[229:230], v[231:232], v[227:228]
	v_fma_f64 v[225:226], -v[225:226], v[229:230], v[231:232]
	v_div_fmas_f64 v[225:226], v[225:226], v[227:228], v[229:230]
	v_div_fixup_f64 v[225:226], v[225:226], v[223:224], v[221:222]
	v_fma_f64 v[221:222], v[221:222], v[225:226], v[223:224]
	v_div_scale_f64 v[223:224], null, v[221:222], v[221:222], 1.0
	v_rcp_f64_e32 v[227:228], v[223:224]
	v_fma_f64 v[229:230], -v[223:224], v[227:228], 1.0
	v_fma_f64 v[227:228], v[227:228], v[229:230], v[227:228]
	v_fma_f64 v[229:230], -v[223:224], v[227:228], 1.0
	v_fma_f64 v[227:228], v[227:228], v[229:230], v[227:228]
	v_div_scale_f64 v[229:230], vcc_lo, 1.0, v[221:222], 1.0
	v_mul_f64 v[231:232], v[229:230], v[227:228]
	v_fma_f64 v[223:224], -v[223:224], v[231:232], v[229:230]
	v_div_fmas_f64 v[223:224], v[223:224], v[227:228], v[231:232]
	v_div_fixup_f64 v[227:228], v[223:224], v[221:222], 1.0
                                        ; implicit-def: $vgpr221_vgpr222
	v_mul_f64 v[225:226], v[225:226], v[227:228]
	v_xor_b32_e32 v228, 0x80000000, v228
.LBB93_365:
	s_andn2_saveexec_b32 s1, s1
	s_cbranch_execz .LBB93_367
; %bb.366:
	v_div_scale_f64 v[225:226], null, v[221:222], v[221:222], v[223:224]
	v_div_scale_f64 v[231:232], vcc_lo, v[223:224], v[221:222], v[223:224]
	v_rcp_f64_e32 v[227:228], v[225:226]
	v_fma_f64 v[229:230], -v[225:226], v[227:228], 1.0
	v_fma_f64 v[227:228], v[227:228], v[229:230], v[227:228]
	v_fma_f64 v[229:230], -v[225:226], v[227:228], 1.0
	v_fma_f64 v[227:228], v[227:228], v[229:230], v[227:228]
	v_mul_f64 v[229:230], v[231:232], v[227:228]
	v_fma_f64 v[225:226], -v[225:226], v[229:230], v[231:232]
	v_div_fmas_f64 v[225:226], v[225:226], v[227:228], v[229:230]
	v_div_fixup_f64 v[227:228], v[225:226], v[221:222], v[223:224]
	v_fma_f64 v[221:222], v[223:224], v[227:228], v[221:222]
	v_div_scale_f64 v[223:224], null, v[221:222], v[221:222], 1.0
	v_rcp_f64_e32 v[225:226], v[223:224]
	v_fma_f64 v[229:230], -v[223:224], v[225:226], 1.0
	v_fma_f64 v[225:226], v[225:226], v[229:230], v[225:226]
	v_fma_f64 v[229:230], -v[223:224], v[225:226], 1.0
	v_fma_f64 v[225:226], v[225:226], v[229:230], v[225:226]
	v_div_scale_f64 v[229:230], vcc_lo, 1.0, v[221:222], 1.0
	v_mul_f64 v[231:232], v[229:230], v[225:226]
	v_fma_f64 v[223:224], -v[223:224], v[231:232], v[229:230]
	v_div_fmas_f64 v[223:224], v[223:224], v[225:226], v[231:232]
	v_div_fixup_f64 v[225:226], v[223:224], v[221:222], 1.0
	v_mul_f64 v[227:228], v[227:228], -v[225:226]
.LBB93_367:
	s_or_b32 exec_lo, exec_lo, s1
	ds_write2_b64 v255, v[225:226], v[227:228] offset1:1
.LBB93_368:
	s_or_b32 exec_lo, exec_lo, s2
	s_waitcnt lgkmcnt(0)
	s_barrier
	buffer_gl0_inv
	ds_read2_b64 v[219:222], v255 offset1:1
	s_mov_b32 s1, exec_lo
	v_cmpx_lt_u32_e32 40, v0
	s_cbranch_execz .LBB93_370
; %bb.369:
	s_waitcnt lgkmcnt(0)
	v_mul_f64 v[225:226], v[219:220], v[27:28]
	v_mul_f64 v[27:28], v[221:222], v[27:28]
	v_fma_f64 v[229:230], v[221:222], v[25:26], v[225:226]
	ds_read2_b64 v[225:228], v253 offset0:82 offset1:83
	v_fma_f64 v[25:26], v[219:220], v[25:26], -v[27:28]
	s_waitcnt lgkmcnt(0)
	v_mul_f64 v[27:28], v[227:228], v[229:230]
	v_fma_f64 v[27:28], v[225:226], v[25:26], -v[27:28]
	v_mul_f64 v[225:226], v[225:226], v[229:230]
	v_add_f64 v[21:22], v[21:22], -v[27:28]
	v_fma_f64 v[225:226], v[227:228], v[25:26], v[225:226]
	v_add_f64 v[23:24], v[23:24], -v[225:226]
	ds_read2_b64 v[225:228], v253 offset0:84 offset1:85
	s_waitcnt lgkmcnt(0)
	v_mul_f64 v[27:28], v[227:228], v[229:230]
	v_fma_f64 v[27:28], v[225:226], v[25:26], -v[27:28]
	v_mul_f64 v[225:226], v[225:226], v[229:230]
	v_add_f64 v[17:18], v[17:18], -v[27:28]
	v_fma_f64 v[225:226], v[227:228], v[25:26], v[225:226]
	v_add_f64 v[19:20], v[19:20], -v[225:226]
	ds_read2_b64 v[225:228], v253 offset0:86 offset1:87
	;; [unrolled: 8-line block ×5, first 2 shown]
	s_waitcnt lgkmcnt(0)
	v_mul_f64 v[27:28], v[227:228], v[229:230]
	v_fma_f64 v[27:28], v[225:226], v[25:26], -v[27:28]
	v_mul_f64 v[225:226], v[225:226], v[229:230]
	v_add_f64 v[1:2], v[1:2], -v[27:28]
	v_fma_f64 v[225:226], v[227:228], v[25:26], v[225:226]
	v_mov_b32_e32 v27, v229
	v_mov_b32_e32 v28, v230
	v_add_f64 v[3:4], v[3:4], -v[225:226]
.LBB93_370:
	s_or_b32 exec_lo, exec_lo, s1
	s_mov_b32 s2, exec_lo
	s_waitcnt lgkmcnt(0)
	s_barrier
	buffer_gl0_inv
	v_cmpx_eq_u32_e32 41, v0
	s_cbranch_execz .LBB93_377
; %bb.371:
	ds_write2_b64 v255, v[21:22], v[23:24] offset1:1
	ds_write2_b64 v253, v[17:18], v[19:20] offset0:84 offset1:85
	ds_write2_b64 v253, v[13:14], v[15:16] offset0:86 offset1:87
	;; [unrolled: 1-line block ×5, first 2 shown]
	ds_read2_b64 v[225:228], v255 offset1:1
	s_waitcnt lgkmcnt(0)
	v_cmp_neq_f64_e32 vcc_lo, 0, v[225:226]
	v_cmp_neq_f64_e64 s1, 0, v[227:228]
	s_or_b32 s1, vcc_lo, s1
	s_and_b32 exec_lo, exec_lo, s1
	s_cbranch_execz .LBB93_377
; %bb.372:
	v_cmp_ngt_f64_e64 s1, |v[225:226]|, |v[227:228]|
                                        ; implicit-def: $vgpr229_vgpr230
	s_and_saveexec_b32 s3, s1
	s_xor_b32 s1, exec_lo, s3
                                        ; implicit-def: $vgpr231_vgpr232
	s_cbranch_execz .LBB93_374
; %bb.373:
	v_div_scale_f64 v[229:230], null, v[227:228], v[227:228], v[225:226]
	v_div_scale_f64 v[235:236], vcc_lo, v[225:226], v[227:228], v[225:226]
	v_rcp_f64_e32 v[231:232], v[229:230]
	v_fma_f64 v[233:234], -v[229:230], v[231:232], 1.0
	v_fma_f64 v[231:232], v[231:232], v[233:234], v[231:232]
	v_fma_f64 v[233:234], -v[229:230], v[231:232], 1.0
	v_fma_f64 v[231:232], v[231:232], v[233:234], v[231:232]
	v_mul_f64 v[233:234], v[235:236], v[231:232]
	v_fma_f64 v[229:230], -v[229:230], v[233:234], v[235:236]
	v_div_fmas_f64 v[229:230], v[229:230], v[231:232], v[233:234]
	v_div_fixup_f64 v[229:230], v[229:230], v[227:228], v[225:226]
	v_fma_f64 v[225:226], v[225:226], v[229:230], v[227:228]
	v_div_scale_f64 v[227:228], null, v[225:226], v[225:226], 1.0
	v_rcp_f64_e32 v[231:232], v[227:228]
	v_fma_f64 v[233:234], -v[227:228], v[231:232], 1.0
	v_fma_f64 v[231:232], v[231:232], v[233:234], v[231:232]
	v_fma_f64 v[233:234], -v[227:228], v[231:232], 1.0
	v_fma_f64 v[231:232], v[231:232], v[233:234], v[231:232]
	v_div_scale_f64 v[233:234], vcc_lo, 1.0, v[225:226], 1.0
	v_mul_f64 v[235:236], v[233:234], v[231:232]
	v_fma_f64 v[227:228], -v[227:228], v[235:236], v[233:234]
	v_div_fmas_f64 v[227:228], v[227:228], v[231:232], v[235:236]
	v_div_fixup_f64 v[231:232], v[227:228], v[225:226], 1.0
                                        ; implicit-def: $vgpr225_vgpr226
	v_mul_f64 v[229:230], v[229:230], v[231:232]
	v_xor_b32_e32 v232, 0x80000000, v232
.LBB93_374:
	s_andn2_saveexec_b32 s1, s1
	s_cbranch_execz .LBB93_376
; %bb.375:
	v_div_scale_f64 v[229:230], null, v[225:226], v[225:226], v[227:228]
	v_div_scale_f64 v[235:236], vcc_lo, v[227:228], v[225:226], v[227:228]
	v_rcp_f64_e32 v[231:232], v[229:230]
	v_fma_f64 v[233:234], -v[229:230], v[231:232], 1.0
	v_fma_f64 v[231:232], v[231:232], v[233:234], v[231:232]
	v_fma_f64 v[233:234], -v[229:230], v[231:232], 1.0
	v_fma_f64 v[231:232], v[231:232], v[233:234], v[231:232]
	v_mul_f64 v[233:234], v[235:236], v[231:232]
	v_fma_f64 v[229:230], -v[229:230], v[233:234], v[235:236]
	v_div_fmas_f64 v[229:230], v[229:230], v[231:232], v[233:234]
	v_div_fixup_f64 v[231:232], v[229:230], v[225:226], v[227:228]
	v_fma_f64 v[225:226], v[227:228], v[231:232], v[225:226]
	v_div_scale_f64 v[227:228], null, v[225:226], v[225:226], 1.0
	v_rcp_f64_e32 v[229:230], v[227:228]
	v_fma_f64 v[233:234], -v[227:228], v[229:230], 1.0
	v_fma_f64 v[229:230], v[229:230], v[233:234], v[229:230]
	v_fma_f64 v[233:234], -v[227:228], v[229:230], 1.0
	v_fma_f64 v[229:230], v[229:230], v[233:234], v[229:230]
	v_div_scale_f64 v[233:234], vcc_lo, 1.0, v[225:226], 1.0
	v_mul_f64 v[235:236], v[233:234], v[229:230]
	v_fma_f64 v[227:228], -v[227:228], v[235:236], v[233:234]
	v_div_fmas_f64 v[227:228], v[227:228], v[229:230], v[235:236]
	v_div_fixup_f64 v[229:230], v[227:228], v[225:226], 1.0
	v_mul_f64 v[231:232], v[231:232], -v[229:230]
.LBB93_376:
	s_or_b32 exec_lo, exec_lo, s1
	ds_write2_b64 v255, v[229:230], v[231:232] offset1:1
.LBB93_377:
	s_or_b32 exec_lo, exec_lo, s2
	s_waitcnt lgkmcnt(0)
	s_barrier
	buffer_gl0_inv
	ds_read2_b64 v[223:226], v255 offset1:1
	s_mov_b32 s1, exec_lo
	v_cmpx_lt_u32_e32 41, v0
	s_cbranch_execz .LBB93_379
; %bb.378:
	s_waitcnt lgkmcnt(0)
	v_mul_f64 v[229:230], v[223:224], v[23:24]
	v_mul_f64 v[23:24], v[225:226], v[23:24]
	v_fma_f64 v[233:234], v[225:226], v[21:22], v[229:230]
	ds_read2_b64 v[229:232], v253 offset0:84 offset1:85
	v_fma_f64 v[21:22], v[223:224], v[21:22], -v[23:24]
	s_waitcnt lgkmcnt(0)
	v_mul_f64 v[23:24], v[231:232], v[233:234]
	v_fma_f64 v[23:24], v[229:230], v[21:22], -v[23:24]
	v_mul_f64 v[229:230], v[229:230], v[233:234]
	v_add_f64 v[17:18], v[17:18], -v[23:24]
	v_fma_f64 v[229:230], v[231:232], v[21:22], v[229:230]
	v_add_f64 v[19:20], v[19:20], -v[229:230]
	ds_read2_b64 v[229:232], v253 offset0:86 offset1:87
	s_waitcnt lgkmcnt(0)
	v_mul_f64 v[23:24], v[231:232], v[233:234]
	v_fma_f64 v[23:24], v[229:230], v[21:22], -v[23:24]
	v_mul_f64 v[229:230], v[229:230], v[233:234]
	v_add_f64 v[13:14], v[13:14], -v[23:24]
	v_fma_f64 v[229:230], v[231:232], v[21:22], v[229:230]
	v_add_f64 v[15:16], v[15:16], -v[229:230]
	ds_read2_b64 v[229:232], v253 offset0:88 offset1:89
	;; [unrolled: 8-line block ×4, first 2 shown]
	s_waitcnt lgkmcnt(0)
	v_mul_f64 v[23:24], v[231:232], v[233:234]
	v_fma_f64 v[23:24], v[229:230], v[21:22], -v[23:24]
	v_mul_f64 v[229:230], v[229:230], v[233:234]
	v_add_f64 v[1:2], v[1:2], -v[23:24]
	v_fma_f64 v[229:230], v[231:232], v[21:22], v[229:230]
	v_mov_b32_e32 v23, v233
	v_mov_b32_e32 v24, v234
	v_add_f64 v[3:4], v[3:4], -v[229:230]
.LBB93_379:
	s_or_b32 exec_lo, exec_lo, s1
	s_mov_b32 s2, exec_lo
	s_waitcnt lgkmcnt(0)
	s_barrier
	buffer_gl0_inv
	v_cmpx_eq_u32_e32 42, v0
	s_cbranch_execz .LBB93_386
; %bb.380:
	ds_write2_b64 v255, v[17:18], v[19:20] offset1:1
	ds_write2_b64 v253, v[13:14], v[15:16] offset0:86 offset1:87
	ds_write2_b64 v253, v[9:10], v[11:12] offset0:88 offset1:89
	;; [unrolled: 1-line block ×4, first 2 shown]
	ds_read2_b64 v[229:232], v255 offset1:1
	s_waitcnt lgkmcnt(0)
	v_cmp_neq_f64_e32 vcc_lo, 0, v[229:230]
	v_cmp_neq_f64_e64 s1, 0, v[231:232]
	s_or_b32 s1, vcc_lo, s1
	s_and_b32 exec_lo, exec_lo, s1
	s_cbranch_execz .LBB93_386
; %bb.381:
	v_cmp_ngt_f64_e64 s1, |v[229:230]|, |v[231:232]|
                                        ; implicit-def: $vgpr233_vgpr234
	s_and_saveexec_b32 s3, s1
	s_xor_b32 s1, exec_lo, s3
                                        ; implicit-def: $vgpr235_vgpr236
	s_cbranch_execz .LBB93_383
; %bb.382:
	v_div_scale_f64 v[233:234], null, v[231:232], v[231:232], v[229:230]
	v_div_scale_f64 v[239:240], vcc_lo, v[229:230], v[231:232], v[229:230]
	v_rcp_f64_e32 v[235:236], v[233:234]
	v_fma_f64 v[237:238], -v[233:234], v[235:236], 1.0
	v_fma_f64 v[235:236], v[235:236], v[237:238], v[235:236]
	v_fma_f64 v[237:238], -v[233:234], v[235:236], 1.0
	v_fma_f64 v[235:236], v[235:236], v[237:238], v[235:236]
	v_mul_f64 v[237:238], v[239:240], v[235:236]
	v_fma_f64 v[233:234], -v[233:234], v[237:238], v[239:240]
	v_div_fmas_f64 v[233:234], v[233:234], v[235:236], v[237:238]
	v_div_fixup_f64 v[233:234], v[233:234], v[231:232], v[229:230]
	v_fma_f64 v[229:230], v[229:230], v[233:234], v[231:232]
	v_div_scale_f64 v[231:232], null, v[229:230], v[229:230], 1.0
	v_rcp_f64_e32 v[235:236], v[231:232]
	v_fma_f64 v[237:238], -v[231:232], v[235:236], 1.0
	v_fma_f64 v[235:236], v[235:236], v[237:238], v[235:236]
	v_fma_f64 v[237:238], -v[231:232], v[235:236], 1.0
	v_fma_f64 v[235:236], v[235:236], v[237:238], v[235:236]
	v_div_scale_f64 v[237:238], vcc_lo, 1.0, v[229:230], 1.0
	v_mul_f64 v[239:240], v[237:238], v[235:236]
	v_fma_f64 v[231:232], -v[231:232], v[239:240], v[237:238]
	v_div_fmas_f64 v[231:232], v[231:232], v[235:236], v[239:240]
	v_div_fixup_f64 v[235:236], v[231:232], v[229:230], 1.0
                                        ; implicit-def: $vgpr229_vgpr230
	v_mul_f64 v[233:234], v[233:234], v[235:236]
	v_xor_b32_e32 v236, 0x80000000, v236
.LBB93_383:
	s_andn2_saveexec_b32 s1, s1
	s_cbranch_execz .LBB93_385
; %bb.384:
	v_div_scale_f64 v[233:234], null, v[229:230], v[229:230], v[231:232]
	v_div_scale_f64 v[239:240], vcc_lo, v[231:232], v[229:230], v[231:232]
	v_rcp_f64_e32 v[235:236], v[233:234]
	v_fma_f64 v[237:238], -v[233:234], v[235:236], 1.0
	v_fma_f64 v[235:236], v[235:236], v[237:238], v[235:236]
	v_fma_f64 v[237:238], -v[233:234], v[235:236], 1.0
	v_fma_f64 v[235:236], v[235:236], v[237:238], v[235:236]
	v_mul_f64 v[237:238], v[239:240], v[235:236]
	v_fma_f64 v[233:234], -v[233:234], v[237:238], v[239:240]
	v_div_fmas_f64 v[233:234], v[233:234], v[235:236], v[237:238]
	v_div_fixup_f64 v[235:236], v[233:234], v[229:230], v[231:232]
	v_fma_f64 v[229:230], v[231:232], v[235:236], v[229:230]
	v_div_scale_f64 v[231:232], null, v[229:230], v[229:230], 1.0
	v_rcp_f64_e32 v[233:234], v[231:232]
	v_fma_f64 v[237:238], -v[231:232], v[233:234], 1.0
	v_fma_f64 v[233:234], v[233:234], v[237:238], v[233:234]
	v_fma_f64 v[237:238], -v[231:232], v[233:234], 1.0
	v_fma_f64 v[233:234], v[233:234], v[237:238], v[233:234]
	v_div_scale_f64 v[237:238], vcc_lo, 1.0, v[229:230], 1.0
	v_mul_f64 v[239:240], v[237:238], v[233:234]
	v_fma_f64 v[231:232], -v[231:232], v[239:240], v[237:238]
	v_div_fmas_f64 v[231:232], v[231:232], v[233:234], v[239:240]
	v_div_fixup_f64 v[233:234], v[231:232], v[229:230], 1.0
	v_mul_f64 v[235:236], v[235:236], -v[233:234]
.LBB93_385:
	s_or_b32 exec_lo, exec_lo, s1
	ds_write2_b64 v255, v[233:234], v[235:236] offset1:1
.LBB93_386:
	s_or_b32 exec_lo, exec_lo, s2
	s_waitcnt lgkmcnt(0)
	s_barrier
	buffer_gl0_inv
	ds_read2_b64 v[227:230], v255 offset1:1
	s_mov_b32 s1, exec_lo
	v_cmpx_lt_u32_e32 42, v0
	s_cbranch_execz .LBB93_388
; %bb.387:
	s_waitcnt lgkmcnt(0)
	v_mul_f64 v[233:234], v[227:228], v[19:20]
	v_mul_f64 v[19:20], v[229:230], v[19:20]
	v_fma_f64 v[237:238], v[229:230], v[17:18], v[233:234]
	ds_read2_b64 v[233:236], v253 offset0:86 offset1:87
	v_fma_f64 v[17:18], v[227:228], v[17:18], -v[19:20]
	s_waitcnt lgkmcnt(0)
	v_mul_f64 v[19:20], v[235:236], v[237:238]
	v_fma_f64 v[19:20], v[233:234], v[17:18], -v[19:20]
	v_mul_f64 v[233:234], v[233:234], v[237:238]
	v_add_f64 v[13:14], v[13:14], -v[19:20]
	v_fma_f64 v[233:234], v[235:236], v[17:18], v[233:234]
	v_add_f64 v[15:16], v[15:16], -v[233:234]
	ds_read2_b64 v[233:236], v253 offset0:88 offset1:89
	s_waitcnt lgkmcnt(0)
	v_mul_f64 v[19:20], v[235:236], v[237:238]
	v_fma_f64 v[19:20], v[233:234], v[17:18], -v[19:20]
	v_mul_f64 v[233:234], v[233:234], v[237:238]
	v_add_f64 v[9:10], v[9:10], -v[19:20]
	v_fma_f64 v[233:234], v[235:236], v[17:18], v[233:234]
	v_add_f64 v[11:12], v[11:12], -v[233:234]
	ds_read2_b64 v[233:236], v253 offset0:90 offset1:91
	;; [unrolled: 8-line block ×3, first 2 shown]
	s_waitcnt lgkmcnt(0)
	v_mul_f64 v[19:20], v[235:236], v[237:238]
	v_fma_f64 v[19:20], v[233:234], v[17:18], -v[19:20]
	v_mul_f64 v[233:234], v[233:234], v[237:238]
	v_add_f64 v[1:2], v[1:2], -v[19:20]
	v_fma_f64 v[233:234], v[235:236], v[17:18], v[233:234]
	v_mov_b32_e32 v19, v237
	v_mov_b32_e32 v20, v238
	v_add_f64 v[3:4], v[3:4], -v[233:234]
.LBB93_388:
	s_or_b32 exec_lo, exec_lo, s1
	s_mov_b32 s2, exec_lo
	s_waitcnt lgkmcnt(0)
	s_barrier
	buffer_gl0_inv
	v_cmpx_eq_u32_e32 43, v0
	s_cbranch_execz .LBB93_395
; %bb.389:
	ds_write2_b64 v255, v[13:14], v[15:16] offset1:1
	ds_write2_b64 v253, v[9:10], v[11:12] offset0:88 offset1:89
	ds_write2_b64 v253, v[5:6], v[7:8] offset0:90 offset1:91
	;; [unrolled: 1-line block ×3, first 2 shown]
	ds_read2_b64 v[233:236], v255 offset1:1
	s_waitcnt lgkmcnt(0)
	v_cmp_neq_f64_e32 vcc_lo, 0, v[233:234]
	v_cmp_neq_f64_e64 s1, 0, v[235:236]
	s_or_b32 s1, vcc_lo, s1
	s_and_b32 exec_lo, exec_lo, s1
	s_cbranch_execz .LBB93_395
; %bb.390:
	v_cmp_ngt_f64_e64 s1, |v[233:234]|, |v[235:236]|
                                        ; implicit-def: $vgpr237_vgpr238
	s_and_saveexec_b32 s3, s1
	s_xor_b32 s1, exec_lo, s3
                                        ; implicit-def: $vgpr239_vgpr240
	s_cbranch_execz .LBB93_392
; %bb.391:
	v_div_scale_f64 v[237:238], null, v[235:236], v[235:236], v[233:234]
	v_div_scale_f64 v[243:244], vcc_lo, v[233:234], v[235:236], v[233:234]
	v_rcp_f64_e32 v[239:240], v[237:238]
	v_fma_f64 v[241:242], -v[237:238], v[239:240], 1.0
	v_fma_f64 v[239:240], v[239:240], v[241:242], v[239:240]
	v_fma_f64 v[241:242], -v[237:238], v[239:240], 1.0
	v_fma_f64 v[239:240], v[239:240], v[241:242], v[239:240]
	v_mul_f64 v[241:242], v[243:244], v[239:240]
	v_fma_f64 v[237:238], -v[237:238], v[241:242], v[243:244]
	v_div_fmas_f64 v[237:238], v[237:238], v[239:240], v[241:242]
	v_div_fixup_f64 v[237:238], v[237:238], v[235:236], v[233:234]
	v_fma_f64 v[233:234], v[233:234], v[237:238], v[235:236]
	v_div_scale_f64 v[235:236], null, v[233:234], v[233:234], 1.0
	v_rcp_f64_e32 v[239:240], v[235:236]
	v_fma_f64 v[241:242], -v[235:236], v[239:240], 1.0
	v_fma_f64 v[239:240], v[239:240], v[241:242], v[239:240]
	v_fma_f64 v[241:242], -v[235:236], v[239:240], 1.0
	v_fma_f64 v[239:240], v[239:240], v[241:242], v[239:240]
	v_div_scale_f64 v[241:242], vcc_lo, 1.0, v[233:234], 1.0
	v_mul_f64 v[243:244], v[241:242], v[239:240]
	v_fma_f64 v[235:236], -v[235:236], v[243:244], v[241:242]
	v_div_fmas_f64 v[235:236], v[235:236], v[239:240], v[243:244]
	v_div_fixup_f64 v[239:240], v[235:236], v[233:234], 1.0
                                        ; implicit-def: $vgpr233_vgpr234
	v_mul_f64 v[237:238], v[237:238], v[239:240]
	v_xor_b32_e32 v240, 0x80000000, v240
.LBB93_392:
	s_andn2_saveexec_b32 s1, s1
	s_cbranch_execz .LBB93_394
; %bb.393:
	v_div_scale_f64 v[237:238], null, v[233:234], v[233:234], v[235:236]
	v_div_scale_f64 v[243:244], vcc_lo, v[235:236], v[233:234], v[235:236]
	v_rcp_f64_e32 v[239:240], v[237:238]
	v_fma_f64 v[241:242], -v[237:238], v[239:240], 1.0
	v_fma_f64 v[239:240], v[239:240], v[241:242], v[239:240]
	v_fma_f64 v[241:242], -v[237:238], v[239:240], 1.0
	v_fma_f64 v[239:240], v[239:240], v[241:242], v[239:240]
	v_mul_f64 v[241:242], v[243:244], v[239:240]
	v_fma_f64 v[237:238], -v[237:238], v[241:242], v[243:244]
	v_div_fmas_f64 v[237:238], v[237:238], v[239:240], v[241:242]
	v_div_fixup_f64 v[239:240], v[237:238], v[233:234], v[235:236]
	v_fma_f64 v[233:234], v[235:236], v[239:240], v[233:234]
	v_div_scale_f64 v[235:236], null, v[233:234], v[233:234], 1.0
	v_rcp_f64_e32 v[237:238], v[235:236]
	v_fma_f64 v[241:242], -v[235:236], v[237:238], 1.0
	v_fma_f64 v[237:238], v[237:238], v[241:242], v[237:238]
	v_fma_f64 v[241:242], -v[235:236], v[237:238], 1.0
	v_fma_f64 v[237:238], v[237:238], v[241:242], v[237:238]
	v_div_scale_f64 v[241:242], vcc_lo, 1.0, v[233:234], 1.0
	v_mul_f64 v[243:244], v[241:242], v[237:238]
	v_fma_f64 v[235:236], -v[235:236], v[243:244], v[241:242]
	v_div_fmas_f64 v[235:236], v[235:236], v[237:238], v[243:244]
	v_div_fixup_f64 v[237:238], v[235:236], v[233:234], 1.0
	v_mul_f64 v[239:240], v[239:240], -v[237:238]
.LBB93_394:
	s_or_b32 exec_lo, exec_lo, s1
	ds_write2_b64 v255, v[237:238], v[239:240] offset1:1
.LBB93_395:
	s_or_b32 exec_lo, exec_lo, s2
	s_waitcnt lgkmcnt(0)
	s_barrier
	buffer_gl0_inv
	ds_read2_b64 v[231:234], v255 offset1:1
	s_mov_b32 s1, exec_lo
	v_cmpx_lt_u32_e32 43, v0
	s_cbranch_execz .LBB93_397
; %bb.396:
	s_waitcnt lgkmcnt(0)
	v_mul_f64 v[237:238], v[231:232], v[15:16]
	v_mul_f64 v[15:16], v[233:234], v[15:16]
	v_fma_f64 v[241:242], v[233:234], v[13:14], v[237:238]
	ds_read2_b64 v[237:240], v253 offset0:88 offset1:89
	v_fma_f64 v[13:14], v[231:232], v[13:14], -v[15:16]
	s_waitcnt lgkmcnt(0)
	v_mul_f64 v[15:16], v[239:240], v[241:242]
	v_fma_f64 v[15:16], v[237:238], v[13:14], -v[15:16]
	v_mul_f64 v[237:238], v[237:238], v[241:242]
	v_add_f64 v[9:10], v[9:10], -v[15:16]
	v_fma_f64 v[237:238], v[239:240], v[13:14], v[237:238]
	v_add_f64 v[11:12], v[11:12], -v[237:238]
	ds_read2_b64 v[237:240], v253 offset0:90 offset1:91
	s_waitcnt lgkmcnt(0)
	v_mul_f64 v[15:16], v[239:240], v[241:242]
	v_fma_f64 v[15:16], v[237:238], v[13:14], -v[15:16]
	v_mul_f64 v[237:238], v[237:238], v[241:242]
	v_add_f64 v[5:6], v[5:6], -v[15:16]
	v_fma_f64 v[237:238], v[239:240], v[13:14], v[237:238]
	v_add_f64 v[7:8], v[7:8], -v[237:238]
	ds_read2_b64 v[237:240], v253 offset0:92 offset1:93
	s_waitcnt lgkmcnt(0)
	v_mul_f64 v[15:16], v[239:240], v[241:242]
	v_fma_f64 v[15:16], v[237:238], v[13:14], -v[15:16]
	v_mul_f64 v[237:238], v[237:238], v[241:242]
	v_add_f64 v[1:2], v[1:2], -v[15:16]
	v_fma_f64 v[237:238], v[239:240], v[13:14], v[237:238]
	v_mov_b32_e32 v15, v241
	v_mov_b32_e32 v16, v242
	v_add_f64 v[3:4], v[3:4], -v[237:238]
.LBB93_397:
	s_or_b32 exec_lo, exec_lo, s1
	s_mov_b32 s2, exec_lo
	s_waitcnt lgkmcnt(0)
	s_barrier
	buffer_gl0_inv
	v_cmpx_eq_u32_e32 44, v0
	s_cbranch_execz .LBB93_404
; %bb.398:
	ds_write2_b64 v255, v[9:10], v[11:12] offset1:1
	ds_write2_b64 v253, v[5:6], v[7:8] offset0:90 offset1:91
	ds_write2_b64 v253, v[1:2], v[3:4] offset0:92 offset1:93
	ds_read2_b64 v[237:240], v255 offset1:1
	s_waitcnt lgkmcnt(0)
	v_cmp_neq_f64_e32 vcc_lo, 0, v[237:238]
	v_cmp_neq_f64_e64 s1, 0, v[239:240]
	s_or_b32 s1, vcc_lo, s1
	s_and_b32 exec_lo, exec_lo, s1
	s_cbranch_execz .LBB93_404
; %bb.399:
	v_cmp_ngt_f64_e64 s1, |v[237:238]|, |v[239:240]|
                                        ; implicit-def: $vgpr241_vgpr242
	s_and_saveexec_b32 s3, s1
	s_xor_b32 s1, exec_lo, s3
                                        ; implicit-def: $vgpr243_vgpr244
	s_cbranch_execz .LBB93_401
; %bb.400:
	v_div_scale_f64 v[241:242], null, v[239:240], v[239:240], v[237:238]
	v_div_scale_f64 v[247:248], vcc_lo, v[237:238], v[239:240], v[237:238]
	v_rcp_f64_e32 v[243:244], v[241:242]
	v_fma_f64 v[245:246], -v[241:242], v[243:244], 1.0
	v_fma_f64 v[243:244], v[243:244], v[245:246], v[243:244]
	v_fma_f64 v[245:246], -v[241:242], v[243:244], 1.0
	v_fma_f64 v[243:244], v[243:244], v[245:246], v[243:244]
	v_mul_f64 v[245:246], v[247:248], v[243:244]
	v_fma_f64 v[241:242], -v[241:242], v[245:246], v[247:248]
	v_div_fmas_f64 v[241:242], v[241:242], v[243:244], v[245:246]
	v_div_fixup_f64 v[241:242], v[241:242], v[239:240], v[237:238]
	v_fma_f64 v[237:238], v[237:238], v[241:242], v[239:240]
	v_div_scale_f64 v[239:240], null, v[237:238], v[237:238], 1.0
	v_rcp_f64_e32 v[243:244], v[239:240]
	v_fma_f64 v[245:246], -v[239:240], v[243:244], 1.0
	v_fma_f64 v[243:244], v[243:244], v[245:246], v[243:244]
	v_fma_f64 v[245:246], -v[239:240], v[243:244], 1.0
	v_fma_f64 v[243:244], v[243:244], v[245:246], v[243:244]
	v_div_scale_f64 v[245:246], vcc_lo, 1.0, v[237:238], 1.0
	v_mul_f64 v[247:248], v[245:246], v[243:244]
	v_fma_f64 v[239:240], -v[239:240], v[247:248], v[245:246]
	v_div_fmas_f64 v[239:240], v[239:240], v[243:244], v[247:248]
	v_div_fixup_f64 v[243:244], v[239:240], v[237:238], 1.0
                                        ; implicit-def: $vgpr237_vgpr238
	v_mul_f64 v[241:242], v[241:242], v[243:244]
	v_xor_b32_e32 v244, 0x80000000, v244
.LBB93_401:
	s_andn2_saveexec_b32 s1, s1
	s_cbranch_execz .LBB93_403
; %bb.402:
	v_div_scale_f64 v[241:242], null, v[237:238], v[237:238], v[239:240]
	v_div_scale_f64 v[247:248], vcc_lo, v[239:240], v[237:238], v[239:240]
	v_rcp_f64_e32 v[243:244], v[241:242]
	v_fma_f64 v[245:246], -v[241:242], v[243:244], 1.0
	v_fma_f64 v[243:244], v[243:244], v[245:246], v[243:244]
	v_fma_f64 v[245:246], -v[241:242], v[243:244], 1.0
	v_fma_f64 v[243:244], v[243:244], v[245:246], v[243:244]
	v_mul_f64 v[245:246], v[247:248], v[243:244]
	v_fma_f64 v[241:242], -v[241:242], v[245:246], v[247:248]
	v_div_fmas_f64 v[241:242], v[241:242], v[243:244], v[245:246]
	v_div_fixup_f64 v[243:244], v[241:242], v[237:238], v[239:240]
	v_fma_f64 v[237:238], v[239:240], v[243:244], v[237:238]
	v_div_scale_f64 v[239:240], null, v[237:238], v[237:238], 1.0
	v_rcp_f64_e32 v[241:242], v[239:240]
	v_fma_f64 v[245:246], -v[239:240], v[241:242], 1.0
	v_fma_f64 v[241:242], v[241:242], v[245:246], v[241:242]
	v_fma_f64 v[245:246], -v[239:240], v[241:242], 1.0
	v_fma_f64 v[241:242], v[241:242], v[245:246], v[241:242]
	v_div_scale_f64 v[245:246], vcc_lo, 1.0, v[237:238], 1.0
	v_mul_f64 v[247:248], v[245:246], v[241:242]
	v_fma_f64 v[239:240], -v[239:240], v[247:248], v[245:246]
	v_div_fmas_f64 v[239:240], v[239:240], v[241:242], v[247:248]
	v_div_fixup_f64 v[241:242], v[239:240], v[237:238], 1.0
	v_mul_f64 v[243:244], v[243:244], -v[241:242]
.LBB93_403:
	s_or_b32 exec_lo, exec_lo, s1
	ds_write2_b64 v255, v[241:242], v[243:244] offset1:1
.LBB93_404:
	s_or_b32 exec_lo, exec_lo, s2
	s_waitcnt lgkmcnt(0)
	s_barrier
	buffer_gl0_inv
	ds_read2_b64 v[237:240], v255 offset1:1
	s_mov_b32 s1, exec_lo
	v_cmpx_lt_u32_e32 44, v0
	s_cbranch_execz .LBB93_406
; %bb.405:
	s_waitcnt lgkmcnt(0)
	v_mul_f64 v[241:242], v[237:238], v[11:12]
	v_mul_f64 v[11:12], v[239:240], v[11:12]
	v_fma_f64 v[245:246], v[239:240], v[9:10], v[241:242]
	ds_read2_b64 v[241:244], v253 offset0:90 offset1:91
	v_fma_f64 v[9:10], v[237:238], v[9:10], -v[11:12]
	s_waitcnt lgkmcnt(0)
	v_mul_f64 v[11:12], v[243:244], v[245:246]
	v_fma_f64 v[11:12], v[241:242], v[9:10], -v[11:12]
	v_mul_f64 v[241:242], v[241:242], v[245:246]
	v_add_f64 v[5:6], v[5:6], -v[11:12]
	v_fma_f64 v[241:242], v[243:244], v[9:10], v[241:242]
	v_add_f64 v[7:8], v[7:8], -v[241:242]
	ds_read2_b64 v[241:244], v253 offset0:92 offset1:93
	s_waitcnt lgkmcnt(0)
	v_mul_f64 v[11:12], v[243:244], v[245:246]
	v_fma_f64 v[11:12], v[241:242], v[9:10], -v[11:12]
	v_mul_f64 v[241:242], v[241:242], v[245:246]
	v_add_f64 v[1:2], v[1:2], -v[11:12]
	v_fma_f64 v[241:242], v[243:244], v[9:10], v[241:242]
	v_mov_b32_e32 v11, v245
	v_mov_b32_e32 v12, v246
	v_add_f64 v[3:4], v[3:4], -v[241:242]
.LBB93_406:
	s_or_b32 exec_lo, exec_lo, s1
	s_mov_b32 s2, exec_lo
	s_waitcnt lgkmcnt(0)
	s_barrier
	buffer_gl0_inv
	v_cmpx_eq_u32_e32 45, v0
	s_cbranch_execz .LBB93_413
; %bb.407:
	ds_write2_b64 v255, v[5:6], v[7:8] offset1:1
	ds_write2_b64 v253, v[1:2], v[3:4] offset0:92 offset1:93
	ds_read2_b64 v[241:244], v255 offset1:1
	s_waitcnt lgkmcnt(0)
	v_cmp_neq_f64_e32 vcc_lo, 0, v[241:242]
	v_cmp_neq_f64_e64 s1, 0, v[243:244]
	s_or_b32 s1, vcc_lo, s1
	s_and_b32 exec_lo, exec_lo, s1
	s_cbranch_execz .LBB93_413
; %bb.408:
	v_cmp_ngt_f64_e64 s1, |v[241:242]|, |v[243:244]|
                                        ; implicit-def: $vgpr245_vgpr246
	s_and_saveexec_b32 s3, s1
	s_xor_b32 s1, exec_lo, s3
                                        ; implicit-def: $vgpr247_vgpr248
	s_cbranch_execz .LBB93_410
; %bb.409:
	v_div_scale_f64 v[245:246], null, v[243:244], v[243:244], v[241:242]
	v_div_scale_f64 v[251:252], vcc_lo, v[241:242], v[243:244], v[241:242]
	v_rcp_f64_e32 v[247:248], v[245:246]
	v_fma_f64 v[249:250], -v[245:246], v[247:248], 1.0
	v_fma_f64 v[247:248], v[247:248], v[249:250], v[247:248]
	v_fma_f64 v[249:250], -v[245:246], v[247:248], 1.0
	v_fma_f64 v[247:248], v[247:248], v[249:250], v[247:248]
	v_mul_f64 v[249:250], v[251:252], v[247:248]
	v_fma_f64 v[245:246], -v[245:246], v[249:250], v[251:252]
	v_div_fmas_f64 v[245:246], v[245:246], v[247:248], v[249:250]
	v_div_fixup_f64 v[245:246], v[245:246], v[243:244], v[241:242]
	v_fma_f64 v[241:242], v[241:242], v[245:246], v[243:244]
	v_div_scale_f64 v[243:244], null, v[241:242], v[241:242], 1.0
	v_rcp_f64_e32 v[247:248], v[243:244]
	v_fma_f64 v[249:250], -v[243:244], v[247:248], 1.0
	v_fma_f64 v[247:248], v[247:248], v[249:250], v[247:248]
	v_fma_f64 v[249:250], -v[243:244], v[247:248], 1.0
	v_fma_f64 v[247:248], v[247:248], v[249:250], v[247:248]
	v_div_scale_f64 v[249:250], vcc_lo, 1.0, v[241:242], 1.0
	v_mul_f64 v[251:252], v[249:250], v[247:248]
	v_fma_f64 v[243:244], -v[243:244], v[251:252], v[249:250]
	v_div_fmas_f64 v[243:244], v[243:244], v[247:248], v[251:252]
	v_div_fixup_f64 v[247:248], v[243:244], v[241:242], 1.0
                                        ; implicit-def: $vgpr241_vgpr242
	v_mul_f64 v[245:246], v[245:246], v[247:248]
	v_xor_b32_e32 v248, 0x80000000, v248
.LBB93_410:
	s_andn2_saveexec_b32 s1, s1
	s_cbranch_execz .LBB93_412
; %bb.411:
	v_div_scale_f64 v[245:246], null, v[241:242], v[241:242], v[243:244]
	v_div_scale_f64 v[251:252], vcc_lo, v[243:244], v[241:242], v[243:244]
	v_rcp_f64_e32 v[247:248], v[245:246]
	v_fma_f64 v[249:250], -v[245:246], v[247:248], 1.0
	v_fma_f64 v[247:248], v[247:248], v[249:250], v[247:248]
	v_fma_f64 v[249:250], -v[245:246], v[247:248], 1.0
	v_fma_f64 v[247:248], v[247:248], v[249:250], v[247:248]
	v_mul_f64 v[249:250], v[251:252], v[247:248]
	v_fma_f64 v[245:246], -v[245:246], v[249:250], v[251:252]
	v_div_fmas_f64 v[245:246], v[245:246], v[247:248], v[249:250]
	v_div_fixup_f64 v[247:248], v[245:246], v[241:242], v[243:244]
	v_fma_f64 v[241:242], v[243:244], v[247:248], v[241:242]
	v_div_scale_f64 v[243:244], null, v[241:242], v[241:242], 1.0
	v_rcp_f64_e32 v[245:246], v[243:244]
	v_fma_f64 v[249:250], -v[243:244], v[245:246], 1.0
	v_fma_f64 v[245:246], v[245:246], v[249:250], v[245:246]
	v_fma_f64 v[249:250], -v[243:244], v[245:246], 1.0
	v_fma_f64 v[245:246], v[245:246], v[249:250], v[245:246]
	v_div_scale_f64 v[249:250], vcc_lo, 1.0, v[241:242], 1.0
	v_mul_f64 v[251:252], v[249:250], v[245:246]
	v_fma_f64 v[243:244], -v[243:244], v[251:252], v[249:250]
	v_div_fmas_f64 v[243:244], v[243:244], v[245:246], v[251:252]
	v_div_fixup_f64 v[245:246], v[243:244], v[241:242], 1.0
	v_mul_f64 v[247:248], v[247:248], -v[245:246]
.LBB93_412:
	s_or_b32 exec_lo, exec_lo, s1
	ds_write2_b64 v255, v[245:246], v[247:248] offset1:1
.LBB93_413:
	s_or_b32 exec_lo, exec_lo, s2
	s_waitcnt lgkmcnt(0)
	s_barrier
	buffer_gl0_inv
	ds_read2_b64 v[241:244], v255 offset1:1
	s_mov_b32 s1, exec_lo
	v_cmpx_lt_u32_e32 45, v0
	s_cbranch_execz .LBB93_415
; %bb.414:
	s_waitcnt lgkmcnt(0)
	v_mul_f64 v[245:246], v[241:242], v[7:8]
	v_mul_f64 v[7:8], v[243:244], v[7:8]
	v_fma_f64 v[249:250], v[243:244], v[5:6], v[245:246]
	ds_read2_b64 v[245:248], v253 offset0:92 offset1:93
	v_fma_f64 v[5:6], v[241:242], v[5:6], -v[7:8]
	s_waitcnt lgkmcnt(0)
	v_mul_f64 v[7:8], v[247:248], v[249:250]
	v_fma_f64 v[7:8], v[245:246], v[5:6], -v[7:8]
	v_mul_f64 v[245:246], v[245:246], v[249:250]
	v_add_f64 v[1:2], v[1:2], -v[7:8]
	v_fma_f64 v[245:246], v[247:248], v[5:6], v[245:246]
	v_mov_b32_e32 v7, v249
	v_mov_b32_e32 v8, v250
	v_add_f64 v[3:4], v[3:4], -v[245:246]
.LBB93_415:
	s_or_b32 exec_lo, exec_lo, s1
	s_mov_b32 s2, exec_lo
	s_waitcnt lgkmcnt(0)
	s_barrier
	buffer_gl0_inv
	v_cmpx_eq_u32_e32 46, v0
	s_cbranch_execz .LBB93_422
; %bb.416:
	v_cmp_neq_f64_e32 vcc_lo, 0, v[1:2]
	v_cmp_neq_f64_e64 s1, 0, v[3:4]
	ds_write2_b64 v255, v[1:2], v[3:4] offset1:1
	s_or_b32 s1, vcc_lo, s1
	s_and_b32 exec_lo, exec_lo, s1
	s_cbranch_execz .LBB93_422
; %bb.417:
	v_cmp_ngt_f64_e64 s1, |v[1:2]|, |v[3:4]|
                                        ; implicit-def: $vgpr245_vgpr246
	s_mov_b32 s3, exec_lo
	s_and_b32 s4, s3, s1
                                        ; implicit-def: $vgpr247_vgpr248
	buffer_store_dword v231, off, s[16:19], 0 offset:912 ; 4-byte Folded Spill
	buffer_store_dword v232, off, s[16:19], 0 offset:916 ; 4-byte Folded Spill
	;; [unrolled: 1-line block ×4, first 2 shown]
	s_xor_b32 s1, s4, s3
	s_mov_b32 exec_lo, s4
	s_cbranch_execz .LBB93_419
; %bb.418:
	v_div_scale_f64 v[245:246], null, v[3:4], v[3:4], v[1:2]
	v_mov_b32_e32 v234, v4
	v_mov_b32_e32 v233, v3
	;; [unrolled: 1-line block ×8, first 2 shown]
	v_div_scale_f64 v[251:252], vcc_lo, v[231:232], v[233:234], v[231:232]
	v_mov_b32_e32 v230, v8
	v_mov_b32_e32 v229, v7
	;; [unrolled: 1-line block ×10, first 2 shown]
	v_rcp_f64_e32 v[247:248], v[245:246]
	v_mov_b32_e32 v11, v15
	v_mov_b32_e32 v12, v16
	;; [unrolled: 1-line block ×23, first 2 shown]
	v_fma_f64 v[249:250], -v[245:246], v[247:248], 1.0
	v_mov_b32_e32 v34, v38
	v_mov_b32_e32 v35, v39
	;; [unrolled: 1-line block ×21, first 2 shown]
	v_fma_f64 v[247:248], v[247:248], v[249:250], v[247:248]
	v_mov_b32_e32 v55, v59
	v_mov_b32_e32 v56, v60
	;; [unrolled: 1-line block ×21, first 2 shown]
	v_fma_f64 v[249:250], -v[245:246], v[247:248], 1.0
	v_mov_b32_e32 v72, v76
	v_mov_b32_e32 v73, v77
	;; [unrolled: 1-line block ×21, first 2 shown]
	v_fma_f64 v[247:248], v[247:248], v[249:250], v[247:248]
	v_mov_b32_e32 v93, v97
	v_mov_b32_e32 v94, v98
	;; [unrolled: 1-line block ×21, first 2 shown]
	v_mul_f64 v[249:250], v[251:252], v[247:248]
	v_mov_b32_e32 v110, v114
	v_mov_b32_e32 v111, v115
	;; [unrolled: 1-line block ×21, first 2 shown]
	v_fma_f64 v[245:246], -v[245:246], v[249:250], v[251:252]
	v_mov_b32_e32 v131, v135
	v_mov_b32_e32 v132, v136
	;; [unrolled: 1-line block ×21, first 2 shown]
	v_div_fmas_f64 v[245:246], v[245:246], v[247:248], v[249:250]
	v_mov_b32_e32 v148, v152
	v_mov_b32_e32 v149, v153
	;; [unrolled: 1-line block ×21, first 2 shown]
	v_div_fixup_f64 v[245:246], v[245:246], v[233:234], v[231:232]
	v_mov_b32_e32 v214, v172
	v_mov_b32_e32 v213, v171
	;; [unrolled: 1-line block ×21, first 2 shown]
	v_fma_f64 v[247:248], v[231:232], v[245:246], v[233:234]
	v_mov_b32_e32 v186, v208
	v_mov_b32_e32 v187, v209
	;; [unrolled: 1-line block ×19, first 2 shown]
	v_div_scale_f64 v[249:250], null, v[247:248], v[247:248], 1.0
	v_rcp_f64_e32 v[251:252], v[249:250]
	v_fma_f64 v[253:254], -v[249:250], v[251:252], 1.0
	v_fma_f64 v[251:252], v[251:252], v[253:254], v[251:252]
	v_fma_f64 v[253:254], -v[249:250], v[251:252], 1.0
	v_fma_f64 v[251:252], v[251:252], v[253:254], v[251:252]
	v_div_scale_f64 v[253:254], vcc_lo, 1.0, v[247:248], 1.0
	v_mul_f64 v[189:190], v[253:254], v[251:252]
	v_fma_f64 v[191:192], -v[249:250], v[189:190], v[253:254]
	v_div_fmas_f64 v[189:190], v[191:192], v[251:252], v[189:190]
	v_mov_b32_e32 v191, v195
	v_mov_b32_e32 v192, v196
	;; [unrolled: 1-line block ×228, first 2 shown]
	s_clause 0x3
	buffer_load_dword v231, off, s[16:19], 0 offset:912
	buffer_load_dword v232, off, s[16:19], 0 offset:916
	;; [unrolled: 1-line block ×4, first 2 shown]
	v_div_fixup_f64 v[247:248], v[189:190], v[247:248], 1.0
	v_mul_f64 v[245:246], v[245:246], v[247:248]
	v_xor_b32_e32 v248, 0x80000000, v248
.LBB93_419:
	s_andn2_saveexec_b32 s1, s1
	s_cbranch_execz .LBB93_421
; %bb.420:
	s_waitcnt vmcnt(0)
	v_mov_b32_e32 v234, v230
	v_mov_b32_e32 v233, v229
	;; [unrolled: 1-line block ×129, first 2 shown]
	v_div_scale_f64 v[189:190], null, v[1:2], v[1:2], v[3:4]
	v_mov_b32_e32 v118, v122
	v_mov_b32_e32 v119, v123
	;; [unrolled: 1-line block ×91, first 2 shown]
	v_rcp_f64_e32 v[191:192], v[189:190]
	v_div_scale_f64 v[247:248], vcc_lo, v[3:4], v[1:2], v[3:4]
	v_fma_f64 v[245:246], -v[189:190], v[191:192], 1.0
	v_fma_f64 v[191:192], v[191:192], v[245:246], v[191:192]
	v_fma_f64 v[245:246], -v[189:190], v[191:192], 1.0
	v_fma_f64 v[191:192], v[191:192], v[245:246], v[191:192]
	v_mul_f64 v[245:246], v[247:248], v[191:192]
	v_fma_f64 v[189:190], -v[189:190], v[245:246], v[247:248]
	v_div_fmas_f64 v[189:190], v[189:190], v[191:192], v[245:246]
	v_div_fixup_f64 v[189:190], v[189:190], v[1:2], v[3:4]
	v_fma_f64 v[191:192], v[3:4], v[189:190], v[1:2]
	v_div_scale_f64 v[245:246], null, v[191:192], v[191:192], 1.0
	v_rcp_f64_e32 v[247:248], v[245:246]
	v_fma_f64 v[249:250], -v[245:246], v[247:248], 1.0
	v_fma_f64 v[247:248], v[247:248], v[249:250], v[247:248]
	v_fma_f64 v[249:250], -v[245:246], v[247:248], 1.0
	v_fma_f64 v[247:248], v[247:248], v[249:250], v[247:248]
	v_div_scale_f64 v[249:250], vcc_lo, 1.0, v[191:192], 1.0
	v_mul_f64 v[251:252], v[249:250], v[247:248]
	v_fma_f64 v[245:246], -v[245:246], v[251:252], v[249:250]
	v_div_fmas_f64 v[245:246], v[245:246], v[247:248], v[251:252]
	v_div_fixup_f64 v[245:246], v[245:246], v[191:192], 1.0
	v_mov_b32_e32 v191, v195
	v_mov_b32_e32 v192, v196
	;; [unrolled: 1-line block ×220, first 2 shown]
	s_clause 0x3
	buffer_load_dword v231, off, s[16:19], 0 offset:912
	buffer_load_dword v232, off, s[16:19], 0 offset:916
	;; [unrolled: 1-line block ×4, first 2 shown]
	v_mul_f64 v[247:248], v[189:190], -v[245:246]
.LBB93_421:
	s_or_b32 exec_lo, exec_lo, s1
	ds_write2_b64 v255, v[245:246], v[247:248] offset1:1
.LBB93_422:
	s_or_b32 exec_lo, exec_lo, s2
	s_waitcnt vmcnt(0) lgkmcnt(0)
	s_waitcnt_vscnt null, 0x0
	s_barrier
	buffer_gl0_inv
	ds_read2_b64 v[245:248], v255 offset1:1
	s_mov_b32 s1, exec_lo
	v_cmpx_lt_u32_e32 46, v0
	s_cbranch_execz .LBB93_424
; %bb.423:
	s_waitcnt lgkmcnt(0)
	v_mul_f64 v[189:190], v[247:248], v[3:4]
	v_mul_f64 v[3:4], v[245:246], v[3:4]
	v_fma_f64 v[189:190], v[245:246], v[1:2], -v[189:190]
	v_fma_f64 v[3:4], v[247:248], v[1:2], v[3:4]
	v_mov_b32_e32 v1, v189
	v_mov_b32_e32 v2, v190
.LBB93_424:
	s_or_b32 exec_lo, exec_lo, s1
	s_waitcnt lgkmcnt(0)
	s_barrier
	buffer_gl0_inv
	s_and_saveexec_b32 s6, s0
	s_cbranch_execz .LBB93_427
; %bb.425:
	v_mov_b32_e32 v252, v194
	v_mov_b32_e32 v251, v193
	;; [unrolled: 1-line block ×4, first 2 shown]
	s_clause 0x3
	buffer_load_dword v189, off, s[16:19], 0 offset:368
	buffer_load_dword v190, off, s[16:19], 0 offset:372
	;; [unrolled: 1-line block ×4, first 2 shown]
	s_waitcnt vmcnt(2)
	v_cmp_eq_f64_e32 vcc_lo, 0, v[189:190]
	s_waitcnt vmcnt(0)
	v_cmp_eq_f64_e64 s0, 0, v[191:192]
	s_clause 0x3
	buffer_load_dword v189, off, s[16:19], 0 offset:384
	buffer_load_dword v190, off, s[16:19], 0 offset:388
	;; [unrolled: 1-line block ×4, first 2 shown]
	s_and_b32 s0, vcc_lo, s0
	v_cndmask_b32_e64 v0, 0, 1, s0
	s_waitcnt vmcnt(2)
	v_cmp_neq_f64_e64 s1, 0, v[189:190]
	s_waitcnt vmcnt(0)
	v_cmp_neq_f64_e64 s2, 0, v[191:192]
	s_clause 0x3
	buffer_load_dword v189, off, s[16:19], 0 offset:400
	buffer_load_dword v190, off, s[16:19], 0 offset:404
	;; [unrolled: 1-line block ×4, first 2 shown]
	s_or_b32 s1, s1, s2
	s_or_b32 s0, s1, s0
	v_cndmask_b32_e64 v0, 2, v0, s0
	v_cmp_eq_u32_e64 s0, 0, v0
	s_waitcnt vmcnt(2)
	v_cmp_eq_f64_e64 s3, 0, v[189:190]
	s_waitcnt vmcnt(0)
	v_cmp_eq_f64_e64 s4, 0, v[191:192]
	s_clause 0x3
	buffer_load_dword v189, off, s[16:19], 0 offset:416
	buffer_load_dword v190, off, s[16:19], 0 offset:420
	;; [unrolled: 1-line block ×4, first 2 shown]
	s_and_b32 s3, s3, s4
	s_and_b32 s0, s3, s0
	v_cndmask_b32_e64 v0, v0, 3, s0
	v_cmp_eq_u32_e64 s0, 0, v0
	s_waitcnt vmcnt(2)
	v_cmp_eq_f64_e64 s5, 0, v[189:190]
	s_waitcnt vmcnt(0)
	v_cmp_eq_f64_e32 vcc_lo, 0, v[191:192]
	s_clause 0x3
	buffer_load_dword v189, off, s[16:19], 0 offset:432
	buffer_load_dword v190, off, s[16:19], 0 offset:436
	;; [unrolled: 1-line block ×4, first 2 shown]
	s_and_b32 s5, s5, vcc_lo
	s_and_b32 s0, s5, s0
	v_cndmask_b32_e64 v0, v0, 4, s0
	v_cmp_eq_u32_e32 vcc_lo, 0, v0
	s_waitcnt vmcnt(2)
	v_cmp_eq_f64_e64 s1, 0, v[189:190]
	s_waitcnt vmcnt(0)
	v_cmp_eq_f64_e64 s2, 0, v[191:192]
	s_clause 0x3
	buffer_load_dword v189, off, s[16:19], 0 offset:448
	buffer_load_dword v190, off, s[16:19], 0 offset:452
	buffer_load_dword v191, off, s[16:19], 0 offset:456
	buffer_load_dword v192, off, s[16:19], 0 offset:460
	s_and_b32 s1, s1, s2
	s_and_b32 s1, s1, vcc_lo
	v_cndmask_b32_e64 v0, v0, 5, s1
	v_cmp_eq_u32_e32 vcc_lo, 0, v0
	s_waitcnt vmcnt(2)
	v_cmp_eq_f64_e64 s3, 0, v[189:190]
	s_waitcnt vmcnt(0)
	v_cmp_eq_f64_e64 s4, 0, v[191:192]
	s_clause 0x3
	buffer_load_dword v189, off, s[16:19], 0 offset:464
	buffer_load_dword v190, off, s[16:19], 0 offset:468
	buffer_load_dword v191, off, s[16:19], 0 offset:472
	buffer_load_dword v192, off, s[16:19], 0 offset:476
	s_and_b32 s3, s3, s4
	s_and_b32 s3, s3, vcc_lo
	;; [unrolled: 13-line block ×12, first 2 shown]
	v_cndmask_b32_e64 v0, v0, 16, s0
	v_cmp_eq_u32_e64 s5, 0, v0
	s_waitcnt vmcnt(2)
	v_cmp_eq_f64_e64 s1, 0, v[189:190]
	s_waitcnt vmcnt(0)
	v_cmp_eq_f64_e64 s2, 0, v[191:192]
	s_clause 0x3
	buffer_load_dword v189, off, s[16:19], 0 offset:640
	buffer_load_dword v190, off, s[16:19], 0 offset:644
	;; [unrolled: 1-line block ×4, first 2 shown]
	s_and_b32 s1, s1, s2
	s_and_b32 s1, s1, s5
	v_cndmask_b32_e64 v0, v0, 17, s1
	s_waitcnt vmcnt(2)
	v_cmp_eq_f64_e64 s3, 0, v[189:190]
	s_waitcnt vmcnt(0)
	v_cmp_eq_f64_e64 s4, 0, v[191:192]
	s_clause 0x3
	buffer_load_dword v189, off, s[16:19], 0 offset:656
	buffer_load_dword v190, off, s[16:19], 0 offset:660
	;; [unrolled: 1-line block ×4, first 2 shown]
	s_and_b32 s5, s3, s4
	v_cmp_eq_u32_e64 s3, 0, v0
	s_and_b32 s3, s5, s3
	v_cndmask_b32_e64 v0, v0, 18, s3
	v_cmp_eq_u32_e64 s3, 0, v0
	s_waitcnt vmcnt(2)
	v_cmp_eq_f64_e32 vcc_lo, 0, v[189:190]
	s_clause 0x1
	buffer_load_dword v189, off, s[16:19], 0 offset:904
	buffer_load_dword v190, off, s[16:19], 0 offset:908
	s_waitcnt vmcnt(2)
	v_cmp_eq_f64_e64 s0, 0, v[191:192]
	s_clause 0x3
	buffer_load_dword v191, off, s[16:19], 0 offset:672
	buffer_load_dword v192, off, s[16:19], 0 offset:676
	;; [unrolled: 1-line block ×4, first 2 shown]
	s_and_b32 s0, vcc_lo, s0
	s_and_b32 s0, s0, s3
	v_cndmask_b32_e64 v0, v0, 19, s0
	v_cmp_eq_u32_e32 vcc_lo, 0, v0
	s_waitcnt vmcnt(4)
	v_lshlrev_b64 v[189:190], 2, v[189:190]
	s_waitcnt vmcnt(2)
	v_cmp_eq_f64_e64 s1, 0, v[191:192]
	s_waitcnt vmcnt(0)
	v_cmp_eq_f64_e64 s2, 0, v[193:194]
	v_add_co_u32 v253, s4, s10, v189
	v_add_co_ci_u32_e64 v254, null, s11, v190, s4
	global_load_dword v189, v[253:254], off
	s_clause 0x3
	buffer_load_dword v190, off, s[16:19], 0 offset:688
	buffer_load_dword v191, off, s[16:19], 0 offset:692
	buffer_load_dword v192, off, s[16:19], 0 offset:696
	buffer_load_dword v193, off, s[16:19], 0 offset:700
	s_and_b32 s1, s1, s2
	s_and_b32 s1, s1, vcc_lo
	v_cndmask_b32_e64 v0, v0, 20, s1
	v_cmp_eq_u32_e32 vcc_lo, 0, v0
	s_waitcnt vmcnt(2)
	v_cmp_eq_f64_e64 s4, 0, v[190:191]
	s_waitcnt vmcnt(0)
	v_cmp_eq_f64_e64 s5, 0, v[192:193]
	s_clause 0x3
	buffer_load_dword v190, off, s[16:19], 0 offset:704
	buffer_load_dword v191, off, s[16:19], 0 offset:708
	buffer_load_dword v192, off, s[16:19], 0 offset:712
	buffer_load_dword v193, off, s[16:19], 0 offset:716
	s_and_b32 s4, s4, s5
	s_and_b32 s4, s4, vcc_lo
	v_cndmask_b32_e64 v0, v0, 21, s4
	v_cmp_eq_u32_e32 vcc_lo, 0, v0
	s_waitcnt vmcnt(2)
	v_cmp_eq_f64_e64 s0, 0, v[190:191]
	s_waitcnt vmcnt(0)
	v_cmp_eq_f64_e64 s3, 0, v[192:193]
	;; [unrolled: 13-line block ×11, first 2 shown]
	s_clause 0x3
	buffer_load_dword v190, off, s[16:19], 0 offset:864
	buffer_load_dword v191, off, s[16:19], 0 offset:868
	;; [unrolled: 1-line block ×4, first 2 shown]
	s_and_b32 s0, s0, s3
	v_cmp_eq_f64_e64 s3, 0, v[251:252]
	s_and_b32 s0, s0, vcc_lo
	v_cndmask_b32_e64 v0, v0, 31, s0
	v_cmp_eq_f64_e64 s0, 0, v[249:250]
	v_cmp_eq_u32_e32 vcc_lo, 0, v0
	s_and_b32 s0, s0, s3
	v_cmp_eq_f64_e64 s3, 0, v[205:206]
	s_waitcnt vmcnt(2)
	v_cmp_eq_f64_e64 s1, 0, v[190:191]
	s_waitcnt vmcnt(0)
	v_cmp_eq_f64_e64 s2, 0, v[192:193]
	s_clause 0x3
	buffer_load_dword v190, off, s[16:19], 0 offset:880
	buffer_load_dword v191, off, s[16:19], 0 offset:884
	;; [unrolled: 1-line block ×4, first 2 shown]
	s_and_b32 s1, s1, s2
	v_cmp_eq_f64_e64 s2, 0, v[197:198]
	s_and_b32 s1, s1, vcc_lo
	v_cndmask_b32_e64 v0, v0, 32, s1
	v_cmp_eq_f64_e64 s1, 0, v[195:196]
	v_cmp_eq_u32_e32 vcc_lo, 0, v0
	s_and_b32 s1, s1, s2
	v_cmp_eq_f64_e64 s2, 0, v[209:210]
	s_waitcnt vmcnt(2)
	v_cmp_eq_f64_e64 s4, 0, v[190:191]
	s_waitcnt vmcnt(0)
	v_cmp_eq_f64_e64 s5, 0, v[192:193]
	s_and_b32 s4, s4, s5
	v_cmp_eq_f64_e64 s5, 0, v[201:202]
	s_and_b32 s4, s4, vcc_lo
	v_cndmask_b32_e64 v0, v0, 33, s4
	v_cmp_eq_f64_e64 s4, 0, v[199:200]
	v_cmp_eq_u32_e32 vcc_lo, 0, v0
	s_and_b32 s0, s0, vcc_lo
	v_cndmask_b32_e64 v0, v0, 34, s0
	v_cmp_eq_f64_e64 s0, 0, v[203:204]
	v_cmp_eq_u32_e32 vcc_lo, 0, v0
	s_and_b32 s1, s1, vcc_lo
	s_and_b32 s4, s4, s5
	v_cndmask_b32_e64 v0, v0, 35, s1
	v_cmp_eq_f64_e64 s1, 0, v[207:208]
	v_cmp_eq_f64_e64 s5, 0, v[213:214]
	v_cmp_eq_u32_e32 vcc_lo, 0, v0
	s_and_b32 s4, s4, vcc_lo
	s_and_b32 s0, s0, s3
	v_cndmask_b32_e64 v0, v0, 36, s4
	v_cmp_eq_f64_e64 s4, 0, v[211:212]
	;; [unrolled: 6-line block ×10, first 2 shown]
	v_cmp_eq_u32_e32 vcc_lo, 0, v0
	s_and_b32 s4, s4, vcc_lo
	s_and_b32 s0, s0, s3
	v_cndmask_b32_e64 v0, v0, 45, s4
	v_cmp_eq_u32_e32 vcc_lo, 0, v0
	s_and_b32 s0, s0, vcc_lo
	v_cndmask_b32_e64 v0, v0, 46, s0
	s_and_b32 s0, s1, s2
	v_cmp_eq_u32_e32 vcc_lo, 0, v0
	s_and_b32 s0, s0, vcc_lo
	v_cmp_eq_u32_e32 vcc_lo, 0, v189
	v_cndmask_b32_e64 v0, v0, 47, s0
	v_cmp_ne_u32_e64 s0, 0, v0
	s_and_b32 s0, vcc_lo, s0
	s_and_b32 exec_lo, exec_lo, s0
	s_cbranch_execz .LBB93_427
; %bb.426:
	v_add_nc_u32_e32 v0, s13, v0
	global_store_dword v[253:254], v0, off
.LBB93_427:
	s_or_b32 exec_lo, exec_lo, s6
	s_clause 0x1
	buffer_load_dword v189, off, s[16:19], 0 offset:352
	buffer_load_dword v190, off, s[16:19], 0 offset:356
	s_waitcnt vmcnt(0)
	global_store_dwordx4 v[189:190], v[185:188], off
	s_clause 0x1
	buffer_load_dword v185, off, s[16:19], 0 offset:360
	buffer_load_dword v186, off, s[16:19], 0 offset:364
	s_waitcnt vmcnt(0)
	global_store_dwordx4 v[185:186], v[181:184], off
	;; [unrolled: 5-line block ×3, first 2 shown]
	s_clause 0x1
	buffer_load_dword v177, off, s[16:19], 0
	buffer_load_dword v178, off, s[16:19], 0 offset:4
	s_waitcnt vmcnt(0)
	global_store_dwordx4 v[177:178], v[173:176], off
	s_clause 0x1
	buffer_load_dword v173, off, s[16:19], 0 offset:896
	buffer_load_dword v174, off, s[16:19], 0 offset:900
	s_waitcnt vmcnt(0)
	global_store_dwordx4 v[173:174], v[169:172], off
	s_clause 0x1
	buffer_load_dword v169, off, s[16:19], 0 offset:16
	;; [unrolled: 5-line block ×43, first 2 shown]
	buffer_load_dword v6, off, s[16:19], 0 offset:340
	s_waitcnt vmcnt(0)
	global_store_dwordx4 v[5:6], v[1:4], off
.LBB93_428:
	s_endpgm
	.section	.rodata,"a",@progbits
	.p2align	6, 0x0
	.amdhsa_kernel _ZN9rocsolver6v33100L23getf2_npvt_small_kernelILi47E19rocblas_complex_numIdEiiPS3_EEvT1_T3_lS5_lPT2_S5_S5_
		.amdhsa_group_segment_fixed_size 0
		.amdhsa_private_segment_fixed_size 932
		.amdhsa_kernarg_size 312
		.amdhsa_user_sgpr_count 6
		.amdhsa_user_sgpr_private_segment_buffer 1
		.amdhsa_user_sgpr_dispatch_ptr 0
		.amdhsa_user_sgpr_queue_ptr 0
		.amdhsa_user_sgpr_kernarg_segment_ptr 1
		.amdhsa_user_sgpr_dispatch_id 0
		.amdhsa_user_sgpr_flat_scratch_init 0
		.amdhsa_user_sgpr_private_segment_size 0
		.amdhsa_wavefront_size32 1
		.amdhsa_uses_dynamic_stack 0
		.amdhsa_system_sgpr_private_segment_wavefront_offset 1
		.amdhsa_system_sgpr_workgroup_id_x 1
		.amdhsa_system_sgpr_workgroup_id_y 1
		.amdhsa_system_sgpr_workgroup_id_z 0
		.amdhsa_system_sgpr_workgroup_info 0
		.amdhsa_system_vgpr_workitem_id 1
		.amdhsa_next_free_vgpr 256
		.amdhsa_next_free_sgpr 20
		.amdhsa_reserve_vcc 1
		.amdhsa_reserve_flat_scratch 0
		.amdhsa_float_round_mode_32 0
		.amdhsa_float_round_mode_16_64 0
		.amdhsa_float_denorm_mode_32 3
		.amdhsa_float_denorm_mode_16_64 3
		.amdhsa_dx10_clamp 1
		.amdhsa_ieee_mode 1
		.amdhsa_fp16_overflow 0
		.amdhsa_workgroup_processor_mode 1
		.amdhsa_memory_ordered 1
		.amdhsa_forward_progress 1
		.amdhsa_shared_vgpr_count 0
		.amdhsa_exception_fp_ieee_invalid_op 0
		.amdhsa_exception_fp_denorm_src 0
		.amdhsa_exception_fp_ieee_div_zero 0
		.amdhsa_exception_fp_ieee_overflow 0
		.amdhsa_exception_fp_ieee_underflow 0
		.amdhsa_exception_fp_ieee_inexact 0
		.amdhsa_exception_int_div_zero 0
	.end_amdhsa_kernel
	.section	.text._ZN9rocsolver6v33100L23getf2_npvt_small_kernelILi47E19rocblas_complex_numIdEiiPS3_EEvT1_T3_lS5_lPT2_S5_S5_,"axG",@progbits,_ZN9rocsolver6v33100L23getf2_npvt_small_kernelILi47E19rocblas_complex_numIdEiiPS3_EEvT1_T3_lS5_lPT2_S5_S5_,comdat
.Lfunc_end93:
	.size	_ZN9rocsolver6v33100L23getf2_npvt_small_kernelILi47E19rocblas_complex_numIdEiiPS3_EEvT1_T3_lS5_lPT2_S5_S5_, .Lfunc_end93-_ZN9rocsolver6v33100L23getf2_npvt_small_kernelILi47E19rocblas_complex_numIdEiiPS3_EEvT1_T3_lS5_lPT2_S5_S5_
                                        ; -- End function
	.set _ZN9rocsolver6v33100L23getf2_npvt_small_kernelILi47E19rocblas_complex_numIdEiiPS3_EEvT1_T3_lS5_lPT2_S5_S5_.num_vgpr, 256
	.set _ZN9rocsolver6v33100L23getf2_npvt_small_kernelILi47E19rocblas_complex_numIdEiiPS3_EEvT1_T3_lS5_lPT2_S5_S5_.num_agpr, 0
	.set _ZN9rocsolver6v33100L23getf2_npvt_small_kernelILi47E19rocblas_complex_numIdEiiPS3_EEvT1_T3_lS5_lPT2_S5_S5_.numbered_sgpr, 20
	.set _ZN9rocsolver6v33100L23getf2_npvt_small_kernelILi47E19rocblas_complex_numIdEiiPS3_EEvT1_T3_lS5_lPT2_S5_S5_.num_named_barrier, 0
	.set _ZN9rocsolver6v33100L23getf2_npvt_small_kernelILi47E19rocblas_complex_numIdEiiPS3_EEvT1_T3_lS5_lPT2_S5_S5_.private_seg_size, 932
	.set _ZN9rocsolver6v33100L23getf2_npvt_small_kernelILi47E19rocblas_complex_numIdEiiPS3_EEvT1_T3_lS5_lPT2_S5_S5_.uses_vcc, 1
	.set _ZN9rocsolver6v33100L23getf2_npvt_small_kernelILi47E19rocblas_complex_numIdEiiPS3_EEvT1_T3_lS5_lPT2_S5_S5_.uses_flat_scratch, 0
	.set _ZN9rocsolver6v33100L23getf2_npvt_small_kernelILi47E19rocblas_complex_numIdEiiPS3_EEvT1_T3_lS5_lPT2_S5_S5_.has_dyn_sized_stack, 0
	.set _ZN9rocsolver6v33100L23getf2_npvt_small_kernelILi47E19rocblas_complex_numIdEiiPS3_EEvT1_T3_lS5_lPT2_S5_S5_.has_recursion, 0
	.set _ZN9rocsolver6v33100L23getf2_npvt_small_kernelILi47E19rocblas_complex_numIdEiiPS3_EEvT1_T3_lS5_lPT2_S5_S5_.has_indirect_call, 0
	.section	.AMDGPU.csdata,"",@progbits
; Kernel info:
; codeLenInByte = 114468
; TotalNumSgprs: 22
; NumVgprs: 256
; ScratchSize: 932
; MemoryBound: 1
; FloatMode: 240
; IeeeMode: 1
; LDSByteSize: 0 bytes/workgroup (compile time only)
; SGPRBlocks: 0
; VGPRBlocks: 31
; NumSGPRsForWavesPerEU: 22
; NumVGPRsForWavesPerEU: 256
; Occupancy: 4
; WaveLimiterHint : 0
; COMPUTE_PGM_RSRC2:SCRATCH_EN: 1
; COMPUTE_PGM_RSRC2:USER_SGPR: 6
; COMPUTE_PGM_RSRC2:TRAP_HANDLER: 0
; COMPUTE_PGM_RSRC2:TGID_X_EN: 1
; COMPUTE_PGM_RSRC2:TGID_Y_EN: 1
; COMPUTE_PGM_RSRC2:TGID_Z_EN: 0
; COMPUTE_PGM_RSRC2:TIDIG_COMP_CNT: 1
	.section	.text._ZN9rocsolver6v33100L18getf2_small_kernelILi48E19rocblas_complex_numIdEiiPS3_EEvT1_T3_lS5_lPS5_llPT2_S5_S5_S7_l,"axG",@progbits,_ZN9rocsolver6v33100L18getf2_small_kernelILi48E19rocblas_complex_numIdEiiPS3_EEvT1_T3_lS5_lPS5_llPT2_S5_S5_S7_l,comdat
	.globl	_ZN9rocsolver6v33100L18getf2_small_kernelILi48E19rocblas_complex_numIdEiiPS3_EEvT1_T3_lS5_lPS5_llPT2_S5_S5_S7_l ; -- Begin function _ZN9rocsolver6v33100L18getf2_small_kernelILi48E19rocblas_complex_numIdEiiPS3_EEvT1_T3_lS5_lPS5_llPT2_S5_S5_S7_l
	.p2align	8
	.type	_ZN9rocsolver6v33100L18getf2_small_kernelILi48E19rocblas_complex_numIdEiiPS3_EEvT1_T3_lS5_lPS5_llPT2_S5_S5_S7_l,@function
_ZN9rocsolver6v33100L18getf2_small_kernelILi48E19rocblas_complex_numIdEiiPS3_EEvT1_T3_lS5_lPS5_llPT2_S5_S5_S7_l: ; @_ZN9rocsolver6v33100L18getf2_small_kernelILi48E19rocblas_complex_numIdEiiPS3_EEvT1_T3_lS5_lPS5_llPT2_S5_S5_S7_l
; %bb.0:
	s_clause 0x1
	s_load_dword s0, s[4:5], 0x6c
	s_load_dwordx2 s[16:17], s[4:5], 0x48
	s_waitcnt lgkmcnt(0)
	s_lshr_b32 s0, s0, 16
	v_mad_u64_u32 v[198:199], null, s7, s0, v[1:2]
	s_mov_b32 s0, exec_lo
	v_cmpx_gt_i32_e64 s16, v198
	s_cbranch_execnz .LBB94_1
; %bb.1012:
	s_getpc_b64 s[18:19]
.Lpost_getpc0:
	s_add_u32 s18, s18, (.LBB94_1011-.Lpost_getpc0)&4294967295
	s_addc_u32 s19, s19, (.LBB94_1011-.Lpost_getpc0)>>32
	s_setpc_b64 s[18:19]
.LBB94_1:
	s_load_dwordx4 s[0:3], s[4:5], 0x50
	v_mov_b32_e32 v200, 0
	v_ashrrev_i32_e32 v199, 31, v198
	v_mov_b32_e32 v201, 0
	s_waitcnt lgkmcnt(0)
	s_cmp_eq_u64 s[0:1], 0
	s_cselect_b32 s16, -1, 0
	s_and_b32 vcc_lo, exec_lo, s16
	s_cbranch_vccnz .LBB94_3
; %bb.2:
	v_mul_lo_u32 v4, s3, v198
	v_mul_lo_u32 v5, s2, v199
	v_mad_u64_u32 v[2:3], null, s2, v198, 0
	v_add3_u32 v3, v3, v5, v4
	v_lshlrev_b64 v[2:3], 2, v[2:3]
	v_add_co_u32 v200, vcc_lo, s0, v2
	v_add_co_ci_u32_e64 v201, null, s1, v3, vcc_lo
.LBB94_3:
	s_clause 0x2
	s_load_dwordx8 s[8:15], s[4:5], 0x20
	s_load_dword s6, s[4:5], 0x18
	s_load_dwordx4 s[0:3], s[4:5], 0x8
	v_lshlrev_b32_e32 v204, 4, v0
	s_waitcnt lgkmcnt(0)
	v_mul_lo_u32 v3, s9, v198
	v_mul_lo_u32 v7, s8, v199
	v_mad_u64_u32 v[4:5], null, s8, v198, 0
	v_add3_u32 v2, s6, s6, v0
	s_lshl_b64 s[8:9], s[2:3], 4
	s_ashr_i32 s7, s6, 31
	s_lshl_b64 s[2:3], s[6:7], 4
	v_add_nc_u32_e32 v6, s6, v2
	v_add3_u32 v5, v5, v7, v3
	v_ashrrev_i32_e32 v3, 31, v2
	v_add_nc_u32_e32 v8, s6, v6
	v_lshlrev_b64 v[4:5], 4, v[4:5]
	v_ashrrev_i32_e32 v7, 31, v6
	v_lshlrev_b64 v[2:3], 4, v[2:3]
	v_ashrrev_i32_e32 v9, 31, v8
	v_add_nc_u32_e32 v10, s6, v8
	v_add_co_u32 v12, vcc_lo, s0, v4
	v_add_co_ci_u32_e64 v13, null, s1, v5, vcc_lo
	v_lshlrev_b64 v[4:5], 4, v[8:9]
	v_add_nc_u32_e32 v8, s6, v10
	v_add_co_u32 v205, vcc_lo, v12, s8
	v_ashrrev_i32_e32 v11, 31, v10
	v_add_co_ci_u32_e64 v206, null, s9, v13, vcc_lo
	v_add_nc_u32_e32 v12, s6, v8
	v_lshlrev_b64 v[6:7], 4, v[6:7]
	v_add_co_u32 v14, vcc_lo, v205, v204
	v_ashrrev_i32_e32 v9, 31, v8
	v_add_nc_u32_e32 v16, s6, v12
	v_lshlrev_b64 v[10:11], 4, v[10:11]
	v_add_co_ci_u32_e64 v15, null, 0, v206, vcc_lo
	v_add_co_u32 v2, vcc_lo, v205, v2
	v_ashrrev_i32_e32 v13, 31, v12
	v_add_co_ci_u32_e64 v3, null, v206, v3, vcc_lo
	v_add_co_u32 v6, vcc_lo, v205, v6
	v_add_nc_u32_e32 v18, s6, v16
	v_add_co_ci_u32_e64 v7, null, v206, v7, vcc_lo
	v_lshlrev_b64 v[8:9], 4, v[8:9]
	v_add_co_u32 v4, vcc_lo, v205, v4
	v_add_co_ci_u32_e64 v5, null, v206, v5, vcc_lo
	v_add_co_u32 v10, vcc_lo, v205, v10
	v_lshlrev_b64 v[12:13], 4, v[12:13]
	v_add_co_ci_u32_e64 v11, null, v206, v11, vcc_lo
	v_ashrrev_i32_e32 v17, 31, v16
	v_add_co_u32 v20, vcc_lo, v14, s2
	s_clause 0x1
	global_load_dwordx4 v[182:185], v[2:3], off
	global_load_dwordx4 v[170:173], v[6:7], off
	v_add_nc_u32_e32 v6, s6, v18
	v_add_co_ci_u32_e64 v21, null, s3, v15, vcc_lo
	v_add_co_u32 v2, vcc_lo, v205, v8
	v_ashrrev_i32_e32 v19, 31, v18
	v_add_co_ci_u32_e64 v3, null, v206, v9, vcc_lo
	v_add_co_u32 v8, vcc_lo, v205, v12
	s_clause 0x1
	global_load_dwordx4 v[178:181], v[4:5], off
	global_load_dwordx4 v[174:177], v[10:11], off
	v_lshlrev_b64 v[4:5], 4, v[16:17]
	v_ashrrev_i32_e32 v7, 31, v6
	v_add_nc_u32_e32 v12, s6, v6
	v_add_co_ci_u32_e64 v9, null, v206, v13, vcc_lo
	v_lshlrev_b64 v[10:11], 4, v[18:19]
	s_clause 0x3
	global_load_dwordx4 v[190:193], v[14:15], off
	global_load_dwordx4 v[186:189], v[20:21], off
	;; [unrolled: 1-line block ×4, first 2 shown]
	v_lshlrev_b64 v[2:3], 4, v[6:7]
	v_ashrrev_i32_e32 v13, 31, v12
	v_add_nc_u32_e32 v6, s6, v12
	v_add_co_u32 v4, vcc_lo, v205, v4
	v_add_co_ci_u32_e64 v5, null, v206, v5, vcc_lo
	v_add_co_u32 v8, vcc_lo, v205, v10
	v_add_co_ci_u32_e64 v9, null, v206, v11, vcc_lo
	v_lshlrev_b64 v[10:11], 4, v[12:13]
	v_ashrrev_i32_e32 v7, 31, v6
	v_add_nc_u32_e32 v12, s6, v6
	s_clause 0x1
	global_load_dwordx4 v[142:145], v[4:5], off
	global_load_dwordx4 v[138:141], v[8:9], off
	v_add_co_u32 v2, vcc_lo, v205, v2
	v_lshlrev_b64 v[4:5], 4, v[6:7]
	v_ashrrev_i32_e32 v13, 31, v12
	v_add_nc_u32_e32 v6, s6, v12
	v_add_co_ci_u32_e64 v3, null, v206, v3, vcc_lo
	v_add_co_u32 v8, vcc_lo, v205, v10
	v_add_co_ci_u32_e64 v9, null, v206, v11, vcc_lo
	v_lshlrev_b64 v[10:11], 4, v[12:13]
	v_ashrrev_i32_e32 v7, 31, v6
	v_add_nc_u32_e32 v12, s6, v6
	s_clause 0x1
	global_load_dwordx4 v[146:149], v[2:3], off
	global_load_dwordx4 v[122:125], v[8:9], off
	v_add_co_u32 v4, vcc_lo, v205, v4
	v_lshlrev_b64 v[2:3], 4, v[6:7]
	v_ashrrev_i32_e32 v13, 31, v12
	v_add_nc_u32_e32 v6, s6, v12
	;; [unrolled: 13-line block ×5, first 2 shown]
	v_add_co_ci_u32_e64 v3, null, v206, v3, vcc_lo
	v_add_co_u32 v8, vcc_lo, v205, v10
	v_add_co_ci_u32_e64 v9, null, v206, v11, vcc_lo
	v_lshlrev_b64 v[10:11], 4, v[12:13]
	v_add_nc_u32_e32 v12, s6, v6
	v_ashrrev_i32_e32 v7, 31, v6
	v_add_co_u32 v4, vcc_lo, v205, v4
	v_add_co_ci_u32_e64 v5, null, v206, v5, vcc_lo
	v_add_nc_u32_e32 v14, s6, v12
	v_ashrrev_i32_e32 v13, 31, v12
	v_lshlrev_b64 v[6:7], 4, v[6:7]
	v_add_co_u32 v10, vcc_lo, v205, v10
	v_add_nc_u32_e32 v16, s6, v14
	v_ashrrev_i32_e32 v15, 31, v14
	v_lshlrev_b64 v[12:13], 4, v[12:13]
	v_add_co_ci_u32_e64 v11, null, v206, v11, vcc_lo
	v_add_nc_u32_e32 v18, s6, v16
	v_ashrrev_i32_e32 v17, 31, v16
	v_lshlrev_b64 v[14:15], 4, v[14:15]
	v_add_co_u32 v6, vcc_lo, v205, v6
	v_add_nc_u32_e32 v20, s6, v18
	v_ashrrev_i32_e32 v19, 31, v18
	v_lshlrev_b64 v[16:17], 4, v[16:17]
	v_add_co_ci_u32_e64 v7, null, v206, v7, vcc_lo
	v_add_nc_u32_e32 v22, s6, v20
	v_ashrrev_i32_e32 v21, 31, v20
	v_add_co_u32 v12, vcc_lo, v205, v12
	v_lshlrev_b64 v[18:19], 4, v[18:19]
	v_add_nc_u32_e32 v24, s6, v22
	v_ashrrev_i32_e32 v23, 31, v22
	v_add_co_ci_u32_e64 v13, null, v206, v13, vcc_lo
	v_add_co_u32 v14, vcc_lo, v205, v14
	v_add_nc_u32_e32 v26, s6, v24
	v_ashrrev_i32_e32 v25, 31, v24
	v_lshlrev_b64 v[20:21], 4, v[20:21]
	v_add_co_ci_u32_e64 v15, null, v206, v15, vcc_lo
	v_add_nc_u32_e32 v28, s6, v26
	v_ashrrev_i32_e32 v27, 31, v26
	v_add_co_u32 v16, vcc_lo, v205, v16
	v_lshlrev_b64 v[22:23], 4, v[22:23]
	v_add_nc_u32_e32 v30, s6, v28
	v_ashrrev_i32_e32 v29, 31, v28
	v_add_co_ci_u32_e64 v17, null, v206, v17, vcc_lo
	v_add_co_u32 v18, vcc_lo, v205, v18
	v_add_nc_u32_e32 v32, s6, v30
	v_lshlrev_b64 v[24:25], 4, v[24:25]
	v_ashrrev_i32_e32 v31, 31, v30
	v_add_co_ci_u32_e64 v19, null, v206, v19, vcc_lo
	v_add_nc_u32_e32 v34, s6, v32
	v_add_co_u32 v20, vcc_lo, v205, v20
	v_lshlrev_b64 v[26:27], 4, v[26:27]
	v_ashrrev_i32_e32 v33, 31, v32
	v_add_nc_u32_e32 v36, s6, v34
	v_add_co_ci_u32_e64 v21, null, v206, v21, vcc_lo
	v_add_co_u32 v22, vcc_lo, v205, v22
	v_add_nc_u32_e32 v38, s6, v36
	v_lshlrev_b64 v[28:29], 4, v[28:29]
	v_ashrrev_i32_e32 v35, 31, v34
	v_add_co_ci_u32_e64 v23, null, v206, v23, vcc_lo
	v_add_nc_u32_e32 v40, s6, v38
	v_add_co_u32 v24, vcc_lo, v205, v24
	v_lshlrev_b64 v[30:31], 4, v[30:31]
	v_ashrrev_i32_e32 v37, 31, v36
	v_add_nc_u32_e32 v42, s6, v40
	v_add_co_ci_u32_e64 v25, null, v206, v25, vcc_lo
	v_add_co_u32 v26, vcc_lo, v205, v26
	v_lshlrev_b64 v[32:33], 4, v[32:33]
	v_ashrrev_i32_e32 v39, 31, v38
	v_add_co_ci_u32_e64 v27, null, v206, v27, vcc_lo
	v_add_co_u32 v28, vcc_lo, v205, v28
	v_lshlrev_b64 v[34:35], 4, v[34:35]
	v_ashrrev_i32_e32 v41, 31, v40
	v_add_nc_u32_e32 v44, s6, v42
	v_add_co_ci_u32_e64 v29, null, v206, v29, vcc_lo
	v_add_co_u32 v30, vcc_lo, v205, v30
	v_lshlrev_b64 v[36:37], 4, v[36:37]
	v_ashrrev_i32_e32 v43, 31, v42
	v_add_co_ci_u32_e64 v31, null, v206, v31, vcc_lo
	v_add_co_u32 v32, vcc_lo, v205, v32
	v_lshlrev_b64 v[38:39], 4, v[38:39]
	v_add_co_ci_u32_e64 v33, null, v206, v33, vcc_lo
	v_add_co_u32 v34, vcc_lo, v205, v34
	v_lshlrev_b64 v[40:41], 4, v[40:41]
	v_add_nc_u32_e32 v46, s6, v44
	v_add_co_ci_u32_e64 v35, null, v206, v35, vcc_lo
	v_add_co_u32 v36, vcc_lo, v205, v36
	v_lshlrev_b64 v[42:43], 4, v[42:43]
	v_ashrrev_i32_e32 v45, 31, v44
	v_add_co_ci_u32_e64 v37, null, v206, v37, vcc_lo
	v_add_co_u32 v38, vcc_lo, v205, v38
	v_ashrrev_i32_e32 v47, 31, v46
	v_add_nc_u32_e32 v48, s6, v46
	v_add_co_ci_u32_e64 v39, null, v206, v39, vcc_lo
	v_add_co_u32 v40, vcc_lo, v205, v40
	v_lshlrev_b64 v[44:45], 4, v[44:45]
	v_add_co_ci_u32_e64 v41, null, v206, v41, vcc_lo
	v_add_co_u32 v194, vcc_lo, v205, v42
	v_add_co_ci_u32_e64 v195, null, v206, v43, vcc_lo
	v_lshlrev_b64 v[42:43], 4, v[46:47]
	v_ashrrev_i32_e32 v49, 31, v48
	v_add_nc_u32_e32 v46, s6, v48
	v_add_co_u32 v196, vcc_lo, v205, v44
	v_add_co_ci_u32_e64 v197, null, v206, v45, vcc_lo
	v_lshlrev_b64 v[44:45], 4, v[48:49]
	v_ashrrev_i32_e32 v47, 31, v46
	v_add_nc_u32_e32 v48, s6, v46
	;; [unrolled: 5-line block ×5, first 2 shown]
	v_add_co_u32 v211, vcc_lo, v205, v44
	v_add_co_ci_u32_e64 v212, null, v206, v45, vcc_lo
	v_lshlrev_b64 v[44:45], 4, v[48:49]
	v_add_nc_u32_e32 v48, s6, v46
	v_ashrrev_i32_e32 v47, 31, v46
	v_add_co_u32 v213, vcc_lo, v205, v42
	v_add_co_ci_u32_e64 v214, null, v206, v43, vcc_lo
	v_ashrrev_i32_e32 v49, 31, v48
	v_lshlrev_b64 v[42:43], 4, v[46:47]
	v_add_co_u32 v215, vcc_lo, v205, v44
	v_add_co_ci_u32_e64 v216, null, v206, v45, vcc_lo
	v_lshlrev_b64 v[44:45], 4, v[48:49]
	v_add_co_u32 v217, vcc_lo, v205, v42
	v_add_co_ci_u32_e64 v218, null, v206, v43, vcc_lo
	s_load_dword s1, s[4:5], 0x0
	v_add_co_u32 v219, vcc_lo, v205, v44
	v_add_co_ci_u32_e64 v220, null, v206, v45, vcc_lo
	s_clause 0x1d
	global_load_dwordx4 v[158:161], v[2:3], off
	global_load_dwordx4 v[154:157], v[8:9], off
	;; [unrolled: 1-line block ×30, first 2 shown]
	s_load_dwordx2 s[4:5], s[4:5], 0x40
	s_waitcnt lgkmcnt(0)
	s_max_i32 s0, s1, 48
	s_cmp_lt_i32 s1, 2
	v_mul_lo_u32 v202, s0, v1
	v_lshl_add_u32 v1, v202, 4, 0
	v_add_nc_u32_e32 v194, v1, v204
	v_lshlrev_b32_e32 v204, 4, v202
	v_mov_b32_e32 v202, 0
	s_waitcnt vmcnt(43)
	ds_write2_b64 v194, v[190:191], v[192:193] offset1:1
	s_waitcnt vmcnt(0) lgkmcnt(0)
	s_barrier
	buffer_gl0_inv
	ds_read2_b64 v[194:197], v1 offset1:1
	s_cbranch_scc1 .LBB94_6
; %bb.4:
	v_add3_u32 v203, v204, 0, 16
	v_mov_b32_e32 v202, 0
	s_mov_b32 s7, 1
	s_inst_prefetch 0x1
	.p2align	6
.LBB94_5:                               ; =>This Inner Loop Header: Depth=1
	s_waitcnt lgkmcnt(0)
	v_cmp_gt_f64_e32 vcc_lo, 0, v[196:197]
	v_cmp_gt_f64_e64 s0, 0, v[194:195]
	ds_read2_b64 v[207:210], v203 offset1:1
	v_xor_b32_e32 v212, 0x80000000, v195
	v_xor_b32_e32 v214, 0x80000000, v197
	v_mov_b32_e32 v211, v194
	v_mov_b32_e32 v213, v196
	v_add_nc_u32_e32 v203, 16, v203
	s_waitcnt lgkmcnt(0)
	v_xor_b32_e32 v216, 0x80000000, v210
	v_cndmask_b32_e64 v212, v195, v212, s0
	v_cndmask_b32_e32 v214, v197, v214, vcc_lo
	v_cmp_gt_f64_e32 vcc_lo, 0, v[209:210]
	v_cmp_gt_f64_e64 s0, 0, v[207:208]
	v_mov_b32_e32 v215, v209
	v_add_f64 v[211:212], v[211:212], v[213:214]
	v_xor_b32_e32 v214, 0x80000000, v208
	v_mov_b32_e32 v213, v207
	v_cndmask_b32_e32 v216, v210, v216, vcc_lo
	v_cndmask_b32_e64 v214, v208, v214, s0
	v_add_f64 v[213:214], v[213:214], v[215:216]
	v_cmp_lt_f64_e32 vcc_lo, v[211:212], v[213:214]
	v_cndmask_b32_e32 v195, v195, v208, vcc_lo
	v_cndmask_b32_e32 v194, v194, v207, vcc_lo
	;; [unrolled: 1-line block ×4, first 2 shown]
	v_cndmask_b32_e64 v202, v202, s7, vcc_lo
	s_add_i32 s7, s7, 1
	s_cmp_eq_u32 s1, s7
	s_cbranch_scc0 .LBB94_5
.LBB94_6:
	s_inst_prefetch 0x2
	s_waitcnt lgkmcnt(0)
	v_cmp_neq_f64_e32 vcc_lo, 0, v[194:195]
	v_cmp_neq_f64_e64 s0, 0, v[196:197]
	v_mov_b32_e32 v207, 1
	v_mov_b32_e32 v209, 1
	s_or_b32 s7, vcc_lo, s0
	s_and_saveexec_b32 s0, s7
	s_cbranch_execz .LBB94_12
; %bb.7:
	v_cmp_ngt_f64_e64 s7, |v[194:195]|, |v[196:197]|
	s_and_saveexec_b32 s8, s7
	s_xor_b32 s7, exec_lo, s8
	s_cbranch_execz .LBB94_9
; %bb.8:
	v_div_scale_f64 v[207:208], null, v[196:197], v[196:197], v[194:195]
	v_div_scale_f64 v[213:214], vcc_lo, v[194:195], v[196:197], v[194:195]
	v_rcp_f64_e32 v[209:210], v[207:208]
	v_fma_f64 v[211:212], -v[207:208], v[209:210], 1.0
	v_fma_f64 v[209:210], v[209:210], v[211:212], v[209:210]
	v_fma_f64 v[211:212], -v[207:208], v[209:210], 1.0
	v_fma_f64 v[209:210], v[209:210], v[211:212], v[209:210]
	v_mul_f64 v[211:212], v[213:214], v[209:210]
	v_fma_f64 v[207:208], -v[207:208], v[211:212], v[213:214]
	v_div_fmas_f64 v[207:208], v[207:208], v[209:210], v[211:212]
	v_div_fixup_f64 v[207:208], v[207:208], v[196:197], v[194:195]
	v_fma_f64 v[194:195], v[194:195], v[207:208], v[196:197]
	v_div_scale_f64 v[196:197], null, v[194:195], v[194:195], 1.0
	v_rcp_f64_e32 v[209:210], v[196:197]
	v_fma_f64 v[211:212], -v[196:197], v[209:210], 1.0
	v_fma_f64 v[209:210], v[209:210], v[211:212], v[209:210]
	v_fma_f64 v[211:212], -v[196:197], v[209:210], 1.0
	v_fma_f64 v[209:210], v[209:210], v[211:212], v[209:210]
	v_div_scale_f64 v[211:212], vcc_lo, 1.0, v[194:195], 1.0
	v_mul_f64 v[213:214], v[211:212], v[209:210]
	v_fma_f64 v[196:197], -v[196:197], v[213:214], v[211:212]
	v_div_fmas_f64 v[196:197], v[196:197], v[209:210], v[213:214]
	v_div_fixup_f64 v[196:197], v[196:197], v[194:195], 1.0
	v_mul_f64 v[194:195], v[207:208], v[196:197]
	v_xor_b32_e32 v197, 0x80000000, v197
.LBB94_9:
	s_andn2_saveexec_b32 s7, s7
	s_cbranch_execz .LBB94_11
; %bb.10:
	v_div_scale_f64 v[207:208], null, v[194:195], v[194:195], v[196:197]
	v_div_scale_f64 v[213:214], vcc_lo, v[196:197], v[194:195], v[196:197]
	v_rcp_f64_e32 v[209:210], v[207:208]
	v_fma_f64 v[211:212], -v[207:208], v[209:210], 1.0
	v_fma_f64 v[209:210], v[209:210], v[211:212], v[209:210]
	v_fma_f64 v[211:212], -v[207:208], v[209:210], 1.0
	v_fma_f64 v[209:210], v[209:210], v[211:212], v[209:210]
	v_mul_f64 v[211:212], v[213:214], v[209:210]
	v_fma_f64 v[207:208], -v[207:208], v[211:212], v[213:214]
	v_div_fmas_f64 v[207:208], v[207:208], v[209:210], v[211:212]
	v_div_fixup_f64 v[207:208], v[207:208], v[194:195], v[196:197]
	v_fma_f64 v[194:195], v[196:197], v[207:208], v[194:195]
	v_div_scale_f64 v[196:197], null, v[194:195], v[194:195], 1.0
	v_rcp_f64_e32 v[209:210], v[196:197]
	v_fma_f64 v[211:212], -v[196:197], v[209:210], 1.0
	v_fma_f64 v[209:210], v[209:210], v[211:212], v[209:210]
	v_fma_f64 v[211:212], -v[196:197], v[209:210], 1.0
	v_fma_f64 v[209:210], v[209:210], v[211:212], v[209:210]
	v_div_scale_f64 v[211:212], vcc_lo, 1.0, v[194:195], 1.0
	v_mul_f64 v[213:214], v[211:212], v[209:210]
	v_fma_f64 v[196:197], -v[196:197], v[213:214], v[211:212]
	v_div_fmas_f64 v[196:197], v[196:197], v[209:210], v[213:214]
	v_div_fixup_f64 v[194:195], v[196:197], v[194:195], 1.0
	v_mul_f64 v[196:197], v[207:208], -v[194:195]
.LBB94_11:
	s_or_b32 exec_lo, exec_lo, s7
	v_mov_b32_e32 v209, 0
	v_mov_b32_e32 v207, 2
.LBB94_12:
	s_or_b32 exec_lo, exec_lo, s0
	s_mov_b32 s0, exec_lo
	v_cmpx_ne_u32_e64 v0, v202
	s_xor_b32 s0, exec_lo, s0
	s_cbranch_execz .LBB94_18
; %bb.13:
	s_mov_b32 s7, exec_lo
	v_cmpx_eq_u32_e32 0, v0
	s_cbranch_execz .LBB94_17
; %bb.14:
	v_cmp_ne_u32_e32 vcc_lo, 0, v202
	s_xor_b32 s8, s16, -1
	s_and_b32 s9, s8, vcc_lo
	s_and_saveexec_b32 s8, s9
	s_cbranch_execz .LBB94_16
; %bb.15:
	v_ashrrev_i32_e32 v203, 31, v202
	v_lshlrev_b64 v[210:211], 2, v[202:203]
	v_add_co_u32 v210, vcc_lo, v200, v210
	v_add_co_ci_u32_e64 v211, null, v201, v211, vcc_lo
	s_clause 0x1
	global_load_dword v0, v[210:211], off
	global_load_dword v203, v[200:201], off
	s_waitcnt vmcnt(1)
	global_store_dword v[200:201], v0, off
	s_waitcnt vmcnt(0)
	global_store_dword v[210:211], v203, off
.LBB94_16:
	s_or_b32 exec_lo, exec_lo, s8
	v_mov_b32_e32 v0, v202
.LBB94_17:
	s_or_b32 exec_lo, exec_lo, s7
.LBB94_18:
	s_or_saveexec_b32 s0, s0
	v_mov_b32_e32 v208, v0
	s_xor_b32 exec_lo, exec_lo, s0
	s_cbranch_execz .LBB94_20
; %bb.19:
	v_mov_b32_e32 v208, 0
	ds_write2_b64 v1, v[186:187], v[188:189] offset0:2 offset1:3
	ds_write2_b64 v1, v[182:183], v[184:185] offset0:4 offset1:5
	;; [unrolled: 1-line block ×47, first 2 shown]
.LBB94_20:
	s_or_b32 exec_lo, exec_lo, s0
	s_mov_b32 s0, exec_lo
	s_waitcnt lgkmcnt(0)
	s_waitcnt_vscnt null, 0x0
	s_barrier
	buffer_gl0_inv
	v_cmpx_lt_i32_e32 0, v208
	s_cbranch_execz .LBB94_22
; %bb.21:
	v_mul_f64 v[202:203], v[196:197], v[192:193]
	v_mul_f64 v[192:193], v[194:195], v[192:193]
	v_fma_f64 v[202:203], v[194:195], v[190:191], -v[202:203]
	v_fma_f64 v[192:193], v[196:197], v[190:191], v[192:193]
	ds_read2_b64 v[194:197], v1 offset0:2 offset1:3
	s_waitcnt lgkmcnt(0)
	v_mul_f64 v[190:191], v[196:197], v[192:193]
	v_fma_f64 v[190:191], v[194:195], v[202:203], -v[190:191]
	v_mul_f64 v[194:195], v[194:195], v[192:193]
	v_add_f64 v[186:187], v[186:187], -v[190:191]
	v_fma_f64 v[194:195], v[196:197], v[202:203], v[194:195]
	v_add_f64 v[188:189], v[188:189], -v[194:195]
	ds_read2_b64 v[194:197], v1 offset0:4 offset1:5
	s_waitcnt lgkmcnt(0)
	v_mul_f64 v[190:191], v[196:197], v[192:193]
	v_fma_f64 v[190:191], v[194:195], v[202:203], -v[190:191]
	v_mul_f64 v[194:195], v[194:195], v[192:193]
	v_add_f64 v[182:183], v[182:183], -v[190:191]
	v_fma_f64 v[194:195], v[196:197], v[202:203], v[194:195]
	v_add_f64 v[184:185], v[184:185], -v[194:195]
	;; [unrolled: 8-line block ×46, first 2 shown]
	ds_read2_b64 v[194:197], v1 offset0:94 offset1:95
	s_waitcnt lgkmcnt(0)
	v_mul_f64 v[190:191], v[196:197], v[192:193]
	v_fma_f64 v[190:191], v[194:195], v[202:203], -v[190:191]
	v_mul_f64 v[194:195], v[194:195], v[192:193]
	v_add_f64 v[2:3], v[2:3], -v[190:191]
	v_fma_f64 v[194:195], v[196:197], v[202:203], v[194:195]
	v_mov_b32_e32 v190, v202
	v_mov_b32_e32 v191, v203
	v_add_f64 v[4:5], v[4:5], -v[194:195]
.LBB94_22:
	s_or_b32 exec_lo, exec_lo, s0
	v_lshl_add_u32 v194, v208, 4, v1
	s_barrier
	buffer_gl0_inv
	v_mov_b32_e32 v202, 1
	ds_write2_b64 v194, v[186:187], v[188:189] offset1:1
	s_waitcnt lgkmcnt(0)
	s_barrier
	buffer_gl0_inv
	ds_read2_b64 v[194:197], v1 offset0:2 offset1:3
	s_cmp_lt_i32 s1, 3
	s_cbranch_scc1 .LBB94_25
; %bb.23:
	v_add3_u32 v203, v204, 0, 32
	v_mov_b32_e32 v202, 1
	s_mov_b32 s7, 2
	s_inst_prefetch 0x1
	.p2align	6
.LBB94_24:                              ; =>This Inner Loop Header: Depth=1
	s_waitcnt lgkmcnt(0)
	v_cmp_gt_f64_e32 vcc_lo, 0, v[196:197]
	v_cmp_gt_f64_e64 s0, 0, v[194:195]
	ds_read2_b64 v[210:213], v203 offset1:1
	v_xor_b32_e32 v215, 0x80000000, v195
	v_xor_b32_e32 v217, 0x80000000, v197
	v_mov_b32_e32 v214, v194
	v_mov_b32_e32 v216, v196
	v_add_nc_u32_e32 v203, 16, v203
	s_waitcnt lgkmcnt(0)
	v_xor_b32_e32 v219, 0x80000000, v213
	v_cndmask_b32_e64 v215, v195, v215, s0
	v_cndmask_b32_e32 v217, v197, v217, vcc_lo
	v_cmp_gt_f64_e32 vcc_lo, 0, v[212:213]
	v_cmp_gt_f64_e64 s0, 0, v[210:211]
	v_mov_b32_e32 v218, v212
	v_add_f64 v[214:215], v[214:215], v[216:217]
	v_xor_b32_e32 v217, 0x80000000, v211
	v_mov_b32_e32 v216, v210
	v_cndmask_b32_e32 v219, v213, v219, vcc_lo
	v_cndmask_b32_e64 v217, v211, v217, s0
	v_add_f64 v[216:217], v[216:217], v[218:219]
	v_cmp_lt_f64_e32 vcc_lo, v[214:215], v[216:217]
	v_cndmask_b32_e32 v195, v195, v211, vcc_lo
	v_cndmask_b32_e32 v194, v194, v210, vcc_lo
	;; [unrolled: 1-line block ×4, first 2 shown]
	v_cndmask_b32_e64 v202, v202, s7, vcc_lo
	s_add_i32 s7, s7, 1
	s_cmp_lg_u32 s1, s7
	s_cbranch_scc1 .LBB94_24
.LBB94_25:
	s_inst_prefetch 0x2
	s_waitcnt lgkmcnt(0)
	v_cmp_neq_f64_e32 vcc_lo, 0, v[194:195]
	v_cmp_neq_f64_e64 s0, 0, v[196:197]
	s_or_b32 s7, vcc_lo, s0
	s_and_saveexec_b32 s0, s7
	s_cbranch_execz .LBB94_31
; %bb.26:
	v_cmp_ngt_f64_e64 s7, |v[194:195]|, |v[196:197]|
	s_and_saveexec_b32 s8, s7
	s_xor_b32 s7, exec_lo, s8
	s_cbranch_execz .LBB94_28
; %bb.27:
	v_div_scale_f64 v[210:211], null, v[196:197], v[196:197], v[194:195]
	v_div_scale_f64 v[216:217], vcc_lo, v[194:195], v[196:197], v[194:195]
	v_rcp_f64_e32 v[212:213], v[210:211]
	v_fma_f64 v[214:215], -v[210:211], v[212:213], 1.0
	v_fma_f64 v[212:213], v[212:213], v[214:215], v[212:213]
	v_fma_f64 v[214:215], -v[210:211], v[212:213], 1.0
	v_fma_f64 v[212:213], v[212:213], v[214:215], v[212:213]
	v_mul_f64 v[214:215], v[216:217], v[212:213]
	v_fma_f64 v[210:211], -v[210:211], v[214:215], v[216:217]
	v_div_fmas_f64 v[210:211], v[210:211], v[212:213], v[214:215]
	v_div_fixup_f64 v[210:211], v[210:211], v[196:197], v[194:195]
	v_fma_f64 v[194:195], v[194:195], v[210:211], v[196:197]
	v_div_scale_f64 v[196:197], null, v[194:195], v[194:195], 1.0
	v_rcp_f64_e32 v[212:213], v[196:197]
	v_fma_f64 v[214:215], -v[196:197], v[212:213], 1.0
	v_fma_f64 v[212:213], v[212:213], v[214:215], v[212:213]
	v_fma_f64 v[214:215], -v[196:197], v[212:213], 1.0
	v_fma_f64 v[212:213], v[212:213], v[214:215], v[212:213]
	v_div_scale_f64 v[214:215], vcc_lo, 1.0, v[194:195], 1.0
	v_mul_f64 v[216:217], v[214:215], v[212:213]
	v_fma_f64 v[196:197], -v[196:197], v[216:217], v[214:215]
	v_div_fmas_f64 v[196:197], v[196:197], v[212:213], v[216:217]
	v_div_fixup_f64 v[196:197], v[196:197], v[194:195], 1.0
	v_mul_f64 v[194:195], v[210:211], v[196:197]
	v_xor_b32_e32 v197, 0x80000000, v197
.LBB94_28:
	s_andn2_saveexec_b32 s7, s7
	s_cbranch_execz .LBB94_30
; %bb.29:
	v_div_scale_f64 v[210:211], null, v[194:195], v[194:195], v[196:197]
	v_div_scale_f64 v[216:217], vcc_lo, v[196:197], v[194:195], v[196:197]
	v_rcp_f64_e32 v[212:213], v[210:211]
	v_fma_f64 v[214:215], -v[210:211], v[212:213], 1.0
	v_fma_f64 v[212:213], v[212:213], v[214:215], v[212:213]
	v_fma_f64 v[214:215], -v[210:211], v[212:213], 1.0
	v_fma_f64 v[212:213], v[212:213], v[214:215], v[212:213]
	v_mul_f64 v[214:215], v[216:217], v[212:213]
	v_fma_f64 v[210:211], -v[210:211], v[214:215], v[216:217]
	v_div_fmas_f64 v[210:211], v[210:211], v[212:213], v[214:215]
	v_div_fixup_f64 v[210:211], v[210:211], v[194:195], v[196:197]
	v_fma_f64 v[194:195], v[196:197], v[210:211], v[194:195]
	v_div_scale_f64 v[196:197], null, v[194:195], v[194:195], 1.0
	v_rcp_f64_e32 v[212:213], v[196:197]
	v_fma_f64 v[214:215], -v[196:197], v[212:213], 1.0
	v_fma_f64 v[212:213], v[212:213], v[214:215], v[212:213]
	v_fma_f64 v[214:215], -v[196:197], v[212:213], 1.0
	v_fma_f64 v[212:213], v[212:213], v[214:215], v[212:213]
	v_div_scale_f64 v[214:215], vcc_lo, 1.0, v[194:195], 1.0
	v_mul_f64 v[216:217], v[214:215], v[212:213]
	v_fma_f64 v[196:197], -v[196:197], v[216:217], v[214:215]
	v_div_fmas_f64 v[196:197], v[196:197], v[212:213], v[216:217]
	v_div_fixup_f64 v[194:195], v[196:197], v[194:195], 1.0
	v_mul_f64 v[196:197], v[210:211], -v[194:195]
.LBB94_30:
	s_or_b32 exec_lo, exec_lo, s7
	v_mov_b32_e32 v207, v209
.LBB94_31:
	s_or_b32 exec_lo, exec_lo, s0
	s_mov_b32 s0, exec_lo
	v_cmpx_ne_u32_e64 v208, v202
	s_xor_b32 s0, exec_lo, s0
	s_cbranch_execz .LBB94_37
; %bb.32:
	s_mov_b32 s7, exec_lo
	v_cmpx_eq_u32_e32 1, v208
	s_cbranch_execz .LBB94_36
; %bb.33:
	v_cmp_ne_u32_e32 vcc_lo, 1, v202
	s_xor_b32 s8, s16, -1
	s_and_b32 s9, s8, vcc_lo
	s_and_saveexec_b32 s8, s9
	s_cbranch_execz .LBB94_35
; %bb.34:
	v_ashrrev_i32_e32 v203, 31, v202
	v_lshlrev_b64 v[208:209], 2, v[202:203]
	v_add_co_u32 v208, vcc_lo, v200, v208
	v_add_co_ci_u32_e64 v209, null, v201, v209, vcc_lo
	s_clause 0x1
	global_load_dword v0, v[208:209], off
	global_load_dword v203, v[200:201], off offset:4
	s_waitcnt vmcnt(1)
	global_store_dword v[200:201], v0, off offset:4
	s_waitcnt vmcnt(0)
	global_store_dword v[208:209], v203, off
.LBB94_35:
	s_or_b32 exec_lo, exec_lo, s8
	v_mov_b32_e32 v208, v202
	v_mov_b32_e32 v0, v202
.LBB94_36:
	s_or_b32 exec_lo, exec_lo, s7
.LBB94_37:
	s_andn2_saveexec_b32 s0, s0
	s_cbranch_execz .LBB94_39
; %bb.38:
	v_mov_b32_e32 v208, 1
	ds_write2_b64 v1, v[182:183], v[184:185] offset0:4 offset1:5
	ds_write2_b64 v1, v[170:171], v[172:173] offset0:6 offset1:7
	;; [unrolled: 1-line block ×46, first 2 shown]
.LBB94_39:
	s_or_b32 exec_lo, exec_lo, s0
	s_mov_b32 s0, exec_lo
	s_waitcnt lgkmcnt(0)
	s_waitcnt_vscnt null, 0x0
	s_barrier
	buffer_gl0_inv
	v_cmpx_lt_i32_e32 1, v208
	s_cbranch_execz .LBB94_41
; %bb.40:
	v_mul_f64 v[202:203], v[196:197], v[188:189]
	v_mul_f64 v[188:189], v[194:195], v[188:189]
	v_fma_f64 v[202:203], v[194:195], v[186:187], -v[202:203]
	v_fma_f64 v[188:189], v[196:197], v[186:187], v[188:189]
	ds_read2_b64 v[194:197], v1 offset0:4 offset1:5
	s_waitcnt lgkmcnt(0)
	v_mul_f64 v[186:187], v[196:197], v[188:189]
	v_fma_f64 v[186:187], v[194:195], v[202:203], -v[186:187]
	v_mul_f64 v[194:195], v[194:195], v[188:189]
	v_add_f64 v[182:183], v[182:183], -v[186:187]
	v_fma_f64 v[194:195], v[196:197], v[202:203], v[194:195]
	v_add_f64 v[184:185], v[184:185], -v[194:195]
	ds_read2_b64 v[194:197], v1 offset0:6 offset1:7
	s_waitcnt lgkmcnt(0)
	v_mul_f64 v[186:187], v[196:197], v[188:189]
	v_fma_f64 v[186:187], v[194:195], v[202:203], -v[186:187]
	v_mul_f64 v[194:195], v[194:195], v[188:189]
	v_add_f64 v[170:171], v[170:171], -v[186:187]
	v_fma_f64 v[194:195], v[196:197], v[202:203], v[194:195]
	v_add_f64 v[172:173], v[172:173], -v[194:195]
	;; [unrolled: 8-line block ×45, first 2 shown]
	ds_read2_b64 v[194:197], v1 offset0:94 offset1:95
	s_waitcnt lgkmcnt(0)
	v_mul_f64 v[186:187], v[196:197], v[188:189]
	v_fma_f64 v[186:187], v[194:195], v[202:203], -v[186:187]
	v_mul_f64 v[194:195], v[194:195], v[188:189]
	v_add_f64 v[2:3], v[2:3], -v[186:187]
	v_fma_f64 v[194:195], v[196:197], v[202:203], v[194:195]
	v_mov_b32_e32 v186, v202
	v_mov_b32_e32 v187, v203
	v_add_f64 v[4:5], v[4:5], -v[194:195]
.LBB94_41:
	s_or_b32 exec_lo, exec_lo, s0
	v_lshl_add_u32 v194, v208, 4, v1
	s_barrier
	buffer_gl0_inv
	v_mov_b32_e32 v202, 2
	ds_write2_b64 v194, v[182:183], v[184:185] offset1:1
	s_waitcnt lgkmcnt(0)
	s_barrier
	buffer_gl0_inv
	ds_read2_b64 v[194:197], v1 offset0:4 offset1:5
	s_cmp_lt_i32 s1, 4
	s_cbranch_scc1 .LBB94_44
; %bb.42:
	v_add3_u32 v203, v204, 0, 48
	v_mov_b32_e32 v202, 2
	s_mov_b32 s7, 3
	s_inst_prefetch 0x1
	.p2align	6
.LBB94_43:                              ; =>This Inner Loop Header: Depth=1
	s_waitcnt lgkmcnt(0)
	v_cmp_gt_f64_e32 vcc_lo, 0, v[196:197]
	v_cmp_gt_f64_e64 s0, 0, v[194:195]
	ds_read2_b64 v[209:212], v203 offset1:1
	v_xor_b32_e32 v214, 0x80000000, v195
	v_xor_b32_e32 v216, 0x80000000, v197
	v_mov_b32_e32 v213, v194
	v_mov_b32_e32 v215, v196
	v_add_nc_u32_e32 v203, 16, v203
	s_waitcnt lgkmcnt(0)
	v_xor_b32_e32 v218, 0x80000000, v212
	v_cndmask_b32_e64 v214, v195, v214, s0
	v_cndmask_b32_e32 v216, v197, v216, vcc_lo
	v_cmp_gt_f64_e32 vcc_lo, 0, v[211:212]
	v_cmp_gt_f64_e64 s0, 0, v[209:210]
	v_mov_b32_e32 v217, v211
	v_add_f64 v[213:214], v[213:214], v[215:216]
	v_xor_b32_e32 v216, 0x80000000, v210
	v_mov_b32_e32 v215, v209
	v_cndmask_b32_e32 v218, v212, v218, vcc_lo
	v_cndmask_b32_e64 v216, v210, v216, s0
	v_add_f64 v[215:216], v[215:216], v[217:218]
	v_cmp_lt_f64_e32 vcc_lo, v[213:214], v[215:216]
	v_cndmask_b32_e32 v195, v195, v210, vcc_lo
	v_cndmask_b32_e32 v194, v194, v209, vcc_lo
	;; [unrolled: 1-line block ×4, first 2 shown]
	v_cndmask_b32_e64 v202, v202, s7, vcc_lo
	s_add_i32 s7, s7, 1
	s_cmp_lg_u32 s1, s7
	s_cbranch_scc1 .LBB94_43
.LBB94_44:
	s_inst_prefetch 0x2
	s_waitcnt lgkmcnt(0)
	v_cmp_eq_f64_e32 vcc_lo, 0, v[194:195]
	v_cmp_eq_f64_e64 s0, 0, v[196:197]
	s_and_b32 s0, vcc_lo, s0
	s_and_saveexec_b32 s7, s0
	s_xor_b32 s0, exec_lo, s7
; %bb.45:
	v_cmp_ne_u32_e32 vcc_lo, 0, v207
	v_cndmask_b32_e32 v207, 3, v207, vcc_lo
; %bb.46:
	s_andn2_saveexec_b32 s0, s0
	s_cbranch_execz .LBB94_52
; %bb.47:
	v_cmp_ngt_f64_e64 s7, |v[194:195]|, |v[196:197]|
	s_and_saveexec_b32 s8, s7
	s_xor_b32 s7, exec_lo, s8
	s_cbranch_execz .LBB94_49
; %bb.48:
	v_div_scale_f64 v[209:210], null, v[196:197], v[196:197], v[194:195]
	v_div_scale_f64 v[215:216], vcc_lo, v[194:195], v[196:197], v[194:195]
	v_rcp_f64_e32 v[211:212], v[209:210]
	v_fma_f64 v[213:214], -v[209:210], v[211:212], 1.0
	v_fma_f64 v[211:212], v[211:212], v[213:214], v[211:212]
	v_fma_f64 v[213:214], -v[209:210], v[211:212], 1.0
	v_fma_f64 v[211:212], v[211:212], v[213:214], v[211:212]
	v_mul_f64 v[213:214], v[215:216], v[211:212]
	v_fma_f64 v[209:210], -v[209:210], v[213:214], v[215:216]
	v_div_fmas_f64 v[209:210], v[209:210], v[211:212], v[213:214]
	v_div_fixup_f64 v[209:210], v[209:210], v[196:197], v[194:195]
	v_fma_f64 v[194:195], v[194:195], v[209:210], v[196:197]
	v_div_scale_f64 v[196:197], null, v[194:195], v[194:195], 1.0
	v_rcp_f64_e32 v[211:212], v[196:197]
	v_fma_f64 v[213:214], -v[196:197], v[211:212], 1.0
	v_fma_f64 v[211:212], v[211:212], v[213:214], v[211:212]
	v_fma_f64 v[213:214], -v[196:197], v[211:212], 1.0
	v_fma_f64 v[211:212], v[211:212], v[213:214], v[211:212]
	v_div_scale_f64 v[213:214], vcc_lo, 1.0, v[194:195], 1.0
	v_mul_f64 v[215:216], v[213:214], v[211:212]
	v_fma_f64 v[196:197], -v[196:197], v[215:216], v[213:214]
	v_div_fmas_f64 v[196:197], v[196:197], v[211:212], v[215:216]
	v_div_fixup_f64 v[196:197], v[196:197], v[194:195], 1.0
	v_mul_f64 v[194:195], v[209:210], v[196:197]
	v_xor_b32_e32 v197, 0x80000000, v197
.LBB94_49:
	s_andn2_saveexec_b32 s7, s7
	s_cbranch_execz .LBB94_51
; %bb.50:
	v_div_scale_f64 v[209:210], null, v[194:195], v[194:195], v[196:197]
	v_div_scale_f64 v[215:216], vcc_lo, v[196:197], v[194:195], v[196:197]
	v_rcp_f64_e32 v[211:212], v[209:210]
	v_fma_f64 v[213:214], -v[209:210], v[211:212], 1.0
	v_fma_f64 v[211:212], v[211:212], v[213:214], v[211:212]
	v_fma_f64 v[213:214], -v[209:210], v[211:212], 1.0
	v_fma_f64 v[211:212], v[211:212], v[213:214], v[211:212]
	v_mul_f64 v[213:214], v[215:216], v[211:212]
	v_fma_f64 v[209:210], -v[209:210], v[213:214], v[215:216]
	v_div_fmas_f64 v[209:210], v[209:210], v[211:212], v[213:214]
	v_div_fixup_f64 v[209:210], v[209:210], v[194:195], v[196:197]
	v_fma_f64 v[194:195], v[196:197], v[209:210], v[194:195]
	v_div_scale_f64 v[196:197], null, v[194:195], v[194:195], 1.0
	v_rcp_f64_e32 v[211:212], v[196:197]
	v_fma_f64 v[213:214], -v[196:197], v[211:212], 1.0
	v_fma_f64 v[211:212], v[211:212], v[213:214], v[211:212]
	v_fma_f64 v[213:214], -v[196:197], v[211:212], 1.0
	v_fma_f64 v[211:212], v[211:212], v[213:214], v[211:212]
	v_div_scale_f64 v[213:214], vcc_lo, 1.0, v[194:195], 1.0
	v_mul_f64 v[215:216], v[213:214], v[211:212]
	v_fma_f64 v[196:197], -v[196:197], v[215:216], v[213:214]
	v_div_fmas_f64 v[196:197], v[196:197], v[211:212], v[215:216]
	v_div_fixup_f64 v[194:195], v[196:197], v[194:195], 1.0
	v_mul_f64 v[196:197], v[209:210], -v[194:195]
.LBB94_51:
	s_or_b32 exec_lo, exec_lo, s7
.LBB94_52:
	s_or_b32 exec_lo, exec_lo, s0
	s_mov_b32 s0, exec_lo
	v_cmpx_ne_u32_e64 v208, v202
	s_xor_b32 s0, exec_lo, s0
	s_cbranch_execz .LBB94_58
; %bb.53:
	s_mov_b32 s7, exec_lo
	v_cmpx_eq_u32_e32 2, v208
	s_cbranch_execz .LBB94_57
; %bb.54:
	v_cmp_ne_u32_e32 vcc_lo, 2, v202
	s_xor_b32 s8, s16, -1
	s_and_b32 s9, s8, vcc_lo
	s_and_saveexec_b32 s8, s9
	s_cbranch_execz .LBB94_56
; %bb.55:
	v_ashrrev_i32_e32 v203, 31, v202
	v_lshlrev_b64 v[208:209], 2, v[202:203]
	v_add_co_u32 v208, vcc_lo, v200, v208
	v_add_co_ci_u32_e64 v209, null, v201, v209, vcc_lo
	s_clause 0x1
	global_load_dword v0, v[208:209], off
	global_load_dword v203, v[200:201], off offset:8
	s_waitcnt vmcnt(1)
	global_store_dword v[200:201], v0, off offset:8
	s_waitcnt vmcnt(0)
	global_store_dword v[208:209], v203, off
.LBB94_56:
	s_or_b32 exec_lo, exec_lo, s8
	v_mov_b32_e32 v208, v202
	v_mov_b32_e32 v0, v202
.LBB94_57:
	s_or_b32 exec_lo, exec_lo, s7
.LBB94_58:
	s_andn2_saveexec_b32 s0, s0
	s_cbranch_execz .LBB94_60
; %bb.59:
	v_mov_b32_e32 v208, 2
	ds_write2_b64 v1, v[170:171], v[172:173] offset0:6 offset1:7
	ds_write2_b64 v1, v[178:179], v[180:181] offset0:8 offset1:9
	;; [unrolled: 1-line block ×45, first 2 shown]
.LBB94_60:
	s_or_b32 exec_lo, exec_lo, s0
	s_mov_b32 s0, exec_lo
	s_waitcnt lgkmcnt(0)
	s_waitcnt_vscnt null, 0x0
	s_barrier
	buffer_gl0_inv
	v_cmpx_lt_i32_e32 2, v208
	s_cbranch_execz .LBB94_62
; %bb.61:
	v_mul_f64 v[202:203], v[196:197], v[184:185]
	v_mul_f64 v[184:185], v[194:195], v[184:185]
	v_fma_f64 v[202:203], v[194:195], v[182:183], -v[202:203]
	v_fma_f64 v[184:185], v[196:197], v[182:183], v[184:185]
	ds_read2_b64 v[194:197], v1 offset0:6 offset1:7
	s_waitcnt lgkmcnt(0)
	v_mul_f64 v[182:183], v[196:197], v[184:185]
	v_fma_f64 v[182:183], v[194:195], v[202:203], -v[182:183]
	v_mul_f64 v[194:195], v[194:195], v[184:185]
	v_add_f64 v[170:171], v[170:171], -v[182:183]
	v_fma_f64 v[194:195], v[196:197], v[202:203], v[194:195]
	v_add_f64 v[172:173], v[172:173], -v[194:195]
	ds_read2_b64 v[194:197], v1 offset0:8 offset1:9
	s_waitcnt lgkmcnt(0)
	v_mul_f64 v[182:183], v[196:197], v[184:185]
	v_fma_f64 v[182:183], v[194:195], v[202:203], -v[182:183]
	v_mul_f64 v[194:195], v[194:195], v[184:185]
	v_add_f64 v[178:179], v[178:179], -v[182:183]
	v_fma_f64 v[194:195], v[196:197], v[202:203], v[194:195]
	v_add_f64 v[180:181], v[180:181], -v[194:195]
	;; [unrolled: 8-line block ×44, first 2 shown]
	ds_read2_b64 v[194:197], v1 offset0:94 offset1:95
	s_waitcnt lgkmcnt(0)
	v_mul_f64 v[182:183], v[196:197], v[184:185]
	v_fma_f64 v[182:183], v[194:195], v[202:203], -v[182:183]
	v_mul_f64 v[194:195], v[194:195], v[184:185]
	v_add_f64 v[2:3], v[2:3], -v[182:183]
	v_fma_f64 v[194:195], v[196:197], v[202:203], v[194:195]
	v_mov_b32_e32 v182, v202
	v_mov_b32_e32 v183, v203
	v_add_f64 v[4:5], v[4:5], -v[194:195]
.LBB94_62:
	s_or_b32 exec_lo, exec_lo, s0
	v_lshl_add_u32 v194, v208, 4, v1
	s_barrier
	buffer_gl0_inv
	v_mov_b32_e32 v202, 3
	ds_write2_b64 v194, v[170:171], v[172:173] offset1:1
	s_waitcnt lgkmcnt(0)
	s_barrier
	buffer_gl0_inv
	ds_read2_b64 v[194:197], v1 offset0:6 offset1:7
	s_cmp_lt_i32 s1, 5
	s_mov_b32 s7, 4
	s_cbranch_scc1 .LBB94_65
; %bb.63:
	v_add3_u32 v203, v204, 0, 64
	v_mov_b32_e32 v202, 3
	s_inst_prefetch 0x1
	.p2align	6
.LBB94_64:                              ; =>This Inner Loop Header: Depth=1
	s_waitcnt lgkmcnt(0)
	v_cmp_gt_f64_e32 vcc_lo, 0, v[196:197]
	v_cmp_gt_f64_e64 s0, 0, v[194:195]
	ds_read2_b64 v[209:212], v203 offset1:1
	v_xor_b32_e32 v214, 0x80000000, v195
	v_xor_b32_e32 v216, 0x80000000, v197
	v_mov_b32_e32 v213, v194
	v_mov_b32_e32 v215, v196
	v_add_nc_u32_e32 v203, 16, v203
	s_waitcnt lgkmcnt(0)
	v_xor_b32_e32 v218, 0x80000000, v212
	v_cndmask_b32_e64 v214, v195, v214, s0
	v_cndmask_b32_e32 v216, v197, v216, vcc_lo
	v_cmp_gt_f64_e32 vcc_lo, 0, v[211:212]
	v_cmp_gt_f64_e64 s0, 0, v[209:210]
	v_mov_b32_e32 v217, v211
	v_add_f64 v[213:214], v[213:214], v[215:216]
	v_xor_b32_e32 v216, 0x80000000, v210
	v_mov_b32_e32 v215, v209
	v_cndmask_b32_e32 v218, v212, v218, vcc_lo
	v_cndmask_b32_e64 v216, v210, v216, s0
	v_add_f64 v[215:216], v[215:216], v[217:218]
	v_cmp_lt_f64_e32 vcc_lo, v[213:214], v[215:216]
	v_cndmask_b32_e32 v195, v195, v210, vcc_lo
	v_cndmask_b32_e32 v194, v194, v209, vcc_lo
	;; [unrolled: 1-line block ×4, first 2 shown]
	v_cndmask_b32_e64 v202, v202, s7, vcc_lo
	s_add_i32 s7, s7, 1
	s_cmp_lg_u32 s1, s7
	s_cbranch_scc1 .LBB94_64
.LBB94_65:
	s_inst_prefetch 0x2
	s_waitcnt lgkmcnt(0)
	v_cmp_eq_f64_e32 vcc_lo, 0, v[194:195]
	v_cmp_eq_f64_e64 s0, 0, v[196:197]
	s_and_b32 s0, vcc_lo, s0
	s_and_saveexec_b32 s7, s0
	s_xor_b32 s0, exec_lo, s7
; %bb.66:
	v_cmp_ne_u32_e32 vcc_lo, 0, v207
	v_cndmask_b32_e32 v207, 4, v207, vcc_lo
; %bb.67:
	s_andn2_saveexec_b32 s0, s0
	s_cbranch_execz .LBB94_73
; %bb.68:
	v_cmp_ngt_f64_e64 s7, |v[194:195]|, |v[196:197]|
	s_and_saveexec_b32 s8, s7
	s_xor_b32 s7, exec_lo, s8
	s_cbranch_execz .LBB94_70
; %bb.69:
	v_div_scale_f64 v[209:210], null, v[196:197], v[196:197], v[194:195]
	v_div_scale_f64 v[215:216], vcc_lo, v[194:195], v[196:197], v[194:195]
	v_rcp_f64_e32 v[211:212], v[209:210]
	v_fma_f64 v[213:214], -v[209:210], v[211:212], 1.0
	v_fma_f64 v[211:212], v[211:212], v[213:214], v[211:212]
	v_fma_f64 v[213:214], -v[209:210], v[211:212], 1.0
	v_fma_f64 v[211:212], v[211:212], v[213:214], v[211:212]
	v_mul_f64 v[213:214], v[215:216], v[211:212]
	v_fma_f64 v[209:210], -v[209:210], v[213:214], v[215:216]
	v_div_fmas_f64 v[209:210], v[209:210], v[211:212], v[213:214]
	v_div_fixup_f64 v[209:210], v[209:210], v[196:197], v[194:195]
	v_fma_f64 v[194:195], v[194:195], v[209:210], v[196:197]
	v_div_scale_f64 v[196:197], null, v[194:195], v[194:195], 1.0
	v_rcp_f64_e32 v[211:212], v[196:197]
	v_fma_f64 v[213:214], -v[196:197], v[211:212], 1.0
	v_fma_f64 v[211:212], v[211:212], v[213:214], v[211:212]
	v_fma_f64 v[213:214], -v[196:197], v[211:212], 1.0
	v_fma_f64 v[211:212], v[211:212], v[213:214], v[211:212]
	v_div_scale_f64 v[213:214], vcc_lo, 1.0, v[194:195], 1.0
	v_mul_f64 v[215:216], v[213:214], v[211:212]
	v_fma_f64 v[196:197], -v[196:197], v[215:216], v[213:214]
	v_div_fmas_f64 v[196:197], v[196:197], v[211:212], v[215:216]
	v_div_fixup_f64 v[196:197], v[196:197], v[194:195], 1.0
	v_mul_f64 v[194:195], v[209:210], v[196:197]
	v_xor_b32_e32 v197, 0x80000000, v197
.LBB94_70:
	s_andn2_saveexec_b32 s7, s7
	s_cbranch_execz .LBB94_72
; %bb.71:
	v_div_scale_f64 v[209:210], null, v[194:195], v[194:195], v[196:197]
	v_div_scale_f64 v[215:216], vcc_lo, v[196:197], v[194:195], v[196:197]
	v_rcp_f64_e32 v[211:212], v[209:210]
	v_fma_f64 v[213:214], -v[209:210], v[211:212], 1.0
	v_fma_f64 v[211:212], v[211:212], v[213:214], v[211:212]
	v_fma_f64 v[213:214], -v[209:210], v[211:212], 1.0
	v_fma_f64 v[211:212], v[211:212], v[213:214], v[211:212]
	v_mul_f64 v[213:214], v[215:216], v[211:212]
	v_fma_f64 v[209:210], -v[209:210], v[213:214], v[215:216]
	v_div_fmas_f64 v[209:210], v[209:210], v[211:212], v[213:214]
	v_div_fixup_f64 v[209:210], v[209:210], v[194:195], v[196:197]
	v_fma_f64 v[194:195], v[196:197], v[209:210], v[194:195]
	v_div_scale_f64 v[196:197], null, v[194:195], v[194:195], 1.0
	v_rcp_f64_e32 v[211:212], v[196:197]
	v_fma_f64 v[213:214], -v[196:197], v[211:212], 1.0
	v_fma_f64 v[211:212], v[211:212], v[213:214], v[211:212]
	v_fma_f64 v[213:214], -v[196:197], v[211:212], 1.0
	v_fma_f64 v[211:212], v[211:212], v[213:214], v[211:212]
	v_div_scale_f64 v[213:214], vcc_lo, 1.0, v[194:195], 1.0
	v_mul_f64 v[215:216], v[213:214], v[211:212]
	v_fma_f64 v[196:197], -v[196:197], v[215:216], v[213:214]
	v_div_fmas_f64 v[196:197], v[196:197], v[211:212], v[215:216]
	v_div_fixup_f64 v[194:195], v[196:197], v[194:195], 1.0
	v_mul_f64 v[196:197], v[209:210], -v[194:195]
.LBB94_72:
	s_or_b32 exec_lo, exec_lo, s7
.LBB94_73:
	s_or_b32 exec_lo, exec_lo, s0
	s_mov_b32 s0, exec_lo
	v_cmpx_ne_u32_e64 v208, v202
	s_xor_b32 s0, exec_lo, s0
	s_cbranch_execz .LBB94_79
; %bb.74:
	s_mov_b32 s7, exec_lo
	v_cmpx_eq_u32_e32 3, v208
	s_cbranch_execz .LBB94_78
; %bb.75:
	v_cmp_ne_u32_e32 vcc_lo, 3, v202
	s_xor_b32 s8, s16, -1
	s_and_b32 s9, s8, vcc_lo
	s_and_saveexec_b32 s8, s9
	s_cbranch_execz .LBB94_77
; %bb.76:
	v_ashrrev_i32_e32 v203, 31, v202
	v_lshlrev_b64 v[208:209], 2, v[202:203]
	v_add_co_u32 v208, vcc_lo, v200, v208
	v_add_co_ci_u32_e64 v209, null, v201, v209, vcc_lo
	s_clause 0x1
	global_load_dword v0, v[208:209], off
	global_load_dword v203, v[200:201], off offset:12
	s_waitcnt vmcnt(1)
	global_store_dword v[200:201], v0, off offset:12
	s_waitcnt vmcnt(0)
	global_store_dword v[208:209], v203, off
.LBB94_77:
	s_or_b32 exec_lo, exec_lo, s8
	v_mov_b32_e32 v208, v202
	v_mov_b32_e32 v0, v202
.LBB94_78:
	s_or_b32 exec_lo, exec_lo, s7
.LBB94_79:
	s_andn2_saveexec_b32 s0, s0
	s_cbranch_execz .LBB94_81
; %bb.80:
	v_mov_b32_e32 v208, 3
	ds_write2_b64 v1, v[178:179], v[180:181] offset0:8 offset1:9
	ds_write2_b64 v1, v[174:175], v[176:177] offset0:10 offset1:11
	ds_write2_b64 v1, v[166:167], v[168:169] offset0:12 offset1:13
	ds_write2_b64 v1, v[162:163], v[164:165] offset0:14 offset1:15
	ds_write2_b64 v1, v[142:143], v[144:145] offset0:16 offset1:17
	ds_write2_b64 v1, v[138:139], v[140:141] offset0:18 offset1:19
	ds_write2_b64 v1, v[146:147], v[148:149] offset0:20 offset1:21
	ds_write2_b64 v1, v[122:123], v[124:125] offset0:22 offset1:23
	ds_write2_b64 v1, v[134:135], v[136:137] offset0:24 offset1:25
	ds_write2_b64 v1, v[110:111], v[112:113] offset0:26 offset1:27
	ds_write2_b64 v1, v[118:119], v[120:121] offset0:28 offset1:29
	ds_write2_b64 v1, v[114:115], v[116:117] offset0:30 offset1:31
	ds_write2_b64 v1, v[94:95], v[96:97] offset0:32 offset1:33
	ds_write2_b64 v1, v[90:91], v[92:93] offset0:34 offset1:35
	ds_write2_b64 v1, v[158:159], v[160:161] offset0:36 offset1:37
	ds_write2_b64 v1, v[154:155], v[156:157] offset0:38 offset1:39
	ds_write2_b64 v1, v[150:151], v[152:153] offset0:40 offset1:41
	ds_write2_b64 v1, v[130:131], v[132:133] offset0:42 offset1:43
	ds_write2_b64 v1, v[126:127], v[128:129] offset0:44 offset1:45
	ds_write2_b64 v1, v[106:107], v[108:109] offset0:46 offset1:47
	ds_write2_b64 v1, v[102:103], v[104:105] offset0:48 offset1:49
	ds_write2_b64 v1, v[98:99], v[100:101] offset0:50 offset1:51
	ds_write2_b64 v1, v[86:87], v[88:89] offset0:52 offset1:53
	ds_write2_b64 v1, v[82:83], v[84:85] offset0:54 offset1:55
	ds_write2_b64 v1, v[78:79], v[80:81] offset0:56 offset1:57
	ds_write2_b64 v1, v[74:75], v[76:77] offset0:58 offset1:59
	ds_write2_b64 v1, v[70:71], v[72:73] offset0:60 offset1:61
	ds_write2_b64 v1, v[66:67], v[68:69] offset0:62 offset1:63
	ds_write2_b64 v1, v[62:63], v[64:65] offset0:64 offset1:65
	ds_write2_b64 v1, v[58:59], v[60:61] offset0:66 offset1:67
	ds_write2_b64 v1, v[54:55], v[56:57] offset0:68 offset1:69
	ds_write2_b64 v1, v[50:51], v[52:53] offset0:70 offset1:71
	ds_write2_b64 v1, v[46:47], v[48:49] offset0:72 offset1:73
	ds_write2_b64 v1, v[42:43], v[44:45] offset0:74 offset1:75
	ds_write2_b64 v1, v[38:39], v[40:41] offset0:76 offset1:77
	ds_write2_b64 v1, v[34:35], v[36:37] offset0:78 offset1:79
	ds_write2_b64 v1, v[30:31], v[32:33] offset0:80 offset1:81
	ds_write2_b64 v1, v[26:27], v[28:29] offset0:82 offset1:83
	ds_write2_b64 v1, v[22:23], v[24:25] offset0:84 offset1:85
	ds_write2_b64 v1, v[18:19], v[20:21] offset0:86 offset1:87
	ds_write2_b64 v1, v[14:15], v[16:17] offset0:88 offset1:89
	ds_write2_b64 v1, v[10:11], v[12:13] offset0:90 offset1:91
	ds_write2_b64 v1, v[6:7], v[8:9] offset0:92 offset1:93
	ds_write2_b64 v1, v[2:3], v[4:5] offset0:94 offset1:95
.LBB94_81:
	s_or_b32 exec_lo, exec_lo, s0
	s_mov_b32 s0, exec_lo
	s_waitcnt lgkmcnt(0)
	s_waitcnt_vscnt null, 0x0
	s_barrier
	buffer_gl0_inv
	v_cmpx_lt_i32_e32 3, v208
	s_cbranch_execz .LBB94_83
; %bb.82:
	v_mul_f64 v[202:203], v[196:197], v[172:173]
	v_mul_f64 v[172:173], v[194:195], v[172:173]
	v_fma_f64 v[202:203], v[194:195], v[170:171], -v[202:203]
	v_fma_f64 v[172:173], v[196:197], v[170:171], v[172:173]
	ds_read2_b64 v[194:197], v1 offset0:8 offset1:9
	s_waitcnt lgkmcnt(0)
	v_mul_f64 v[170:171], v[196:197], v[172:173]
	v_fma_f64 v[170:171], v[194:195], v[202:203], -v[170:171]
	v_mul_f64 v[194:195], v[194:195], v[172:173]
	v_add_f64 v[178:179], v[178:179], -v[170:171]
	v_fma_f64 v[194:195], v[196:197], v[202:203], v[194:195]
	v_add_f64 v[180:181], v[180:181], -v[194:195]
	ds_read2_b64 v[194:197], v1 offset0:10 offset1:11
	s_waitcnt lgkmcnt(0)
	v_mul_f64 v[170:171], v[196:197], v[172:173]
	v_fma_f64 v[170:171], v[194:195], v[202:203], -v[170:171]
	v_mul_f64 v[194:195], v[194:195], v[172:173]
	v_add_f64 v[174:175], v[174:175], -v[170:171]
	v_fma_f64 v[194:195], v[196:197], v[202:203], v[194:195]
	v_add_f64 v[176:177], v[176:177], -v[194:195]
	ds_read2_b64 v[194:197], v1 offset0:12 offset1:13
	s_waitcnt lgkmcnt(0)
	v_mul_f64 v[170:171], v[196:197], v[172:173]
	v_fma_f64 v[170:171], v[194:195], v[202:203], -v[170:171]
	v_mul_f64 v[194:195], v[194:195], v[172:173]
	v_add_f64 v[166:167], v[166:167], -v[170:171]
	v_fma_f64 v[194:195], v[196:197], v[202:203], v[194:195]
	v_add_f64 v[168:169], v[168:169], -v[194:195]
	ds_read2_b64 v[194:197], v1 offset0:14 offset1:15
	s_waitcnt lgkmcnt(0)
	v_mul_f64 v[170:171], v[196:197], v[172:173]
	v_fma_f64 v[170:171], v[194:195], v[202:203], -v[170:171]
	v_mul_f64 v[194:195], v[194:195], v[172:173]
	v_add_f64 v[162:163], v[162:163], -v[170:171]
	v_fma_f64 v[194:195], v[196:197], v[202:203], v[194:195]
	v_add_f64 v[164:165], v[164:165], -v[194:195]
	ds_read2_b64 v[194:197], v1 offset0:16 offset1:17
	s_waitcnt lgkmcnt(0)
	v_mul_f64 v[170:171], v[196:197], v[172:173]
	v_fma_f64 v[170:171], v[194:195], v[202:203], -v[170:171]
	v_mul_f64 v[194:195], v[194:195], v[172:173]
	v_add_f64 v[142:143], v[142:143], -v[170:171]
	v_fma_f64 v[194:195], v[196:197], v[202:203], v[194:195]
	v_add_f64 v[144:145], v[144:145], -v[194:195]
	ds_read2_b64 v[194:197], v1 offset0:18 offset1:19
	s_waitcnt lgkmcnt(0)
	v_mul_f64 v[170:171], v[196:197], v[172:173]
	v_fma_f64 v[170:171], v[194:195], v[202:203], -v[170:171]
	v_mul_f64 v[194:195], v[194:195], v[172:173]
	v_add_f64 v[138:139], v[138:139], -v[170:171]
	v_fma_f64 v[194:195], v[196:197], v[202:203], v[194:195]
	v_add_f64 v[140:141], v[140:141], -v[194:195]
	ds_read2_b64 v[194:197], v1 offset0:20 offset1:21
	s_waitcnt lgkmcnt(0)
	v_mul_f64 v[170:171], v[196:197], v[172:173]
	v_fma_f64 v[170:171], v[194:195], v[202:203], -v[170:171]
	v_mul_f64 v[194:195], v[194:195], v[172:173]
	v_add_f64 v[146:147], v[146:147], -v[170:171]
	v_fma_f64 v[194:195], v[196:197], v[202:203], v[194:195]
	v_add_f64 v[148:149], v[148:149], -v[194:195]
	ds_read2_b64 v[194:197], v1 offset0:22 offset1:23
	s_waitcnt lgkmcnt(0)
	v_mul_f64 v[170:171], v[196:197], v[172:173]
	v_fma_f64 v[170:171], v[194:195], v[202:203], -v[170:171]
	v_mul_f64 v[194:195], v[194:195], v[172:173]
	v_add_f64 v[122:123], v[122:123], -v[170:171]
	v_fma_f64 v[194:195], v[196:197], v[202:203], v[194:195]
	v_add_f64 v[124:125], v[124:125], -v[194:195]
	ds_read2_b64 v[194:197], v1 offset0:24 offset1:25
	s_waitcnt lgkmcnt(0)
	v_mul_f64 v[170:171], v[196:197], v[172:173]
	v_fma_f64 v[170:171], v[194:195], v[202:203], -v[170:171]
	v_mul_f64 v[194:195], v[194:195], v[172:173]
	v_add_f64 v[134:135], v[134:135], -v[170:171]
	v_fma_f64 v[194:195], v[196:197], v[202:203], v[194:195]
	v_add_f64 v[136:137], v[136:137], -v[194:195]
	ds_read2_b64 v[194:197], v1 offset0:26 offset1:27
	s_waitcnt lgkmcnt(0)
	v_mul_f64 v[170:171], v[196:197], v[172:173]
	v_fma_f64 v[170:171], v[194:195], v[202:203], -v[170:171]
	v_mul_f64 v[194:195], v[194:195], v[172:173]
	v_add_f64 v[110:111], v[110:111], -v[170:171]
	v_fma_f64 v[194:195], v[196:197], v[202:203], v[194:195]
	v_add_f64 v[112:113], v[112:113], -v[194:195]
	ds_read2_b64 v[194:197], v1 offset0:28 offset1:29
	s_waitcnt lgkmcnt(0)
	v_mul_f64 v[170:171], v[196:197], v[172:173]
	v_fma_f64 v[170:171], v[194:195], v[202:203], -v[170:171]
	v_mul_f64 v[194:195], v[194:195], v[172:173]
	v_add_f64 v[118:119], v[118:119], -v[170:171]
	v_fma_f64 v[194:195], v[196:197], v[202:203], v[194:195]
	v_add_f64 v[120:121], v[120:121], -v[194:195]
	ds_read2_b64 v[194:197], v1 offset0:30 offset1:31
	s_waitcnt lgkmcnt(0)
	v_mul_f64 v[170:171], v[196:197], v[172:173]
	v_fma_f64 v[170:171], v[194:195], v[202:203], -v[170:171]
	v_mul_f64 v[194:195], v[194:195], v[172:173]
	v_add_f64 v[114:115], v[114:115], -v[170:171]
	v_fma_f64 v[194:195], v[196:197], v[202:203], v[194:195]
	v_add_f64 v[116:117], v[116:117], -v[194:195]
	ds_read2_b64 v[194:197], v1 offset0:32 offset1:33
	s_waitcnt lgkmcnt(0)
	v_mul_f64 v[170:171], v[196:197], v[172:173]
	v_fma_f64 v[170:171], v[194:195], v[202:203], -v[170:171]
	v_mul_f64 v[194:195], v[194:195], v[172:173]
	v_add_f64 v[94:95], v[94:95], -v[170:171]
	v_fma_f64 v[194:195], v[196:197], v[202:203], v[194:195]
	v_add_f64 v[96:97], v[96:97], -v[194:195]
	ds_read2_b64 v[194:197], v1 offset0:34 offset1:35
	s_waitcnt lgkmcnt(0)
	v_mul_f64 v[170:171], v[196:197], v[172:173]
	v_fma_f64 v[170:171], v[194:195], v[202:203], -v[170:171]
	v_mul_f64 v[194:195], v[194:195], v[172:173]
	v_add_f64 v[90:91], v[90:91], -v[170:171]
	v_fma_f64 v[194:195], v[196:197], v[202:203], v[194:195]
	v_add_f64 v[92:93], v[92:93], -v[194:195]
	ds_read2_b64 v[194:197], v1 offset0:36 offset1:37
	s_waitcnt lgkmcnt(0)
	v_mul_f64 v[170:171], v[196:197], v[172:173]
	v_fma_f64 v[170:171], v[194:195], v[202:203], -v[170:171]
	v_mul_f64 v[194:195], v[194:195], v[172:173]
	v_add_f64 v[158:159], v[158:159], -v[170:171]
	v_fma_f64 v[194:195], v[196:197], v[202:203], v[194:195]
	v_add_f64 v[160:161], v[160:161], -v[194:195]
	ds_read2_b64 v[194:197], v1 offset0:38 offset1:39
	s_waitcnt lgkmcnt(0)
	v_mul_f64 v[170:171], v[196:197], v[172:173]
	v_fma_f64 v[170:171], v[194:195], v[202:203], -v[170:171]
	v_mul_f64 v[194:195], v[194:195], v[172:173]
	v_add_f64 v[154:155], v[154:155], -v[170:171]
	v_fma_f64 v[194:195], v[196:197], v[202:203], v[194:195]
	v_add_f64 v[156:157], v[156:157], -v[194:195]
	ds_read2_b64 v[194:197], v1 offset0:40 offset1:41
	s_waitcnt lgkmcnt(0)
	v_mul_f64 v[170:171], v[196:197], v[172:173]
	v_fma_f64 v[170:171], v[194:195], v[202:203], -v[170:171]
	v_mul_f64 v[194:195], v[194:195], v[172:173]
	v_add_f64 v[150:151], v[150:151], -v[170:171]
	v_fma_f64 v[194:195], v[196:197], v[202:203], v[194:195]
	v_add_f64 v[152:153], v[152:153], -v[194:195]
	ds_read2_b64 v[194:197], v1 offset0:42 offset1:43
	s_waitcnt lgkmcnt(0)
	v_mul_f64 v[170:171], v[196:197], v[172:173]
	v_fma_f64 v[170:171], v[194:195], v[202:203], -v[170:171]
	v_mul_f64 v[194:195], v[194:195], v[172:173]
	v_add_f64 v[130:131], v[130:131], -v[170:171]
	v_fma_f64 v[194:195], v[196:197], v[202:203], v[194:195]
	v_add_f64 v[132:133], v[132:133], -v[194:195]
	ds_read2_b64 v[194:197], v1 offset0:44 offset1:45
	s_waitcnt lgkmcnt(0)
	v_mul_f64 v[170:171], v[196:197], v[172:173]
	v_fma_f64 v[170:171], v[194:195], v[202:203], -v[170:171]
	v_mul_f64 v[194:195], v[194:195], v[172:173]
	v_add_f64 v[126:127], v[126:127], -v[170:171]
	v_fma_f64 v[194:195], v[196:197], v[202:203], v[194:195]
	v_add_f64 v[128:129], v[128:129], -v[194:195]
	ds_read2_b64 v[194:197], v1 offset0:46 offset1:47
	s_waitcnt lgkmcnt(0)
	v_mul_f64 v[170:171], v[196:197], v[172:173]
	v_fma_f64 v[170:171], v[194:195], v[202:203], -v[170:171]
	v_mul_f64 v[194:195], v[194:195], v[172:173]
	v_add_f64 v[106:107], v[106:107], -v[170:171]
	v_fma_f64 v[194:195], v[196:197], v[202:203], v[194:195]
	v_add_f64 v[108:109], v[108:109], -v[194:195]
	ds_read2_b64 v[194:197], v1 offset0:48 offset1:49
	s_waitcnt lgkmcnt(0)
	v_mul_f64 v[170:171], v[196:197], v[172:173]
	v_fma_f64 v[170:171], v[194:195], v[202:203], -v[170:171]
	v_mul_f64 v[194:195], v[194:195], v[172:173]
	v_add_f64 v[102:103], v[102:103], -v[170:171]
	v_fma_f64 v[194:195], v[196:197], v[202:203], v[194:195]
	v_add_f64 v[104:105], v[104:105], -v[194:195]
	ds_read2_b64 v[194:197], v1 offset0:50 offset1:51
	s_waitcnt lgkmcnt(0)
	v_mul_f64 v[170:171], v[196:197], v[172:173]
	v_fma_f64 v[170:171], v[194:195], v[202:203], -v[170:171]
	v_mul_f64 v[194:195], v[194:195], v[172:173]
	v_add_f64 v[98:99], v[98:99], -v[170:171]
	v_fma_f64 v[194:195], v[196:197], v[202:203], v[194:195]
	v_add_f64 v[100:101], v[100:101], -v[194:195]
	ds_read2_b64 v[194:197], v1 offset0:52 offset1:53
	s_waitcnt lgkmcnt(0)
	v_mul_f64 v[170:171], v[196:197], v[172:173]
	v_fma_f64 v[170:171], v[194:195], v[202:203], -v[170:171]
	v_mul_f64 v[194:195], v[194:195], v[172:173]
	v_add_f64 v[86:87], v[86:87], -v[170:171]
	v_fma_f64 v[194:195], v[196:197], v[202:203], v[194:195]
	v_add_f64 v[88:89], v[88:89], -v[194:195]
	ds_read2_b64 v[194:197], v1 offset0:54 offset1:55
	s_waitcnt lgkmcnt(0)
	v_mul_f64 v[170:171], v[196:197], v[172:173]
	v_fma_f64 v[170:171], v[194:195], v[202:203], -v[170:171]
	v_mul_f64 v[194:195], v[194:195], v[172:173]
	v_add_f64 v[82:83], v[82:83], -v[170:171]
	v_fma_f64 v[194:195], v[196:197], v[202:203], v[194:195]
	v_add_f64 v[84:85], v[84:85], -v[194:195]
	ds_read2_b64 v[194:197], v1 offset0:56 offset1:57
	s_waitcnt lgkmcnt(0)
	v_mul_f64 v[170:171], v[196:197], v[172:173]
	v_fma_f64 v[170:171], v[194:195], v[202:203], -v[170:171]
	v_mul_f64 v[194:195], v[194:195], v[172:173]
	v_add_f64 v[78:79], v[78:79], -v[170:171]
	v_fma_f64 v[194:195], v[196:197], v[202:203], v[194:195]
	v_add_f64 v[80:81], v[80:81], -v[194:195]
	ds_read2_b64 v[194:197], v1 offset0:58 offset1:59
	s_waitcnt lgkmcnt(0)
	v_mul_f64 v[170:171], v[196:197], v[172:173]
	v_fma_f64 v[170:171], v[194:195], v[202:203], -v[170:171]
	v_mul_f64 v[194:195], v[194:195], v[172:173]
	v_add_f64 v[74:75], v[74:75], -v[170:171]
	v_fma_f64 v[194:195], v[196:197], v[202:203], v[194:195]
	v_add_f64 v[76:77], v[76:77], -v[194:195]
	ds_read2_b64 v[194:197], v1 offset0:60 offset1:61
	s_waitcnt lgkmcnt(0)
	v_mul_f64 v[170:171], v[196:197], v[172:173]
	v_fma_f64 v[170:171], v[194:195], v[202:203], -v[170:171]
	v_mul_f64 v[194:195], v[194:195], v[172:173]
	v_add_f64 v[70:71], v[70:71], -v[170:171]
	v_fma_f64 v[194:195], v[196:197], v[202:203], v[194:195]
	v_add_f64 v[72:73], v[72:73], -v[194:195]
	ds_read2_b64 v[194:197], v1 offset0:62 offset1:63
	s_waitcnt lgkmcnt(0)
	v_mul_f64 v[170:171], v[196:197], v[172:173]
	v_fma_f64 v[170:171], v[194:195], v[202:203], -v[170:171]
	v_mul_f64 v[194:195], v[194:195], v[172:173]
	v_add_f64 v[66:67], v[66:67], -v[170:171]
	v_fma_f64 v[194:195], v[196:197], v[202:203], v[194:195]
	v_add_f64 v[68:69], v[68:69], -v[194:195]
	ds_read2_b64 v[194:197], v1 offset0:64 offset1:65
	s_waitcnt lgkmcnt(0)
	v_mul_f64 v[170:171], v[196:197], v[172:173]
	v_fma_f64 v[170:171], v[194:195], v[202:203], -v[170:171]
	v_mul_f64 v[194:195], v[194:195], v[172:173]
	v_add_f64 v[62:63], v[62:63], -v[170:171]
	v_fma_f64 v[194:195], v[196:197], v[202:203], v[194:195]
	v_add_f64 v[64:65], v[64:65], -v[194:195]
	ds_read2_b64 v[194:197], v1 offset0:66 offset1:67
	s_waitcnt lgkmcnt(0)
	v_mul_f64 v[170:171], v[196:197], v[172:173]
	v_fma_f64 v[170:171], v[194:195], v[202:203], -v[170:171]
	v_mul_f64 v[194:195], v[194:195], v[172:173]
	v_add_f64 v[58:59], v[58:59], -v[170:171]
	v_fma_f64 v[194:195], v[196:197], v[202:203], v[194:195]
	v_add_f64 v[60:61], v[60:61], -v[194:195]
	ds_read2_b64 v[194:197], v1 offset0:68 offset1:69
	s_waitcnt lgkmcnt(0)
	v_mul_f64 v[170:171], v[196:197], v[172:173]
	v_fma_f64 v[170:171], v[194:195], v[202:203], -v[170:171]
	v_mul_f64 v[194:195], v[194:195], v[172:173]
	v_add_f64 v[54:55], v[54:55], -v[170:171]
	v_fma_f64 v[194:195], v[196:197], v[202:203], v[194:195]
	v_add_f64 v[56:57], v[56:57], -v[194:195]
	ds_read2_b64 v[194:197], v1 offset0:70 offset1:71
	s_waitcnt lgkmcnt(0)
	v_mul_f64 v[170:171], v[196:197], v[172:173]
	v_fma_f64 v[170:171], v[194:195], v[202:203], -v[170:171]
	v_mul_f64 v[194:195], v[194:195], v[172:173]
	v_add_f64 v[50:51], v[50:51], -v[170:171]
	v_fma_f64 v[194:195], v[196:197], v[202:203], v[194:195]
	v_add_f64 v[52:53], v[52:53], -v[194:195]
	ds_read2_b64 v[194:197], v1 offset0:72 offset1:73
	s_waitcnt lgkmcnt(0)
	v_mul_f64 v[170:171], v[196:197], v[172:173]
	v_fma_f64 v[170:171], v[194:195], v[202:203], -v[170:171]
	v_mul_f64 v[194:195], v[194:195], v[172:173]
	v_add_f64 v[46:47], v[46:47], -v[170:171]
	v_fma_f64 v[194:195], v[196:197], v[202:203], v[194:195]
	v_add_f64 v[48:49], v[48:49], -v[194:195]
	ds_read2_b64 v[194:197], v1 offset0:74 offset1:75
	s_waitcnt lgkmcnt(0)
	v_mul_f64 v[170:171], v[196:197], v[172:173]
	v_fma_f64 v[170:171], v[194:195], v[202:203], -v[170:171]
	v_mul_f64 v[194:195], v[194:195], v[172:173]
	v_add_f64 v[42:43], v[42:43], -v[170:171]
	v_fma_f64 v[194:195], v[196:197], v[202:203], v[194:195]
	v_add_f64 v[44:45], v[44:45], -v[194:195]
	ds_read2_b64 v[194:197], v1 offset0:76 offset1:77
	s_waitcnt lgkmcnt(0)
	v_mul_f64 v[170:171], v[196:197], v[172:173]
	v_fma_f64 v[170:171], v[194:195], v[202:203], -v[170:171]
	v_mul_f64 v[194:195], v[194:195], v[172:173]
	v_add_f64 v[38:39], v[38:39], -v[170:171]
	v_fma_f64 v[194:195], v[196:197], v[202:203], v[194:195]
	v_add_f64 v[40:41], v[40:41], -v[194:195]
	ds_read2_b64 v[194:197], v1 offset0:78 offset1:79
	s_waitcnt lgkmcnt(0)
	v_mul_f64 v[170:171], v[196:197], v[172:173]
	v_fma_f64 v[170:171], v[194:195], v[202:203], -v[170:171]
	v_mul_f64 v[194:195], v[194:195], v[172:173]
	v_add_f64 v[34:35], v[34:35], -v[170:171]
	v_fma_f64 v[194:195], v[196:197], v[202:203], v[194:195]
	v_add_f64 v[36:37], v[36:37], -v[194:195]
	ds_read2_b64 v[194:197], v1 offset0:80 offset1:81
	s_waitcnt lgkmcnt(0)
	v_mul_f64 v[170:171], v[196:197], v[172:173]
	v_fma_f64 v[170:171], v[194:195], v[202:203], -v[170:171]
	v_mul_f64 v[194:195], v[194:195], v[172:173]
	v_add_f64 v[30:31], v[30:31], -v[170:171]
	v_fma_f64 v[194:195], v[196:197], v[202:203], v[194:195]
	v_add_f64 v[32:33], v[32:33], -v[194:195]
	ds_read2_b64 v[194:197], v1 offset0:82 offset1:83
	s_waitcnt lgkmcnt(0)
	v_mul_f64 v[170:171], v[196:197], v[172:173]
	v_fma_f64 v[170:171], v[194:195], v[202:203], -v[170:171]
	v_mul_f64 v[194:195], v[194:195], v[172:173]
	v_add_f64 v[26:27], v[26:27], -v[170:171]
	v_fma_f64 v[194:195], v[196:197], v[202:203], v[194:195]
	v_add_f64 v[28:29], v[28:29], -v[194:195]
	ds_read2_b64 v[194:197], v1 offset0:84 offset1:85
	s_waitcnt lgkmcnt(0)
	v_mul_f64 v[170:171], v[196:197], v[172:173]
	v_fma_f64 v[170:171], v[194:195], v[202:203], -v[170:171]
	v_mul_f64 v[194:195], v[194:195], v[172:173]
	v_add_f64 v[22:23], v[22:23], -v[170:171]
	v_fma_f64 v[194:195], v[196:197], v[202:203], v[194:195]
	v_add_f64 v[24:25], v[24:25], -v[194:195]
	ds_read2_b64 v[194:197], v1 offset0:86 offset1:87
	s_waitcnt lgkmcnt(0)
	v_mul_f64 v[170:171], v[196:197], v[172:173]
	v_fma_f64 v[170:171], v[194:195], v[202:203], -v[170:171]
	v_mul_f64 v[194:195], v[194:195], v[172:173]
	v_add_f64 v[18:19], v[18:19], -v[170:171]
	v_fma_f64 v[194:195], v[196:197], v[202:203], v[194:195]
	v_add_f64 v[20:21], v[20:21], -v[194:195]
	ds_read2_b64 v[194:197], v1 offset0:88 offset1:89
	s_waitcnt lgkmcnt(0)
	v_mul_f64 v[170:171], v[196:197], v[172:173]
	v_fma_f64 v[170:171], v[194:195], v[202:203], -v[170:171]
	v_mul_f64 v[194:195], v[194:195], v[172:173]
	v_add_f64 v[14:15], v[14:15], -v[170:171]
	v_fma_f64 v[194:195], v[196:197], v[202:203], v[194:195]
	v_add_f64 v[16:17], v[16:17], -v[194:195]
	ds_read2_b64 v[194:197], v1 offset0:90 offset1:91
	s_waitcnt lgkmcnt(0)
	v_mul_f64 v[170:171], v[196:197], v[172:173]
	v_fma_f64 v[170:171], v[194:195], v[202:203], -v[170:171]
	v_mul_f64 v[194:195], v[194:195], v[172:173]
	v_add_f64 v[10:11], v[10:11], -v[170:171]
	v_fma_f64 v[194:195], v[196:197], v[202:203], v[194:195]
	v_add_f64 v[12:13], v[12:13], -v[194:195]
	ds_read2_b64 v[194:197], v1 offset0:92 offset1:93
	s_waitcnt lgkmcnt(0)
	v_mul_f64 v[170:171], v[196:197], v[172:173]
	v_fma_f64 v[170:171], v[194:195], v[202:203], -v[170:171]
	v_mul_f64 v[194:195], v[194:195], v[172:173]
	v_add_f64 v[6:7], v[6:7], -v[170:171]
	v_fma_f64 v[194:195], v[196:197], v[202:203], v[194:195]
	v_add_f64 v[8:9], v[8:9], -v[194:195]
	ds_read2_b64 v[194:197], v1 offset0:94 offset1:95
	s_waitcnt lgkmcnt(0)
	v_mul_f64 v[170:171], v[196:197], v[172:173]
	v_fma_f64 v[170:171], v[194:195], v[202:203], -v[170:171]
	v_mul_f64 v[194:195], v[194:195], v[172:173]
	v_add_f64 v[2:3], v[2:3], -v[170:171]
	v_fma_f64 v[194:195], v[196:197], v[202:203], v[194:195]
	v_mov_b32_e32 v170, v202
	v_mov_b32_e32 v171, v203
	v_add_f64 v[4:5], v[4:5], -v[194:195]
.LBB94_83:
	s_or_b32 exec_lo, exec_lo, s0
	v_lshl_add_u32 v194, v208, 4, v1
	s_barrier
	buffer_gl0_inv
	v_mov_b32_e32 v202, 4
	ds_write2_b64 v194, v[178:179], v[180:181] offset1:1
	s_waitcnt lgkmcnt(0)
	s_barrier
	buffer_gl0_inv
	ds_read2_b64 v[194:197], v1 offset0:8 offset1:9
	s_cmp_lt_i32 s1, 6
	s_cbranch_scc1 .LBB94_86
; %bb.84:
	v_mov_b32_e32 v202, 4
	v_add3_u32 v203, v204, 0, 0x50
	s_mov_b32 s7, 5
	s_inst_prefetch 0x1
	.p2align	6
.LBB94_85:                              ; =>This Inner Loop Header: Depth=1
	s_waitcnt lgkmcnt(0)
	v_cmp_gt_f64_e32 vcc_lo, 0, v[196:197]
	v_cmp_gt_f64_e64 s0, 0, v[194:195]
	ds_read2_b64 v[209:212], v203 offset1:1
	v_xor_b32_e32 v214, 0x80000000, v195
	v_xor_b32_e32 v216, 0x80000000, v197
	v_mov_b32_e32 v213, v194
	v_mov_b32_e32 v215, v196
	v_add_nc_u32_e32 v203, 16, v203
	s_waitcnt lgkmcnt(0)
	v_xor_b32_e32 v218, 0x80000000, v212
	v_cndmask_b32_e64 v214, v195, v214, s0
	v_cndmask_b32_e32 v216, v197, v216, vcc_lo
	v_cmp_gt_f64_e32 vcc_lo, 0, v[211:212]
	v_cmp_gt_f64_e64 s0, 0, v[209:210]
	v_mov_b32_e32 v217, v211
	v_add_f64 v[213:214], v[213:214], v[215:216]
	v_xor_b32_e32 v216, 0x80000000, v210
	v_mov_b32_e32 v215, v209
	v_cndmask_b32_e32 v218, v212, v218, vcc_lo
	v_cndmask_b32_e64 v216, v210, v216, s0
	v_add_f64 v[215:216], v[215:216], v[217:218]
	v_cmp_lt_f64_e32 vcc_lo, v[213:214], v[215:216]
	v_cndmask_b32_e32 v195, v195, v210, vcc_lo
	v_cndmask_b32_e32 v194, v194, v209, vcc_lo
	;; [unrolled: 1-line block ×4, first 2 shown]
	v_cndmask_b32_e64 v202, v202, s7, vcc_lo
	s_add_i32 s7, s7, 1
	s_cmp_lg_u32 s1, s7
	s_cbranch_scc1 .LBB94_85
.LBB94_86:
	s_inst_prefetch 0x2
	s_waitcnt lgkmcnt(0)
	v_cmp_eq_f64_e32 vcc_lo, 0, v[194:195]
	v_cmp_eq_f64_e64 s0, 0, v[196:197]
	s_and_b32 s0, vcc_lo, s0
	s_and_saveexec_b32 s7, s0
	s_xor_b32 s0, exec_lo, s7
; %bb.87:
	v_cmp_ne_u32_e32 vcc_lo, 0, v207
	v_cndmask_b32_e32 v207, 5, v207, vcc_lo
; %bb.88:
	s_andn2_saveexec_b32 s0, s0
	s_cbranch_execz .LBB94_94
; %bb.89:
	v_cmp_ngt_f64_e64 s7, |v[194:195]|, |v[196:197]|
	s_and_saveexec_b32 s8, s7
	s_xor_b32 s7, exec_lo, s8
	s_cbranch_execz .LBB94_91
; %bb.90:
	v_div_scale_f64 v[209:210], null, v[196:197], v[196:197], v[194:195]
	v_div_scale_f64 v[215:216], vcc_lo, v[194:195], v[196:197], v[194:195]
	v_rcp_f64_e32 v[211:212], v[209:210]
	v_fma_f64 v[213:214], -v[209:210], v[211:212], 1.0
	v_fma_f64 v[211:212], v[211:212], v[213:214], v[211:212]
	v_fma_f64 v[213:214], -v[209:210], v[211:212], 1.0
	v_fma_f64 v[211:212], v[211:212], v[213:214], v[211:212]
	v_mul_f64 v[213:214], v[215:216], v[211:212]
	v_fma_f64 v[209:210], -v[209:210], v[213:214], v[215:216]
	v_div_fmas_f64 v[209:210], v[209:210], v[211:212], v[213:214]
	v_div_fixup_f64 v[209:210], v[209:210], v[196:197], v[194:195]
	v_fma_f64 v[194:195], v[194:195], v[209:210], v[196:197]
	v_div_scale_f64 v[196:197], null, v[194:195], v[194:195], 1.0
	v_rcp_f64_e32 v[211:212], v[196:197]
	v_fma_f64 v[213:214], -v[196:197], v[211:212], 1.0
	v_fma_f64 v[211:212], v[211:212], v[213:214], v[211:212]
	v_fma_f64 v[213:214], -v[196:197], v[211:212], 1.0
	v_fma_f64 v[211:212], v[211:212], v[213:214], v[211:212]
	v_div_scale_f64 v[213:214], vcc_lo, 1.0, v[194:195], 1.0
	v_mul_f64 v[215:216], v[213:214], v[211:212]
	v_fma_f64 v[196:197], -v[196:197], v[215:216], v[213:214]
	v_div_fmas_f64 v[196:197], v[196:197], v[211:212], v[215:216]
	v_div_fixup_f64 v[196:197], v[196:197], v[194:195], 1.0
	v_mul_f64 v[194:195], v[209:210], v[196:197]
	v_xor_b32_e32 v197, 0x80000000, v197
.LBB94_91:
	s_andn2_saveexec_b32 s7, s7
	s_cbranch_execz .LBB94_93
; %bb.92:
	v_div_scale_f64 v[209:210], null, v[194:195], v[194:195], v[196:197]
	v_div_scale_f64 v[215:216], vcc_lo, v[196:197], v[194:195], v[196:197]
	v_rcp_f64_e32 v[211:212], v[209:210]
	v_fma_f64 v[213:214], -v[209:210], v[211:212], 1.0
	v_fma_f64 v[211:212], v[211:212], v[213:214], v[211:212]
	v_fma_f64 v[213:214], -v[209:210], v[211:212], 1.0
	v_fma_f64 v[211:212], v[211:212], v[213:214], v[211:212]
	v_mul_f64 v[213:214], v[215:216], v[211:212]
	v_fma_f64 v[209:210], -v[209:210], v[213:214], v[215:216]
	v_div_fmas_f64 v[209:210], v[209:210], v[211:212], v[213:214]
	v_div_fixup_f64 v[209:210], v[209:210], v[194:195], v[196:197]
	v_fma_f64 v[194:195], v[196:197], v[209:210], v[194:195]
	v_div_scale_f64 v[196:197], null, v[194:195], v[194:195], 1.0
	v_rcp_f64_e32 v[211:212], v[196:197]
	v_fma_f64 v[213:214], -v[196:197], v[211:212], 1.0
	v_fma_f64 v[211:212], v[211:212], v[213:214], v[211:212]
	v_fma_f64 v[213:214], -v[196:197], v[211:212], 1.0
	v_fma_f64 v[211:212], v[211:212], v[213:214], v[211:212]
	v_div_scale_f64 v[213:214], vcc_lo, 1.0, v[194:195], 1.0
	v_mul_f64 v[215:216], v[213:214], v[211:212]
	v_fma_f64 v[196:197], -v[196:197], v[215:216], v[213:214]
	v_div_fmas_f64 v[196:197], v[196:197], v[211:212], v[215:216]
	v_div_fixup_f64 v[194:195], v[196:197], v[194:195], 1.0
	v_mul_f64 v[196:197], v[209:210], -v[194:195]
.LBB94_93:
	s_or_b32 exec_lo, exec_lo, s7
.LBB94_94:
	s_or_b32 exec_lo, exec_lo, s0
	s_mov_b32 s0, exec_lo
	v_cmpx_ne_u32_e64 v208, v202
	s_xor_b32 s0, exec_lo, s0
	s_cbranch_execz .LBB94_100
; %bb.95:
	s_mov_b32 s7, exec_lo
	v_cmpx_eq_u32_e32 4, v208
	s_cbranch_execz .LBB94_99
; %bb.96:
	v_cmp_ne_u32_e32 vcc_lo, 4, v202
	s_xor_b32 s8, s16, -1
	s_and_b32 s9, s8, vcc_lo
	s_and_saveexec_b32 s8, s9
	s_cbranch_execz .LBB94_98
; %bb.97:
	v_ashrrev_i32_e32 v203, 31, v202
	v_lshlrev_b64 v[208:209], 2, v[202:203]
	v_add_co_u32 v208, vcc_lo, v200, v208
	v_add_co_ci_u32_e64 v209, null, v201, v209, vcc_lo
	s_clause 0x1
	global_load_dword v0, v[208:209], off
	global_load_dword v203, v[200:201], off offset:16
	s_waitcnt vmcnt(1)
	global_store_dword v[200:201], v0, off offset:16
	s_waitcnt vmcnt(0)
	global_store_dword v[208:209], v203, off
.LBB94_98:
	s_or_b32 exec_lo, exec_lo, s8
	v_mov_b32_e32 v208, v202
	v_mov_b32_e32 v0, v202
.LBB94_99:
	s_or_b32 exec_lo, exec_lo, s7
.LBB94_100:
	s_andn2_saveexec_b32 s0, s0
	s_cbranch_execz .LBB94_102
; %bb.101:
	v_mov_b32_e32 v208, 4
	ds_write2_b64 v1, v[174:175], v[176:177] offset0:10 offset1:11
	ds_write2_b64 v1, v[166:167], v[168:169] offset0:12 offset1:13
	;; [unrolled: 1-line block ×43, first 2 shown]
.LBB94_102:
	s_or_b32 exec_lo, exec_lo, s0
	s_mov_b32 s0, exec_lo
	s_waitcnt lgkmcnt(0)
	s_waitcnt_vscnt null, 0x0
	s_barrier
	buffer_gl0_inv
	v_cmpx_lt_i32_e32 4, v208
	s_cbranch_execz .LBB94_104
; %bb.103:
	v_mul_f64 v[202:203], v[196:197], v[180:181]
	v_mul_f64 v[180:181], v[194:195], v[180:181]
	v_fma_f64 v[202:203], v[194:195], v[178:179], -v[202:203]
	v_fma_f64 v[180:181], v[196:197], v[178:179], v[180:181]
	ds_read2_b64 v[194:197], v1 offset0:10 offset1:11
	s_waitcnt lgkmcnt(0)
	v_mul_f64 v[178:179], v[196:197], v[180:181]
	v_fma_f64 v[178:179], v[194:195], v[202:203], -v[178:179]
	v_mul_f64 v[194:195], v[194:195], v[180:181]
	v_add_f64 v[174:175], v[174:175], -v[178:179]
	v_fma_f64 v[194:195], v[196:197], v[202:203], v[194:195]
	v_add_f64 v[176:177], v[176:177], -v[194:195]
	ds_read2_b64 v[194:197], v1 offset0:12 offset1:13
	s_waitcnt lgkmcnt(0)
	v_mul_f64 v[178:179], v[196:197], v[180:181]
	v_fma_f64 v[178:179], v[194:195], v[202:203], -v[178:179]
	v_mul_f64 v[194:195], v[194:195], v[180:181]
	v_add_f64 v[166:167], v[166:167], -v[178:179]
	v_fma_f64 v[194:195], v[196:197], v[202:203], v[194:195]
	v_add_f64 v[168:169], v[168:169], -v[194:195]
	;; [unrolled: 8-line block ×42, first 2 shown]
	ds_read2_b64 v[194:197], v1 offset0:94 offset1:95
	s_waitcnt lgkmcnt(0)
	v_mul_f64 v[178:179], v[196:197], v[180:181]
	v_fma_f64 v[178:179], v[194:195], v[202:203], -v[178:179]
	v_mul_f64 v[194:195], v[194:195], v[180:181]
	v_add_f64 v[2:3], v[2:3], -v[178:179]
	v_fma_f64 v[194:195], v[196:197], v[202:203], v[194:195]
	v_mov_b32_e32 v178, v202
	v_mov_b32_e32 v179, v203
	v_add_f64 v[4:5], v[4:5], -v[194:195]
.LBB94_104:
	s_or_b32 exec_lo, exec_lo, s0
	v_lshl_add_u32 v194, v208, 4, v1
	s_barrier
	buffer_gl0_inv
	v_mov_b32_e32 v202, 5
	ds_write2_b64 v194, v[174:175], v[176:177] offset1:1
	s_waitcnt lgkmcnt(0)
	s_barrier
	buffer_gl0_inv
	ds_read2_b64 v[194:197], v1 offset0:10 offset1:11
	s_cmp_lt_i32 s1, 7
	s_cbranch_scc1 .LBB94_107
; %bb.105:
	v_add3_u32 v203, v204, 0, 0x60
	v_mov_b32_e32 v202, 5
	s_mov_b32 s7, 6
	s_inst_prefetch 0x1
	.p2align	6
.LBB94_106:                             ; =>This Inner Loop Header: Depth=1
	s_waitcnt lgkmcnt(0)
	v_cmp_gt_f64_e32 vcc_lo, 0, v[196:197]
	v_cmp_gt_f64_e64 s0, 0, v[194:195]
	ds_read2_b64 v[209:212], v203 offset1:1
	v_xor_b32_e32 v214, 0x80000000, v195
	v_xor_b32_e32 v216, 0x80000000, v197
	v_mov_b32_e32 v213, v194
	v_mov_b32_e32 v215, v196
	v_add_nc_u32_e32 v203, 16, v203
	s_waitcnt lgkmcnt(0)
	v_xor_b32_e32 v218, 0x80000000, v212
	v_cndmask_b32_e64 v214, v195, v214, s0
	v_cndmask_b32_e32 v216, v197, v216, vcc_lo
	v_cmp_gt_f64_e32 vcc_lo, 0, v[211:212]
	v_cmp_gt_f64_e64 s0, 0, v[209:210]
	v_mov_b32_e32 v217, v211
	v_add_f64 v[213:214], v[213:214], v[215:216]
	v_xor_b32_e32 v216, 0x80000000, v210
	v_mov_b32_e32 v215, v209
	v_cndmask_b32_e32 v218, v212, v218, vcc_lo
	v_cndmask_b32_e64 v216, v210, v216, s0
	v_add_f64 v[215:216], v[215:216], v[217:218]
	v_cmp_lt_f64_e32 vcc_lo, v[213:214], v[215:216]
	v_cndmask_b32_e32 v195, v195, v210, vcc_lo
	v_cndmask_b32_e32 v194, v194, v209, vcc_lo
	;; [unrolled: 1-line block ×4, first 2 shown]
	v_cndmask_b32_e64 v202, v202, s7, vcc_lo
	s_add_i32 s7, s7, 1
	s_cmp_lg_u32 s1, s7
	s_cbranch_scc1 .LBB94_106
.LBB94_107:
	s_inst_prefetch 0x2
	s_waitcnt lgkmcnt(0)
	v_cmp_eq_f64_e32 vcc_lo, 0, v[194:195]
	v_cmp_eq_f64_e64 s0, 0, v[196:197]
	s_and_b32 s0, vcc_lo, s0
	s_and_saveexec_b32 s7, s0
	s_xor_b32 s0, exec_lo, s7
; %bb.108:
	v_cmp_ne_u32_e32 vcc_lo, 0, v207
	v_cndmask_b32_e32 v207, 6, v207, vcc_lo
; %bb.109:
	s_andn2_saveexec_b32 s0, s0
	s_cbranch_execz .LBB94_115
; %bb.110:
	v_cmp_ngt_f64_e64 s7, |v[194:195]|, |v[196:197]|
	s_and_saveexec_b32 s8, s7
	s_xor_b32 s7, exec_lo, s8
	s_cbranch_execz .LBB94_112
; %bb.111:
	v_div_scale_f64 v[209:210], null, v[196:197], v[196:197], v[194:195]
	v_div_scale_f64 v[215:216], vcc_lo, v[194:195], v[196:197], v[194:195]
	v_rcp_f64_e32 v[211:212], v[209:210]
	v_fma_f64 v[213:214], -v[209:210], v[211:212], 1.0
	v_fma_f64 v[211:212], v[211:212], v[213:214], v[211:212]
	v_fma_f64 v[213:214], -v[209:210], v[211:212], 1.0
	v_fma_f64 v[211:212], v[211:212], v[213:214], v[211:212]
	v_mul_f64 v[213:214], v[215:216], v[211:212]
	v_fma_f64 v[209:210], -v[209:210], v[213:214], v[215:216]
	v_div_fmas_f64 v[209:210], v[209:210], v[211:212], v[213:214]
	v_div_fixup_f64 v[209:210], v[209:210], v[196:197], v[194:195]
	v_fma_f64 v[194:195], v[194:195], v[209:210], v[196:197]
	v_div_scale_f64 v[196:197], null, v[194:195], v[194:195], 1.0
	v_rcp_f64_e32 v[211:212], v[196:197]
	v_fma_f64 v[213:214], -v[196:197], v[211:212], 1.0
	v_fma_f64 v[211:212], v[211:212], v[213:214], v[211:212]
	v_fma_f64 v[213:214], -v[196:197], v[211:212], 1.0
	v_fma_f64 v[211:212], v[211:212], v[213:214], v[211:212]
	v_div_scale_f64 v[213:214], vcc_lo, 1.0, v[194:195], 1.0
	v_mul_f64 v[215:216], v[213:214], v[211:212]
	v_fma_f64 v[196:197], -v[196:197], v[215:216], v[213:214]
	v_div_fmas_f64 v[196:197], v[196:197], v[211:212], v[215:216]
	v_div_fixup_f64 v[196:197], v[196:197], v[194:195], 1.0
	v_mul_f64 v[194:195], v[209:210], v[196:197]
	v_xor_b32_e32 v197, 0x80000000, v197
.LBB94_112:
	s_andn2_saveexec_b32 s7, s7
	s_cbranch_execz .LBB94_114
; %bb.113:
	v_div_scale_f64 v[209:210], null, v[194:195], v[194:195], v[196:197]
	v_div_scale_f64 v[215:216], vcc_lo, v[196:197], v[194:195], v[196:197]
	v_rcp_f64_e32 v[211:212], v[209:210]
	v_fma_f64 v[213:214], -v[209:210], v[211:212], 1.0
	v_fma_f64 v[211:212], v[211:212], v[213:214], v[211:212]
	v_fma_f64 v[213:214], -v[209:210], v[211:212], 1.0
	v_fma_f64 v[211:212], v[211:212], v[213:214], v[211:212]
	v_mul_f64 v[213:214], v[215:216], v[211:212]
	v_fma_f64 v[209:210], -v[209:210], v[213:214], v[215:216]
	v_div_fmas_f64 v[209:210], v[209:210], v[211:212], v[213:214]
	v_div_fixup_f64 v[209:210], v[209:210], v[194:195], v[196:197]
	v_fma_f64 v[194:195], v[196:197], v[209:210], v[194:195]
	v_div_scale_f64 v[196:197], null, v[194:195], v[194:195], 1.0
	v_rcp_f64_e32 v[211:212], v[196:197]
	v_fma_f64 v[213:214], -v[196:197], v[211:212], 1.0
	v_fma_f64 v[211:212], v[211:212], v[213:214], v[211:212]
	v_fma_f64 v[213:214], -v[196:197], v[211:212], 1.0
	v_fma_f64 v[211:212], v[211:212], v[213:214], v[211:212]
	v_div_scale_f64 v[213:214], vcc_lo, 1.0, v[194:195], 1.0
	v_mul_f64 v[215:216], v[213:214], v[211:212]
	v_fma_f64 v[196:197], -v[196:197], v[215:216], v[213:214]
	v_div_fmas_f64 v[196:197], v[196:197], v[211:212], v[215:216]
	v_div_fixup_f64 v[194:195], v[196:197], v[194:195], 1.0
	v_mul_f64 v[196:197], v[209:210], -v[194:195]
.LBB94_114:
	s_or_b32 exec_lo, exec_lo, s7
.LBB94_115:
	s_or_b32 exec_lo, exec_lo, s0
	s_mov_b32 s0, exec_lo
	v_cmpx_ne_u32_e64 v208, v202
	s_xor_b32 s0, exec_lo, s0
	s_cbranch_execz .LBB94_121
; %bb.116:
	s_mov_b32 s7, exec_lo
	v_cmpx_eq_u32_e32 5, v208
	s_cbranch_execz .LBB94_120
; %bb.117:
	v_cmp_ne_u32_e32 vcc_lo, 5, v202
	s_xor_b32 s8, s16, -1
	s_and_b32 s9, s8, vcc_lo
	s_and_saveexec_b32 s8, s9
	s_cbranch_execz .LBB94_119
; %bb.118:
	v_ashrrev_i32_e32 v203, 31, v202
	v_lshlrev_b64 v[208:209], 2, v[202:203]
	v_add_co_u32 v208, vcc_lo, v200, v208
	v_add_co_ci_u32_e64 v209, null, v201, v209, vcc_lo
	s_clause 0x1
	global_load_dword v0, v[208:209], off
	global_load_dword v203, v[200:201], off offset:20
	s_waitcnt vmcnt(1)
	global_store_dword v[200:201], v0, off offset:20
	s_waitcnt vmcnt(0)
	global_store_dword v[208:209], v203, off
.LBB94_119:
	s_or_b32 exec_lo, exec_lo, s8
	v_mov_b32_e32 v208, v202
	v_mov_b32_e32 v0, v202
.LBB94_120:
	s_or_b32 exec_lo, exec_lo, s7
.LBB94_121:
	s_andn2_saveexec_b32 s0, s0
	s_cbranch_execz .LBB94_123
; %bb.122:
	v_mov_b32_e32 v208, 5
	ds_write2_b64 v1, v[166:167], v[168:169] offset0:12 offset1:13
	ds_write2_b64 v1, v[162:163], v[164:165] offset0:14 offset1:15
	;; [unrolled: 1-line block ×42, first 2 shown]
.LBB94_123:
	s_or_b32 exec_lo, exec_lo, s0
	s_mov_b32 s0, exec_lo
	s_waitcnt lgkmcnt(0)
	s_waitcnt_vscnt null, 0x0
	s_barrier
	buffer_gl0_inv
	v_cmpx_lt_i32_e32 5, v208
	s_cbranch_execz .LBB94_125
; %bb.124:
	v_mul_f64 v[202:203], v[196:197], v[176:177]
	v_mul_f64 v[176:177], v[194:195], v[176:177]
	v_fma_f64 v[202:203], v[194:195], v[174:175], -v[202:203]
	v_fma_f64 v[176:177], v[196:197], v[174:175], v[176:177]
	ds_read2_b64 v[194:197], v1 offset0:12 offset1:13
	s_waitcnt lgkmcnt(0)
	v_mul_f64 v[174:175], v[196:197], v[176:177]
	v_fma_f64 v[174:175], v[194:195], v[202:203], -v[174:175]
	v_mul_f64 v[194:195], v[194:195], v[176:177]
	v_add_f64 v[166:167], v[166:167], -v[174:175]
	v_fma_f64 v[194:195], v[196:197], v[202:203], v[194:195]
	v_add_f64 v[168:169], v[168:169], -v[194:195]
	ds_read2_b64 v[194:197], v1 offset0:14 offset1:15
	s_waitcnt lgkmcnt(0)
	v_mul_f64 v[174:175], v[196:197], v[176:177]
	v_fma_f64 v[174:175], v[194:195], v[202:203], -v[174:175]
	v_mul_f64 v[194:195], v[194:195], v[176:177]
	v_add_f64 v[162:163], v[162:163], -v[174:175]
	v_fma_f64 v[194:195], v[196:197], v[202:203], v[194:195]
	v_add_f64 v[164:165], v[164:165], -v[194:195]
	;; [unrolled: 8-line block ×41, first 2 shown]
	ds_read2_b64 v[194:197], v1 offset0:94 offset1:95
	s_waitcnt lgkmcnt(0)
	v_mul_f64 v[174:175], v[196:197], v[176:177]
	v_fma_f64 v[174:175], v[194:195], v[202:203], -v[174:175]
	v_mul_f64 v[194:195], v[194:195], v[176:177]
	v_add_f64 v[2:3], v[2:3], -v[174:175]
	v_fma_f64 v[194:195], v[196:197], v[202:203], v[194:195]
	v_mov_b32_e32 v174, v202
	v_mov_b32_e32 v175, v203
	v_add_f64 v[4:5], v[4:5], -v[194:195]
.LBB94_125:
	s_or_b32 exec_lo, exec_lo, s0
	v_lshl_add_u32 v194, v208, 4, v1
	s_barrier
	buffer_gl0_inv
	v_mov_b32_e32 v202, 6
	ds_write2_b64 v194, v[166:167], v[168:169] offset1:1
	s_waitcnt lgkmcnt(0)
	s_barrier
	buffer_gl0_inv
	ds_read2_b64 v[194:197], v1 offset0:12 offset1:13
	s_cmp_lt_i32 s1, 8
	s_cbranch_scc1 .LBB94_128
; %bb.126:
	v_add3_u32 v203, v204, 0, 0x70
	v_mov_b32_e32 v202, 6
	s_mov_b32 s7, 7
	s_inst_prefetch 0x1
	.p2align	6
.LBB94_127:                             ; =>This Inner Loop Header: Depth=1
	s_waitcnt lgkmcnt(0)
	v_cmp_gt_f64_e32 vcc_lo, 0, v[196:197]
	v_cmp_gt_f64_e64 s0, 0, v[194:195]
	ds_read2_b64 v[209:212], v203 offset1:1
	v_xor_b32_e32 v214, 0x80000000, v195
	v_xor_b32_e32 v216, 0x80000000, v197
	v_mov_b32_e32 v213, v194
	v_mov_b32_e32 v215, v196
	v_add_nc_u32_e32 v203, 16, v203
	s_waitcnt lgkmcnt(0)
	v_xor_b32_e32 v218, 0x80000000, v212
	v_cndmask_b32_e64 v214, v195, v214, s0
	v_cndmask_b32_e32 v216, v197, v216, vcc_lo
	v_cmp_gt_f64_e32 vcc_lo, 0, v[211:212]
	v_cmp_gt_f64_e64 s0, 0, v[209:210]
	v_mov_b32_e32 v217, v211
	v_add_f64 v[213:214], v[213:214], v[215:216]
	v_xor_b32_e32 v216, 0x80000000, v210
	v_mov_b32_e32 v215, v209
	v_cndmask_b32_e32 v218, v212, v218, vcc_lo
	v_cndmask_b32_e64 v216, v210, v216, s0
	v_add_f64 v[215:216], v[215:216], v[217:218]
	v_cmp_lt_f64_e32 vcc_lo, v[213:214], v[215:216]
	v_cndmask_b32_e32 v195, v195, v210, vcc_lo
	v_cndmask_b32_e32 v194, v194, v209, vcc_lo
	;; [unrolled: 1-line block ×4, first 2 shown]
	v_cndmask_b32_e64 v202, v202, s7, vcc_lo
	s_add_i32 s7, s7, 1
	s_cmp_lg_u32 s1, s7
	s_cbranch_scc1 .LBB94_127
.LBB94_128:
	s_inst_prefetch 0x2
	s_waitcnt lgkmcnt(0)
	v_cmp_eq_f64_e32 vcc_lo, 0, v[194:195]
	v_cmp_eq_f64_e64 s0, 0, v[196:197]
	s_and_b32 s0, vcc_lo, s0
	s_and_saveexec_b32 s7, s0
	s_xor_b32 s0, exec_lo, s7
; %bb.129:
	v_cmp_ne_u32_e32 vcc_lo, 0, v207
	v_cndmask_b32_e32 v207, 7, v207, vcc_lo
; %bb.130:
	s_andn2_saveexec_b32 s0, s0
	s_cbranch_execz .LBB94_136
; %bb.131:
	v_cmp_ngt_f64_e64 s7, |v[194:195]|, |v[196:197]|
	s_and_saveexec_b32 s8, s7
	s_xor_b32 s7, exec_lo, s8
	s_cbranch_execz .LBB94_133
; %bb.132:
	v_div_scale_f64 v[209:210], null, v[196:197], v[196:197], v[194:195]
	v_div_scale_f64 v[215:216], vcc_lo, v[194:195], v[196:197], v[194:195]
	v_rcp_f64_e32 v[211:212], v[209:210]
	v_fma_f64 v[213:214], -v[209:210], v[211:212], 1.0
	v_fma_f64 v[211:212], v[211:212], v[213:214], v[211:212]
	v_fma_f64 v[213:214], -v[209:210], v[211:212], 1.0
	v_fma_f64 v[211:212], v[211:212], v[213:214], v[211:212]
	v_mul_f64 v[213:214], v[215:216], v[211:212]
	v_fma_f64 v[209:210], -v[209:210], v[213:214], v[215:216]
	v_div_fmas_f64 v[209:210], v[209:210], v[211:212], v[213:214]
	v_div_fixup_f64 v[209:210], v[209:210], v[196:197], v[194:195]
	v_fma_f64 v[194:195], v[194:195], v[209:210], v[196:197]
	v_div_scale_f64 v[196:197], null, v[194:195], v[194:195], 1.0
	v_rcp_f64_e32 v[211:212], v[196:197]
	v_fma_f64 v[213:214], -v[196:197], v[211:212], 1.0
	v_fma_f64 v[211:212], v[211:212], v[213:214], v[211:212]
	v_fma_f64 v[213:214], -v[196:197], v[211:212], 1.0
	v_fma_f64 v[211:212], v[211:212], v[213:214], v[211:212]
	v_div_scale_f64 v[213:214], vcc_lo, 1.0, v[194:195], 1.0
	v_mul_f64 v[215:216], v[213:214], v[211:212]
	v_fma_f64 v[196:197], -v[196:197], v[215:216], v[213:214]
	v_div_fmas_f64 v[196:197], v[196:197], v[211:212], v[215:216]
	v_div_fixup_f64 v[196:197], v[196:197], v[194:195], 1.0
	v_mul_f64 v[194:195], v[209:210], v[196:197]
	v_xor_b32_e32 v197, 0x80000000, v197
.LBB94_133:
	s_andn2_saveexec_b32 s7, s7
	s_cbranch_execz .LBB94_135
; %bb.134:
	v_div_scale_f64 v[209:210], null, v[194:195], v[194:195], v[196:197]
	v_div_scale_f64 v[215:216], vcc_lo, v[196:197], v[194:195], v[196:197]
	v_rcp_f64_e32 v[211:212], v[209:210]
	v_fma_f64 v[213:214], -v[209:210], v[211:212], 1.0
	v_fma_f64 v[211:212], v[211:212], v[213:214], v[211:212]
	v_fma_f64 v[213:214], -v[209:210], v[211:212], 1.0
	v_fma_f64 v[211:212], v[211:212], v[213:214], v[211:212]
	v_mul_f64 v[213:214], v[215:216], v[211:212]
	v_fma_f64 v[209:210], -v[209:210], v[213:214], v[215:216]
	v_div_fmas_f64 v[209:210], v[209:210], v[211:212], v[213:214]
	v_div_fixup_f64 v[209:210], v[209:210], v[194:195], v[196:197]
	v_fma_f64 v[194:195], v[196:197], v[209:210], v[194:195]
	v_div_scale_f64 v[196:197], null, v[194:195], v[194:195], 1.0
	v_rcp_f64_e32 v[211:212], v[196:197]
	v_fma_f64 v[213:214], -v[196:197], v[211:212], 1.0
	v_fma_f64 v[211:212], v[211:212], v[213:214], v[211:212]
	v_fma_f64 v[213:214], -v[196:197], v[211:212], 1.0
	v_fma_f64 v[211:212], v[211:212], v[213:214], v[211:212]
	v_div_scale_f64 v[213:214], vcc_lo, 1.0, v[194:195], 1.0
	v_mul_f64 v[215:216], v[213:214], v[211:212]
	v_fma_f64 v[196:197], -v[196:197], v[215:216], v[213:214]
	v_div_fmas_f64 v[196:197], v[196:197], v[211:212], v[215:216]
	v_div_fixup_f64 v[194:195], v[196:197], v[194:195], 1.0
	v_mul_f64 v[196:197], v[209:210], -v[194:195]
.LBB94_135:
	s_or_b32 exec_lo, exec_lo, s7
.LBB94_136:
	s_or_b32 exec_lo, exec_lo, s0
	s_mov_b32 s0, exec_lo
	v_cmpx_ne_u32_e64 v208, v202
	s_xor_b32 s0, exec_lo, s0
	s_cbranch_execz .LBB94_142
; %bb.137:
	s_mov_b32 s7, exec_lo
	v_cmpx_eq_u32_e32 6, v208
	s_cbranch_execz .LBB94_141
; %bb.138:
	v_cmp_ne_u32_e32 vcc_lo, 6, v202
	s_xor_b32 s8, s16, -1
	s_and_b32 s9, s8, vcc_lo
	s_and_saveexec_b32 s8, s9
	s_cbranch_execz .LBB94_140
; %bb.139:
	v_ashrrev_i32_e32 v203, 31, v202
	v_lshlrev_b64 v[208:209], 2, v[202:203]
	v_add_co_u32 v208, vcc_lo, v200, v208
	v_add_co_ci_u32_e64 v209, null, v201, v209, vcc_lo
	s_clause 0x1
	global_load_dword v0, v[208:209], off
	global_load_dword v203, v[200:201], off offset:24
	s_waitcnt vmcnt(1)
	global_store_dword v[200:201], v0, off offset:24
	s_waitcnt vmcnt(0)
	global_store_dword v[208:209], v203, off
.LBB94_140:
	s_or_b32 exec_lo, exec_lo, s8
	v_mov_b32_e32 v208, v202
	v_mov_b32_e32 v0, v202
.LBB94_141:
	s_or_b32 exec_lo, exec_lo, s7
.LBB94_142:
	s_andn2_saveexec_b32 s0, s0
	s_cbranch_execz .LBB94_144
; %bb.143:
	v_mov_b32_e32 v208, 6
	ds_write2_b64 v1, v[162:163], v[164:165] offset0:14 offset1:15
	ds_write2_b64 v1, v[142:143], v[144:145] offset0:16 offset1:17
	ds_write2_b64 v1, v[138:139], v[140:141] offset0:18 offset1:19
	ds_write2_b64 v1, v[146:147], v[148:149] offset0:20 offset1:21
	ds_write2_b64 v1, v[122:123], v[124:125] offset0:22 offset1:23
	ds_write2_b64 v1, v[134:135], v[136:137] offset0:24 offset1:25
	ds_write2_b64 v1, v[110:111], v[112:113] offset0:26 offset1:27
	ds_write2_b64 v1, v[118:119], v[120:121] offset0:28 offset1:29
	ds_write2_b64 v1, v[114:115], v[116:117] offset0:30 offset1:31
	ds_write2_b64 v1, v[94:95], v[96:97] offset0:32 offset1:33
	ds_write2_b64 v1, v[90:91], v[92:93] offset0:34 offset1:35
	ds_write2_b64 v1, v[158:159], v[160:161] offset0:36 offset1:37
	ds_write2_b64 v1, v[154:155], v[156:157] offset0:38 offset1:39
	ds_write2_b64 v1, v[150:151], v[152:153] offset0:40 offset1:41
	ds_write2_b64 v1, v[130:131], v[132:133] offset0:42 offset1:43
	ds_write2_b64 v1, v[126:127], v[128:129] offset0:44 offset1:45
	ds_write2_b64 v1, v[106:107], v[108:109] offset0:46 offset1:47
	ds_write2_b64 v1, v[102:103], v[104:105] offset0:48 offset1:49
	ds_write2_b64 v1, v[98:99], v[100:101] offset0:50 offset1:51
	ds_write2_b64 v1, v[86:87], v[88:89] offset0:52 offset1:53
	ds_write2_b64 v1, v[82:83], v[84:85] offset0:54 offset1:55
	ds_write2_b64 v1, v[78:79], v[80:81] offset0:56 offset1:57
	ds_write2_b64 v1, v[74:75], v[76:77] offset0:58 offset1:59
	ds_write2_b64 v1, v[70:71], v[72:73] offset0:60 offset1:61
	ds_write2_b64 v1, v[66:67], v[68:69] offset0:62 offset1:63
	ds_write2_b64 v1, v[62:63], v[64:65] offset0:64 offset1:65
	ds_write2_b64 v1, v[58:59], v[60:61] offset0:66 offset1:67
	ds_write2_b64 v1, v[54:55], v[56:57] offset0:68 offset1:69
	ds_write2_b64 v1, v[50:51], v[52:53] offset0:70 offset1:71
	ds_write2_b64 v1, v[46:47], v[48:49] offset0:72 offset1:73
	ds_write2_b64 v1, v[42:43], v[44:45] offset0:74 offset1:75
	ds_write2_b64 v1, v[38:39], v[40:41] offset0:76 offset1:77
	ds_write2_b64 v1, v[34:35], v[36:37] offset0:78 offset1:79
	ds_write2_b64 v1, v[30:31], v[32:33] offset0:80 offset1:81
	ds_write2_b64 v1, v[26:27], v[28:29] offset0:82 offset1:83
	ds_write2_b64 v1, v[22:23], v[24:25] offset0:84 offset1:85
	ds_write2_b64 v1, v[18:19], v[20:21] offset0:86 offset1:87
	ds_write2_b64 v1, v[14:15], v[16:17] offset0:88 offset1:89
	ds_write2_b64 v1, v[10:11], v[12:13] offset0:90 offset1:91
	ds_write2_b64 v1, v[6:7], v[8:9] offset0:92 offset1:93
	ds_write2_b64 v1, v[2:3], v[4:5] offset0:94 offset1:95
.LBB94_144:
	s_or_b32 exec_lo, exec_lo, s0
	s_mov_b32 s0, exec_lo
	s_waitcnt lgkmcnt(0)
	s_waitcnt_vscnt null, 0x0
	s_barrier
	buffer_gl0_inv
	v_cmpx_lt_i32_e32 6, v208
	s_cbranch_execz .LBB94_146
; %bb.145:
	v_mul_f64 v[202:203], v[196:197], v[168:169]
	v_mul_f64 v[168:169], v[194:195], v[168:169]
	v_fma_f64 v[202:203], v[194:195], v[166:167], -v[202:203]
	v_fma_f64 v[168:169], v[196:197], v[166:167], v[168:169]
	ds_read2_b64 v[194:197], v1 offset0:14 offset1:15
	s_waitcnt lgkmcnt(0)
	v_mul_f64 v[166:167], v[196:197], v[168:169]
	v_fma_f64 v[166:167], v[194:195], v[202:203], -v[166:167]
	v_mul_f64 v[194:195], v[194:195], v[168:169]
	v_add_f64 v[162:163], v[162:163], -v[166:167]
	v_fma_f64 v[194:195], v[196:197], v[202:203], v[194:195]
	v_add_f64 v[164:165], v[164:165], -v[194:195]
	ds_read2_b64 v[194:197], v1 offset0:16 offset1:17
	s_waitcnt lgkmcnt(0)
	v_mul_f64 v[166:167], v[196:197], v[168:169]
	v_fma_f64 v[166:167], v[194:195], v[202:203], -v[166:167]
	v_mul_f64 v[194:195], v[194:195], v[168:169]
	v_add_f64 v[142:143], v[142:143], -v[166:167]
	v_fma_f64 v[194:195], v[196:197], v[202:203], v[194:195]
	v_add_f64 v[144:145], v[144:145], -v[194:195]
	;; [unrolled: 8-line block ×40, first 2 shown]
	ds_read2_b64 v[194:197], v1 offset0:94 offset1:95
	s_waitcnt lgkmcnt(0)
	v_mul_f64 v[166:167], v[196:197], v[168:169]
	v_fma_f64 v[166:167], v[194:195], v[202:203], -v[166:167]
	v_mul_f64 v[194:195], v[194:195], v[168:169]
	v_add_f64 v[2:3], v[2:3], -v[166:167]
	v_fma_f64 v[194:195], v[196:197], v[202:203], v[194:195]
	v_mov_b32_e32 v166, v202
	v_mov_b32_e32 v167, v203
	v_add_f64 v[4:5], v[4:5], -v[194:195]
.LBB94_146:
	s_or_b32 exec_lo, exec_lo, s0
	v_lshl_add_u32 v194, v208, 4, v1
	s_barrier
	buffer_gl0_inv
	v_mov_b32_e32 v202, 7
	ds_write2_b64 v194, v[162:163], v[164:165] offset1:1
	s_waitcnt lgkmcnt(0)
	s_barrier
	buffer_gl0_inv
	ds_read2_b64 v[194:197], v1 offset0:14 offset1:15
	s_cmp_lt_i32 s1, 9
	s_cbranch_scc1 .LBB94_149
; %bb.147:
	v_add3_u32 v203, v204, 0, 0x80
	v_mov_b32_e32 v202, 7
	s_mov_b32 s7, 8
	s_inst_prefetch 0x1
	.p2align	6
.LBB94_148:                             ; =>This Inner Loop Header: Depth=1
	s_waitcnt lgkmcnt(0)
	v_cmp_gt_f64_e32 vcc_lo, 0, v[196:197]
	v_cmp_gt_f64_e64 s0, 0, v[194:195]
	ds_read2_b64 v[209:212], v203 offset1:1
	v_xor_b32_e32 v214, 0x80000000, v195
	v_xor_b32_e32 v216, 0x80000000, v197
	v_mov_b32_e32 v213, v194
	v_mov_b32_e32 v215, v196
	v_add_nc_u32_e32 v203, 16, v203
	s_waitcnt lgkmcnt(0)
	v_xor_b32_e32 v218, 0x80000000, v212
	v_cndmask_b32_e64 v214, v195, v214, s0
	v_cndmask_b32_e32 v216, v197, v216, vcc_lo
	v_cmp_gt_f64_e32 vcc_lo, 0, v[211:212]
	v_cmp_gt_f64_e64 s0, 0, v[209:210]
	v_mov_b32_e32 v217, v211
	v_add_f64 v[213:214], v[213:214], v[215:216]
	v_xor_b32_e32 v216, 0x80000000, v210
	v_mov_b32_e32 v215, v209
	v_cndmask_b32_e32 v218, v212, v218, vcc_lo
	v_cndmask_b32_e64 v216, v210, v216, s0
	v_add_f64 v[215:216], v[215:216], v[217:218]
	v_cmp_lt_f64_e32 vcc_lo, v[213:214], v[215:216]
	v_cndmask_b32_e32 v195, v195, v210, vcc_lo
	v_cndmask_b32_e32 v194, v194, v209, vcc_lo
	;; [unrolled: 1-line block ×4, first 2 shown]
	v_cndmask_b32_e64 v202, v202, s7, vcc_lo
	s_add_i32 s7, s7, 1
	s_cmp_lg_u32 s1, s7
	s_cbranch_scc1 .LBB94_148
.LBB94_149:
	s_inst_prefetch 0x2
	s_waitcnt lgkmcnt(0)
	v_cmp_eq_f64_e32 vcc_lo, 0, v[194:195]
	v_cmp_eq_f64_e64 s0, 0, v[196:197]
	s_and_b32 s0, vcc_lo, s0
	s_and_saveexec_b32 s7, s0
	s_xor_b32 s0, exec_lo, s7
; %bb.150:
	v_cmp_ne_u32_e32 vcc_lo, 0, v207
	v_cndmask_b32_e32 v207, 8, v207, vcc_lo
; %bb.151:
	s_andn2_saveexec_b32 s0, s0
	s_cbranch_execz .LBB94_157
; %bb.152:
	v_cmp_ngt_f64_e64 s7, |v[194:195]|, |v[196:197]|
	s_and_saveexec_b32 s8, s7
	s_xor_b32 s7, exec_lo, s8
	s_cbranch_execz .LBB94_154
; %bb.153:
	v_div_scale_f64 v[209:210], null, v[196:197], v[196:197], v[194:195]
	v_div_scale_f64 v[215:216], vcc_lo, v[194:195], v[196:197], v[194:195]
	v_rcp_f64_e32 v[211:212], v[209:210]
	v_fma_f64 v[213:214], -v[209:210], v[211:212], 1.0
	v_fma_f64 v[211:212], v[211:212], v[213:214], v[211:212]
	v_fma_f64 v[213:214], -v[209:210], v[211:212], 1.0
	v_fma_f64 v[211:212], v[211:212], v[213:214], v[211:212]
	v_mul_f64 v[213:214], v[215:216], v[211:212]
	v_fma_f64 v[209:210], -v[209:210], v[213:214], v[215:216]
	v_div_fmas_f64 v[209:210], v[209:210], v[211:212], v[213:214]
	v_div_fixup_f64 v[209:210], v[209:210], v[196:197], v[194:195]
	v_fma_f64 v[194:195], v[194:195], v[209:210], v[196:197]
	v_div_scale_f64 v[196:197], null, v[194:195], v[194:195], 1.0
	v_rcp_f64_e32 v[211:212], v[196:197]
	v_fma_f64 v[213:214], -v[196:197], v[211:212], 1.0
	v_fma_f64 v[211:212], v[211:212], v[213:214], v[211:212]
	v_fma_f64 v[213:214], -v[196:197], v[211:212], 1.0
	v_fma_f64 v[211:212], v[211:212], v[213:214], v[211:212]
	v_div_scale_f64 v[213:214], vcc_lo, 1.0, v[194:195], 1.0
	v_mul_f64 v[215:216], v[213:214], v[211:212]
	v_fma_f64 v[196:197], -v[196:197], v[215:216], v[213:214]
	v_div_fmas_f64 v[196:197], v[196:197], v[211:212], v[215:216]
	v_div_fixup_f64 v[196:197], v[196:197], v[194:195], 1.0
	v_mul_f64 v[194:195], v[209:210], v[196:197]
	v_xor_b32_e32 v197, 0x80000000, v197
.LBB94_154:
	s_andn2_saveexec_b32 s7, s7
	s_cbranch_execz .LBB94_156
; %bb.155:
	v_div_scale_f64 v[209:210], null, v[194:195], v[194:195], v[196:197]
	v_div_scale_f64 v[215:216], vcc_lo, v[196:197], v[194:195], v[196:197]
	v_rcp_f64_e32 v[211:212], v[209:210]
	v_fma_f64 v[213:214], -v[209:210], v[211:212], 1.0
	v_fma_f64 v[211:212], v[211:212], v[213:214], v[211:212]
	v_fma_f64 v[213:214], -v[209:210], v[211:212], 1.0
	v_fma_f64 v[211:212], v[211:212], v[213:214], v[211:212]
	v_mul_f64 v[213:214], v[215:216], v[211:212]
	v_fma_f64 v[209:210], -v[209:210], v[213:214], v[215:216]
	v_div_fmas_f64 v[209:210], v[209:210], v[211:212], v[213:214]
	v_div_fixup_f64 v[209:210], v[209:210], v[194:195], v[196:197]
	v_fma_f64 v[194:195], v[196:197], v[209:210], v[194:195]
	v_div_scale_f64 v[196:197], null, v[194:195], v[194:195], 1.0
	v_rcp_f64_e32 v[211:212], v[196:197]
	v_fma_f64 v[213:214], -v[196:197], v[211:212], 1.0
	v_fma_f64 v[211:212], v[211:212], v[213:214], v[211:212]
	v_fma_f64 v[213:214], -v[196:197], v[211:212], 1.0
	v_fma_f64 v[211:212], v[211:212], v[213:214], v[211:212]
	v_div_scale_f64 v[213:214], vcc_lo, 1.0, v[194:195], 1.0
	v_mul_f64 v[215:216], v[213:214], v[211:212]
	v_fma_f64 v[196:197], -v[196:197], v[215:216], v[213:214]
	v_div_fmas_f64 v[196:197], v[196:197], v[211:212], v[215:216]
	v_div_fixup_f64 v[194:195], v[196:197], v[194:195], 1.0
	v_mul_f64 v[196:197], v[209:210], -v[194:195]
.LBB94_156:
	s_or_b32 exec_lo, exec_lo, s7
.LBB94_157:
	s_or_b32 exec_lo, exec_lo, s0
	s_mov_b32 s0, exec_lo
	v_cmpx_ne_u32_e64 v208, v202
	s_xor_b32 s0, exec_lo, s0
	s_cbranch_execz .LBB94_163
; %bb.158:
	s_mov_b32 s7, exec_lo
	v_cmpx_eq_u32_e32 7, v208
	s_cbranch_execz .LBB94_162
; %bb.159:
	v_cmp_ne_u32_e32 vcc_lo, 7, v202
	s_xor_b32 s8, s16, -1
	s_and_b32 s9, s8, vcc_lo
	s_and_saveexec_b32 s8, s9
	s_cbranch_execz .LBB94_161
; %bb.160:
	v_ashrrev_i32_e32 v203, 31, v202
	v_lshlrev_b64 v[208:209], 2, v[202:203]
	v_add_co_u32 v208, vcc_lo, v200, v208
	v_add_co_ci_u32_e64 v209, null, v201, v209, vcc_lo
	s_clause 0x1
	global_load_dword v0, v[208:209], off
	global_load_dword v203, v[200:201], off offset:28
	s_waitcnt vmcnt(1)
	global_store_dword v[200:201], v0, off offset:28
	s_waitcnt vmcnt(0)
	global_store_dword v[208:209], v203, off
.LBB94_161:
	s_or_b32 exec_lo, exec_lo, s8
	v_mov_b32_e32 v208, v202
	v_mov_b32_e32 v0, v202
.LBB94_162:
	s_or_b32 exec_lo, exec_lo, s7
.LBB94_163:
	s_andn2_saveexec_b32 s0, s0
	s_cbranch_execz .LBB94_165
; %bb.164:
	v_mov_b32_e32 v208, 7
	ds_write2_b64 v1, v[142:143], v[144:145] offset0:16 offset1:17
	ds_write2_b64 v1, v[138:139], v[140:141] offset0:18 offset1:19
	;; [unrolled: 1-line block ×40, first 2 shown]
.LBB94_165:
	s_or_b32 exec_lo, exec_lo, s0
	s_mov_b32 s0, exec_lo
	s_waitcnt lgkmcnt(0)
	s_waitcnt_vscnt null, 0x0
	s_barrier
	buffer_gl0_inv
	v_cmpx_lt_i32_e32 7, v208
	s_cbranch_execz .LBB94_167
; %bb.166:
	v_mul_f64 v[202:203], v[196:197], v[164:165]
	v_mul_f64 v[164:165], v[194:195], v[164:165]
	v_fma_f64 v[202:203], v[194:195], v[162:163], -v[202:203]
	v_fma_f64 v[164:165], v[196:197], v[162:163], v[164:165]
	ds_read2_b64 v[194:197], v1 offset0:16 offset1:17
	s_waitcnt lgkmcnt(0)
	v_mul_f64 v[162:163], v[196:197], v[164:165]
	v_fma_f64 v[162:163], v[194:195], v[202:203], -v[162:163]
	v_mul_f64 v[194:195], v[194:195], v[164:165]
	v_add_f64 v[142:143], v[142:143], -v[162:163]
	v_fma_f64 v[194:195], v[196:197], v[202:203], v[194:195]
	v_add_f64 v[144:145], v[144:145], -v[194:195]
	ds_read2_b64 v[194:197], v1 offset0:18 offset1:19
	s_waitcnt lgkmcnt(0)
	v_mul_f64 v[162:163], v[196:197], v[164:165]
	v_fma_f64 v[162:163], v[194:195], v[202:203], -v[162:163]
	v_mul_f64 v[194:195], v[194:195], v[164:165]
	v_add_f64 v[138:139], v[138:139], -v[162:163]
	v_fma_f64 v[194:195], v[196:197], v[202:203], v[194:195]
	v_add_f64 v[140:141], v[140:141], -v[194:195]
	;; [unrolled: 8-line block ×39, first 2 shown]
	ds_read2_b64 v[194:197], v1 offset0:94 offset1:95
	s_waitcnt lgkmcnt(0)
	v_mul_f64 v[162:163], v[196:197], v[164:165]
	v_fma_f64 v[162:163], v[194:195], v[202:203], -v[162:163]
	v_mul_f64 v[194:195], v[194:195], v[164:165]
	v_add_f64 v[2:3], v[2:3], -v[162:163]
	v_fma_f64 v[194:195], v[196:197], v[202:203], v[194:195]
	v_mov_b32_e32 v162, v202
	v_mov_b32_e32 v163, v203
	v_add_f64 v[4:5], v[4:5], -v[194:195]
.LBB94_167:
	s_or_b32 exec_lo, exec_lo, s0
	v_lshl_add_u32 v194, v208, 4, v1
	s_barrier
	buffer_gl0_inv
	v_mov_b32_e32 v202, 8
	ds_write2_b64 v194, v[142:143], v[144:145] offset1:1
	s_waitcnt lgkmcnt(0)
	s_barrier
	buffer_gl0_inv
	ds_read2_b64 v[194:197], v1 offset0:16 offset1:17
	s_cmp_lt_i32 s1, 10
	s_cbranch_scc1 .LBB94_170
; %bb.168:
	v_add3_u32 v203, v204, 0, 0x90
	v_mov_b32_e32 v202, 8
	s_mov_b32 s7, 9
	s_inst_prefetch 0x1
	.p2align	6
.LBB94_169:                             ; =>This Inner Loop Header: Depth=1
	s_waitcnt lgkmcnt(0)
	v_cmp_gt_f64_e32 vcc_lo, 0, v[196:197]
	v_cmp_gt_f64_e64 s0, 0, v[194:195]
	ds_read2_b64 v[209:212], v203 offset1:1
	v_xor_b32_e32 v214, 0x80000000, v195
	v_xor_b32_e32 v216, 0x80000000, v197
	v_mov_b32_e32 v213, v194
	v_mov_b32_e32 v215, v196
	v_add_nc_u32_e32 v203, 16, v203
	s_waitcnt lgkmcnt(0)
	v_xor_b32_e32 v218, 0x80000000, v212
	v_cndmask_b32_e64 v214, v195, v214, s0
	v_cndmask_b32_e32 v216, v197, v216, vcc_lo
	v_cmp_gt_f64_e32 vcc_lo, 0, v[211:212]
	v_cmp_gt_f64_e64 s0, 0, v[209:210]
	v_mov_b32_e32 v217, v211
	v_add_f64 v[213:214], v[213:214], v[215:216]
	v_xor_b32_e32 v216, 0x80000000, v210
	v_mov_b32_e32 v215, v209
	v_cndmask_b32_e32 v218, v212, v218, vcc_lo
	v_cndmask_b32_e64 v216, v210, v216, s0
	v_add_f64 v[215:216], v[215:216], v[217:218]
	v_cmp_lt_f64_e32 vcc_lo, v[213:214], v[215:216]
	v_cndmask_b32_e32 v195, v195, v210, vcc_lo
	v_cndmask_b32_e32 v194, v194, v209, vcc_lo
	;; [unrolled: 1-line block ×4, first 2 shown]
	v_cndmask_b32_e64 v202, v202, s7, vcc_lo
	s_add_i32 s7, s7, 1
	s_cmp_lg_u32 s1, s7
	s_cbranch_scc1 .LBB94_169
.LBB94_170:
	s_inst_prefetch 0x2
	s_waitcnt lgkmcnt(0)
	v_cmp_eq_f64_e32 vcc_lo, 0, v[194:195]
	v_cmp_eq_f64_e64 s0, 0, v[196:197]
	s_and_b32 s0, vcc_lo, s0
	s_and_saveexec_b32 s7, s0
	s_xor_b32 s0, exec_lo, s7
; %bb.171:
	v_cmp_ne_u32_e32 vcc_lo, 0, v207
	v_cndmask_b32_e32 v207, 9, v207, vcc_lo
; %bb.172:
	s_andn2_saveexec_b32 s0, s0
	s_cbranch_execz .LBB94_178
; %bb.173:
	v_cmp_ngt_f64_e64 s7, |v[194:195]|, |v[196:197]|
	s_and_saveexec_b32 s8, s7
	s_xor_b32 s7, exec_lo, s8
	s_cbranch_execz .LBB94_175
; %bb.174:
	v_div_scale_f64 v[209:210], null, v[196:197], v[196:197], v[194:195]
	v_div_scale_f64 v[215:216], vcc_lo, v[194:195], v[196:197], v[194:195]
	v_rcp_f64_e32 v[211:212], v[209:210]
	v_fma_f64 v[213:214], -v[209:210], v[211:212], 1.0
	v_fma_f64 v[211:212], v[211:212], v[213:214], v[211:212]
	v_fma_f64 v[213:214], -v[209:210], v[211:212], 1.0
	v_fma_f64 v[211:212], v[211:212], v[213:214], v[211:212]
	v_mul_f64 v[213:214], v[215:216], v[211:212]
	v_fma_f64 v[209:210], -v[209:210], v[213:214], v[215:216]
	v_div_fmas_f64 v[209:210], v[209:210], v[211:212], v[213:214]
	v_div_fixup_f64 v[209:210], v[209:210], v[196:197], v[194:195]
	v_fma_f64 v[194:195], v[194:195], v[209:210], v[196:197]
	v_div_scale_f64 v[196:197], null, v[194:195], v[194:195], 1.0
	v_rcp_f64_e32 v[211:212], v[196:197]
	v_fma_f64 v[213:214], -v[196:197], v[211:212], 1.0
	v_fma_f64 v[211:212], v[211:212], v[213:214], v[211:212]
	v_fma_f64 v[213:214], -v[196:197], v[211:212], 1.0
	v_fma_f64 v[211:212], v[211:212], v[213:214], v[211:212]
	v_div_scale_f64 v[213:214], vcc_lo, 1.0, v[194:195], 1.0
	v_mul_f64 v[215:216], v[213:214], v[211:212]
	v_fma_f64 v[196:197], -v[196:197], v[215:216], v[213:214]
	v_div_fmas_f64 v[196:197], v[196:197], v[211:212], v[215:216]
	v_div_fixup_f64 v[196:197], v[196:197], v[194:195], 1.0
	v_mul_f64 v[194:195], v[209:210], v[196:197]
	v_xor_b32_e32 v197, 0x80000000, v197
.LBB94_175:
	s_andn2_saveexec_b32 s7, s7
	s_cbranch_execz .LBB94_177
; %bb.176:
	v_div_scale_f64 v[209:210], null, v[194:195], v[194:195], v[196:197]
	v_div_scale_f64 v[215:216], vcc_lo, v[196:197], v[194:195], v[196:197]
	v_rcp_f64_e32 v[211:212], v[209:210]
	v_fma_f64 v[213:214], -v[209:210], v[211:212], 1.0
	v_fma_f64 v[211:212], v[211:212], v[213:214], v[211:212]
	v_fma_f64 v[213:214], -v[209:210], v[211:212], 1.0
	v_fma_f64 v[211:212], v[211:212], v[213:214], v[211:212]
	v_mul_f64 v[213:214], v[215:216], v[211:212]
	v_fma_f64 v[209:210], -v[209:210], v[213:214], v[215:216]
	v_div_fmas_f64 v[209:210], v[209:210], v[211:212], v[213:214]
	v_div_fixup_f64 v[209:210], v[209:210], v[194:195], v[196:197]
	v_fma_f64 v[194:195], v[196:197], v[209:210], v[194:195]
	v_div_scale_f64 v[196:197], null, v[194:195], v[194:195], 1.0
	v_rcp_f64_e32 v[211:212], v[196:197]
	v_fma_f64 v[213:214], -v[196:197], v[211:212], 1.0
	v_fma_f64 v[211:212], v[211:212], v[213:214], v[211:212]
	v_fma_f64 v[213:214], -v[196:197], v[211:212], 1.0
	v_fma_f64 v[211:212], v[211:212], v[213:214], v[211:212]
	v_div_scale_f64 v[213:214], vcc_lo, 1.0, v[194:195], 1.0
	v_mul_f64 v[215:216], v[213:214], v[211:212]
	v_fma_f64 v[196:197], -v[196:197], v[215:216], v[213:214]
	v_div_fmas_f64 v[196:197], v[196:197], v[211:212], v[215:216]
	v_div_fixup_f64 v[194:195], v[196:197], v[194:195], 1.0
	v_mul_f64 v[196:197], v[209:210], -v[194:195]
.LBB94_177:
	s_or_b32 exec_lo, exec_lo, s7
.LBB94_178:
	s_or_b32 exec_lo, exec_lo, s0
	s_mov_b32 s0, exec_lo
	v_cmpx_ne_u32_e64 v208, v202
	s_xor_b32 s0, exec_lo, s0
	s_cbranch_execz .LBB94_184
; %bb.179:
	s_mov_b32 s7, exec_lo
	v_cmpx_eq_u32_e32 8, v208
	s_cbranch_execz .LBB94_183
; %bb.180:
	v_cmp_ne_u32_e32 vcc_lo, 8, v202
	s_xor_b32 s8, s16, -1
	s_and_b32 s9, s8, vcc_lo
	s_and_saveexec_b32 s8, s9
	s_cbranch_execz .LBB94_182
; %bb.181:
	v_ashrrev_i32_e32 v203, 31, v202
	v_lshlrev_b64 v[208:209], 2, v[202:203]
	v_add_co_u32 v208, vcc_lo, v200, v208
	v_add_co_ci_u32_e64 v209, null, v201, v209, vcc_lo
	s_clause 0x1
	global_load_dword v0, v[208:209], off
	global_load_dword v203, v[200:201], off offset:32
	s_waitcnt vmcnt(1)
	global_store_dword v[200:201], v0, off offset:32
	s_waitcnt vmcnt(0)
	global_store_dword v[208:209], v203, off
.LBB94_182:
	s_or_b32 exec_lo, exec_lo, s8
	v_mov_b32_e32 v208, v202
	v_mov_b32_e32 v0, v202
.LBB94_183:
	s_or_b32 exec_lo, exec_lo, s7
.LBB94_184:
	s_andn2_saveexec_b32 s0, s0
	s_cbranch_execz .LBB94_186
; %bb.185:
	v_mov_b32_e32 v208, 8
	ds_write2_b64 v1, v[138:139], v[140:141] offset0:18 offset1:19
	ds_write2_b64 v1, v[146:147], v[148:149] offset0:20 offset1:21
	;; [unrolled: 1-line block ×39, first 2 shown]
.LBB94_186:
	s_or_b32 exec_lo, exec_lo, s0
	s_mov_b32 s0, exec_lo
	s_waitcnt lgkmcnt(0)
	s_waitcnt_vscnt null, 0x0
	s_barrier
	buffer_gl0_inv
	v_cmpx_lt_i32_e32 8, v208
	s_cbranch_execz .LBB94_188
; %bb.187:
	v_mul_f64 v[202:203], v[196:197], v[144:145]
	v_mul_f64 v[144:145], v[194:195], v[144:145]
	v_fma_f64 v[202:203], v[194:195], v[142:143], -v[202:203]
	v_fma_f64 v[144:145], v[196:197], v[142:143], v[144:145]
	ds_read2_b64 v[194:197], v1 offset0:18 offset1:19
	s_waitcnt lgkmcnt(0)
	v_mul_f64 v[142:143], v[196:197], v[144:145]
	v_fma_f64 v[142:143], v[194:195], v[202:203], -v[142:143]
	v_mul_f64 v[194:195], v[194:195], v[144:145]
	v_add_f64 v[138:139], v[138:139], -v[142:143]
	v_fma_f64 v[194:195], v[196:197], v[202:203], v[194:195]
	v_add_f64 v[140:141], v[140:141], -v[194:195]
	ds_read2_b64 v[194:197], v1 offset0:20 offset1:21
	s_waitcnt lgkmcnt(0)
	v_mul_f64 v[142:143], v[196:197], v[144:145]
	v_fma_f64 v[142:143], v[194:195], v[202:203], -v[142:143]
	v_mul_f64 v[194:195], v[194:195], v[144:145]
	v_add_f64 v[146:147], v[146:147], -v[142:143]
	v_fma_f64 v[194:195], v[196:197], v[202:203], v[194:195]
	v_add_f64 v[148:149], v[148:149], -v[194:195]
	;; [unrolled: 8-line block ×38, first 2 shown]
	ds_read2_b64 v[194:197], v1 offset0:94 offset1:95
	s_waitcnt lgkmcnt(0)
	v_mul_f64 v[142:143], v[196:197], v[144:145]
	v_fma_f64 v[142:143], v[194:195], v[202:203], -v[142:143]
	v_mul_f64 v[194:195], v[194:195], v[144:145]
	v_add_f64 v[2:3], v[2:3], -v[142:143]
	v_fma_f64 v[194:195], v[196:197], v[202:203], v[194:195]
	v_mov_b32_e32 v142, v202
	v_mov_b32_e32 v143, v203
	v_add_f64 v[4:5], v[4:5], -v[194:195]
.LBB94_188:
	s_or_b32 exec_lo, exec_lo, s0
	v_lshl_add_u32 v194, v208, 4, v1
	s_barrier
	buffer_gl0_inv
	v_mov_b32_e32 v202, 9
	ds_write2_b64 v194, v[138:139], v[140:141] offset1:1
	s_waitcnt lgkmcnt(0)
	s_barrier
	buffer_gl0_inv
	ds_read2_b64 v[194:197], v1 offset0:18 offset1:19
	s_cmp_lt_i32 s1, 11
	s_cbranch_scc1 .LBB94_191
; %bb.189:
	v_add3_u32 v203, v204, 0, 0xa0
	v_mov_b32_e32 v202, 9
	s_mov_b32 s7, 10
	s_inst_prefetch 0x1
	.p2align	6
.LBB94_190:                             ; =>This Inner Loop Header: Depth=1
	s_waitcnt lgkmcnt(0)
	v_cmp_gt_f64_e32 vcc_lo, 0, v[196:197]
	v_cmp_gt_f64_e64 s0, 0, v[194:195]
	ds_read2_b64 v[209:212], v203 offset1:1
	v_xor_b32_e32 v214, 0x80000000, v195
	v_xor_b32_e32 v216, 0x80000000, v197
	v_mov_b32_e32 v213, v194
	v_mov_b32_e32 v215, v196
	v_add_nc_u32_e32 v203, 16, v203
	s_waitcnt lgkmcnt(0)
	v_xor_b32_e32 v218, 0x80000000, v212
	v_cndmask_b32_e64 v214, v195, v214, s0
	v_cndmask_b32_e32 v216, v197, v216, vcc_lo
	v_cmp_gt_f64_e32 vcc_lo, 0, v[211:212]
	v_cmp_gt_f64_e64 s0, 0, v[209:210]
	v_mov_b32_e32 v217, v211
	v_add_f64 v[213:214], v[213:214], v[215:216]
	v_xor_b32_e32 v216, 0x80000000, v210
	v_mov_b32_e32 v215, v209
	v_cndmask_b32_e32 v218, v212, v218, vcc_lo
	v_cndmask_b32_e64 v216, v210, v216, s0
	v_add_f64 v[215:216], v[215:216], v[217:218]
	v_cmp_lt_f64_e32 vcc_lo, v[213:214], v[215:216]
	v_cndmask_b32_e32 v195, v195, v210, vcc_lo
	v_cndmask_b32_e32 v194, v194, v209, vcc_lo
	v_cndmask_b32_e32 v197, v197, v212, vcc_lo
	v_cndmask_b32_e32 v196, v196, v211, vcc_lo
	v_cndmask_b32_e64 v202, v202, s7, vcc_lo
	s_add_i32 s7, s7, 1
	s_cmp_lg_u32 s1, s7
	s_cbranch_scc1 .LBB94_190
.LBB94_191:
	s_inst_prefetch 0x2
	s_waitcnt lgkmcnt(0)
	v_cmp_eq_f64_e32 vcc_lo, 0, v[194:195]
	v_cmp_eq_f64_e64 s0, 0, v[196:197]
	s_and_b32 s0, vcc_lo, s0
	s_and_saveexec_b32 s7, s0
	s_xor_b32 s0, exec_lo, s7
; %bb.192:
	v_cmp_ne_u32_e32 vcc_lo, 0, v207
	v_cndmask_b32_e32 v207, 10, v207, vcc_lo
; %bb.193:
	s_andn2_saveexec_b32 s0, s0
	s_cbranch_execz .LBB94_199
; %bb.194:
	v_cmp_ngt_f64_e64 s7, |v[194:195]|, |v[196:197]|
	s_and_saveexec_b32 s8, s7
	s_xor_b32 s7, exec_lo, s8
	s_cbranch_execz .LBB94_196
; %bb.195:
	v_div_scale_f64 v[209:210], null, v[196:197], v[196:197], v[194:195]
	v_div_scale_f64 v[215:216], vcc_lo, v[194:195], v[196:197], v[194:195]
	v_rcp_f64_e32 v[211:212], v[209:210]
	v_fma_f64 v[213:214], -v[209:210], v[211:212], 1.0
	v_fma_f64 v[211:212], v[211:212], v[213:214], v[211:212]
	v_fma_f64 v[213:214], -v[209:210], v[211:212], 1.0
	v_fma_f64 v[211:212], v[211:212], v[213:214], v[211:212]
	v_mul_f64 v[213:214], v[215:216], v[211:212]
	v_fma_f64 v[209:210], -v[209:210], v[213:214], v[215:216]
	v_div_fmas_f64 v[209:210], v[209:210], v[211:212], v[213:214]
	v_div_fixup_f64 v[209:210], v[209:210], v[196:197], v[194:195]
	v_fma_f64 v[194:195], v[194:195], v[209:210], v[196:197]
	v_div_scale_f64 v[196:197], null, v[194:195], v[194:195], 1.0
	v_rcp_f64_e32 v[211:212], v[196:197]
	v_fma_f64 v[213:214], -v[196:197], v[211:212], 1.0
	v_fma_f64 v[211:212], v[211:212], v[213:214], v[211:212]
	v_fma_f64 v[213:214], -v[196:197], v[211:212], 1.0
	v_fma_f64 v[211:212], v[211:212], v[213:214], v[211:212]
	v_div_scale_f64 v[213:214], vcc_lo, 1.0, v[194:195], 1.0
	v_mul_f64 v[215:216], v[213:214], v[211:212]
	v_fma_f64 v[196:197], -v[196:197], v[215:216], v[213:214]
	v_div_fmas_f64 v[196:197], v[196:197], v[211:212], v[215:216]
	v_div_fixup_f64 v[196:197], v[196:197], v[194:195], 1.0
	v_mul_f64 v[194:195], v[209:210], v[196:197]
	v_xor_b32_e32 v197, 0x80000000, v197
.LBB94_196:
	s_andn2_saveexec_b32 s7, s7
	s_cbranch_execz .LBB94_198
; %bb.197:
	v_div_scale_f64 v[209:210], null, v[194:195], v[194:195], v[196:197]
	v_div_scale_f64 v[215:216], vcc_lo, v[196:197], v[194:195], v[196:197]
	v_rcp_f64_e32 v[211:212], v[209:210]
	v_fma_f64 v[213:214], -v[209:210], v[211:212], 1.0
	v_fma_f64 v[211:212], v[211:212], v[213:214], v[211:212]
	v_fma_f64 v[213:214], -v[209:210], v[211:212], 1.0
	v_fma_f64 v[211:212], v[211:212], v[213:214], v[211:212]
	v_mul_f64 v[213:214], v[215:216], v[211:212]
	v_fma_f64 v[209:210], -v[209:210], v[213:214], v[215:216]
	v_div_fmas_f64 v[209:210], v[209:210], v[211:212], v[213:214]
	v_div_fixup_f64 v[209:210], v[209:210], v[194:195], v[196:197]
	v_fma_f64 v[194:195], v[196:197], v[209:210], v[194:195]
	v_div_scale_f64 v[196:197], null, v[194:195], v[194:195], 1.0
	v_rcp_f64_e32 v[211:212], v[196:197]
	v_fma_f64 v[213:214], -v[196:197], v[211:212], 1.0
	v_fma_f64 v[211:212], v[211:212], v[213:214], v[211:212]
	v_fma_f64 v[213:214], -v[196:197], v[211:212], 1.0
	v_fma_f64 v[211:212], v[211:212], v[213:214], v[211:212]
	v_div_scale_f64 v[213:214], vcc_lo, 1.0, v[194:195], 1.0
	v_mul_f64 v[215:216], v[213:214], v[211:212]
	v_fma_f64 v[196:197], -v[196:197], v[215:216], v[213:214]
	v_div_fmas_f64 v[196:197], v[196:197], v[211:212], v[215:216]
	v_div_fixup_f64 v[194:195], v[196:197], v[194:195], 1.0
	v_mul_f64 v[196:197], v[209:210], -v[194:195]
.LBB94_198:
	s_or_b32 exec_lo, exec_lo, s7
.LBB94_199:
	s_or_b32 exec_lo, exec_lo, s0
	s_mov_b32 s0, exec_lo
	v_cmpx_ne_u32_e64 v208, v202
	s_xor_b32 s0, exec_lo, s0
	s_cbranch_execz .LBB94_205
; %bb.200:
	s_mov_b32 s7, exec_lo
	v_cmpx_eq_u32_e32 9, v208
	s_cbranch_execz .LBB94_204
; %bb.201:
	v_cmp_ne_u32_e32 vcc_lo, 9, v202
	s_xor_b32 s8, s16, -1
	s_and_b32 s9, s8, vcc_lo
	s_and_saveexec_b32 s8, s9
	s_cbranch_execz .LBB94_203
; %bb.202:
	v_ashrrev_i32_e32 v203, 31, v202
	v_lshlrev_b64 v[208:209], 2, v[202:203]
	v_add_co_u32 v208, vcc_lo, v200, v208
	v_add_co_ci_u32_e64 v209, null, v201, v209, vcc_lo
	s_clause 0x1
	global_load_dword v0, v[208:209], off
	global_load_dword v203, v[200:201], off offset:36
	s_waitcnt vmcnt(1)
	global_store_dword v[200:201], v0, off offset:36
	s_waitcnt vmcnt(0)
	global_store_dword v[208:209], v203, off
.LBB94_203:
	s_or_b32 exec_lo, exec_lo, s8
	v_mov_b32_e32 v208, v202
	v_mov_b32_e32 v0, v202
.LBB94_204:
	s_or_b32 exec_lo, exec_lo, s7
.LBB94_205:
	s_andn2_saveexec_b32 s0, s0
	s_cbranch_execz .LBB94_207
; %bb.206:
	v_mov_b32_e32 v208, 9
	ds_write2_b64 v1, v[146:147], v[148:149] offset0:20 offset1:21
	ds_write2_b64 v1, v[122:123], v[124:125] offset0:22 offset1:23
	;; [unrolled: 1-line block ×38, first 2 shown]
.LBB94_207:
	s_or_b32 exec_lo, exec_lo, s0
	s_mov_b32 s0, exec_lo
	s_waitcnt lgkmcnt(0)
	s_waitcnt_vscnt null, 0x0
	s_barrier
	buffer_gl0_inv
	v_cmpx_lt_i32_e32 9, v208
	s_cbranch_execz .LBB94_209
; %bb.208:
	v_mul_f64 v[202:203], v[196:197], v[140:141]
	v_mul_f64 v[140:141], v[194:195], v[140:141]
	v_fma_f64 v[202:203], v[194:195], v[138:139], -v[202:203]
	v_fma_f64 v[140:141], v[196:197], v[138:139], v[140:141]
	ds_read2_b64 v[194:197], v1 offset0:20 offset1:21
	s_waitcnt lgkmcnt(0)
	v_mul_f64 v[138:139], v[196:197], v[140:141]
	v_fma_f64 v[138:139], v[194:195], v[202:203], -v[138:139]
	v_mul_f64 v[194:195], v[194:195], v[140:141]
	v_add_f64 v[146:147], v[146:147], -v[138:139]
	v_fma_f64 v[194:195], v[196:197], v[202:203], v[194:195]
	v_add_f64 v[148:149], v[148:149], -v[194:195]
	ds_read2_b64 v[194:197], v1 offset0:22 offset1:23
	s_waitcnt lgkmcnt(0)
	v_mul_f64 v[138:139], v[196:197], v[140:141]
	v_fma_f64 v[138:139], v[194:195], v[202:203], -v[138:139]
	v_mul_f64 v[194:195], v[194:195], v[140:141]
	v_add_f64 v[122:123], v[122:123], -v[138:139]
	v_fma_f64 v[194:195], v[196:197], v[202:203], v[194:195]
	v_add_f64 v[124:125], v[124:125], -v[194:195]
	;; [unrolled: 8-line block ×37, first 2 shown]
	ds_read2_b64 v[194:197], v1 offset0:94 offset1:95
	s_waitcnt lgkmcnt(0)
	v_mul_f64 v[138:139], v[196:197], v[140:141]
	v_fma_f64 v[138:139], v[194:195], v[202:203], -v[138:139]
	v_mul_f64 v[194:195], v[194:195], v[140:141]
	v_add_f64 v[2:3], v[2:3], -v[138:139]
	v_fma_f64 v[194:195], v[196:197], v[202:203], v[194:195]
	v_mov_b32_e32 v138, v202
	v_mov_b32_e32 v139, v203
	v_add_f64 v[4:5], v[4:5], -v[194:195]
.LBB94_209:
	s_or_b32 exec_lo, exec_lo, s0
	v_lshl_add_u32 v194, v208, 4, v1
	s_barrier
	buffer_gl0_inv
	v_mov_b32_e32 v202, 10
	ds_write2_b64 v194, v[146:147], v[148:149] offset1:1
	s_waitcnt lgkmcnt(0)
	s_barrier
	buffer_gl0_inv
	ds_read2_b64 v[194:197], v1 offset0:20 offset1:21
	s_cmp_lt_i32 s1, 12
	s_cbranch_scc1 .LBB94_212
; %bb.210:
	v_add3_u32 v203, v204, 0, 0xb0
	v_mov_b32_e32 v202, 10
	s_mov_b32 s7, 11
	s_inst_prefetch 0x1
	.p2align	6
.LBB94_211:                             ; =>This Inner Loop Header: Depth=1
	s_waitcnt lgkmcnt(0)
	v_cmp_gt_f64_e32 vcc_lo, 0, v[196:197]
	v_cmp_gt_f64_e64 s0, 0, v[194:195]
	ds_read2_b64 v[209:212], v203 offset1:1
	v_xor_b32_e32 v214, 0x80000000, v195
	v_xor_b32_e32 v216, 0x80000000, v197
	v_mov_b32_e32 v213, v194
	v_mov_b32_e32 v215, v196
	v_add_nc_u32_e32 v203, 16, v203
	s_waitcnt lgkmcnt(0)
	v_xor_b32_e32 v218, 0x80000000, v212
	v_cndmask_b32_e64 v214, v195, v214, s0
	v_cndmask_b32_e32 v216, v197, v216, vcc_lo
	v_cmp_gt_f64_e32 vcc_lo, 0, v[211:212]
	v_cmp_gt_f64_e64 s0, 0, v[209:210]
	v_mov_b32_e32 v217, v211
	v_add_f64 v[213:214], v[213:214], v[215:216]
	v_xor_b32_e32 v216, 0x80000000, v210
	v_mov_b32_e32 v215, v209
	v_cndmask_b32_e32 v218, v212, v218, vcc_lo
	v_cndmask_b32_e64 v216, v210, v216, s0
	v_add_f64 v[215:216], v[215:216], v[217:218]
	v_cmp_lt_f64_e32 vcc_lo, v[213:214], v[215:216]
	v_cndmask_b32_e32 v195, v195, v210, vcc_lo
	v_cndmask_b32_e32 v194, v194, v209, vcc_lo
	;; [unrolled: 1-line block ×4, first 2 shown]
	v_cndmask_b32_e64 v202, v202, s7, vcc_lo
	s_add_i32 s7, s7, 1
	s_cmp_lg_u32 s1, s7
	s_cbranch_scc1 .LBB94_211
.LBB94_212:
	s_inst_prefetch 0x2
	s_waitcnt lgkmcnt(0)
	v_cmp_eq_f64_e32 vcc_lo, 0, v[194:195]
	v_cmp_eq_f64_e64 s0, 0, v[196:197]
	s_and_b32 s0, vcc_lo, s0
	s_and_saveexec_b32 s7, s0
	s_xor_b32 s0, exec_lo, s7
; %bb.213:
	v_cmp_ne_u32_e32 vcc_lo, 0, v207
	v_cndmask_b32_e32 v207, 11, v207, vcc_lo
; %bb.214:
	s_andn2_saveexec_b32 s0, s0
	s_cbranch_execz .LBB94_220
; %bb.215:
	v_cmp_ngt_f64_e64 s7, |v[194:195]|, |v[196:197]|
	s_and_saveexec_b32 s8, s7
	s_xor_b32 s7, exec_lo, s8
	s_cbranch_execz .LBB94_217
; %bb.216:
	v_div_scale_f64 v[209:210], null, v[196:197], v[196:197], v[194:195]
	v_div_scale_f64 v[215:216], vcc_lo, v[194:195], v[196:197], v[194:195]
	v_rcp_f64_e32 v[211:212], v[209:210]
	v_fma_f64 v[213:214], -v[209:210], v[211:212], 1.0
	v_fma_f64 v[211:212], v[211:212], v[213:214], v[211:212]
	v_fma_f64 v[213:214], -v[209:210], v[211:212], 1.0
	v_fma_f64 v[211:212], v[211:212], v[213:214], v[211:212]
	v_mul_f64 v[213:214], v[215:216], v[211:212]
	v_fma_f64 v[209:210], -v[209:210], v[213:214], v[215:216]
	v_div_fmas_f64 v[209:210], v[209:210], v[211:212], v[213:214]
	v_div_fixup_f64 v[209:210], v[209:210], v[196:197], v[194:195]
	v_fma_f64 v[194:195], v[194:195], v[209:210], v[196:197]
	v_div_scale_f64 v[196:197], null, v[194:195], v[194:195], 1.0
	v_rcp_f64_e32 v[211:212], v[196:197]
	v_fma_f64 v[213:214], -v[196:197], v[211:212], 1.0
	v_fma_f64 v[211:212], v[211:212], v[213:214], v[211:212]
	v_fma_f64 v[213:214], -v[196:197], v[211:212], 1.0
	v_fma_f64 v[211:212], v[211:212], v[213:214], v[211:212]
	v_div_scale_f64 v[213:214], vcc_lo, 1.0, v[194:195], 1.0
	v_mul_f64 v[215:216], v[213:214], v[211:212]
	v_fma_f64 v[196:197], -v[196:197], v[215:216], v[213:214]
	v_div_fmas_f64 v[196:197], v[196:197], v[211:212], v[215:216]
	v_div_fixup_f64 v[196:197], v[196:197], v[194:195], 1.0
	v_mul_f64 v[194:195], v[209:210], v[196:197]
	v_xor_b32_e32 v197, 0x80000000, v197
.LBB94_217:
	s_andn2_saveexec_b32 s7, s7
	s_cbranch_execz .LBB94_219
; %bb.218:
	v_div_scale_f64 v[209:210], null, v[194:195], v[194:195], v[196:197]
	v_div_scale_f64 v[215:216], vcc_lo, v[196:197], v[194:195], v[196:197]
	v_rcp_f64_e32 v[211:212], v[209:210]
	v_fma_f64 v[213:214], -v[209:210], v[211:212], 1.0
	v_fma_f64 v[211:212], v[211:212], v[213:214], v[211:212]
	v_fma_f64 v[213:214], -v[209:210], v[211:212], 1.0
	v_fma_f64 v[211:212], v[211:212], v[213:214], v[211:212]
	v_mul_f64 v[213:214], v[215:216], v[211:212]
	v_fma_f64 v[209:210], -v[209:210], v[213:214], v[215:216]
	v_div_fmas_f64 v[209:210], v[209:210], v[211:212], v[213:214]
	v_div_fixup_f64 v[209:210], v[209:210], v[194:195], v[196:197]
	v_fma_f64 v[194:195], v[196:197], v[209:210], v[194:195]
	v_div_scale_f64 v[196:197], null, v[194:195], v[194:195], 1.0
	v_rcp_f64_e32 v[211:212], v[196:197]
	v_fma_f64 v[213:214], -v[196:197], v[211:212], 1.0
	v_fma_f64 v[211:212], v[211:212], v[213:214], v[211:212]
	v_fma_f64 v[213:214], -v[196:197], v[211:212], 1.0
	v_fma_f64 v[211:212], v[211:212], v[213:214], v[211:212]
	v_div_scale_f64 v[213:214], vcc_lo, 1.0, v[194:195], 1.0
	v_mul_f64 v[215:216], v[213:214], v[211:212]
	v_fma_f64 v[196:197], -v[196:197], v[215:216], v[213:214]
	v_div_fmas_f64 v[196:197], v[196:197], v[211:212], v[215:216]
	v_div_fixup_f64 v[194:195], v[196:197], v[194:195], 1.0
	v_mul_f64 v[196:197], v[209:210], -v[194:195]
.LBB94_219:
	s_or_b32 exec_lo, exec_lo, s7
.LBB94_220:
	s_or_b32 exec_lo, exec_lo, s0
	s_mov_b32 s0, exec_lo
	v_cmpx_ne_u32_e64 v208, v202
	s_xor_b32 s0, exec_lo, s0
	s_cbranch_execz .LBB94_226
; %bb.221:
	s_mov_b32 s7, exec_lo
	v_cmpx_eq_u32_e32 10, v208
	s_cbranch_execz .LBB94_225
; %bb.222:
	v_cmp_ne_u32_e32 vcc_lo, 10, v202
	s_xor_b32 s8, s16, -1
	s_and_b32 s9, s8, vcc_lo
	s_and_saveexec_b32 s8, s9
	s_cbranch_execz .LBB94_224
; %bb.223:
	v_ashrrev_i32_e32 v203, 31, v202
	v_lshlrev_b64 v[208:209], 2, v[202:203]
	v_add_co_u32 v208, vcc_lo, v200, v208
	v_add_co_ci_u32_e64 v209, null, v201, v209, vcc_lo
	s_clause 0x1
	global_load_dword v0, v[208:209], off
	global_load_dword v203, v[200:201], off offset:40
	s_waitcnt vmcnt(1)
	global_store_dword v[200:201], v0, off offset:40
	s_waitcnt vmcnt(0)
	global_store_dword v[208:209], v203, off
.LBB94_224:
	s_or_b32 exec_lo, exec_lo, s8
	v_mov_b32_e32 v208, v202
	v_mov_b32_e32 v0, v202
.LBB94_225:
	s_or_b32 exec_lo, exec_lo, s7
.LBB94_226:
	s_andn2_saveexec_b32 s0, s0
	s_cbranch_execz .LBB94_228
; %bb.227:
	v_mov_b32_e32 v208, 10
	ds_write2_b64 v1, v[122:123], v[124:125] offset0:22 offset1:23
	ds_write2_b64 v1, v[134:135], v[136:137] offset0:24 offset1:25
	;; [unrolled: 1-line block ×37, first 2 shown]
.LBB94_228:
	s_or_b32 exec_lo, exec_lo, s0
	s_mov_b32 s0, exec_lo
	s_waitcnt lgkmcnt(0)
	s_waitcnt_vscnt null, 0x0
	s_barrier
	buffer_gl0_inv
	v_cmpx_lt_i32_e32 10, v208
	s_cbranch_execz .LBB94_230
; %bb.229:
	v_mul_f64 v[202:203], v[196:197], v[148:149]
	v_mul_f64 v[148:149], v[194:195], v[148:149]
	v_fma_f64 v[202:203], v[194:195], v[146:147], -v[202:203]
	v_fma_f64 v[148:149], v[196:197], v[146:147], v[148:149]
	ds_read2_b64 v[194:197], v1 offset0:22 offset1:23
	s_waitcnt lgkmcnt(0)
	v_mul_f64 v[146:147], v[196:197], v[148:149]
	v_fma_f64 v[146:147], v[194:195], v[202:203], -v[146:147]
	v_mul_f64 v[194:195], v[194:195], v[148:149]
	v_add_f64 v[122:123], v[122:123], -v[146:147]
	v_fma_f64 v[194:195], v[196:197], v[202:203], v[194:195]
	v_add_f64 v[124:125], v[124:125], -v[194:195]
	ds_read2_b64 v[194:197], v1 offset0:24 offset1:25
	s_waitcnt lgkmcnt(0)
	v_mul_f64 v[146:147], v[196:197], v[148:149]
	v_fma_f64 v[146:147], v[194:195], v[202:203], -v[146:147]
	v_mul_f64 v[194:195], v[194:195], v[148:149]
	v_add_f64 v[134:135], v[134:135], -v[146:147]
	v_fma_f64 v[194:195], v[196:197], v[202:203], v[194:195]
	v_add_f64 v[136:137], v[136:137], -v[194:195]
	;; [unrolled: 8-line block ×36, first 2 shown]
	ds_read2_b64 v[194:197], v1 offset0:94 offset1:95
	s_waitcnt lgkmcnt(0)
	v_mul_f64 v[146:147], v[196:197], v[148:149]
	v_fma_f64 v[146:147], v[194:195], v[202:203], -v[146:147]
	v_mul_f64 v[194:195], v[194:195], v[148:149]
	v_add_f64 v[2:3], v[2:3], -v[146:147]
	v_fma_f64 v[194:195], v[196:197], v[202:203], v[194:195]
	v_mov_b32_e32 v146, v202
	v_mov_b32_e32 v147, v203
	v_add_f64 v[4:5], v[4:5], -v[194:195]
.LBB94_230:
	s_or_b32 exec_lo, exec_lo, s0
	v_lshl_add_u32 v194, v208, 4, v1
	s_barrier
	buffer_gl0_inv
	v_mov_b32_e32 v202, 11
	ds_write2_b64 v194, v[122:123], v[124:125] offset1:1
	s_waitcnt lgkmcnt(0)
	s_barrier
	buffer_gl0_inv
	ds_read2_b64 v[194:197], v1 offset0:22 offset1:23
	s_cmp_lt_i32 s1, 13
	s_cbranch_scc1 .LBB94_233
; %bb.231:
	v_add3_u32 v203, v204, 0, 0xc0
	v_mov_b32_e32 v202, 11
	s_mov_b32 s7, 12
	s_inst_prefetch 0x1
	.p2align	6
.LBB94_232:                             ; =>This Inner Loop Header: Depth=1
	s_waitcnt lgkmcnt(0)
	v_cmp_gt_f64_e32 vcc_lo, 0, v[196:197]
	v_cmp_gt_f64_e64 s0, 0, v[194:195]
	ds_read2_b64 v[209:212], v203 offset1:1
	v_xor_b32_e32 v214, 0x80000000, v195
	v_xor_b32_e32 v216, 0x80000000, v197
	v_mov_b32_e32 v213, v194
	v_mov_b32_e32 v215, v196
	v_add_nc_u32_e32 v203, 16, v203
	s_waitcnt lgkmcnt(0)
	v_xor_b32_e32 v218, 0x80000000, v212
	v_cndmask_b32_e64 v214, v195, v214, s0
	v_cndmask_b32_e32 v216, v197, v216, vcc_lo
	v_cmp_gt_f64_e32 vcc_lo, 0, v[211:212]
	v_cmp_gt_f64_e64 s0, 0, v[209:210]
	v_mov_b32_e32 v217, v211
	v_add_f64 v[213:214], v[213:214], v[215:216]
	v_xor_b32_e32 v216, 0x80000000, v210
	v_mov_b32_e32 v215, v209
	v_cndmask_b32_e32 v218, v212, v218, vcc_lo
	v_cndmask_b32_e64 v216, v210, v216, s0
	v_add_f64 v[215:216], v[215:216], v[217:218]
	v_cmp_lt_f64_e32 vcc_lo, v[213:214], v[215:216]
	v_cndmask_b32_e32 v195, v195, v210, vcc_lo
	v_cndmask_b32_e32 v194, v194, v209, vcc_lo
	;; [unrolled: 1-line block ×4, first 2 shown]
	v_cndmask_b32_e64 v202, v202, s7, vcc_lo
	s_add_i32 s7, s7, 1
	s_cmp_lg_u32 s1, s7
	s_cbranch_scc1 .LBB94_232
.LBB94_233:
	s_inst_prefetch 0x2
	s_waitcnt lgkmcnt(0)
	v_cmp_eq_f64_e32 vcc_lo, 0, v[194:195]
	v_cmp_eq_f64_e64 s0, 0, v[196:197]
	s_and_b32 s0, vcc_lo, s0
	s_and_saveexec_b32 s7, s0
	s_xor_b32 s0, exec_lo, s7
; %bb.234:
	v_cmp_ne_u32_e32 vcc_lo, 0, v207
	v_cndmask_b32_e32 v207, 12, v207, vcc_lo
; %bb.235:
	s_andn2_saveexec_b32 s0, s0
	s_cbranch_execz .LBB94_241
; %bb.236:
	v_cmp_ngt_f64_e64 s7, |v[194:195]|, |v[196:197]|
	s_and_saveexec_b32 s8, s7
	s_xor_b32 s7, exec_lo, s8
	s_cbranch_execz .LBB94_238
; %bb.237:
	v_div_scale_f64 v[209:210], null, v[196:197], v[196:197], v[194:195]
	v_div_scale_f64 v[215:216], vcc_lo, v[194:195], v[196:197], v[194:195]
	v_rcp_f64_e32 v[211:212], v[209:210]
	v_fma_f64 v[213:214], -v[209:210], v[211:212], 1.0
	v_fma_f64 v[211:212], v[211:212], v[213:214], v[211:212]
	v_fma_f64 v[213:214], -v[209:210], v[211:212], 1.0
	v_fma_f64 v[211:212], v[211:212], v[213:214], v[211:212]
	v_mul_f64 v[213:214], v[215:216], v[211:212]
	v_fma_f64 v[209:210], -v[209:210], v[213:214], v[215:216]
	v_div_fmas_f64 v[209:210], v[209:210], v[211:212], v[213:214]
	v_div_fixup_f64 v[209:210], v[209:210], v[196:197], v[194:195]
	v_fma_f64 v[194:195], v[194:195], v[209:210], v[196:197]
	v_div_scale_f64 v[196:197], null, v[194:195], v[194:195], 1.0
	v_rcp_f64_e32 v[211:212], v[196:197]
	v_fma_f64 v[213:214], -v[196:197], v[211:212], 1.0
	v_fma_f64 v[211:212], v[211:212], v[213:214], v[211:212]
	v_fma_f64 v[213:214], -v[196:197], v[211:212], 1.0
	v_fma_f64 v[211:212], v[211:212], v[213:214], v[211:212]
	v_div_scale_f64 v[213:214], vcc_lo, 1.0, v[194:195], 1.0
	v_mul_f64 v[215:216], v[213:214], v[211:212]
	v_fma_f64 v[196:197], -v[196:197], v[215:216], v[213:214]
	v_div_fmas_f64 v[196:197], v[196:197], v[211:212], v[215:216]
	v_div_fixup_f64 v[196:197], v[196:197], v[194:195], 1.0
	v_mul_f64 v[194:195], v[209:210], v[196:197]
	v_xor_b32_e32 v197, 0x80000000, v197
.LBB94_238:
	s_andn2_saveexec_b32 s7, s7
	s_cbranch_execz .LBB94_240
; %bb.239:
	v_div_scale_f64 v[209:210], null, v[194:195], v[194:195], v[196:197]
	v_div_scale_f64 v[215:216], vcc_lo, v[196:197], v[194:195], v[196:197]
	v_rcp_f64_e32 v[211:212], v[209:210]
	v_fma_f64 v[213:214], -v[209:210], v[211:212], 1.0
	v_fma_f64 v[211:212], v[211:212], v[213:214], v[211:212]
	v_fma_f64 v[213:214], -v[209:210], v[211:212], 1.0
	v_fma_f64 v[211:212], v[211:212], v[213:214], v[211:212]
	v_mul_f64 v[213:214], v[215:216], v[211:212]
	v_fma_f64 v[209:210], -v[209:210], v[213:214], v[215:216]
	v_div_fmas_f64 v[209:210], v[209:210], v[211:212], v[213:214]
	v_div_fixup_f64 v[209:210], v[209:210], v[194:195], v[196:197]
	v_fma_f64 v[194:195], v[196:197], v[209:210], v[194:195]
	v_div_scale_f64 v[196:197], null, v[194:195], v[194:195], 1.0
	v_rcp_f64_e32 v[211:212], v[196:197]
	v_fma_f64 v[213:214], -v[196:197], v[211:212], 1.0
	v_fma_f64 v[211:212], v[211:212], v[213:214], v[211:212]
	v_fma_f64 v[213:214], -v[196:197], v[211:212], 1.0
	v_fma_f64 v[211:212], v[211:212], v[213:214], v[211:212]
	v_div_scale_f64 v[213:214], vcc_lo, 1.0, v[194:195], 1.0
	v_mul_f64 v[215:216], v[213:214], v[211:212]
	v_fma_f64 v[196:197], -v[196:197], v[215:216], v[213:214]
	v_div_fmas_f64 v[196:197], v[196:197], v[211:212], v[215:216]
	v_div_fixup_f64 v[194:195], v[196:197], v[194:195], 1.0
	v_mul_f64 v[196:197], v[209:210], -v[194:195]
.LBB94_240:
	s_or_b32 exec_lo, exec_lo, s7
.LBB94_241:
	s_or_b32 exec_lo, exec_lo, s0
	s_mov_b32 s0, exec_lo
	v_cmpx_ne_u32_e64 v208, v202
	s_xor_b32 s0, exec_lo, s0
	s_cbranch_execz .LBB94_247
; %bb.242:
	s_mov_b32 s7, exec_lo
	v_cmpx_eq_u32_e32 11, v208
	s_cbranch_execz .LBB94_246
; %bb.243:
	v_cmp_ne_u32_e32 vcc_lo, 11, v202
	s_xor_b32 s8, s16, -1
	s_and_b32 s9, s8, vcc_lo
	s_and_saveexec_b32 s8, s9
	s_cbranch_execz .LBB94_245
; %bb.244:
	v_ashrrev_i32_e32 v203, 31, v202
	v_lshlrev_b64 v[208:209], 2, v[202:203]
	v_add_co_u32 v208, vcc_lo, v200, v208
	v_add_co_ci_u32_e64 v209, null, v201, v209, vcc_lo
	s_clause 0x1
	global_load_dword v0, v[208:209], off
	global_load_dword v203, v[200:201], off offset:44
	s_waitcnt vmcnt(1)
	global_store_dword v[200:201], v0, off offset:44
	s_waitcnt vmcnt(0)
	global_store_dword v[208:209], v203, off
.LBB94_245:
	s_or_b32 exec_lo, exec_lo, s8
	v_mov_b32_e32 v208, v202
	v_mov_b32_e32 v0, v202
.LBB94_246:
	s_or_b32 exec_lo, exec_lo, s7
.LBB94_247:
	s_andn2_saveexec_b32 s0, s0
	s_cbranch_execz .LBB94_249
; %bb.248:
	v_mov_b32_e32 v208, 11
	ds_write2_b64 v1, v[134:135], v[136:137] offset0:24 offset1:25
	ds_write2_b64 v1, v[110:111], v[112:113] offset0:26 offset1:27
	;; [unrolled: 1-line block ×36, first 2 shown]
.LBB94_249:
	s_or_b32 exec_lo, exec_lo, s0
	s_mov_b32 s0, exec_lo
	s_waitcnt lgkmcnt(0)
	s_waitcnt_vscnt null, 0x0
	s_barrier
	buffer_gl0_inv
	v_cmpx_lt_i32_e32 11, v208
	s_cbranch_execz .LBB94_251
; %bb.250:
	v_mul_f64 v[202:203], v[196:197], v[124:125]
	v_mul_f64 v[124:125], v[194:195], v[124:125]
	v_fma_f64 v[202:203], v[194:195], v[122:123], -v[202:203]
	v_fma_f64 v[124:125], v[196:197], v[122:123], v[124:125]
	ds_read2_b64 v[194:197], v1 offset0:24 offset1:25
	s_waitcnt lgkmcnt(0)
	v_mul_f64 v[122:123], v[196:197], v[124:125]
	v_fma_f64 v[122:123], v[194:195], v[202:203], -v[122:123]
	v_mul_f64 v[194:195], v[194:195], v[124:125]
	v_add_f64 v[134:135], v[134:135], -v[122:123]
	v_fma_f64 v[194:195], v[196:197], v[202:203], v[194:195]
	v_add_f64 v[136:137], v[136:137], -v[194:195]
	ds_read2_b64 v[194:197], v1 offset0:26 offset1:27
	s_waitcnt lgkmcnt(0)
	v_mul_f64 v[122:123], v[196:197], v[124:125]
	v_fma_f64 v[122:123], v[194:195], v[202:203], -v[122:123]
	v_mul_f64 v[194:195], v[194:195], v[124:125]
	v_add_f64 v[110:111], v[110:111], -v[122:123]
	v_fma_f64 v[194:195], v[196:197], v[202:203], v[194:195]
	v_add_f64 v[112:113], v[112:113], -v[194:195]
	;; [unrolled: 8-line block ×35, first 2 shown]
	ds_read2_b64 v[194:197], v1 offset0:94 offset1:95
	s_waitcnt lgkmcnt(0)
	v_mul_f64 v[122:123], v[196:197], v[124:125]
	v_fma_f64 v[122:123], v[194:195], v[202:203], -v[122:123]
	v_mul_f64 v[194:195], v[194:195], v[124:125]
	v_add_f64 v[2:3], v[2:3], -v[122:123]
	v_fma_f64 v[194:195], v[196:197], v[202:203], v[194:195]
	v_mov_b32_e32 v122, v202
	v_mov_b32_e32 v123, v203
	v_add_f64 v[4:5], v[4:5], -v[194:195]
.LBB94_251:
	s_or_b32 exec_lo, exec_lo, s0
	v_lshl_add_u32 v194, v208, 4, v1
	s_barrier
	buffer_gl0_inv
	v_mov_b32_e32 v202, 12
	ds_write2_b64 v194, v[134:135], v[136:137] offset1:1
	s_waitcnt lgkmcnt(0)
	s_barrier
	buffer_gl0_inv
	ds_read2_b64 v[194:197], v1 offset0:24 offset1:25
	s_cmp_lt_i32 s1, 14
	s_cbranch_scc1 .LBB94_254
; %bb.252:
	v_add3_u32 v203, v204, 0, 0xd0
	v_mov_b32_e32 v202, 12
	s_mov_b32 s7, 13
	s_inst_prefetch 0x1
	.p2align	6
.LBB94_253:                             ; =>This Inner Loop Header: Depth=1
	s_waitcnt lgkmcnt(0)
	v_cmp_gt_f64_e32 vcc_lo, 0, v[196:197]
	v_cmp_gt_f64_e64 s0, 0, v[194:195]
	ds_read2_b64 v[209:212], v203 offset1:1
	v_xor_b32_e32 v214, 0x80000000, v195
	v_xor_b32_e32 v216, 0x80000000, v197
	v_mov_b32_e32 v213, v194
	v_mov_b32_e32 v215, v196
	v_add_nc_u32_e32 v203, 16, v203
	s_waitcnt lgkmcnt(0)
	v_xor_b32_e32 v218, 0x80000000, v212
	v_cndmask_b32_e64 v214, v195, v214, s0
	v_cndmask_b32_e32 v216, v197, v216, vcc_lo
	v_cmp_gt_f64_e32 vcc_lo, 0, v[211:212]
	v_cmp_gt_f64_e64 s0, 0, v[209:210]
	v_mov_b32_e32 v217, v211
	v_add_f64 v[213:214], v[213:214], v[215:216]
	v_xor_b32_e32 v216, 0x80000000, v210
	v_mov_b32_e32 v215, v209
	v_cndmask_b32_e32 v218, v212, v218, vcc_lo
	v_cndmask_b32_e64 v216, v210, v216, s0
	v_add_f64 v[215:216], v[215:216], v[217:218]
	v_cmp_lt_f64_e32 vcc_lo, v[213:214], v[215:216]
	v_cndmask_b32_e32 v195, v195, v210, vcc_lo
	v_cndmask_b32_e32 v194, v194, v209, vcc_lo
	;; [unrolled: 1-line block ×4, first 2 shown]
	v_cndmask_b32_e64 v202, v202, s7, vcc_lo
	s_add_i32 s7, s7, 1
	s_cmp_lg_u32 s1, s7
	s_cbranch_scc1 .LBB94_253
.LBB94_254:
	s_inst_prefetch 0x2
	s_waitcnt lgkmcnt(0)
	v_cmp_eq_f64_e32 vcc_lo, 0, v[194:195]
	v_cmp_eq_f64_e64 s0, 0, v[196:197]
	s_and_b32 s0, vcc_lo, s0
	s_and_saveexec_b32 s7, s0
	s_xor_b32 s0, exec_lo, s7
; %bb.255:
	v_cmp_ne_u32_e32 vcc_lo, 0, v207
	v_cndmask_b32_e32 v207, 13, v207, vcc_lo
; %bb.256:
	s_andn2_saveexec_b32 s0, s0
	s_cbranch_execz .LBB94_262
; %bb.257:
	v_cmp_ngt_f64_e64 s7, |v[194:195]|, |v[196:197]|
	s_and_saveexec_b32 s8, s7
	s_xor_b32 s7, exec_lo, s8
	s_cbranch_execz .LBB94_259
; %bb.258:
	v_div_scale_f64 v[209:210], null, v[196:197], v[196:197], v[194:195]
	v_div_scale_f64 v[215:216], vcc_lo, v[194:195], v[196:197], v[194:195]
	v_rcp_f64_e32 v[211:212], v[209:210]
	v_fma_f64 v[213:214], -v[209:210], v[211:212], 1.0
	v_fma_f64 v[211:212], v[211:212], v[213:214], v[211:212]
	v_fma_f64 v[213:214], -v[209:210], v[211:212], 1.0
	v_fma_f64 v[211:212], v[211:212], v[213:214], v[211:212]
	v_mul_f64 v[213:214], v[215:216], v[211:212]
	v_fma_f64 v[209:210], -v[209:210], v[213:214], v[215:216]
	v_div_fmas_f64 v[209:210], v[209:210], v[211:212], v[213:214]
	v_div_fixup_f64 v[209:210], v[209:210], v[196:197], v[194:195]
	v_fma_f64 v[194:195], v[194:195], v[209:210], v[196:197]
	v_div_scale_f64 v[196:197], null, v[194:195], v[194:195], 1.0
	v_rcp_f64_e32 v[211:212], v[196:197]
	v_fma_f64 v[213:214], -v[196:197], v[211:212], 1.0
	v_fma_f64 v[211:212], v[211:212], v[213:214], v[211:212]
	v_fma_f64 v[213:214], -v[196:197], v[211:212], 1.0
	v_fma_f64 v[211:212], v[211:212], v[213:214], v[211:212]
	v_div_scale_f64 v[213:214], vcc_lo, 1.0, v[194:195], 1.0
	v_mul_f64 v[215:216], v[213:214], v[211:212]
	v_fma_f64 v[196:197], -v[196:197], v[215:216], v[213:214]
	v_div_fmas_f64 v[196:197], v[196:197], v[211:212], v[215:216]
	v_div_fixup_f64 v[196:197], v[196:197], v[194:195], 1.0
	v_mul_f64 v[194:195], v[209:210], v[196:197]
	v_xor_b32_e32 v197, 0x80000000, v197
.LBB94_259:
	s_andn2_saveexec_b32 s7, s7
	s_cbranch_execz .LBB94_261
; %bb.260:
	v_div_scale_f64 v[209:210], null, v[194:195], v[194:195], v[196:197]
	v_div_scale_f64 v[215:216], vcc_lo, v[196:197], v[194:195], v[196:197]
	v_rcp_f64_e32 v[211:212], v[209:210]
	v_fma_f64 v[213:214], -v[209:210], v[211:212], 1.0
	v_fma_f64 v[211:212], v[211:212], v[213:214], v[211:212]
	v_fma_f64 v[213:214], -v[209:210], v[211:212], 1.0
	v_fma_f64 v[211:212], v[211:212], v[213:214], v[211:212]
	v_mul_f64 v[213:214], v[215:216], v[211:212]
	v_fma_f64 v[209:210], -v[209:210], v[213:214], v[215:216]
	v_div_fmas_f64 v[209:210], v[209:210], v[211:212], v[213:214]
	v_div_fixup_f64 v[209:210], v[209:210], v[194:195], v[196:197]
	v_fma_f64 v[194:195], v[196:197], v[209:210], v[194:195]
	v_div_scale_f64 v[196:197], null, v[194:195], v[194:195], 1.0
	v_rcp_f64_e32 v[211:212], v[196:197]
	v_fma_f64 v[213:214], -v[196:197], v[211:212], 1.0
	v_fma_f64 v[211:212], v[211:212], v[213:214], v[211:212]
	v_fma_f64 v[213:214], -v[196:197], v[211:212], 1.0
	v_fma_f64 v[211:212], v[211:212], v[213:214], v[211:212]
	v_div_scale_f64 v[213:214], vcc_lo, 1.0, v[194:195], 1.0
	v_mul_f64 v[215:216], v[213:214], v[211:212]
	v_fma_f64 v[196:197], -v[196:197], v[215:216], v[213:214]
	v_div_fmas_f64 v[196:197], v[196:197], v[211:212], v[215:216]
	v_div_fixup_f64 v[194:195], v[196:197], v[194:195], 1.0
	v_mul_f64 v[196:197], v[209:210], -v[194:195]
.LBB94_261:
	s_or_b32 exec_lo, exec_lo, s7
.LBB94_262:
	s_or_b32 exec_lo, exec_lo, s0
	s_mov_b32 s0, exec_lo
	v_cmpx_ne_u32_e64 v208, v202
	s_xor_b32 s0, exec_lo, s0
	s_cbranch_execz .LBB94_268
; %bb.263:
	s_mov_b32 s7, exec_lo
	v_cmpx_eq_u32_e32 12, v208
	s_cbranch_execz .LBB94_267
; %bb.264:
	v_cmp_ne_u32_e32 vcc_lo, 12, v202
	s_xor_b32 s8, s16, -1
	s_and_b32 s9, s8, vcc_lo
	s_and_saveexec_b32 s8, s9
	s_cbranch_execz .LBB94_266
; %bb.265:
	v_ashrrev_i32_e32 v203, 31, v202
	v_lshlrev_b64 v[208:209], 2, v[202:203]
	v_add_co_u32 v208, vcc_lo, v200, v208
	v_add_co_ci_u32_e64 v209, null, v201, v209, vcc_lo
	s_clause 0x1
	global_load_dword v0, v[208:209], off
	global_load_dword v203, v[200:201], off offset:48
	s_waitcnt vmcnt(1)
	global_store_dword v[200:201], v0, off offset:48
	s_waitcnt vmcnt(0)
	global_store_dword v[208:209], v203, off
.LBB94_266:
	s_or_b32 exec_lo, exec_lo, s8
	v_mov_b32_e32 v208, v202
	v_mov_b32_e32 v0, v202
.LBB94_267:
	s_or_b32 exec_lo, exec_lo, s7
.LBB94_268:
	s_andn2_saveexec_b32 s0, s0
	s_cbranch_execz .LBB94_270
; %bb.269:
	v_mov_b32_e32 v208, 12
	ds_write2_b64 v1, v[110:111], v[112:113] offset0:26 offset1:27
	ds_write2_b64 v1, v[118:119], v[120:121] offset0:28 offset1:29
	;; [unrolled: 1-line block ×35, first 2 shown]
.LBB94_270:
	s_or_b32 exec_lo, exec_lo, s0
	s_mov_b32 s0, exec_lo
	s_waitcnt lgkmcnt(0)
	s_waitcnt_vscnt null, 0x0
	s_barrier
	buffer_gl0_inv
	v_cmpx_lt_i32_e32 12, v208
	s_cbranch_execz .LBB94_272
; %bb.271:
	v_mul_f64 v[202:203], v[196:197], v[136:137]
	v_mul_f64 v[136:137], v[194:195], v[136:137]
	v_fma_f64 v[202:203], v[194:195], v[134:135], -v[202:203]
	v_fma_f64 v[136:137], v[196:197], v[134:135], v[136:137]
	ds_read2_b64 v[194:197], v1 offset0:26 offset1:27
	s_waitcnt lgkmcnt(0)
	v_mul_f64 v[134:135], v[196:197], v[136:137]
	v_fma_f64 v[134:135], v[194:195], v[202:203], -v[134:135]
	v_mul_f64 v[194:195], v[194:195], v[136:137]
	v_add_f64 v[110:111], v[110:111], -v[134:135]
	v_fma_f64 v[194:195], v[196:197], v[202:203], v[194:195]
	v_add_f64 v[112:113], v[112:113], -v[194:195]
	ds_read2_b64 v[194:197], v1 offset0:28 offset1:29
	s_waitcnt lgkmcnt(0)
	v_mul_f64 v[134:135], v[196:197], v[136:137]
	v_fma_f64 v[134:135], v[194:195], v[202:203], -v[134:135]
	v_mul_f64 v[194:195], v[194:195], v[136:137]
	v_add_f64 v[118:119], v[118:119], -v[134:135]
	v_fma_f64 v[194:195], v[196:197], v[202:203], v[194:195]
	v_add_f64 v[120:121], v[120:121], -v[194:195]
	;; [unrolled: 8-line block ×34, first 2 shown]
	ds_read2_b64 v[194:197], v1 offset0:94 offset1:95
	s_waitcnt lgkmcnt(0)
	v_mul_f64 v[134:135], v[196:197], v[136:137]
	v_fma_f64 v[134:135], v[194:195], v[202:203], -v[134:135]
	v_mul_f64 v[194:195], v[194:195], v[136:137]
	v_add_f64 v[2:3], v[2:3], -v[134:135]
	v_fma_f64 v[194:195], v[196:197], v[202:203], v[194:195]
	v_mov_b32_e32 v134, v202
	v_mov_b32_e32 v135, v203
	v_add_f64 v[4:5], v[4:5], -v[194:195]
.LBB94_272:
	s_or_b32 exec_lo, exec_lo, s0
	v_lshl_add_u32 v194, v208, 4, v1
	s_barrier
	buffer_gl0_inv
	v_mov_b32_e32 v202, 13
	ds_write2_b64 v194, v[110:111], v[112:113] offset1:1
	s_waitcnt lgkmcnt(0)
	s_barrier
	buffer_gl0_inv
	ds_read2_b64 v[194:197], v1 offset0:26 offset1:27
	s_cmp_lt_i32 s1, 15
	s_cbranch_scc1 .LBB94_275
; %bb.273:
	v_add3_u32 v203, v204, 0, 0xe0
	v_mov_b32_e32 v202, 13
	s_mov_b32 s7, 14
	s_inst_prefetch 0x1
	.p2align	6
.LBB94_274:                             ; =>This Inner Loop Header: Depth=1
	s_waitcnt lgkmcnt(0)
	v_cmp_gt_f64_e32 vcc_lo, 0, v[196:197]
	v_cmp_gt_f64_e64 s0, 0, v[194:195]
	ds_read2_b64 v[209:212], v203 offset1:1
	v_xor_b32_e32 v214, 0x80000000, v195
	v_xor_b32_e32 v216, 0x80000000, v197
	v_mov_b32_e32 v213, v194
	v_mov_b32_e32 v215, v196
	v_add_nc_u32_e32 v203, 16, v203
	s_waitcnt lgkmcnt(0)
	v_xor_b32_e32 v218, 0x80000000, v212
	v_cndmask_b32_e64 v214, v195, v214, s0
	v_cndmask_b32_e32 v216, v197, v216, vcc_lo
	v_cmp_gt_f64_e32 vcc_lo, 0, v[211:212]
	v_cmp_gt_f64_e64 s0, 0, v[209:210]
	v_mov_b32_e32 v217, v211
	v_add_f64 v[213:214], v[213:214], v[215:216]
	v_xor_b32_e32 v216, 0x80000000, v210
	v_mov_b32_e32 v215, v209
	v_cndmask_b32_e32 v218, v212, v218, vcc_lo
	v_cndmask_b32_e64 v216, v210, v216, s0
	v_add_f64 v[215:216], v[215:216], v[217:218]
	v_cmp_lt_f64_e32 vcc_lo, v[213:214], v[215:216]
	v_cndmask_b32_e32 v195, v195, v210, vcc_lo
	v_cndmask_b32_e32 v194, v194, v209, vcc_lo
	;; [unrolled: 1-line block ×4, first 2 shown]
	v_cndmask_b32_e64 v202, v202, s7, vcc_lo
	s_add_i32 s7, s7, 1
	s_cmp_lg_u32 s1, s7
	s_cbranch_scc1 .LBB94_274
.LBB94_275:
	s_inst_prefetch 0x2
	s_waitcnt lgkmcnt(0)
	v_cmp_eq_f64_e32 vcc_lo, 0, v[194:195]
	v_cmp_eq_f64_e64 s0, 0, v[196:197]
	s_and_b32 s0, vcc_lo, s0
	s_and_saveexec_b32 s7, s0
	s_xor_b32 s0, exec_lo, s7
; %bb.276:
	v_cmp_ne_u32_e32 vcc_lo, 0, v207
	v_cndmask_b32_e32 v207, 14, v207, vcc_lo
; %bb.277:
	s_andn2_saveexec_b32 s0, s0
	s_cbranch_execz .LBB94_283
; %bb.278:
	v_cmp_ngt_f64_e64 s7, |v[194:195]|, |v[196:197]|
	s_and_saveexec_b32 s8, s7
	s_xor_b32 s7, exec_lo, s8
	s_cbranch_execz .LBB94_280
; %bb.279:
	v_div_scale_f64 v[209:210], null, v[196:197], v[196:197], v[194:195]
	v_div_scale_f64 v[215:216], vcc_lo, v[194:195], v[196:197], v[194:195]
	v_rcp_f64_e32 v[211:212], v[209:210]
	v_fma_f64 v[213:214], -v[209:210], v[211:212], 1.0
	v_fma_f64 v[211:212], v[211:212], v[213:214], v[211:212]
	v_fma_f64 v[213:214], -v[209:210], v[211:212], 1.0
	v_fma_f64 v[211:212], v[211:212], v[213:214], v[211:212]
	v_mul_f64 v[213:214], v[215:216], v[211:212]
	v_fma_f64 v[209:210], -v[209:210], v[213:214], v[215:216]
	v_div_fmas_f64 v[209:210], v[209:210], v[211:212], v[213:214]
	v_div_fixup_f64 v[209:210], v[209:210], v[196:197], v[194:195]
	v_fma_f64 v[194:195], v[194:195], v[209:210], v[196:197]
	v_div_scale_f64 v[196:197], null, v[194:195], v[194:195], 1.0
	v_rcp_f64_e32 v[211:212], v[196:197]
	v_fma_f64 v[213:214], -v[196:197], v[211:212], 1.0
	v_fma_f64 v[211:212], v[211:212], v[213:214], v[211:212]
	v_fma_f64 v[213:214], -v[196:197], v[211:212], 1.0
	v_fma_f64 v[211:212], v[211:212], v[213:214], v[211:212]
	v_div_scale_f64 v[213:214], vcc_lo, 1.0, v[194:195], 1.0
	v_mul_f64 v[215:216], v[213:214], v[211:212]
	v_fma_f64 v[196:197], -v[196:197], v[215:216], v[213:214]
	v_div_fmas_f64 v[196:197], v[196:197], v[211:212], v[215:216]
	v_div_fixup_f64 v[196:197], v[196:197], v[194:195], 1.0
	v_mul_f64 v[194:195], v[209:210], v[196:197]
	v_xor_b32_e32 v197, 0x80000000, v197
.LBB94_280:
	s_andn2_saveexec_b32 s7, s7
	s_cbranch_execz .LBB94_282
; %bb.281:
	v_div_scale_f64 v[209:210], null, v[194:195], v[194:195], v[196:197]
	v_div_scale_f64 v[215:216], vcc_lo, v[196:197], v[194:195], v[196:197]
	v_rcp_f64_e32 v[211:212], v[209:210]
	v_fma_f64 v[213:214], -v[209:210], v[211:212], 1.0
	v_fma_f64 v[211:212], v[211:212], v[213:214], v[211:212]
	v_fma_f64 v[213:214], -v[209:210], v[211:212], 1.0
	v_fma_f64 v[211:212], v[211:212], v[213:214], v[211:212]
	v_mul_f64 v[213:214], v[215:216], v[211:212]
	v_fma_f64 v[209:210], -v[209:210], v[213:214], v[215:216]
	v_div_fmas_f64 v[209:210], v[209:210], v[211:212], v[213:214]
	v_div_fixup_f64 v[209:210], v[209:210], v[194:195], v[196:197]
	v_fma_f64 v[194:195], v[196:197], v[209:210], v[194:195]
	v_div_scale_f64 v[196:197], null, v[194:195], v[194:195], 1.0
	v_rcp_f64_e32 v[211:212], v[196:197]
	v_fma_f64 v[213:214], -v[196:197], v[211:212], 1.0
	v_fma_f64 v[211:212], v[211:212], v[213:214], v[211:212]
	v_fma_f64 v[213:214], -v[196:197], v[211:212], 1.0
	v_fma_f64 v[211:212], v[211:212], v[213:214], v[211:212]
	v_div_scale_f64 v[213:214], vcc_lo, 1.0, v[194:195], 1.0
	v_mul_f64 v[215:216], v[213:214], v[211:212]
	v_fma_f64 v[196:197], -v[196:197], v[215:216], v[213:214]
	v_div_fmas_f64 v[196:197], v[196:197], v[211:212], v[215:216]
	v_div_fixup_f64 v[194:195], v[196:197], v[194:195], 1.0
	v_mul_f64 v[196:197], v[209:210], -v[194:195]
.LBB94_282:
	s_or_b32 exec_lo, exec_lo, s7
.LBB94_283:
	s_or_b32 exec_lo, exec_lo, s0
	s_mov_b32 s0, exec_lo
	v_cmpx_ne_u32_e64 v208, v202
	s_xor_b32 s0, exec_lo, s0
	s_cbranch_execz .LBB94_289
; %bb.284:
	s_mov_b32 s7, exec_lo
	v_cmpx_eq_u32_e32 13, v208
	s_cbranch_execz .LBB94_288
; %bb.285:
	v_cmp_ne_u32_e32 vcc_lo, 13, v202
	s_xor_b32 s8, s16, -1
	s_and_b32 s9, s8, vcc_lo
	s_and_saveexec_b32 s8, s9
	s_cbranch_execz .LBB94_287
; %bb.286:
	v_ashrrev_i32_e32 v203, 31, v202
	v_lshlrev_b64 v[208:209], 2, v[202:203]
	v_add_co_u32 v208, vcc_lo, v200, v208
	v_add_co_ci_u32_e64 v209, null, v201, v209, vcc_lo
	s_clause 0x1
	global_load_dword v0, v[208:209], off
	global_load_dword v203, v[200:201], off offset:52
	s_waitcnt vmcnt(1)
	global_store_dword v[200:201], v0, off offset:52
	s_waitcnt vmcnt(0)
	global_store_dword v[208:209], v203, off
.LBB94_287:
	s_or_b32 exec_lo, exec_lo, s8
	v_mov_b32_e32 v208, v202
	v_mov_b32_e32 v0, v202
.LBB94_288:
	s_or_b32 exec_lo, exec_lo, s7
.LBB94_289:
	s_andn2_saveexec_b32 s0, s0
	s_cbranch_execz .LBB94_291
; %bb.290:
	v_mov_b32_e32 v208, 13
	ds_write2_b64 v1, v[118:119], v[120:121] offset0:28 offset1:29
	ds_write2_b64 v1, v[114:115], v[116:117] offset0:30 offset1:31
	;; [unrolled: 1-line block ×34, first 2 shown]
.LBB94_291:
	s_or_b32 exec_lo, exec_lo, s0
	s_mov_b32 s0, exec_lo
	s_waitcnt lgkmcnt(0)
	s_waitcnt_vscnt null, 0x0
	s_barrier
	buffer_gl0_inv
	v_cmpx_lt_i32_e32 13, v208
	s_cbranch_execz .LBB94_293
; %bb.292:
	v_mul_f64 v[202:203], v[196:197], v[112:113]
	v_mul_f64 v[112:113], v[194:195], v[112:113]
	v_fma_f64 v[202:203], v[194:195], v[110:111], -v[202:203]
	v_fma_f64 v[112:113], v[196:197], v[110:111], v[112:113]
	ds_read2_b64 v[194:197], v1 offset0:28 offset1:29
	s_waitcnt lgkmcnt(0)
	v_mul_f64 v[110:111], v[196:197], v[112:113]
	v_fma_f64 v[110:111], v[194:195], v[202:203], -v[110:111]
	v_mul_f64 v[194:195], v[194:195], v[112:113]
	v_add_f64 v[118:119], v[118:119], -v[110:111]
	v_fma_f64 v[194:195], v[196:197], v[202:203], v[194:195]
	v_add_f64 v[120:121], v[120:121], -v[194:195]
	ds_read2_b64 v[194:197], v1 offset0:30 offset1:31
	s_waitcnt lgkmcnt(0)
	v_mul_f64 v[110:111], v[196:197], v[112:113]
	v_fma_f64 v[110:111], v[194:195], v[202:203], -v[110:111]
	v_mul_f64 v[194:195], v[194:195], v[112:113]
	v_add_f64 v[114:115], v[114:115], -v[110:111]
	v_fma_f64 v[194:195], v[196:197], v[202:203], v[194:195]
	v_add_f64 v[116:117], v[116:117], -v[194:195]
	;; [unrolled: 8-line block ×33, first 2 shown]
	ds_read2_b64 v[194:197], v1 offset0:94 offset1:95
	s_waitcnt lgkmcnt(0)
	v_mul_f64 v[110:111], v[196:197], v[112:113]
	v_fma_f64 v[110:111], v[194:195], v[202:203], -v[110:111]
	v_mul_f64 v[194:195], v[194:195], v[112:113]
	v_add_f64 v[2:3], v[2:3], -v[110:111]
	v_fma_f64 v[194:195], v[196:197], v[202:203], v[194:195]
	v_mov_b32_e32 v110, v202
	v_mov_b32_e32 v111, v203
	v_add_f64 v[4:5], v[4:5], -v[194:195]
.LBB94_293:
	s_or_b32 exec_lo, exec_lo, s0
	v_lshl_add_u32 v194, v208, 4, v1
	s_barrier
	buffer_gl0_inv
	v_mov_b32_e32 v202, 14
	ds_write2_b64 v194, v[118:119], v[120:121] offset1:1
	s_waitcnt lgkmcnt(0)
	s_barrier
	buffer_gl0_inv
	ds_read2_b64 v[194:197], v1 offset0:28 offset1:29
	s_cmp_lt_i32 s1, 16
	s_cbranch_scc1 .LBB94_296
; %bb.294:
	v_add3_u32 v203, v204, 0, 0xf0
	v_mov_b32_e32 v202, 14
	s_mov_b32 s7, 15
	s_inst_prefetch 0x1
	.p2align	6
.LBB94_295:                             ; =>This Inner Loop Header: Depth=1
	s_waitcnt lgkmcnt(0)
	v_cmp_gt_f64_e32 vcc_lo, 0, v[196:197]
	v_cmp_gt_f64_e64 s0, 0, v[194:195]
	ds_read2_b64 v[209:212], v203 offset1:1
	v_xor_b32_e32 v214, 0x80000000, v195
	v_xor_b32_e32 v216, 0x80000000, v197
	v_mov_b32_e32 v213, v194
	v_mov_b32_e32 v215, v196
	v_add_nc_u32_e32 v203, 16, v203
	s_waitcnt lgkmcnt(0)
	v_xor_b32_e32 v218, 0x80000000, v212
	v_cndmask_b32_e64 v214, v195, v214, s0
	v_cndmask_b32_e32 v216, v197, v216, vcc_lo
	v_cmp_gt_f64_e32 vcc_lo, 0, v[211:212]
	v_cmp_gt_f64_e64 s0, 0, v[209:210]
	v_mov_b32_e32 v217, v211
	v_add_f64 v[213:214], v[213:214], v[215:216]
	v_xor_b32_e32 v216, 0x80000000, v210
	v_mov_b32_e32 v215, v209
	v_cndmask_b32_e32 v218, v212, v218, vcc_lo
	v_cndmask_b32_e64 v216, v210, v216, s0
	v_add_f64 v[215:216], v[215:216], v[217:218]
	v_cmp_lt_f64_e32 vcc_lo, v[213:214], v[215:216]
	v_cndmask_b32_e32 v195, v195, v210, vcc_lo
	v_cndmask_b32_e32 v194, v194, v209, vcc_lo
	;; [unrolled: 1-line block ×4, first 2 shown]
	v_cndmask_b32_e64 v202, v202, s7, vcc_lo
	s_add_i32 s7, s7, 1
	s_cmp_lg_u32 s1, s7
	s_cbranch_scc1 .LBB94_295
.LBB94_296:
	s_inst_prefetch 0x2
	s_waitcnt lgkmcnt(0)
	v_cmp_eq_f64_e32 vcc_lo, 0, v[194:195]
	v_cmp_eq_f64_e64 s0, 0, v[196:197]
	s_and_b32 s0, vcc_lo, s0
	s_and_saveexec_b32 s7, s0
	s_xor_b32 s0, exec_lo, s7
; %bb.297:
	v_cmp_ne_u32_e32 vcc_lo, 0, v207
	v_cndmask_b32_e32 v207, 15, v207, vcc_lo
; %bb.298:
	s_andn2_saveexec_b32 s0, s0
	s_cbranch_execz .LBB94_304
; %bb.299:
	v_cmp_ngt_f64_e64 s7, |v[194:195]|, |v[196:197]|
	s_and_saveexec_b32 s8, s7
	s_xor_b32 s7, exec_lo, s8
	s_cbranch_execz .LBB94_301
; %bb.300:
	v_div_scale_f64 v[209:210], null, v[196:197], v[196:197], v[194:195]
	v_div_scale_f64 v[215:216], vcc_lo, v[194:195], v[196:197], v[194:195]
	v_rcp_f64_e32 v[211:212], v[209:210]
	v_fma_f64 v[213:214], -v[209:210], v[211:212], 1.0
	v_fma_f64 v[211:212], v[211:212], v[213:214], v[211:212]
	v_fma_f64 v[213:214], -v[209:210], v[211:212], 1.0
	v_fma_f64 v[211:212], v[211:212], v[213:214], v[211:212]
	v_mul_f64 v[213:214], v[215:216], v[211:212]
	v_fma_f64 v[209:210], -v[209:210], v[213:214], v[215:216]
	v_div_fmas_f64 v[209:210], v[209:210], v[211:212], v[213:214]
	v_div_fixup_f64 v[209:210], v[209:210], v[196:197], v[194:195]
	v_fma_f64 v[194:195], v[194:195], v[209:210], v[196:197]
	v_div_scale_f64 v[196:197], null, v[194:195], v[194:195], 1.0
	v_rcp_f64_e32 v[211:212], v[196:197]
	v_fma_f64 v[213:214], -v[196:197], v[211:212], 1.0
	v_fma_f64 v[211:212], v[211:212], v[213:214], v[211:212]
	v_fma_f64 v[213:214], -v[196:197], v[211:212], 1.0
	v_fma_f64 v[211:212], v[211:212], v[213:214], v[211:212]
	v_div_scale_f64 v[213:214], vcc_lo, 1.0, v[194:195], 1.0
	v_mul_f64 v[215:216], v[213:214], v[211:212]
	v_fma_f64 v[196:197], -v[196:197], v[215:216], v[213:214]
	v_div_fmas_f64 v[196:197], v[196:197], v[211:212], v[215:216]
	v_div_fixup_f64 v[196:197], v[196:197], v[194:195], 1.0
	v_mul_f64 v[194:195], v[209:210], v[196:197]
	v_xor_b32_e32 v197, 0x80000000, v197
.LBB94_301:
	s_andn2_saveexec_b32 s7, s7
	s_cbranch_execz .LBB94_303
; %bb.302:
	v_div_scale_f64 v[209:210], null, v[194:195], v[194:195], v[196:197]
	v_div_scale_f64 v[215:216], vcc_lo, v[196:197], v[194:195], v[196:197]
	v_rcp_f64_e32 v[211:212], v[209:210]
	v_fma_f64 v[213:214], -v[209:210], v[211:212], 1.0
	v_fma_f64 v[211:212], v[211:212], v[213:214], v[211:212]
	v_fma_f64 v[213:214], -v[209:210], v[211:212], 1.0
	v_fma_f64 v[211:212], v[211:212], v[213:214], v[211:212]
	v_mul_f64 v[213:214], v[215:216], v[211:212]
	v_fma_f64 v[209:210], -v[209:210], v[213:214], v[215:216]
	v_div_fmas_f64 v[209:210], v[209:210], v[211:212], v[213:214]
	v_div_fixup_f64 v[209:210], v[209:210], v[194:195], v[196:197]
	v_fma_f64 v[194:195], v[196:197], v[209:210], v[194:195]
	v_div_scale_f64 v[196:197], null, v[194:195], v[194:195], 1.0
	v_rcp_f64_e32 v[211:212], v[196:197]
	v_fma_f64 v[213:214], -v[196:197], v[211:212], 1.0
	v_fma_f64 v[211:212], v[211:212], v[213:214], v[211:212]
	v_fma_f64 v[213:214], -v[196:197], v[211:212], 1.0
	v_fma_f64 v[211:212], v[211:212], v[213:214], v[211:212]
	v_div_scale_f64 v[213:214], vcc_lo, 1.0, v[194:195], 1.0
	v_mul_f64 v[215:216], v[213:214], v[211:212]
	v_fma_f64 v[196:197], -v[196:197], v[215:216], v[213:214]
	v_div_fmas_f64 v[196:197], v[196:197], v[211:212], v[215:216]
	v_div_fixup_f64 v[194:195], v[196:197], v[194:195], 1.0
	v_mul_f64 v[196:197], v[209:210], -v[194:195]
.LBB94_303:
	s_or_b32 exec_lo, exec_lo, s7
.LBB94_304:
	s_or_b32 exec_lo, exec_lo, s0
	s_mov_b32 s0, exec_lo
	v_cmpx_ne_u32_e64 v208, v202
	s_xor_b32 s0, exec_lo, s0
	s_cbranch_execz .LBB94_310
; %bb.305:
	s_mov_b32 s7, exec_lo
	v_cmpx_eq_u32_e32 14, v208
	s_cbranch_execz .LBB94_309
; %bb.306:
	v_cmp_ne_u32_e32 vcc_lo, 14, v202
	s_xor_b32 s8, s16, -1
	s_and_b32 s9, s8, vcc_lo
	s_and_saveexec_b32 s8, s9
	s_cbranch_execz .LBB94_308
; %bb.307:
	v_ashrrev_i32_e32 v203, 31, v202
	v_lshlrev_b64 v[208:209], 2, v[202:203]
	v_add_co_u32 v208, vcc_lo, v200, v208
	v_add_co_ci_u32_e64 v209, null, v201, v209, vcc_lo
	s_clause 0x1
	global_load_dword v0, v[208:209], off
	global_load_dword v203, v[200:201], off offset:56
	s_waitcnt vmcnt(1)
	global_store_dword v[200:201], v0, off offset:56
	s_waitcnt vmcnt(0)
	global_store_dword v[208:209], v203, off
.LBB94_308:
	s_or_b32 exec_lo, exec_lo, s8
	v_mov_b32_e32 v208, v202
	v_mov_b32_e32 v0, v202
.LBB94_309:
	s_or_b32 exec_lo, exec_lo, s7
.LBB94_310:
	s_andn2_saveexec_b32 s0, s0
	s_cbranch_execz .LBB94_312
; %bb.311:
	v_mov_b32_e32 v208, 14
	ds_write2_b64 v1, v[114:115], v[116:117] offset0:30 offset1:31
	ds_write2_b64 v1, v[94:95], v[96:97] offset0:32 offset1:33
	;; [unrolled: 1-line block ×33, first 2 shown]
.LBB94_312:
	s_or_b32 exec_lo, exec_lo, s0
	s_mov_b32 s0, exec_lo
	s_waitcnt lgkmcnt(0)
	s_waitcnt_vscnt null, 0x0
	s_barrier
	buffer_gl0_inv
	v_cmpx_lt_i32_e32 14, v208
	s_cbranch_execz .LBB94_314
; %bb.313:
	v_mul_f64 v[202:203], v[196:197], v[120:121]
	v_mul_f64 v[120:121], v[194:195], v[120:121]
	v_fma_f64 v[202:203], v[194:195], v[118:119], -v[202:203]
	v_fma_f64 v[120:121], v[196:197], v[118:119], v[120:121]
	ds_read2_b64 v[194:197], v1 offset0:30 offset1:31
	s_waitcnt lgkmcnt(0)
	v_mul_f64 v[118:119], v[196:197], v[120:121]
	v_fma_f64 v[118:119], v[194:195], v[202:203], -v[118:119]
	v_mul_f64 v[194:195], v[194:195], v[120:121]
	v_add_f64 v[114:115], v[114:115], -v[118:119]
	v_fma_f64 v[194:195], v[196:197], v[202:203], v[194:195]
	v_add_f64 v[116:117], v[116:117], -v[194:195]
	ds_read2_b64 v[194:197], v1 offset0:32 offset1:33
	s_waitcnt lgkmcnt(0)
	v_mul_f64 v[118:119], v[196:197], v[120:121]
	v_fma_f64 v[118:119], v[194:195], v[202:203], -v[118:119]
	v_mul_f64 v[194:195], v[194:195], v[120:121]
	v_add_f64 v[94:95], v[94:95], -v[118:119]
	v_fma_f64 v[194:195], v[196:197], v[202:203], v[194:195]
	v_add_f64 v[96:97], v[96:97], -v[194:195]
	;; [unrolled: 8-line block ×32, first 2 shown]
	ds_read2_b64 v[194:197], v1 offset0:94 offset1:95
	s_waitcnt lgkmcnt(0)
	v_mul_f64 v[118:119], v[196:197], v[120:121]
	v_fma_f64 v[118:119], v[194:195], v[202:203], -v[118:119]
	v_mul_f64 v[194:195], v[194:195], v[120:121]
	v_add_f64 v[2:3], v[2:3], -v[118:119]
	v_fma_f64 v[194:195], v[196:197], v[202:203], v[194:195]
	v_mov_b32_e32 v118, v202
	v_mov_b32_e32 v119, v203
	v_add_f64 v[4:5], v[4:5], -v[194:195]
.LBB94_314:
	s_or_b32 exec_lo, exec_lo, s0
	v_lshl_add_u32 v194, v208, 4, v1
	s_barrier
	buffer_gl0_inv
	v_mov_b32_e32 v202, 15
	ds_write2_b64 v194, v[114:115], v[116:117] offset1:1
	s_waitcnt lgkmcnt(0)
	s_barrier
	buffer_gl0_inv
	ds_read2_b64 v[194:197], v1 offset0:30 offset1:31
	s_cmp_lt_i32 s1, 17
	s_cbranch_scc1 .LBB94_317
; %bb.315:
	v_add3_u32 v203, v204, 0, 0x100
	v_mov_b32_e32 v202, 15
	s_mov_b32 s7, 16
	s_inst_prefetch 0x1
	.p2align	6
.LBB94_316:                             ; =>This Inner Loop Header: Depth=1
	s_waitcnt lgkmcnt(0)
	v_cmp_gt_f64_e32 vcc_lo, 0, v[196:197]
	v_cmp_gt_f64_e64 s0, 0, v[194:195]
	ds_read2_b64 v[209:212], v203 offset1:1
	v_xor_b32_e32 v214, 0x80000000, v195
	v_xor_b32_e32 v216, 0x80000000, v197
	v_mov_b32_e32 v213, v194
	v_mov_b32_e32 v215, v196
	v_add_nc_u32_e32 v203, 16, v203
	s_waitcnt lgkmcnt(0)
	v_xor_b32_e32 v218, 0x80000000, v212
	v_cndmask_b32_e64 v214, v195, v214, s0
	v_cndmask_b32_e32 v216, v197, v216, vcc_lo
	v_cmp_gt_f64_e32 vcc_lo, 0, v[211:212]
	v_cmp_gt_f64_e64 s0, 0, v[209:210]
	v_mov_b32_e32 v217, v211
	v_add_f64 v[213:214], v[213:214], v[215:216]
	v_xor_b32_e32 v216, 0x80000000, v210
	v_mov_b32_e32 v215, v209
	v_cndmask_b32_e32 v218, v212, v218, vcc_lo
	v_cndmask_b32_e64 v216, v210, v216, s0
	v_add_f64 v[215:216], v[215:216], v[217:218]
	v_cmp_lt_f64_e32 vcc_lo, v[213:214], v[215:216]
	v_cndmask_b32_e32 v195, v195, v210, vcc_lo
	v_cndmask_b32_e32 v194, v194, v209, vcc_lo
	;; [unrolled: 1-line block ×4, first 2 shown]
	v_cndmask_b32_e64 v202, v202, s7, vcc_lo
	s_add_i32 s7, s7, 1
	s_cmp_lg_u32 s1, s7
	s_cbranch_scc1 .LBB94_316
.LBB94_317:
	s_inst_prefetch 0x2
	s_waitcnt lgkmcnt(0)
	v_cmp_eq_f64_e32 vcc_lo, 0, v[194:195]
	v_cmp_eq_f64_e64 s0, 0, v[196:197]
	s_and_b32 s0, vcc_lo, s0
	s_and_saveexec_b32 s7, s0
	s_xor_b32 s0, exec_lo, s7
; %bb.318:
	v_cmp_ne_u32_e32 vcc_lo, 0, v207
	v_cndmask_b32_e32 v207, 16, v207, vcc_lo
; %bb.319:
	s_andn2_saveexec_b32 s0, s0
	s_cbranch_execz .LBB94_325
; %bb.320:
	v_cmp_ngt_f64_e64 s7, |v[194:195]|, |v[196:197]|
	s_and_saveexec_b32 s8, s7
	s_xor_b32 s7, exec_lo, s8
	s_cbranch_execz .LBB94_322
; %bb.321:
	v_div_scale_f64 v[209:210], null, v[196:197], v[196:197], v[194:195]
	v_div_scale_f64 v[215:216], vcc_lo, v[194:195], v[196:197], v[194:195]
	v_rcp_f64_e32 v[211:212], v[209:210]
	v_fma_f64 v[213:214], -v[209:210], v[211:212], 1.0
	v_fma_f64 v[211:212], v[211:212], v[213:214], v[211:212]
	v_fma_f64 v[213:214], -v[209:210], v[211:212], 1.0
	v_fma_f64 v[211:212], v[211:212], v[213:214], v[211:212]
	v_mul_f64 v[213:214], v[215:216], v[211:212]
	v_fma_f64 v[209:210], -v[209:210], v[213:214], v[215:216]
	v_div_fmas_f64 v[209:210], v[209:210], v[211:212], v[213:214]
	v_div_fixup_f64 v[209:210], v[209:210], v[196:197], v[194:195]
	v_fma_f64 v[194:195], v[194:195], v[209:210], v[196:197]
	v_div_scale_f64 v[196:197], null, v[194:195], v[194:195], 1.0
	v_rcp_f64_e32 v[211:212], v[196:197]
	v_fma_f64 v[213:214], -v[196:197], v[211:212], 1.0
	v_fma_f64 v[211:212], v[211:212], v[213:214], v[211:212]
	v_fma_f64 v[213:214], -v[196:197], v[211:212], 1.0
	v_fma_f64 v[211:212], v[211:212], v[213:214], v[211:212]
	v_div_scale_f64 v[213:214], vcc_lo, 1.0, v[194:195], 1.0
	v_mul_f64 v[215:216], v[213:214], v[211:212]
	v_fma_f64 v[196:197], -v[196:197], v[215:216], v[213:214]
	v_div_fmas_f64 v[196:197], v[196:197], v[211:212], v[215:216]
	v_div_fixup_f64 v[196:197], v[196:197], v[194:195], 1.0
	v_mul_f64 v[194:195], v[209:210], v[196:197]
	v_xor_b32_e32 v197, 0x80000000, v197
.LBB94_322:
	s_andn2_saveexec_b32 s7, s7
	s_cbranch_execz .LBB94_324
; %bb.323:
	v_div_scale_f64 v[209:210], null, v[194:195], v[194:195], v[196:197]
	v_div_scale_f64 v[215:216], vcc_lo, v[196:197], v[194:195], v[196:197]
	v_rcp_f64_e32 v[211:212], v[209:210]
	v_fma_f64 v[213:214], -v[209:210], v[211:212], 1.0
	v_fma_f64 v[211:212], v[211:212], v[213:214], v[211:212]
	v_fma_f64 v[213:214], -v[209:210], v[211:212], 1.0
	v_fma_f64 v[211:212], v[211:212], v[213:214], v[211:212]
	v_mul_f64 v[213:214], v[215:216], v[211:212]
	v_fma_f64 v[209:210], -v[209:210], v[213:214], v[215:216]
	v_div_fmas_f64 v[209:210], v[209:210], v[211:212], v[213:214]
	v_div_fixup_f64 v[209:210], v[209:210], v[194:195], v[196:197]
	v_fma_f64 v[194:195], v[196:197], v[209:210], v[194:195]
	v_div_scale_f64 v[196:197], null, v[194:195], v[194:195], 1.0
	v_rcp_f64_e32 v[211:212], v[196:197]
	v_fma_f64 v[213:214], -v[196:197], v[211:212], 1.0
	v_fma_f64 v[211:212], v[211:212], v[213:214], v[211:212]
	v_fma_f64 v[213:214], -v[196:197], v[211:212], 1.0
	v_fma_f64 v[211:212], v[211:212], v[213:214], v[211:212]
	v_div_scale_f64 v[213:214], vcc_lo, 1.0, v[194:195], 1.0
	v_mul_f64 v[215:216], v[213:214], v[211:212]
	v_fma_f64 v[196:197], -v[196:197], v[215:216], v[213:214]
	v_div_fmas_f64 v[196:197], v[196:197], v[211:212], v[215:216]
	v_div_fixup_f64 v[194:195], v[196:197], v[194:195], 1.0
	v_mul_f64 v[196:197], v[209:210], -v[194:195]
.LBB94_324:
	s_or_b32 exec_lo, exec_lo, s7
.LBB94_325:
	s_or_b32 exec_lo, exec_lo, s0
	s_mov_b32 s0, exec_lo
	v_cmpx_ne_u32_e64 v208, v202
	s_xor_b32 s0, exec_lo, s0
	s_cbranch_execz .LBB94_331
; %bb.326:
	s_mov_b32 s7, exec_lo
	v_cmpx_eq_u32_e32 15, v208
	s_cbranch_execz .LBB94_330
; %bb.327:
	v_cmp_ne_u32_e32 vcc_lo, 15, v202
	s_xor_b32 s8, s16, -1
	s_and_b32 s9, s8, vcc_lo
	s_and_saveexec_b32 s8, s9
	s_cbranch_execz .LBB94_329
; %bb.328:
	v_ashrrev_i32_e32 v203, 31, v202
	v_lshlrev_b64 v[208:209], 2, v[202:203]
	v_add_co_u32 v208, vcc_lo, v200, v208
	v_add_co_ci_u32_e64 v209, null, v201, v209, vcc_lo
	s_clause 0x1
	global_load_dword v0, v[208:209], off
	global_load_dword v203, v[200:201], off offset:60
	s_waitcnt vmcnt(1)
	global_store_dword v[200:201], v0, off offset:60
	s_waitcnt vmcnt(0)
	global_store_dword v[208:209], v203, off
.LBB94_329:
	s_or_b32 exec_lo, exec_lo, s8
	v_mov_b32_e32 v208, v202
	v_mov_b32_e32 v0, v202
.LBB94_330:
	s_or_b32 exec_lo, exec_lo, s7
.LBB94_331:
	s_andn2_saveexec_b32 s0, s0
	s_cbranch_execz .LBB94_333
; %bb.332:
	v_mov_b32_e32 v208, 15
	ds_write2_b64 v1, v[94:95], v[96:97] offset0:32 offset1:33
	ds_write2_b64 v1, v[90:91], v[92:93] offset0:34 offset1:35
	;; [unrolled: 1-line block ×32, first 2 shown]
.LBB94_333:
	s_or_b32 exec_lo, exec_lo, s0
	s_mov_b32 s0, exec_lo
	s_waitcnt lgkmcnt(0)
	s_waitcnt_vscnt null, 0x0
	s_barrier
	buffer_gl0_inv
	v_cmpx_lt_i32_e32 15, v208
	s_cbranch_execz .LBB94_335
; %bb.334:
	v_mul_f64 v[202:203], v[196:197], v[116:117]
	v_mul_f64 v[116:117], v[194:195], v[116:117]
	v_fma_f64 v[202:203], v[194:195], v[114:115], -v[202:203]
	v_fma_f64 v[116:117], v[196:197], v[114:115], v[116:117]
	ds_read2_b64 v[194:197], v1 offset0:32 offset1:33
	s_waitcnt lgkmcnt(0)
	v_mul_f64 v[114:115], v[196:197], v[116:117]
	v_fma_f64 v[114:115], v[194:195], v[202:203], -v[114:115]
	v_mul_f64 v[194:195], v[194:195], v[116:117]
	v_add_f64 v[94:95], v[94:95], -v[114:115]
	v_fma_f64 v[194:195], v[196:197], v[202:203], v[194:195]
	v_add_f64 v[96:97], v[96:97], -v[194:195]
	ds_read2_b64 v[194:197], v1 offset0:34 offset1:35
	s_waitcnt lgkmcnt(0)
	v_mul_f64 v[114:115], v[196:197], v[116:117]
	v_fma_f64 v[114:115], v[194:195], v[202:203], -v[114:115]
	v_mul_f64 v[194:195], v[194:195], v[116:117]
	v_add_f64 v[90:91], v[90:91], -v[114:115]
	v_fma_f64 v[194:195], v[196:197], v[202:203], v[194:195]
	v_add_f64 v[92:93], v[92:93], -v[194:195]
	;; [unrolled: 8-line block ×31, first 2 shown]
	ds_read2_b64 v[194:197], v1 offset0:94 offset1:95
	s_waitcnt lgkmcnt(0)
	v_mul_f64 v[114:115], v[196:197], v[116:117]
	v_fma_f64 v[114:115], v[194:195], v[202:203], -v[114:115]
	v_mul_f64 v[194:195], v[194:195], v[116:117]
	v_add_f64 v[2:3], v[2:3], -v[114:115]
	v_fma_f64 v[194:195], v[196:197], v[202:203], v[194:195]
	v_mov_b32_e32 v114, v202
	v_mov_b32_e32 v115, v203
	v_add_f64 v[4:5], v[4:5], -v[194:195]
.LBB94_335:
	s_or_b32 exec_lo, exec_lo, s0
	v_lshl_add_u32 v194, v208, 4, v1
	s_barrier
	buffer_gl0_inv
	v_mov_b32_e32 v202, 16
	ds_write2_b64 v194, v[94:95], v[96:97] offset1:1
	s_waitcnt lgkmcnt(0)
	s_barrier
	buffer_gl0_inv
	ds_read2_b64 v[194:197], v1 offset0:32 offset1:33
	s_cmp_lt_i32 s1, 18
	s_cbranch_scc1 .LBB94_338
; %bb.336:
	v_add3_u32 v203, v204, 0, 0x110
	v_mov_b32_e32 v202, 16
	s_mov_b32 s7, 17
	s_inst_prefetch 0x1
	.p2align	6
.LBB94_337:                             ; =>This Inner Loop Header: Depth=1
	s_waitcnt lgkmcnt(0)
	v_cmp_gt_f64_e32 vcc_lo, 0, v[196:197]
	v_cmp_gt_f64_e64 s0, 0, v[194:195]
	ds_read2_b64 v[209:212], v203 offset1:1
	v_xor_b32_e32 v214, 0x80000000, v195
	v_xor_b32_e32 v216, 0x80000000, v197
	v_mov_b32_e32 v213, v194
	v_mov_b32_e32 v215, v196
	v_add_nc_u32_e32 v203, 16, v203
	s_waitcnt lgkmcnt(0)
	v_xor_b32_e32 v218, 0x80000000, v212
	v_cndmask_b32_e64 v214, v195, v214, s0
	v_cndmask_b32_e32 v216, v197, v216, vcc_lo
	v_cmp_gt_f64_e32 vcc_lo, 0, v[211:212]
	v_cmp_gt_f64_e64 s0, 0, v[209:210]
	v_mov_b32_e32 v217, v211
	v_add_f64 v[213:214], v[213:214], v[215:216]
	v_xor_b32_e32 v216, 0x80000000, v210
	v_mov_b32_e32 v215, v209
	v_cndmask_b32_e32 v218, v212, v218, vcc_lo
	v_cndmask_b32_e64 v216, v210, v216, s0
	v_add_f64 v[215:216], v[215:216], v[217:218]
	v_cmp_lt_f64_e32 vcc_lo, v[213:214], v[215:216]
	v_cndmask_b32_e32 v195, v195, v210, vcc_lo
	v_cndmask_b32_e32 v194, v194, v209, vcc_lo
	;; [unrolled: 1-line block ×4, first 2 shown]
	v_cndmask_b32_e64 v202, v202, s7, vcc_lo
	s_add_i32 s7, s7, 1
	s_cmp_lg_u32 s1, s7
	s_cbranch_scc1 .LBB94_337
.LBB94_338:
	s_inst_prefetch 0x2
	s_waitcnt lgkmcnt(0)
	v_cmp_eq_f64_e32 vcc_lo, 0, v[194:195]
	v_cmp_eq_f64_e64 s0, 0, v[196:197]
	s_and_b32 s0, vcc_lo, s0
	s_and_saveexec_b32 s7, s0
	s_xor_b32 s0, exec_lo, s7
; %bb.339:
	v_cmp_ne_u32_e32 vcc_lo, 0, v207
	v_cndmask_b32_e32 v207, 17, v207, vcc_lo
; %bb.340:
	s_andn2_saveexec_b32 s0, s0
	s_cbranch_execz .LBB94_346
; %bb.341:
	v_cmp_ngt_f64_e64 s7, |v[194:195]|, |v[196:197]|
	s_and_saveexec_b32 s8, s7
	s_xor_b32 s7, exec_lo, s8
	s_cbranch_execz .LBB94_343
; %bb.342:
	v_div_scale_f64 v[209:210], null, v[196:197], v[196:197], v[194:195]
	v_div_scale_f64 v[215:216], vcc_lo, v[194:195], v[196:197], v[194:195]
	v_rcp_f64_e32 v[211:212], v[209:210]
	v_fma_f64 v[213:214], -v[209:210], v[211:212], 1.0
	v_fma_f64 v[211:212], v[211:212], v[213:214], v[211:212]
	v_fma_f64 v[213:214], -v[209:210], v[211:212], 1.0
	v_fma_f64 v[211:212], v[211:212], v[213:214], v[211:212]
	v_mul_f64 v[213:214], v[215:216], v[211:212]
	v_fma_f64 v[209:210], -v[209:210], v[213:214], v[215:216]
	v_div_fmas_f64 v[209:210], v[209:210], v[211:212], v[213:214]
	v_div_fixup_f64 v[209:210], v[209:210], v[196:197], v[194:195]
	v_fma_f64 v[194:195], v[194:195], v[209:210], v[196:197]
	v_div_scale_f64 v[196:197], null, v[194:195], v[194:195], 1.0
	v_rcp_f64_e32 v[211:212], v[196:197]
	v_fma_f64 v[213:214], -v[196:197], v[211:212], 1.0
	v_fma_f64 v[211:212], v[211:212], v[213:214], v[211:212]
	v_fma_f64 v[213:214], -v[196:197], v[211:212], 1.0
	v_fma_f64 v[211:212], v[211:212], v[213:214], v[211:212]
	v_div_scale_f64 v[213:214], vcc_lo, 1.0, v[194:195], 1.0
	v_mul_f64 v[215:216], v[213:214], v[211:212]
	v_fma_f64 v[196:197], -v[196:197], v[215:216], v[213:214]
	v_div_fmas_f64 v[196:197], v[196:197], v[211:212], v[215:216]
	v_div_fixup_f64 v[196:197], v[196:197], v[194:195], 1.0
	v_mul_f64 v[194:195], v[209:210], v[196:197]
	v_xor_b32_e32 v197, 0x80000000, v197
.LBB94_343:
	s_andn2_saveexec_b32 s7, s7
	s_cbranch_execz .LBB94_345
; %bb.344:
	v_div_scale_f64 v[209:210], null, v[194:195], v[194:195], v[196:197]
	v_div_scale_f64 v[215:216], vcc_lo, v[196:197], v[194:195], v[196:197]
	v_rcp_f64_e32 v[211:212], v[209:210]
	v_fma_f64 v[213:214], -v[209:210], v[211:212], 1.0
	v_fma_f64 v[211:212], v[211:212], v[213:214], v[211:212]
	v_fma_f64 v[213:214], -v[209:210], v[211:212], 1.0
	v_fma_f64 v[211:212], v[211:212], v[213:214], v[211:212]
	v_mul_f64 v[213:214], v[215:216], v[211:212]
	v_fma_f64 v[209:210], -v[209:210], v[213:214], v[215:216]
	v_div_fmas_f64 v[209:210], v[209:210], v[211:212], v[213:214]
	v_div_fixup_f64 v[209:210], v[209:210], v[194:195], v[196:197]
	v_fma_f64 v[194:195], v[196:197], v[209:210], v[194:195]
	v_div_scale_f64 v[196:197], null, v[194:195], v[194:195], 1.0
	v_rcp_f64_e32 v[211:212], v[196:197]
	v_fma_f64 v[213:214], -v[196:197], v[211:212], 1.0
	v_fma_f64 v[211:212], v[211:212], v[213:214], v[211:212]
	v_fma_f64 v[213:214], -v[196:197], v[211:212], 1.0
	v_fma_f64 v[211:212], v[211:212], v[213:214], v[211:212]
	v_div_scale_f64 v[213:214], vcc_lo, 1.0, v[194:195], 1.0
	v_mul_f64 v[215:216], v[213:214], v[211:212]
	v_fma_f64 v[196:197], -v[196:197], v[215:216], v[213:214]
	v_div_fmas_f64 v[196:197], v[196:197], v[211:212], v[215:216]
	v_div_fixup_f64 v[194:195], v[196:197], v[194:195], 1.0
	v_mul_f64 v[196:197], v[209:210], -v[194:195]
.LBB94_345:
	s_or_b32 exec_lo, exec_lo, s7
.LBB94_346:
	s_or_b32 exec_lo, exec_lo, s0
	s_mov_b32 s0, exec_lo
	v_cmpx_ne_u32_e64 v208, v202
	s_xor_b32 s0, exec_lo, s0
	s_cbranch_execz .LBB94_352
; %bb.347:
	s_mov_b32 s7, exec_lo
	v_cmpx_eq_u32_e32 16, v208
	s_cbranch_execz .LBB94_351
; %bb.348:
	v_cmp_ne_u32_e32 vcc_lo, 16, v202
	s_xor_b32 s8, s16, -1
	s_and_b32 s9, s8, vcc_lo
	s_and_saveexec_b32 s8, s9
	s_cbranch_execz .LBB94_350
; %bb.349:
	v_ashrrev_i32_e32 v203, 31, v202
	v_lshlrev_b64 v[208:209], 2, v[202:203]
	v_add_co_u32 v208, vcc_lo, v200, v208
	v_add_co_ci_u32_e64 v209, null, v201, v209, vcc_lo
	s_clause 0x1
	global_load_dword v0, v[208:209], off
	global_load_dword v203, v[200:201], off offset:64
	s_waitcnt vmcnt(1)
	global_store_dword v[200:201], v0, off offset:64
	s_waitcnt vmcnt(0)
	global_store_dword v[208:209], v203, off
.LBB94_350:
	s_or_b32 exec_lo, exec_lo, s8
	v_mov_b32_e32 v208, v202
	v_mov_b32_e32 v0, v202
.LBB94_351:
	s_or_b32 exec_lo, exec_lo, s7
.LBB94_352:
	s_andn2_saveexec_b32 s0, s0
	s_cbranch_execz .LBB94_354
; %bb.353:
	v_mov_b32_e32 v208, 16
	ds_write2_b64 v1, v[90:91], v[92:93] offset0:34 offset1:35
	ds_write2_b64 v1, v[158:159], v[160:161] offset0:36 offset1:37
	;; [unrolled: 1-line block ×31, first 2 shown]
.LBB94_354:
	s_or_b32 exec_lo, exec_lo, s0
	s_mov_b32 s0, exec_lo
	s_waitcnt lgkmcnt(0)
	s_waitcnt_vscnt null, 0x0
	s_barrier
	buffer_gl0_inv
	v_cmpx_lt_i32_e32 16, v208
	s_cbranch_execz .LBB94_356
; %bb.355:
	v_mul_f64 v[202:203], v[196:197], v[96:97]
	v_mul_f64 v[96:97], v[194:195], v[96:97]
	v_fma_f64 v[202:203], v[194:195], v[94:95], -v[202:203]
	v_fma_f64 v[96:97], v[196:197], v[94:95], v[96:97]
	ds_read2_b64 v[194:197], v1 offset0:34 offset1:35
	s_waitcnt lgkmcnt(0)
	v_mul_f64 v[94:95], v[196:197], v[96:97]
	v_fma_f64 v[94:95], v[194:195], v[202:203], -v[94:95]
	v_mul_f64 v[194:195], v[194:195], v[96:97]
	v_add_f64 v[90:91], v[90:91], -v[94:95]
	v_fma_f64 v[194:195], v[196:197], v[202:203], v[194:195]
	v_add_f64 v[92:93], v[92:93], -v[194:195]
	ds_read2_b64 v[194:197], v1 offset0:36 offset1:37
	s_waitcnt lgkmcnt(0)
	v_mul_f64 v[94:95], v[196:197], v[96:97]
	v_fma_f64 v[94:95], v[194:195], v[202:203], -v[94:95]
	v_mul_f64 v[194:195], v[194:195], v[96:97]
	v_add_f64 v[158:159], v[158:159], -v[94:95]
	v_fma_f64 v[194:195], v[196:197], v[202:203], v[194:195]
	v_add_f64 v[160:161], v[160:161], -v[194:195]
	;; [unrolled: 8-line block ×30, first 2 shown]
	ds_read2_b64 v[194:197], v1 offset0:94 offset1:95
	s_waitcnt lgkmcnt(0)
	v_mul_f64 v[94:95], v[196:197], v[96:97]
	v_fma_f64 v[94:95], v[194:195], v[202:203], -v[94:95]
	v_mul_f64 v[194:195], v[194:195], v[96:97]
	v_add_f64 v[2:3], v[2:3], -v[94:95]
	v_fma_f64 v[194:195], v[196:197], v[202:203], v[194:195]
	v_mov_b32_e32 v94, v202
	v_mov_b32_e32 v95, v203
	v_add_f64 v[4:5], v[4:5], -v[194:195]
.LBB94_356:
	s_or_b32 exec_lo, exec_lo, s0
	v_lshl_add_u32 v194, v208, 4, v1
	s_barrier
	buffer_gl0_inv
	v_mov_b32_e32 v202, 17
	ds_write2_b64 v194, v[90:91], v[92:93] offset1:1
	s_waitcnt lgkmcnt(0)
	s_barrier
	buffer_gl0_inv
	ds_read2_b64 v[194:197], v1 offset0:34 offset1:35
	s_cmp_lt_i32 s1, 19
	s_cbranch_scc1 .LBB94_359
; %bb.357:
	v_add3_u32 v203, v204, 0, 0x120
	v_mov_b32_e32 v202, 17
	s_mov_b32 s7, 18
	s_inst_prefetch 0x1
	.p2align	6
.LBB94_358:                             ; =>This Inner Loop Header: Depth=1
	s_waitcnt lgkmcnt(0)
	v_cmp_gt_f64_e32 vcc_lo, 0, v[196:197]
	v_cmp_gt_f64_e64 s0, 0, v[194:195]
	ds_read2_b64 v[209:212], v203 offset1:1
	v_xor_b32_e32 v214, 0x80000000, v195
	v_xor_b32_e32 v216, 0x80000000, v197
	v_mov_b32_e32 v213, v194
	v_mov_b32_e32 v215, v196
	v_add_nc_u32_e32 v203, 16, v203
	s_waitcnt lgkmcnt(0)
	v_xor_b32_e32 v218, 0x80000000, v212
	v_cndmask_b32_e64 v214, v195, v214, s0
	v_cndmask_b32_e32 v216, v197, v216, vcc_lo
	v_cmp_gt_f64_e32 vcc_lo, 0, v[211:212]
	v_cmp_gt_f64_e64 s0, 0, v[209:210]
	v_mov_b32_e32 v217, v211
	v_add_f64 v[213:214], v[213:214], v[215:216]
	v_xor_b32_e32 v216, 0x80000000, v210
	v_mov_b32_e32 v215, v209
	v_cndmask_b32_e32 v218, v212, v218, vcc_lo
	v_cndmask_b32_e64 v216, v210, v216, s0
	v_add_f64 v[215:216], v[215:216], v[217:218]
	v_cmp_lt_f64_e32 vcc_lo, v[213:214], v[215:216]
	v_cndmask_b32_e32 v195, v195, v210, vcc_lo
	v_cndmask_b32_e32 v194, v194, v209, vcc_lo
	v_cndmask_b32_e32 v197, v197, v212, vcc_lo
	v_cndmask_b32_e32 v196, v196, v211, vcc_lo
	v_cndmask_b32_e64 v202, v202, s7, vcc_lo
	s_add_i32 s7, s7, 1
	s_cmp_lg_u32 s1, s7
	s_cbranch_scc1 .LBB94_358
.LBB94_359:
	s_inst_prefetch 0x2
	s_waitcnt lgkmcnt(0)
	v_cmp_eq_f64_e32 vcc_lo, 0, v[194:195]
	v_cmp_eq_f64_e64 s0, 0, v[196:197]
	s_and_b32 s0, vcc_lo, s0
	s_and_saveexec_b32 s7, s0
	s_xor_b32 s0, exec_lo, s7
; %bb.360:
	v_cmp_ne_u32_e32 vcc_lo, 0, v207
	v_cndmask_b32_e32 v207, 18, v207, vcc_lo
; %bb.361:
	s_andn2_saveexec_b32 s0, s0
	s_cbranch_execz .LBB94_367
; %bb.362:
	v_cmp_ngt_f64_e64 s7, |v[194:195]|, |v[196:197]|
	s_and_saveexec_b32 s8, s7
	s_xor_b32 s7, exec_lo, s8
	s_cbranch_execz .LBB94_364
; %bb.363:
	v_div_scale_f64 v[209:210], null, v[196:197], v[196:197], v[194:195]
	v_div_scale_f64 v[215:216], vcc_lo, v[194:195], v[196:197], v[194:195]
	v_rcp_f64_e32 v[211:212], v[209:210]
	v_fma_f64 v[213:214], -v[209:210], v[211:212], 1.0
	v_fma_f64 v[211:212], v[211:212], v[213:214], v[211:212]
	v_fma_f64 v[213:214], -v[209:210], v[211:212], 1.0
	v_fma_f64 v[211:212], v[211:212], v[213:214], v[211:212]
	v_mul_f64 v[213:214], v[215:216], v[211:212]
	v_fma_f64 v[209:210], -v[209:210], v[213:214], v[215:216]
	v_div_fmas_f64 v[209:210], v[209:210], v[211:212], v[213:214]
	v_div_fixup_f64 v[209:210], v[209:210], v[196:197], v[194:195]
	v_fma_f64 v[194:195], v[194:195], v[209:210], v[196:197]
	v_div_scale_f64 v[196:197], null, v[194:195], v[194:195], 1.0
	v_rcp_f64_e32 v[211:212], v[196:197]
	v_fma_f64 v[213:214], -v[196:197], v[211:212], 1.0
	v_fma_f64 v[211:212], v[211:212], v[213:214], v[211:212]
	v_fma_f64 v[213:214], -v[196:197], v[211:212], 1.0
	v_fma_f64 v[211:212], v[211:212], v[213:214], v[211:212]
	v_div_scale_f64 v[213:214], vcc_lo, 1.0, v[194:195], 1.0
	v_mul_f64 v[215:216], v[213:214], v[211:212]
	v_fma_f64 v[196:197], -v[196:197], v[215:216], v[213:214]
	v_div_fmas_f64 v[196:197], v[196:197], v[211:212], v[215:216]
	v_div_fixup_f64 v[196:197], v[196:197], v[194:195], 1.0
	v_mul_f64 v[194:195], v[209:210], v[196:197]
	v_xor_b32_e32 v197, 0x80000000, v197
.LBB94_364:
	s_andn2_saveexec_b32 s7, s7
	s_cbranch_execz .LBB94_366
; %bb.365:
	v_div_scale_f64 v[209:210], null, v[194:195], v[194:195], v[196:197]
	v_div_scale_f64 v[215:216], vcc_lo, v[196:197], v[194:195], v[196:197]
	v_rcp_f64_e32 v[211:212], v[209:210]
	v_fma_f64 v[213:214], -v[209:210], v[211:212], 1.0
	v_fma_f64 v[211:212], v[211:212], v[213:214], v[211:212]
	v_fma_f64 v[213:214], -v[209:210], v[211:212], 1.0
	v_fma_f64 v[211:212], v[211:212], v[213:214], v[211:212]
	v_mul_f64 v[213:214], v[215:216], v[211:212]
	v_fma_f64 v[209:210], -v[209:210], v[213:214], v[215:216]
	v_div_fmas_f64 v[209:210], v[209:210], v[211:212], v[213:214]
	v_div_fixup_f64 v[209:210], v[209:210], v[194:195], v[196:197]
	v_fma_f64 v[194:195], v[196:197], v[209:210], v[194:195]
	v_div_scale_f64 v[196:197], null, v[194:195], v[194:195], 1.0
	v_rcp_f64_e32 v[211:212], v[196:197]
	v_fma_f64 v[213:214], -v[196:197], v[211:212], 1.0
	v_fma_f64 v[211:212], v[211:212], v[213:214], v[211:212]
	v_fma_f64 v[213:214], -v[196:197], v[211:212], 1.0
	v_fma_f64 v[211:212], v[211:212], v[213:214], v[211:212]
	v_div_scale_f64 v[213:214], vcc_lo, 1.0, v[194:195], 1.0
	v_mul_f64 v[215:216], v[213:214], v[211:212]
	v_fma_f64 v[196:197], -v[196:197], v[215:216], v[213:214]
	v_div_fmas_f64 v[196:197], v[196:197], v[211:212], v[215:216]
	v_div_fixup_f64 v[194:195], v[196:197], v[194:195], 1.0
	v_mul_f64 v[196:197], v[209:210], -v[194:195]
.LBB94_366:
	s_or_b32 exec_lo, exec_lo, s7
.LBB94_367:
	s_or_b32 exec_lo, exec_lo, s0
	s_mov_b32 s0, exec_lo
	v_cmpx_ne_u32_e64 v208, v202
	s_xor_b32 s0, exec_lo, s0
	s_cbranch_execz .LBB94_373
; %bb.368:
	s_mov_b32 s7, exec_lo
	v_cmpx_eq_u32_e32 17, v208
	s_cbranch_execz .LBB94_372
; %bb.369:
	v_cmp_ne_u32_e32 vcc_lo, 17, v202
	s_xor_b32 s8, s16, -1
	s_and_b32 s9, s8, vcc_lo
	s_and_saveexec_b32 s8, s9
	s_cbranch_execz .LBB94_371
; %bb.370:
	v_ashrrev_i32_e32 v203, 31, v202
	v_lshlrev_b64 v[208:209], 2, v[202:203]
	v_add_co_u32 v208, vcc_lo, v200, v208
	v_add_co_ci_u32_e64 v209, null, v201, v209, vcc_lo
	s_clause 0x1
	global_load_dword v0, v[208:209], off
	global_load_dword v203, v[200:201], off offset:68
	s_waitcnt vmcnt(1)
	global_store_dword v[200:201], v0, off offset:68
	s_waitcnt vmcnt(0)
	global_store_dword v[208:209], v203, off
.LBB94_371:
	s_or_b32 exec_lo, exec_lo, s8
	v_mov_b32_e32 v208, v202
	v_mov_b32_e32 v0, v202
.LBB94_372:
	s_or_b32 exec_lo, exec_lo, s7
.LBB94_373:
	s_andn2_saveexec_b32 s0, s0
	s_cbranch_execz .LBB94_375
; %bb.374:
	v_mov_b32_e32 v208, 17
	ds_write2_b64 v1, v[158:159], v[160:161] offset0:36 offset1:37
	ds_write2_b64 v1, v[154:155], v[156:157] offset0:38 offset1:39
	;; [unrolled: 1-line block ×30, first 2 shown]
.LBB94_375:
	s_or_b32 exec_lo, exec_lo, s0
	s_mov_b32 s0, exec_lo
	s_waitcnt lgkmcnt(0)
	s_waitcnt_vscnt null, 0x0
	s_barrier
	buffer_gl0_inv
	v_cmpx_lt_i32_e32 17, v208
	s_cbranch_execz .LBB94_377
; %bb.376:
	v_mul_f64 v[202:203], v[196:197], v[92:93]
	v_mul_f64 v[92:93], v[194:195], v[92:93]
	v_fma_f64 v[202:203], v[194:195], v[90:91], -v[202:203]
	v_fma_f64 v[92:93], v[196:197], v[90:91], v[92:93]
	ds_read2_b64 v[194:197], v1 offset0:36 offset1:37
	s_waitcnt lgkmcnt(0)
	v_mul_f64 v[90:91], v[196:197], v[92:93]
	v_fma_f64 v[90:91], v[194:195], v[202:203], -v[90:91]
	v_mul_f64 v[194:195], v[194:195], v[92:93]
	v_add_f64 v[158:159], v[158:159], -v[90:91]
	v_fma_f64 v[194:195], v[196:197], v[202:203], v[194:195]
	v_add_f64 v[160:161], v[160:161], -v[194:195]
	ds_read2_b64 v[194:197], v1 offset0:38 offset1:39
	s_waitcnt lgkmcnt(0)
	v_mul_f64 v[90:91], v[196:197], v[92:93]
	v_fma_f64 v[90:91], v[194:195], v[202:203], -v[90:91]
	v_mul_f64 v[194:195], v[194:195], v[92:93]
	v_add_f64 v[154:155], v[154:155], -v[90:91]
	v_fma_f64 v[194:195], v[196:197], v[202:203], v[194:195]
	v_add_f64 v[156:157], v[156:157], -v[194:195]
	ds_read2_b64 v[194:197], v1 offset0:40 offset1:41
	s_waitcnt lgkmcnt(0)
	v_mul_f64 v[90:91], v[196:197], v[92:93]
	v_fma_f64 v[90:91], v[194:195], v[202:203], -v[90:91]
	v_mul_f64 v[194:195], v[194:195], v[92:93]
	v_add_f64 v[150:151], v[150:151], -v[90:91]
	v_fma_f64 v[194:195], v[196:197], v[202:203], v[194:195]
	v_add_f64 v[152:153], v[152:153], -v[194:195]
	ds_read2_b64 v[194:197], v1 offset0:42 offset1:43
	s_waitcnt lgkmcnt(0)
	v_mul_f64 v[90:91], v[196:197], v[92:93]
	v_fma_f64 v[90:91], v[194:195], v[202:203], -v[90:91]
	v_mul_f64 v[194:195], v[194:195], v[92:93]
	v_add_f64 v[130:131], v[130:131], -v[90:91]
	v_fma_f64 v[194:195], v[196:197], v[202:203], v[194:195]
	v_add_f64 v[132:133], v[132:133], -v[194:195]
	ds_read2_b64 v[194:197], v1 offset0:44 offset1:45
	s_waitcnt lgkmcnt(0)
	v_mul_f64 v[90:91], v[196:197], v[92:93]
	v_fma_f64 v[90:91], v[194:195], v[202:203], -v[90:91]
	v_mul_f64 v[194:195], v[194:195], v[92:93]
	v_add_f64 v[126:127], v[126:127], -v[90:91]
	v_fma_f64 v[194:195], v[196:197], v[202:203], v[194:195]
	v_add_f64 v[128:129], v[128:129], -v[194:195]
	ds_read2_b64 v[194:197], v1 offset0:46 offset1:47
	s_waitcnt lgkmcnt(0)
	v_mul_f64 v[90:91], v[196:197], v[92:93]
	v_fma_f64 v[90:91], v[194:195], v[202:203], -v[90:91]
	v_mul_f64 v[194:195], v[194:195], v[92:93]
	v_add_f64 v[106:107], v[106:107], -v[90:91]
	v_fma_f64 v[194:195], v[196:197], v[202:203], v[194:195]
	v_add_f64 v[108:109], v[108:109], -v[194:195]
	ds_read2_b64 v[194:197], v1 offset0:48 offset1:49
	s_waitcnt lgkmcnt(0)
	v_mul_f64 v[90:91], v[196:197], v[92:93]
	v_fma_f64 v[90:91], v[194:195], v[202:203], -v[90:91]
	v_mul_f64 v[194:195], v[194:195], v[92:93]
	v_add_f64 v[102:103], v[102:103], -v[90:91]
	v_fma_f64 v[194:195], v[196:197], v[202:203], v[194:195]
	v_add_f64 v[104:105], v[104:105], -v[194:195]
	ds_read2_b64 v[194:197], v1 offset0:50 offset1:51
	s_waitcnt lgkmcnt(0)
	v_mul_f64 v[90:91], v[196:197], v[92:93]
	v_fma_f64 v[90:91], v[194:195], v[202:203], -v[90:91]
	v_mul_f64 v[194:195], v[194:195], v[92:93]
	v_add_f64 v[98:99], v[98:99], -v[90:91]
	v_fma_f64 v[194:195], v[196:197], v[202:203], v[194:195]
	v_add_f64 v[100:101], v[100:101], -v[194:195]
	ds_read2_b64 v[194:197], v1 offset0:52 offset1:53
	s_waitcnt lgkmcnt(0)
	v_mul_f64 v[90:91], v[196:197], v[92:93]
	v_fma_f64 v[90:91], v[194:195], v[202:203], -v[90:91]
	v_mul_f64 v[194:195], v[194:195], v[92:93]
	v_add_f64 v[86:87], v[86:87], -v[90:91]
	v_fma_f64 v[194:195], v[196:197], v[202:203], v[194:195]
	v_add_f64 v[88:89], v[88:89], -v[194:195]
	ds_read2_b64 v[194:197], v1 offset0:54 offset1:55
	s_waitcnt lgkmcnt(0)
	v_mul_f64 v[90:91], v[196:197], v[92:93]
	v_fma_f64 v[90:91], v[194:195], v[202:203], -v[90:91]
	v_mul_f64 v[194:195], v[194:195], v[92:93]
	v_add_f64 v[82:83], v[82:83], -v[90:91]
	v_fma_f64 v[194:195], v[196:197], v[202:203], v[194:195]
	v_add_f64 v[84:85], v[84:85], -v[194:195]
	ds_read2_b64 v[194:197], v1 offset0:56 offset1:57
	s_waitcnt lgkmcnt(0)
	v_mul_f64 v[90:91], v[196:197], v[92:93]
	v_fma_f64 v[90:91], v[194:195], v[202:203], -v[90:91]
	v_mul_f64 v[194:195], v[194:195], v[92:93]
	v_add_f64 v[78:79], v[78:79], -v[90:91]
	v_fma_f64 v[194:195], v[196:197], v[202:203], v[194:195]
	v_add_f64 v[80:81], v[80:81], -v[194:195]
	ds_read2_b64 v[194:197], v1 offset0:58 offset1:59
	s_waitcnt lgkmcnt(0)
	v_mul_f64 v[90:91], v[196:197], v[92:93]
	v_fma_f64 v[90:91], v[194:195], v[202:203], -v[90:91]
	v_mul_f64 v[194:195], v[194:195], v[92:93]
	v_add_f64 v[74:75], v[74:75], -v[90:91]
	v_fma_f64 v[194:195], v[196:197], v[202:203], v[194:195]
	v_add_f64 v[76:77], v[76:77], -v[194:195]
	ds_read2_b64 v[194:197], v1 offset0:60 offset1:61
	s_waitcnt lgkmcnt(0)
	v_mul_f64 v[90:91], v[196:197], v[92:93]
	v_fma_f64 v[90:91], v[194:195], v[202:203], -v[90:91]
	v_mul_f64 v[194:195], v[194:195], v[92:93]
	v_add_f64 v[70:71], v[70:71], -v[90:91]
	v_fma_f64 v[194:195], v[196:197], v[202:203], v[194:195]
	v_add_f64 v[72:73], v[72:73], -v[194:195]
	ds_read2_b64 v[194:197], v1 offset0:62 offset1:63
	s_waitcnt lgkmcnt(0)
	v_mul_f64 v[90:91], v[196:197], v[92:93]
	v_fma_f64 v[90:91], v[194:195], v[202:203], -v[90:91]
	v_mul_f64 v[194:195], v[194:195], v[92:93]
	v_add_f64 v[66:67], v[66:67], -v[90:91]
	v_fma_f64 v[194:195], v[196:197], v[202:203], v[194:195]
	v_add_f64 v[68:69], v[68:69], -v[194:195]
	ds_read2_b64 v[194:197], v1 offset0:64 offset1:65
	s_waitcnt lgkmcnt(0)
	v_mul_f64 v[90:91], v[196:197], v[92:93]
	v_fma_f64 v[90:91], v[194:195], v[202:203], -v[90:91]
	v_mul_f64 v[194:195], v[194:195], v[92:93]
	v_add_f64 v[62:63], v[62:63], -v[90:91]
	v_fma_f64 v[194:195], v[196:197], v[202:203], v[194:195]
	v_add_f64 v[64:65], v[64:65], -v[194:195]
	ds_read2_b64 v[194:197], v1 offset0:66 offset1:67
	s_waitcnt lgkmcnt(0)
	v_mul_f64 v[90:91], v[196:197], v[92:93]
	v_fma_f64 v[90:91], v[194:195], v[202:203], -v[90:91]
	v_mul_f64 v[194:195], v[194:195], v[92:93]
	v_add_f64 v[58:59], v[58:59], -v[90:91]
	v_fma_f64 v[194:195], v[196:197], v[202:203], v[194:195]
	v_add_f64 v[60:61], v[60:61], -v[194:195]
	ds_read2_b64 v[194:197], v1 offset0:68 offset1:69
	s_waitcnt lgkmcnt(0)
	v_mul_f64 v[90:91], v[196:197], v[92:93]
	v_fma_f64 v[90:91], v[194:195], v[202:203], -v[90:91]
	v_mul_f64 v[194:195], v[194:195], v[92:93]
	v_add_f64 v[54:55], v[54:55], -v[90:91]
	v_fma_f64 v[194:195], v[196:197], v[202:203], v[194:195]
	v_add_f64 v[56:57], v[56:57], -v[194:195]
	ds_read2_b64 v[194:197], v1 offset0:70 offset1:71
	s_waitcnt lgkmcnt(0)
	v_mul_f64 v[90:91], v[196:197], v[92:93]
	v_fma_f64 v[90:91], v[194:195], v[202:203], -v[90:91]
	v_mul_f64 v[194:195], v[194:195], v[92:93]
	v_add_f64 v[50:51], v[50:51], -v[90:91]
	v_fma_f64 v[194:195], v[196:197], v[202:203], v[194:195]
	v_add_f64 v[52:53], v[52:53], -v[194:195]
	ds_read2_b64 v[194:197], v1 offset0:72 offset1:73
	s_waitcnt lgkmcnt(0)
	v_mul_f64 v[90:91], v[196:197], v[92:93]
	v_fma_f64 v[90:91], v[194:195], v[202:203], -v[90:91]
	v_mul_f64 v[194:195], v[194:195], v[92:93]
	v_add_f64 v[46:47], v[46:47], -v[90:91]
	v_fma_f64 v[194:195], v[196:197], v[202:203], v[194:195]
	v_add_f64 v[48:49], v[48:49], -v[194:195]
	ds_read2_b64 v[194:197], v1 offset0:74 offset1:75
	s_waitcnt lgkmcnt(0)
	v_mul_f64 v[90:91], v[196:197], v[92:93]
	v_fma_f64 v[90:91], v[194:195], v[202:203], -v[90:91]
	v_mul_f64 v[194:195], v[194:195], v[92:93]
	v_add_f64 v[42:43], v[42:43], -v[90:91]
	v_fma_f64 v[194:195], v[196:197], v[202:203], v[194:195]
	v_add_f64 v[44:45], v[44:45], -v[194:195]
	ds_read2_b64 v[194:197], v1 offset0:76 offset1:77
	s_waitcnt lgkmcnt(0)
	v_mul_f64 v[90:91], v[196:197], v[92:93]
	v_fma_f64 v[90:91], v[194:195], v[202:203], -v[90:91]
	v_mul_f64 v[194:195], v[194:195], v[92:93]
	v_add_f64 v[38:39], v[38:39], -v[90:91]
	v_fma_f64 v[194:195], v[196:197], v[202:203], v[194:195]
	v_add_f64 v[40:41], v[40:41], -v[194:195]
	ds_read2_b64 v[194:197], v1 offset0:78 offset1:79
	s_waitcnt lgkmcnt(0)
	v_mul_f64 v[90:91], v[196:197], v[92:93]
	v_fma_f64 v[90:91], v[194:195], v[202:203], -v[90:91]
	v_mul_f64 v[194:195], v[194:195], v[92:93]
	v_add_f64 v[34:35], v[34:35], -v[90:91]
	v_fma_f64 v[194:195], v[196:197], v[202:203], v[194:195]
	v_add_f64 v[36:37], v[36:37], -v[194:195]
	ds_read2_b64 v[194:197], v1 offset0:80 offset1:81
	s_waitcnt lgkmcnt(0)
	v_mul_f64 v[90:91], v[196:197], v[92:93]
	v_fma_f64 v[90:91], v[194:195], v[202:203], -v[90:91]
	v_mul_f64 v[194:195], v[194:195], v[92:93]
	v_add_f64 v[30:31], v[30:31], -v[90:91]
	v_fma_f64 v[194:195], v[196:197], v[202:203], v[194:195]
	v_add_f64 v[32:33], v[32:33], -v[194:195]
	ds_read2_b64 v[194:197], v1 offset0:82 offset1:83
	s_waitcnt lgkmcnt(0)
	v_mul_f64 v[90:91], v[196:197], v[92:93]
	v_fma_f64 v[90:91], v[194:195], v[202:203], -v[90:91]
	v_mul_f64 v[194:195], v[194:195], v[92:93]
	v_add_f64 v[26:27], v[26:27], -v[90:91]
	v_fma_f64 v[194:195], v[196:197], v[202:203], v[194:195]
	v_add_f64 v[28:29], v[28:29], -v[194:195]
	ds_read2_b64 v[194:197], v1 offset0:84 offset1:85
	s_waitcnt lgkmcnt(0)
	v_mul_f64 v[90:91], v[196:197], v[92:93]
	v_fma_f64 v[90:91], v[194:195], v[202:203], -v[90:91]
	v_mul_f64 v[194:195], v[194:195], v[92:93]
	v_add_f64 v[22:23], v[22:23], -v[90:91]
	v_fma_f64 v[194:195], v[196:197], v[202:203], v[194:195]
	v_add_f64 v[24:25], v[24:25], -v[194:195]
	ds_read2_b64 v[194:197], v1 offset0:86 offset1:87
	s_waitcnt lgkmcnt(0)
	v_mul_f64 v[90:91], v[196:197], v[92:93]
	v_fma_f64 v[90:91], v[194:195], v[202:203], -v[90:91]
	v_mul_f64 v[194:195], v[194:195], v[92:93]
	v_add_f64 v[18:19], v[18:19], -v[90:91]
	v_fma_f64 v[194:195], v[196:197], v[202:203], v[194:195]
	v_add_f64 v[20:21], v[20:21], -v[194:195]
	ds_read2_b64 v[194:197], v1 offset0:88 offset1:89
	s_waitcnt lgkmcnt(0)
	v_mul_f64 v[90:91], v[196:197], v[92:93]
	v_fma_f64 v[90:91], v[194:195], v[202:203], -v[90:91]
	v_mul_f64 v[194:195], v[194:195], v[92:93]
	v_add_f64 v[14:15], v[14:15], -v[90:91]
	v_fma_f64 v[194:195], v[196:197], v[202:203], v[194:195]
	v_add_f64 v[16:17], v[16:17], -v[194:195]
	ds_read2_b64 v[194:197], v1 offset0:90 offset1:91
	s_waitcnt lgkmcnt(0)
	v_mul_f64 v[90:91], v[196:197], v[92:93]
	v_fma_f64 v[90:91], v[194:195], v[202:203], -v[90:91]
	v_mul_f64 v[194:195], v[194:195], v[92:93]
	v_add_f64 v[10:11], v[10:11], -v[90:91]
	v_fma_f64 v[194:195], v[196:197], v[202:203], v[194:195]
	v_add_f64 v[12:13], v[12:13], -v[194:195]
	ds_read2_b64 v[194:197], v1 offset0:92 offset1:93
	s_waitcnt lgkmcnt(0)
	v_mul_f64 v[90:91], v[196:197], v[92:93]
	v_fma_f64 v[90:91], v[194:195], v[202:203], -v[90:91]
	v_mul_f64 v[194:195], v[194:195], v[92:93]
	v_add_f64 v[6:7], v[6:7], -v[90:91]
	v_fma_f64 v[194:195], v[196:197], v[202:203], v[194:195]
	v_add_f64 v[8:9], v[8:9], -v[194:195]
	ds_read2_b64 v[194:197], v1 offset0:94 offset1:95
	s_waitcnt lgkmcnt(0)
	v_mul_f64 v[90:91], v[196:197], v[92:93]
	v_fma_f64 v[90:91], v[194:195], v[202:203], -v[90:91]
	v_mul_f64 v[194:195], v[194:195], v[92:93]
	v_add_f64 v[2:3], v[2:3], -v[90:91]
	v_fma_f64 v[194:195], v[196:197], v[202:203], v[194:195]
	v_mov_b32_e32 v90, v202
	v_mov_b32_e32 v91, v203
	v_add_f64 v[4:5], v[4:5], -v[194:195]
.LBB94_377:
	s_or_b32 exec_lo, exec_lo, s0
	v_lshl_add_u32 v194, v208, 4, v1
	s_barrier
	buffer_gl0_inv
	v_mov_b32_e32 v202, 18
	ds_write2_b64 v194, v[158:159], v[160:161] offset1:1
	s_waitcnt lgkmcnt(0)
	s_barrier
	buffer_gl0_inv
	ds_read2_b64 v[194:197], v1 offset0:36 offset1:37
	s_cmp_lt_i32 s1, 20
	s_cbranch_scc1 .LBB94_380
; %bb.378:
	v_add3_u32 v203, v204, 0, 0x130
	v_mov_b32_e32 v202, 18
	s_mov_b32 s7, 19
	s_inst_prefetch 0x1
	.p2align	6
.LBB94_379:                             ; =>This Inner Loop Header: Depth=1
	s_waitcnt lgkmcnt(0)
	v_cmp_gt_f64_e32 vcc_lo, 0, v[196:197]
	v_cmp_gt_f64_e64 s0, 0, v[194:195]
	ds_read2_b64 v[209:212], v203 offset1:1
	v_xor_b32_e32 v214, 0x80000000, v195
	v_xor_b32_e32 v216, 0x80000000, v197
	v_mov_b32_e32 v213, v194
	v_mov_b32_e32 v215, v196
	v_add_nc_u32_e32 v203, 16, v203
	s_waitcnt lgkmcnt(0)
	v_xor_b32_e32 v218, 0x80000000, v212
	v_cndmask_b32_e64 v214, v195, v214, s0
	v_cndmask_b32_e32 v216, v197, v216, vcc_lo
	v_cmp_gt_f64_e32 vcc_lo, 0, v[211:212]
	v_cmp_gt_f64_e64 s0, 0, v[209:210]
	v_mov_b32_e32 v217, v211
	v_add_f64 v[213:214], v[213:214], v[215:216]
	v_xor_b32_e32 v216, 0x80000000, v210
	v_mov_b32_e32 v215, v209
	v_cndmask_b32_e32 v218, v212, v218, vcc_lo
	v_cndmask_b32_e64 v216, v210, v216, s0
	v_add_f64 v[215:216], v[215:216], v[217:218]
	v_cmp_lt_f64_e32 vcc_lo, v[213:214], v[215:216]
	v_cndmask_b32_e32 v195, v195, v210, vcc_lo
	v_cndmask_b32_e32 v194, v194, v209, vcc_lo
	v_cndmask_b32_e32 v197, v197, v212, vcc_lo
	v_cndmask_b32_e32 v196, v196, v211, vcc_lo
	v_cndmask_b32_e64 v202, v202, s7, vcc_lo
	s_add_i32 s7, s7, 1
	s_cmp_lg_u32 s1, s7
	s_cbranch_scc1 .LBB94_379
.LBB94_380:
	s_inst_prefetch 0x2
	s_waitcnt lgkmcnt(0)
	v_cmp_eq_f64_e32 vcc_lo, 0, v[194:195]
	v_cmp_eq_f64_e64 s0, 0, v[196:197]
	s_and_b32 s0, vcc_lo, s0
	s_and_saveexec_b32 s7, s0
	s_xor_b32 s0, exec_lo, s7
; %bb.381:
	v_cmp_ne_u32_e32 vcc_lo, 0, v207
	v_cndmask_b32_e32 v207, 19, v207, vcc_lo
; %bb.382:
	s_andn2_saveexec_b32 s0, s0
	s_cbranch_execz .LBB94_388
; %bb.383:
	v_cmp_ngt_f64_e64 s7, |v[194:195]|, |v[196:197]|
	s_and_saveexec_b32 s8, s7
	s_xor_b32 s7, exec_lo, s8
	s_cbranch_execz .LBB94_385
; %bb.384:
	v_div_scale_f64 v[209:210], null, v[196:197], v[196:197], v[194:195]
	v_div_scale_f64 v[215:216], vcc_lo, v[194:195], v[196:197], v[194:195]
	v_rcp_f64_e32 v[211:212], v[209:210]
	v_fma_f64 v[213:214], -v[209:210], v[211:212], 1.0
	v_fma_f64 v[211:212], v[211:212], v[213:214], v[211:212]
	v_fma_f64 v[213:214], -v[209:210], v[211:212], 1.0
	v_fma_f64 v[211:212], v[211:212], v[213:214], v[211:212]
	v_mul_f64 v[213:214], v[215:216], v[211:212]
	v_fma_f64 v[209:210], -v[209:210], v[213:214], v[215:216]
	v_div_fmas_f64 v[209:210], v[209:210], v[211:212], v[213:214]
	v_div_fixup_f64 v[209:210], v[209:210], v[196:197], v[194:195]
	v_fma_f64 v[194:195], v[194:195], v[209:210], v[196:197]
	v_div_scale_f64 v[196:197], null, v[194:195], v[194:195], 1.0
	v_rcp_f64_e32 v[211:212], v[196:197]
	v_fma_f64 v[213:214], -v[196:197], v[211:212], 1.0
	v_fma_f64 v[211:212], v[211:212], v[213:214], v[211:212]
	v_fma_f64 v[213:214], -v[196:197], v[211:212], 1.0
	v_fma_f64 v[211:212], v[211:212], v[213:214], v[211:212]
	v_div_scale_f64 v[213:214], vcc_lo, 1.0, v[194:195], 1.0
	v_mul_f64 v[215:216], v[213:214], v[211:212]
	v_fma_f64 v[196:197], -v[196:197], v[215:216], v[213:214]
	v_div_fmas_f64 v[196:197], v[196:197], v[211:212], v[215:216]
	v_div_fixup_f64 v[196:197], v[196:197], v[194:195], 1.0
	v_mul_f64 v[194:195], v[209:210], v[196:197]
	v_xor_b32_e32 v197, 0x80000000, v197
.LBB94_385:
	s_andn2_saveexec_b32 s7, s7
	s_cbranch_execz .LBB94_387
; %bb.386:
	v_div_scale_f64 v[209:210], null, v[194:195], v[194:195], v[196:197]
	v_div_scale_f64 v[215:216], vcc_lo, v[196:197], v[194:195], v[196:197]
	v_rcp_f64_e32 v[211:212], v[209:210]
	v_fma_f64 v[213:214], -v[209:210], v[211:212], 1.0
	v_fma_f64 v[211:212], v[211:212], v[213:214], v[211:212]
	v_fma_f64 v[213:214], -v[209:210], v[211:212], 1.0
	v_fma_f64 v[211:212], v[211:212], v[213:214], v[211:212]
	v_mul_f64 v[213:214], v[215:216], v[211:212]
	v_fma_f64 v[209:210], -v[209:210], v[213:214], v[215:216]
	v_div_fmas_f64 v[209:210], v[209:210], v[211:212], v[213:214]
	v_div_fixup_f64 v[209:210], v[209:210], v[194:195], v[196:197]
	v_fma_f64 v[194:195], v[196:197], v[209:210], v[194:195]
	v_div_scale_f64 v[196:197], null, v[194:195], v[194:195], 1.0
	v_rcp_f64_e32 v[211:212], v[196:197]
	v_fma_f64 v[213:214], -v[196:197], v[211:212], 1.0
	v_fma_f64 v[211:212], v[211:212], v[213:214], v[211:212]
	v_fma_f64 v[213:214], -v[196:197], v[211:212], 1.0
	v_fma_f64 v[211:212], v[211:212], v[213:214], v[211:212]
	v_div_scale_f64 v[213:214], vcc_lo, 1.0, v[194:195], 1.0
	v_mul_f64 v[215:216], v[213:214], v[211:212]
	v_fma_f64 v[196:197], -v[196:197], v[215:216], v[213:214]
	v_div_fmas_f64 v[196:197], v[196:197], v[211:212], v[215:216]
	v_div_fixup_f64 v[194:195], v[196:197], v[194:195], 1.0
	v_mul_f64 v[196:197], v[209:210], -v[194:195]
.LBB94_387:
	s_or_b32 exec_lo, exec_lo, s7
.LBB94_388:
	s_or_b32 exec_lo, exec_lo, s0
	s_mov_b32 s0, exec_lo
	v_cmpx_ne_u32_e64 v208, v202
	s_xor_b32 s0, exec_lo, s0
	s_cbranch_execz .LBB94_394
; %bb.389:
	s_mov_b32 s7, exec_lo
	v_cmpx_eq_u32_e32 18, v208
	s_cbranch_execz .LBB94_393
; %bb.390:
	v_cmp_ne_u32_e32 vcc_lo, 18, v202
	s_xor_b32 s8, s16, -1
	s_and_b32 s9, s8, vcc_lo
	s_and_saveexec_b32 s8, s9
	s_cbranch_execz .LBB94_392
; %bb.391:
	v_ashrrev_i32_e32 v203, 31, v202
	v_lshlrev_b64 v[208:209], 2, v[202:203]
	v_add_co_u32 v208, vcc_lo, v200, v208
	v_add_co_ci_u32_e64 v209, null, v201, v209, vcc_lo
	s_clause 0x1
	global_load_dword v0, v[208:209], off
	global_load_dword v203, v[200:201], off offset:72
	s_waitcnt vmcnt(1)
	global_store_dword v[200:201], v0, off offset:72
	s_waitcnt vmcnt(0)
	global_store_dword v[208:209], v203, off
.LBB94_392:
	s_or_b32 exec_lo, exec_lo, s8
	v_mov_b32_e32 v208, v202
	v_mov_b32_e32 v0, v202
.LBB94_393:
	s_or_b32 exec_lo, exec_lo, s7
.LBB94_394:
	s_andn2_saveexec_b32 s0, s0
	s_cbranch_execz .LBB94_396
; %bb.395:
	v_mov_b32_e32 v208, 18
	ds_write2_b64 v1, v[154:155], v[156:157] offset0:38 offset1:39
	ds_write2_b64 v1, v[150:151], v[152:153] offset0:40 offset1:41
	;; [unrolled: 1-line block ×29, first 2 shown]
.LBB94_396:
	s_or_b32 exec_lo, exec_lo, s0
	s_mov_b32 s0, exec_lo
	s_waitcnt lgkmcnt(0)
	s_waitcnt_vscnt null, 0x0
	s_barrier
	buffer_gl0_inv
	v_cmpx_lt_i32_e32 18, v208
	s_cbranch_execz .LBB94_398
; %bb.397:
	v_mul_f64 v[202:203], v[196:197], v[160:161]
	v_mul_f64 v[160:161], v[194:195], v[160:161]
	v_fma_f64 v[202:203], v[194:195], v[158:159], -v[202:203]
	v_fma_f64 v[160:161], v[196:197], v[158:159], v[160:161]
	ds_read2_b64 v[194:197], v1 offset0:38 offset1:39
	s_waitcnt lgkmcnt(0)
	v_mul_f64 v[158:159], v[196:197], v[160:161]
	v_fma_f64 v[158:159], v[194:195], v[202:203], -v[158:159]
	v_mul_f64 v[194:195], v[194:195], v[160:161]
	v_add_f64 v[154:155], v[154:155], -v[158:159]
	v_fma_f64 v[194:195], v[196:197], v[202:203], v[194:195]
	v_add_f64 v[156:157], v[156:157], -v[194:195]
	ds_read2_b64 v[194:197], v1 offset0:40 offset1:41
	s_waitcnt lgkmcnt(0)
	v_mul_f64 v[158:159], v[196:197], v[160:161]
	v_fma_f64 v[158:159], v[194:195], v[202:203], -v[158:159]
	v_mul_f64 v[194:195], v[194:195], v[160:161]
	v_add_f64 v[150:151], v[150:151], -v[158:159]
	v_fma_f64 v[194:195], v[196:197], v[202:203], v[194:195]
	v_add_f64 v[152:153], v[152:153], -v[194:195]
	;; [unrolled: 8-line block ×28, first 2 shown]
	ds_read2_b64 v[194:197], v1 offset0:94 offset1:95
	s_waitcnt lgkmcnt(0)
	v_mul_f64 v[158:159], v[196:197], v[160:161]
	v_fma_f64 v[158:159], v[194:195], v[202:203], -v[158:159]
	v_mul_f64 v[194:195], v[194:195], v[160:161]
	v_add_f64 v[2:3], v[2:3], -v[158:159]
	v_fma_f64 v[194:195], v[196:197], v[202:203], v[194:195]
	v_mov_b32_e32 v158, v202
	v_mov_b32_e32 v159, v203
	v_add_f64 v[4:5], v[4:5], -v[194:195]
.LBB94_398:
	s_or_b32 exec_lo, exec_lo, s0
	v_lshl_add_u32 v194, v208, 4, v1
	s_barrier
	buffer_gl0_inv
	v_mov_b32_e32 v202, 19
	ds_write2_b64 v194, v[154:155], v[156:157] offset1:1
	s_waitcnt lgkmcnt(0)
	s_barrier
	buffer_gl0_inv
	ds_read2_b64 v[194:197], v1 offset0:38 offset1:39
	s_cmp_lt_i32 s1, 21
	s_cbranch_scc1 .LBB94_401
; %bb.399:
	v_add3_u32 v203, v204, 0, 0x140
	v_mov_b32_e32 v202, 19
	s_mov_b32 s7, 20
	s_inst_prefetch 0x1
	.p2align	6
.LBB94_400:                             ; =>This Inner Loop Header: Depth=1
	s_waitcnt lgkmcnt(0)
	v_cmp_gt_f64_e32 vcc_lo, 0, v[196:197]
	v_cmp_gt_f64_e64 s0, 0, v[194:195]
	ds_read2_b64 v[209:212], v203 offset1:1
	v_xor_b32_e32 v214, 0x80000000, v195
	v_xor_b32_e32 v216, 0x80000000, v197
	v_mov_b32_e32 v213, v194
	v_mov_b32_e32 v215, v196
	v_add_nc_u32_e32 v203, 16, v203
	s_waitcnt lgkmcnt(0)
	v_xor_b32_e32 v218, 0x80000000, v212
	v_cndmask_b32_e64 v214, v195, v214, s0
	v_cndmask_b32_e32 v216, v197, v216, vcc_lo
	v_cmp_gt_f64_e32 vcc_lo, 0, v[211:212]
	v_cmp_gt_f64_e64 s0, 0, v[209:210]
	v_mov_b32_e32 v217, v211
	v_add_f64 v[213:214], v[213:214], v[215:216]
	v_xor_b32_e32 v216, 0x80000000, v210
	v_mov_b32_e32 v215, v209
	v_cndmask_b32_e32 v218, v212, v218, vcc_lo
	v_cndmask_b32_e64 v216, v210, v216, s0
	v_add_f64 v[215:216], v[215:216], v[217:218]
	v_cmp_lt_f64_e32 vcc_lo, v[213:214], v[215:216]
	v_cndmask_b32_e32 v195, v195, v210, vcc_lo
	v_cndmask_b32_e32 v194, v194, v209, vcc_lo
	;; [unrolled: 1-line block ×4, first 2 shown]
	v_cndmask_b32_e64 v202, v202, s7, vcc_lo
	s_add_i32 s7, s7, 1
	s_cmp_lg_u32 s1, s7
	s_cbranch_scc1 .LBB94_400
.LBB94_401:
	s_inst_prefetch 0x2
	s_waitcnt lgkmcnt(0)
	v_cmp_eq_f64_e32 vcc_lo, 0, v[194:195]
	v_cmp_eq_f64_e64 s0, 0, v[196:197]
	s_and_b32 s0, vcc_lo, s0
	s_and_saveexec_b32 s7, s0
	s_xor_b32 s0, exec_lo, s7
; %bb.402:
	v_cmp_ne_u32_e32 vcc_lo, 0, v207
	v_cndmask_b32_e32 v207, 20, v207, vcc_lo
; %bb.403:
	s_andn2_saveexec_b32 s0, s0
	s_cbranch_execz .LBB94_409
; %bb.404:
	v_cmp_ngt_f64_e64 s7, |v[194:195]|, |v[196:197]|
	s_and_saveexec_b32 s8, s7
	s_xor_b32 s7, exec_lo, s8
	s_cbranch_execz .LBB94_406
; %bb.405:
	v_div_scale_f64 v[209:210], null, v[196:197], v[196:197], v[194:195]
	v_div_scale_f64 v[215:216], vcc_lo, v[194:195], v[196:197], v[194:195]
	v_rcp_f64_e32 v[211:212], v[209:210]
	v_fma_f64 v[213:214], -v[209:210], v[211:212], 1.0
	v_fma_f64 v[211:212], v[211:212], v[213:214], v[211:212]
	v_fma_f64 v[213:214], -v[209:210], v[211:212], 1.0
	v_fma_f64 v[211:212], v[211:212], v[213:214], v[211:212]
	v_mul_f64 v[213:214], v[215:216], v[211:212]
	v_fma_f64 v[209:210], -v[209:210], v[213:214], v[215:216]
	v_div_fmas_f64 v[209:210], v[209:210], v[211:212], v[213:214]
	v_div_fixup_f64 v[209:210], v[209:210], v[196:197], v[194:195]
	v_fma_f64 v[194:195], v[194:195], v[209:210], v[196:197]
	v_div_scale_f64 v[196:197], null, v[194:195], v[194:195], 1.0
	v_rcp_f64_e32 v[211:212], v[196:197]
	v_fma_f64 v[213:214], -v[196:197], v[211:212], 1.0
	v_fma_f64 v[211:212], v[211:212], v[213:214], v[211:212]
	v_fma_f64 v[213:214], -v[196:197], v[211:212], 1.0
	v_fma_f64 v[211:212], v[211:212], v[213:214], v[211:212]
	v_div_scale_f64 v[213:214], vcc_lo, 1.0, v[194:195], 1.0
	v_mul_f64 v[215:216], v[213:214], v[211:212]
	v_fma_f64 v[196:197], -v[196:197], v[215:216], v[213:214]
	v_div_fmas_f64 v[196:197], v[196:197], v[211:212], v[215:216]
	v_div_fixup_f64 v[196:197], v[196:197], v[194:195], 1.0
	v_mul_f64 v[194:195], v[209:210], v[196:197]
	v_xor_b32_e32 v197, 0x80000000, v197
.LBB94_406:
	s_andn2_saveexec_b32 s7, s7
	s_cbranch_execz .LBB94_408
; %bb.407:
	v_div_scale_f64 v[209:210], null, v[194:195], v[194:195], v[196:197]
	v_div_scale_f64 v[215:216], vcc_lo, v[196:197], v[194:195], v[196:197]
	v_rcp_f64_e32 v[211:212], v[209:210]
	v_fma_f64 v[213:214], -v[209:210], v[211:212], 1.0
	v_fma_f64 v[211:212], v[211:212], v[213:214], v[211:212]
	v_fma_f64 v[213:214], -v[209:210], v[211:212], 1.0
	v_fma_f64 v[211:212], v[211:212], v[213:214], v[211:212]
	v_mul_f64 v[213:214], v[215:216], v[211:212]
	v_fma_f64 v[209:210], -v[209:210], v[213:214], v[215:216]
	v_div_fmas_f64 v[209:210], v[209:210], v[211:212], v[213:214]
	v_div_fixup_f64 v[209:210], v[209:210], v[194:195], v[196:197]
	v_fma_f64 v[194:195], v[196:197], v[209:210], v[194:195]
	v_div_scale_f64 v[196:197], null, v[194:195], v[194:195], 1.0
	v_rcp_f64_e32 v[211:212], v[196:197]
	v_fma_f64 v[213:214], -v[196:197], v[211:212], 1.0
	v_fma_f64 v[211:212], v[211:212], v[213:214], v[211:212]
	v_fma_f64 v[213:214], -v[196:197], v[211:212], 1.0
	v_fma_f64 v[211:212], v[211:212], v[213:214], v[211:212]
	v_div_scale_f64 v[213:214], vcc_lo, 1.0, v[194:195], 1.0
	v_mul_f64 v[215:216], v[213:214], v[211:212]
	v_fma_f64 v[196:197], -v[196:197], v[215:216], v[213:214]
	v_div_fmas_f64 v[196:197], v[196:197], v[211:212], v[215:216]
	v_div_fixup_f64 v[194:195], v[196:197], v[194:195], 1.0
	v_mul_f64 v[196:197], v[209:210], -v[194:195]
.LBB94_408:
	s_or_b32 exec_lo, exec_lo, s7
.LBB94_409:
	s_or_b32 exec_lo, exec_lo, s0
	s_mov_b32 s0, exec_lo
	v_cmpx_ne_u32_e64 v208, v202
	s_xor_b32 s0, exec_lo, s0
	s_cbranch_execz .LBB94_415
; %bb.410:
	s_mov_b32 s7, exec_lo
	v_cmpx_eq_u32_e32 19, v208
	s_cbranch_execz .LBB94_414
; %bb.411:
	v_cmp_ne_u32_e32 vcc_lo, 19, v202
	s_xor_b32 s8, s16, -1
	s_and_b32 s9, s8, vcc_lo
	s_and_saveexec_b32 s8, s9
	s_cbranch_execz .LBB94_413
; %bb.412:
	v_ashrrev_i32_e32 v203, 31, v202
	v_lshlrev_b64 v[208:209], 2, v[202:203]
	v_add_co_u32 v208, vcc_lo, v200, v208
	v_add_co_ci_u32_e64 v209, null, v201, v209, vcc_lo
	s_clause 0x1
	global_load_dword v0, v[208:209], off
	global_load_dword v203, v[200:201], off offset:76
	s_waitcnt vmcnt(1)
	global_store_dword v[200:201], v0, off offset:76
	s_waitcnt vmcnt(0)
	global_store_dword v[208:209], v203, off
.LBB94_413:
	s_or_b32 exec_lo, exec_lo, s8
	v_mov_b32_e32 v208, v202
	v_mov_b32_e32 v0, v202
.LBB94_414:
	s_or_b32 exec_lo, exec_lo, s7
.LBB94_415:
	s_andn2_saveexec_b32 s0, s0
	s_cbranch_execz .LBB94_417
; %bb.416:
	v_mov_b32_e32 v208, 19
	ds_write2_b64 v1, v[150:151], v[152:153] offset0:40 offset1:41
	ds_write2_b64 v1, v[130:131], v[132:133] offset0:42 offset1:43
	ds_write2_b64 v1, v[126:127], v[128:129] offset0:44 offset1:45
	ds_write2_b64 v1, v[106:107], v[108:109] offset0:46 offset1:47
	ds_write2_b64 v1, v[102:103], v[104:105] offset0:48 offset1:49
	ds_write2_b64 v1, v[98:99], v[100:101] offset0:50 offset1:51
	ds_write2_b64 v1, v[86:87], v[88:89] offset0:52 offset1:53
	ds_write2_b64 v1, v[82:83], v[84:85] offset0:54 offset1:55
	ds_write2_b64 v1, v[78:79], v[80:81] offset0:56 offset1:57
	ds_write2_b64 v1, v[74:75], v[76:77] offset0:58 offset1:59
	ds_write2_b64 v1, v[70:71], v[72:73] offset0:60 offset1:61
	ds_write2_b64 v1, v[66:67], v[68:69] offset0:62 offset1:63
	ds_write2_b64 v1, v[62:63], v[64:65] offset0:64 offset1:65
	ds_write2_b64 v1, v[58:59], v[60:61] offset0:66 offset1:67
	ds_write2_b64 v1, v[54:55], v[56:57] offset0:68 offset1:69
	ds_write2_b64 v1, v[50:51], v[52:53] offset0:70 offset1:71
	ds_write2_b64 v1, v[46:47], v[48:49] offset0:72 offset1:73
	ds_write2_b64 v1, v[42:43], v[44:45] offset0:74 offset1:75
	ds_write2_b64 v1, v[38:39], v[40:41] offset0:76 offset1:77
	ds_write2_b64 v1, v[34:35], v[36:37] offset0:78 offset1:79
	ds_write2_b64 v1, v[30:31], v[32:33] offset0:80 offset1:81
	ds_write2_b64 v1, v[26:27], v[28:29] offset0:82 offset1:83
	ds_write2_b64 v1, v[22:23], v[24:25] offset0:84 offset1:85
	ds_write2_b64 v1, v[18:19], v[20:21] offset0:86 offset1:87
	ds_write2_b64 v1, v[14:15], v[16:17] offset0:88 offset1:89
	ds_write2_b64 v1, v[10:11], v[12:13] offset0:90 offset1:91
	ds_write2_b64 v1, v[6:7], v[8:9] offset0:92 offset1:93
	ds_write2_b64 v1, v[2:3], v[4:5] offset0:94 offset1:95
.LBB94_417:
	s_or_b32 exec_lo, exec_lo, s0
	s_mov_b32 s0, exec_lo
	s_waitcnt lgkmcnt(0)
	s_waitcnt_vscnt null, 0x0
	s_barrier
	buffer_gl0_inv
	v_cmpx_lt_i32_e32 19, v208
	s_cbranch_execz .LBB94_419
; %bb.418:
	v_mul_f64 v[202:203], v[196:197], v[156:157]
	v_mul_f64 v[156:157], v[194:195], v[156:157]
	v_fma_f64 v[202:203], v[194:195], v[154:155], -v[202:203]
	v_fma_f64 v[156:157], v[196:197], v[154:155], v[156:157]
	ds_read2_b64 v[194:197], v1 offset0:40 offset1:41
	s_waitcnt lgkmcnt(0)
	v_mul_f64 v[154:155], v[196:197], v[156:157]
	v_fma_f64 v[154:155], v[194:195], v[202:203], -v[154:155]
	v_mul_f64 v[194:195], v[194:195], v[156:157]
	v_add_f64 v[150:151], v[150:151], -v[154:155]
	v_fma_f64 v[194:195], v[196:197], v[202:203], v[194:195]
	v_add_f64 v[152:153], v[152:153], -v[194:195]
	ds_read2_b64 v[194:197], v1 offset0:42 offset1:43
	s_waitcnt lgkmcnt(0)
	v_mul_f64 v[154:155], v[196:197], v[156:157]
	v_fma_f64 v[154:155], v[194:195], v[202:203], -v[154:155]
	v_mul_f64 v[194:195], v[194:195], v[156:157]
	v_add_f64 v[130:131], v[130:131], -v[154:155]
	v_fma_f64 v[194:195], v[196:197], v[202:203], v[194:195]
	v_add_f64 v[132:133], v[132:133], -v[194:195]
	;; [unrolled: 8-line block ×27, first 2 shown]
	ds_read2_b64 v[194:197], v1 offset0:94 offset1:95
	s_waitcnt lgkmcnt(0)
	v_mul_f64 v[154:155], v[196:197], v[156:157]
	v_fma_f64 v[154:155], v[194:195], v[202:203], -v[154:155]
	v_mul_f64 v[194:195], v[194:195], v[156:157]
	v_add_f64 v[2:3], v[2:3], -v[154:155]
	v_fma_f64 v[194:195], v[196:197], v[202:203], v[194:195]
	v_mov_b32_e32 v154, v202
	v_mov_b32_e32 v155, v203
	v_add_f64 v[4:5], v[4:5], -v[194:195]
.LBB94_419:
	s_or_b32 exec_lo, exec_lo, s0
	v_lshl_add_u32 v194, v208, 4, v1
	s_barrier
	buffer_gl0_inv
	v_mov_b32_e32 v202, 20
	ds_write2_b64 v194, v[150:151], v[152:153] offset1:1
	s_waitcnt lgkmcnt(0)
	s_barrier
	buffer_gl0_inv
	ds_read2_b64 v[194:197], v1 offset0:40 offset1:41
	s_cmp_lt_i32 s1, 22
	s_cbranch_scc1 .LBB94_422
; %bb.420:
	v_add3_u32 v203, v204, 0, 0x150
	v_mov_b32_e32 v202, 20
	s_mov_b32 s7, 21
	s_inst_prefetch 0x1
	.p2align	6
.LBB94_421:                             ; =>This Inner Loop Header: Depth=1
	s_waitcnt lgkmcnt(0)
	v_cmp_gt_f64_e32 vcc_lo, 0, v[196:197]
	v_cmp_gt_f64_e64 s0, 0, v[194:195]
	ds_read2_b64 v[209:212], v203 offset1:1
	v_xor_b32_e32 v214, 0x80000000, v195
	v_xor_b32_e32 v216, 0x80000000, v197
	v_mov_b32_e32 v213, v194
	v_mov_b32_e32 v215, v196
	v_add_nc_u32_e32 v203, 16, v203
	s_waitcnt lgkmcnt(0)
	v_xor_b32_e32 v218, 0x80000000, v212
	v_cndmask_b32_e64 v214, v195, v214, s0
	v_cndmask_b32_e32 v216, v197, v216, vcc_lo
	v_cmp_gt_f64_e32 vcc_lo, 0, v[211:212]
	v_cmp_gt_f64_e64 s0, 0, v[209:210]
	v_mov_b32_e32 v217, v211
	v_add_f64 v[213:214], v[213:214], v[215:216]
	v_xor_b32_e32 v216, 0x80000000, v210
	v_mov_b32_e32 v215, v209
	v_cndmask_b32_e32 v218, v212, v218, vcc_lo
	v_cndmask_b32_e64 v216, v210, v216, s0
	v_add_f64 v[215:216], v[215:216], v[217:218]
	v_cmp_lt_f64_e32 vcc_lo, v[213:214], v[215:216]
	v_cndmask_b32_e32 v195, v195, v210, vcc_lo
	v_cndmask_b32_e32 v194, v194, v209, vcc_lo
	;; [unrolled: 1-line block ×4, first 2 shown]
	v_cndmask_b32_e64 v202, v202, s7, vcc_lo
	s_add_i32 s7, s7, 1
	s_cmp_lg_u32 s1, s7
	s_cbranch_scc1 .LBB94_421
.LBB94_422:
	s_inst_prefetch 0x2
	s_waitcnt lgkmcnt(0)
	v_cmp_eq_f64_e32 vcc_lo, 0, v[194:195]
	v_cmp_eq_f64_e64 s0, 0, v[196:197]
	s_and_b32 s0, vcc_lo, s0
	s_and_saveexec_b32 s7, s0
	s_xor_b32 s0, exec_lo, s7
; %bb.423:
	v_cmp_ne_u32_e32 vcc_lo, 0, v207
	v_cndmask_b32_e32 v207, 21, v207, vcc_lo
; %bb.424:
	s_andn2_saveexec_b32 s0, s0
	s_cbranch_execz .LBB94_430
; %bb.425:
	v_cmp_ngt_f64_e64 s7, |v[194:195]|, |v[196:197]|
	s_and_saveexec_b32 s8, s7
	s_xor_b32 s7, exec_lo, s8
	s_cbranch_execz .LBB94_427
; %bb.426:
	v_div_scale_f64 v[209:210], null, v[196:197], v[196:197], v[194:195]
	v_div_scale_f64 v[215:216], vcc_lo, v[194:195], v[196:197], v[194:195]
	v_rcp_f64_e32 v[211:212], v[209:210]
	v_fma_f64 v[213:214], -v[209:210], v[211:212], 1.0
	v_fma_f64 v[211:212], v[211:212], v[213:214], v[211:212]
	v_fma_f64 v[213:214], -v[209:210], v[211:212], 1.0
	v_fma_f64 v[211:212], v[211:212], v[213:214], v[211:212]
	v_mul_f64 v[213:214], v[215:216], v[211:212]
	v_fma_f64 v[209:210], -v[209:210], v[213:214], v[215:216]
	v_div_fmas_f64 v[209:210], v[209:210], v[211:212], v[213:214]
	v_div_fixup_f64 v[209:210], v[209:210], v[196:197], v[194:195]
	v_fma_f64 v[194:195], v[194:195], v[209:210], v[196:197]
	v_div_scale_f64 v[196:197], null, v[194:195], v[194:195], 1.0
	v_rcp_f64_e32 v[211:212], v[196:197]
	v_fma_f64 v[213:214], -v[196:197], v[211:212], 1.0
	v_fma_f64 v[211:212], v[211:212], v[213:214], v[211:212]
	v_fma_f64 v[213:214], -v[196:197], v[211:212], 1.0
	v_fma_f64 v[211:212], v[211:212], v[213:214], v[211:212]
	v_div_scale_f64 v[213:214], vcc_lo, 1.0, v[194:195], 1.0
	v_mul_f64 v[215:216], v[213:214], v[211:212]
	v_fma_f64 v[196:197], -v[196:197], v[215:216], v[213:214]
	v_div_fmas_f64 v[196:197], v[196:197], v[211:212], v[215:216]
	v_div_fixup_f64 v[196:197], v[196:197], v[194:195], 1.0
	v_mul_f64 v[194:195], v[209:210], v[196:197]
	v_xor_b32_e32 v197, 0x80000000, v197
.LBB94_427:
	s_andn2_saveexec_b32 s7, s7
	s_cbranch_execz .LBB94_429
; %bb.428:
	v_div_scale_f64 v[209:210], null, v[194:195], v[194:195], v[196:197]
	v_div_scale_f64 v[215:216], vcc_lo, v[196:197], v[194:195], v[196:197]
	v_rcp_f64_e32 v[211:212], v[209:210]
	v_fma_f64 v[213:214], -v[209:210], v[211:212], 1.0
	v_fma_f64 v[211:212], v[211:212], v[213:214], v[211:212]
	v_fma_f64 v[213:214], -v[209:210], v[211:212], 1.0
	v_fma_f64 v[211:212], v[211:212], v[213:214], v[211:212]
	v_mul_f64 v[213:214], v[215:216], v[211:212]
	v_fma_f64 v[209:210], -v[209:210], v[213:214], v[215:216]
	v_div_fmas_f64 v[209:210], v[209:210], v[211:212], v[213:214]
	v_div_fixup_f64 v[209:210], v[209:210], v[194:195], v[196:197]
	v_fma_f64 v[194:195], v[196:197], v[209:210], v[194:195]
	v_div_scale_f64 v[196:197], null, v[194:195], v[194:195], 1.0
	v_rcp_f64_e32 v[211:212], v[196:197]
	v_fma_f64 v[213:214], -v[196:197], v[211:212], 1.0
	v_fma_f64 v[211:212], v[211:212], v[213:214], v[211:212]
	v_fma_f64 v[213:214], -v[196:197], v[211:212], 1.0
	v_fma_f64 v[211:212], v[211:212], v[213:214], v[211:212]
	v_div_scale_f64 v[213:214], vcc_lo, 1.0, v[194:195], 1.0
	v_mul_f64 v[215:216], v[213:214], v[211:212]
	v_fma_f64 v[196:197], -v[196:197], v[215:216], v[213:214]
	v_div_fmas_f64 v[196:197], v[196:197], v[211:212], v[215:216]
	v_div_fixup_f64 v[194:195], v[196:197], v[194:195], 1.0
	v_mul_f64 v[196:197], v[209:210], -v[194:195]
.LBB94_429:
	s_or_b32 exec_lo, exec_lo, s7
.LBB94_430:
	s_or_b32 exec_lo, exec_lo, s0
	s_mov_b32 s0, exec_lo
	v_cmpx_ne_u32_e64 v208, v202
	s_xor_b32 s0, exec_lo, s0
	s_cbranch_execz .LBB94_436
; %bb.431:
	s_mov_b32 s7, exec_lo
	v_cmpx_eq_u32_e32 20, v208
	s_cbranch_execz .LBB94_435
; %bb.432:
	v_cmp_ne_u32_e32 vcc_lo, 20, v202
	s_xor_b32 s8, s16, -1
	s_and_b32 s9, s8, vcc_lo
	s_and_saveexec_b32 s8, s9
	s_cbranch_execz .LBB94_434
; %bb.433:
	v_ashrrev_i32_e32 v203, 31, v202
	v_lshlrev_b64 v[208:209], 2, v[202:203]
	v_add_co_u32 v208, vcc_lo, v200, v208
	v_add_co_ci_u32_e64 v209, null, v201, v209, vcc_lo
	s_clause 0x1
	global_load_dword v0, v[208:209], off
	global_load_dword v203, v[200:201], off offset:80
	s_waitcnt vmcnt(1)
	global_store_dword v[200:201], v0, off offset:80
	s_waitcnt vmcnt(0)
	global_store_dword v[208:209], v203, off
.LBB94_434:
	s_or_b32 exec_lo, exec_lo, s8
	v_mov_b32_e32 v208, v202
	v_mov_b32_e32 v0, v202
.LBB94_435:
	s_or_b32 exec_lo, exec_lo, s7
.LBB94_436:
	s_andn2_saveexec_b32 s0, s0
	s_cbranch_execz .LBB94_438
; %bb.437:
	v_mov_b32_e32 v208, 20
	ds_write2_b64 v1, v[130:131], v[132:133] offset0:42 offset1:43
	ds_write2_b64 v1, v[126:127], v[128:129] offset0:44 offset1:45
	;; [unrolled: 1-line block ×27, first 2 shown]
.LBB94_438:
	s_or_b32 exec_lo, exec_lo, s0
	s_mov_b32 s0, exec_lo
	s_waitcnt lgkmcnt(0)
	s_waitcnt_vscnt null, 0x0
	s_barrier
	buffer_gl0_inv
	v_cmpx_lt_i32_e32 20, v208
	s_cbranch_execz .LBB94_440
; %bb.439:
	v_mul_f64 v[202:203], v[196:197], v[152:153]
	v_mul_f64 v[152:153], v[194:195], v[152:153]
	v_fma_f64 v[202:203], v[194:195], v[150:151], -v[202:203]
	v_fma_f64 v[152:153], v[196:197], v[150:151], v[152:153]
	ds_read2_b64 v[194:197], v1 offset0:42 offset1:43
	s_waitcnt lgkmcnt(0)
	v_mul_f64 v[150:151], v[196:197], v[152:153]
	v_fma_f64 v[150:151], v[194:195], v[202:203], -v[150:151]
	v_mul_f64 v[194:195], v[194:195], v[152:153]
	v_add_f64 v[130:131], v[130:131], -v[150:151]
	v_fma_f64 v[194:195], v[196:197], v[202:203], v[194:195]
	v_add_f64 v[132:133], v[132:133], -v[194:195]
	ds_read2_b64 v[194:197], v1 offset0:44 offset1:45
	s_waitcnt lgkmcnt(0)
	v_mul_f64 v[150:151], v[196:197], v[152:153]
	v_fma_f64 v[150:151], v[194:195], v[202:203], -v[150:151]
	v_mul_f64 v[194:195], v[194:195], v[152:153]
	v_add_f64 v[126:127], v[126:127], -v[150:151]
	v_fma_f64 v[194:195], v[196:197], v[202:203], v[194:195]
	v_add_f64 v[128:129], v[128:129], -v[194:195]
	;; [unrolled: 8-line block ×26, first 2 shown]
	ds_read2_b64 v[194:197], v1 offset0:94 offset1:95
	s_waitcnt lgkmcnt(0)
	v_mul_f64 v[150:151], v[196:197], v[152:153]
	v_fma_f64 v[150:151], v[194:195], v[202:203], -v[150:151]
	v_mul_f64 v[194:195], v[194:195], v[152:153]
	v_add_f64 v[2:3], v[2:3], -v[150:151]
	v_fma_f64 v[194:195], v[196:197], v[202:203], v[194:195]
	v_mov_b32_e32 v150, v202
	v_mov_b32_e32 v151, v203
	v_add_f64 v[4:5], v[4:5], -v[194:195]
.LBB94_440:
	s_or_b32 exec_lo, exec_lo, s0
	v_lshl_add_u32 v194, v208, 4, v1
	s_barrier
	buffer_gl0_inv
	v_mov_b32_e32 v202, 21
	ds_write2_b64 v194, v[130:131], v[132:133] offset1:1
	s_waitcnt lgkmcnt(0)
	s_barrier
	buffer_gl0_inv
	ds_read2_b64 v[194:197], v1 offset0:42 offset1:43
	s_cmp_lt_i32 s1, 23
	s_cbranch_scc1 .LBB94_443
; %bb.441:
	v_add3_u32 v203, v204, 0, 0x160
	v_mov_b32_e32 v202, 21
	s_mov_b32 s7, 22
	s_inst_prefetch 0x1
	.p2align	6
.LBB94_442:                             ; =>This Inner Loop Header: Depth=1
	s_waitcnt lgkmcnt(0)
	v_cmp_gt_f64_e32 vcc_lo, 0, v[196:197]
	v_cmp_gt_f64_e64 s0, 0, v[194:195]
	ds_read2_b64 v[209:212], v203 offset1:1
	v_xor_b32_e32 v214, 0x80000000, v195
	v_xor_b32_e32 v216, 0x80000000, v197
	v_mov_b32_e32 v213, v194
	v_mov_b32_e32 v215, v196
	v_add_nc_u32_e32 v203, 16, v203
	s_waitcnt lgkmcnt(0)
	v_xor_b32_e32 v218, 0x80000000, v212
	v_cndmask_b32_e64 v214, v195, v214, s0
	v_cndmask_b32_e32 v216, v197, v216, vcc_lo
	v_cmp_gt_f64_e32 vcc_lo, 0, v[211:212]
	v_cmp_gt_f64_e64 s0, 0, v[209:210]
	v_mov_b32_e32 v217, v211
	v_add_f64 v[213:214], v[213:214], v[215:216]
	v_xor_b32_e32 v216, 0x80000000, v210
	v_mov_b32_e32 v215, v209
	v_cndmask_b32_e32 v218, v212, v218, vcc_lo
	v_cndmask_b32_e64 v216, v210, v216, s0
	v_add_f64 v[215:216], v[215:216], v[217:218]
	v_cmp_lt_f64_e32 vcc_lo, v[213:214], v[215:216]
	v_cndmask_b32_e32 v195, v195, v210, vcc_lo
	v_cndmask_b32_e32 v194, v194, v209, vcc_lo
	v_cndmask_b32_e32 v197, v197, v212, vcc_lo
	v_cndmask_b32_e32 v196, v196, v211, vcc_lo
	v_cndmask_b32_e64 v202, v202, s7, vcc_lo
	s_add_i32 s7, s7, 1
	s_cmp_lg_u32 s1, s7
	s_cbranch_scc1 .LBB94_442
.LBB94_443:
	s_inst_prefetch 0x2
	s_waitcnt lgkmcnt(0)
	v_cmp_eq_f64_e32 vcc_lo, 0, v[194:195]
	v_cmp_eq_f64_e64 s0, 0, v[196:197]
	s_and_b32 s0, vcc_lo, s0
	s_and_saveexec_b32 s7, s0
	s_xor_b32 s0, exec_lo, s7
; %bb.444:
	v_cmp_ne_u32_e32 vcc_lo, 0, v207
	v_cndmask_b32_e32 v207, 22, v207, vcc_lo
; %bb.445:
	s_andn2_saveexec_b32 s0, s0
	s_cbranch_execz .LBB94_451
; %bb.446:
	v_cmp_ngt_f64_e64 s7, |v[194:195]|, |v[196:197]|
	s_and_saveexec_b32 s8, s7
	s_xor_b32 s7, exec_lo, s8
	s_cbranch_execz .LBB94_448
; %bb.447:
	v_div_scale_f64 v[209:210], null, v[196:197], v[196:197], v[194:195]
	v_div_scale_f64 v[215:216], vcc_lo, v[194:195], v[196:197], v[194:195]
	v_rcp_f64_e32 v[211:212], v[209:210]
	v_fma_f64 v[213:214], -v[209:210], v[211:212], 1.0
	v_fma_f64 v[211:212], v[211:212], v[213:214], v[211:212]
	v_fma_f64 v[213:214], -v[209:210], v[211:212], 1.0
	v_fma_f64 v[211:212], v[211:212], v[213:214], v[211:212]
	v_mul_f64 v[213:214], v[215:216], v[211:212]
	v_fma_f64 v[209:210], -v[209:210], v[213:214], v[215:216]
	v_div_fmas_f64 v[209:210], v[209:210], v[211:212], v[213:214]
	v_div_fixup_f64 v[209:210], v[209:210], v[196:197], v[194:195]
	v_fma_f64 v[194:195], v[194:195], v[209:210], v[196:197]
	v_div_scale_f64 v[196:197], null, v[194:195], v[194:195], 1.0
	v_rcp_f64_e32 v[211:212], v[196:197]
	v_fma_f64 v[213:214], -v[196:197], v[211:212], 1.0
	v_fma_f64 v[211:212], v[211:212], v[213:214], v[211:212]
	v_fma_f64 v[213:214], -v[196:197], v[211:212], 1.0
	v_fma_f64 v[211:212], v[211:212], v[213:214], v[211:212]
	v_div_scale_f64 v[213:214], vcc_lo, 1.0, v[194:195], 1.0
	v_mul_f64 v[215:216], v[213:214], v[211:212]
	v_fma_f64 v[196:197], -v[196:197], v[215:216], v[213:214]
	v_div_fmas_f64 v[196:197], v[196:197], v[211:212], v[215:216]
	v_div_fixup_f64 v[196:197], v[196:197], v[194:195], 1.0
	v_mul_f64 v[194:195], v[209:210], v[196:197]
	v_xor_b32_e32 v197, 0x80000000, v197
.LBB94_448:
	s_andn2_saveexec_b32 s7, s7
	s_cbranch_execz .LBB94_450
; %bb.449:
	v_div_scale_f64 v[209:210], null, v[194:195], v[194:195], v[196:197]
	v_div_scale_f64 v[215:216], vcc_lo, v[196:197], v[194:195], v[196:197]
	v_rcp_f64_e32 v[211:212], v[209:210]
	v_fma_f64 v[213:214], -v[209:210], v[211:212], 1.0
	v_fma_f64 v[211:212], v[211:212], v[213:214], v[211:212]
	v_fma_f64 v[213:214], -v[209:210], v[211:212], 1.0
	v_fma_f64 v[211:212], v[211:212], v[213:214], v[211:212]
	v_mul_f64 v[213:214], v[215:216], v[211:212]
	v_fma_f64 v[209:210], -v[209:210], v[213:214], v[215:216]
	v_div_fmas_f64 v[209:210], v[209:210], v[211:212], v[213:214]
	v_div_fixup_f64 v[209:210], v[209:210], v[194:195], v[196:197]
	v_fma_f64 v[194:195], v[196:197], v[209:210], v[194:195]
	v_div_scale_f64 v[196:197], null, v[194:195], v[194:195], 1.0
	v_rcp_f64_e32 v[211:212], v[196:197]
	v_fma_f64 v[213:214], -v[196:197], v[211:212], 1.0
	v_fma_f64 v[211:212], v[211:212], v[213:214], v[211:212]
	v_fma_f64 v[213:214], -v[196:197], v[211:212], 1.0
	v_fma_f64 v[211:212], v[211:212], v[213:214], v[211:212]
	v_div_scale_f64 v[213:214], vcc_lo, 1.0, v[194:195], 1.0
	v_mul_f64 v[215:216], v[213:214], v[211:212]
	v_fma_f64 v[196:197], -v[196:197], v[215:216], v[213:214]
	v_div_fmas_f64 v[196:197], v[196:197], v[211:212], v[215:216]
	v_div_fixup_f64 v[194:195], v[196:197], v[194:195], 1.0
	v_mul_f64 v[196:197], v[209:210], -v[194:195]
.LBB94_450:
	s_or_b32 exec_lo, exec_lo, s7
.LBB94_451:
	s_or_b32 exec_lo, exec_lo, s0
	s_mov_b32 s0, exec_lo
	v_cmpx_ne_u32_e64 v208, v202
	s_xor_b32 s0, exec_lo, s0
	s_cbranch_execz .LBB94_457
; %bb.452:
	s_mov_b32 s7, exec_lo
	v_cmpx_eq_u32_e32 21, v208
	s_cbranch_execz .LBB94_456
; %bb.453:
	v_cmp_ne_u32_e32 vcc_lo, 21, v202
	s_xor_b32 s8, s16, -1
	s_and_b32 s9, s8, vcc_lo
	s_and_saveexec_b32 s8, s9
	s_cbranch_execz .LBB94_455
; %bb.454:
	v_ashrrev_i32_e32 v203, 31, v202
	v_lshlrev_b64 v[208:209], 2, v[202:203]
	v_add_co_u32 v208, vcc_lo, v200, v208
	v_add_co_ci_u32_e64 v209, null, v201, v209, vcc_lo
	s_clause 0x1
	global_load_dword v0, v[208:209], off
	global_load_dword v203, v[200:201], off offset:84
	s_waitcnt vmcnt(1)
	global_store_dword v[200:201], v0, off offset:84
	s_waitcnt vmcnt(0)
	global_store_dword v[208:209], v203, off
.LBB94_455:
	s_or_b32 exec_lo, exec_lo, s8
	v_mov_b32_e32 v208, v202
	v_mov_b32_e32 v0, v202
.LBB94_456:
	s_or_b32 exec_lo, exec_lo, s7
.LBB94_457:
	s_andn2_saveexec_b32 s0, s0
	s_cbranch_execz .LBB94_459
; %bb.458:
	v_mov_b32_e32 v208, 21
	ds_write2_b64 v1, v[126:127], v[128:129] offset0:44 offset1:45
	ds_write2_b64 v1, v[106:107], v[108:109] offset0:46 offset1:47
	;; [unrolled: 1-line block ×26, first 2 shown]
.LBB94_459:
	s_or_b32 exec_lo, exec_lo, s0
	s_mov_b32 s0, exec_lo
	s_waitcnt lgkmcnt(0)
	s_waitcnt_vscnt null, 0x0
	s_barrier
	buffer_gl0_inv
	v_cmpx_lt_i32_e32 21, v208
	s_cbranch_execz .LBB94_461
; %bb.460:
	v_mul_f64 v[202:203], v[196:197], v[132:133]
	v_mul_f64 v[132:133], v[194:195], v[132:133]
	v_fma_f64 v[202:203], v[194:195], v[130:131], -v[202:203]
	v_fma_f64 v[132:133], v[196:197], v[130:131], v[132:133]
	ds_read2_b64 v[194:197], v1 offset0:44 offset1:45
	s_waitcnt lgkmcnt(0)
	v_mul_f64 v[130:131], v[196:197], v[132:133]
	v_fma_f64 v[130:131], v[194:195], v[202:203], -v[130:131]
	v_mul_f64 v[194:195], v[194:195], v[132:133]
	v_add_f64 v[126:127], v[126:127], -v[130:131]
	v_fma_f64 v[194:195], v[196:197], v[202:203], v[194:195]
	v_add_f64 v[128:129], v[128:129], -v[194:195]
	ds_read2_b64 v[194:197], v1 offset0:46 offset1:47
	s_waitcnt lgkmcnt(0)
	v_mul_f64 v[130:131], v[196:197], v[132:133]
	v_fma_f64 v[130:131], v[194:195], v[202:203], -v[130:131]
	v_mul_f64 v[194:195], v[194:195], v[132:133]
	v_add_f64 v[106:107], v[106:107], -v[130:131]
	v_fma_f64 v[194:195], v[196:197], v[202:203], v[194:195]
	v_add_f64 v[108:109], v[108:109], -v[194:195]
	;; [unrolled: 8-line block ×25, first 2 shown]
	ds_read2_b64 v[194:197], v1 offset0:94 offset1:95
	s_waitcnt lgkmcnt(0)
	v_mul_f64 v[130:131], v[196:197], v[132:133]
	v_fma_f64 v[130:131], v[194:195], v[202:203], -v[130:131]
	v_mul_f64 v[194:195], v[194:195], v[132:133]
	v_add_f64 v[2:3], v[2:3], -v[130:131]
	v_fma_f64 v[194:195], v[196:197], v[202:203], v[194:195]
	v_mov_b32_e32 v130, v202
	v_mov_b32_e32 v131, v203
	v_add_f64 v[4:5], v[4:5], -v[194:195]
.LBB94_461:
	s_or_b32 exec_lo, exec_lo, s0
	v_lshl_add_u32 v194, v208, 4, v1
	s_barrier
	buffer_gl0_inv
	v_mov_b32_e32 v202, 22
	ds_write2_b64 v194, v[126:127], v[128:129] offset1:1
	s_waitcnt lgkmcnt(0)
	s_barrier
	buffer_gl0_inv
	ds_read2_b64 v[194:197], v1 offset0:44 offset1:45
	s_cmp_lt_i32 s1, 24
	s_cbranch_scc1 .LBB94_464
; %bb.462:
	v_add3_u32 v203, v204, 0, 0x170
	v_mov_b32_e32 v202, 22
	s_mov_b32 s7, 23
	s_inst_prefetch 0x1
	.p2align	6
.LBB94_463:                             ; =>This Inner Loop Header: Depth=1
	s_waitcnt lgkmcnt(0)
	v_cmp_gt_f64_e32 vcc_lo, 0, v[196:197]
	v_cmp_gt_f64_e64 s0, 0, v[194:195]
	ds_read2_b64 v[209:212], v203 offset1:1
	v_xor_b32_e32 v214, 0x80000000, v195
	v_xor_b32_e32 v216, 0x80000000, v197
	v_mov_b32_e32 v213, v194
	v_mov_b32_e32 v215, v196
	v_add_nc_u32_e32 v203, 16, v203
	s_waitcnt lgkmcnt(0)
	v_xor_b32_e32 v218, 0x80000000, v212
	v_cndmask_b32_e64 v214, v195, v214, s0
	v_cndmask_b32_e32 v216, v197, v216, vcc_lo
	v_cmp_gt_f64_e32 vcc_lo, 0, v[211:212]
	v_cmp_gt_f64_e64 s0, 0, v[209:210]
	v_mov_b32_e32 v217, v211
	v_add_f64 v[213:214], v[213:214], v[215:216]
	v_xor_b32_e32 v216, 0x80000000, v210
	v_mov_b32_e32 v215, v209
	v_cndmask_b32_e32 v218, v212, v218, vcc_lo
	v_cndmask_b32_e64 v216, v210, v216, s0
	v_add_f64 v[215:216], v[215:216], v[217:218]
	v_cmp_lt_f64_e32 vcc_lo, v[213:214], v[215:216]
	v_cndmask_b32_e32 v195, v195, v210, vcc_lo
	v_cndmask_b32_e32 v194, v194, v209, vcc_lo
	;; [unrolled: 1-line block ×4, first 2 shown]
	v_cndmask_b32_e64 v202, v202, s7, vcc_lo
	s_add_i32 s7, s7, 1
	s_cmp_lg_u32 s1, s7
	s_cbranch_scc1 .LBB94_463
.LBB94_464:
	s_inst_prefetch 0x2
	s_waitcnt lgkmcnt(0)
	v_cmp_eq_f64_e32 vcc_lo, 0, v[194:195]
	v_cmp_eq_f64_e64 s0, 0, v[196:197]
	s_and_b32 s0, vcc_lo, s0
	s_and_saveexec_b32 s7, s0
	s_xor_b32 s0, exec_lo, s7
; %bb.465:
	v_cmp_ne_u32_e32 vcc_lo, 0, v207
	v_cndmask_b32_e32 v207, 23, v207, vcc_lo
; %bb.466:
	s_andn2_saveexec_b32 s0, s0
	s_cbranch_execz .LBB94_472
; %bb.467:
	v_cmp_ngt_f64_e64 s7, |v[194:195]|, |v[196:197]|
	s_and_saveexec_b32 s8, s7
	s_xor_b32 s7, exec_lo, s8
	s_cbranch_execz .LBB94_469
; %bb.468:
	v_div_scale_f64 v[209:210], null, v[196:197], v[196:197], v[194:195]
	v_div_scale_f64 v[215:216], vcc_lo, v[194:195], v[196:197], v[194:195]
	v_rcp_f64_e32 v[211:212], v[209:210]
	v_fma_f64 v[213:214], -v[209:210], v[211:212], 1.0
	v_fma_f64 v[211:212], v[211:212], v[213:214], v[211:212]
	v_fma_f64 v[213:214], -v[209:210], v[211:212], 1.0
	v_fma_f64 v[211:212], v[211:212], v[213:214], v[211:212]
	v_mul_f64 v[213:214], v[215:216], v[211:212]
	v_fma_f64 v[209:210], -v[209:210], v[213:214], v[215:216]
	v_div_fmas_f64 v[209:210], v[209:210], v[211:212], v[213:214]
	v_div_fixup_f64 v[209:210], v[209:210], v[196:197], v[194:195]
	v_fma_f64 v[194:195], v[194:195], v[209:210], v[196:197]
	v_div_scale_f64 v[196:197], null, v[194:195], v[194:195], 1.0
	v_rcp_f64_e32 v[211:212], v[196:197]
	v_fma_f64 v[213:214], -v[196:197], v[211:212], 1.0
	v_fma_f64 v[211:212], v[211:212], v[213:214], v[211:212]
	v_fma_f64 v[213:214], -v[196:197], v[211:212], 1.0
	v_fma_f64 v[211:212], v[211:212], v[213:214], v[211:212]
	v_div_scale_f64 v[213:214], vcc_lo, 1.0, v[194:195], 1.0
	v_mul_f64 v[215:216], v[213:214], v[211:212]
	v_fma_f64 v[196:197], -v[196:197], v[215:216], v[213:214]
	v_div_fmas_f64 v[196:197], v[196:197], v[211:212], v[215:216]
	v_div_fixup_f64 v[196:197], v[196:197], v[194:195], 1.0
	v_mul_f64 v[194:195], v[209:210], v[196:197]
	v_xor_b32_e32 v197, 0x80000000, v197
.LBB94_469:
	s_andn2_saveexec_b32 s7, s7
	s_cbranch_execz .LBB94_471
; %bb.470:
	v_div_scale_f64 v[209:210], null, v[194:195], v[194:195], v[196:197]
	v_div_scale_f64 v[215:216], vcc_lo, v[196:197], v[194:195], v[196:197]
	v_rcp_f64_e32 v[211:212], v[209:210]
	v_fma_f64 v[213:214], -v[209:210], v[211:212], 1.0
	v_fma_f64 v[211:212], v[211:212], v[213:214], v[211:212]
	v_fma_f64 v[213:214], -v[209:210], v[211:212], 1.0
	v_fma_f64 v[211:212], v[211:212], v[213:214], v[211:212]
	v_mul_f64 v[213:214], v[215:216], v[211:212]
	v_fma_f64 v[209:210], -v[209:210], v[213:214], v[215:216]
	v_div_fmas_f64 v[209:210], v[209:210], v[211:212], v[213:214]
	v_div_fixup_f64 v[209:210], v[209:210], v[194:195], v[196:197]
	v_fma_f64 v[194:195], v[196:197], v[209:210], v[194:195]
	v_div_scale_f64 v[196:197], null, v[194:195], v[194:195], 1.0
	v_rcp_f64_e32 v[211:212], v[196:197]
	v_fma_f64 v[213:214], -v[196:197], v[211:212], 1.0
	v_fma_f64 v[211:212], v[211:212], v[213:214], v[211:212]
	v_fma_f64 v[213:214], -v[196:197], v[211:212], 1.0
	v_fma_f64 v[211:212], v[211:212], v[213:214], v[211:212]
	v_div_scale_f64 v[213:214], vcc_lo, 1.0, v[194:195], 1.0
	v_mul_f64 v[215:216], v[213:214], v[211:212]
	v_fma_f64 v[196:197], -v[196:197], v[215:216], v[213:214]
	v_div_fmas_f64 v[196:197], v[196:197], v[211:212], v[215:216]
	v_div_fixup_f64 v[194:195], v[196:197], v[194:195], 1.0
	v_mul_f64 v[196:197], v[209:210], -v[194:195]
.LBB94_471:
	s_or_b32 exec_lo, exec_lo, s7
.LBB94_472:
	s_or_b32 exec_lo, exec_lo, s0
	s_mov_b32 s0, exec_lo
	v_cmpx_ne_u32_e64 v208, v202
	s_xor_b32 s0, exec_lo, s0
	s_cbranch_execz .LBB94_478
; %bb.473:
	s_mov_b32 s7, exec_lo
	v_cmpx_eq_u32_e32 22, v208
	s_cbranch_execz .LBB94_477
; %bb.474:
	v_cmp_ne_u32_e32 vcc_lo, 22, v202
	s_xor_b32 s8, s16, -1
	s_and_b32 s9, s8, vcc_lo
	s_and_saveexec_b32 s8, s9
	s_cbranch_execz .LBB94_476
; %bb.475:
	v_ashrrev_i32_e32 v203, 31, v202
	v_lshlrev_b64 v[208:209], 2, v[202:203]
	v_add_co_u32 v208, vcc_lo, v200, v208
	v_add_co_ci_u32_e64 v209, null, v201, v209, vcc_lo
	s_clause 0x1
	global_load_dword v0, v[208:209], off
	global_load_dword v203, v[200:201], off offset:88
	s_waitcnt vmcnt(1)
	global_store_dword v[200:201], v0, off offset:88
	s_waitcnt vmcnt(0)
	global_store_dword v[208:209], v203, off
.LBB94_476:
	s_or_b32 exec_lo, exec_lo, s8
	v_mov_b32_e32 v208, v202
	v_mov_b32_e32 v0, v202
.LBB94_477:
	s_or_b32 exec_lo, exec_lo, s7
.LBB94_478:
	s_andn2_saveexec_b32 s0, s0
	s_cbranch_execz .LBB94_480
; %bb.479:
	v_mov_b32_e32 v208, 22
	ds_write2_b64 v1, v[106:107], v[108:109] offset0:46 offset1:47
	ds_write2_b64 v1, v[102:103], v[104:105] offset0:48 offset1:49
	;; [unrolled: 1-line block ×25, first 2 shown]
.LBB94_480:
	s_or_b32 exec_lo, exec_lo, s0
	s_mov_b32 s0, exec_lo
	s_waitcnt lgkmcnt(0)
	s_waitcnt_vscnt null, 0x0
	s_barrier
	buffer_gl0_inv
	v_cmpx_lt_i32_e32 22, v208
	s_cbranch_execz .LBB94_482
; %bb.481:
	v_mul_f64 v[202:203], v[196:197], v[128:129]
	v_mul_f64 v[128:129], v[194:195], v[128:129]
	v_fma_f64 v[202:203], v[194:195], v[126:127], -v[202:203]
	v_fma_f64 v[128:129], v[196:197], v[126:127], v[128:129]
	ds_read2_b64 v[194:197], v1 offset0:46 offset1:47
	s_waitcnt lgkmcnt(0)
	v_mul_f64 v[126:127], v[196:197], v[128:129]
	v_fma_f64 v[126:127], v[194:195], v[202:203], -v[126:127]
	v_mul_f64 v[194:195], v[194:195], v[128:129]
	v_add_f64 v[106:107], v[106:107], -v[126:127]
	v_fma_f64 v[194:195], v[196:197], v[202:203], v[194:195]
	v_add_f64 v[108:109], v[108:109], -v[194:195]
	ds_read2_b64 v[194:197], v1 offset0:48 offset1:49
	s_waitcnt lgkmcnt(0)
	v_mul_f64 v[126:127], v[196:197], v[128:129]
	v_fma_f64 v[126:127], v[194:195], v[202:203], -v[126:127]
	v_mul_f64 v[194:195], v[194:195], v[128:129]
	v_add_f64 v[102:103], v[102:103], -v[126:127]
	v_fma_f64 v[194:195], v[196:197], v[202:203], v[194:195]
	v_add_f64 v[104:105], v[104:105], -v[194:195]
	;; [unrolled: 8-line block ×24, first 2 shown]
	ds_read2_b64 v[194:197], v1 offset0:94 offset1:95
	s_waitcnt lgkmcnt(0)
	v_mul_f64 v[126:127], v[196:197], v[128:129]
	v_fma_f64 v[126:127], v[194:195], v[202:203], -v[126:127]
	v_mul_f64 v[194:195], v[194:195], v[128:129]
	v_add_f64 v[2:3], v[2:3], -v[126:127]
	v_fma_f64 v[194:195], v[196:197], v[202:203], v[194:195]
	v_mov_b32_e32 v126, v202
	v_mov_b32_e32 v127, v203
	v_add_f64 v[4:5], v[4:5], -v[194:195]
.LBB94_482:
	s_or_b32 exec_lo, exec_lo, s0
	v_lshl_add_u32 v194, v208, 4, v1
	s_barrier
	buffer_gl0_inv
	v_mov_b32_e32 v202, 23
	ds_write2_b64 v194, v[106:107], v[108:109] offset1:1
	s_waitcnt lgkmcnt(0)
	s_barrier
	buffer_gl0_inv
	ds_read2_b64 v[194:197], v1 offset0:46 offset1:47
	s_cmp_lt_i32 s1, 25
	s_cbranch_scc1 .LBB94_485
; %bb.483:
	v_add3_u32 v203, v204, 0, 0x180
	v_mov_b32_e32 v202, 23
	s_mov_b32 s7, 24
	s_inst_prefetch 0x1
	.p2align	6
.LBB94_484:                             ; =>This Inner Loop Header: Depth=1
	s_waitcnt lgkmcnt(0)
	v_cmp_gt_f64_e32 vcc_lo, 0, v[196:197]
	v_cmp_gt_f64_e64 s0, 0, v[194:195]
	ds_read2_b64 v[209:212], v203 offset1:1
	v_xor_b32_e32 v214, 0x80000000, v195
	v_xor_b32_e32 v216, 0x80000000, v197
	v_mov_b32_e32 v213, v194
	v_mov_b32_e32 v215, v196
	v_add_nc_u32_e32 v203, 16, v203
	s_waitcnt lgkmcnt(0)
	v_xor_b32_e32 v218, 0x80000000, v212
	v_cndmask_b32_e64 v214, v195, v214, s0
	v_cndmask_b32_e32 v216, v197, v216, vcc_lo
	v_cmp_gt_f64_e32 vcc_lo, 0, v[211:212]
	v_cmp_gt_f64_e64 s0, 0, v[209:210]
	v_mov_b32_e32 v217, v211
	v_add_f64 v[213:214], v[213:214], v[215:216]
	v_xor_b32_e32 v216, 0x80000000, v210
	v_mov_b32_e32 v215, v209
	v_cndmask_b32_e32 v218, v212, v218, vcc_lo
	v_cndmask_b32_e64 v216, v210, v216, s0
	v_add_f64 v[215:216], v[215:216], v[217:218]
	v_cmp_lt_f64_e32 vcc_lo, v[213:214], v[215:216]
	v_cndmask_b32_e32 v195, v195, v210, vcc_lo
	v_cndmask_b32_e32 v194, v194, v209, vcc_lo
	;; [unrolled: 1-line block ×4, first 2 shown]
	v_cndmask_b32_e64 v202, v202, s7, vcc_lo
	s_add_i32 s7, s7, 1
	s_cmp_lg_u32 s1, s7
	s_cbranch_scc1 .LBB94_484
.LBB94_485:
	s_inst_prefetch 0x2
	s_waitcnt lgkmcnt(0)
	v_cmp_eq_f64_e32 vcc_lo, 0, v[194:195]
	v_cmp_eq_f64_e64 s0, 0, v[196:197]
	s_and_b32 s0, vcc_lo, s0
	s_and_saveexec_b32 s7, s0
	s_xor_b32 s0, exec_lo, s7
; %bb.486:
	v_cmp_ne_u32_e32 vcc_lo, 0, v207
	v_cndmask_b32_e32 v207, 24, v207, vcc_lo
; %bb.487:
	s_andn2_saveexec_b32 s0, s0
	s_cbranch_execz .LBB94_493
; %bb.488:
	v_cmp_ngt_f64_e64 s7, |v[194:195]|, |v[196:197]|
	s_and_saveexec_b32 s8, s7
	s_xor_b32 s7, exec_lo, s8
	s_cbranch_execz .LBB94_490
; %bb.489:
	v_div_scale_f64 v[209:210], null, v[196:197], v[196:197], v[194:195]
	v_div_scale_f64 v[215:216], vcc_lo, v[194:195], v[196:197], v[194:195]
	v_rcp_f64_e32 v[211:212], v[209:210]
	v_fma_f64 v[213:214], -v[209:210], v[211:212], 1.0
	v_fma_f64 v[211:212], v[211:212], v[213:214], v[211:212]
	v_fma_f64 v[213:214], -v[209:210], v[211:212], 1.0
	v_fma_f64 v[211:212], v[211:212], v[213:214], v[211:212]
	v_mul_f64 v[213:214], v[215:216], v[211:212]
	v_fma_f64 v[209:210], -v[209:210], v[213:214], v[215:216]
	v_div_fmas_f64 v[209:210], v[209:210], v[211:212], v[213:214]
	v_div_fixup_f64 v[209:210], v[209:210], v[196:197], v[194:195]
	v_fma_f64 v[194:195], v[194:195], v[209:210], v[196:197]
	v_div_scale_f64 v[196:197], null, v[194:195], v[194:195], 1.0
	v_rcp_f64_e32 v[211:212], v[196:197]
	v_fma_f64 v[213:214], -v[196:197], v[211:212], 1.0
	v_fma_f64 v[211:212], v[211:212], v[213:214], v[211:212]
	v_fma_f64 v[213:214], -v[196:197], v[211:212], 1.0
	v_fma_f64 v[211:212], v[211:212], v[213:214], v[211:212]
	v_div_scale_f64 v[213:214], vcc_lo, 1.0, v[194:195], 1.0
	v_mul_f64 v[215:216], v[213:214], v[211:212]
	v_fma_f64 v[196:197], -v[196:197], v[215:216], v[213:214]
	v_div_fmas_f64 v[196:197], v[196:197], v[211:212], v[215:216]
	v_div_fixup_f64 v[196:197], v[196:197], v[194:195], 1.0
	v_mul_f64 v[194:195], v[209:210], v[196:197]
	v_xor_b32_e32 v197, 0x80000000, v197
.LBB94_490:
	s_andn2_saveexec_b32 s7, s7
	s_cbranch_execz .LBB94_492
; %bb.491:
	v_div_scale_f64 v[209:210], null, v[194:195], v[194:195], v[196:197]
	v_div_scale_f64 v[215:216], vcc_lo, v[196:197], v[194:195], v[196:197]
	v_rcp_f64_e32 v[211:212], v[209:210]
	v_fma_f64 v[213:214], -v[209:210], v[211:212], 1.0
	v_fma_f64 v[211:212], v[211:212], v[213:214], v[211:212]
	v_fma_f64 v[213:214], -v[209:210], v[211:212], 1.0
	v_fma_f64 v[211:212], v[211:212], v[213:214], v[211:212]
	v_mul_f64 v[213:214], v[215:216], v[211:212]
	v_fma_f64 v[209:210], -v[209:210], v[213:214], v[215:216]
	v_div_fmas_f64 v[209:210], v[209:210], v[211:212], v[213:214]
	v_div_fixup_f64 v[209:210], v[209:210], v[194:195], v[196:197]
	v_fma_f64 v[194:195], v[196:197], v[209:210], v[194:195]
	v_div_scale_f64 v[196:197], null, v[194:195], v[194:195], 1.0
	v_rcp_f64_e32 v[211:212], v[196:197]
	v_fma_f64 v[213:214], -v[196:197], v[211:212], 1.0
	v_fma_f64 v[211:212], v[211:212], v[213:214], v[211:212]
	v_fma_f64 v[213:214], -v[196:197], v[211:212], 1.0
	v_fma_f64 v[211:212], v[211:212], v[213:214], v[211:212]
	v_div_scale_f64 v[213:214], vcc_lo, 1.0, v[194:195], 1.0
	v_mul_f64 v[215:216], v[213:214], v[211:212]
	v_fma_f64 v[196:197], -v[196:197], v[215:216], v[213:214]
	v_div_fmas_f64 v[196:197], v[196:197], v[211:212], v[215:216]
	v_div_fixup_f64 v[194:195], v[196:197], v[194:195], 1.0
	v_mul_f64 v[196:197], v[209:210], -v[194:195]
.LBB94_492:
	s_or_b32 exec_lo, exec_lo, s7
.LBB94_493:
	s_or_b32 exec_lo, exec_lo, s0
	s_mov_b32 s0, exec_lo
	v_cmpx_ne_u32_e64 v208, v202
	s_xor_b32 s0, exec_lo, s0
	s_cbranch_execz .LBB94_499
; %bb.494:
	s_mov_b32 s7, exec_lo
	v_cmpx_eq_u32_e32 23, v208
	s_cbranch_execz .LBB94_498
; %bb.495:
	v_cmp_ne_u32_e32 vcc_lo, 23, v202
	s_xor_b32 s8, s16, -1
	s_and_b32 s9, s8, vcc_lo
	s_and_saveexec_b32 s8, s9
	s_cbranch_execz .LBB94_497
; %bb.496:
	v_ashrrev_i32_e32 v203, 31, v202
	v_lshlrev_b64 v[208:209], 2, v[202:203]
	v_add_co_u32 v208, vcc_lo, v200, v208
	v_add_co_ci_u32_e64 v209, null, v201, v209, vcc_lo
	s_clause 0x1
	global_load_dword v0, v[208:209], off
	global_load_dword v203, v[200:201], off offset:92
	s_waitcnt vmcnt(1)
	global_store_dword v[200:201], v0, off offset:92
	s_waitcnt vmcnt(0)
	global_store_dword v[208:209], v203, off
.LBB94_497:
	s_or_b32 exec_lo, exec_lo, s8
	v_mov_b32_e32 v208, v202
	v_mov_b32_e32 v0, v202
.LBB94_498:
	s_or_b32 exec_lo, exec_lo, s7
.LBB94_499:
	s_andn2_saveexec_b32 s0, s0
	s_cbranch_execz .LBB94_501
; %bb.500:
	v_mov_b32_e32 v208, 23
	ds_write2_b64 v1, v[102:103], v[104:105] offset0:48 offset1:49
	ds_write2_b64 v1, v[98:99], v[100:101] offset0:50 offset1:51
	;; [unrolled: 1-line block ×24, first 2 shown]
.LBB94_501:
	s_or_b32 exec_lo, exec_lo, s0
	s_mov_b32 s0, exec_lo
	s_waitcnt lgkmcnt(0)
	s_waitcnt_vscnt null, 0x0
	s_barrier
	buffer_gl0_inv
	v_cmpx_lt_i32_e32 23, v208
	s_cbranch_execz .LBB94_503
; %bb.502:
	v_mul_f64 v[202:203], v[196:197], v[108:109]
	v_mul_f64 v[108:109], v[194:195], v[108:109]
	v_fma_f64 v[202:203], v[194:195], v[106:107], -v[202:203]
	v_fma_f64 v[108:109], v[196:197], v[106:107], v[108:109]
	ds_read2_b64 v[194:197], v1 offset0:48 offset1:49
	s_waitcnt lgkmcnt(0)
	v_mul_f64 v[106:107], v[196:197], v[108:109]
	v_fma_f64 v[106:107], v[194:195], v[202:203], -v[106:107]
	v_mul_f64 v[194:195], v[194:195], v[108:109]
	v_add_f64 v[102:103], v[102:103], -v[106:107]
	v_fma_f64 v[194:195], v[196:197], v[202:203], v[194:195]
	v_add_f64 v[104:105], v[104:105], -v[194:195]
	ds_read2_b64 v[194:197], v1 offset0:50 offset1:51
	s_waitcnt lgkmcnt(0)
	v_mul_f64 v[106:107], v[196:197], v[108:109]
	v_fma_f64 v[106:107], v[194:195], v[202:203], -v[106:107]
	v_mul_f64 v[194:195], v[194:195], v[108:109]
	v_add_f64 v[98:99], v[98:99], -v[106:107]
	v_fma_f64 v[194:195], v[196:197], v[202:203], v[194:195]
	v_add_f64 v[100:101], v[100:101], -v[194:195]
	;; [unrolled: 8-line block ×23, first 2 shown]
	ds_read2_b64 v[194:197], v1 offset0:94 offset1:95
	s_waitcnt lgkmcnt(0)
	v_mul_f64 v[106:107], v[196:197], v[108:109]
	v_fma_f64 v[106:107], v[194:195], v[202:203], -v[106:107]
	v_mul_f64 v[194:195], v[194:195], v[108:109]
	v_add_f64 v[2:3], v[2:3], -v[106:107]
	v_fma_f64 v[194:195], v[196:197], v[202:203], v[194:195]
	v_mov_b32_e32 v106, v202
	v_mov_b32_e32 v107, v203
	v_add_f64 v[4:5], v[4:5], -v[194:195]
.LBB94_503:
	s_or_b32 exec_lo, exec_lo, s0
	v_lshl_add_u32 v194, v208, 4, v1
	s_barrier
	buffer_gl0_inv
	v_mov_b32_e32 v202, 24
	ds_write2_b64 v194, v[102:103], v[104:105] offset1:1
	s_waitcnt lgkmcnt(0)
	s_barrier
	buffer_gl0_inv
	ds_read2_b64 v[194:197], v1 offset0:48 offset1:49
	s_cmp_lt_i32 s1, 26
	s_cbranch_scc1 .LBB94_506
; %bb.504:
	v_add3_u32 v203, v204, 0, 0x190
	v_mov_b32_e32 v202, 24
	s_mov_b32 s7, 25
	s_inst_prefetch 0x1
	.p2align	6
.LBB94_505:                             ; =>This Inner Loop Header: Depth=1
	s_waitcnt lgkmcnt(0)
	v_cmp_gt_f64_e32 vcc_lo, 0, v[196:197]
	v_cmp_gt_f64_e64 s0, 0, v[194:195]
	ds_read2_b64 v[209:212], v203 offset1:1
	v_xor_b32_e32 v214, 0x80000000, v195
	v_xor_b32_e32 v216, 0x80000000, v197
	v_mov_b32_e32 v213, v194
	v_mov_b32_e32 v215, v196
	v_add_nc_u32_e32 v203, 16, v203
	s_waitcnt lgkmcnt(0)
	v_xor_b32_e32 v218, 0x80000000, v212
	v_cndmask_b32_e64 v214, v195, v214, s0
	v_cndmask_b32_e32 v216, v197, v216, vcc_lo
	v_cmp_gt_f64_e32 vcc_lo, 0, v[211:212]
	v_cmp_gt_f64_e64 s0, 0, v[209:210]
	v_mov_b32_e32 v217, v211
	v_add_f64 v[213:214], v[213:214], v[215:216]
	v_xor_b32_e32 v216, 0x80000000, v210
	v_mov_b32_e32 v215, v209
	v_cndmask_b32_e32 v218, v212, v218, vcc_lo
	v_cndmask_b32_e64 v216, v210, v216, s0
	v_add_f64 v[215:216], v[215:216], v[217:218]
	v_cmp_lt_f64_e32 vcc_lo, v[213:214], v[215:216]
	v_cndmask_b32_e32 v195, v195, v210, vcc_lo
	v_cndmask_b32_e32 v194, v194, v209, vcc_lo
	;; [unrolled: 1-line block ×4, first 2 shown]
	v_cndmask_b32_e64 v202, v202, s7, vcc_lo
	s_add_i32 s7, s7, 1
	s_cmp_lg_u32 s1, s7
	s_cbranch_scc1 .LBB94_505
.LBB94_506:
	s_inst_prefetch 0x2
	s_waitcnt lgkmcnt(0)
	v_cmp_eq_f64_e32 vcc_lo, 0, v[194:195]
	v_cmp_eq_f64_e64 s0, 0, v[196:197]
	s_and_b32 s0, vcc_lo, s0
	s_and_saveexec_b32 s7, s0
	s_xor_b32 s0, exec_lo, s7
; %bb.507:
	v_cmp_ne_u32_e32 vcc_lo, 0, v207
	v_cndmask_b32_e32 v207, 25, v207, vcc_lo
; %bb.508:
	s_andn2_saveexec_b32 s0, s0
	s_cbranch_execz .LBB94_514
; %bb.509:
	v_cmp_ngt_f64_e64 s7, |v[194:195]|, |v[196:197]|
	s_and_saveexec_b32 s8, s7
	s_xor_b32 s7, exec_lo, s8
	s_cbranch_execz .LBB94_511
; %bb.510:
	v_div_scale_f64 v[209:210], null, v[196:197], v[196:197], v[194:195]
	v_div_scale_f64 v[215:216], vcc_lo, v[194:195], v[196:197], v[194:195]
	v_rcp_f64_e32 v[211:212], v[209:210]
	v_fma_f64 v[213:214], -v[209:210], v[211:212], 1.0
	v_fma_f64 v[211:212], v[211:212], v[213:214], v[211:212]
	v_fma_f64 v[213:214], -v[209:210], v[211:212], 1.0
	v_fma_f64 v[211:212], v[211:212], v[213:214], v[211:212]
	v_mul_f64 v[213:214], v[215:216], v[211:212]
	v_fma_f64 v[209:210], -v[209:210], v[213:214], v[215:216]
	v_div_fmas_f64 v[209:210], v[209:210], v[211:212], v[213:214]
	v_div_fixup_f64 v[209:210], v[209:210], v[196:197], v[194:195]
	v_fma_f64 v[194:195], v[194:195], v[209:210], v[196:197]
	v_div_scale_f64 v[196:197], null, v[194:195], v[194:195], 1.0
	v_rcp_f64_e32 v[211:212], v[196:197]
	v_fma_f64 v[213:214], -v[196:197], v[211:212], 1.0
	v_fma_f64 v[211:212], v[211:212], v[213:214], v[211:212]
	v_fma_f64 v[213:214], -v[196:197], v[211:212], 1.0
	v_fma_f64 v[211:212], v[211:212], v[213:214], v[211:212]
	v_div_scale_f64 v[213:214], vcc_lo, 1.0, v[194:195], 1.0
	v_mul_f64 v[215:216], v[213:214], v[211:212]
	v_fma_f64 v[196:197], -v[196:197], v[215:216], v[213:214]
	v_div_fmas_f64 v[196:197], v[196:197], v[211:212], v[215:216]
	v_div_fixup_f64 v[196:197], v[196:197], v[194:195], 1.0
	v_mul_f64 v[194:195], v[209:210], v[196:197]
	v_xor_b32_e32 v197, 0x80000000, v197
.LBB94_511:
	s_andn2_saveexec_b32 s7, s7
	s_cbranch_execz .LBB94_513
; %bb.512:
	v_div_scale_f64 v[209:210], null, v[194:195], v[194:195], v[196:197]
	v_div_scale_f64 v[215:216], vcc_lo, v[196:197], v[194:195], v[196:197]
	v_rcp_f64_e32 v[211:212], v[209:210]
	v_fma_f64 v[213:214], -v[209:210], v[211:212], 1.0
	v_fma_f64 v[211:212], v[211:212], v[213:214], v[211:212]
	v_fma_f64 v[213:214], -v[209:210], v[211:212], 1.0
	v_fma_f64 v[211:212], v[211:212], v[213:214], v[211:212]
	v_mul_f64 v[213:214], v[215:216], v[211:212]
	v_fma_f64 v[209:210], -v[209:210], v[213:214], v[215:216]
	v_div_fmas_f64 v[209:210], v[209:210], v[211:212], v[213:214]
	v_div_fixup_f64 v[209:210], v[209:210], v[194:195], v[196:197]
	v_fma_f64 v[194:195], v[196:197], v[209:210], v[194:195]
	v_div_scale_f64 v[196:197], null, v[194:195], v[194:195], 1.0
	v_rcp_f64_e32 v[211:212], v[196:197]
	v_fma_f64 v[213:214], -v[196:197], v[211:212], 1.0
	v_fma_f64 v[211:212], v[211:212], v[213:214], v[211:212]
	v_fma_f64 v[213:214], -v[196:197], v[211:212], 1.0
	v_fma_f64 v[211:212], v[211:212], v[213:214], v[211:212]
	v_div_scale_f64 v[213:214], vcc_lo, 1.0, v[194:195], 1.0
	v_mul_f64 v[215:216], v[213:214], v[211:212]
	v_fma_f64 v[196:197], -v[196:197], v[215:216], v[213:214]
	v_div_fmas_f64 v[196:197], v[196:197], v[211:212], v[215:216]
	v_div_fixup_f64 v[194:195], v[196:197], v[194:195], 1.0
	v_mul_f64 v[196:197], v[209:210], -v[194:195]
.LBB94_513:
	s_or_b32 exec_lo, exec_lo, s7
.LBB94_514:
	s_or_b32 exec_lo, exec_lo, s0
	s_mov_b32 s0, exec_lo
	v_cmpx_ne_u32_e64 v208, v202
	s_xor_b32 s0, exec_lo, s0
	s_cbranch_execz .LBB94_520
; %bb.515:
	s_mov_b32 s7, exec_lo
	v_cmpx_eq_u32_e32 24, v208
	s_cbranch_execz .LBB94_519
; %bb.516:
	v_cmp_ne_u32_e32 vcc_lo, 24, v202
	s_xor_b32 s8, s16, -1
	s_and_b32 s9, s8, vcc_lo
	s_and_saveexec_b32 s8, s9
	s_cbranch_execz .LBB94_518
; %bb.517:
	v_ashrrev_i32_e32 v203, 31, v202
	v_lshlrev_b64 v[208:209], 2, v[202:203]
	v_add_co_u32 v208, vcc_lo, v200, v208
	v_add_co_ci_u32_e64 v209, null, v201, v209, vcc_lo
	s_clause 0x1
	global_load_dword v0, v[208:209], off
	global_load_dword v203, v[200:201], off offset:96
	s_waitcnt vmcnt(1)
	global_store_dword v[200:201], v0, off offset:96
	s_waitcnt vmcnt(0)
	global_store_dword v[208:209], v203, off
.LBB94_518:
	s_or_b32 exec_lo, exec_lo, s8
	v_mov_b32_e32 v208, v202
	v_mov_b32_e32 v0, v202
.LBB94_519:
	s_or_b32 exec_lo, exec_lo, s7
.LBB94_520:
	s_andn2_saveexec_b32 s0, s0
	s_cbranch_execz .LBB94_522
; %bb.521:
	v_mov_b32_e32 v208, 24
	ds_write2_b64 v1, v[98:99], v[100:101] offset0:50 offset1:51
	ds_write2_b64 v1, v[86:87], v[88:89] offset0:52 offset1:53
	;; [unrolled: 1-line block ×23, first 2 shown]
.LBB94_522:
	s_or_b32 exec_lo, exec_lo, s0
	s_mov_b32 s0, exec_lo
	s_waitcnt lgkmcnt(0)
	s_waitcnt_vscnt null, 0x0
	s_barrier
	buffer_gl0_inv
	v_cmpx_lt_i32_e32 24, v208
	s_cbranch_execz .LBB94_524
; %bb.523:
	v_mul_f64 v[202:203], v[196:197], v[104:105]
	v_mul_f64 v[104:105], v[194:195], v[104:105]
	v_fma_f64 v[202:203], v[194:195], v[102:103], -v[202:203]
	v_fma_f64 v[104:105], v[196:197], v[102:103], v[104:105]
	ds_read2_b64 v[194:197], v1 offset0:50 offset1:51
	s_waitcnt lgkmcnt(0)
	v_mul_f64 v[102:103], v[196:197], v[104:105]
	v_fma_f64 v[102:103], v[194:195], v[202:203], -v[102:103]
	v_mul_f64 v[194:195], v[194:195], v[104:105]
	v_add_f64 v[98:99], v[98:99], -v[102:103]
	v_fma_f64 v[194:195], v[196:197], v[202:203], v[194:195]
	v_add_f64 v[100:101], v[100:101], -v[194:195]
	ds_read2_b64 v[194:197], v1 offset0:52 offset1:53
	s_waitcnt lgkmcnt(0)
	v_mul_f64 v[102:103], v[196:197], v[104:105]
	v_fma_f64 v[102:103], v[194:195], v[202:203], -v[102:103]
	v_mul_f64 v[194:195], v[194:195], v[104:105]
	v_add_f64 v[86:87], v[86:87], -v[102:103]
	v_fma_f64 v[194:195], v[196:197], v[202:203], v[194:195]
	v_add_f64 v[88:89], v[88:89], -v[194:195]
	;; [unrolled: 8-line block ×22, first 2 shown]
	ds_read2_b64 v[194:197], v1 offset0:94 offset1:95
	s_waitcnt lgkmcnt(0)
	v_mul_f64 v[102:103], v[196:197], v[104:105]
	v_fma_f64 v[102:103], v[194:195], v[202:203], -v[102:103]
	v_mul_f64 v[194:195], v[194:195], v[104:105]
	v_add_f64 v[2:3], v[2:3], -v[102:103]
	v_fma_f64 v[194:195], v[196:197], v[202:203], v[194:195]
	v_mov_b32_e32 v102, v202
	v_mov_b32_e32 v103, v203
	v_add_f64 v[4:5], v[4:5], -v[194:195]
.LBB94_524:
	s_or_b32 exec_lo, exec_lo, s0
	v_lshl_add_u32 v194, v208, 4, v1
	s_barrier
	buffer_gl0_inv
	v_mov_b32_e32 v202, 25
	ds_write2_b64 v194, v[98:99], v[100:101] offset1:1
	s_waitcnt lgkmcnt(0)
	s_barrier
	buffer_gl0_inv
	ds_read2_b64 v[194:197], v1 offset0:50 offset1:51
	s_cmp_lt_i32 s1, 27
	s_cbranch_scc1 .LBB94_527
; %bb.525:
	v_add3_u32 v203, v204, 0, 0x1a0
	v_mov_b32_e32 v202, 25
	s_mov_b32 s7, 26
	s_inst_prefetch 0x1
	.p2align	6
.LBB94_526:                             ; =>This Inner Loop Header: Depth=1
	s_waitcnt lgkmcnt(0)
	v_cmp_gt_f64_e32 vcc_lo, 0, v[196:197]
	v_cmp_gt_f64_e64 s0, 0, v[194:195]
	ds_read2_b64 v[209:212], v203 offset1:1
	v_xor_b32_e32 v214, 0x80000000, v195
	v_xor_b32_e32 v216, 0x80000000, v197
	v_mov_b32_e32 v213, v194
	v_mov_b32_e32 v215, v196
	v_add_nc_u32_e32 v203, 16, v203
	s_waitcnt lgkmcnt(0)
	v_xor_b32_e32 v218, 0x80000000, v212
	v_cndmask_b32_e64 v214, v195, v214, s0
	v_cndmask_b32_e32 v216, v197, v216, vcc_lo
	v_cmp_gt_f64_e32 vcc_lo, 0, v[211:212]
	v_cmp_gt_f64_e64 s0, 0, v[209:210]
	v_mov_b32_e32 v217, v211
	v_add_f64 v[213:214], v[213:214], v[215:216]
	v_xor_b32_e32 v216, 0x80000000, v210
	v_mov_b32_e32 v215, v209
	v_cndmask_b32_e32 v218, v212, v218, vcc_lo
	v_cndmask_b32_e64 v216, v210, v216, s0
	v_add_f64 v[215:216], v[215:216], v[217:218]
	v_cmp_lt_f64_e32 vcc_lo, v[213:214], v[215:216]
	v_cndmask_b32_e32 v195, v195, v210, vcc_lo
	v_cndmask_b32_e32 v194, v194, v209, vcc_lo
	;; [unrolled: 1-line block ×4, first 2 shown]
	v_cndmask_b32_e64 v202, v202, s7, vcc_lo
	s_add_i32 s7, s7, 1
	s_cmp_lg_u32 s1, s7
	s_cbranch_scc1 .LBB94_526
.LBB94_527:
	s_inst_prefetch 0x2
	s_waitcnt lgkmcnt(0)
	v_cmp_eq_f64_e32 vcc_lo, 0, v[194:195]
	v_cmp_eq_f64_e64 s0, 0, v[196:197]
	s_and_b32 s0, vcc_lo, s0
	s_and_saveexec_b32 s7, s0
	s_xor_b32 s0, exec_lo, s7
; %bb.528:
	v_cmp_ne_u32_e32 vcc_lo, 0, v207
	v_cndmask_b32_e32 v207, 26, v207, vcc_lo
; %bb.529:
	s_andn2_saveexec_b32 s0, s0
	s_cbranch_execz .LBB94_535
; %bb.530:
	v_cmp_ngt_f64_e64 s7, |v[194:195]|, |v[196:197]|
	s_and_saveexec_b32 s8, s7
	s_xor_b32 s7, exec_lo, s8
	s_cbranch_execz .LBB94_532
; %bb.531:
	v_div_scale_f64 v[209:210], null, v[196:197], v[196:197], v[194:195]
	v_div_scale_f64 v[215:216], vcc_lo, v[194:195], v[196:197], v[194:195]
	v_rcp_f64_e32 v[211:212], v[209:210]
	v_fma_f64 v[213:214], -v[209:210], v[211:212], 1.0
	v_fma_f64 v[211:212], v[211:212], v[213:214], v[211:212]
	v_fma_f64 v[213:214], -v[209:210], v[211:212], 1.0
	v_fma_f64 v[211:212], v[211:212], v[213:214], v[211:212]
	v_mul_f64 v[213:214], v[215:216], v[211:212]
	v_fma_f64 v[209:210], -v[209:210], v[213:214], v[215:216]
	v_div_fmas_f64 v[209:210], v[209:210], v[211:212], v[213:214]
	v_div_fixup_f64 v[209:210], v[209:210], v[196:197], v[194:195]
	v_fma_f64 v[194:195], v[194:195], v[209:210], v[196:197]
	v_div_scale_f64 v[196:197], null, v[194:195], v[194:195], 1.0
	v_rcp_f64_e32 v[211:212], v[196:197]
	v_fma_f64 v[213:214], -v[196:197], v[211:212], 1.0
	v_fma_f64 v[211:212], v[211:212], v[213:214], v[211:212]
	v_fma_f64 v[213:214], -v[196:197], v[211:212], 1.0
	v_fma_f64 v[211:212], v[211:212], v[213:214], v[211:212]
	v_div_scale_f64 v[213:214], vcc_lo, 1.0, v[194:195], 1.0
	v_mul_f64 v[215:216], v[213:214], v[211:212]
	v_fma_f64 v[196:197], -v[196:197], v[215:216], v[213:214]
	v_div_fmas_f64 v[196:197], v[196:197], v[211:212], v[215:216]
	v_div_fixup_f64 v[196:197], v[196:197], v[194:195], 1.0
	v_mul_f64 v[194:195], v[209:210], v[196:197]
	v_xor_b32_e32 v197, 0x80000000, v197
.LBB94_532:
	s_andn2_saveexec_b32 s7, s7
	s_cbranch_execz .LBB94_534
; %bb.533:
	v_div_scale_f64 v[209:210], null, v[194:195], v[194:195], v[196:197]
	v_div_scale_f64 v[215:216], vcc_lo, v[196:197], v[194:195], v[196:197]
	v_rcp_f64_e32 v[211:212], v[209:210]
	v_fma_f64 v[213:214], -v[209:210], v[211:212], 1.0
	v_fma_f64 v[211:212], v[211:212], v[213:214], v[211:212]
	v_fma_f64 v[213:214], -v[209:210], v[211:212], 1.0
	v_fma_f64 v[211:212], v[211:212], v[213:214], v[211:212]
	v_mul_f64 v[213:214], v[215:216], v[211:212]
	v_fma_f64 v[209:210], -v[209:210], v[213:214], v[215:216]
	v_div_fmas_f64 v[209:210], v[209:210], v[211:212], v[213:214]
	v_div_fixup_f64 v[209:210], v[209:210], v[194:195], v[196:197]
	v_fma_f64 v[194:195], v[196:197], v[209:210], v[194:195]
	v_div_scale_f64 v[196:197], null, v[194:195], v[194:195], 1.0
	v_rcp_f64_e32 v[211:212], v[196:197]
	v_fma_f64 v[213:214], -v[196:197], v[211:212], 1.0
	v_fma_f64 v[211:212], v[211:212], v[213:214], v[211:212]
	v_fma_f64 v[213:214], -v[196:197], v[211:212], 1.0
	v_fma_f64 v[211:212], v[211:212], v[213:214], v[211:212]
	v_div_scale_f64 v[213:214], vcc_lo, 1.0, v[194:195], 1.0
	v_mul_f64 v[215:216], v[213:214], v[211:212]
	v_fma_f64 v[196:197], -v[196:197], v[215:216], v[213:214]
	v_div_fmas_f64 v[196:197], v[196:197], v[211:212], v[215:216]
	v_div_fixup_f64 v[194:195], v[196:197], v[194:195], 1.0
	v_mul_f64 v[196:197], v[209:210], -v[194:195]
.LBB94_534:
	s_or_b32 exec_lo, exec_lo, s7
.LBB94_535:
	s_or_b32 exec_lo, exec_lo, s0
	s_mov_b32 s0, exec_lo
	v_cmpx_ne_u32_e64 v208, v202
	s_xor_b32 s0, exec_lo, s0
	s_cbranch_execz .LBB94_541
; %bb.536:
	s_mov_b32 s7, exec_lo
	v_cmpx_eq_u32_e32 25, v208
	s_cbranch_execz .LBB94_540
; %bb.537:
	v_cmp_ne_u32_e32 vcc_lo, 25, v202
	s_xor_b32 s8, s16, -1
	s_and_b32 s9, s8, vcc_lo
	s_and_saveexec_b32 s8, s9
	s_cbranch_execz .LBB94_539
; %bb.538:
	v_ashrrev_i32_e32 v203, 31, v202
	v_lshlrev_b64 v[208:209], 2, v[202:203]
	v_add_co_u32 v208, vcc_lo, v200, v208
	v_add_co_ci_u32_e64 v209, null, v201, v209, vcc_lo
	s_clause 0x1
	global_load_dword v0, v[208:209], off
	global_load_dword v203, v[200:201], off offset:100
	s_waitcnt vmcnt(1)
	global_store_dword v[200:201], v0, off offset:100
	s_waitcnt vmcnt(0)
	global_store_dword v[208:209], v203, off
.LBB94_539:
	s_or_b32 exec_lo, exec_lo, s8
	v_mov_b32_e32 v208, v202
	v_mov_b32_e32 v0, v202
.LBB94_540:
	s_or_b32 exec_lo, exec_lo, s7
.LBB94_541:
	s_andn2_saveexec_b32 s0, s0
	s_cbranch_execz .LBB94_543
; %bb.542:
	v_mov_b32_e32 v208, 25
	ds_write2_b64 v1, v[86:87], v[88:89] offset0:52 offset1:53
	ds_write2_b64 v1, v[82:83], v[84:85] offset0:54 offset1:55
	;; [unrolled: 1-line block ×22, first 2 shown]
.LBB94_543:
	s_or_b32 exec_lo, exec_lo, s0
	s_mov_b32 s0, exec_lo
	s_waitcnt lgkmcnt(0)
	s_waitcnt_vscnt null, 0x0
	s_barrier
	buffer_gl0_inv
	v_cmpx_lt_i32_e32 25, v208
	s_cbranch_execz .LBB94_545
; %bb.544:
	v_mul_f64 v[202:203], v[196:197], v[100:101]
	v_mul_f64 v[100:101], v[194:195], v[100:101]
	v_fma_f64 v[202:203], v[194:195], v[98:99], -v[202:203]
	v_fma_f64 v[100:101], v[196:197], v[98:99], v[100:101]
	ds_read2_b64 v[194:197], v1 offset0:52 offset1:53
	s_waitcnt lgkmcnt(0)
	v_mul_f64 v[98:99], v[196:197], v[100:101]
	v_fma_f64 v[98:99], v[194:195], v[202:203], -v[98:99]
	v_mul_f64 v[194:195], v[194:195], v[100:101]
	v_add_f64 v[86:87], v[86:87], -v[98:99]
	v_fma_f64 v[194:195], v[196:197], v[202:203], v[194:195]
	v_add_f64 v[88:89], v[88:89], -v[194:195]
	ds_read2_b64 v[194:197], v1 offset0:54 offset1:55
	s_waitcnt lgkmcnt(0)
	v_mul_f64 v[98:99], v[196:197], v[100:101]
	v_fma_f64 v[98:99], v[194:195], v[202:203], -v[98:99]
	v_mul_f64 v[194:195], v[194:195], v[100:101]
	v_add_f64 v[82:83], v[82:83], -v[98:99]
	v_fma_f64 v[194:195], v[196:197], v[202:203], v[194:195]
	v_add_f64 v[84:85], v[84:85], -v[194:195]
	;; [unrolled: 8-line block ×21, first 2 shown]
	ds_read2_b64 v[194:197], v1 offset0:94 offset1:95
	s_waitcnt lgkmcnt(0)
	v_mul_f64 v[98:99], v[196:197], v[100:101]
	v_fma_f64 v[98:99], v[194:195], v[202:203], -v[98:99]
	v_mul_f64 v[194:195], v[194:195], v[100:101]
	v_add_f64 v[2:3], v[2:3], -v[98:99]
	v_fma_f64 v[194:195], v[196:197], v[202:203], v[194:195]
	v_mov_b32_e32 v98, v202
	v_mov_b32_e32 v99, v203
	v_add_f64 v[4:5], v[4:5], -v[194:195]
.LBB94_545:
	s_or_b32 exec_lo, exec_lo, s0
	v_lshl_add_u32 v194, v208, 4, v1
	s_barrier
	buffer_gl0_inv
	v_mov_b32_e32 v202, 26
	ds_write2_b64 v194, v[86:87], v[88:89] offset1:1
	s_waitcnt lgkmcnt(0)
	s_barrier
	buffer_gl0_inv
	ds_read2_b64 v[194:197], v1 offset0:52 offset1:53
	s_cmp_lt_i32 s1, 28
	s_cbranch_scc1 .LBB94_548
; %bb.546:
	v_add3_u32 v203, v204, 0, 0x1b0
	v_mov_b32_e32 v202, 26
	s_mov_b32 s7, 27
	s_inst_prefetch 0x1
	.p2align	6
.LBB94_547:                             ; =>This Inner Loop Header: Depth=1
	s_waitcnt lgkmcnt(0)
	v_cmp_gt_f64_e32 vcc_lo, 0, v[196:197]
	v_cmp_gt_f64_e64 s0, 0, v[194:195]
	ds_read2_b64 v[209:212], v203 offset1:1
	v_xor_b32_e32 v214, 0x80000000, v195
	v_xor_b32_e32 v216, 0x80000000, v197
	v_mov_b32_e32 v213, v194
	v_mov_b32_e32 v215, v196
	v_add_nc_u32_e32 v203, 16, v203
	s_waitcnt lgkmcnt(0)
	v_xor_b32_e32 v218, 0x80000000, v212
	v_cndmask_b32_e64 v214, v195, v214, s0
	v_cndmask_b32_e32 v216, v197, v216, vcc_lo
	v_cmp_gt_f64_e32 vcc_lo, 0, v[211:212]
	v_cmp_gt_f64_e64 s0, 0, v[209:210]
	v_mov_b32_e32 v217, v211
	v_add_f64 v[213:214], v[213:214], v[215:216]
	v_xor_b32_e32 v216, 0x80000000, v210
	v_mov_b32_e32 v215, v209
	v_cndmask_b32_e32 v218, v212, v218, vcc_lo
	v_cndmask_b32_e64 v216, v210, v216, s0
	v_add_f64 v[215:216], v[215:216], v[217:218]
	v_cmp_lt_f64_e32 vcc_lo, v[213:214], v[215:216]
	v_cndmask_b32_e32 v195, v195, v210, vcc_lo
	v_cndmask_b32_e32 v194, v194, v209, vcc_lo
	;; [unrolled: 1-line block ×4, first 2 shown]
	v_cndmask_b32_e64 v202, v202, s7, vcc_lo
	s_add_i32 s7, s7, 1
	s_cmp_lg_u32 s1, s7
	s_cbranch_scc1 .LBB94_547
.LBB94_548:
	s_inst_prefetch 0x2
	s_waitcnt lgkmcnt(0)
	v_cmp_eq_f64_e32 vcc_lo, 0, v[194:195]
	v_cmp_eq_f64_e64 s0, 0, v[196:197]
	s_and_b32 s0, vcc_lo, s0
	s_and_saveexec_b32 s7, s0
	s_xor_b32 s0, exec_lo, s7
; %bb.549:
	v_cmp_ne_u32_e32 vcc_lo, 0, v207
	v_cndmask_b32_e32 v207, 27, v207, vcc_lo
; %bb.550:
	s_andn2_saveexec_b32 s0, s0
	s_cbranch_execz .LBB94_556
; %bb.551:
	v_cmp_ngt_f64_e64 s7, |v[194:195]|, |v[196:197]|
	s_and_saveexec_b32 s8, s7
	s_xor_b32 s7, exec_lo, s8
	s_cbranch_execz .LBB94_553
; %bb.552:
	v_div_scale_f64 v[209:210], null, v[196:197], v[196:197], v[194:195]
	v_div_scale_f64 v[215:216], vcc_lo, v[194:195], v[196:197], v[194:195]
	v_rcp_f64_e32 v[211:212], v[209:210]
	v_fma_f64 v[213:214], -v[209:210], v[211:212], 1.0
	v_fma_f64 v[211:212], v[211:212], v[213:214], v[211:212]
	v_fma_f64 v[213:214], -v[209:210], v[211:212], 1.0
	v_fma_f64 v[211:212], v[211:212], v[213:214], v[211:212]
	v_mul_f64 v[213:214], v[215:216], v[211:212]
	v_fma_f64 v[209:210], -v[209:210], v[213:214], v[215:216]
	v_div_fmas_f64 v[209:210], v[209:210], v[211:212], v[213:214]
	v_div_fixup_f64 v[209:210], v[209:210], v[196:197], v[194:195]
	v_fma_f64 v[194:195], v[194:195], v[209:210], v[196:197]
	v_div_scale_f64 v[196:197], null, v[194:195], v[194:195], 1.0
	v_rcp_f64_e32 v[211:212], v[196:197]
	v_fma_f64 v[213:214], -v[196:197], v[211:212], 1.0
	v_fma_f64 v[211:212], v[211:212], v[213:214], v[211:212]
	v_fma_f64 v[213:214], -v[196:197], v[211:212], 1.0
	v_fma_f64 v[211:212], v[211:212], v[213:214], v[211:212]
	v_div_scale_f64 v[213:214], vcc_lo, 1.0, v[194:195], 1.0
	v_mul_f64 v[215:216], v[213:214], v[211:212]
	v_fma_f64 v[196:197], -v[196:197], v[215:216], v[213:214]
	v_div_fmas_f64 v[196:197], v[196:197], v[211:212], v[215:216]
	v_div_fixup_f64 v[196:197], v[196:197], v[194:195], 1.0
	v_mul_f64 v[194:195], v[209:210], v[196:197]
	v_xor_b32_e32 v197, 0x80000000, v197
.LBB94_553:
	s_andn2_saveexec_b32 s7, s7
	s_cbranch_execz .LBB94_555
; %bb.554:
	v_div_scale_f64 v[209:210], null, v[194:195], v[194:195], v[196:197]
	v_div_scale_f64 v[215:216], vcc_lo, v[196:197], v[194:195], v[196:197]
	v_rcp_f64_e32 v[211:212], v[209:210]
	v_fma_f64 v[213:214], -v[209:210], v[211:212], 1.0
	v_fma_f64 v[211:212], v[211:212], v[213:214], v[211:212]
	v_fma_f64 v[213:214], -v[209:210], v[211:212], 1.0
	v_fma_f64 v[211:212], v[211:212], v[213:214], v[211:212]
	v_mul_f64 v[213:214], v[215:216], v[211:212]
	v_fma_f64 v[209:210], -v[209:210], v[213:214], v[215:216]
	v_div_fmas_f64 v[209:210], v[209:210], v[211:212], v[213:214]
	v_div_fixup_f64 v[209:210], v[209:210], v[194:195], v[196:197]
	v_fma_f64 v[194:195], v[196:197], v[209:210], v[194:195]
	v_div_scale_f64 v[196:197], null, v[194:195], v[194:195], 1.0
	v_rcp_f64_e32 v[211:212], v[196:197]
	v_fma_f64 v[213:214], -v[196:197], v[211:212], 1.0
	v_fma_f64 v[211:212], v[211:212], v[213:214], v[211:212]
	v_fma_f64 v[213:214], -v[196:197], v[211:212], 1.0
	v_fma_f64 v[211:212], v[211:212], v[213:214], v[211:212]
	v_div_scale_f64 v[213:214], vcc_lo, 1.0, v[194:195], 1.0
	v_mul_f64 v[215:216], v[213:214], v[211:212]
	v_fma_f64 v[196:197], -v[196:197], v[215:216], v[213:214]
	v_div_fmas_f64 v[196:197], v[196:197], v[211:212], v[215:216]
	v_div_fixup_f64 v[194:195], v[196:197], v[194:195], 1.0
	v_mul_f64 v[196:197], v[209:210], -v[194:195]
.LBB94_555:
	s_or_b32 exec_lo, exec_lo, s7
.LBB94_556:
	s_or_b32 exec_lo, exec_lo, s0
	s_mov_b32 s0, exec_lo
	v_cmpx_ne_u32_e64 v208, v202
	s_xor_b32 s0, exec_lo, s0
	s_cbranch_execz .LBB94_562
; %bb.557:
	s_mov_b32 s7, exec_lo
	v_cmpx_eq_u32_e32 26, v208
	s_cbranch_execz .LBB94_561
; %bb.558:
	v_cmp_ne_u32_e32 vcc_lo, 26, v202
	s_xor_b32 s8, s16, -1
	s_and_b32 s9, s8, vcc_lo
	s_and_saveexec_b32 s8, s9
	s_cbranch_execz .LBB94_560
; %bb.559:
	v_ashrrev_i32_e32 v203, 31, v202
	v_lshlrev_b64 v[208:209], 2, v[202:203]
	v_add_co_u32 v208, vcc_lo, v200, v208
	v_add_co_ci_u32_e64 v209, null, v201, v209, vcc_lo
	s_clause 0x1
	global_load_dword v0, v[208:209], off
	global_load_dword v203, v[200:201], off offset:104
	s_waitcnt vmcnt(1)
	global_store_dword v[200:201], v0, off offset:104
	s_waitcnt vmcnt(0)
	global_store_dword v[208:209], v203, off
.LBB94_560:
	s_or_b32 exec_lo, exec_lo, s8
	v_mov_b32_e32 v208, v202
	v_mov_b32_e32 v0, v202
.LBB94_561:
	s_or_b32 exec_lo, exec_lo, s7
.LBB94_562:
	s_andn2_saveexec_b32 s0, s0
	s_cbranch_execz .LBB94_564
; %bb.563:
	v_mov_b32_e32 v208, 26
	ds_write2_b64 v1, v[82:83], v[84:85] offset0:54 offset1:55
	ds_write2_b64 v1, v[78:79], v[80:81] offset0:56 offset1:57
	ds_write2_b64 v1, v[74:75], v[76:77] offset0:58 offset1:59
	ds_write2_b64 v1, v[70:71], v[72:73] offset0:60 offset1:61
	ds_write2_b64 v1, v[66:67], v[68:69] offset0:62 offset1:63
	ds_write2_b64 v1, v[62:63], v[64:65] offset0:64 offset1:65
	ds_write2_b64 v1, v[58:59], v[60:61] offset0:66 offset1:67
	ds_write2_b64 v1, v[54:55], v[56:57] offset0:68 offset1:69
	ds_write2_b64 v1, v[50:51], v[52:53] offset0:70 offset1:71
	ds_write2_b64 v1, v[46:47], v[48:49] offset0:72 offset1:73
	ds_write2_b64 v1, v[42:43], v[44:45] offset0:74 offset1:75
	ds_write2_b64 v1, v[38:39], v[40:41] offset0:76 offset1:77
	ds_write2_b64 v1, v[34:35], v[36:37] offset0:78 offset1:79
	ds_write2_b64 v1, v[30:31], v[32:33] offset0:80 offset1:81
	ds_write2_b64 v1, v[26:27], v[28:29] offset0:82 offset1:83
	ds_write2_b64 v1, v[22:23], v[24:25] offset0:84 offset1:85
	ds_write2_b64 v1, v[18:19], v[20:21] offset0:86 offset1:87
	ds_write2_b64 v1, v[14:15], v[16:17] offset0:88 offset1:89
	ds_write2_b64 v1, v[10:11], v[12:13] offset0:90 offset1:91
	ds_write2_b64 v1, v[6:7], v[8:9] offset0:92 offset1:93
	ds_write2_b64 v1, v[2:3], v[4:5] offset0:94 offset1:95
.LBB94_564:
	s_or_b32 exec_lo, exec_lo, s0
	s_mov_b32 s0, exec_lo
	s_waitcnt lgkmcnt(0)
	s_waitcnt_vscnt null, 0x0
	s_barrier
	buffer_gl0_inv
	v_cmpx_lt_i32_e32 26, v208
	s_cbranch_execz .LBB94_566
; %bb.565:
	v_mul_f64 v[202:203], v[196:197], v[88:89]
	v_mul_f64 v[88:89], v[194:195], v[88:89]
	v_fma_f64 v[202:203], v[194:195], v[86:87], -v[202:203]
	v_fma_f64 v[88:89], v[196:197], v[86:87], v[88:89]
	ds_read2_b64 v[194:197], v1 offset0:54 offset1:55
	s_waitcnt lgkmcnt(0)
	v_mul_f64 v[86:87], v[196:197], v[88:89]
	v_fma_f64 v[86:87], v[194:195], v[202:203], -v[86:87]
	v_mul_f64 v[194:195], v[194:195], v[88:89]
	v_add_f64 v[82:83], v[82:83], -v[86:87]
	v_fma_f64 v[194:195], v[196:197], v[202:203], v[194:195]
	v_add_f64 v[84:85], v[84:85], -v[194:195]
	ds_read2_b64 v[194:197], v1 offset0:56 offset1:57
	s_waitcnt lgkmcnt(0)
	v_mul_f64 v[86:87], v[196:197], v[88:89]
	v_fma_f64 v[86:87], v[194:195], v[202:203], -v[86:87]
	v_mul_f64 v[194:195], v[194:195], v[88:89]
	v_add_f64 v[78:79], v[78:79], -v[86:87]
	v_fma_f64 v[194:195], v[196:197], v[202:203], v[194:195]
	v_add_f64 v[80:81], v[80:81], -v[194:195]
	;; [unrolled: 8-line block ×20, first 2 shown]
	ds_read2_b64 v[194:197], v1 offset0:94 offset1:95
	s_waitcnt lgkmcnt(0)
	v_mul_f64 v[86:87], v[196:197], v[88:89]
	v_fma_f64 v[86:87], v[194:195], v[202:203], -v[86:87]
	v_mul_f64 v[194:195], v[194:195], v[88:89]
	v_add_f64 v[2:3], v[2:3], -v[86:87]
	v_fma_f64 v[194:195], v[196:197], v[202:203], v[194:195]
	v_mov_b32_e32 v86, v202
	v_mov_b32_e32 v87, v203
	v_add_f64 v[4:5], v[4:5], -v[194:195]
.LBB94_566:
	s_or_b32 exec_lo, exec_lo, s0
	v_lshl_add_u32 v194, v208, 4, v1
	s_barrier
	buffer_gl0_inv
	v_mov_b32_e32 v202, 27
	ds_write2_b64 v194, v[82:83], v[84:85] offset1:1
	s_waitcnt lgkmcnt(0)
	s_barrier
	buffer_gl0_inv
	ds_read2_b64 v[194:197], v1 offset0:54 offset1:55
	s_cmp_lt_i32 s1, 29
	s_cbranch_scc1 .LBB94_569
; %bb.567:
	v_add3_u32 v203, v204, 0, 0x1c0
	v_mov_b32_e32 v202, 27
	s_mov_b32 s7, 28
	s_inst_prefetch 0x1
	.p2align	6
.LBB94_568:                             ; =>This Inner Loop Header: Depth=1
	s_waitcnt lgkmcnt(0)
	v_cmp_gt_f64_e32 vcc_lo, 0, v[196:197]
	v_cmp_gt_f64_e64 s0, 0, v[194:195]
	ds_read2_b64 v[209:212], v203 offset1:1
	v_xor_b32_e32 v214, 0x80000000, v195
	v_xor_b32_e32 v216, 0x80000000, v197
	v_mov_b32_e32 v213, v194
	v_mov_b32_e32 v215, v196
	v_add_nc_u32_e32 v203, 16, v203
	s_waitcnt lgkmcnt(0)
	v_xor_b32_e32 v218, 0x80000000, v212
	v_cndmask_b32_e64 v214, v195, v214, s0
	v_cndmask_b32_e32 v216, v197, v216, vcc_lo
	v_cmp_gt_f64_e32 vcc_lo, 0, v[211:212]
	v_cmp_gt_f64_e64 s0, 0, v[209:210]
	v_mov_b32_e32 v217, v211
	v_add_f64 v[213:214], v[213:214], v[215:216]
	v_xor_b32_e32 v216, 0x80000000, v210
	v_mov_b32_e32 v215, v209
	v_cndmask_b32_e32 v218, v212, v218, vcc_lo
	v_cndmask_b32_e64 v216, v210, v216, s0
	v_add_f64 v[215:216], v[215:216], v[217:218]
	v_cmp_lt_f64_e32 vcc_lo, v[213:214], v[215:216]
	v_cndmask_b32_e32 v195, v195, v210, vcc_lo
	v_cndmask_b32_e32 v194, v194, v209, vcc_lo
	;; [unrolled: 1-line block ×4, first 2 shown]
	v_cndmask_b32_e64 v202, v202, s7, vcc_lo
	s_add_i32 s7, s7, 1
	s_cmp_lg_u32 s1, s7
	s_cbranch_scc1 .LBB94_568
.LBB94_569:
	s_inst_prefetch 0x2
	s_waitcnt lgkmcnt(0)
	v_cmp_eq_f64_e32 vcc_lo, 0, v[194:195]
	v_cmp_eq_f64_e64 s0, 0, v[196:197]
	s_and_b32 s0, vcc_lo, s0
	s_and_saveexec_b32 s7, s0
	s_xor_b32 s0, exec_lo, s7
; %bb.570:
	v_cmp_ne_u32_e32 vcc_lo, 0, v207
	v_cndmask_b32_e32 v207, 28, v207, vcc_lo
; %bb.571:
	s_andn2_saveexec_b32 s0, s0
	s_cbranch_execz .LBB94_577
; %bb.572:
	v_cmp_ngt_f64_e64 s7, |v[194:195]|, |v[196:197]|
	s_and_saveexec_b32 s8, s7
	s_xor_b32 s7, exec_lo, s8
	s_cbranch_execz .LBB94_574
; %bb.573:
	v_div_scale_f64 v[209:210], null, v[196:197], v[196:197], v[194:195]
	v_div_scale_f64 v[215:216], vcc_lo, v[194:195], v[196:197], v[194:195]
	v_rcp_f64_e32 v[211:212], v[209:210]
	v_fma_f64 v[213:214], -v[209:210], v[211:212], 1.0
	v_fma_f64 v[211:212], v[211:212], v[213:214], v[211:212]
	v_fma_f64 v[213:214], -v[209:210], v[211:212], 1.0
	v_fma_f64 v[211:212], v[211:212], v[213:214], v[211:212]
	v_mul_f64 v[213:214], v[215:216], v[211:212]
	v_fma_f64 v[209:210], -v[209:210], v[213:214], v[215:216]
	v_div_fmas_f64 v[209:210], v[209:210], v[211:212], v[213:214]
	v_div_fixup_f64 v[209:210], v[209:210], v[196:197], v[194:195]
	v_fma_f64 v[194:195], v[194:195], v[209:210], v[196:197]
	v_div_scale_f64 v[196:197], null, v[194:195], v[194:195], 1.0
	v_rcp_f64_e32 v[211:212], v[196:197]
	v_fma_f64 v[213:214], -v[196:197], v[211:212], 1.0
	v_fma_f64 v[211:212], v[211:212], v[213:214], v[211:212]
	v_fma_f64 v[213:214], -v[196:197], v[211:212], 1.0
	v_fma_f64 v[211:212], v[211:212], v[213:214], v[211:212]
	v_div_scale_f64 v[213:214], vcc_lo, 1.0, v[194:195], 1.0
	v_mul_f64 v[215:216], v[213:214], v[211:212]
	v_fma_f64 v[196:197], -v[196:197], v[215:216], v[213:214]
	v_div_fmas_f64 v[196:197], v[196:197], v[211:212], v[215:216]
	v_div_fixup_f64 v[196:197], v[196:197], v[194:195], 1.0
	v_mul_f64 v[194:195], v[209:210], v[196:197]
	v_xor_b32_e32 v197, 0x80000000, v197
.LBB94_574:
	s_andn2_saveexec_b32 s7, s7
	s_cbranch_execz .LBB94_576
; %bb.575:
	v_div_scale_f64 v[209:210], null, v[194:195], v[194:195], v[196:197]
	v_div_scale_f64 v[215:216], vcc_lo, v[196:197], v[194:195], v[196:197]
	v_rcp_f64_e32 v[211:212], v[209:210]
	v_fma_f64 v[213:214], -v[209:210], v[211:212], 1.0
	v_fma_f64 v[211:212], v[211:212], v[213:214], v[211:212]
	v_fma_f64 v[213:214], -v[209:210], v[211:212], 1.0
	v_fma_f64 v[211:212], v[211:212], v[213:214], v[211:212]
	v_mul_f64 v[213:214], v[215:216], v[211:212]
	v_fma_f64 v[209:210], -v[209:210], v[213:214], v[215:216]
	v_div_fmas_f64 v[209:210], v[209:210], v[211:212], v[213:214]
	v_div_fixup_f64 v[209:210], v[209:210], v[194:195], v[196:197]
	v_fma_f64 v[194:195], v[196:197], v[209:210], v[194:195]
	v_div_scale_f64 v[196:197], null, v[194:195], v[194:195], 1.0
	v_rcp_f64_e32 v[211:212], v[196:197]
	v_fma_f64 v[213:214], -v[196:197], v[211:212], 1.0
	v_fma_f64 v[211:212], v[211:212], v[213:214], v[211:212]
	v_fma_f64 v[213:214], -v[196:197], v[211:212], 1.0
	v_fma_f64 v[211:212], v[211:212], v[213:214], v[211:212]
	v_div_scale_f64 v[213:214], vcc_lo, 1.0, v[194:195], 1.0
	v_mul_f64 v[215:216], v[213:214], v[211:212]
	v_fma_f64 v[196:197], -v[196:197], v[215:216], v[213:214]
	v_div_fmas_f64 v[196:197], v[196:197], v[211:212], v[215:216]
	v_div_fixup_f64 v[194:195], v[196:197], v[194:195], 1.0
	v_mul_f64 v[196:197], v[209:210], -v[194:195]
.LBB94_576:
	s_or_b32 exec_lo, exec_lo, s7
.LBB94_577:
	s_or_b32 exec_lo, exec_lo, s0
	s_mov_b32 s0, exec_lo
	v_cmpx_ne_u32_e64 v208, v202
	s_xor_b32 s0, exec_lo, s0
	s_cbranch_execz .LBB94_583
; %bb.578:
	s_mov_b32 s7, exec_lo
	v_cmpx_eq_u32_e32 27, v208
	s_cbranch_execz .LBB94_582
; %bb.579:
	v_cmp_ne_u32_e32 vcc_lo, 27, v202
	s_xor_b32 s8, s16, -1
	s_and_b32 s9, s8, vcc_lo
	s_and_saveexec_b32 s8, s9
	s_cbranch_execz .LBB94_581
; %bb.580:
	v_ashrrev_i32_e32 v203, 31, v202
	v_lshlrev_b64 v[208:209], 2, v[202:203]
	v_add_co_u32 v208, vcc_lo, v200, v208
	v_add_co_ci_u32_e64 v209, null, v201, v209, vcc_lo
	s_clause 0x1
	global_load_dword v0, v[208:209], off
	global_load_dword v203, v[200:201], off offset:108
	s_waitcnt vmcnt(1)
	global_store_dword v[200:201], v0, off offset:108
	s_waitcnt vmcnt(0)
	global_store_dword v[208:209], v203, off
.LBB94_581:
	s_or_b32 exec_lo, exec_lo, s8
	v_mov_b32_e32 v208, v202
	v_mov_b32_e32 v0, v202
.LBB94_582:
	s_or_b32 exec_lo, exec_lo, s7
.LBB94_583:
	s_andn2_saveexec_b32 s0, s0
	s_cbranch_execz .LBB94_585
; %bb.584:
	v_mov_b32_e32 v208, 27
	ds_write2_b64 v1, v[78:79], v[80:81] offset0:56 offset1:57
	ds_write2_b64 v1, v[74:75], v[76:77] offset0:58 offset1:59
	;; [unrolled: 1-line block ×20, first 2 shown]
.LBB94_585:
	s_or_b32 exec_lo, exec_lo, s0
	s_mov_b32 s0, exec_lo
	s_waitcnt lgkmcnt(0)
	s_waitcnt_vscnt null, 0x0
	s_barrier
	buffer_gl0_inv
	v_cmpx_lt_i32_e32 27, v208
	s_cbranch_execz .LBB94_587
; %bb.586:
	v_mul_f64 v[202:203], v[196:197], v[84:85]
	v_mul_f64 v[84:85], v[194:195], v[84:85]
	v_fma_f64 v[202:203], v[194:195], v[82:83], -v[202:203]
	v_fma_f64 v[84:85], v[196:197], v[82:83], v[84:85]
	ds_read2_b64 v[194:197], v1 offset0:56 offset1:57
	s_waitcnt lgkmcnt(0)
	v_mul_f64 v[82:83], v[196:197], v[84:85]
	v_fma_f64 v[82:83], v[194:195], v[202:203], -v[82:83]
	v_mul_f64 v[194:195], v[194:195], v[84:85]
	v_add_f64 v[78:79], v[78:79], -v[82:83]
	v_fma_f64 v[194:195], v[196:197], v[202:203], v[194:195]
	v_add_f64 v[80:81], v[80:81], -v[194:195]
	ds_read2_b64 v[194:197], v1 offset0:58 offset1:59
	s_waitcnt lgkmcnt(0)
	v_mul_f64 v[82:83], v[196:197], v[84:85]
	v_fma_f64 v[82:83], v[194:195], v[202:203], -v[82:83]
	v_mul_f64 v[194:195], v[194:195], v[84:85]
	v_add_f64 v[74:75], v[74:75], -v[82:83]
	v_fma_f64 v[194:195], v[196:197], v[202:203], v[194:195]
	v_add_f64 v[76:77], v[76:77], -v[194:195]
	;; [unrolled: 8-line block ×19, first 2 shown]
	ds_read2_b64 v[194:197], v1 offset0:94 offset1:95
	s_waitcnt lgkmcnt(0)
	v_mul_f64 v[82:83], v[196:197], v[84:85]
	v_fma_f64 v[82:83], v[194:195], v[202:203], -v[82:83]
	v_mul_f64 v[194:195], v[194:195], v[84:85]
	v_add_f64 v[2:3], v[2:3], -v[82:83]
	v_fma_f64 v[194:195], v[196:197], v[202:203], v[194:195]
	v_mov_b32_e32 v82, v202
	v_mov_b32_e32 v83, v203
	v_add_f64 v[4:5], v[4:5], -v[194:195]
.LBB94_587:
	s_or_b32 exec_lo, exec_lo, s0
	v_lshl_add_u32 v194, v208, 4, v1
	s_barrier
	buffer_gl0_inv
	v_mov_b32_e32 v202, 28
	ds_write2_b64 v194, v[78:79], v[80:81] offset1:1
	s_waitcnt lgkmcnt(0)
	s_barrier
	buffer_gl0_inv
	ds_read2_b64 v[194:197], v1 offset0:56 offset1:57
	s_cmp_lt_i32 s1, 30
	s_cbranch_scc1 .LBB94_590
; %bb.588:
	v_add3_u32 v203, v204, 0, 0x1d0
	v_mov_b32_e32 v202, 28
	s_mov_b32 s7, 29
	s_inst_prefetch 0x1
	.p2align	6
.LBB94_589:                             ; =>This Inner Loop Header: Depth=1
	s_waitcnt lgkmcnt(0)
	v_cmp_gt_f64_e32 vcc_lo, 0, v[196:197]
	v_cmp_gt_f64_e64 s0, 0, v[194:195]
	ds_read2_b64 v[209:212], v203 offset1:1
	v_xor_b32_e32 v214, 0x80000000, v195
	v_xor_b32_e32 v216, 0x80000000, v197
	v_mov_b32_e32 v213, v194
	v_mov_b32_e32 v215, v196
	v_add_nc_u32_e32 v203, 16, v203
	s_waitcnt lgkmcnt(0)
	v_xor_b32_e32 v218, 0x80000000, v212
	v_cndmask_b32_e64 v214, v195, v214, s0
	v_cndmask_b32_e32 v216, v197, v216, vcc_lo
	v_cmp_gt_f64_e32 vcc_lo, 0, v[211:212]
	v_cmp_gt_f64_e64 s0, 0, v[209:210]
	v_mov_b32_e32 v217, v211
	v_add_f64 v[213:214], v[213:214], v[215:216]
	v_xor_b32_e32 v216, 0x80000000, v210
	v_mov_b32_e32 v215, v209
	v_cndmask_b32_e32 v218, v212, v218, vcc_lo
	v_cndmask_b32_e64 v216, v210, v216, s0
	v_add_f64 v[215:216], v[215:216], v[217:218]
	v_cmp_lt_f64_e32 vcc_lo, v[213:214], v[215:216]
	v_cndmask_b32_e32 v195, v195, v210, vcc_lo
	v_cndmask_b32_e32 v194, v194, v209, vcc_lo
	;; [unrolled: 1-line block ×4, first 2 shown]
	v_cndmask_b32_e64 v202, v202, s7, vcc_lo
	s_add_i32 s7, s7, 1
	s_cmp_lg_u32 s1, s7
	s_cbranch_scc1 .LBB94_589
.LBB94_590:
	s_inst_prefetch 0x2
	s_waitcnt lgkmcnt(0)
	v_cmp_eq_f64_e32 vcc_lo, 0, v[194:195]
	v_cmp_eq_f64_e64 s0, 0, v[196:197]
	s_and_b32 s0, vcc_lo, s0
	s_and_saveexec_b32 s7, s0
	s_xor_b32 s0, exec_lo, s7
; %bb.591:
	v_cmp_ne_u32_e32 vcc_lo, 0, v207
	v_cndmask_b32_e32 v207, 29, v207, vcc_lo
; %bb.592:
	s_andn2_saveexec_b32 s0, s0
	s_cbranch_execz .LBB94_598
; %bb.593:
	v_cmp_ngt_f64_e64 s7, |v[194:195]|, |v[196:197]|
	s_and_saveexec_b32 s8, s7
	s_xor_b32 s7, exec_lo, s8
	s_cbranch_execz .LBB94_595
; %bb.594:
	v_div_scale_f64 v[209:210], null, v[196:197], v[196:197], v[194:195]
	v_div_scale_f64 v[215:216], vcc_lo, v[194:195], v[196:197], v[194:195]
	v_rcp_f64_e32 v[211:212], v[209:210]
	v_fma_f64 v[213:214], -v[209:210], v[211:212], 1.0
	v_fma_f64 v[211:212], v[211:212], v[213:214], v[211:212]
	v_fma_f64 v[213:214], -v[209:210], v[211:212], 1.0
	v_fma_f64 v[211:212], v[211:212], v[213:214], v[211:212]
	v_mul_f64 v[213:214], v[215:216], v[211:212]
	v_fma_f64 v[209:210], -v[209:210], v[213:214], v[215:216]
	v_div_fmas_f64 v[209:210], v[209:210], v[211:212], v[213:214]
	v_div_fixup_f64 v[209:210], v[209:210], v[196:197], v[194:195]
	v_fma_f64 v[194:195], v[194:195], v[209:210], v[196:197]
	v_div_scale_f64 v[196:197], null, v[194:195], v[194:195], 1.0
	v_rcp_f64_e32 v[211:212], v[196:197]
	v_fma_f64 v[213:214], -v[196:197], v[211:212], 1.0
	v_fma_f64 v[211:212], v[211:212], v[213:214], v[211:212]
	v_fma_f64 v[213:214], -v[196:197], v[211:212], 1.0
	v_fma_f64 v[211:212], v[211:212], v[213:214], v[211:212]
	v_div_scale_f64 v[213:214], vcc_lo, 1.0, v[194:195], 1.0
	v_mul_f64 v[215:216], v[213:214], v[211:212]
	v_fma_f64 v[196:197], -v[196:197], v[215:216], v[213:214]
	v_div_fmas_f64 v[196:197], v[196:197], v[211:212], v[215:216]
	v_div_fixup_f64 v[196:197], v[196:197], v[194:195], 1.0
	v_mul_f64 v[194:195], v[209:210], v[196:197]
	v_xor_b32_e32 v197, 0x80000000, v197
.LBB94_595:
	s_andn2_saveexec_b32 s7, s7
	s_cbranch_execz .LBB94_597
; %bb.596:
	v_div_scale_f64 v[209:210], null, v[194:195], v[194:195], v[196:197]
	v_div_scale_f64 v[215:216], vcc_lo, v[196:197], v[194:195], v[196:197]
	v_rcp_f64_e32 v[211:212], v[209:210]
	v_fma_f64 v[213:214], -v[209:210], v[211:212], 1.0
	v_fma_f64 v[211:212], v[211:212], v[213:214], v[211:212]
	v_fma_f64 v[213:214], -v[209:210], v[211:212], 1.0
	v_fma_f64 v[211:212], v[211:212], v[213:214], v[211:212]
	v_mul_f64 v[213:214], v[215:216], v[211:212]
	v_fma_f64 v[209:210], -v[209:210], v[213:214], v[215:216]
	v_div_fmas_f64 v[209:210], v[209:210], v[211:212], v[213:214]
	v_div_fixup_f64 v[209:210], v[209:210], v[194:195], v[196:197]
	v_fma_f64 v[194:195], v[196:197], v[209:210], v[194:195]
	v_div_scale_f64 v[196:197], null, v[194:195], v[194:195], 1.0
	v_rcp_f64_e32 v[211:212], v[196:197]
	v_fma_f64 v[213:214], -v[196:197], v[211:212], 1.0
	v_fma_f64 v[211:212], v[211:212], v[213:214], v[211:212]
	v_fma_f64 v[213:214], -v[196:197], v[211:212], 1.0
	v_fma_f64 v[211:212], v[211:212], v[213:214], v[211:212]
	v_div_scale_f64 v[213:214], vcc_lo, 1.0, v[194:195], 1.0
	v_mul_f64 v[215:216], v[213:214], v[211:212]
	v_fma_f64 v[196:197], -v[196:197], v[215:216], v[213:214]
	v_div_fmas_f64 v[196:197], v[196:197], v[211:212], v[215:216]
	v_div_fixup_f64 v[194:195], v[196:197], v[194:195], 1.0
	v_mul_f64 v[196:197], v[209:210], -v[194:195]
.LBB94_597:
	s_or_b32 exec_lo, exec_lo, s7
.LBB94_598:
	s_or_b32 exec_lo, exec_lo, s0
	s_mov_b32 s0, exec_lo
	v_cmpx_ne_u32_e64 v208, v202
	s_xor_b32 s0, exec_lo, s0
	s_cbranch_execz .LBB94_604
; %bb.599:
	s_mov_b32 s7, exec_lo
	v_cmpx_eq_u32_e32 28, v208
	s_cbranch_execz .LBB94_603
; %bb.600:
	v_cmp_ne_u32_e32 vcc_lo, 28, v202
	s_xor_b32 s8, s16, -1
	s_and_b32 s9, s8, vcc_lo
	s_and_saveexec_b32 s8, s9
	s_cbranch_execz .LBB94_602
; %bb.601:
	v_ashrrev_i32_e32 v203, 31, v202
	v_lshlrev_b64 v[208:209], 2, v[202:203]
	v_add_co_u32 v208, vcc_lo, v200, v208
	v_add_co_ci_u32_e64 v209, null, v201, v209, vcc_lo
	s_clause 0x1
	global_load_dword v0, v[208:209], off
	global_load_dword v203, v[200:201], off offset:112
	s_waitcnt vmcnt(1)
	global_store_dword v[200:201], v0, off offset:112
	s_waitcnt vmcnt(0)
	global_store_dword v[208:209], v203, off
.LBB94_602:
	s_or_b32 exec_lo, exec_lo, s8
	v_mov_b32_e32 v208, v202
	v_mov_b32_e32 v0, v202
.LBB94_603:
	s_or_b32 exec_lo, exec_lo, s7
.LBB94_604:
	s_andn2_saveexec_b32 s0, s0
	s_cbranch_execz .LBB94_606
; %bb.605:
	v_mov_b32_e32 v208, 28
	ds_write2_b64 v1, v[74:75], v[76:77] offset0:58 offset1:59
	ds_write2_b64 v1, v[70:71], v[72:73] offset0:60 offset1:61
	;; [unrolled: 1-line block ×19, first 2 shown]
.LBB94_606:
	s_or_b32 exec_lo, exec_lo, s0
	s_mov_b32 s0, exec_lo
	s_waitcnt lgkmcnt(0)
	s_waitcnt_vscnt null, 0x0
	s_barrier
	buffer_gl0_inv
	v_cmpx_lt_i32_e32 28, v208
	s_cbranch_execz .LBB94_608
; %bb.607:
	v_mul_f64 v[202:203], v[196:197], v[80:81]
	v_mul_f64 v[80:81], v[194:195], v[80:81]
	v_fma_f64 v[202:203], v[194:195], v[78:79], -v[202:203]
	v_fma_f64 v[80:81], v[196:197], v[78:79], v[80:81]
	ds_read2_b64 v[194:197], v1 offset0:58 offset1:59
	s_waitcnt lgkmcnt(0)
	v_mul_f64 v[78:79], v[196:197], v[80:81]
	v_fma_f64 v[78:79], v[194:195], v[202:203], -v[78:79]
	v_mul_f64 v[194:195], v[194:195], v[80:81]
	v_add_f64 v[74:75], v[74:75], -v[78:79]
	v_fma_f64 v[194:195], v[196:197], v[202:203], v[194:195]
	v_add_f64 v[76:77], v[76:77], -v[194:195]
	ds_read2_b64 v[194:197], v1 offset0:60 offset1:61
	s_waitcnt lgkmcnt(0)
	v_mul_f64 v[78:79], v[196:197], v[80:81]
	v_fma_f64 v[78:79], v[194:195], v[202:203], -v[78:79]
	v_mul_f64 v[194:195], v[194:195], v[80:81]
	v_add_f64 v[70:71], v[70:71], -v[78:79]
	v_fma_f64 v[194:195], v[196:197], v[202:203], v[194:195]
	v_add_f64 v[72:73], v[72:73], -v[194:195]
	;; [unrolled: 8-line block ×18, first 2 shown]
	ds_read2_b64 v[194:197], v1 offset0:94 offset1:95
	s_waitcnt lgkmcnt(0)
	v_mul_f64 v[78:79], v[196:197], v[80:81]
	v_fma_f64 v[78:79], v[194:195], v[202:203], -v[78:79]
	v_mul_f64 v[194:195], v[194:195], v[80:81]
	v_add_f64 v[2:3], v[2:3], -v[78:79]
	v_fma_f64 v[194:195], v[196:197], v[202:203], v[194:195]
	v_mov_b32_e32 v78, v202
	v_mov_b32_e32 v79, v203
	v_add_f64 v[4:5], v[4:5], -v[194:195]
.LBB94_608:
	s_or_b32 exec_lo, exec_lo, s0
	v_lshl_add_u32 v194, v208, 4, v1
	s_barrier
	buffer_gl0_inv
	v_mov_b32_e32 v202, 29
	ds_write2_b64 v194, v[74:75], v[76:77] offset1:1
	s_waitcnt lgkmcnt(0)
	s_barrier
	buffer_gl0_inv
	ds_read2_b64 v[194:197], v1 offset0:58 offset1:59
	s_cmp_lt_i32 s1, 31
	s_cbranch_scc1 .LBB94_611
; %bb.609:
	v_add3_u32 v203, v204, 0, 0x1e0
	v_mov_b32_e32 v202, 29
	s_mov_b32 s7, 30
	s_inst_prefetch 0x1
	.p2align	6
.LBB94_610:                             ; =>This Inner Loop Header: Depth=1
	s_waitcnt lgkmcnt(0)
	v_cmp_gt_f64_e32 vcc_lo, 0, v[196:197]
	v_cmp_gt_f64_e64 s0, 0, v[194:195]
	ds_read2_b64 v[209:212], v203 offset1:1
	v_xor_b32_e32 v214, 0x80000000, v195
	v_xor_b32_e32 v216, 0x80000000, v197
	v_mov_b32_e32 v213, v194
	v_mov_b32_e32 v215, v196
	v_add_nc_u32_e32 v203, 16, v203
	s_waitcnt lgkmcnt(0)
	v_xor_b32_e32 v218, 0x80000000, v212
	v_cndmask_b32_e64 v214, v195, v214, s0
	v_cndmask_b32_e32 v216, v197, v216, vcc_lo
	v_cmp_gt_f64_e32 vcc_lo, 0, v[211:212]
	v_cmp_gt_f64_e64 s0, 0, v[209:210]
	v_mov_b32_e32 v217, v211
	v_add_f64 v[213:214], v[213:214], v[215:216]
	v_xor_b32_e32 v216, 0x80000000, v210
	v_mov_b32_e32 v215, v209
	v_cndmask_b32_e32 v218, v212, v218, vcc_lo
	v_cndmask_b32_e64 v216, v210, v216, s0
	v_add_f64 v[215:216], v[215:216], v[217:218]
	v_cmp_lt_f64_e32 vcc_lo, v[213:214], v[215:216]
	v_cndmask_b32_e32 v195, v195, v210, vcc_lo
	v_cndmask_b32_e32 v194, v194, v209, vcc_lo
	;; [unrolled: 1-line block ×4, first 2 shown]
	v_cndmask_b32_e64 v202, v202, s7, vcc_lo
	s_add_i32 s7, s7, 1
	s_cmp_lg_u32 s1, s7
	s_cbranch_scc1 .LBB94_610
.LBB94_611:
	s_inst_prefetch 0x2
	s_waitcnt lgkmcnt(0)
	v_cmp_eq_f64_e32 vcc_lo, 0, v[194:195]
	v_cmp_eq_f64_e64 s0, 0, v[196:197]
	s_and_b32 s0, vcc_lo, s0
	s_and_saveexec_b32 s7, s0
	s_xor_b32 s0, exec_lo, s7
; %bb.612:
	v_cmp_ne_u32_e32 vcc_lo, 0, v207
	v_cndmask_b32_e32 v207, 30, v207, vcc_lo
; %bb.613:
	s_andn2_saveexec_b32 s0, s0
	s_cbranch_execz .LBB94_619
; %bb.614:
	v_cmp_ngt_f64_e64 s7, |v[194:195]|, |v[196:197]|
	s_and_saveexec_b32 s8, s7
	s_xor_b32 s7, exec_lo, s8
	s_cbranch_execz .LBB94_616
; %bb.615:
	v_div_scale_f64 v[209:210], null, v[196:197], v[196:197], v[194:195]
	v_div_scale_f64 v[215:216], vcc_lo, v[194:195], v[196:197], v[194:195]
	v_rcp_f64_e32 v[211:212], v[209:210]
	v_fma_f64 v[213:214], -v[209:210], v[211:212], 1.0
	v_fma_f64 v[211:212], v[211:212], v[213:214], v[211:212]
	v_fma_f64 v[213:214], -v[209:210], v[211:212], 1.0
	v_fma_f64 v[211:212], v[211:212], v[213:214], v[211:212]
	v_mul_f64 v[213:214], v[215:216], v[211:212]
	v_fma_f64 v[209:210], -v[209:210], v[213:214], v[215:216]
	v_div_fmas_f64 v[209:210], v[209:210], v[211:212], v[213:214]
	v_div_fixup_f64 v[209:210], v[209:210], v[196:197], v[194:195]
	v_fma_f64 v[194:195], v[194:195], v[209:210], v[196:197]
	v_div_scale_f64 v[196:197], null, v[194:195], v[194:195], 1.0
	v_rcp_f64_e32 v[211:212], v[196:197]
	v_fma_f64 v[213:214], -v[196:197], v[211:212], 1.0
	v_fma_f64 v[211:212], v[211:212], v[213:214], v[211:212]
	v_fma_f64 v[213:214], -v[196:197], v[211:212], 1.0
	v_fma_f64 v[211:212], v[211:212], v[213:214], v[211:212]
	v_div_scale_f64 v[213:214], vcc_lo, 1.0, v[194:195], 1.0
	v_mul_f64 v[215:216], v[213:214], v[211:212]
	v_fma_f64 v[196:197], -v[196:197], v[215:216], v[213:214]
	v_div_fmas_f64 v[196:197], v[196:197], v[211:212], v[215:216]
	v_div_fixup_f64 v[196:197], v[196:197], v[194:195], 1.0
	v_mul_f64 v[194:195], v[209:210], v[196:197]
	v_xor_b32_e32 v197, 0x80000000, v197
.LBB94_616:
	s_andn2_saveexec_b32 s7, s7
	s_cbranch_execz .LBB94_618
; %bb.617:
	v_div_scale_f64 v[209:210], null, v[194:195], v[194:195], v[196:197]
	v_div_scale_f64 v[215:216], vcc_lo, v[196:197], v[194:195], v[196:197]
	v_rcp_f64_e32 v[211:212], v[209:210]
	v_fma_f64 v[213:214], -v[209:210], v[211:212], 1.0
	v_fma_f64 v[211:212], v[211:212], v[213:214], v[211:212]
	v_fma_f64 v[213:214], -v[209:210], v[211:212], 1.0
	v_fma_f64 v[211:212], v[211:212], v[213:214], v[211:212]
	v_mul_f64 v[213:214], v[215:216], v[211:212]
	v_fma_f64 v[209:210], -v[209:210], v[213:214], v[215:216]
	v_div_fmas_f64 v[209:210], v[209:210], v[211:212], v[213:214]
	v_div_fixup_f64 v[209:210], v[209:210], v[194:195], v[196:197]
	v_fma_f64 v[194:195], v[196:197], v[209:210], v[194:195]
	v_div_scale_f64 v[196:197], null, v[194:195], v[194:195], 1.0
	v_rcp_f64_e32 v[211:212], v[196:197]
	v_fma_f64 v[213:214], -v[196:197], v[211:212], 1.0
	v_fma_f64 v[211:212], v[211:212], v[213:214], v[211:212]
	v_fma_f64 v[213:214], -v[196:197], v[211:212], 1.0
	v_fma_f64 v[211:212], v[211:212], v[213:214], v[211:212]
	v_div_scale_f64 v[213:214], vcc_lo, 1.0, v[194:195], 1.0
	v_mul_f64 v[215:216], v[213:214], v[211:212]
	v_fma_f64 v[196:197], -v[196:197], v[215:216], v[213:214]
	v_div_fmas_f64 v[196:197], v[196:197], v[211:212], v[215:216]
	v_div_fixup_f64 v[194:195], v[196:197], v[194:195], 1.0
	v_mul_f64 v[196:197], v[209:210], -v[194:195]
.LBB94_618:
	s_or_b32 exec_lo, exec_lo, s7
.LBB94_619:
	s_or_b32 exec_lo, exec_lo, s0
	s_mov_b32 s0, exec_lo
	v_cmpx_ne_u32_e64 v208, v202
	s_xor_b32 s0, exec_lo, s0
	s_cbranch_execz .LBB94_625
; %bb.620:
	s_mov_b32 s7, exec_lo
	v_cmpx_eq_u32_e32 29, v208
	s_cbranch_execz .LBB94_624
; %bb.621:
	v_cmp_ne_u32_e32 vcc_lo, 29, v202
	s_xor_b32 s8, s16, -1
	s_and_b32 s9, s8, vcc_lo
	s_and_saveexec_b32 s8, s9
	s_cbranch_execz .LBB94_623
; %bb.622:
	v_ashrrev_i32_e32 v203, 31, v202
	v_lshlrev_b64 v[208:209], 2, v[202:203]
	v_add_co_u32 v208, vcc_lo, v200, v208
	v_add_co_ci_u32_e64 v209, null, v201, v209, vcc_lo
	s_clause 0x1
	global_load_dword v0, v[208:209], off
	global_load_dword v203, v[200:201], off offset:116
	s_waitcnt vmcnt(1)
	global_store_dword v[200:201], v0, off offset:116
	s_waitcnt vmcnt(0)
	global_store_dword v[208:209], v203, off
.LBB94_623:
	s_or_b32 exec_lo, exec_lo, s8
	v_mov_b32_e32 v208, v202
	v_mov_b32_e32 v0, v202
.LBB94_624:
	s_or_b32 exec_lo, exec_lo, s7
.LBB94_625:
	s_andn2_saveexec_b32 s0, s0
	s_cbranch_execz .LBB94_627
; %bb.626:
	v_mov_b32_e32 v208, 29
	ds_write2_b64 v1, v[70:71], v[72:73] offset0:60 offset1:61
	ds_write2_b64 v1, v[66:67], v[68:69] offset0:62 offset1:63
	;; [unrolled: 1-line block ×18, first 2 shown]
.LBB94_627:
	s_or_b32 exec_lo, exec_lo, s0
	s_mov_b32 s0, exec_lo
	s_waitcnt lgkmcnt(0)
	s_waitcnt_vscnt null, 0x0
	s_barrier
	buffer_gl0_inv
	v_cmpx_lt_i32_e32 29, v208
	s_cbranch_execz .LBB94_629
; %bb.628:
	v_mul_f64 v[202:203], v[196:197], v[76:77]
	v_mul_f64 v[76:77], v[194:195], v[76:77]
	v_fma_f64 v[202:203], v[194:195], v[74:75], -v[202:203]
	v_fma_f64 v[76:77], v[196:197], v[74:75], v[76:77]
	ds_read2_b64 v[194:197], v1 offset0:60 offset1:61
	s_waitcnt lgkmcnt(0)
	v_mul_f64 v[74:75], v[196:197], v[76:77]
	v_fma_f64 v[74:75], v[194:195], v[202:203], -v[74:75]
	v_mul_f64 v[194:195], v[194:195], v[76:77]
	v_add_f64 v[70:71], v[70:71], -v[74:75]
	v_fma_f64 v[194:195], v[196:197], v[202:203], v[194:195]
	v_add_f64 v[72:73], v[72:73], -v[194:195]
	ds_read2_b64 v[194:197], v1 offset0:62 offset1:63
	s_waitcnt lgkmcnt(0)
	v_mul_f64 v[74:75], v[196:197], v[76:77]
	v_fma_f64 v[74:75], v[194:195], v[202:203], -v[74:75]
	v_mul_f64 v[194:195], v[194:195], v[76:77]
	v_add_f64 v[66:67], v[66:67], -v[74:75]
	v_fma_f64 v[194:195], v[196:197], v[202:203], v[194:195]
	v_add_f64 v[68:69], v[68:69], -v[194:195]
	;; [unrolled: 8-line block ×17, first 2 shown]
	ds_read2_b64 v[194:197], v1 offset0:94 offset1:95
	s_waitcnt lgkmcnt(0)
	v_mul_f64 v[74:75], v[196:197], v[76:77]
	v_fma_f64 v[74:75], v[194:195], v[202:203], -v[74:75]
	v_mul_f64 v[194:195], v[194:195], v[76:77]
	v_add_f64 v[2:3], v[2:3], -v[74:75]
	v_fma_f64 v[194:195], v[196:197], v[202:203], v[194:195]
	v_mov_b32_e32 v74, v202
	v_mov_b32_e32 v75, v203
	v_add_f64 v[4:5], v[4:5], -v[194:195]
.LBB94_629:
	s_or_b32 exec_lo, exec_lo, s0
	v_lshl_add_u32 v194, v208, 4, v1
	s_barrier
	buffer_gl0_inv
	v_mov_b32_e32 v202, 30
	ds_write2_b64 v194, v[70:71], v[72:73] offset1:1
	s_waitcnt lgkmcnt(0)
	s_barrier
	buffer_gl0_inv
	ds_read2_b64 v[194:197], v1 offset0:60 offset1:61
	s_cmp_lt_i32 s1, 32
	s_cbranch_scc1 .LBB94_632
; %bb.630:
	v_add3_u32 v203, v204, 0, 0x1f0
	v_mov_b32_e32 v202, 30
	s_mov_b32 s7, 31
	s_inst_prefetch 0x1
	.p2align	6
.LBB94_631:                             ; =>This Inner Loop Header: Depth=1
	s_waitcnt lgkmcnt(0)
	v_cmp_gt_f64_e32 vcc_lo, 0, v[196:197]
	v_cmp_gt_f64_e64 s0, 0, v[194:195]
	ds_read2_b64 v[209:212], v203 offset1:1
	v_xor_b32_e32 v214, 0x80000000, v195
	v_xor_b32_e32 v216, 0x80000000, v197
	v_mov_b32_e32 v213, v194
	v_mov_b32_e32 v215, v196
	v_add_nc_u32_e32 v203, 16, v203
	s_waitcnt lgkmcnt(0)
	v_xor_b32_e32 v218, 0x80000000, v212
	v_cndmask_b32_e64 v214, v195, v214, s0
	v_cndmask_b32_e32 v216, v197, v216, vcc_lo
	v_cmp_gt_f64_e32 vcc_lo, 0, v[211:212]
	v_cmp_gt_f64_e64 s0, 0, v[209:210]
	v_mov_b32_e32 v217, v211
	v_add_f64 v[213:214], v[213:214], v[215:216]
	v_xor_b32_e32 v216, 0x80000000, v210
	v_mov_b32_e32 v215, v209
	v_cndmask_b32_e32 v218, v212, v218, vcc_lo
	v_cndmask_b32_e64 v216, v210, v216, s0
	v_add_f64 v[215:216], v[215:216], v[217:218]
	v_cmp_lt_f64_e32 vcc_lo, v[213:214], v[215:216]
	v_cndmask_b32_e32 v195, v195, v210, vcc_lo
	v_cndmask_b32_e32 v194, v194, v209, vcc_lo
	;; [unrolled: 1-line block ×4, first 2 shown]
	v_cndmask_b32_e64 v202, v202, s7, vcc_lo
	s_add_i32 s7, s7, 1
	s_cmp_lg_u32 s1, s7
	s_cbranch_scc1 .LBB94_631
.LBB94_632:
	s_inst_prefetch 0x2
	s_waitcnt lgkmcnt(0)
	v_cmp_eq_f64_e32 vcc_lo, 0, v[194:195]
	v_cmp_eq_f64_e64 s0, 0, v[196:197]
	s_and_b32 s0, vcc_lo, s0
	s_and_saveexec_b32 s7, s0
	s_xor_b32 s0, exec_lo, s7
; %bb.633:
	v_cmp_ne_u32_e32 vcc_lo, 0, v207
	v_cndmask_b32_e32 v207, 31, v207, vcc_lo
; %bb.634:
	s_andn2_saveexec_b32 s0, s0
	s_cbranch_execz .LBB94_640
; %bb.635:
	v_cmp_ngt_f64_e64 s7, |v[194:195]|, |v[196:197]|
	s_and_saveexec_b32 s8, s7
	s_xor_b32 s7, exec_lo, s8
	s_cbranch_execz .LBB94_637
; %bb.636:
	v_div_scale_f64 v[209:210], null, v[196:197], v[196:197], v[194:195]
	v_div_scale_f64 v[215:216], vcc_lo, v[194:195], v[196:197], v[194:195]
	v_rcp_f64_e32 v[211:212], v[209:210]
	v_fma_f64 v[213:214], -v[209:210], v[211:212], 1.0
	v_fma_f64 v[211:212], v[211:212], v[213:214], v[211:212]
	v_fma_f64 v[213:214], -v[209:210], v[211:212], 1.0
	v_fma_f64 v[211:212], v[211:212], v[213:214], v[211:212]
	v_mul_f64 v[213:214], v[215:216], v[211:212]
	v_fma_f64 v[209:210], -v[209:210], v[213:214], v[215:216]
	v_div_fmas_f64 v[209:210], v[209:210], v[211:212], v[213:214]
	v_div_fixup_f64 v[209:210], v[209:210], v[196:197], v[194:195]
	v_fma_f64 v[194:195], v[194:195], v[209:210], v[196:197]
	v_div_scale_f64 v[196:197], null, v[194:195], v[194:195], 1.0
	v_rcp_f64_e32 v[211:212], v[196:197]
	v_fma_f64 v[213:214], -v[196:197], v[211:212], 1.0
	v_fma_f64 v[211:212], v[211:212], v[213:214], v[211:212]
	v_fma_f64 v[213:214], -v[196:197], v[211:212], 1.0
	v_fma_f64 v[211:212], v[211:212], v[213:214], v[211:212]
	v_div_scale_f64 v[213:214], vcc_lo, 1.0, v[194:195], 1.0
	v_mul_f64 v[215:216], v[213:214], v[211:212]
	v_fma_f64 v[196:197], -v[196:197], v[215:216], v[213:214]
	v_div_fmas_f64 v[196:197], v[196:197], v[211:212], v[215:216]
	v_div_fixup_f64 v[196:197], v[196:197], v[194:195], 1.0
	v_mul_f64 v[194:195], v[209:210], v[196:197]
	v_xor_b32_e32 v197, 0x80000000, v197
.LBB94_637:
	s_andn2_saveexec_b32 s7, s7
	s_cbranch_execz .LBB94_639
; %bb.638:
	v_div_scale_f64 v[209:210], null, v[194:195], v[194:195], v[196:197]
	v_div_scale_f64 v[215:216], vcc_lo, v[196:197], v[194:195], v[196:197]
	v_rcp_f64_e32 v[211:212], v[209:210]
	v_fma_f64 v[213:214], -v[209:210], v[211:212], 1.0
	v_fma_f64 v[211:212], v[211:212], v[213:214], v[211:212]
	v_fma_f64 v[213:214], -v[209:210], v[211:212], 1.0
	v_fma_f64 v[211:212], v[211:212], v[213:214], v[211:212]
	v_mul_f64 v[213:214], v[215:216], v[211:212]
	v_fma_f64 v[209:210], -v[209:210], v[213:214], v[215:216]
	v_div_fmas_f64 v[209:210], v[209:210], v[211:212], v[213:214]
	v_div_fixup_f64 v[209:210], v[209:210], v[194:195], v[196:197]
	v_fma_f64 v[194:195], v[196:197], v[209:210], v[194:195]
	v_div_scale_f64 v[196:197], null, v[194:195], v[194:195], 1.0
	v_rcp_f64_e32 v[211:212], v[196:197]
	v_fma_f64 v[213:214], -v[196:197], v[211:212], 1.0
	v_fma_f64 v[211:212], v[211:212], v[213:214], v[211:212]
	v_fma_f64 v[213:214], -v[196:197], v[211:212], 1.0
	v_fma_f64 v[211:212], v[211:212], v[213:214], v[211:212]
	v_div_scale_f64 v[213:214], vcc_lo, 1.0, v[194:195], 1.0
	v_mul_f64 v[215:216], v[213:214], v[211:212]
	v_fma_f64 v[196:197], -v[196:197], v[215:216], v[213:214]
	v_div_fmas_f64 v[196:197], v[196:197], v[211:212], v[215:216]
	v_div_fixup_f64 v[194:195], v[196:197], v[194:195], 1.0
	v_mul_f64 v[196:197], v[209:210], -v[194:195]
.LBB94_639:
	s_or_b32 exec_lo, exec_lo, s7
.LBB94_640:
	s_or_b32 exec_lo, exec_lo, s0
	s_mov_b32 s0, exec_lo
	v_cmpx_ne_u32_e64 v208, v202
	s_xor_b32 s0, exec_lo, s0
	s_cbranch_execz .LBB94_646
; %bb.641:
	s_mov_b32 s7, exec_lo
	v_cmpx_eq_u32_e32 30, v208
	s_cbranch_execz .LBB94_645
; %bb.642:
	v_cmp_ne_u32_e32 vcc_lo, 30, v202
	s_xor_b32 s8, s16, -1
	s_and_b32 s9, s8, vcc_lo
	s_and_saveexec_b32 s8, s9
	s_cbranch_execz .LBB94_644
; %bb.643:
	v_ashrrev_i32_e32 v203, 31, v202
	v_lshlrev_b64 v[208:209], 2, v[202:203]
	v_add_co_u32 v208, vcc_lo, v200, v208
	v_add_co_ci_u32_e64 v209, null, v201, v209, vcc_lo
	s_clause 0x1
	global_load_dword v0, v[208:209], off
	global_load_dword v203, v[200:201], off offset:120
	s_waitcnt vmcnt(1)
	global_store_dword v[200:201], v0, off offset:120
	s_waitcnt vmcnt(0)
	global_store_dword v[208:209], v203, off
.LBB94_644:
	s_or_b32 exec_lo, exec_lo, s8
	v_mov_b32_e32 v208, v202
	v_mov_b32_e32 v0, v202
.LBB94_645:
	s_or_b32 exec_lo, exec_lo, s7
.LBB94_646:
	s_andn2_saveexec_b32 s0, s0
	s_cbranch_execz .LBB94_648
; %bb.647:
	v_mov_b32_e32 v208, 30
	ds_write2_b64 v1, v[66:67], v[68:69] offset0:62 offset1:63
	ds_write2_b64 v1, v[62:63], v[64:65] offset0:64 offset1:65
	;; [unrolled: 1-line block ×17, first 2 shown]
.LBB94_648:
	s_or_b32 exec_lo, exec_lo, s0
	s_mov_b32 s0, exec_lo
	s_waitcnt lgkmcnt(0)
	s_waitcnt_vscnt null, 0x0
	s_barrier
	buffer_gl0_inv
	v_cmpx_lt_i32_e32 30, v208
	s_cbranch_execz .LBB94_650
; %bb.649:
	v_mul_f64 v[202:203], v[196:197], v[72:73]
	v_mul_f64 v[72:73], v[194:195], v[72:73]
	v_fma_f64 v[202:203], v[194:195], v[70:71], -v[202:203]
	v_fma_f64 v[72:73], v[196:197], v[70:71], v[72:73]
	ds_read2_b64 v[194:197], v1 offset0:62 offset1:63
	s_waitcnt lgkmcnt(0)
	v_mul_f64 v[70:71], v[196:197], v[72:73]
	v_fma_f64 v[70:71], v[194:195], v[202:203], -v[70:71]
	v_mul_f64 v[194:195], v[194:195], v[72:73]
	v_add_f64 v[66:67], v[66:67], -v[70:71]
	v_fma_f64 v[194:195], v[196:197], v[202:203], v[194:195]
	v_add_f64 v[68:69], v[68:69], -v[194:195]
	ds_read2_b64 v[194:197], v1 offset0:64 offset1:65
	s_waitcnt lgkmcnt(0)
	v_mul_f64 v[70:71], v[196:197], v[72:73]
	v_fma_f64 v[70:71], v[194:195], v[202:203], -v[70:71]
	v_mul_f64 v[194:195], v[194:195], v[72:73]
	v_add_f64 v[62:63], v[62:63], -v[70:71]
	v_fma_f64 v[194:195], v[196:197], v[202:203], v[194:195]
	v_add_f64 v[64:65], v[64:65], -v[194:195]
	;; [unrolled: 8-line block ×16, first 2 shown]
	ds_read2_b64 v[194:197], v1 offset0:94 offset1:95
	s_waitcnt lgkmcnt(0)
	v_mul_f64 v[70:71], v[196:197], v[72:73]
	v_fma_f64 v[70:71], v[194:195], v[202:203], -v[70:71]
	v_mul_f64 v[194:195], v[194:195], v[72:73]
	v_add_f64 v[2:3], v[2:3], -v[70:71]
	v_fma_f64 v[194:195], v[196:197], v[202:203], v[194:195]
	v_mov_b32_e32 v70, v202
	v_mov_b32_e32 v71, v203
	v_add_f64 v[4:5], v[4:5], -v[194:195]
.LBB94_650:
	s_or_b32 exec_lo, exec_lo, s0
	v_lshl_add_u32 v194, v208, 4, v1
	s_barrier
	buffer_gl0_inv
	v_mov_b32_e32 v202, 31
	ds_write2_b64 v194, v[66:67], v[68:69] offset1:1
	s_waitcnt lgkmcnt(0)
	s_barrier
	buffer_gl0_inv
	ds_read2_b64 v[194:197], v1 offset0:62 offset1:63
	s_cmp_lt_i32 s1, 33
	s_cbranch_scc1 .LBB94_653
; %bb.651:
	v_add3_u32 v203, v204, 0, 0x200
	v_mov_b32_e32 v202, 31
	s_mov_b32 s7, 32
	s_inst_prefetch 0x1
	.p2align	6
.LBB94_652:                             ; =>This Inner Loop Header: Depth=1
	s_waitcnt lgkmcnt(0)
	v_cmp_gt_f64_e32 vcc_lo, 0, v[196:197]
	v_cmp_gt_f64_e64 s0, 0, v[194:195]
	ds_read2_b64 v[209:212], v203 offset1:1
	v_xor_b32_e32 v214, 0x80000000, v195
	v_xor_b32_e32 v216, 0x80000000, v197
	v_mov_b32_e32 v213, v194
	v_mov_b32_e32 v215, v196
	v_add_nc_u32_e32 v203, 16, v203
	s_waitcnt lgkmcnt(0)
	v_xor_b32_e32 v218, 0x80000000, v212
	v_cndmask_b32_e64 v214, v195, v214, s0
	v_cndmask_b32_e32 v216, v197, v216, vcc_lo
	v_cmp_gt_f64_e32 vcc_lo, 0, v[211:212]
	v_cmp_gt_f64_e64 s0, 0, v[209:210]
	v_mov_b32_e32 v217, v211
	v_add_f64 v[213:214], v[213:214], v[215:216]
	v_xor_b32_e32 v216, 0x80000000, v210
	v_mov_b32_e32 v215, v209
	v_cndmask_b32_e32 v218, v212, v218, vcc_lo
	v_cndmask_b32_e64 v216, v210, v216, s0
	v_add_f64 v[215:216], v[215:216], v[217:218]
	v_cmp_lt_f64_e32 vcc_lo, v[213:214], v[215:216]
	v_cndmask_b32_e32 v195, v195, v210, vcc_lo
	v_cndmask_b32_e32 v194, v194, v209, vcc_lo
	;; [unrolled: 1-line block ×4, first 2 shown]
	v_cndmask_b32_e64 v202, v202, s7, vcc_lo
	s_add_i32 s7, s7, 1
	s_cmp_lg_u32 s1, s7
	s_cbranch_scc1 .LBB94_652
.LBB94_653:
	s_inst_prefetch 0x2
	s_waitcnt lgkmcnt(0)
	v_cmp_eq_f64_e32 vcc_lo, 0, v[194:195]
	v_cmp_eq_f64_e64 s0, 0, v[196:197]
	s_and_b32 s0, vcc_lo, s0
	s_and_saveexec_b32 s7, s0
	s_xor_b32 s0, exec_lo, s7
; %bb.654:
	v_cmp_ne_u32_e32 vcc_lo, 0, v207
	v_cndmask_b32_e32 v207, 32, v207, vcc_lo
; %bb.655:
	s_andn2_saveexec_b32 s0, s0
	s_cbranch_execz .LBB94_661
; %bb.656:
	v_cmp_ngt_f64_e64 s7, |v[194:195]|, |v[196:197]|
	s_and_saveexec_b32 s8, s7
	s_xor_b32 s7, exec_lo, s8
	s_cbranch_execz .LBB94_658
; %bb.657:
	v_div_scale_f64 v[209:210], null, v[196:197], v[196:197], v[194:195]
	v_div_scale_f64 v[215:216], vcc_lo, v[194:195], v[196:197], v[194:195]
	v_rcp_f64_e32 v[211:212], v[209:210]
	v_fma_f64 v[213:214], -v[209:210], v[211:212], 1.0
	v_fma_f64 v[211:212], v[211:212], v[213:214], v[211:212]
	v_fma_f64 v[213:214], -v[209:210], v[211:212], 1.0
	v_fma_f64 v[211:212], v[211:212], v[213:214], v[211:212]
	v_mul_f64 v[213:214], v[215:216], v[211:212]
	v_fma_f64 v[209:210], -v[209:210], v[213:214], v[215:216]
	v_div_fmas_f64 v[209:210], v[209:210], v[211:212], v[213:214]
	v_div_fixup_f64 v[209:210], v[209:210], v[196:197], v[194:195]
	v_fma_f64 v[194:195], v[194:195], v[209:210], v[196:197]
	v_div_scale_f64 v[196:197], null, v[194:195], v[194:195], 1.0
	v_rcp_f64_e32 v[211:212], v[196:197]
	v_fma_f64 v[213:214], -v[196:197], v[211:212], 1.0
	v_fma_f64 v[211:212], v[211:212], v[213:214], v[211:212]
	v_fma_f64 v[213:214], -v[196:197], v[211:212], 1.0
	v_fma_f64 v[211:212], v[211:212], v[213:214], v[211:212]
	v_div_scale_f64 v[213:214], vcc_lo, 1.0, v[194:195], 1.0
	v_mul_f64 v[215:216], v[213:214], v[211:212]
	v_fma_f64 v[196:197], -v[196:197], v[215:216], v[213:214]
	v_div_fmas_f64 v[196:197], v[196:197], v[211:212], v[215:216]
	v_div_fixup_f64 v[196:197], v[196:197], v[194:195], 1.0
	v_mul_f64 v[194:195], v[209:210], v[196:197]
	v_xor_b32_e32 v197, 0x80000000, v197
.LBB94_658:
	s_andn2_saveexec_b32 s7, s7
	s_cbranch_execz .LBB94_660
; %bb.659:
	v_div_scale_f64 v[209:210], null, v[194:195], v[194:195], v[196:197]
	v_div_scale_f64 v[215:216], vcc_lo, v[196:197], v[194:195], v[196:197]
	v_rcp_f64_e32 v[211:212], v[209:210]
	v_fma_f64 v[213:214], -v[209:210], v[211:212], 1.0
	v_fma_f64 v[211:212], v[211:212], v[213:214], v[211:212]
	v_fma_f64 v[213:214], -v[209:210], v[211:212], 1.0
	v_fma_f64 v[211:212], v[211:212], v[213:214], v[211:212]
	v_mul_f64 v[213:214], v[215:216], v[211:212]
	v_fma_f64 v[209:210], -v[209:210], v[213:214], v[215:216]
	v_div_fmas_f64 v[209:210], v[209:210], v[211:212], v[213:214]
	v_div_fixup_f64 v[209:210], v[209:210], v[194:195], v[196:197]
	v_fma_f64 v[194:195], v[196:197], v[209:210], v[194:195]
	v_div_scale_f64 v[196:197], null, v[194:195], v[194:195], 1.0
	v_rcp_f64_e32 v[211:212], v[196:197]
	v_fma_f64 v[213:214], -v[196:197], v[211:212], 1.0
	v_fma_f64 v[211:212], v[211:212], v[213:214], v[211:212]
	v_fma_f64 v[213:214], -v[196:197], v[211:212], 1.0
	v_fma_f64 v[211:212], v[211:212], v[213:214], v[211:212]
	v_div_scale_f64 v[213:214], vcc_lo, 1.0, v[194:195], 1.0
	v_mul_f64 v[215:216], v[213:214], v[211:212]
	v_fma_f64 v[196:197], -v[196:197], v[215:216], v[213:214]
	v_div_fmas_f64 v[196:197], v[196:197], v[211:212], v[215:216]
	v_div_fixup_f64 v[194:195], v[196:197], v[194:195], 1.0
	v_mul_f64 v[196:197], v[209:210], -v[194:195]
.LBB94_660:
	s_or_b32 exec_lo, exec_lo, s7
.LBB94_661:
	s_or_b32 exec_lo, exec_lo, s0
	s_mov_b32 s0, exec_lo
	v_cmpx_ne_u32_e64 v208, v202
	s_xor_b32 s0, exec_lo, s0
	s_cbranch_execz .LBB94_667
; %bb.662:
	s_mov_b32 s7, exec_lo
	v_cmpx_eq_u32_e32 31, v208
	s_cbranch_execz .LBB94_666
; %bb.663:
	v_cmp_ne_u32_e32 vcc_lo, 31, v202
	s_xor_b32 s8, s16, -1
	s_and_b32 s9, s8, vcc_lo
	s_and_saveexec_b32 s8, s9
	s_cbranch_execz .LBB94_665
; %bb.664:
	v_ashrrev_i32_e32 v203, 31, v202
	v_lshlrev_b64 v[208:209], 2, v[202:203]
	v_add_co_u32 v208, vcc_lo, v200, v208
	v_add_co_ci_u32_e64 v209, null, v201, v209, vcc_lo
	s_clause 0x1
	global_load_dword v0, v[208:209], off
	global_load_dword v203, v[200:201], off offset:124
	s_waitcnt vmcnt(1)
	global_store_dword v[200:201], v0, off offset:124
	s_waitcnt vmcnt(0)
	global_store_dword v[208:209], v203, off
.LBB94_665:
	s_or_b32 exec_lo, exec_lo, s8
	v_mov_b32_e32 v208, v202
	v_mov_b32_e32 v0, v202
.LBB94_666:
	s_or_b32 exec_lo, exec_lo, s7
.LBB94_667:
	s_andn2_saveexec_b32 s0, s0
	s_cbranch_execz .LBB94_669
; %bb.668:
	v_mov_b32_e32 v208, 31
	ds_write2_b64 v1, v[62:63], v[64:65] offset0:64 offset1:65
	ds_write2_b64 v1, v[58:59], v[60:61] offset0:66 offset1:67
	;; [unrolled: 1-line block ×16, first 2 shown]
.LBB94_669:
	s_or_b32 exec_lo, exec_lo, s0
	s_mov_b32 s0, exec_lo
	s_waitcnt lgkmcnt(0)
	s_waitcnt_vscnt null, 0x0
	s_barrier
	buffer_gl0_inv
	v_cmpx_lt_i32_e32 31, v208
	s_cbranch_execz .LBB94_671
; %bb.670:
	v_mul_f64 v[202:203], v[194:195], v[68:69]
	v_mul_f64 v[68:69], v[196:197], v[68:69]
	v_fma_f64 v[202:203], v[196:197], v[66:67], v[202:203]
	v_fma_f64 v[66:67], v[194:195], v[66:67], -v[68:69]
	ds_read2_b64 v[194:197], v1 offset0:64 offset1:65
	s_waitcnt lgkmcnt(0)
	v_mul_f64 v[68:69], v[196:197], v[202:203]
	v_fma_f64 v[68:69], v[194:195], v[66:67], -v[68:69]
	v_mul_f64 v[194:195], v[194:195], v[202:203]
	v_add_f64 v[62:63], v[62:63], -v[68:69]
	v_fma_f64 v[194:195], v[196:197], v[66:67], v[194:195]
	v_add_f64 v[64:65], v[64:65], -v[194:195]
	ds_read2_b64 v[194:197], v1 offset0:66 offset1:67
	s_waitcnt lgkmcnt(0)
	v_mul_f64 v[68:69], v[196:197], v[202:203]
	v_fma_f64 v[68:69], v[194:195], v[66:67], -v[68:69]
	v_mul_f64 v[194:195], v[194:195], v[202:203]
	v_add_f64 v[58:59], v[58:59], -v[68:69]
	v_fma_f64 v[194:195], v[196:197], v[66:67], v[194:195]
	v_add_f64 v[60:61], v[60:61], -v[194:195]
	;; [unrolled: 8-line block ×15, first 2 shown]
	ds_read2_b64 v[194:197], v1 offset0:94 offset1:95
	s_waitcnt lgkmcnt(0)
	v_mul_f64 v[68:69], v[196:197], v[202:203]
	v_fma_f64 v[68:69], v[194:195], v[66:67], -v[68:69]
	v_mul_f64 v[194:195], v[194:195], v[202:203]
	v_add_f64 v[2:3], v[2:3], -v[68:69]
	v_fma_f64 v[194:195], v[196:197], v[66:67], v[194:195]
	v_mov_b32_e32 v68, v202
	v_mov_b32_e32 v69, v203
	v_add_f64 v[4:5], v[4:5], -v[194:195]
.LBB94_671:
	s_or_b32 exec_lo, exec_lo, s0
	v_lshl_add_u32 v194, v208, 4, v1
	s_barrier
	buffer_gl0_inv
	v_mov_b32_e32 v202, 32
	ds_write2_b64 v194, v[62:63], v[64:65] offset1:1
	s_waitcnt lgkmcnt(0)
	s_barrier
	buffer_gl0_inv
	ds_read2_b64 v[194:197], v1 offset0:64 offset1:65
	s_cmp_lt_i32 s1, 34
	s_cbranch_scc1 .LBB94_674
; %bb.672:
	v_add3_u32 v203, v204, 0, 0x210
	v_mov_b32_e32 v202, 32
	s_mov_b32 s7, 33
	s_inst_prefetch 0x1
	.p2align	6
.LBB94_673:                             ; =>This Inner Loop Header: Depth=1
	s_waitcnt lgkmcnt(0)
	v_cmp_gt_f64_e32 vcc_lo, 0, v[196:197]
	v_cmp_gt_f64_e64 s0, 0, v[194:195]
	ds_read2_b64 v[209:212], v203 offset1:1
	v_xor_b32_e32 v214, 0x80000000, v195
	v_xor_b32_e32 v216, 0x80000000, v197
	v_mov_b32_e32 v213, v194
	v_mov_b32_e32 v215, v196
	v_add_nc_u32_e32 v203, 16, v203
	s_waitcnt lgkmcnt(0)
	v_xor_b32_e32 v218, 0x80000000, v212
	v_cndmask_b32_e64 v214, v195, v214, s0
	v_cndmask_b32_e32 v216, v197, v216, vcc_lo
	v_cmp_gt_f64_e32 vcc_lo, 0, v[211:212]
	v_cmp_gt_f64_e64 s0, 0, v[209:210]
	v_mov_b32_e32 v217, v211
	v_add_f64 v[213:214], v[213:214], v[215:216]
	v_xor_b32_e32 v216, 0x80000000, v210
	v_mov_b32_e32 v215, v209
	v_cndmask_b32_e32 v218, v212, v218, vcc_lo
	v_cndmask_b32_e64 v216, v210, v216, s0
	v_add_f64 v[215:216], v[215:216], v[217:218]
	v_cmp_lt_f64_e32 vcc_lo, v[213:214], v[215:216]
	v_cndmask_b32_e32 v195, v195, v210, vcc_lo
	v_cndmask_b32_e32 v194, v194, v209, vcc_lo
	;; [unrolled: 1-line block ×4, first 2 shown]
	v_cndmask_b32_e64 v202, v202, s7, vcc_lo
	s_add_i32 s7, s7, 1
	s_cmp_lg_u32 s1, s7
	s_cbranch_scc1 .LBB94_673
.LBB94_674:
	s_inst_prefetch 0x2
	s_waitcnt lgkmcnt(0)
	v_cmp_eq_f64_e32 vcc_lo, 0, v[194:195]
	v_cmp_eq_f64_e64 s0, 0, v[196:197]
	s_and_b32 s0, vcc_lo, s0
	s_and_saveexec_b32 s7, s0
	s_xor_b32 s0, exec_lo, s7
; %bb.675:
	v_cmp_ne_u32_e32 vcc_lo, 0, v207
	v_cndmask_b32_e32 v207, 33, v207, vcc_lo
; %bb.676:
	s_andn2_saveexec_b32 s0, s0
	s_cbranch_execz .LBB94_682
; %bb.677:
	v_cmp_ngt_f64_e64 s7, |v[194:195]|, |v[196:197]|
	s_and_saveexec_b32 s8, s7
	s_xor_b32 s7, exec_lo, s8
	s_cbranch_execz .LBB94_679
; %bb.678:
	v_div_scale_f64 v[209:210], null, v[196:197], v[196:197], v[194:195]
	v_div_scale_f64 v[215:216], vcc_lo, v[194:195], v[196:197], v[194:195]
	v_rcp_f64_e32 v[211:212], v[209:210]
	v_fma_f64 v[213:214], -v[209:210], v[211:212], 1.0
	v_fma_f64 v[211:212], v[211:212], v[213:214], v[211:212]
	v_fma_f64 v[213:214], -v[209:210], v[211:212], 1.0
	v_fma_f64 v[211:212], v[211:212], v[213:214], v[211:212]
	v_mul_f64 v[213:214], v[215:216], v[211:212]
	v_fma_f64 v[209:210], -v[209:210], v[213:214], v[215:216]
	v_div_fmas_f64 v[209:210], v[209:210], v[211:212], v[213:214]
	v_div_fixup_f64 v[209:210], v[209:210], v[196:197], v[194:195]
	v_fma_f64 v[194:195], v[194:195], v[209:210], v[196:197]
	v_div_scale_f64 v[196:197], null, v[194:195], v[194:195], 1.0
	v_rcp_f64_e32 v[211:212], v[196:197]
	v_fma_f64 v[213:214], -v[196:197], v[211:212], 1.0
	v_fma_f64 v[211:212], v[211:212], v[213:214], v[211:212]
	v_fma_f64 v[213:214], -v[196:197], v[211:212], 1.0
	v_fma_f64 v[211:212], v[211:212], v[213:214], v[211:212]
	v_div_scale_f64 v[213:214], vcc_lo, 1.0, v[194:195], 1.0
	v_mul_f64 v[215:216], v[213:214], v[211:212]
	v_fma_f64 v[196:197], -v[196:197], v[215:216], v[213:214]
	v_div_fmas_f64 v[196:197], v[196:197], v[211:212], v[215:216]
	v_div_fixup_f64 v[196:197], v[196:197], v[194:195], 1.0
	v_mul_f64 v[194:195], v[209:210], v[196:197]
	v_xor_b32_e32 v197, 0x80000000, v197
.LBB94_679:
	s_andn2_saveexec_b32 s7, s7
	s_cbranch_execz .LBB94_681
; %bb.680:
	v_div_scale_f64 v[209:210], null, v[194:195], v[194:195], v[196:197]
	v_div_scale_f64 v[215:216], vcc_lo, v[196:197], v[194:195], v[196:197]
	v_rcp_f64_e32 v[211:212], v[209:210]
	v_fma_f64 v[213:214], -v[209:210], v[211:212], 1.0
	v_fma_f64 v[211:212], v[211:212], v[213:214], v[211:212]
	v_fma_f64 v[213:214], -v[209:210], v[211:212], 1.0
	v_fma_f64 v[211:212], v[211:212], v[213:214], v[211:212]
	v_mul_f64 v[213:214], v[215:216], v[211:212]
	v_fma_f64 v[209:210], -v[209:210], v[213:214], v[215:216]
	v_div_fmas_f64 v[209:210], v[209:210], v[211:212], v[213:214]
	v_div_fixup_f64 v[209:210], v[209:210], v[194:195], v[196:197]
	v_fma_f64 v[194:195], v[196:197], v[209:210], v[194:195]
	v_div_scale_f64 v[196:197], null, v[194:195], v[194:195], 1.0
	v_rcp_f64_e32 v[211:212], v[196:197]
	v_fma_f64 v[213:214], -v[196:197], v[211:212], 1.0
	v_fma_f64 v[211:212], v[211:212], v[213:214], v[211:212]
	v_fma_f64 v[213:214], -v[196:197], v[211:212], 1.0
	v_fma_f64 v[211:212], v[211:212], v[213:214], v[211:212]
	v_div_scale_f64 v[213:214], vcc_lo, 1.0, v[194:195], 1.0
	v_mul_f64 v[215:216], v[213:214], v[211:212]
	v_fma_f64 v[196:197], -v[196:197], v[215:216], v[213:214]
	v_div_fmas_f64 v[196:197], v[196:197], v[211:212], v[215:216]
	v_div_fixup_f64 v[194:195], v[196:197], v[194:195], 1.0
	v_mul_f64 v[196:197], v[209:210], -v[194:195]
.LBB94_681:
	s_or_b32 exec_lo, exec_lo, s7
.LBB94_682:
	s_or_b32 exec_lo, exec_lo, s0
	s_mov_b32 s0, exec_lo
	v_cmpx_ne_u32_e64 v208, v202
	s_xor_b32 s0, exec_lo, s0
	s_cbranch_execz .LBB94_688
; %bb.683:
	s_mov_b32 s7, exec_lo
	v_cmpx_eq_u32_e32 32, v208
	s_cbranch_execz .LBB94_687
; %bb.684:
	v_cmp_ne_u32_e32 vcc_lo, 32, v202
	s_xor_b32 s8, s16, -1
	s_and_b32 s9, s8, vcc_lo
	s_and_saveexec_b32 s8, s9
	s_cbranch_execz .LBB94_686
; %bb.685:
	v_ashrrev_i32_e32 v203, 31, v202
	v_lshlrev_b64 v[208:209], 2, v[202:203]
	v_add_co_u32 v208, vcc_lo, v200, v208
	v_add_co_ci_u32_e64 v209, null, v201, v209, vcc_lo
	s_clause 0x1
	global_load_dword v0, v[208:209], off
	global_load_dword v203, v[200:201], off offset:128
	s_waitcnt vmcnt(1)
	global_store_dword v[200:201], v0, off offset:128
	s_waitcnt vmcnt(0)
	global_store_dword v[208:209], v203, off
.LBB94_686:
	s_or_b32 exec_lo, exec_lo, s8
	v_mov_b32_e32 v208, v202
	v_mov_b32_e32 v0, v202
.LBB94_687:
	s_or_b32 exec_lo, exec_lo, s7
.LBB94_688:
	s_andn2_saveexec_b32 s0, s0
	s_cbranch_execz .LBB94_690
; %bb.689:
	v_mov_b32_e32 v208, 32
	ds_write2_b64 v1, v[58:59], v[60:61] offset0:66 offset1:67
	ds_write2_b64 v1, v[54:55], v[56:57] offset0:68 offset1:69
	;; [unrolled: 1-line block ×15, first 2 shown]
.LBB94_690:
	s_or_b32 exec_lo, exec_lo, s0
	s_mov_b32 s0, exec_lo
	s_waitcnt lgkmcnt(0)
	s_waitcnt_vscnt null, 0x0
	s_barrier
	buffer_gl0_inv
	v_cmpx_lt_i32_e32 32, v208
	s_cbranch_execz .LBB94_692
; %bb.691:
	v_mul_f64 v[202:203], v[194:195], v[64:65]
	v_mul_f64 v[64:65], v[196:197], v[64:65]
	v_fma_f64 v[202:203], v[196:197], v[62:63], v[202:203]
	v_fma_f64 v[62:63], v[194:195], v[62:63], -v[64:65]
	ds_read2_b64 v[194:197], v1 offset0:66 offset1:67
	s_waitcnt lgkmcnt(0)
	v_mul_f64 v[64:65], v[196:197], v[202:203]
	v_fma_f64 v[64:65], v[194:195], v[62:63], -v[64:65]
	v_mul_f64 v[194:195], v[194:195], v[202:203]
	v_add_f64 v[58:59], v[58:59], -v[64:65]
	v_fma_f64 v[194:195], v[196:197], v[62:63], v[194:195]
	v_add_f64 v[60:61], v[60:61], -v[194:195]
	ds_read2_b64 v[194:197], v1 offset0:68 offset1:69
	s_waitcnt lgkmcnt(0)
	v_mul_f64 v[64:65], v[196:197], v[202:203]
	v_fma_f64 v[64:65], v[194:195], v[62:63], -v[64:65]
	v_mul_f64 v[194:195], v[194:195], v[202:203]
	v_add_f64 v[54:55], v[54:55], -v[64:65]
	v_fma_f64 v[194:195], v[196:197], v[62:63], v[194:195]
	v_add_f64 v[56:57], v[56:57], -v[194:195]
	ds_read2_b64 v[194:197], v1 offset0:70 offset1:71
	s_waitcnt lgkmcnt(0)
	v_mul_f64 v[64:65], v[196:197], v[202:203]
	v_fma_f64 v[64:65], v[194:195], v[62:63], -v[64:65]
	v_mul_f64 v[194:195], v[194:195], v[202:203]
	v_add_f64 v[50:51], v[50:51], -v[64:65]
	v_fma_f64 v[194:195], v[196:197], v[62:63], v[194:195]
	v_add_f64 v[52:53], v[52:53], -v[194:195]
	ds_read2_b64 v[194:197], v1 offset0:72 offset1:73
	s_waitcnt lgkmcnt(0)
	v_mul_f64 v[64:65], v[196:197], v[202:203]
	v_fma_f64 v[64:65], v[194:195], v[62:63], -v[64:65]
	v_mul_f64 v[194:195], v[194:195], v[202:203]
	v_add_f64 v[46:47], v[46:47], -v[64:65]
	v_fma_f64 v[194:195], v[196:197], v[62:63], v[194:195]
	v_add_f64 v[48:49], v[48:49], -v[194:195]
	ds_read2_b64 v[194:197], v1 offset0:74 offset1:75
	s_waitcnt lgkmcnt(0)
	v_mul_f64 v[64:65], v[196:197], v[202:203]
	v_fma_f64 v[64:65], v[194:195], v[62:63], -v[64:65]
	v_mul_f64 v[194:195], v[194:195], v[202:203]
	v_add_f64 v[42:43], v[42:43], -v[64:65]
	v_fma_f64 v[194:195], v[196:197], v[62:63], v[194:195]
	v_add_f64 v[44:45], v[44:45], -v[194:195]
	ds_read2_b64 v[194:197], v1 offset0:76 offset1:77
	s_waitcnt lgkmcnt(0)
	v_mul_f64 v[64:65], v[196:197], v[202:203]
	v_fma_f64 v[64:65], v[194:195], v[62:63], -v[64:65]
	v_mul_f64 v[194:195], v[194:195], v[202:203]
	v_add_f64 v[38:39], v[38:39], -v[64:65]
	v_fma_f64 v[194:195], v[196:197], v[62:63], v[194:195]
	v_add_f64 v[40:41], v[40:41], -v[194:195]
	ds_read2_b64 v[194:197], v1 offset0:78 offset1:79
	s_waitcnt lgkmcnt(0)
	v_mul_f64 v[64:65], v[196:197], v[202:203]
	v_fma_f64 v[64:65], v[194:195], v[62:63], -v[64:65]
	v_mul_f64 v[194:195], v[194:195], v[202:203]
	v_add_f64 v[34:35], v[34:35], -v[64:65]
	v_fma_f64 v[194:195], v[196:197], v[62:63], v[194:195]
	v_add_f64 v[36:37], v[36:37], -v[194:195]
	ds_read2_b64 v[194:197], v1 offset0:80 offset1:81
	s_waitcnt lgkmcnt(0)
	v_mul_f64 v[64:65], v[196:197], v[202:203]
	v_fma_f64 v[64:65], v[194:195], v[62:63], -v[64:65]
	v_mul_f64 v[194:195], v[194:195], v[202:203]
	v_add_f64 v[30:31], v[30:31], -v[64:65]
	v_fma_f64 v[194:195], v[196:197], v[62:63], v[194:195]
	v_add_f64 v[32:33], v[32:33], -v[194:195]
	ds_read2_b64 v[194:197], v1 offset0:82 offset1:83
	s_waitcnt lgkmcnt(0)
	v_mul_f64 v[64:65], v[196:197], v[202:203]
	v_fma_f64 v[64:65], v[194:195], v[62:63], -v[64:65]
	v_mul_f64 v[194:195], v[194:195], v[202:203]
	v_add_f64 v[26:27], v[26:27], -v[64:65]
	v_fma_f64 v[194:195], v[196:197], v[62:63], v[194:195]
	v_add_f64 v[28:29], v[28:29], -v[194:195]
	ds_read2_b64 v[194:197], v1 offset0:84 offset1:85
	s_waitcnt lgkmcnt(0)
	v_mul_f64 v[64:65], v[196:197], v[202:203]
	v_fma_f64 v[64:65], v[194:195], v[62:63], -v[64:65]
	v_mul_f64 v[194:195], v[194:195], v[202:203]
	v_add_f64 v[22:23], v[22:23], -v[64:65]
	v_fma_f64 v[194:195], v[196:197], v[62:63], v[194:195]
	v_add_f64 v[24:25], v[24:25], -v[194:195]
	ds_read2_b64 v[194:197], v1 offset0:86 offset1:87
	s_waitcnt lgkmcnt(0)
	v_mul_f64 v[64:65], v[196:197], v[202:203]
	v_fma_f64 v[64:65], v[194:195], v[62:63], -v[64:65]
	v_mul_f64 v[194:195], v[194:195], v[202:203]
	v_add_f64 v[18:19], v[18:19], -v[64:65]
	v_fma_f64 v[194:195], v[196:197], v[62:63], v[194:195]
	v_add_f64 v[20:21], v[20:21], -v[194:195]
	ds_read2_b64 v[194:197], v1 offset0:88 offset1:89
	s_waitcnt lgkmcnt(0)
	v_mul_f64 v[64:65], v[196:197], v[202:203]
	v_fma_f64 v[64:65], v[194:195], v[62:63], -v[64:65]
	v_mul_f64 v[194:195], v[194:195], v[202:203]
	v_add_f64 v[14:15], v[14:15], -v[64:65]
	v_fma_f64 v[194:195], v[196:197], v[62:63], v[194:195]
	v_add_f64 v[16:17], v[16:17], -v[194:195]
	ds_read2_b64 v[194:197], v1 offset0:90 offset1:91
	s_waitcnt lgkmcnt(0)
	v_mul_f64 v[64:65], v[196:197], v[202:203]
	v_fma_f64 v[64:65], v[194:195], v[62:63], -v[64:65]
	v_mul_f64 v[194:195], v[194:195], v[202:203]
	v_add_f64 v[10:11], v[10:11], -v[64:65]
	v_fma_f64 v[194:195], v[196:197], v[62:63], v[194:195]
	v_add_f64 v[12:13], v[12:13], -v[194:195]
	ds_read2_b64 v[194:197], v1 offset0:92 offset1:93
	s_waitcnt lgkmcnt(0)
	v_mul_f64 v[64:65], v[196:197], v[202:203]
	v_fma_f64 v[64:65], v[194:195], v[62:63], -v[64:65]
	v_mul_f64 v[194:195], v[194:195], v[202:203]
	v_add_f64 v[6:7], v[6:7], -v[64:65]
	v_fma_f64 v[194:195], v[196:197], v[62:63], v[194:195]
	v_add_f64 v[8:9], v[8:9], -v[194:195]
	ds_read2_b64 v[194:197], v1 offset0:94 offset1:95
	s_waitcnt lgkmcnt(0)
	v_mul_f64 v[64:65], v[196:197], v[202:203]
	v_fma_f64 v[64:65], v[194:195], v[62:63], -v[64:65]
	v_mul_f64 v[194:195], v[194:195], v[202:203]
	v_add_f64 v[2:3], v[2:3], -v[64:65]
	v_fma_f64 v[194:195], v[196:197], v[62:63], v[194:195]
	v_mov_b32_e32 v64, v202
	v_mov_b32_e32 v65, v203
	v_add_f64 v[4:5], v[4:5], -v[194:195]
.LBB94_692:
	s_or_b32 exec_lo, exec_lo, s0
	v_lshl_add_u32 v194, v208, 4, v1
	s_barrier
	buffer_gl0_inv
	v_mov_b32_e32 v202, 33
	ds_write2_b64 v194, v[58:59], v[60:61] offset1:1
	s_waitcnt lgkmcnt(0)
	s_barrier
	buffer_gl0_inv
	ds_read2_b64 v[194:197], v1 offset0:66 offset1:67
	s_cmp_lt_i32 s1, 35
	s_cbranch_scc1 .LBB94_695
; %bb.693:
	v_add3_u32 v203, v204, 0, 0x220
	v_mov_b32_e32 v202, 33
	s_mov_b32 s7, 34
	s_inst_prefetch 0x1
	.p2align	6
.LBB94_694:                             ; =>This Inner Loop Header: Depth=1
	s_waitcnt lgkmcnt(0)
	v_cmp_gt_f64_e32 vcc_lo, 0, v[196:197]
	v_cmp_gt_f64_e64 s0, 0, v[194:195]
	ds_read2_b64 v[209:212], v203 offset1:1
	v_xor_b32_e32 v214, 0x80000000, v195
	v_xor_b32_e32 v216, 0x80000000, v197
	v_mov_b32_e32 v213, v194
	v_mov_b32_e32 v215, v196
	v_add_nc_u32_e32 v203, 16, v203
	s_waitcnt lgkmcnt(0)
	v_xor_b32_e32 v218, 0x80000000, v212
	v_cndmask_b32_e64 v214, v195, v214, s0
	v_cndmask_b32_e32 v216, v197, v216, vcc_lo
	v_cmp_gt_f64_e32 vcc_lo, 0, v[211:212]
	v_cmp_gt_f64_e64 s0, 0, v[209:210]
	v_mov_b32_e32 v217, v211
	v_add_f64 v[213:214], v[213:214], v[215:216]
	v_xor_b32_e32 v216, 0x80000000, v210
	v_mov_b32_e32 v215, v209
	v_cndmask_b32_e32 v218, v212, v218, vcc_lo
	v_cndmask_b32_e64 v216, v210, v216, s0
	v_add_f64 v[215:216], v[215:216], v[217:218]
	v_cmp_lt_f64_e32 vcc_lo, v[213:214], v[215:216]
	v_cndmask_b32_e32 v195, v195, v210, vcc_lo
	v_cndmask_b32_e32 v194, v194, v209, vcc_lo
	;; [unrolled: 1-line block ×4, first 2 shown]
	v_cndmask_b32_e64 v202, v202, s7, vcc_lo
	s_add_i32 s7, s7, 1
	s_cmp_lg_u32 s1, s7
	s_cbranch_scc1 .LBB94_694
.LBB94_695:
	s_inst_prefetch 0x2
	s_waitcnt lgkmcnt(0)
	v_cmp_eq_f64_e32 vcc_lo, 0, v[194:195]
	v_cmp_eq_f64_e64 s0, 0, v[196:197]
	s_and_b32 s0, vcc_lo, s0
	s_and_saveexec_b32 s7, s0
	s_xor_b32 s0, exec_lo, s7
; %bb.696:
	v_cmp_ne_u32_e32 vcc_lo, 0, v207
	v_cndmask_b32_e32 v207, 34, v207, vcc_lo
; %bb.697:
	s_andn2_saveexec_b32 s0, s0
	s_cbranch_execz .LBB94_703
; %bb.698:
	v_cmp_ngt_f64_e64 s7, |v[194:195]|, |v[196:197]|
	s_and_saveexec_b32 s8, s7
	s_xor_b32 s7, exec_lo, s8
	s_cbranch_execz .LBB94_700
; %bb.699:
	v_div_scale_f64 v[209:210], null, v[196:197], v[196:197], v[194:195]
	v_div_scale_f64 v[215:216], vcc_lo, v[194:195], v[196:197], v[194:195]
	v_rcp_f64_e32 v[211:212], v[209:210]
	v_fma_f64 v[213:214], -v[209:210], v[211:212], 1.0
	v_fma_f64 v[211:212], v[211:212], v[213:214], v[211:212]
	v_fma_f64 v[213:214], -v[209:210], v[211:212], 1.0
	v_fma_f64 v[211:212], v[211:212], v[213:214], v[211:212]
	v_mul_f64 v[213:214], v[215:216], v[211:212]
	v_fma_f64 v[209:210], -v[209:210], v[213:214], v[215:216]
	v_div_fmas_f64 v[209:210], v[209:210], v[211:212], v[213:214]
	v_div_fixup_f64 v[209:210], v[209:210], v[196:197], v[194:195]
	v_fma_f64 v[194:195], v[194:195], v[209:210], v[196:197]
	v_div_scale_f64 v[196:197], null, v[194:195], v[194:195], 1.0
	v_rcp_f64_e32 v[211:212], v[196:197]
	v_fma_f64 v[213:214], -v[196:197], v[211:212], 1.0
	v_fma_f64 v[211:212], v[211:212], v[213:214], v[211:212]
	v_fma_f64 v[213:214], -v[196:197], v[211:212], 1.0
	v_fma_f64 v[211:212], v[211:212], v[213:214], v[211:212]
	v_div_scale_f64 v[213:214], vcc_lo, 1.0, v[194:195], 1.0
	v_mul_f64 v[215:216], v[213:214], v[211:212]
	v_fma_f64 v[196:197], -v[196:197], v[215:216], v[213:214]
	v_div_fmas_f64 v[196:197], v[196:197], v[211:212], v[215:216]
	v_div_fixup_f64 v[196:197], v[196:197], v[194:195], 1.0
	v_mul_f64 v[194:195], v[209:210], v[196:197]
	v_xor_b32_e32 v197, 0x80000000, v197
.LBB94_700:
	s_andn2_saveexec_b32 s7, s7
	s_cbranch_execz .LBB94_702
; %bb.701:
	v_div_scale_f64 v[209:210], null, v[194:195], v[194:195], v[196:197]
	v_div_scale_f64 v[215:216], vcc_lo, v[196:197], v[194:195], v[196:197]
	v_rcp_f64_e32 v[211:212], v[209:210]
	v_fma_f64 v[213:214], -v[209:210], v[211:212], 1.0
	v_fma_f64 v[211:212], v[211:212], v[213:214], v[211:212]
	v_fma_f64 v[213:214], -v[209:210], v[211:212], 1.0
	v_fma_f64 v[211:212], v[211:212], v[213:214], v[211:212]
	v_mul_f64 v[213:214], v[215:216], v[211:212]
	v_fma_f64 v[209:210], -v[209:210], v[213:214], v[215:216]
	v_div_fmas_f64 v[209:210], v[209:210], v[211:212], v[213:214]
	v_div_fixup_f64 v[209:210], v[209:210], v[194:195], v[196:197]
	v_fma_f64 v[194:195], v[196:197], v[209:210], v[194:195]
	v_div_scale_f64 v[196:197], null, v[194:195], v[194:195], 1.0
	v_rcp_f64_e32 v[211:212], v[196:197]
	v_fma_f64 v[213:214], -v[196:197], v[211:212], 1.0
	v_fma_f64 v[211:212], v[211:212], v[213:214], v[211:212]
	v_fma_f64 v[213:214], -v[196:197], v[211:212], 1.0
	v_fma_f64 v[211:212], v[211:212], v[213:214], v[211:212]
	v_div_scale_f64 v[213:214], vcc_lo, 1.0, v[194:195], 1.0
	v_mul_f64 v[215:216], v[213:214], v[211:212]
	v_fma_f64 v[196:197], -v[196:197], v[215:216], v[213:214]
	v_div_fmas_f64 v[196:197], v[196:197], v[211:212], v[215:216]
	v_div_fixup_f64 v[194:195], v[196:197], v[194:195], 1.0
	v_mul_f64 v[196:197], v[209:210], -v[194:195]
.LBB94_702:
	s_or_b32 exec_lo, exec_lo, s7
.LBB94_703:
	s_or_b32 exec_lo, exec_lo, s0
	s_mov_b32 s0, exec_lo
	v_cmpx_ne_u32_e64 v208, v202
	s_xor_b32 s0, exec_lo, s0
	s_cbranch_execz .LBB94_709
; %bb.704:
	s_mov_b32 s7, exec_lo
	v_cmpx_eq_u32_e32 33, v208
	s_cbranch_execz .LBB94_708
; %bb.705:
	v_cmp_ne_u32_e32 vcc_lo, 33, v202
	s_xor_b32 s8, s16, -1
	s_and_b32 s9, s8, vcc_lo
	s_and_saveexec_b32 s8, s9
	s_cbranch_execz .LBB94_707
; %bb.706:
	v_ashrrev_i32_e32 v203, 31, v202
	v_lshlrev_b64 v[208:209], 2, v[202:203]
	v_add_co_u32 v208, vcc_lo, v200, v208
	v_add_co_ci_u32_e64 v209, null, v201, v209, vcc_lo
	s_clause 0x1
	global_load_dword v0, v[208:209], off
	global_load_dword v203, v[200:201], off offset:132
	s_waitcnt vmcnt(1)
	global_store_dword v[200:201], v0, off offset:132
	s_waitcnt vmcnt(0)
	global_store_dword v[208:209], v203, off
.LBB94_707:
	s_or_b32 exec_lo, exec_lo, s8
	v_mov_b32_e32 v208, v202
	v_mov_b32_e32 v0, v202
.LBB94_708:
	s_or_b32 exec_lo, exec_lo, s7
.LBB94_709:
	s_andn2_saveexec_b32 s0, s0
	s_cbranch_execz .LBB94_711
; %bb.710:
	v_mov_b32_e32 v208, 33
	ds_write2_b64 v1, v[54:55], v[56:57] offset0:68 offset1:69
	ds_write2_b64 v1, v[50:51], v[52:53] offset0:70 offset1:71
	;; [unrolled: 1-line block ×14, first 2 shown]
.LBB94_711:
	s_or_b32 exec_lo, exec_lo, s0
	s_mov_b32 s0, exec_lo
	s_waitcnt lgkmcnt(0)
	s_waitcnt_vscnt null, 0x0
	s_barrier
	buffer_gl0_inv
	v_cmpx_lt_i32_e32 33, v208
	s_cbranch_execz .LBB94_713
; %bb.712:
	v_mul_f64 v[202:203], v[194:195], v[60:61]
	v_mul_f64 v[60:61], v[196:197], v[60:61]
	v_fma_f64 v[202:203], v[196:197], v[58:59], v[202:203]
	v_fma_f64 v[58:59], v[194:195], v[58:59], -v[60:61]
	ds_read2_b64 v[194:197], v1 offset0:68 offset1:69
	s_waitcnt lgkmcnt(0)
	v_mul_f64 v[60:61], v[196:197], v[202:203]
	v_fma_f64 v[60:61], v[194:195], v[58:59], -v[60:61]
	v_mul_f64 v[194:195], v[194:195], v[202:203]
	v_add_f64 v[54:55], v[54:55], -v[60:61]
	v_fma_f64 v[194:195], v[196:197], v[58:59], v[194:195]
	v_add_f64 v[56:57], v[56:57], -v[194:195]
	ds_read2_b64 v[194:197], v1 offset0:70 offset1:71
	s_waitcnt lgkmcnt(0)
	v_mul_f64 v[60:61], v[196:197], v[202:203]
	v_fma_f64 v[60:61], v[194:195], v[58:59], -v[60:61]
	v_mul_f64 v[194:195], v[194:195], v[202:203]
	v_add_f64 v[50:51], v[50:51], -v[60:61]
	v_fma_f64 v[194:195], v[196:197], v[58:59], v[194:195]
	v_add_f64 v[52:53], v[52:53], -v[194:195]
	;; [unrolled: 8-line block ×13, first 2 shown]
	ds_read2_b64 v[194:197], v1 offset0:94 offset1:95
	s_waitcnt lgkmcnt(0)
	v_mul_f64 v[60:61], v[196:197], v[202:203]
	v_fma_f64 v[60:61], v[194:195], v[58:59], -v[60:61]
	v_mul_f64 v[194:195], v[194:195], v[202:203]
	v_add_f64 v[2:3], v[2:3], -v[60:61]
	v_fma_f64 v[194:195], v[196:197], v[58:59], v[194:195]
	v_mov_b32_e32 v60, v202
	v_mov_b32_e32 v61, v203
	v_add_f64 v[4:5], v[4:5], -v[194:195]
.LBB94_713:
	s_or_b32 exec_lo, exec_lo, s0
	v_lshl_add_u32 v194, v208, 4, v1
	s_barrier
	buffer_gl0_inv
	v_mov_b32_e32 v202, 34
	ds_write2_b64 v194, v[54:55], v[56:57] offset1:1
	s_waitcnt lgkmcnt(0)
	s_barrier
	buffer_gl0_inv
	ds_read2_b64 v[194:197], v1 offset0:68 offset1:69
	s_cmp_lt_i32 s1, 36
	s_cbranch_scc1 .LBB94_716
; %bb.714:
	v_add3_u32 v203, v204, 0, 0x230
	v_mov_b32_e32 v202, 34
	s_mov_b32 s7, 35
	s_inst_prefetch 0x1
	.p2align	6
.LBB94_715:                             ; =>This Inner Loop Header: Depth=1
	s_waitcnt lgkmcnt(0)
	v_cmp_gt_f64_e32 vcc_lo, 0, v[196:197]
	v_cmp_gt_f64_e64 s0, 0, v[194:195]
	ds_read2_b64 v[209:212], v203 offset1:1
	v_xor_b32_e32 v214, 0x80000000, v195
	v_xor_b32_e32 v216, 0x80000000, v197
	v_mov_b32_e32 v213, v194
	v_mov_b32_e32 v215, v196
	v_add_nc_u32_e32 v203, 16, v203
	s_waitcnt lgkmcnt(0)
	v_xor_b32_e32 v218, 0x80000000, v212
	v_cndmask_b32_e64 v214, v195, v214, s0
	v_cndmask_b32_e32 v216, v197, v216, vcc_lo
	v_cmp_gt_f64_e32 vcc_lo, 0, v[211:212]
	v_cmp_gt_f64_e64 s0, 0, v[209:210]
	v_mov_b32_e32 v217, v211
	v_add_f64 v[213:214], v[213:214], v[215:216]
	v_xor_b32_e32 v216, 0x80000000, v210
	v_mov_b32_e32 v215, v209
	v_cndmask_b32_e32 v218, v212, v218, vcc_lo
	v_cndmask_b32_e64 v216, v210, v216, s0
	v_add_f64 v[215:216], v[215:216], v[217:218]
	v_cmp_lt_f64_e32 vcc_lo, v[213:214], v[215:216]
	v_cndmask_b32_e32 v195, v195, v210, vcc_lo
	v_cndmask_b32_e32 v194, v194, v209, vcc_lo
	;; [unrolled: 1-line block ×4, first 2 shown]
	v_cndmask_b32_e64 v202, v202, s7, vcc_lo
	s_add_i32 s7, s7, 1
	s_cmp_lg_u32 s1, s7
	s_cbranch_scc1 .LBB94_715
.LBB94_716:
	s_inst_prefetch 0x2
	s_waitcnt lgkmcnt(0)
	v_cmp_eq_f64_e32 vcc_lo, 0, v[194:195]
	v_cmp_eq_f64_e64 s0, 0, v[196:197]
	s_and_b32 s0, vcc_lo, s0
	s_and_saveexec_b32 s7, s0
	s_xor_b32 s0, exec_lo, s7
; %bb.717:
	v_cmp_ne_u32_e32 vcc_lo, 0, v207
	v_cndmask_b32_e32 v207, 35, v207, vcc_lo
; %bb.718:
	s_andn2_saveexec_b32 s0, s0
	s_cbranch_execz .LBB94_724
; %bb.719:
	v_cmp_ngt_f64_e64 s7, |v[194:195]|, |v[196:197]|
	s_and_saveexec_b32 s8, s7
	s_xor_b32 s7, exec_lo, s8
	s_cbranch_execz .LBB94_721
; %bb.720:
	v_div_scale_f64 v[209:210], null, v[196:197], v[196:197], v[194:195]
	v_div_scale_f64 v[215:216], vcc_lo, v[194:195], v[196:197], v[194:195]
	v_rcp_f64_e32 v[211:212], v[209:210]
	v_fma_f64 v[213:214], -v[209:210], v[211:212], 1.0
	v_fma_f64 v[211:212], v[211:212], v[213:214], v[211:212]
	v_fma_f64 v[213:214], -v[209:210], v[211:212], 1.0
	v_fma_f64 v[211:212], v[211:212], v[213:214], v[211:212]
	v_mul_f64 v[213:214], v[215:216], v[211:212]
	v_fma_f64 v[209:210], -v[209:210], v[213:214], v[215:216]
	v_div_fmas_f64 v[209:210], v[209:210], v[211:212], v[213:214]
	v_div_fixup_f64 v[209:210], v[209:210], v[196:197], v[194:195]
	v_fma_f64 v[194:195], v[194:195], v[209:210], v[196:197]
	v_div_scale_f64 v[196:197], null, v[194:195], v[194:195], 1.0
	v_rcp_f64_e32 v[211:212], v[196:197]
	v_fma_f64 v[213:214], -v[196:197], v[211:212], 1.0
	v_fma_f64 v[211:212], v[211:212], v[213:214], v[211:212]
	v_fma_f64 v[213:214], -v[196:197], v[211:212], 1.0
	v_fma_f64 v[211:212], v[211:212], v[213:214], v[211:212]
	v_div_scale_f64 v[213:214], vcc_lo, 1.0, v[194:195], 1.0
	v_mul_f64 v[215:216], v[213:214], v[211:212]
	v_fma_f64 v[196:197], -v[196:197], v[215:216], v[213:214]
	v_div_fmas_f64 v[196:197], v[196:197], v[211:212], v[215:216]
	v_div_fixup_f64 v[196:197], v[196:197], v[194:195], 1.0
	v_mul_f64 v[194:195], v[209:210], v[196:197]
	v_xor_b32_e32 v197, 0x80000000, v197
.LBB94_721:
	s_andn2_saveexec_b32 s7, s7
	s_cbranch_execz .LBB94_723
; %bb.722:
	v_div_scale_f64 v[209:210], null, v[194:195], v[194:195], v[196:197]
	v_div_scale_f64 v[215:216], vcc_lo, v[196:197], v[194:195], v[196:197]
	v_rcp_f64_e32 v[211:212], v[209:210]
	v_fma_f64 v[213:214], -v[209:210], v[211:212], 1.0
	v_fma_f64 v[211:212], v[211:212], v[213:214], v[211:212]
	v_fma_f64 v[213:214], -v[209:210], v[211:212], 1.0
	v_fma_f64 v[211:212], v[211:212], v[213:214], v[211:212]
	v_mul_f64 v[213:214], v[215:216], v[211:212]
	v_fma_f64 v[209:210], -v[209:210], v[213:214], v[215:216]
	v_div_fmas_f64 v[209:210], v[209:210], v[211:212], v[213:214]
	v_div_fixup_f64 v[209:210], v[209:210], v[194:195], v[196:197]
	v_fma_f64 v[194:195], v[196:197], v[209:210], v[194:195]
	v_div_scale_f64 v[196:197], null, v[194:195], v[194:195], 1.0
	v_rcp_f64_e32 v[211:212], v[196:197]
	v_fma_f64 v[213:214], -v[196:197], v[211:212], 1.0
	v_fma_f64 v[211:212], v[211:212], v[213:214], v[211:212]
	v_fma_f64 v[213:214], -v[196:197], v[211:212], 1.0
	v_fma_f64 v[211:212], v[211:212], v[213:214], v[211:212]
	v_div_scale_f64 v[213:214], vcc_lo, 1.0, v[194:195], 1.0
	v_mul_f64 v[215:216], v[213:214], v[211:212]
	v_fma_f64 v[196:197], -v[196:197], v[215:216], v[213:214]
	v_div_fmas_f64 v[196:197], v[196:197], v[211:212], v[215:216]
	v_div_fixup_f64 v[194:195], v[196:197], v[194:195], 1.0
	v_mul_f64 v[196:197], v[209:210], -v[194:195]
.LBB94_723:
	s_or_b32 exec_lo, exec_lo, s7
.LBB94_724:
	s_or_b32 exec_lo, exec_lo, s0
	s_mov_b32 s0, exec_lo
	v_cmpx_ne_u32_e64 v208, v202
	s_xor_b32 s0, exec_lo, s0
	s_cbranch_execz .LBB94_730
; %bb.725:
	s_mov_b32 s7, exec_lo
	v_cmpx_eq_u32_e32 34, v208
	s_cbranch_execz .LBB94_729
; %bb.726:
	v_cmp_ne_u32_e32 vcc_lo, 34, v202
	s_xor_b32 s8, s16, -1
	s_and_b32 s9, s8, vcc_lo
	s_and_saveexec_b32 s8, s9
	s_cbranch_execz .LBB94_728
; %bb.727:
	v_ashrrev_i32_e32 v203, 31, v202
	v_lshlrev_b64 v[208:209], 2, v[202:203]
	v_add_co_u32 v208, vcc_lo, v200, v208
	v_add_co_ci_u32_e64 v209, null, v201, v209, vcc_lo
	s_clause 0x1
	global_load_dword v0, v[208:209], off
	global_load_dword v203, v[200:201], off offset:136
	s_waitcnt vmcnt(1)
	global_store_dword v[200:201], v0, off offset:136
	s_waitcnt vmcnt(0)
	global_store_dword v[208:209], v203, off
.LBB94_728:
	s_or_b32 exec_lo, exec_lo, s8
	v_mov_b32_e32 v208, v202
	v_mov_b32_e32 v0, v202
.LBB94_729:
	s_or_b32 exec_lo, exec_lo, s7
.LBB94_730:
	s_andn2_saveexec_b32 s0, s0
	s_cbranch_execz .LBB94_732
; %bb.731:
	v_mov_b32_e32 v208, 34
	ds_write2_b64 v1, v[50:51], v[52:53] offset0:70 offset1:71
	ds_write2_b64 v1, v[46:47], v[48:49] offset0:72 offset1:73
	;; [unrolled: 1-line block ×13, first 2 shown]
.LBB94_732:
	s_or_b32 exec_lo, exec_lo, s0
	s_mov_b32 s0, exec_lo
	s_waitcnt lgkmcnt(0)
	s_waitcnt_vscnt null, 0x0
	s_barrier
	buffer_gl0_inv
	v_cmpx_lt_i32_e32 34, v208
	s_cbranch_execz .LBB94_734
; %bb.733:
	v_mul_f64 v[202:203], v[194:195], v[56:57]
	v_mul_f64 v[56:57], v[196:197], v[56:57]
	v_fma_f64 v[202:203], v[196:197], v[54:55], v[202:203]
	v_fma_f64 v[54:55], v[194:195], v[54:55], -v[56:57]
	ds_read2_b64 v[194:197], v1 offset0:70 offset1:71
	s_waitcnt lgkmcnt(0)
	v_mul_f64 v[56:57], v[196:197], v[202:203]
	v_fma_f64 v[56:57], v[194:195], v[54:55], -v[56:57]
	v_mul_f64 v[194:195], v[194:195], v[202:203]
	v_add_f64 v[50:51], v[50:51], -v[56:57]
	v_fma_f64 v[194:195], v[196:197], v[54:55], v[194:195]
	v_add_f64 v[52:53], v[52:53], -v[194:195]
	ds_read2_b64 v[194:197], v1 offset0:72 offset1:73
	s_waitcnt lgkmcnt(0)
	v_mul_f64 v[56:57], v[196:197], v[202:203]
	v_fma_f64 v[56:57], v[194:195], v[54:55], -v[56:57]
	v_mul_f64 v[194:195], v[194:195], v[202:203]
	v_add_f64 v[46:47], v[46:47], -v[56:57]
	v_fma_f64 v[194:195], v[196:197], v[54:55], v[194:195]
	v_add_f64 v[48:49], v[48:49], -v[194:195]
	;; [unrolled: 8-line block ×12, first 2 shown]
	ds_read2_b64 v[194:197], v1 offset0:94 offset1:95
	s_waitcnt lgkmcnt(0)
	v_mul_f64 v[56:57], v[196:197], v[202:203]
	v_fma_f64 v[56:57], v[194:195], v[54:55], -v[56:57]
	v_mul_f64 v[194:195], v[194:195], v[202:203]
	v_add_f64 v[2:3], v[2:3], -v[56:57]
	v_fma_f64 v[194:195], v[196:197], v[54:55], v[194:195]
	v_mov_b32_e32 v56, v202
	v_mov_b32_e32 v57, v203
	v_add_f64 v[4:5], v[4:5], -v[194:195]
.LBB94_734:
	s_or_b32 exec_lo, exec_lo, s0
	v_lshl_add_u32 v194, v208, 4, v1
	s_barrier
	buffer_gl0_inv
	v_mov_b32_e32 v202, 35
	ds_write2_b64 v194, v[50:51], v[52:53] offset1:1
	s_waitcnt lgkmcnt(0)
	s_barrier
	buffer_gl0_inv
	ds_read2_b64 v[194:197], v1 offset0:70 offset1:71
	s_cmp_lt_i32 s1, 37
	s_cbranch_scc1 .LBB94_737
; %bb.735:
	v_add3_u32 v203, v204, 0, 0x240
	v_mov_b32_e32 v202, 35
	s_mov_b32 s7, 36
	s_inst_prefetch 0x1
	.p2align	6
.LBB94_736:                             ; =>This Inner Loop Header: Depth=1
	s_waitcnt lgkmcnt(0)
	v_cmp_gt_f64_e32 vcc_lo, 0, v[196:197]
	v_cmp_gt_f64_e64 s0, 0, v[194:195]
	ds_read2_b64 v[209:212], v203 offset1:1
	v_xor_b32_e32 v214, 0x80000000, v195
	v_xor_b32_e32 v216, 0x80000000, v197
	v_mov_b32_e32 v213, v194
	v_mov_b32_e32 v215, v196
	v_add_nc_u32_e32 v203, 16, v203
	s_waitcnt lgkmcnt(0)
	v_xor_b32_e32 v218, 0x80000000, v212
	v_cndmask_b32_e64 v214, v195, v214, s0
	v_cndmask_b32_e32 v216, v197, v216, vcc_lo
	v_cmp_gt_f64_e32 vcc_lo, 0, v[211:212]
	v_cmp_gt_f64_e64 s0, 0, v[209:210]
	v_mov_b32_e32 v217, v211
	v_add_f64 v[213:214], v[213:214], v[215:216]
	v_xor_b32_e32 v216, 0x80000000, v210
	v_mov_b32_e32 v215, v209
	v_cndmask_b32_e32 v218, v212, v218, vcc_lo
	v_cndmask_b32_e64 v216, v210, v216, s0
	v_add_f64 v[215:216], v[215:216], v[217:218]
	v_cmp_lt_f64_e32 vcc_lo, v[213:214], v[215:216]
	v_cndmask_b32_e32 v195, v195, v210, vcc_lo
	v_cndmask_b32_e32 v194, v194, v209, vcc_lo
	;; [unrolled: 1-line block ×4, first 2 shown]
	v_cndmask_b32_e64 v202, v202, s7, vcc_lo
	s_add_i32 s7, s7, 1
	s_cmp_lg_u32 s1, s7
	s_cbranch_scc1 .LBB94_736
.LBB94_737:
	s_inst_prefetch 0x2
	s_waitcnt lgkmcnt(0)
	v_cmp_eq_f64_e32 vcc_lo, 0, v[194:195]
	v_cmp_eq_f64_e64 s0, 0, v[196:197]
	s_and_b32 s0, vcc_lo, s0
	s_and_saveexec_b32 s7, s0
	s_xor_b32 s0, exec_lo, s7
; %bb.738:
	v_cmp_ne_u32_e32 vcc_lo, 0, v207
	v_cndmask_b32_e32 v207, 36, v207, vcc_lo
; %bb.739:
	s_andn2_saveexec_b32 s0, s0
	s_cbranch_execz .LBB94_745
; %bb.740:
	v_cmp_ngt_f64_e64 s7, |v[194:195]|, |v[196:197]|
	s_and_saveexec_b32 s8, s7
	s_xor_b32 s7, exec_lo, s8
	s_cbranch_execz .LBB94_742
; %bb.741:
	v_div_scale_f64 v[209:210], null, v[196:197], v[196:197], v[194:195]
	v_div_scale_f64 v[215:216], vcc_lo, v[194:195], v[196:197], v[194:195]
	v_rcp_f64_e32 v[211:212], v[209:210]
	v_fma_f64 v[213:214], -v[209:210], v[211:212], 1.0
	v_fma_f64 v[211:212], v[211:212], v[213:214], v[211:212]
	v_fma_f64 v[213:214], -v[209:210], v[211:212], 1.0
	v_fma_f64 v[211:212], v[211:212], v[213:214], v[211:212]
	v_mul_f64 v[213:214], v[215:216], v[211:212]
	v_fma_f64 v[209:210], -v[209:210], v[213:214], v[215:216]
	v_div_fmas_f64 v[209:210], v[209:210], v[211:212], v[213:214]
	v_div_fixup_f64 v[209:210], v[209:210], v[196:197], v[194:195]
	v_fma_f64 v[194:195], v[194:195], v[209:210], v[196:197]
	v_div_scale_f64 v[196:197], null, v[194:195], v[194:195], 1.0
	v_rcp_f64_e32 v[211:212], v[196:197]
	v_fma_f64 v[213:214], -v[196:197], v[211:212], 1.0
	v_fma_f64 v[211:212], v[211:212], v[213:214], v[211:212]
	v_fma_f64 v[213:214], -v[196:197], v[211:212], 1.0
	v_fma_f64 v[211:212], v[211:212], v[213:214], v[211:212]
	v_div_scale_f64 v[213:214], vcc_lo, 1.0, v[194:195], 1.0
	v_mul_f64 v[215:216], v[213:214], v[211:212]
	v_fma_f64 v[196:197], -v[196:197], v[215:216], v[213:214]
	v_div_fmas_f64 v[196:197], v[196:197], v[211:212], v[215:216]
	v_div_fixup_f64 v[196:197], v[196:197], v[194:195], 1.0
	v_mul_f64 v[194:195], v[209:210], v[196:197]
	v_xor_b32_e32 v197, 0x80000000, v197
.LBB94_742:
	s_andn2_saveexec_b32 s7, s7
	s_cbranch_execz .LBB94_744
; %bb.743:
	v_div_scale_f64 v[209:210], null, v[194:195], v[194:195], v[196:197]
	v_div_scale_f64 v[215:216], vcc_lo, v[196:197], v[194:195], v[196:197]
	v_rcp_f64_e32 v[211:212], v[209:210]
	v_fma_f64 v[213:214], -v[209:210], v[211:212], 1.0
	v_fma_f64 v[211:212], v[211:212], v[213:214], v[211:212]
	v_fma_f64 v[213:214], -v[209:210], v[211:212], 1.0
	v_fma_f64 v[211:212], v[211:212], v[213:214], v[211:212]
	v_mul_f64 v[213:214], v[215:216], v[211:212]
	v_fma_f64 v[209:210], -v[209:210], v[213:214], v[215:216]
	v_div_fmas_f64 v[209:210], v[209:210], v[211:212], v[213:214]
	v_div_fixup_f64 v[209:210], v[209:210], v[194:195], v[196:197]
	v_fma_f64 v[194:195], v[196:197], v[209:210], v[194:195]
	v_div_scale_f64 v[196:197], null, v[194:195], v[194:195], 1.0
	v_rcp_f64_e32 v[211:212], v[196:197]
	v_fma_f64 v[213:214], -v[196:197], v[211:212], 1.0
	v_fma_f64 v[211:212], v[211:212], v[213:214], v[211:212]
	v_fma_f64 v[213:214], -v[196:197], v[211:212], 1.0
	v_fma_f64 v[211:212], v[211:212], v[213:214], v[211:212]
	v_div_scale_f64 v[213:214], vcc_lo, 1.0, v[194:195], 1.0
	v_mul_f64 v[215:216], v[213:214], v[211:212]
	v_fma_f64 v[196:197], -v[196:197], v[215:216], v[213:214]
	v_div_fmas_f64 v[196:197], v[196:197], v[211:212], v[215:216]
	v_div_fixup_f64 v[194:195], v[196:197], v[194:195], 1.0
	v_mul_f64 v[196:197], v[209:210], -v[194:195]
.LBB94_744:
	s_or_b32 exec_lo, exec_lo, s7
.LBB94_745:
	s_or_b32 exec_lo, exec_lo, s0
	s_mov_b32 s0, exec_lo
	v_cmpx_ne_u32_e64 v208, v202
	s_xor_b32 s0, exec_lo, s0
	s_cbranch_execz .LBB94_751
; %bb.746:
	s_mov_b32 s7, exec_lo
	v_cmpx_eq_u32_e32 35, v208
	s_cbranch_execz .LBB94_750
; %bb.747:
	v_cmp_ne_u32_e32 vcc_lo, 35, v202
	s_xor_b32 s8, s16, -1
	s_and_b32 s9, s8, vcc_lo
	s_and_saveexec_b32 s8, s9
	s_cbranch_execz .LBB94_749
; %bb.748:
	v_ashrrev_i32_e32 v203, 31, v202
	v_lshlrev_b64 v[208:209], 2, v[202:203]
	v_add_co_u32 v208, vcc_lo, v200, v208
	v_add_co_ci_u32_e64 v209, null, v201, v209, vcc_lo
	s_clause 0x1
	global_load_dword v0, v[208:209], off
	global_load_dword v203, v[200:201], off offset:140
	s_waitcnt vmcnt(1)
	global_store_dword v[200:201], v0, off offset:140
	s_waitcnt vmcnt(0)
	global_store_dword v[208:209], v203, off
.LBB94_749:
	s_or_b32 exec_lo, exec_lo, s8
	v_mov_b32_e32 v208, v202
	v_mov_b32_e32 v0, v202
.LBB94_750:
	s_or_b32 exec_lo, exec_lo, s7
.LBB94_751:
	s_andn2_saveexec_b32 s0, s0
	s_cbranch_execz .LBB94_753
; %bb.752:
	v_mov_b32_e32 v208, 35
	ds_write2_b64 v1, v[46:47], v[48:49] offset0:72 offset1:73
	ds_write2_b64 v1, v[42:43], v[44:45] offset0:74 offset1:75
	;; [unrolled: 1-line block ×12, first 2 shown]
.LBB94_753:
	s_or_b32 exec_lo, exec_lo, s0
	s_mov_b32 s0, exec_lo
	s_waitcnt lgkmcnt(0)
	s_waitcnt_vscnt null, 0x0
	s_barrier
	buffer_gl0_inv
	v_cmpx_lt_i32_e32 35, v208
	s_cbranch_execz .LBB94_755
; %bb.754:
	v_mul_f64 v[202:203], v[194:195], v[52:53]
	v_mul_f64 v[52:53], v[196:197], v[52:53]
	v_fma_f64 v[202:203], v[196:197], v[50:51], v[202:203]
	v_fma_f64 v[50:51], v[194:195], v[50:51], -v[52:53]
	ds_read2_b64 v[194:197], v1 offset0:72 offset1:73
	s_waitcnt lgkmcnt(0)
	v_mul_f64 v[52:53], v[196:197], v[202:203]
	v_fma_f64 v[52:53], v[194:195], v[50:51], -v[52:53]
	v_mul_f64 v[194:195], v[194:195], v[202:203]
	v_add_f64 v[46:47], v[46:47], -v[52:53]
	v_fma_f64 v[194:195], v[196:197], v[50:51], v[194:195]
	v_add_f64 v[48:49], v[48:49], -v[194:195]
	ds_read2_b64 v[194:197], v1 offset0:74 offset1:75
	s_waitcnt lgkmcnt(0)
	v_mul_f64 v[52:53], v[196:197], v[202:203]
	v_fma_f64 v[52:53], v[194:195], v[50:51], -v[52:53]
	v_mul_f64 v[194:195], v[194:195], v[202:203]
	v_add_f64 v[42:43], v[42:43], -v[52:53]
	v_fma_f64 v[194:195], v[196:197], v[50:51], v[194:195]
	v_add_f64 v[44:45], v[44:45], -v[194:195]
	;; [unrolled: 8-line block ×11, first 2 shown]
	ds_read2_b64 v[194:197], v1 offset0:94 offset1:95
	s_waitcnt lgkmcnt(0)
	v_mul_f64 v[52:53], v[196:197], v[202:203]
	v_fma_f64 v[52:53], v[194:195], v[50:51], -v[52:53]
	v_mul_f64 v[194:195], v[194:195], v[202:203]
	v_add_f64 v[2:3], v[2:3], -v[52:53]
	v_fma_f64 v[194:195], v[196:197], v[50:51], v[194:195]
	v_mov_b32_e32 v52, v202
	v_mov_b32_e32 v53, v203
	v_add_f64 v[4:5], v[4:5], -v[194:195]
.LBB94_755:
	s_or_b32 exec_lo, exec_lo, s0
	v_lshl_add_u32 v194, v208, 4, v1
	s_barrier
	buffer_gl0_inv
	v_mov_b32_e32 v202, 36
	ds_write2_b64 v194, v[46:47], v[48:49] offset1:1
	s_waitcnt lgkmcnt(0)
	s_barrier
	buffer_gl0_inv
	ds_read2_b64 v[194:197], v1 offset0:72 offset1:73
	s_cmp_lt_i32 s1, 38
	s_cbranch_scc1 .LBB94_758
; %bb.756:
	v_add3_u32 v203, v204, 0, 0x250
	v_mov_b32_e32 v202, 36
	s_mov_b32 s7, 37
	s_inst_prefetch 0x1
	.p2align	6
.LBB94_757:                             ; =>This Inner Loop Header: Depth=1
	s_waitcnt lgkmcnt(0)
	v_cmp_gt_f64_e32 vcc_lo, 0, v[196:197]
	v_cmp_gt_f64_e64 s0, 0, v[194:195]
	ds_read2_b64 v[209:212], v203 offset1:1
	v_xor_b32_e32 v214, 0x80000000, v195
	v_xor_b32_e32 v216, 0x80000000, v197
	v_mov_b32_e32 v213, v194
	v_mov_b32_e32 v215, v196
	v_add_nc_u32_e32 v203, 16, v203
	s_waitcnt lgkmcnt(0)
	v_xor_b32_e32 v218, 0x80000000, v212
	v_cndmask_b32_e64 v214, v195, v214, s0
	v_cndmask_b32_e32 v216, v197, v216, vcc_lo
	v_cmp_gt_f64_e32 vcc_lo, 0, v[211:212]
	v_cmp_gt_f64_e64 s0, 0, v[209:210]
	v_mov_b32_e32 v217, v211
	v_add_f64 v[213:214], v[213:214], v[215:216]
	v_xor_b32_e32 v216, 0x80000000, v210
	v_mov_b32_e32 v215, v209
	v_cndmask_b32_e32 v218, v212, v218, vcc_lo
	v_cndmask_b32_e64 v216, v210, v216, s0
	v_add_f64 v[215:216], v[215:216], v[217:218]
	v_cmp_lt_f64_e32 vcc_lo, v[213:214], v[215:216]
	v_cndmask_b32_e32 v195, v195, v210, vcc_lo
	v_cndmask_b32_e32 v194, v194, v209, vcc_lo
	;; [unrolled: 1-line block ×4, first 2 shown]
	v_cndmask_b32_e64 v202, v202, s7, vcc_lo
	s_add_i32 s7, s7, 1
	s_cmp_lg_u32 s1, s7
	s_cbranch_scc1 .LBB94_757
.LBB94_758:
	s_inst_prefetch 0x2
	s_waitcnt lgkmcnt(0)
	v_cmp_eq_f64_e32 vcc_lo, 0, v[194:195]
	v_cmp_eq_f64_e64 s0, 0, v[196:197]
	s_and_b32 s0, vcc_lo, s0
	s_and_saveexec_b32 s7, s0
	s_xor_b32 s0, exec_lo, s7
; %bb.759:
	v_cmp_ne_u32_e32 vcc_lo, 0, v207
	v_cndmask_b32_e32 v207, 37, v207, vcc_lo
; %bb.760:
	s_andn2_saveexec_b32 s0, s0
	s_cbranch_execz .LBB94_766
; %bb.761:
	v_cmp_ngt_f64_e64 s7, |v[194:195]|, |v[196:197]|
	s_and_saveexec_b32 s8, s7
	s_xor_b32 s7, exec_lo, s8
	s_cbranch_execz .LBB94_763
; %bb.762:
	v_div_scale_f64 v[209:210], null, v[196:197], v[196:197], v[194:195]
	v_div_scale_f64 v[215:216], vcc_lo, v[194:195], v[196:197], v[194:195]
	v_rcp_f64_e32 v[211:212], v[209:210]
	v_fma_f64 v[213:214], -v[209:210], v[211:212], 1.0
	v_fma_f64 v[211:212], v[211:212], v[213:214], v[211:212]
	v_fma_f64 v[213:214], -v[209:210], v[211:212], 1.0
	v_fma_f64 v[211:212], v[211:212], v[213:214], v[211:212]
	v_mul_f64 v[213:214], v[215:216], v[211:212]
	v_fma_f64 v[209:210], -v[209:210], v[213:214], v[215:216]
	v_div_fmas_f64 v[209:210], v[209:210], v[211:212], v[213:214]
	v_div_fixup_f64 v[209:210], v[209:210], v[196:197], v[194:195]
	v_fma_f64 v[194:195], v[194:195], v[209:210], v[196:197]
	v_div_scale_f64 v[196:197], null, v[194:195], v[194:195], 1.0
	v_rcp_f64_e32 v[211:212], v[196:197]
	v_fma_f64 v[213:214], -v[196:197], v[211:212], 1.0
	v_fma_f64 v[211:212], v[211:212], v[213:214], v[211:212]
	v_fma_f64 v[213:214], -v[196:197], v[211:212], 1.0
	v_fma_f64 v[211:212], v[211:212], v[213:214], v[211:212]
	v_div_scale_f64 v[213:214], vcc_lo, 1.0, v[194:195], 1.0
	v_mul_f64 v[215:216], v[213:214], v[211:212]
	v_fma_f64 v[196:197], -v[196:197], v[215:216], v[213:214]
	v_div_fmas_f64 v[196:197], v[196:197], v[211:212], v[215:216]
	v_div_fixup_f64 v[196:197], v[196:197], v[194:195], 1.0
	v_mul_f64 v[194:195], v[209:210], v[196:197]
	v_xor_b32_e32 v197, 0x80000000, v197
.LBB94_763:
	s_andn2_saveexec_b32 s7, s7
	s_cbranch_execz .LBB94_765
; %bb.764:
	v_div_scale_f64 v[209:210], null, v[194:195], v[194:195], v[196:197]
	v_div_scale_f64 v[215:216], vcc_lo, v[196:197], v[194:195], v[196:197]
	v_rcp_f64_e32 v[211:212], v[209:210]
	v_fma_f64 v[213:214], -v[209:210], v[211:212], 1.0
	v_fma_f64 v[211:212], v[211:212], v[213:214], v[211:212]
	v_fma_f64 v[213:214], -v[209:210], v[211:212], 1.0
	v_fma_f64 v[211:212], v[211:212], v[213:214], v[211:212]
	v_mul_f64 v[213:214], v[215:216], v[211:212]
	v_fma_f64 v[209:210], -v[209:210], v[213:214], v[215:216]
	v_div_fmas_f64 v[209:210], v[209:210], v[211:212], v[213:214]
	v_div_fixup_f64 v[209:210], v[209:210], v[194:195], v[196:197]
	v_fma_f64 v[194:195], v[196:197], v[209:210], v[194:195]
	v_div_scale_f64 v[196:197], null, v[194:195], v[194:195], 1.0
	v_rcp_f64_e32 v[211:212], v[196:197]
	v_fma_f64 v[213:214], -v[196:197], v[211:212], 1.0
	v_fma_f64 v[211:212], v[211:212], v[213:214], v[211:212]
	v_fma_f64 v[213:214], -v[196:197], v[211:212], 1.0
	v_fma_f64 v[211:212], v[211:212], v[213:214], v[211:212]
	v_div_scale_f64 v[213:214], vcc_lo, 1.0, v[194:195], 1.0
	v_mul_f64 v[215:216], v[213:214], v[211:212]
	v_fma_f64 v[196:197], -v[196:197], v[215:216], v[213:214]
	v_div_fmas_f64 v[196:197], v[196:197], v[211:212], v[215:216]
	v_div_fixup_f64 v[194:195], v[196:197], v[194:195], 1.0
	v_mul_f64 v[196:197], v[209:210], -v[194:195]
.LBB94_765:
	s_or_b32 exec_lo, exec_lo, s7
.LBB94_766:
	s_or_b32 exec_lo, exec_lo, s0
	s_mov_b32 s0, exec_lo
	v_cmpx_ne_u32_e64 v208, v202
	s_xor_b32 s0, exec_lo, s0
	s_cbranch_execz .LBB94_772
; %bb.767:
	s_mov_b32 s7, exec_lo
	v_cmpx_eq_u32_e32 36, v208
	s_cbranch_execz .LBB94_771
; %bb.768:
	v_cmp_ne_u32_e32 vcc_lo, 36, v202
	s_xor_b32 s8, s16, -1
	s_and_b32 s9, s8, vcc_lo
	s_and_saveexec_b32 s8, s9
	s_cbranch_execz .LBB94_770
; %bb.769:
	v_ashrrev_i32_e32 v203, 31, v202
	v_lshlrev_b64 v[208:209], 2, v[202:203]
	v_add_co_u32 v208, vcc_lo, v200, v208
	v_add_co_ci_u32_e64 v209, null, v201, v209, vcc_lo
	s_clause 0x1
	global_load_dword v0, v[208:209], off
	global_load_dword v203, v[200:201], off offset:144
	s_waitcnt vmcnt(1)
	global_store_dword v[200:201], v0, off offset:144
	s_waitcnt vmcnt(0)
	global_store_dword v[208:209], v203, off
.LBB94_770:
	s_or_b32 exec_lo, exec_lo, s8
	v_mov_b32_e32 v208, v202
	v_mov_b32_e32 v0, v202
.LBB94_771:
	s_or_b32 exec_lo, exec_lo, s7
.LBB94_772:
	s_andn2_saveexec_b32 s0, s0
	s_cbranch_execz .LBB94_774
; %bb.773:
	v_mov_b32_e32 v208, 36
	ds_write2_b64 v1, v[42:43], v[44:45] offset0:74 offset1:75
	ds_write2_b64 v1, v[38:39], v[40:41] offset0:76 offset1:77
	;; [unrolled: 1-line block ×11, first 2 shown]
.LBB94_774:
	s_or_b32 exec_lo, exec_lo, s0
	s_mov_b32 s0, exec_lo
	s_waitcnt lgkmcnt(0)
	s_waitcnt_vscnt null, 0x0
	s_barrier
	buffer_gl0_inv
	v_cmpx_lt_i32_e32 36, v208
	s_cbranch_execz .LBB94_776
; %bb.775:
	v_mul_f64 v[202:203], v[194:195], v[48:49]
	v_mul_f64 v[48:49], v[196:197], v[48:49]
	v_fma_f64 v[202:203], v[196:197], v[46:47], v[202:203]
	v_fma_f64 v[46:47], v[194:195], v[46:47], -v[48:49]
	ds_read2_b64 v[194:197], v1 offset0:74 offset1:75
	s_waitcnt lgkmcnt(0)
	v_mul_f64 v[48:49], v[196:197], v[202:203]
	v_fma_f64 v[48:49], v[194:195], v[46:47], -v[48:49]
	v_mul_f64 v[194:195], v[194:195], v[202:203]
	v_add_f64 v[42:43], v[42:43], -v[48:49]
	v_fma_f64 v[194:195], v[196:197], v[46:47], v[194:195]
	v_add_f64 v[44:45], v[44:45], -v[194:195]
	ds_read2_b64 v[194:197], v1 offset0:76 offset1:77
	s_waitcnt lgkmcnt(0)
	v_mul_f64 v[48:49], v[196:197], v[202:203]
	v_fma_f64 v[48:49], v[194:195], v[46:47], -v[48:49]
	v_mul_f64 v[194:195], v[194:195], v[202:203]
	v_add_f64 v[38:39], v[38:39], -v[48:49]
	v_fma_f64 v[194:195], v[196:197], v[46:47], v[194:195]
	v_add_f64 v[40:41], v[40:41], -v[194:195]
	;; [unrolled: 8-line block ×10, first 2 shown]
	ds_read2_b64 v[194:197], v1 offset0:94 offset1:95
	s_waitcnt lgkmcnt(0)
	v_mul_f64 v[48:49], v[196:197], v[202:203]
	v_fma_f64 v[48:49], v[194:195], v[46:47], -v[48:49]
	v_mul_f64 v[194:195], v[194:195], v[202:203]
	v_add_f64 v[2:3], v[2:3], -v[48:49]
	v_fma_f64 v[194:195], v[196:197], v[46:47], v[194:195]
	v_mov_b32_e32 v48, v202
	v_mov_b32_e32 v49, v203
	v_add_f64 v[4:5], v[4:5], -v[194:195]
.LBB94_776:
	s_or_b32 exec_lo, exec_lo, s0
	v_lshl_add_u32 v194, v208, 4, v1
	s_barrier
	buffer_gl0_inv
	v_mov_b32_e32 v202, 37
	ds_write2_b64 v194, v[42:43], v[44:45] offset1:1
	s_waitcnt lgkmcnt(0)
	s_barrier
	buffer_gl0_inv
	ds_read2_b64 v[194:197], v1 offset0:74 offset1:75
	s_cmp_lt_i32 s1, 39
	s_cbranch_scc1 .LBB94_779
; %bb.777:
	v_add3_u32 v203, v204, 0, 0x260
	v_mov_b32_e32 v202, 37
	s_mov_b32 s7, 38
	s_inst_prefetch 0x1
	.p2align	6
.LBB94_778:                             ; =>This Inner Loop Header: Depth=1
	s_waitcnt lgkmcnt(0)
	v_cmp_gt_f64_e32 vcc_lo, 0, v[196:197]
	v_cmp_gt_f64_e64 s0, 0, v[194:195]
	ds_read2_b64 v[209:212], v203 offset1:1
	v_xor_b32_e32 v214, 0x80000000, v195
	v_xor_b32_e32 v216, 0x80000000, v197
	v_mov_b32_e32 v213, v194
	v_mov_b32_e32 v215, v196
	v_add_nc_u32_e32 v203, 16, v203
	s_waitcnt lgkmcnt(0)
	v_xor_b32_e32 v218, 0x80000000, v212
	v_cndmask_b32_e64 v214, v195, v214, s0
	v_cndmask_b32_e32 v216, v197, v216, vcc_lo
	v_cmp_gt_f64_e32 vcc_lo, 0, v[211:212]
	v_cmp_gt_f64_e64 s0, 0, v[209:210]
	v_mov_b32_e32 v217, v211
	v_add_f64 v[213:214], v[213:214], v[215:216]
	v_xor_b32_e32 v216, 0x80000000, v210
	v_mov_b32_e32 v215, v209
	v_cndmask_b32_e32 v218, v212, v218, vcc_lo
	v_cndmask_b32_e64 v216, v210, v216, s0
	v_add_f64 v[215:216], v[215:216], v[217:218]
	v_cmp_lt_f64_e32 vcc_lo, v[213:214], v[215:216]
	v_cndmask_b32_e32 v195, v195, v210, vcc_lo
	v_cndmask_b32_e32 v194, v194, v209, vcc_lo
	;; [unrolled: 1-line block ×4, first 2 shown]
	v_cndmask_b32_e64 v202, v202, s7, vcc_lo
	s_add_i32 s7, s7, 1
	s_cmp_lg_u32 s1, s7
	s_cbranch_scc1 .LBB94_778
.LBB94_779:
	s_inst_prefetch 0x2
	s_waitcnt lgkmcnt(0)
	v_cmp_eq_f64_e32 vcc_lo, 0, v[194:195]
	v_cmp_eq_f64_e64 s0, 0, v[196:197]
	s_and_b32 s0, vcc_lo, s0
	s_and_saveexec_b32 s7, s0
	s_xor_b32 s0, exec_lo, s7
; %bb.780:
	v_cmp_ne_u32_e32 vcc_lo, 0, v207
	v_cndmask_b32_e32 v207, 38, v207, vcc_lo
; %bb.781:
	s_andn2_saveexec_b32 s0, s0
	s_cbranch_execz .LBB94_787
; %bb.782:
	v_cmp_ngt_f64_e64 s7, |v[194:195]|, |v[196:197]|
	s_and_saveexec_b32 s8, s7
	s_xor_b32 s7, exec_lo, s8
	s_cbranch_execz .LBB94_784
; %bb.783:
	v_div_scale_f64 v[209:210], null, v[196:197], v[196:197], v[194:195]
	v_div_scale_f64 v[215:216], vcc_lo, v[194:195], v[196:197], v[194:195]
	v_rcp_f64_e32 v[211:212], v[209:210]
	v_fma_f64 v[213:214], -v[209:210], v[211:212], 1.0
	v_fma_f64 v[211:212], v[211:212], v[213:214], v[211:212]
	v_fma_f64 v[213:214], -v[209:210], v[211:212], 1.0
	v_fma_f64 v[211:212], v[211:212], v[213:214], v[211:212]
	v_mul_f64 v[213:214], v[215:216], v[211:212]
	v_fma_f64 v[209:210], -v[209:210], v[213:214], v[215:216]
	v_div_fmas_f64 v[209:210], v[209:210], v[211:212], v[213:214]
	v_div_fixup_f64 v[209:210], v[209:210], v[196:197], v[194:195]
	v_fma_f64 v[194:195], v[194:195], v[209:210], v[196:197]
	v_div_scale_f64 v[196:197], null, v[194:195], v[194:195], 1.0
	v_rcp_f64_e32 v[211:212], v[196:197]
	v_fma_f64 v[213:214], -v[196:197], v[211:212], 1.0
	v_fma_f64 v[211:212], v[211:212], v[213:214], v[211:212]
	v_fma_f64 v[213:214], -v[196:197], v[211:212], 1.0
	v_fma_f64 v[211:212], v[211:212], v[213:214], v[211:212]
	v_div_scale_f64 v[213:214], vcc_lo, 1.0, v[194:195], 1.0
	v_mul_f64 v[215:216], v[213:214], v[211:212]
	v_fma_f64 v[196:197], -v[196:197], v[215:216], v[213:214]
	v_div_fmas_f64 v[196:197], v[196:197], v[211:212], v[215:216]
	v_div_fixup_f64 v[196:197], v[196:197], v[194:195], 1.0
	v_mul_f64 v[194:195], v[209:210], v[196:197]
	v_xor_b32_e32 v197, 0x80000000, v197
.LBB94_784:
	s_andn2_saveexec_b32 s7, s7
	s_cbranch_execz .LBB94_786
; %bb.785:
	v_div_scale_f64 v[209:210], null, v[194:195], v[194:195], v[196:197]
	v_div_scale_f64 v[215:216], vcc_lo, v[196:197], v[194:195], v[196:197]
	v_rcp_f64_e32 v[211:212], v[209:210]
	v_fma_f64 v[213:214], -v[209:210], v[211:212], 1.0
	v_fma_f64 v[211:212], v[211:212], v[213:214], v[211:212]
	v_fma_f64 v[213:214], -v[209:210], v[211:212], 1.0
	v_fma_f64 v[211:212], v[211:212], v[213:214], v[211:212]
	v_mul_f64 v[213:214], v[215:216], v[211:212]
	v_fma_f64 v[209:210], -v[209:210], v[213:214], v[215:216]
	v_div_fmas_f64 v[209:210], v[209:210], v[211:212], v[213:214]
	v_div_fixup_f64 v[209:210], v[209:210], v[194:195], v[196:197]
	v_fma_f64 v[194:195], v[196:197], v[209:210], v[194:195]
	v_div_scale_f64 v[196:197], null, v[194:195], v[194:195], 1.0
	v_rcp_f64_e32 v[211:212], v[196:197]
	v_fma_f64 v[213:214], -v[196:197], v[211:212], 1.0
	v_fma_f64 v[211:212], v[211:212], v[213:214], v[211:212]
	v_fma_f64 v[213:214], -v[196:197], v[211:212], 1.0
	v_fma_f64 v[211:212], v[211:212], v[213:214], v[211:212]
	v_div_scale_f64 v[213:214], vcc_lo, 1.0, v[194:195], 1.0
	v_mul_f64 v[215:216], v[213:214], v[211:212]
	v_fma_f64 v[196:197], -v[196:197], v[215:216], v[213:214]
	v_div_fmas_f64 v[196:197], v[196:197], v[211:212], v[215:216]
	v_div_fixup_f64 v[194:195], v[196:197], v[194:195], 1.0
	v_mul_f64 v[196:197], v[209:210], -v[194:195]
.LBB94_786:
	s_or_b32 exec_lo, exec_lo, s7
.LBB94_787:
	s_or_b32 exec_lo, exec_lo, s0
	s_mov_b32 s0, exec_lo
	v_cmpx_ne_u32_e64 v208, v202
	s_xor_b32 s0, exec_lo, s0
	s_cbranch_execz .LBB94_793
; %bb.788:
	s_mov_b32 s7, exec_lo
	v_cmpx_eq_u32_e32 37, v208
	s_cbranch_execz .LBB94_792
; %bb.789:
	v_cmp_ne_u32_e32 vcc_lo, 37, v202
	s_xor_b32 s8, s16, -1
	s_and_b32 s9, s8, vcc_lo
	s_and_saveexec_b32 s8, s9
	s_cbranch_execz .LBB94_791
; %bb.790:
	v_ashrrev_i32_e32 v203, 31, v202
	v_lshlrev_b64 v[208:209], 2, v[202:203]
	v_add_co_u32 v208, vcc_lo, v200, v208
	v_add_co_ci_u32_e64 v209, null, v201, v209, vcc_lo
	s_clause 0x1
	global_load_dword v0, v[208:209], off
	global_load_dword v203, v[200:201], off offset:148
	s_waitcnt vmcnt(1)
	global_store_dword v[200:201], v0, off offset:148
	s_waitcnt vmcnt(0)
	global_store_dword v[208:209], v203, off
.LBB94_791:
	s_or_b32 exec_lo, exec_lo, s8
	v_mov_b32_e32 v208, v202
	v_mov_b32_e32 v0, v202
.LBB94_792:
	s_or_b32 exec_lo, exec_lo, s7
.LBB94_793:
	s_andn2_saveexec_b32 s0, s0
	s_cbranch_execz .LBB94_795
; %bb.794:
	v_mov_b32_e32 v208, 37
	ds_write2_b64 v1, v[38:39], v[40:41] offset0:76 offset1:77
	ds_write2_b64 v1, v[34:35], v[36:37] offset0:78 offset1:79
	;; [unrolled: 1-line block ×10, first 2 shown]
.LBB94_795:
	s_or_b32 exec_lo, exec_lo, s0
	s_mov_b32 s0, exec_lo
	s_waitcnt lgkmcnt(0)
	s_waitcnt_vscnt null, 0x0
	s_barrier
	buffer_gl0_inv
	v_cmpx_lt_i32_e32 37, v208
	s_cbranch_execz .LBB94_797
; %bb.796:
	v_mul_f64 v[202:203], v[194:195], v[44:45]
	v_mul_f64 v[44:45], v[196:197], v[44:45]
	v_fma_f64 v[202:203], v[196:197], v[42:43], v[202:203]
	v_fma_f64 v[42:43], v[194:195], v[42:43], -v[44:45]
	ds_read2_b64 v[194:197], v1 offset0:76 offset1:77
	s_waitcnt lgkmcnt(0)
	v_mul_f64 v[44:45], v[196:197], v[202:203]
	v_fma_f64 v[44:45], v[194:195], v[42:43], -v[44:45]
	v_mul_f64 v[194:195], v[194:195], v[202:203]
	v_add_f64 v[38:39], v[38:39], -v[44:45]
	v_fma_f64 v[194:195], v[196:197], v[42:43], v[194:195]
	v_add_f64 v[40:41], v[40:41], -v[194:195]
	ds_read2_b64 v[194:197], v1 offset0:78 offset1:79
	s_waitcnt lgkmcnt(0)
	v_mul_f64 v[44:45], v[196:197], v[202:203]
	v_fma_f64 v[44:45], v[194:195], v[42:43], -v[44:45]
	v_mul_f64 v[194:195], v[194:195], v[202:203]
	v_add_f64 v[34:35], v[34:35], -v[44:45]
	v_fma_f64 v[194:195], v[196:197], v[42:43], v[194:195]
	v_add_f64 v[36:37], v[36:37], -v[194:195]
	;; [unrolled: 8-line block ×9, first 2 shown]
	ds_read2_b64 v[194:197], v1 offset0:94 offset1:95
	s_waitcnt lgkmcnt(0)
	v_mul_f64 v[44:45], v[196:197], v[202:203]
	v_fma_f64 v[44:45], v[194:195], v[42:43], -v[44:45]
	v_mul_f64 v[194:195], v[194:195], v[202:203]
	v_add_f64 v[2:3], v[2:3], -v[44:45]
	v_fma_f64 v[194:195], v[196:197], v[42:43], v[194:195]
	v_mov_b32_e32 v44, v202
	v_mov_b32_e32 v45, v203
	v_add_f64 v[4:5], v[4:5], -v[194:195]
.LBB94_797:
	s_or_b32 exec_lo, exec_lo, s0
	v_lshl_add_u32 v194, v208, 4, v1
	s_barrier
	buffer_gl0_inv
	v_mov_b32_e32 v202, 38
	ds_write2_b64 v194, v[38:39], v[40:41] offset1:1
	s_waitcnt lgkmcnt(0)
	s_barrier
	buffer_gl0_inv
	ds_read2_b64 v[194:197], v1 offset0:76 offset1:77
	s_cmp_lt_i32 s1, 40
	s_cbranch_scc1 .LBB94_800
; %bb.798:
	v_add3_u32 v203, v204, 0, 0x270
	v_mov_b32_e32 v202, 38
	s_mov_b32 s7, 39
	s_inst_prefetch 0x1
	.p2align	6
.LBB94_799:                             ; =>This Inner Loop Header: Depth=1
	s_waitcnt lgkmcnt(0)
	v_cmp_gt_f64_e32 vcc_lo, 0, v[196:197]
	v_cmp_gt_f64_e64 s0, 0, v[194:195]
	ds_read2_b64 v[209:212], v203 offset1:1
	v_xor_b32_e32 v214, 0x80000000, v195
	v_xor_b32_e32 v216, 0x80000000, v197
	v_mov_b32_e32 v213, v194
	v_mov_b32_e32 v215, v196
	v_add_nc_u32_e32 v203, 16, v203
	s_waitcnt lgkmcnt(0)
	v_xor_b32_e32 v218, 0x80000000, v212
	v_cndmask_b32_e64 v214, v195, v214, s0
	v_cndmask_b32_e32 v216, v197, v216, vcc_lo
	v_cmp_gt_f64_e32 vcc_lo, 0, v[211:212]
	v_cmp_gt_f64_e64 s0, 0, v[209:210]
	v_mov_b32_e32 v217, v211
	v_add_f64 v[213:214], v[213:214], v[215:216]
	v_xor_b32_e32 v216, 0x80000000, v210
	v_mov_b32_e32 v215, v209
	v_cndmask_b32_e32 v218, v212, v218, vcc_lo
	v_cndmask_b32_e64 v216, v210, v216, s0
	v_add_f64 v[215:216], v[215:216], v[217:218]
	v_cmp_lt_f64_e32 vcc_lo, v[213:214], v[215:216]
	v_cndmask_b32_e32 v195, v195, v210, vcc_lo
	v_cndmask_b32_e32 v194, v194, v209, vcc_lo
	v_cndmask_b32_e32 v197, v197, v212, vcc_lo
	v_cndmask_b32_e32 v196, v196, v211, vcc_lo
	v_cndmask_b32_e64 v202, v202, s7, vcc_lo
	s_add_i32 s7, s7, 1
	s_cmp_lg_u32 s1, s7
	s_cbranch_scc1 .LBB94_799
.LBB94_800:
	s_inst_prefetch 0x2
	s_waitcnt lgkmcnt(0)
	v_cmp_eq_f64_e32 vcc_lo, 0, v[194:195]
	v_cmp_eq_f64_e64 s0, 0, v[196:197]
	s_and_b32 s0, vcc_lo, s0
	s_and_saveexec_b32 s7, s0
	s_xor_b32 s0, exec_lo, s7
; %bb.801:
	v_cmp_ne_u32_e32 vcc_lo, 0, v207
	v_cndmask_b32_e32 v207, 39, v207, vcc_lo
; %bb.802:
	s_andn2_saveexec_b32 s0, s0
	s_cbranch_execz .LBB94_808
; %bb.803:
	v_cmp_ngt_f64_e64 s7, |v[194:195]|, |v[196:197]|
	s_and_saveexec_b32 s8, s7
	s_xor_b32 s7, exec_lo, s8
	s_cbranch_execz .LBB94_805
; %bb.804:
	v_div_scale_f64 v[209:210], null, v[196:197], v[196:197], v[194:195]
	v_div_scale_f64 v[215:216], vcc_lo, v[194:195], v[196:197], v[194:195]
	v_rcp_f64_e32 v[211:212], v[209:210]
	v_fma_f64 v[213:214], -v[209:210], v[211:212], 1.0
	v_fma_f64 v[211:212], v[211:212], v[213:214], v[211:212]
	v_fma_f64 v[213:214], -v[209:210], v[211:212], 1.0
	v_fma_f64 v[211:212], v[211:212], v[213:214], v[211:212]
	v_mul_f64 v[213:214], v[215:216], v[211:212]
	v_fma_f64 v[209:210], -v[209:210], v[213:214], v[215:216]
	v_div_fmas_f64 v[209:210], v[209:210], v[211:212], v[213:214]
	v_div_fixup_f64 v[209:210], v[209:210], v[196:197], v[194:195]
	v_fma_f64 v[194:195], v[194:195], v[209:210], v[196:197]
	v_div_scale_f64 v[196:197], null, v[194:195], v[194:195], 1.0
	v_rcp_f64_e32 v[211:212], v[196:197]
	v_fma_f64 v[213:214], -v[196:197], v[211:212], 1.0
	v_fma_f64 v[211:212], v[211:212], v[213:214], v[211:212]
	v_fma_f64 v[213:214], -v[196:197], v[211:212], 1.0
	v_fma_f64 v[211:212], v[211:212], v[213:214], v[211:212]
	v_div_scale_f64 v[213:214], vcc_lo, 1.0, v[194:195], 1.0
	v_mul_f64 v[215:216], v[213:214], v[211:212]
	v_fma_f64 v[196:197], -v[196:197], v[215:216], v[213:214]
	v_div_fmas_f64 v[196:197], v[196:197], v[211:212], v[215:216]
	v_div_fixup_f64 v[196:197], v[196:197], v[194:195], 1.0
	v_mul_f64 v[194:195], v[209:210], v[196:197]
	v_xor_b32_e32 v197, 0x80000000, v197
.LBB94_805:
	s_andn2_saveexec_b32 s7, s7
	s_cbranch_execz .LBB94_807
; %bb.806:
	v_div_scale_f64 v[209:210], null, v[194:195], v[194:195], v[196:197]
	v_div_scale_f64 v[215:216], vcc_lo, v[196:197], v[194:195], v[196:197]
	v_rcp_f64_e32 v[211:212], v[209:210]
	v_fma_f64 v[213:214], -v[209:210], v[211:212], 1.0
	v_fma_f64 v[211:212], v[211:212], v[213:214], v[211:212]
	v_fma_f64 v[213:214], -v[209:210], v[211:212], 1.0
	v_fma_f64 v[211:212], v[211:212], v[213:214], v[211:212]
	v_mul_f64 v[213:214], v[215:216], v[211:212]
	v_fma_f64 v[209:210], -v[209:210], v[213:214], v[215:216]
	v_div_fmas_f64 v[209:210], v[209:210], v[211:212], v[213:214]
	v_div_fixup_f64 v[209:210], v[209:210], v[194:195], v[196:197]
	v_fma_f64 v[194:195], v[196:197], v[209:210], v[194:195]
	v_div_scale_f64 v[196:197], null, v[194:195], v[194:195], 1.0
	v_rcp_f64_e32 v[211:212], v[196:197]
	v_fma_f64 v[213:214], -v[196:197], v[211:212], 1.0
	v_fma_f64 v[211:212], v[211:212], v[213:214], v[211:212]
	v_fma_f64 v[213:214], -v[196:197], v[211:212], 1.0
	v_fma_f64 v[211:212], v[211:212], v[213:214], v[211:212]
	v_div_scale_f64 v[213:214], vcc_lo, 1.0, v[194:195], 1.0
	v_mul_f64 v[215:216], v[213:214], v[211:212]
	v_fma_f64 v[196:197], -v[196:197], v[215:216], v[213:214]
	v_div_fmas_f64 v[196:197], v[196:197], v[211:212], v[215:216]
	v_div_fixup_f64 v[194:195], v[196:197], v[194:195], 1.0
	v_mul_f64 v[196:197], v[209:210], -v[194:195]
.LBB94_807:
	s_or_b32 exec_lo, exec_lo, s7
.LBB94_808:
	s_or_b32 exec_lo, exec_lo, s0
	s_mov_b32 s0, exec_lo
	v_cmpx_ne_u32_e64 v208, v202
	s_xor_b32 s0, exec_lo, s0
	s_cbranch_execz .LBB94_814
; %bb.809:
	s_mov_b32 s7, exec_lo
	v_cmpx_eq_u32_e32 38, v208
	s_cbranch_execz .LBB94_813
; %bb.810:
	v_cmp_ne_u32_e32 vcc_lo, 38, v202
	s_xor_b32 s8, s16, -1
	s_and_b32 s9, s8, vcc_lo
	s_and_saveexec_b32 s8, s9
	s_cbranch_execz .LBB94_812
; %bb.811:
	v_ashrrev_i32_e32 v203, 31, v202
	v_lshlrev_b64 v[208:209], 2, v[202:203]
	v_add_co_u32 v208, vcc_lo, v200, v208
	v_add_co_ci_u32_e64 v209, null, v201, v209, vcc_lo
	s_clause 0x1
	global_load_dword v0, v[208:209], off
	global_load_dword v203, v[200:201], off offset:152
	s_waitcnt vmcnt(1)
	global_store_dword v[200:201], v0, off offset:152
	s_waitcnt vmcnt(0)
	global_store_dword v[208:209], v203, off
.LBB94_812:
	s_or_b32 exec_lo, exec_lo, s8
	v_mov_b32_e32 v208, v202
	v_mov_b32_e32 v0, v202
.LBB94_813:
	s_or_b32 exec_lo, exec_lo, s7
.LBB94_814:
	s_andn2_saveexec_b32 s0, s0
	s_cbranch_execz .LBB94_816
; %bb.815:
	v_mov_b32_e32 v208, 38
	ds_write2_b64 v1, v[34:35], v[36:37] offset0:78 offset1:79
	ds_write2_b64 v1, v[30:31], v[32:33] offset0:80 offset1:81
	;; [unrolled: 1-line block ×9, first 2 shown]
.LBB94_816:
	s_or_b32 exec_lo, exec_lo, s0
	s_mov_b32 s0, exec_lo
	s_waitcnt lgkmcnt(0)
	s_waitcnt_vscnt null, 0x0
	s_barrier
	buffer_gl0_inv
	v_cmpx_lt_i32_e32 38, v208
	s_cbranch_execz .LBB94_818
; %bb.817:
	v_mul_f64 v[202:203], v[194:195], v[40:41]
	v_mul_f64 v[40:41], v[196:197], v[40:41]
	v_fma_f64 v[202:203], v[196:197], v[38:39], v[202:203]
	v_fma_f64 v[38:39], v[194:195], v[38:39], -v[40:41]
	ds_read2_b64 v[194:197], v1 offset0:78 offset1:79
	s_waitcnt lgkmcnt(0)
	v_mul_f64 v[40:41], v[196:197], v[202:203]
	v_fma_f64 v[40:41], v[194:195], v[38:39], -v[40:41]
	v_mul_f64 v[194:195], v[194:195], v[202:203]
	v_add_f64 v[34:35], v[34:35], -v[40:41]
	v_fma_f64 v[194:195], v[196:197], v[38:39], v[194:195]
	v_add_f64 v[36:37], v[36:37], -v[194:195]
	ds_read2_b64 v[194:197], v1 offset0:80 offset1:81
	s_waitcnt lgkmcnt(0)
	v_mul_f64 v[40:41], v[196:197], v[202:203]
	v_fma_f64 v[40:41], v[194:195], v[38:39], -v[40:41]
	v_mul_f64 v[194:195], v[194:195], v[202:203]
	v_add_f64 v[30:31], v[30:31], -v[40:41]
	v_fma_f64 v[194:195], v[196:197], v[38:39], v[194:195]
	v_add_f64 v[32:33], v[32:33], -v[194:195]
	;; [unrolled: 8-line block ×8, first 2 shown]
	ds_read2_b64 v[194:197], v1 offset0:94 offset1:95
	s_waitcnt lgkmcnt(0)
	v_mul_f64 v[40:41], v[196:197], v[202:203]
	v_fma_f64 v[40:41], v[194:195], v[38:39], -v[40:41]
	v_mul_f64 v[194:195], v[194:195], v[202:203]
	v_add_f64 v[2:3], v[2:3], -v[40:41]
	v_fma_f64 v[194:195], v[196:197], v[38:39], v[194:195]
	v_mov_b32_e32 v40, v202
	v_mov_b32_e32 v41, v203
	v_add_f64 v[4:5], v[4:5], -v[194:195]
.LBB94_818:
	s_or_b32 exec_lo, exec_lo, s0
	v_lshl_add_u32 v194, v208, 4, v1
	s_barrier
	buffer_gl0_inv
	v_mov_b32_e32 v202, 39
	ds_write2_b64 v194, v[34:35], v[36:37] offset1:1
	s_waitcnt lgkmcnt(0)
	s_barrier
	buffer_gl0_inv
	ds_read2_b64 v[194:197], v1 offset0:78 offset1:79
	s_cmp_lt_i32 s1, 41
	s_cbranch_scc1 .LBB94_821
; %bb.819:
	v_add3_u32 v203, v204, 0, 0x280
	v_mov_b32_e32 v202, 39
	s_mov_b32 s7, 40
	s_inst_prefetch 0x1
	.p2align	6
.LBB94_820:                             ; =>This Inner Loop Header: Depth=1
	s_waitcnt lgkmcnt(0)
	v_cmp_gt_f64_e32 vcc_lo, 0, v[196:197]
	v_cmp_gt_f64_e64 s0, 0, v[194:195]
	ds_read2_b64 v[209:212], v203 offset1:1
	v_xor_b32_e32 v214, 0x80000000, v195
	v_xor_b32_e32 v216, 0x80000000, v197
	v_mov_b32_e32 v213, v194
	v_mov_b32_e32 v215, v196
	v_add_nc_u32_e32 v203, 16, v203
	s_waitcnt lgkmcnt(0)
	v_xor_b32_e32 v218, 0x80000000, v212
	v_cndmask_b32_e64 v214, v195, v214, s0
	v_cndmask_b32_e32 v216, v197, v216, vcc_lo
	v_cmp_gt_f64_e32 vcc_lo, 0, v[211:212]
	v_cmp_gt_f64_e64 s0, 0, v[209:210]
	v_mov_b32_e32 v217, v211
	v_add_f64 v[213:214], v[213:214], v[215:216]
	v_xor_b32_e32 v216, 0x80000000, v210
	v_mov_b32_e32 v215, v209
	v_cndmask_b32_e32 v218, v212, v218, vcc_lo
	v_cndmask_b32_e64 v216, v210, v216, s0
	v_add_f64 v[215:216], v[215:216], v[217:218]
	v_cmp_lt_f64_e32 vcc_lo, v[213:214], v[215:216]
	v_cndmask_b32_e32 v195, v195, v210, vcc_lo
	v_cndmask_b32_e32 v194, v194, v209, vcc_lo
	;; [unrolled: 1-line block ×4, first 2 shown]
	v_cndmask_b32_e64 v202, v202, s7, vcc_lo
	s_add_i32 s7, s7, 1
	s_cmp_lg_u32 s1, s7
	s_cbranch_scc1 .LBB94_820
.LBB94_821:
	s_inst_prefetch 0x2
	s_waitcnt lgkmcnt(0)
	v_cmp_eq_f64_e32 vcc_lo, 0, v[194:195]
	v_cmp_eq_f64_e64 s0, 0, v[196:197]
	s_and_b32 s0, vcc_lo, s0
	s_and_saveexec_b32 s7, s0
	s_xor_b32 s0, exec_lo, s7
; %bb.822:
	v_cmp_ne_u32_e32 vcc_lo, 0, v207
	v_cndmask_b32_e32 v207, 40, v207, vcc_lo
; %bb.823:
	s_andn2_saveexec_b32 s0, s0
	s_cbranch_execz .LBB94_829
; %bb.824:
	v_cmp_ngt_f64_e64 s7, |v[194:195]|, |v[196:197]|
	s_and_saveexec_b32 s8, s7
	s_xor_b32 s7, exec_lo, s8
	s_cbranch_execz .LBB94_826
; %bb.825:
	v_div_scale_f64 v[209:210], null, v[196:197], v[196:197], v[194:195]
	v_div_scale_f64 v[215:216], vcc_lo, v[194:195], v[196:197], v[194:195]
	v_rcp_f64_e32 v[211:212], v[209:210]
	v_fma_f64 v[213:214], -v[209:210], v[211:212], 1.0
	v_fma_f64 v[211:212], v[211:212], v[213:214], v[211:212]
	v_fma_f64 v[213:214], -v[209:210], v[211:212], 1.0
	v_fma_f64 v[211:212], v[211:212], v[213:214], v[211:212]
	v_mul_f64 v[213:214], v[215:216], v[211:212]
	v_fma_f64 v[209:210], -v[209:210], v[213:214], v[215:216]
	v_div_fmas_f64 v[209:210], v[209:210], v[211:212], v[213:214]
	v_div_fixup_f64 v[209:210], v[209:210], v[196:197], v[194:195]
	v_fma_f64 v[194:195], v[194:195], v[209:210], v[196:197]
	v_div_scale_f64 v[196:197], null, v[194:195], v[194:195], 1.0
	v_rcp_f64_e32 v[211:212], v[196:197]
	v_fma_f64 v[213:214], -v[196:197], v[211:212], 1.0
	v_fma_f64 v[211:212], v[211:212], v[213:214], v[211:212]
	v_fma_f64 v[213:214], -v[196:197], v[211:212], 1.0
	v_fma_f64 v[211:212], v[211:212], v[213:214], v[211:212]
	v_div_scale_f64 v[213:214], vcc_lo, 1.0, v[194:195], 1.0
	v_mul_f64 v[215:216], v[213:214], v[211:212]
	v_fma_f64 v[196:197], -v[196:197], v[215:216], v[213:214]
	v_div_fmas_f64 v[196:197], v[196:197], v[211:212], v[215:216]
	v_div_fixup_f64 v[196:197], v[196:197], v[194:195], 1.0
	v_mul_f64 v[194:195], v[209:210], v[196:197]
	v_xor_b32_e32 v197, 0x80000000, v197
.LBB94_826:
	s_andn2_saveexec_b32 s7, s7
	s_cbranch_execz .LBB94_828
; %bb.827:
	v_div_scale_f64 v[209:210], null, v[194:195], v[194:195], v[196:197]
	v_div_scale_f64 v[215:216], vcc_lo, v[196:197], v[194:195], v[196:197]
	v_rcp_f64_e32 v[211:212], v[209:210]
	v_fma_f64 v[213:214], -v[209:210], v[211:212], 1.0
	v_fma_f64 v[211:212], v[211:212], v[213:214], v[211:212]
	v_fma_f64 v[213:214], -v[209:210], v[211:212], 1.0
	v_fma_f64 v[211:212], v[211:212], v[213:214], v[211:212]
	v_mul_f64 v[213:214], v[215:216], v[211:212]
	v_fma_f64 v[209:210], -v[209:210], v[213:214], v[215:216]
	v_div_fmas_f64 v[209:210], v[209:210], v[211:212], v[213:214]
	v_div_fixup_f64 v[209:210], v[209:210], v[194:195], v[196:197]
	v_fma_f64 v[194:195], v[196:197], v[209:210], v[194:195]
	v_div_scale_f64 v[196:197], null, v[194:195], v[194:195], 1.0
	v_rcp_f64_e32 v[211:212], v[196:197]
	v_fma_f64 v[213:214], -v[196:197], v[211:212], 1.0
	v_fma_f64 v[211:212], v[211:212], v[213:214], v[211:212]
	v_fma_f64 v[213:214], -v[196:197], v[211:212], 1.0
	v_fma_f64 v[211:212], v[211:212], v[213:214], v[211:212]
	v_div_scale_f64 v[213:214], vcc_lo, 1.0, v[194:195], 1.0
	v_mul_f64 v[215:216], v[213:214], v[211:212]
	v_fma_f64 v[196:197], -v[196:197], v[215:216], v[213:214]
	v_div_fmas_f64 v[196:197], v[196:197], v[211:212], v[215:216]
	v_div_fixup_f64 v[194:195], v[196:197], v[194:195], 1.0
	v_mul_f64 v[196:197], v[209:210], -v[194:195]
.LBB94_828:
	s_or_b32 exec_lo, exec_lo, s7
.LBB94_829:
	s_or_b32 exec_lo, exec_lo, s0
	s_mov_b32 s0, exec_lo
	v_cmpx_ne_u32_e64 v208, v202
	s_xor_b32 s0, exec_lo, s0
	s_cbranch_execz .LBB94_835
; %bb.830:
	s_mov_b32 s7, exec_lo
	v_cmpx_eq_u32_e32 39, v208
	s_cbranch_execz .LBB94_834
; %bb.831:
	v_cmp_ne_u32_e32 vcc_lo, 39, v202
	s_xor_b32 s8, s16, -1
	s_and_b32 s9, s8, vcc_lo
	s_and_saveexec_b32 s8, s9
	s_cbranch_execz .LBB94_833
; %bb.832:
	v_ashrrev_i32_e32 v203, 31, v202
	v_lshlrev_b64 v[208:209], 2, v[202:203]
	v_add_co_u32 v208, vcc_lo, v200, v208
	v_add_co_ci_u32_e64 v209, null, v201, v209, vcc_lo
	s_clause 0x1
	global_load_dword v0, v[208:209], off
	global_load_dword v203, v[200:201], off offset:156
	s_waitcnt vmcnt(1)
	global_store_dword v[200:201], v0, off offset:156
	s_waitcnt vmcnt(0)
	global_store_dword v[208:209], v203, off
.LBB94_833:
	s_or_b32 exec_lo, exec_lo, s8
	v_mov_b32_e32 v208, v202
	v_mov_b32_e32 v0, v202
.LBB94_834:
	s_or_b32 exec_lo, exec_lo, s7
.LBB94_835:
	s_andn2_saveexec_b32 s0, s0
	s_cbranch_execz .LBB94_837
; %bb.836:
	v_mov_b32_e32 v208, 39
	ds_write2_b64 v1, v[30:31], v[32:33] offset0:80 offset1:81
	ds_write2_b64 v1, v[26:27], v[28:29] offset0:82 offset1:83
	;; [unrolled: 1-line block ×8, first 2 shown]
.LBB94_837:
	s_or_b32 exec_lo, exec_lo, s0
	s_mov_b32 s0, exec_lo
	s_waitcnt lgkmcnt(0)
	s_waitcnt_vscnt null, 0x0
	s_barrier
	buffer_gl0_inv
	v_cmpx_lt_i32_e32 39, v208
	s_cbranch_execz .LBB94_839
; %bb.838:
	v_mul_f64 v[202:203], v[194:195], v[36:37]
	v_mul_f64 v[36:37], v[196:197], v[36:37]
	v_fma_f64 v[202:203], v[196:197], v[34:35], v[202:203]
	v_fma_f64 v[34:35], v[194:195], v[34:35], -v[36:37]
	ds_read2_b64 v[194:197], v1 offset0:80 offset1:81
	s_waitcnt lgkmcnt(0)
	v_mul_f64 v[36:37], v[196:197], v[202:203]
	v_fma_f64 v[36:37], v[194:195], v[34:35], -v[36:37]
	v_mul_f64 v[194:195], v[194:195], v[202:203]
	v_add_f64 v[30:31], v[30:31], -v[36:37]
	v_fma_f64 v[194:195], v[196:197], v[34:35], v[194:195]
	v_add_f64 v[32:33], v[32:33], -v[194:195]
	ds_read2_b64 v[194:197], v1 offset0:82 offset1:83
	s_waitcnt lgkmcnt(0)
	v_mul_f64 v[36:37], v[196:197], v[202:203]
	v_fma_f64 v[36:37], v[194:195], v[34:35], -v[36:37]
	v_mul_f64 v[194:195], v[194:195], v[202:203]
	v_add_f64 v[26:27], v[26:27], -v[36:37]
	v_fma_f64 v[194:195], v[196:197], v[34:35], v[194:195]
	v_add_f64 v[28:29], v[28:29], -v[194:195]
	ds_read2_b64 v[194:197], v1 offset0:84 offset1:85
	s_waitcnt lgkmcnt(0)
	v_mul_f64 v[36:37], v[196:197], v[202:203]
	v_fma_f64 v[36:37], v[194:195], v[34:35], -v[36:37]
	v_mul_f64 v[194:195], v[194:195], v[202:203]
	v_add_f64 v[22:23], v[22:23], -v[36:37]
	v_fma_f64 v[194:195], v[196:197], v[34:35], v[194:195]
	v_add_f64 v[24:25], v[24:25], -v[194:195]
	ds_read2_b64 v[194:197], v1 offset0:86 offset1:87
	s_waitcnt lgkmcnt(0)
	v_mul_f64 v[36:37], v[196:197], v[202:203]
	v_fma_f64 v[36:37], v[194:195], v[34:35], -v[36:37]
	v_mul_f64 v[194:195], v[194:195], v[202:203]
	v_add_f64 v[18:19], v[18:19], -v[36:37]
	v_fma_f64 v[194:195], v[196:197], v[34:35], v[194:195]
	v_add_f64 v[20:21], v[20:21], -v[194:195]
	ds_read2_b64 v[194:197], v1 offset0:88 offset1:89
	s_waitcnt lgkmcnt(0)
	v_mul_f64 v[36:37], v[196:197], v[202:203]
	v_fma_f64 v[36:37], v[194:195], v[34:35], -v[36:37]
	v_mul_f64 v[194:195], v[194:195], v[202:203]
	v_add_f64 v[14:15], v[14:15], -v[36:37]
	v_fma_f64 v[194:195], v[196:197], v[34:35], v[194:195]
	v_add_f64 v[16:17], v[16:17], -v[194:195]
	ds_read2_b64 v[194:197], v1 offset0:90 offset1:91
	s_waitcnt lgkmcnt(0)
	v_mul_f64 v[36:37], v[196:197], v[202:203]
	v_fma_f64 v[36:37], v[194:195], v[34:35], -v[36:37]
	v_mul_f64 v[194:195], v[194:195], v[202:203]
	v_add_f64 v[10:11], v[10:11], -v[36:37]
	v_fma_f64 v[194:195], v[196:197], v[34:35], v[194:195]
	v_add_f64 v[12:13], v[12:13], -v[194:195]
	ds_read2_b64 v[194:197], v1 offset0:92 offset1:93
	s_waitcnt lgkmcnt(0)
	v_mul_f64 v[36:37], v[196:197], v[202:203]
	v_fma_f64 v[36:37], v[194:195], v[34:35], -v[36:37]
	v_mul_f64 v[194:195], v[194:195], v[202:203]
	v_add_f64 v[6:7], v[6:7], -v[36:37]
	v_fma_f64 v[194:195], v[196:197], v[34:35], v[194:195]
	v_add_f64 v[8:9], v[8:9], -v[194:195]
	ds_read2_b64 v[194:197], v1 offset0:94 offset1:95
	s_waitcnt lgkmcnt(0)
	v_mul_f64 v[36:37], v[196:197], v[202:203]
	v_fma_f64 v[36:37], v[194:195], v[34:35], -v[36:37]
	v_mul_f64 v[194:195], v[194:195], v[202:203]
	v_add_f64 v[2:3], v[2:3], -v[36:37]
	v_fma_f64 v[194:195], v[196:197], v[34:35], v[194:195]
	v_mov_b32_e32 v36, v202
	v_mov_b32_e32 v37, v203
	v_add_f64 v[4:5], v[4:5], -v[194:195]
.LBB94_839:
	s_or_b32 exec_lo, exec_lo, s0
	v_lshl_add_u32 v194, v208, 4, v1
	s_barrier
	buffer_gl0_inv
	v_mov_b32_e32 v202, 40
	ds_write2_b64 v194, v[30:31], v[32:33] offset1:1
	s_waitcnt lgkmcnt(0)
	s_barrier
	buffer_gl0_inv
	ds_read2_b64 v[194:197], v1 offset0:80 offset1:81
	s_cmp_lt_i32 s1, 42
	s_cbranch_scc1 .LBB94_842
; %bb.840:
	v_add3_u32 v203, v204, 0, 0x290
	v_mov_b32_e32 v202, 40
	s_mov_b32 s7, 41
	s_inst_prefetch 0x1
	.p2align	6
.LBB94_841:                             ; =>This Inner Loop Header: Depth=1
	s_waitcnt lgkmcnt(0)
	v_cmp_gt_f64_e32 vcc_lo, 0, v[196:197]
	v_cmp_gt_f64_e64 s0, 0, v[194:195]
	ds_read2_b64 v[209:212], v203 offset1:1
	v_xor_b32_e32 v214, 0x80000000, v195
	v_xor_b32_e32 v216, 0x80000000, v197
	v_mov_b32_e32 v213, v194
	v_mov_b32_e32 v215, v196
	v_add_nc_u32_e32 v203, 16, v203
	s_waitcnt lgkmcnt(0)
	v_xor_b32_e32 v218, 0x80000000, v212
	v_cndmask_b32_e64 v214, v195, v214, s0
	v_cndmask_b32_e32 v216, v197, v216, vcc_lo
	v_cmp_gt_f64_e32 vcc_lo, 0, v[211:212]
	v_cmp_gt_f64_e64 s0, 0, v[209:210]
	v_mov_b32_e32 v217, v211
	v_add_f64 v[213:214], v[213:214], v[215:216]
	v_xor_b32_e32 v216, 0x80000000, v210
	v_mov_b32_e32 v215, v209
	v_cndmask_b32_e32 v218, v212, v218, vcc_lo
	v_cndmask_b32_e64 v216, v210, v216, s0
	v_add_f64 v[215:216], v[215:216], v[217:218]
	v_cmp_lt_f64_e32 vcc_lo, v[213:214], v[215:216]
	v_cndmask_b32_e32 v195, v195, v210, vcc_lo
	v_cndmask_b32_e32 v194, v194, v209, vcc_lo
	;; [unrolled: 1-line block ×4, first 2 shown]
	v_cndmask_b32_e64 v202, v202, s7, vcc_lo
	s_add_i32 s7, s7, 1
	s_cmp_lg_u32 s1, s7
	s_cbranch_scc1 .LBB94_841
.LBB94_842:
	s_inst_prefetch 0x2
	s_waitcnt lgkmcnt(0)
	v_cmp_eq_f64_e32 vcc_lo, 0, v[194:195]
	v_cmp_eq_f64_e64 s0, 0, v[196:197]
	s_and_b32 s0, vcc_lo, s0
	s_and_saveexec_b32 s7, s0
	s_xor_b32 s0, exec_lo, s7
; %bb.843:
	v_cmp_ne_u32_e32 vcc_lo, 0, v207
	v_cndmask_b32_e32 v207, 41, v207, vcc_lo
; %bb.844:
	s_andn2_saveexec_b32 s0, s0
	s_cbranch_execz .LBB94_850
; %bb.845:
	v_cmp_ngt_f64_e64 s7, |v[194:195]|, |v[196:197]|
	s_and_saveexec_b32 s8, s7
	s_xor_b32 s7, exec_lo, s8
	s_cbranch_execz .LBB94_847
; %bb.846:
	v_div_scale_f64 v[209:210], null, v[196:197], v[196:197], v[194:195]
	v_div_scale_f64 v[215:216], vcc_lo, v[194:195], v[196:197], v[194:195]
	v_rcp_f64_e32 v[211:212], v[209:210]
	v_fma_f64 v[213:214], -v[209:210], v[211:212], 1.0
	v_fma_f64 v[211:212], v[211:212], v[213:214], v[211:212]
	v_fma_f64 v[213:214], -v[209:210], v[211:212], 1.0
	v_fma_f64 v[211:212], v[211:212], v[213:214], v[211:212]
	v_mul_f64 v[213:214], v[215:216], v[211:212]
	v_fma_f64 v[209:210], -v[209:210], v[213:214], v[215:216]
	v_div_fmas_f64 v[209:210], v[209:210], v[211:212], v[213:214]
	v_div_fixup_f64 v[209:210], v[209:210], v[196:197], v[194:195]
	v_fma_f64 v[194:195], v[194:195], v[209:210], v[196:197]
	v_div_scale_f64 v[196:197], null, v[194:195], v[194:195], 1.0
	v_rcp_f64_e32 v[211:212], v[196:197]
	v_fma_f64 v[213:214], -v[196:197], v[211:212], 1.0
	v_fma_f64 v[211:212], v[211:212], v[213:214], v[211:212]
	v_fma_f64 v[213:214], -v[196:197], v[211:212], 1.0
	v_fma_f64 v[211:212], v[211:212], v[213:214], v[211:212]
	v_div_scale_f64 v[213:214], vcc_lo, 1.0, v[194:195], 1.0
	v_mul_f64 v[215:216], v[213:214], v[211:212]
	v_fma_f64 v[196:197], -v[196:197], v[215:216], v[213:214]
	v_div_fmas_f64 v[196:197], v[196:197], v[211:212], v[215:216]
	v_div_fixup_f64 v[196:197], v[196:197], v[194:195], 1.0
	v_mul_f64 v[194:195], v[209:210], v[196:197]
	v_xor_b32_e32 v197, 0x80000000, v197
.LBB94_847:
	s_andn2_saveexec_b32 s7, s7
	s_cbranch_execz .LBB94_849
; %bb.848:
	v_div_scale_f64 v[209:210], null, v[194:195], v[194:195], v[196:197]
	v_div_scale_f64 v[215:216], vcc_lo, v[196:197], v[194:195], v[196:197]
	v_rcp_f64_e32 v[211:212], v[209:210]
	v_fma_f64 v[213:214], -v[209:210], v[211:212], 1.0
	v_fma_f64 v[211:212], v[211:212], v[213:214], v[211:212]
	v_fma_f64 v[213:214], -v[209:210], v[211:212], 1.0
	v_fma_f64 v[211:212], v[211:212], v[213:214], v[211:212]
	v_mul_f64 v[213:214], v[215:216], v[211:212]
	v_fma_f64 v[209:210], -v[209:210], v[213:214], v[215:216]
	v_div_fmas_f64 v[209:210], v[209:210], v[211:212], v[213:214]
	v_div_fixup_f64 v[209:210], v[209:210], v[194:195], v[196:197]
	v_fma_f64 v[194:195], v[196:197], v[209:210], v[194:195]
	v_div_scale_f64 v[196:197], null, v[194:195], v[194:195], 1.0
	v_rcp_f64_e32 v[211:212], v[196:197]
	v_fma_f64 v[213:214], -v[196:197], v[211:212], 1.0
	v_fma_f64 v[211:212], v[211:212], v[213:214], v[211:212]
	v_fma_f64 v[213:214], -v[196:197], v[211:212], 1.0
	v_fma_f64 v[211:212], v[211:212], v[213:214], v[211:212]
	v_div_scale_f64 v[213:214], vcc_lo, 1.0, v[194:195], 1.0
	v_mul_f64 v[215:216], v[213:214], v[211:212]
	v_fma_f64 v[196:197], -v[196:197], v[215:216], v[213:214]
	v_div_fmas_f64 v[196:197], v[196:197], v[211:212], v[215:216]
	v_div_fixup_f64 v[194:195], v[196:197], v[194:195], 1.0
	v_mul_f64 v[196:197], v[209:210], -v[194:195]
.LBB94_849:
	s_or_b32 exec_lo, exec_lo, s7
.LBB94_850:
	s_or_b32 exec_lo, exec_lo, s0
	s_mov_b32 s0, exec_lo
	v_cmpx_ne_u32_e64 v208, v202
	s_xor_b32 s0, exec_lo, s0
	s_cbranch_execz .LBB94_856
; %bb.851:
	s_mov_b32 s7, exec_lo
	v_cmpx_eq_u32_e32 40, v208
	s_cbranch_execz .LBB94_855
; %bb.852:
	v_cmp_ne_u32_e32 vcc_lo, 40, v202
	s_xor_b32 s8, s16, -1
	s_and_b32 s9, s8, vcc_lo
	s_and_saveexec_b32 s8, s9
	s_cbranch_execz .LBB94_854
; %bb.853:
	v_ashrrev_i32_e32 v203, 31, v202
	v_lshlrev_b64 v[208:209], 2, v[202:203]
	v_add_co_u32 v208, vcc_lo, v200, v208
	v_add_co_ci_u32_e64 v209, null, v201, v209, vcc_lo
	s_clause 0x1
	global_load_dword v0, v[208:209], off
	global_load_dword v203, v[200:201], off offset:160
	s_waitcnt vmcnt(1)
	global_store_dword v[200:201], v0, off offset:160
	s_waitcnt vmcnt(0)
	global_store_dword v[208:209], v203, off
.LBB94_854:
	s_or_b32 exec_lo, exec_lo, s8
	v_mov_b32_e32 v208, v202
	v_mov_b32_e32 v0, v202
.LBB94_855:
	s_or_b32 exec_lo, exec_lo, s7
.LBB94_856:
	s_andn2_saveexec_b32 s0, s0
	s_cbranch_execz .LBB94_858
; %bb.857:
	v_mov_b32_e32 v208, 40
	ds_write2_b64 v1, v[26:27], v[28:29] offset0:82 offset1:83
	ds_write2_b64 v1, v[22:23], v[24:25] offset0:84 offset1:85
	;; [unrolled: 1-line block ×7, first 2 shown]
.LBB94_858:
	s_or_b32 exec_lo, exec_lo, s0
	s_mov_b32 s0, exec_lo
	s_waitcnt lgkmcnt(0)
	s_waitcnt_vscnt null, 0x0
	s_barrier
	buffer_gl0_inv
	v_cmpx_lt_i32_e32 40, v208
	s_cbranch_execz .LBB94_860
; %bb.859:
	v_mul_f64 v[202:203], v[194:195], v[32:33]
	v_mul_f64 v[32:33], v[196:197], v[32:33]
	v_fma_f64 v[202:203], v[196:197], v[30:31], v[202:203]
	v_fma_f64 v[30:31], v[194:195], v[30:31], -v[32:33]
	ds_read2_b64 v[194:197], v1 offset0:82 offset1:83
	s_waitcnt lgkmcnt(0)
	v_mul_f64 v[32:33], v[196:197], v[202:203]
	v_fma_f64 v[32:33], v[194:195], v[30:31], -v[32:33]
	v_mul_f64 v[194:195], v[194:195], v[202:203]
	v_add_f64 v[26:27], v[26:27], -v[32:33]
	v_fma_f64 v[194:195], v[196:197], v[30:31], v[194:195]
	v_add_f64 v[28:29], v[28:29], -v[194:195]
	ds_read2_b64 v[194:197], v1 offset0:84 offset1:85
	s_waitcnt lgkmcnt(0)
	v_mul_f64 v[32:33], v[196:197], v[202:203]
	v_fma_f64 v[32:33], v[194:195], v[30:31], -v[32:33]
	v_mul_f64 v[194:195], v[194:195], v[202:203]
	v_add_f64 v[22:23], v[22:23], -v[32:33]
	v_fma_f64 v[194:195], v[196:197], v[30:31], v[194:195]
	v_add_f64 v[24:25], v[24:25], -v[194:195]
	;; [unrolled: 8-line block ×6, first 2 shown]
	ds_read2_b64 v[194:197], v1 offset0:94 offset1:95
	s_waitcnt lgkmcnt(0)
	v_mul_f64 v[32:33], v[196:197], v[202:203]
	v_fma_f64 v[32:33], v[194:195], v[30:31], -v[32:33]
	v_mul_f64 v[194:195], v[194:195], v[202:203]
	v_add_f64 v[2:3], v[2:3], -v[32:33]
	v_fma_f64 v[194:195], v[196:197], v[30:31], v[194:195]
	v_mov_b32_e32 v32, v202
	v_mov_b32_e32 v33, v203
	v_add_f64 v[4:5], v[4:5], -v[194:195]
.LBB94_860:
	s_or_b32 exec_lo, exec_lo, s0
	v_lshl_add_u32 v194, v208, 4, v1
	s_barrier
	buffer_gl0_inv
	v_mov_b32_e32 v202, 41
	ds_write2_b64 v194, v[26:27], v[28:29] offset1:1
	s_waitcnt lgkmcnt(0)
	s_barrier
	buffer_gl0_inv
	ds_read2_b64 v[194:197], v1 offset0:82 offset1:83
	s_cmp_lt_i32 s1, 43
	s_cbranch_scc1 .LBB94_863
; %bb.861:
	v_add3_u32 v203, v204, 0, 0x2a0
	v_mov_b32_e32 v202, 41
	s_mov_b32 s7, 42
	s_inst_prefetch 0x1
	.p2align	6
.LBB94_862:                             ; =>This Inner Loop Header: Depth=1
	s_waitcnt lgkmcnt(0)
	v_cmp_gt_f64_e32 vcc_lo, 0, v[196:197]
	v_cmp_gt_f64_e64 s0, 0, v[194:195]
	ds_read2_b64 v[209:212], v203 offset1:1
	v_xor_b32_e32 v214, 0x80000000, v195
	v_xor_b32_e32 v216, 0x80000000, v197
	v_mov_b32_e32 v213, v194
	v_mov_b32_e32 v215, v196
	v_add_nc_u32_e32 v203, 16, v203
	s_waitcnt lgkmcnt(0)
	v_xor_b32_e32 v218, 0x80000000, v212
	v_cndmask_b32_e64 v214, v195, v214, s0
	v_cndmask_b32_e32 v216, v197, v216, vcc_lo
	v_cmp_gt_f64_e32 vcc_lo, 0, v[211:212]
	v_cmp_gt_f64_e64 s0, 0, v[209:210]
	v_mov_b32_e32 v217, v211
	v_add_f64 v[213:214], v[213:214], v[215:216]
	v_xor_b32_e32 v216, 0x80000000, v210
	v_mov_b32_e32 v215, v209
	v_cndmask_b32_e32 v218, v212, v218, vcc_lo
	v_cndmask_b32_e64 v216, v210, v216, s0
	v_add_f64 v[215:216], v[215:216], v[217:218]
	v_cmp_lt_f64_e32 vcc_lo, v[213:214], v[215:216]
	v_cndmask_b32_e32 v195, v195, v210, vcc_lo
	v_cndmask_b32_e32 v194, v194, v209, vcc_lo
	;; [unrolled: 1-line block ×4, first 2 shown]
	v_cndmask_b32_e64 v202, v202, s7, vcc_lo
	s_add_i32 s7, s7, 1
	s_cmp_lg_u32 s1, s7
	s_cbranch_scc1 .LBB94_862
.LBB94_863:
	s_inst_prefetch 0x2
	s_waitcnt lgkmcnt(0)
	v_cmp_eq_f64_e32 vcc_lo, 0, v[194:195]
	v_cmp_eq_f64_e64 s0, 0, v[196:197]
	s_and_b32 s0, vcc_lo, s0
	s_and_saveexec_b32 s7, s0
	s_xor_b32 s0, exec_lo, s7
; %bb.864:
	v_cmp_ne_u32_e32 vcc_lo, 0, v207
	v_cndmask_b32_e32 v207, 42, v207, vcc_lo
; %bb.865:
	s_andn2_saveexec_b32 s0, s0
	s_cbranch_execz .LBB94_871
; %bb.866:
	v_cmp_ngt_f64_e64 s7, |v[194:195]|, |v[196:197]|
	s_and_saveexec_b32 s8, s7
	s_xor_b32 s7, exec_lo, s8
	s_cbranch_execz .LBB94_868
; %bb.867:
	v_div_scale_f64 v[209:210], null, v[196:197], v[196:197], v[194:195]
	v_div_scale_f64 v[215:216], vcc_lo, v[194:195], v[196:197], v[194:195]
	v_rcp_f64_e32 v[211:212], v[209:210]
	v_fma_f64 v[213:214], -v[209:210], v[211:212], 1.0
	v_fma_f64 v[211:212], v[211:212], v[213:214], v[211:212]
	v_fma_f64 v[213:214], -v[209:210], v[211:212], 1.0
	v_fma_f64 v[211:212], v[211:212], v[213:214], v[211:212]
	v_mul_f64 v[213:214], v[215:216], v[211:212]
	v_fma_f64 v[209:210], -v[209:210], v[213:214], v[215:216]
	v_div_fmas_f64 v[209:210], v[209:210], v[211:212], v[213:214]
	v_div_fixup_f64 v[209:210], v[209:210], v[196:197], v[194:195]
	v_fma_f64 v[194:195], v[194:195], v[209:210], v[196:197]
	v_div_scale_f64 v[196:197], null, v[194:195], v[194:195], 1.0
	v_rcp_f64_e32 v[211:212], v[196:197]
	v_fma_f64 v[213:214], -v[196:197], v[211:212], 1.0
	v_fma_f64 v[211:212], v[211:212], v[213:214], v[211:212]
	v_fma_f64 v[213:214], -v[196:197], v[211:212], 1.0
	v_fma_f64 v[211:212], v[211:212], v[213:214], v[211:212]
	v_div_scale_f64 v[213:214], vcc_lo, 1.0, v[194:195], 1.0
	v_mul_f64 v[215:216], v[213:214], v[211:212]
	v_fma_f64 v[196:197], -v[196:197], v[215:216], v[213:214]
	v_div_fmas_f64 v[196:197], v[196:197], v[211:212], v[215:216]
	v_div_fixup_f64 v[196:197], v[196:197], v[194:195], 1.0
	v_mul_f64 v[194:195], v[209:210], v[196:197]
	v_xor_b32_e32 v197, 0x80000000, v197
.LBB94_868:
	s_andn2_saveexec_b32 s7, s7
	s_cbranch_execz .LBB94_870
; %bb.869:
	v_div_scale_f64 v[209:210], null, v[194:195], v[194:195], v[196:197]
	v_div_scale_f64 v[215:216], vcc_lo, v[196:197], v[194:195], v[196:197]
	v_rcp_f64_e32 v[211:212], v[209:210]
	v_fma_f64 v[213:214], -v[209:210], v[211:212], 1.0
	v_fma_f64 v[211:212], v[211:212], v[213:214], v[211:212]
	v_fma_f64 v[213:214], -v[209:210], v[211:212], 1.0
	v_fma_f64 v[211:212], v[211:212], v[213:214], v[211:212]
	v_mul_f64 v[213:214], v[215:216], v[211:212]
	v_fma_f64 v[209:210], -v[209:210], v[213:214], v[215:216]
	v_div_fmas_f64 v[209:210], v[209:210], v[211:212], v[213:214]
	v_div_fixup_f64 v[209:210], v[209:210], v[194:195], v[196:197]
	v_fma_f64 v[194:195], v[196:197], v[209:210], v[194:195]
	v_div_scale_f64 v[196:197], null, v[194:195], v[194:195], 1.0
	v_rcp_f64_e32 v[211:212], v[196:197]
	v_fma_f64 v[213:214], -v[196:197], v[211:212], 1.0
	v_fma_f64 v[211:212], v[211:212], v[213:214], v[211:212]
	v_fma_f64 v[213:214], -v[196:197], v[211:212], 1.0
	v_fma_f64 v[211:212], v[211:212], v[213:214], v[211:212]
	v_div_scale_f64 v[213:214], vcc_lo, 1.0, v[194:195], 1.0
	v_mul_f64 v[215:216], v[213:214], v[211:212]
	v_fma_f64 v[196:197], -v[196:197], v[215:216], v[213:214]
	v_div_fmas_f64 v[196:197], v[196:197], v[211:212], v[215:216]
	v_div_fixup_f64 v[194:195], v[196:197], v[194:195], 1.0
	v_mul_f64 v[196:197], v[209:210], -v[194:195]
.LBB94_870:
	s_or_b32 exec_lo, exec_lo, s7
.LBB94_871:
	s_or_b32 exec_lo, exec_lo, s0
	s_mov_b32 s0, exec_lo
	v_cmpx_ne_u32_e64 v208, v202
	s_xor_b32 s0, exec_lo, s0
	s_cbranch_execz .LBB94_877
; %bb.872:
	s_mov_b32 s7, exec_lo
	v_cmpx_eq_u32_e32 41, v208
	s_cbranch_execz .LBB94_876
; %bb.873:
	v_cmp_ne_u32_e32 vcc_lo, 41, v202
	s_xor_b32 s8, s16, -1
	s_and_b32 s9, s8, vcc_lo
	s_and_saveexec_b32 s8, s9
	s_cbranch_execz .LBB94_875
; %bb.874:
	v_ashrrev_i32_e32 v203, 31, v202
	v_lshlrev_b64 v[208:209], 2, v[202:203]
	v_add_co_u32 v208, vcc_lo, v200, v208
	v_add_co_ci_u32_e64 v209, null, v201, v209, vcc_lo
	s_clause 0x1
	global_load_dword v0, v[208:209], off
	global_load_dword v203, v[200:201], off offset:164
	s_waitcnt vmcnt(1)
	global_store_dword v[200:201], v0, off offset:164
	s_waitcnt vmcnt(0)
	global_store_dword v[208:209], v203, off
.LBB94_875:
	s_or_b32 exec_lo, exec_lo, s8
	v_mov_b32_e32 v208, v202
	v_mov_b32_e32 v0, v202
.LBB94_876:
	s_or_b32 exec_lo, exec_lo, s7
.LBB94_877:
	s_andn2_saveexec_b32 s0, s0
	s_cbranch_execz .LBB94_879
; %bb.878:
	v_mov_b32_e32 v208, 41
	ds_write2_b64 v1, v[22:23], v[24:25] offset0:84 offset1:85
	ds_write2_b64 v1, v[18:19], v[20:21] offset0:86 offset1:87
	;; [unrolled: 1-line block ×6, first 2 shown]
.LBB94_879:
	s_or_b32 exec_lo, exec_lo, s0
	s_mov_b32 s0, exec_lo
	s_waitcnt lgkmcnt(0)
	s_waitcnt_vscnt null, 0x0
	s_barrier
	buffer_gl0_inv
	v_cmpx_lt_i32_e32 41, v208
	s_cbranch_execz .LBB94_881
; %bb.880:
	v_mul_f64 v[202:203], v[194:195], v[28:29]
	v_mul_f64 v[28:29], v[196:197], v[28:29]
	ds_read2_b64 v[209:212], v1 offset0:84 offset1:85
	ds_read2_b64 v[213:216], v1 offset0:86 offset1:87
	;; [unrolled: 1-line block ×6, first 2 shown]
	v_fma_f64 v[196:197], v[196:197], v[26:27], v[202:203]
	v_fma_f64 v[26:27], v[194:195], v[26:27], -v[28:29]
	s_waitcnt lgkmcnt(5)
	v_mul_f64 v[28:29], v[211:212], v[196:197]
	v_mul_f64 v[194:195], v[209:210], v[196:197]
	s_waitcnt lgkmcnt(4)
	v_mul_f64 v[202:203], v[215:216], v[196:197]
	v_mul_f64 v[233:234], v[213:214], v[196:197]
	;; [unrolled: 3-line block ×6, first 2 shown]
	v_fma_f64 v[28:29], v[209:210], v[26:27], -v[28:29]
	v_fma_f64 v[194:195], v[211:212], v[26:27], v[194:195]
	v_fma_f64 v[202:203], v[213:214], v[26:27], -v[202:203]
	v_fma_f64 v[209:210], v[215:216], v[26:27], v[233:234]
	;; [unrolled: 2-line block ×6, first 2 shown]
	v_add_f64 v[22:23], v[22:23], -v[28:29]
	v_add_f64 v[24:25], v[24:25], -v[194:195]
	;; [unrolled: 1-line block ×12, first 2 shown]
	v_mov_b32_e32 v28, v196
	v_mov_b32_e32 v29, v197
.LBB94_881:
	s_or_b32 exec_lo, exec_lo, s0
	v_lshl_add_u32 v194, v208, 4, v1
	s_barrier
	buffer_gl0_inv
	v_mov_b32_e32 v202, 42
	ds_write2_b64 v194, v[22:23], v[24:25] offset1:1
	s_waitcnt lgkmcnt(0)
	s_barrier
	buffer_gl0_inv
	ds_read2_b64 v[194:197], v1 offset0:84 offset1:85
	s_cmp_lt_i32 s1, 44
	s_cbranch_scc1 .LBB94_884
; %bb.882:
	v_add3_u32 v203, v204, 0, 0x2b0
	v_mov_b32_e32 v202, 42
	s_mov_b32 s7, 43
	s_inst_prefetch 0x1
	.p2align	6
.LBB94_883:                             ; =>This Inner Loop Header: Depth=1
	s_waitcnt lgkmcnt(0)
	v_cmp_gt_f64_e32 vcc_lo, 0, v[196:197]
	v_cmp_gt_f64_e64 s0, 0, v[194:195]
	ds_read2_b64 v[209:212], v203 offset1:1
	v_xor_b32_e32 v214, 0x80000000, v195
	v_xor_b32_e32 v216, 0x80000000, v197
	v_mov_b32_e32 v213, v194
	v_mov_b32_e32 v215, v196
	v_add_nc_u32_e32 v203, 16, v203
	s_waitcnt lgkmcnt(0)
	v_xor_b32_e32 v218, 0x80000000, v212
	v_cndmask_b32_e64 v214, v195, v214, s0
	v_cndmask_b32_e32 v216, v197, v216, vcc_lo
	v_cmp_gt_f64_e32 vcc_lo, 0, v[211:212]
	v_cmp_gt_f64_e64 s0, 0, v[209:210]
	v_mov_b32_e32 v217, v211
	v_add_f64 v[213:214], v[213:214], v[215:216]
	v_xor_b32_e32 v216, 0x80000000, v210
	v_mov_b32_e32 v215, v209
	v_cndmask_b32_e32 v218, v212, v218, vcc_lo
	v_cndmask_b32_e64 v216, v210, v216, s0
	v_add_f64 v[215:216], v[215:216], v[217:218]
	v_cmp_lt_f64_e32 vcc_lo, v[213:214], v[215:216]
	v_cndmask_b32_e32 v195, v195, v210, vcc_lo
	v_cndmask_b32_e32 v194, v194, v209, vcc_lo
	;; [unrolled: 1-line block ×4, first 2 shown]
	v_cndmask_b32_e64 v202, v202, s7, vcc_lo
	s_add_i32 s7, s7, 1
	s_cmp_lg_u32 s1, s7
	s_cbranch_scc1 .LBB94_883
.LBB94_884:
	s_inst_prefetch 0x2
	s_waitcnt lgkmcnt(0)
	v_cmp_eq_f64_e32 vcc_lo, 0, v[194:195]
	v_cmp_eq_f64_e64 s0, 0, v[196:197]
	s_and_b32 s0, vcc_lo, s0
	s_and_saveexec_b32 s7, s0
	s_xor_b32 s0, exec_lo, s7
; %bb.885:
	v_cmp_ne_u32_e32 vcc_lo, 0, v207
	v_cndmask_b32_e32 v207, 43, v207, vcc_lo
; %bb.886:
	s_andn2_saveexec_b32 s0, s0
	s_cbranch_execz .LBB94_892
; %bb.887:
	v_cmp_ngt_f64_e64 s7, |v[194:195]|, |v[196:197]|
	s_and_saveexec_b32 s8, s7
	s_xor_b32 s7, exec_lo, s8
	s_cbranch_execz .LBB94_889
; %bb.888:
	v_div_scale_f64 v[209:210], null, v[196:197], v[196:197], v[194:195]
	v_div_scale_f64 v[215:216], vcc_lo, v[194:195], v[196:197], v[194:195]
	v_rcp_f64_e32 v[211:212], v[209:210]
	v_fma_f64 v[213:214], -v[209:210], v[211:212], 1.0
	v_fma_f64 v[211:212], v[211:212], v[213:214], v[211:212]
	v_fma_f64 v[213:214], -v[209:210], v[211:212], 1.0
	v_fma_f64 v[211:212], v[211:212], v[213:214], v[211:212]
	v_mul_f64 v[213:214], v[215:216], v[211:212]
	v_fma_f64 v[209:210], -v[209:210], v[213:214], v[215:216]
	v_div_fmas_f64 v[209:210], v[209:210], v[211:212], v[213:214]
	v_div_fixup_f64 v[209:210], v[209:210], v[196:197], v[194:195]
	v_fma_f64 v[194:195], v[194:195], v[209:210], v[196:197]
	v_div_scale_f64 v[196:197], null, v[194:195], v[194:195], 1.0
	v_rcp_f64_e32 v[211:212], v[196:197]
	v_fma_f64 v[213:214], -v[196:197], v[211:212], 1.0
	v_fma_f64 v[211:212], v[211:212], v[213:214], v[211:212]
	v_fma_f64 v[213:214], -v[196:197], v[211:212], 1.0
	v_fma_f64 v[211:212], v[211:212], v[213:214], v[211:212]
	v_div_scale_f64 v[213:214], vcc_lo, 1.0, v[194:195], 1.0
	v_mul_f64 v[215:216], v[213:214], v[211:212]
	v_fma_f64 v[196:197], -v[196:197], v[215:216], v[213:214]
	v_div_fmas_f64 v[196:197], v[196:197], v[211:212], v[215:216]
	v_div_fixup_f64 v[196:197], v[196:197], v[194:195], 1.0
	v_mul_f64 v[194:195], v[209:210], v[196:197]
	v_xor_b32_e32 v197, 0x80000000, v197
.LBB94_889:
	s_andn2_saveexec_b32 s7, s7
	s_cbranch_execz .LBB94_891
; %bb.890:
	v_div_scale_f64 v[209:210], null, v[194:195], v[194:195], v[196:197]
	v_div_scale_f64 v[215:216], vcc_lo, v[196:197], v[194:195], v[196:197]
	v_rcp_f64_e32 v[211:212], v[209:210]
	v_fma_f64 v[213:214], -v[209:210], v[211:212], 1.0
	v_fma_f64 v[211:212], v[211:212], v[213:214], v[211:212]
	v_fma_f64 v[213:214], -v[209:210], v[211:212], 1.0
	v_fma_f64 v[211:212], v[211:212], v[213:214], v[211:212]
	v_mul_f64 v[213:214], v[215:216], v[211:212]
	v_fma_f64 v[209:210], -v[209:210], v[213:214], v[215:216]
	v_div_fmas_f64 v[209:210], v[209:210], v[211:212], v[213:214]
	v_div_fixup_f64 v[209:210], v[209:210], v[194:195], v[196:197]
	v_fma_f64 v[194:195], v[196:197], v[209:210], v[194:195]
	v_div_scale_f64 v[196:197], null, v[194:195], v[194:195], 1.0
	v_rcp_f64_e32 v[211:212], v[196:197]
	v_fma_f64 v[213:214], -v[196:197], v[211:212], 1.0
	v_fma_f64 v[211:212], v[211:212], v[213:214], v[211:212]
	v_fma_f64 v[213:214], -v[196:197], v[211:212], 1.0
	v_fma_f64 v[211:212], v[211:212], v[213:214], v[211:212]
	v_div_scale_f64 v[213:214], vcc_lo, 1.0, v[194:195], 1.0
	v_mul_f64 v[215:216], v[213:214], v[211:212]
	v_fma_f64 v[196:197], -v[196:197], v[215:216], v[213:214]
	v_div_fmas_f64 v[196:197], v[196:197], v[211:212], v[215:216]
	v_div_fixup_f64 v[194:195], v[196:197], v[194:195], 1.0
	v_mul_f64 v[196:197], v[209:210], -v[194:195]
.LBB94_891:
	s_or_b32 exec_lo, exec_lo, s7
.LBB94_892:
	s_or_b32 exec_lo, exec_lo, s0
	s_mov_b32 s0, exec_lo
	v_cmpx_ne_u32_e64 v208, v202
	s_xor_b32 s0, exec_lo, s0
	s_cbranch_execz .LBB94_898
; %bb.893:
	s_mov_b32 s7, exec_lo
	v_cmpx_eq_u32_e32 42, v208
	s_cbranch_execz .LBB94_897
; %bb.894:
	v_cmp_ne_u32_e32 vcc_lo, 42, v202
	s_xor_b32 s8, s16, -1
	s_and_b32 s9, s8, vcc_lo
	s_and_saveexec_b32 s8, s9
	s_cbranch_execz .LBB94_896
; %bb.895:
	v_ashrrev_i32_e32 v203, 31, v202
	v_lshlrev_b64 v[208:209], 2, v[202:203]
	v_add_co_u32 v208, vcc_lo, v200, v208
	v_add_co_ci_u32_e64 v209, null, v201, v209, vcc_lo
	s_clause 0x1
	global_load_dword v0, v[208:209], off
	global_load_dword v203, v[200:201], off offset:168
	s_waitcnt vmcnt(1)
	global_store_dword v[200:201], v0, off offset:168
	s_waitcnt vmcnt(0)
	global_store_dword v[208:209], v203, off
.LBB94_896:
	s_or_b32 exec_lo, exec_lo, s8
	v_mov_b32_e32 v208, v202
	v_mov_b32_e32 v0, v202
.LBB94_897:
	s_or_b32 exec_lo, exec_lo, s7
.LBB94_898:
	s_andn2_saveexec_b32 s0, s0
	s_cbranch_execz .LBB94_900
; %bb.899:
	v_mov_b32_e32 v208, 42
	ds_write2_b64 v1, v[18:19], v[20:21] offset0:86 offset1:87
	ds_write2_b64 v1, v[14:15], v[16:17] offset0:88 offset1:89
	;; [unrolled: 1-line block ×5, first 2 shown]
.LBB94_900:
	s_or_b32 exec_lo, exec_lo, s0
	s_mov_b32 s0, exec_lo
	s_waitcnt lgkmcnt(0)
	s_waitcnt_vscnt null, 0x0
	s_barrier
	buffer_gl0_inv
	v_cmpx_lt_i32_e32 42, v208
	s_cbranch_execz .LBB94_902
; %bb.901:
	v_mul_f64 v[202:203], v[194:195], v[24:25]
	v_mul_f64 v[24:25], v[196:197], v[24:25]
	ds_read2_b64 v[209:212], v1 offset0:86 offset1:87
	ds_read2_b64 v[213:216], v1 offset0:88 offset1:89
	;; [unrolled: 1-line block ×5, first 2 shown]
	v_fma_f64 v[196:197], v[196:197], v[22:23], v[202:203]
	v_fma_f64 v[22:23], v[194:195], v[22:23], -v[24:25]
	s_waitcnt lgkmcnt(4)
	v_mul_f64 v[24:25], v[211:212], v[196:197]
	v_mul_f64 v[194:195], v[209:210], v[196:197]
	s_waitcnt lgkmcnt(3)
	v_mul_f64 v[202:203], v[215:216], v[196:197]
	v_mul_f64 v[229:230], v[213:214], v[196:197]
	;; [unrolled: 3-line block ×5, first 2 shown]
	v_fma_f64 v[24:25], v[209:210], v[22:23], -v[24:25]
	v_fma_f64 v[194:195], v[211:212], v[22:23], v[194:195]
	v_fma_f64 v[202:203], v[213:214], v[22:23], -v[202:203]
	v_fma_f64 v[209:210], v[215:216], v[22:23], v[229:230]
	;; [unrolled: 2-line block ×5, first 2 shown]
	v_add_f64 v[18:19], v[18:19], -v[24:25]
	v_add_f64 v[20:21], v[20:21], -v[194:195]
	;; [unrolled: 1-line block ×10, first 2 shown]
	v_mov_b32_e32 v24, v196
	v_mov_b32_e32 v25, v197
.LBB94_902:
	s_or_b32 exec_lo, exec_lo, s0
	v_lshl_add_u32 v194, v208, 4, v1
	s_barrier
	buffer_gl0_inv
	v_mov_b32_e32 v202, 43
	ds_write2_b64 v194, v[18:19], v[20:21] offset1:1
	s_waitcnt lgkmcnt(0)
	s_barrier
	buffer_gl0_inv
	ds_read2_b64 v[194:197], v1 offset0:86 offset1:87
	s_cmp_lt_i32 s1, 45
	s_cbranch_scc1 .LBB94_905
; %bb.903:
	v_add3_u32 v203, v204, 0, 0x2c0
	v_mov_b32_e32 v202, 43
	s_mov_b32 s7, 44
	s_inst_prefetch 0x1
	.p2align	6
.LBB94_904:                             ; =>This Inner Loop Header: Depth=1
	s_waitcnt lgkmcnt(0)
	v_cmp_gt_f64_e32 vcc_lo, 0, v[196:197]
	v_cmp_gt_f64_e64 s0, 0, v[194:195]
	ds_read2_b64 v[209:212], v203 offset1:1
	v_xor_b32_e32 v214, 0x80000000, v195
	v_xor_b32_e32 v216, 0x80000000, v197
	v_mov_b32_e32 v213, v194
	v_mov_b32_e32 v215, v196
	v_add_nc_u32_e32 v203, 16, v203
	s_waitcnt lgkmcnt(0)
	v_xor_b32_e32 v218, 0x80000000, v212
	v_cndmask_b32_e64 v214, v195, v214, s0
	v_cndmask_b32_e32 v216, v197, v216, vcc_lo
	v_cmp_gt_f64_e32 vcc_lo, 0, v[211:212]
	v_cmp_gt_f64_e64 s0, 0, v[209:210]
	v_mov_b32_e32 v217, v211
	v_add_f64 v[213:214], v[213:214], v[215:216]
	v_xor_b32_e32 v216, 0x80000000, v210
	v_mov_b32_e32 v215, v209
	v_cndmask_b32_e32 v218, v212, v218, vcc_lo
	v_cndmask_b32_e64 v216, v210, v216, s0
	v_add_f64 v[215:216], v[215:216], v[217:218]
	v_cmp_lt_f64_e32 vcc_lo, v[213:214], v[215:216]
	v_cndmask_b32_e32 v195, v195, v210, vcc_lo
	v_cndmask_b32_e32 v194, v194, v209, vcc_lo
	;; [unrolled: 1-line block ×4, first 2 shown]
	v_cndmask_b32_e64 v202, v202, s7, vcc_lo
	s_add_i32 s7, s7, 1
	s_cmp_lg_u32 s1, s7
	s_cbranch_scc1 .LBB94_904
.LBB94_905:
	s_inst_prefetch 0x2
	s_waitcnt lgkmcnt(0)
	v_cmp_eq_f64_e32 vcc_lo, 0, v[194:195]
	v_cmp_eq_f64_e64 s0, 0, v[196:197]
	s_and_b32 s0, vcc_lo, s0
	s_and_saveexec_b32 s7, s0
	s_xor_b32 s0, exec_lo, s7
; %bb.906:
	v_cmp_ne_u32_e32 vcc_lo, 0, v207
	v_cndmask_b32_e32 v207, 44, v207, vcc_lo
; %bb.907:
	s_andn2_saveexec_b32 s0, s0
	s_cbranch_execz .LBB94_913
; %bb.908:
	v_cmp_ngt_f64_e64 s7, |v[194:195]|, |v[196:197]|
	s_and_saveexec_b32 s8, s7
	s_xor_b32 s7, exec_lo, s8
	s_cbranch_execz .LBB94_910
; %bb.909:
	v_div_scale_f64 v[209:210], null, v[196:197], v[196:197], v[194:195]
	v_div_scale_f64 v[215:216], vcc_lo, v[194:195], v[196:197], v[194:195]
	v_rcp_f64_e32 v[211:212], v[209:210]
	v_fma_f64 v[213:214], -v[209:210], v[211:212], 1.0
	v_fma_f64 v[211:212], v[211:212], v[213:214], v[211:212]
	v_fma_f64 v[213:214], -v[209:210], v[211:212], 1.0
	v_fma_f64 v[211:212], v[211:212], v[213:214], v[211:212]
	v_mul_f64 v[213:214], v[215:216], v[211:212]
	v_fma_f64 v[209:210], -v[209:210], v[213:214], v[215:216]
	v_div_fmas_f64 v[209:210], v[209:210], v[211:212], v[213:214]
	v_div_fixup_f64 v[209:210], v[209:210], v[196:197], v[194:195]
	v_fma_f64 v[194:195], v[194:195], v[209:210], v[196:197]
	v_div_scale_f64 v[196:197], null, v[194:195], v[194:195], 1.0
	v_rcp_f64_e32 v[211:212], v[196:197]
	v_fma_f64 v[213:214], -v[196:197], v[211:212], 1.0
	v_fma_f64 v[211:212], v[211:212], v[213:214], v[211:212]
	v_fma_f64 v[213:214], -v[196:197], v[211:212], 1.0
	v_fma_f64 v[211:212], v[211:212], v[213:214], v[211:212]
	v_div_scale_f64 v[213:214], vcc_lo, 1.0, v[194:195], 1.0
	v_mul_f64 v[215:216], v[213:214], v[211:212]
	v_fma_f64 v[196:197], -v[196:197], v[215:216], v[213:214]
	v_div_fmas_f64 v[196:197], v[196:197], v[211:212], v[215:216]
	v_div_fixup_f64 v[196:197], v[196:197], v[194:195], 1.0
	v_mul_f64 v[194:195], v[209:210], v[196:197]
	v_xor_b32_e32 v197, 0x80000000, v197
.LBB94_910:
	s_andn2_saveexec_b32 s7, s7
	s_cbranch_execz .LBB94_912
; %bb.911:
	v_div_scale_f64 v[209:210], null, v[194:195], v[194:195], v[196:197]
	v_div_scale_f64 v[215:216], vcc_lo, v[196:197], v[194:195], v[196:197]
	v_rcp_f64_e32 v[211:212], v[209:210]
	v_fma_f64 v[213:214], -v[209:210], v[211:212], 1.0
	v_fma_f64 v[211:212], v[211:212], v[213:214], v[211:212]
	v_fma_f64 v[213:214], -v[209:210], v[211:212], 1.0
	v_fma_f64 v[211:212], v[211:212], v[213:214], v[211:212]
	v_mul_f64 v[213:214], v[215:216], v[211:212]
	v_fma_f64 v[209:210], -v[209:210], v[213:214], v[215:216]
	v_div_fmas_f64 v[209:210], v[209:210], v[211:212], v[213:214]
	v_div_fixup_f64 v[209:210], v[209:210], v[194:195], v[196:197]
	v_fma_f64 v[194:195], v[196:197], v[209:210], v[194:195]
	v_div_scale_f64 v[196:197], null, v[194:195], v[194:195], 1.0
	v_rcp_f64_e32 v[211:212], v[196:197]
	v_fma_f64 v[213:214], -v[196:197], v[211:212], 1.0
	v_fma_f64 v[211:212], v[211:212], v[213:214], v[211:212]
	v_fma_f64 v[213:214], -v[196:197], v[211:212], 1.0
	v_fma_f64 v[211:212], v[211:212], v[213:214], v[211:212]
	v_div_scale_f64 v[213:214], vcc_lo, 1.0, v[194:195], 1.0
	v_mul_f64 v[215:216], v[213:214], v[211:212]
	v_fma_f64 v[196:197], -v[196:197], v[215:216], v[213:214]
	v_div_fmas_f64 v[196:197], v[196:197], v[211:212], v[215:216]
	v_div_fixup_f64 v[194:195], v[196:197], v[194:195], 1.0
	v_mul_f64 v[196:197], v[209:210], -v[194:195]
.LBB94_912:
	s_or_b32 exec_lo, exec_lo, s7
.LBB94_913:
	s_or_b32 exec_lo, exec_lo, s0
	s_mov_b32 s0, exec_lo
	v_cmpx_ne_u32_e64 v208, v202
	s_xor_b32 s0, exec_lo, s0
	s_cbranch_execz .LBB94_919
; %bb.914:
	s_mov_b32 s7, exec_lo
	v_cmpx_eq_u32_e32 43, v208
	s_cbranch_execz .LBB94_918
; %bb.915:
	v_cmp_ne_u32_e32 vcc_lo, 43, v202
	s_xor_b32 s8, s16, -1
	s_and_b32 s9, s8, vcc_lo
	s_and_saveexec_b32 s8, s9
	s_cbranch_execz .LBB94_917
; %bb.916:
	v_ashrrev_i32_e32 v203, 31, v202
	v_lshlrev_b64 v[208:209], 2, v[202:203]
	v_add_co_u32 v208, vcc_lo, v200, v208
	v_add_co_ci_u32_e64 v209, null, v201, v209, vcc_lo
	s_clause 0x1
	global_load_dword v0, v[208:209], off
	global_load_dword v203, v[200:201], off offset:172
	s_waitcnt vmcnt(1)
	global_store_dword v[200:201], v0, off offset:172
	s_waitcnt vmcnt(0)
	global_store_dword v[208:209], v203, off
.LBB94_917:
	s_or_b32 exec_lo, exec_lo, s8
	v_mov_b32_e32 v208, v202
	v_mov_b32_e32 v0, v202
.LBB94_918:
	s_or_b32 exec_lo, exec_lo, s7
.LBB94_919:
	s_andn2_saveexec_b32 s0, s0
	s_cbranch_execz .LBB94_921
; %bb.920:
	v_mov_b32_e32 v208, 43
	ds_write2_b64 v1, v[14:15], v[16:17] offset0:88 offset1:89
	ds_write2_b64 v1, v[10:11], v[12:13] offset0:90 offset1:91
	;; [unrolled: 1-line block ×4, first 2 shown]
.LBB94_921:
	s_or_b32 exec_lo, exec_lo, s0
	s_mov_b32 s0, exec_lo
	s_waitcnt lgkmcnt(0)
	s_waitcnt_vscnt null, 0x0
	s_barrier
	buffer_gl0_inv
	v_cmpx_lt_i32_e32 43, v208
	s_cbranch_execz .LBB94_923
; %bb.922:
	v_mul_f64 v[202:203], v[194:195], v[20:21]
	v_mul_f64 v[20:21], v[196:197], v[20:21]
	ds_read2_b64 v[209:212], v1 offset0:88 offset1:89
	ds_read2_b64 v[213:216], v1 offset0:90 offset1:91
	;; [unrolled: 1-line block ×4, first 2 shown]
	v_fma_f64 v[196:197], v[196:197], v[18:19], v[202:203]
	v_fma_f64 v[18:19], v[194:195], v[18:19], -v[20:21]
	s_waitcnt lgkmcnt(3)
	v_mul_f64 v[20:21], v[211:212], v[196:197]
	v_mul_f64 v[194:195], v[209:210], v[196:197]
	s_waitcnt lgkmcnt(2)
	v_mul_f64 v[202:203], v[215:216], v[196:197]
	v_mul_f64 v[225:226], v[213:214], v[196:197]
	;; [unrolled: 3-line block ×4, first 2 shown]
	v_fma_f64 v[20:21], v[209:210], v[18:19], -v[20:21]
	v_fma_f64 v[194:195], v[211:212], v[18:19], v[194:195]
	v_fma_f64 v[202:203], v[213:214], v[18:19], -v[202:203]
	v_fma_f64 v[209:210], v[215:216], v[18:19], v[225:226]
	;; [unrolled: 2-line block ×4, first 2 shown]
	v_add_f64 v[14:15], v[14:15], -v[20:21]
	v_add_f64 v[16:17], v[16:17], -v[194:195]
	;; [unrolled: 1-line block ×8, first 2 shown]
	v_mov_b32_e32 v20, v196
	v_mov_b32_e32 v21, v197
.LBB94_923:
	s_or_b32 exec_lo, exec_lo, s0
	v_lshl_add_u32 v194, v208, 4, v1
	s_barrier
	buffer_gl0_inv
	v_mov_b32_e32 v202, 44
	ds_write2_b64 v194, v[14:15], v[16:17] offset1:1
	s_waitcnt lgkmcnt(0)
	s_barrier
	buffer_gl0_inv
	ds_read2_b64 v[194:197], v1 offset0:88 offset1:89
	s_cmp_lt_i32 s1, 46
	s_cbranch_scc1 .LBB94_926
; %bb.924:
	v_add3_u32 v203, v204, 0, 0x2d0
	v_mov_b32_e32 v202, 44
	s_mov_b32 s7, 45
	s_inst_prefetch 0x1
	.p2align	6
.LBB94_925:                             ; =>This Inner Loop Header: Depth=1
	s_waitcnt lgkmcnt(0)
	v_cmp_gt_f64_e32 vcc_lo, 0, v[196:197]
	v_cmp_gt_f64_e64 s0, 0, v[194:195]
	ds_read2_b64 v[209:212], v203 offset1:1
	v_xor_b32_e32 v214, 0x80000000, v195
	v_xor_b32_e32 v216, 0x80000000, v197
	v_mov_b32_e32 v213, v194
	v_mov_b32_e32 v215, v196
	v_add_nc_u32_e32 v203, 16, v203
	s_waitcnt lgkmcnt(0)
	v_xor_b32_e32 v218, 0x80000000, v212
	v_cndmask_b32_e64 v214, v195, v214, s0
	v_cndmask_b32_e32 v216, v197, v216, vcc_lo
	v_cmp_gt_f64_e32 vcc_lo, 0, v[211:212]
	v_cmp_gt_f64_e64 s0, 0, v[209:210]
	v_mov_b32_e32 v217, v211
	v_add_f64 v[213:214], v[213:214], v[215:216]
	v_xor_b32_e32 v216, 0x80000000, v210
	v_mov_b32_e32 v215, v209
	v_cndmask_b32_e32 v218, v212, v218, vcc_lo
	v_cndmask_b32_e64 v216, v210, v216, s0
	v_add_f64 v[215:216], v[215:216], v[217:218]
	v_cmp_lt_f64_e32 vcc_lo, v[213:214], v[215:216]
	v_cndmask_b32_e32 v195, v195, v210, vcc_lo
	v_cndmask_b32_e32 v194, v194, v209, vcc_lo
	;; [unrolled: 1-line block ×4, first 2 shown]
	v_cndmask_b32_e64 v202, v202, s7, vcc_lo
	s_add_i32 s7, s7, 1
	s_cmp_lg_u32 s1, s7
	s_cbranch_scc1 .LBB94_925
.LBB94_926:
	s_inst_prefetch 0x2
	s_waitcnt lgkmcnt(0)
	v_cmp_eq_f64_e32 vcc_lo, 0, v[194:195]
	v_cmp_eq_f64_e64 s0, 0, v[196:197]
	s_and_b32 s0, vcc_lo, s0
	s_and_saveexec_b32 s7, s0
	s_xor_b32 s0, exec_lo, s7
; %bb.927:
	v_cmp_ne_u32_e32 vcc_lo, 0, v207
	v_cndmask_b32_e32 v207, 45, v207, vcc_lo
; %bb.928:
	s_andn2_saveexec_b32 s0, s0
	s_cbranch_execz .LBB94_934
; %bb.929:
	v_cmp_ngt_f64_e64 s7, |v[194:195]|, |v[196:197]|
	s_and_saveexec_b32 s8, s7
	s_xor_b32 s7, exec_lo, s8
	s_cbranch_execz .LBB94_931
; %bb.930:
	v_div_scale_f64 v[209:210], null, v[196:197], v[196:197], v[194:195]
	v_div_scale_f64 v[215:216], vcc_lo, v[194:195], v[196:197], v[194:195]
	v_rcp_f64_e32 v[211:212], v[209:210]
	v_fma_f64 v[213:214], -v[209:210], v[211:212], 1.0
	v_fma_f64 v[211:212], v[211:212], v[213:214], v[211:212]
	v_fma_f64 v[213:214], -v[209:210], v[211:212], 1.0
	v_fma_f64 v[211:212], v[211:212], v[213:214], v[211:212]
	v_mul_f64 v[213:214], v[215:216], v[211:212]
	v_fma_f64 v[209:210], -v[209:210], v[213:214], v[215:216]
	v_div_fmas_f64 v[209:210], v[209:210], v[211:212], v[213:214]
	v_div_fixup_f64 v[209:210], v[209:210], v[196:197], v[194:195]
	v_fma_f64 v[194:195], v[194:195], v[209:210], v[196:197]
	v_div_scale_f64 v[196:197], null, v[194:195], v[194:195], 1.0
	v_rcp_f64_e32 v[211:212], v[196:197]
	v_fma_f64 v[213:214], -v[196:197], v[211:212], 1.0
	v_fma_f64 v[211:212], v[211:212], v[213:214], v[211:212]
	v_fma_f64 v[213:214], -v[196:197], v[211:212], 1.0
	v_fma_f64 v[211:212], v[211:212], v[213:214], v[211:212]
	v_div_scale_f64 v[213:214], vcc_lo, 1.0, v[194:195], 1.0
	v_mul_f64 v[215:216], v[213:214], v[211:212]
	v_fma_f64 v[196:197], -v[196:197], v[215:216], v[213:214]
	v_div_fmas_f64 v[196:197], v[196:197], v[211:212], v[215:216]
	v_div_fixup_f64 v[196:197], v[196:197], v[194:195], 1.0
	v_mul_f64 v[194:195], v[209:210], v[196:197]
	v_xor_b32_e32 v197, 0x80000000, v197
.LBB94_931:
	s_andn2_saveexec_b32 s7, s7
	s_cbranch_execz .LBB94_933
; %bb.932:
	v_div_scale_f64 v[209:210], null, v[194:195], v[194:195], v[196:197]
	v_div_scale_f64 v[215:216], vcc_lo, v[196:197], v[194:195], v[196:197]
	v_rcp_f64_e32 v[211:212], v[209:210]
	v_fma_f64 v[213:214], -v[209:210], v[211:212], 1.0
	v_fma_f64 v[211:212], v[211:212], v[213:214], v[211:212]
	v_fma_f64 v[213:214], -v[209:210], v[211:212], 1.0
	v_fma_f64 v[211:212], v[211:212], v[213:214], v[211:212]
	v_mul_f64 v[213:214], v[215:216], v[211:212]
	v_fma_f64 v[209:210], -v[209:210], v[213:214], v[215:216]
	v_div_fmas_f64 v[209:210], v[209:210], v[211:212], v[213:214]
	v_div_fixup_f64 v[209:210], v[209:210], v[194:195], v[196:197]
	v_fma_f64 v[194:195], v[196:197], v[209:210], v[194:195]
	v_div_scale_f64 v[196:197], null, v[194:195], v[194:195], 1.0
	v_rcp_f64_e32 v[211:212], v[196:197]
	v_fma_f64 v[213:214], -v[196:197], v[211:212], 1.0
	v_fma_f64 v[211:212], v[211:212], v[213:214], v[211:212]
	v_fma_f64 v[213:214], -v[196:197], v[211:212], 1.0
	v_fma_f64 v[211:212], v[211:212], v[213:214], v[211:212]
	v_div_scale_f64 v[213:214], vcc_lo, 1.0, v[194:195], 1.0
	v_mul_f64 v[215:216], v[213:214], v[211:212]
	v_fma_f64 v[196:197], -v[196:197], v[215:216], v[213:214]
	v_div_fmas_f64 v[196:197], v[196:197], v[211:212], v[215:216]
	v_div_fixup_f64 v[194:195], v[196:197], v[194:195], 1.0
	v_mul_f64 v[196:197], v[209:210], -v[194:195]
.LBB94_933:
	s_or_b32 exec_lo, exec_lo, s7
.LBB94_934:
	s_or_b32 exec_lo, exec_lo, s0
	s_mov_b32 s0, exec_lo
	v_cmpx_ne_u32_e64 v208, v202
	s_xor_b32 s0, exec_lo, s0
	s_cbranch_execz .LBB94_940
; %bb.935:
	s_mov_b32 s7, exec_lo
	v_cmpx_eq_u32_e32 44, v208
	s_cbranch_execz .LBB94_939
; %bb.936:
	v_cmp_ne_u32_e32 vcc_lo, 44, v202
	s_xor_b32 s8, s16, -1
	s_and_b32 s9, s8, vcc_lo
	s_and_saveexec_b32 s8, s9
	s_cbranch_execz .LBB94_938
; %bb.937:
	v_ashrrev_i32_e32 v203, 31, v202
	v_lshlrev_b64 v[208:209], 2, v[202:203]
	v_add_co_u32 v208, vcc_lo, v200, v208
	v_add_co_ci_u32_e64 v209, null, v201, v209, vcc_lo
	s_clause 0x1
	global_load_dword v0, v[208:209], off
	global_load_dword v203, v[200:201], off offset:176
	s_waitcnt vmcnt(1)
	global_store_dword v[200:201], v0, off offset:176
	s_waitcnt vmcnt(0)
	global_store_dword v[208:209], v203, off
.LBB94_938:
	s_or_b32 exec_lo, exec_lo, s8
	v_mov_b32_e32 v208, v202
	v_mov_b32_e32 v0, v202
.LBB94_939:
	s_or_b32 exec_lo, exec_lo, s7
.LBB94_940:
	s_andn2_saveexec_b32 s0, s0
	s_cbranch_execz .LBB94_942
; %bb.941:
	v_mov_b32_e32 v208, 44
	ds_write2_b64 v1, v[10:11], v[12:13] offset0:90 offset1:91
	ds_write2_b64 v1, v[6:7], v[8:9] offset0:92 offset1:93
	;; [unrolled: 1-line block ×3, first 2 shown]
.LBB94_942:
	s_or_b32 exec_lo, exec_lo, s0
	s_mov_b32 s0, exec_lo
	s_waitcnt lgkmcnt(0)
	s_waitcnt_vscnt null, 0x0
	s_barrier
	buffer_gl0_inv
	v_cmpx_lt_i32_e32 44, v208
	s_cbranch_execz .LBB94_944
; %bb.943:
	v_mul_f64 v[202:203], v[194:195], v[16:17]
	v_mul_f64 v[16:17], v[196:197], v[16:17]
	ds_read2_b64 v[209:212], v1 offset0:90 offset1:91
	ds_read2_b64 v[213:216], v1 offset0:92 offset1:93
	;; [unrolled: 1-line block ×3, first 2 shown]
	v_fma_f64 v[196:197], v[196:197], v[14:15], v[202:203]
	v_fma_f64 v[14:15], v[194:195], v[14:15], -v[16:17]
	s_waitcnt lgkmcnt(2)
	v_mul_f64 v[16:17], v[211:212], v[196:197]
	v_mul_f64 v[194:195], v[209:210], v[196:197]
	s_waitcnt lgkmcnt(1)
	v_mul_f64 v[202:203], v[215:216], v[196:197]
	v_mul_f64 v[221:222], v[213:214], v[196:197]
	;; [unrolled: 3-line block ×3, first 2 shown]
	v_fma_f64 v[16:17], v[209:210], v[14:15], -v[16:17]
	v_fma_f64 v[194:195], v[211:212], v[14:15], v[194:195]
	v_fma_f64 v[202:203], v[213:214], v[14:15], -v[202:203]
	v_fma_f64 v[209:210], v[215:216], v[14:15], v[221:222]
	;; [unrolled: 2-line block ×3, first 2 shown]
	v_add_f64 v[10:11], v[10:11], -v[16:17]
	v_add_f64 v[12:13], v[12:13], -v[194:195]
	v_add_f64 v[6:7], v[6:7], -v[202:203]
	v_add_f64 v[8:9], v[8:9], -v[209:210]
	v_add_f64 v[2:3], v[2:3], -v[211:212]
	v_add_f64 v[4:5], v[4:5], -v[213:214]
	v_mov_b32_e32 v16, v196
	v_mov_b32_e32 v17, v197
.LBB94_944:
	s_or_b32 exec_lo, exec_lo, s0
	v_lshl_add_u32 v194, v208, 4, v1
	s_barrier
	buffer_gl0_inv
	v_mov_b32_e32 v202, 45
	ds_write2_b64 v194, v[10:11], v[12:13] offset1:1
	s_waitcnt lgkmcnt(0)
	s_barrier
	buffer_gl0_inv
	ds_read2_b64 v[194:197], v1 offset0:90 offset1:91
	s_cmp_lt_i32 s1, 47
	s_cbranch_scc1 .LBB94_947
; %bb.945:
	v_add3_u32 v203, v204, 0, 0x2e0
	v_mov_b32_e32 v202, 45
	s_mov_b32 s7, 46
	s_inst_prefetch 0x1
	.p2align	6
.LBB94_946:                             ; =>This Inner Loop Header: Depth=1
	s_waitcnt lgkmcnt(0)
	v_cmp_gt_f64_e32 vcc_lo, 0, v[196:197]
	v_cmp_gt_f64_e64 s0, 0, v[194:195]
	ds_read2_b64 v[209:212], v203 offset1:1
	v_xor_b32_e32 v214, 0x80000000, v195
	v_xor_b32_e32 v216, 0x80000000, v197
	v_mov_b32_e32 v213, v194
	v_mov_b32_e32 v215, v196
	v_add_nc_u32_e32 v203, 16, v203
	s_waitcnt lgkmcnt(0)
	v_xor_b32_e32 v218, 0x80000000, v212
	v_cndmask_b32_e64 v214, v195, v214, s0
	v_cndmask_b32_e32 v216, v197, v216, vcc_lo
	v_cmp_gt_f64_e32 vcc_lo, 0, v[211:212]
	v_cmp_gt_f64_e64 s0, 0, v[209:210]
	v_mov_b32_e32 v217, v211
	v_add_f64 v[213:214], v[213:214], v[215:216]
	v_xor_b32_e32 v216, 0x80000000, v210
	v_mov_b32_e32 v215, v209
	v_cndmask_b32_e32 v218, v212, v218, vcc_lo
	v_cndmask_b32_e64 v216, v210, v216, s0
	v_add_f64 v[215:216], v[215:216], v[217:218]
	v_cmp_lt_f64_e32 vcc_lo, v[213:214], v[215:216]
	v_cndmask_b32_e32 v195, v195, v210, vcc_lo
	v_cndmask_b32_e32 v194, v194, v209, vcc_lo
	;; [unrolled: 1-line block ×4, first 2 shown]
	v_cndmask_b32_e64 v202, v202, s7, vcc_lo
	s_add_i32 s7, s7, 1
	s_cmp_lg_u32 s1, s7
	s_cbranch_scc1 .LBB94_946
.LBB94_947:
	s_inst_prefetch 0x2
	s_waitcnt lgkmcnt(0)
	v_cmp_eq_f64_e32 vcc_lo, 0, v[194:195]
	v_cmp_eq_f64_e64 s0, 0, v[196:197]
	s_and_b32 s0, vcc_lo, s0
	s_and_saveexec_b32 s7, s0
	s_xor_b32 s0, exec_lo, s7
; %bb.948:
	v_cmp_ne_u32_e32 vcc_lo, 0, v207
	v_cndmask_b32_e32 v207, 46, v207, vcc_lo
; %bb.949:
	s_andn2_saveexec_b32 s0, s0
	s_cbranch_execz .LBB94_955
; %bb.950:
	v_cmp_ngt_f64_e64 s7, |v[194:195]|, |v[196:197]|
	s_and_saveexec_b32 s8, s7
	s_xor_b32 s7, exec_lo, s8
	s_cbranch_execz .LBB94_952
; %bb.951:
	v_div_scale_f64 v[209:210], null, v[196:197], v[196:197], v[194:195]
	v_div_scale_f64 v[215:216], vcc_lo, v[194:195], v[196:197], v[194:195]
	v_rcp_f64_e32 v[211:212], v[209:210]
	v_fma_f64 v[213:214], -v[209:210], v[211:212], 1.0
	v_fma_f64 v[211:212], v[211:212], v[213:214], v[211:212]
	v_fma_f64 v[213:214], -v[209:210], v[211:212], 1.0
	v_fma_f64 v[211:212], v[211:212], v[213:214], v[211:212]
	v_mul_f64 v[213:214], v[215:216], v[211:212]
	v_fma_f64 v[209:210], -v[209:210], v[213:214], v[215:216]
	v_div_fmas_f64 v[209:210], v[209:210], v[211:212], v[213:214]
	v_div_fixup_f64 v[209:210], v[209:210], v[196:197], v[194:195]
	v_fma_f64 v[194:195], v[194:195], v[209:210], v[196:197]
	v_div_scale_f64 v[196:197], null, v[194:195], v[194:195], 1.0
	v_rcp_f64_e32 v[211:212], v[196:197]
	v_fma_f64 v[213:214], -v[196:197], v[211:212], 1.0
	v_fma_f64 v[211:212], v[211:212], v[213:214], v[211:212]
	v_fma_f64 v[213:214], -v[196:197], v[211:212], 1.0
	v_fma_f64 v[211:212], v[211:212], v[213:214], v[211:212]
	v_div_scale_f64 v[213:214], vcc_lo, 1.0, v[194:195], 1.0
	v_mul_f64 v[215:216], v[213:214], v[211:212]
	v_fma_f64 v[196:197], -v[196:197], v[215:216], v[213:214]
	v_div_fmas_f64 v[196:197], v[196:197], v[211:212], v[215:216]
	v_div_fixup_f64 v[196:197], v[196:197], v[194:195], 1.0
	v_mul_f64 v[194:195], v[209:210], v[196:197]
	v_xor_b32_e32 v197, 0x80000000, v197
.LBB94_952:
	s_andn2_saveexec_b32 s7, s7
	s_cbranch_execz .LBB94_954
; %bb.953:
	v_div_scale_f64 v[209:210], null, v[194:195], v[194:195], v[196:197]
	v_div_scale_f64 v[215:216], vcc_lo, v[196:197], v[194:195], v[196:197]
	v_rcp_f64_e32 v[211:212], v[209:210]
	v_fma_f64 v[213:214], -v[209:210], v[211:212], 1.0
	v_fma_f64 v[211:212], v[211:212], v[213:214], v[211:212]
	v_fma_f64 v[213:214], -v[209:210], v[211:212], 1.0
	v_fma_f64 v[211:212], v[211:212], v[213:214], v[211:212]
	v_mul_f64 v[213:214], v[215:216], v[211:212]
	v_fma_f64 v[209:210], -v[209:210], v[213:214], v[215:216]
	v_div_fmas_f64 v[209:210], v[209:210], v[211:212], v[213:214]
	v_div_fixup_f64 v[209:210], v[209:210], v[194:195], v[196:197]
	v_fma_f64 v[194:195], v[196:197], v[209:210], v[194:195]
	v_div_scale_f64 v[196:197], null, v[194:195], v[194:195], 1.0
	v_rcp_f64_e32 v[211:212], v[196:197]
	v_fma_f64 v[213:214], -v[196:197], v[211:212], 1.0
	v_fma_f64 v[211:212], v[211:212], v[213:214], v[211:212]
	v_fma_f64 v[213:214], -v[196:197], v[211:212], 1.0
	v_fma_f64 v[211:212], v[211:212], v[213:214], v[211:212]
	v_div_scale_f64 v[213:214], vcc_lo, 1.0, v[194:195], 1.0
	v_mul_f64 v[215:216], v[213:214], v[211:212]
	v_fma_f64 v[196:197], -v[196:197], v[215:216], v[213:214]
	v_div_fmas_f64 v[196:197], v[196:197], v[211:212], v[215:216]
	v_div_fixup_f64 v[194:195], v[196:197], v[194:195], 1.0
	v_mul_f64 v[196:197], v[209:210], -v[194:195]
.LBB94_954:
	s_or_b32 exec_lo, exec_lo, s7
.LBB94_955:
	s_or_b32 exec_lo, exec_lo, s0
	s_mov_b32 s0, exec_lo
	v_cmpx_ne_u32_e64 v208, v202
	s_xor_b32 s0, exec_lo, s0
	s_cbranch_execz .LBB94_961
; %bb.956:
	s_mov_b32 s7, exec_lo
	v_cmpx_eq_u32_e32 45, v208
	s_cbranch_execz .LBB94_960
; %bb.957:
	v_cmp_ne_u32_e32 vcc_lo, 45, v202
	s_xor_b32 s8, s16, -1
	s_and_b32 s9, s8, vcc_lo
	s_and_saveexec_b32 s8, s9
	s_cbranch_execz .LBB94_959
; %bb.958:
	v_ashrrev_i32_e32 v203, 31, v202
	v_lshlrev_b64 v[208:209], 2, v[202:203]
	v_add_co_u32 v208, vcc_lo, v200, v208
	v_add_co_ci_u32_e64 v209, null, v201, v209, vcc_lo
	s_clause 0x1
	global_load_dword v0, v[208:209], off
	global_load_dword v203, v[200:201], off offset:180
	s_waitcnt vmcnt(1)
	global_store_dword v[200:201], v0, off offset:180
	s_waitcnt vmcnt(0)
	global_store_dword v[208:209], v203, off
.LBB94_959:
	s_or_b32 exec_lo, exec_lo, s8
	v_mov_b32_e32 v208, v202
	v_mov_b32_e32 v0, v202
.LBB94_960:
	s_or_b32 exec_lo, exec_lo, s7
.LBB94_961:
	s_andn2_saveexec_b32 s0, s0
	s_cbranch_execz .LBB94_963
; %bb.962:
	v_mov_b32_e32 v208, 45
	ds_write2_b64 v1, v[6:7], v[8:9] offset0:92 offset1:93
	ds_write2_b64 v1, v[2:3], v[4:5] offset0:94 offset1:95
.LBB94_963:
	s_or_b32 exec_lo, exec_lo, s0
	s_mov_b32 s0, exec_lo
	s_waitcnt lgkmcnt(0)
	s_waitcnt_vscnt null, 0x0
	s_barrier
	buffer_gl0_inv
	v_cmpx_lt_i32_e32 45, v208
	s_cbranch_execz .LBB94_965
; %bb.964:
	v_mul_f64 v[202:203], v[194:195], v[12:13]
	v_mul_f64 v[12:13], v[196:197], v[12:13]
	ds_read2_b64 v[209:212], v1 offset0:92 offset1:93
	ds_read2_b64 v[213:216], v1 offset0:94 offset1:95
	v_fma_f64 v[196:197], v[196:197], v[10:11], v[202:203]
	v_fma_f64 v[10:11], v[194:195], v[10:11], -v[12:13]
	s_waitcnt lgkmcnt(1)
	v_mul_f64 v[12:13], v[211:212], v[196:197]
	v_mul_f64 v[194:195], v[209:210], v[196:197]
	s_waitcnt lgkmcnt(0)
	v_mul_f64 v[202:203], v[215:216], v[196:197]
	v_mul_f64 v[217:218], v[213:214], v[196:197]
	v_fma_f64 v[12:13], v[209:210], v[10:11], -v[12:13]
	v_fma_f64 v[194:195], v[211:212], v[10:11], v[194:195]
	v_fma_f64 v[202:203], v[213:214], v[10:11], -v[202:203]
	v_fma_f64 v[209:210], v[215:216], v[10:11], v[217:218]
	v_add_f64 v[6:7], v[6:7], -v[12:13]
	v_add_f64 v[8:9], v[8:9], -v[194:195]
	;; [unrolled: 1-line block ×4, first 2 shown]
	v_mov_b32_e32 v12, v196
	v_mov_b32_e32 v13, v197
.LBB94_965:
	s_or_b32 exec_lo, exec_lo, s0
	v_lshl_add_u32 v194, v208, 4, v1
	s_barrier
	buffer_gl0_inv
	v_mov_b32_e32 v202, 46
	ds_write2_b64 v194, v[6:7], v[8:9] offset1:1
	s_waitcnt lgkmcnt(0)
	s_barrier
	buffer_gl0_inv
	ds_read2_b64 v[194:197], v1 offset0:92 offset1:93
	s_cmp_lt_i32 s1, 48
	s_cbranch_scc1 .LBB94_968
; %bb.966:
	v_add3_u32 v203, v204, 0, 0x2f0
	v_mov_b32_e32 v202, 46
	s_mov_b32 s7, 47
	s_inst_prefetch 0x1
	.p2align	6
.LBB94_967:                             ; =>This Inner Loop Header: Depth=1
	s_waitcnt lgkmcnt(0)
	v_cmp_gt_f64_e32 vcc_lo, 0, v[196:197]
	v_cmp_gt_f64_e64 s0, 0, v[194:195]
	ds_read2_b64 v[209:212], v203 offset1:1
	v_xor_b32_e32 v214, 0x80000000, v195
	v_xor_b32_e32 v216, 0x80000000, v197
	v_mov_b32_e32 v213, v194
	v_mov_b32_e32 v215, v196
	v_add_nc_u32_e32 v203, 16, v203
	s_waitcnt lgkmcnt(0)
	v_xor_b32_e32 v218, 0x80000000, v212
	v_cndmask_b32_e64 v214, v195, v214, s0
	v_cndmask_b32_e32 v216, v197, v216, vcc_lo
	v_cmp_gt_f64_e32 vcc_lo, 0, v[211:212]
	v_cmp_gt_f64_e64 s0, 0, v[209:210]
	v_mov_b32_e32 v217, v211
	v_add_f64 v[213:214], v[213:214], v[215:216]
	v_xor_b32_e32 v216, 0x80000000, v210
	v_mov_b32_e32 v215, v209
	v_cndmask_b32_e32 v218, v212, v218, vcc_lo
	v_cndmask_b32_e64 v216, v210, v216, s0
	v_add_f64 v[215:216], v[215:216], v[217:218]
	v_cmp_lt_f64_e32 vcc_lo, v[213:214], v[215:216]
	v_cndmask_b32_e32 v195, v195, v210, vcc_lo
	v_cndmask_b32_e32 v194, v194, v209, vcc_lo
	;; [unrolled: 1-line block ×4, first 2 shown]
	v_cndmask_b32_e64 v202, v202, s7, vcc_lo
	s_add_i32 s7, s7, 1
	s_cmp_lg_u32 s1, s7
	s_cbranch_scc1 .LBB94_967
.LBB94_968:
	s_inst_prefetch 0x2
	s_waitcnt lgkmcnt(0)
	v_cmp_eq_f64_e32 vcc_lo, 0, v[194:195]
	v_cmp_eq_f64_e64 s0, 0, v[196:197]
	s_and_b32 s0, vcc_lo, s0
	s_and_saveexec_b32 s7, s0
	s_xor_b32 s0, exec_lo, s7
; %bb.969:
	v_cmp_ne_u32_e32 vcc_lo, 0, v207
	v_cndmask_b32_e32 v207, 47, v207, vcc_lo
; %bb.970:
	s_andn2_saveexec_b32 s0, s0
	s_cbranch_execz .LBB94_976
; %bb.971:
	v_cmp_ngt_f64_e64 s7, |v[194:195]|, |v[196:197]|
	s_and_saveexec_b32 s8, s7
	s_xor_b32 s7, exec_lo, s8
	s_cbranch_execz .LBB94_973
; %bb.972:
	v_div_scale_f64 v[209:210], null, v[196:197], v[196:197], v[194:195]
	v_div_scale_f64 v[215:216], vcc_lo, v[194:195], v[196:197], v[194:195]
	v_rcp_f64_e32 v[211:212], v[209:210]
	v_fma_f64 v[213:214], -v[209:210], v[211:212], 1.0
	v_fma_f64 v[211:212], v[211:212], v[213:214], v[211:212]
	v_fma_f64 v[213:214], -v[209:210], v[211:212], 1.0
	v_fma_f64 v[211:212], v[211:212], v[213:214], v[211:212]
	v_mul_f64 v[213:214], v[215:216], v[211:212]
	v_fma_f64 v[209:210], -v[209:210], v[213:214], v[215:216]
	v_div_fmas_f64 v[209:210], v[209:210], v[211:212], v[213:214]
	v_div_fixup_f64 v[209:210], v[209:210], v[196:197], v[194:195]
	v_fma_f64 v[194:195], v[194:195], v[209:210], v[196:197]
	v_div_scale_f64 v[196:197], null, v[194:195], v[194:195], 1.0
	v_rcp_f64_e32 v[211:212], v[196:197]
	v_fma_f64 v[213:214], -v[196:197], v[211:212], 1.0
	v_fma_f64 v[211:212], v[211:212], v[213:214], v[211:212]
	v_fma_f64 v[213:214], -v[196:197], v[211:212], 1.0
	v_fma_f64 v[211:212], v[211:212], v[213:214], v[211:212]
	v_div_scale_f64 v[213:214], vcc_lo, 1.0, v[194:195], 1.0
	v_mul_f64 v[215:216], v[213:214], v[211:212]
	v_fma_f64 v[196:197], -v[196:197], v[215:216], v[213:214]
	v_div_fmas_f64 v[196:197], v[196:197], v[211:212], v[215:216]
	v_div_fixup_f64 v[196:197], v[196:197], v[194:195], 1.0
	v_mul_f64 v[194:195], v[209:210], v[196:197]
	v_xor_b32_e32 v197, 0x80000000, v197
.LBB94_973:
	s_andn2_saveexec_b32 s7, s7
	s_cbranch_execz .LBB94_975
; %bb.974:
	v_div_scale_f64 v[209:210], null, v[194:195], v[194:195], v[196:197]
	v_div_scale_f64 v[215:216], vcc_lo, v[196:197], v[194:195], v[196:197]
	v_rcp_f64_e32 v[211:212], v[209:210]
	v_fma_f64 v[213:214], -v[209:210], v[211:212], 1.0
	v_fma_f64 v[211:212], v[211:212], v[213:214], v[211:212]
	v_fma_f64 v[213:214], -v[209:210], v[211:212], 1.0
	v_fma_f64 v[211:212], v[211:212], v[213:214], v[211:212]
	v_mul_f64 v[213:214], v[215:216], v[211:212]
	v_fma_f64 v[209:210], -v[209:210], v[213:214], v[215:216]
	v_div_fmas_f64 v[209:210], v[209:210], v[211:212], v[213:214]
	v_div_fixup_f64 v[209:210], v[209:210], v[194:195], v[196:197]
	v_fma_f64 v[194:195], v[196:197], v[209:210], v[194:195]
	v_div_scale_f64 v[196:197], null, v[194:195], v[194:195], 1.0
	v_rcp_f64_e32 v[211:212], v[196:197]
	v_fma_f64 v[213:214], -v[196:197], v[211:212], 1.0
	v_fma_f64 v[211:212], v[211:212], v[213:214], v[211:212]
	v_fma_f64 v[213:214], -v[196:197], v[211:212], 1.0
	v_fma_f64 v[211:212], v[211:212], v[213:214], v[211:212]
	v_div_scale_f64 v[213:214], vcc_lo, 1.0, v[194:195], 1.0
	v_mul_f64 v[215:216], v[213:214], v[211:212]
	v_fma_f64 v[196:197], -v[196:197], v[215:216], v[213:214]
	v_div_fmas_f64 v[196:197], v[196:197], v[211:212], v[215:216]
	v_div_fixup_f64 v[194:195], v[196:197], v[194:195], 1.0
	v_mul_f64 v[196:197], v[209:210], -v[194:195]
.LBB94_975:
	s_or_b32 exec_lo, exec_lo, s7
.LBB94_976:
	s_or_b32 exec_lo, exec_lo, s0
	s_mov_b32 s0, exec_lo
	v_cmpx_ne_u32_e64 v208, v202
	s_xor_b32 s0, exec_lo, s0
	s_cbranch_execz .LBB94_982
; %bb.977:
	s_mov_b32 s7, exec_lo
	v_cmpx_eq_u32_e32 46, v208
	s_cbranch_execz .LBB94_981
; %bb.978:
	v_cmp_ne_u32_e32 vcc_lo, 46, v202
	s_xor_b32 s8, s16, -1
	s_and_b32 s9, s8, vcc_lo
	s_and_saveexec_b32 s8, s9
	s_cbranch_execz .LBB94_980
; %bb.979:
	v_ashrrev_i32_e32 v203, 31, v202
	v_lshlrev_b64 v[208:209], 2, v[202:203]
	v_add_co_u32 v208, vcc_lo, v200, v208
	v_add_co_ci_u32_e64 v209, null, v201, v209, vcc_lo
	s_clause 0x1
	global_load_dword v0, v[208:209], off
	global_load_dword v203, v[200:201], off offset:184
	s_waitcnt vmcnt(1)
	global_store_dword v[200:201], v0, off offset:184
	s_waitcnt vmcnt(0)
	global_store_dword v[208:209], v203, off
.LBB94_980:
	s_or_b32 exec_lo, exec_lo, s8
	v_mov_b32_e32 v208, v202
	v_mov_b32_e32 v0, v202
.LBB94_981:
	s_or_b32 exec_lo, exec_lo, s7
.LBB94_982:
	s_andn2_saveexec_b32 s0, s0
; %bb.983:
	v_mov_b32_e32 v208, 46
	ds_write2_b64 v1, v[2:3], v[4:5] offset0:94 offset1:95
; %bb.984:
	s_or_b32 exec_lo, exec_lo, s0
	s_mov_b32 s0, exec_lo
	s_waitcnt lgkmcnt(0)
	s_waitcnt_vscnt null, 0x0
	s_barrier
	buffer_gl0_inv
	v_cmpx_lt_i32_e32 46, v208
	s_cbranch_execz .LBB94_986
; %bb.985:
	v_mul_f64 v[202:203], v[194:195], v[8:9]
	v_mul_f64 v[8:9], v[196:197], v[8:9]
	ds_read2_b64 v[209:212], v1 offset0:94 offset1:95
	v_fma_f64 v[196:197], v[196:197], v[6:7], v[202:203]
	v_fma_f64 v[6:7], v[194:195], v[6:7], -v[8:9]
	s_waitcnt lgkmcnt(0)
	v_mul_f64 v[8:9], v[211:212], v[196:197]
	v_mul_f64 v[194:195], v[209:210], v[196:197]
	v_fma_f64 v[8:9], v[209:210], v[6:7], -v[8:9]
	v_fma_f64 v[194:195], v[211:212], v[6:7], v[194:195]
	v_add_f64 v[2:3], v[2:3], -v[8:9]
	v_add_f64 v[4:5], v[4:5], -v[194:195]
	v_mov_b32_e32 v8, v196
	v_mov_b32_e32 v9, v197
.LBB94_986:
	s_or_b32 exec_lo, exec_lo, s0
	v_lshl_add_u32 v194, v208, 4, v1
	s_barrier
	buffer_gl0_inv
	v_mov_b32_e32 v202, 47
	ds_write2_b64 v194, v[2:3], v[4:5] offset1:1
	s_waitcnt lgkmcnt(0)
	s_barrier
	buffer_gl0_inv
	ds_read2_b64 v[194:197], v1 offset0:94 offset1:95
	s_cmp_lt_i32 s1, 49
	s_cbranch_scc1 .LBB94_989
; %bb.987:
	v_add3_u32 v1, v204, 0, 0x300
	v_mov_b32_e32 v202, 47
	s_mov_b32 s7, 48
	s_inst_prefetch 0x1
	.p2align	6
.LBB94_988:                             ; =>This Inner Loop Header: Depth=1
	s_waitcnt lgkmcnt(0)
	v_cmp_gt_f64_e32 vcc_lo, 0, v[196:197]
	v_cmp_gt_f64_e64 s0, 0, v[194:195]
	ds_read2_b64 v[209:212], v1 offset1:1
	v_xor_b32_e32 v204, 0x80000000, v195
	v_xor_b32_e32 v214, 0x80000000, v197
	v_mov_b32_e32 v203, v194
	v_mov_b32_e32 v213, v196
	v_add_nc_u32_e32 v1, 16, v1
	s_waitcnt lgkmcnt(0)
	v_xor_b32_e32 v216, 0x80000000, v212
	v_cndmask_b32_e64 v204, v195, v204, s0
	v_cndmask_b32_e32 v214, v197, v214, vcc_lo
	v_cmp_gt_f64_e32 vcc_lo, 0, v[211:212]
	v_cmp_gt_f64_e64 s0, 0, v[209:210]
	v_mov_b32_e32 v215, v211
	v_add_f64 v[203:204], v[203:204], v[213:214]
	v_xor_b32_e32 v214, 0x80000000, v210
	v_mov_b32_e32 v213, v209
	v_cndmask_b32_e32 v216, v212, v216, vcc_lo
	v_cndmask_b32_e64 v214, v210, v214, s0
	v_add_f64 v[213:214], v[213:214], v[215:216]
	v_cmp_lt_f64_e32 vcc_lo, v[203:204], v[213:214]
	v_cndmask_b32_e32 v195, v195, v210, vcc_lo
	v_cndmask_b32_e32 v194, v194, v209, vcc_lo
	v_cndmask_b32_e32 v197, v197, v212, vcc_lo
	v_cndmask_b32_e32 v196, v196, v211, vcc_lo
	v_cndmask_b32_e64 v202, v202, s7, vcc_lo
	s_add_i32 s7, s7, 1
	s_cmp_lg_u32 s1, s7
	s_cbranch_scc1 .LBB94_988
.LBB94_989:
	s_inst_prefetch 0x2
	s_waitcnt lgkmcnt(0)
	v_cmp_eq_f64_e32 vcc_lo, 0, v[194:195]
	v_cmp_eq_f64_e64 s0, 0, v[196:197]
	s_and_b32 s0, vcc_lo, s0
	s_and_saveexec_b32 s1, s0
	s_xor_b32 s0, exec_lo, s1
; %bb.990:
	v_cmp_ne_u32_e32 vcc_lo, 0, v207
	v_cndmask_b32_e32 v207, 48, v207, vcc_lo
; %bb.991:
	s_andn2_saveexec_b32 s0, s0
	s_cbranch_execz .LBB94_997
; %bb.992:
	v_cmp_ngt_f64_e64 s1, |v[194:195]|, |v[196:197]|
	s_and_saveexec_b32 s7, s1
	s_xor_b32 s1, exec_lo, s7
	s_cbranch_execz .LBB94_994
; %bb.993:
	v_div_scale_f64 v[203:204], null, v[196:197], v[196:197], v[194:195]
	v_div_scale_f64 v[213:214], vcc_lo, v[194:195], v[196:197], v[194:195]
	v_rcp_f64_e32 v[209:210], v[203:204]
	v_fma_f64 v[211:212], -v[203:204], v[209:210], 1.0
	v_fma_f64 v[209:210], v[209:210], v[211:212], v[209:210]
	v_fma_f64 v[211:212], -v[203:204], v[209:210], 1.0
	v_fma_f64 v[209:210], v[209:210], v[211:212], v[209:210]
	v_mul_f64 v[211:212], v[213:214], v[209:210]
	v_fma_f64 v[203:204], -v[203:204], v[211:212], v[213:214]
	v_div_fmas_f64 v[203:204], v[203:204], v[209:210], v[211:212]
	v_div_fixup_f64 v[203:204], v[203:204], v[196:197], v[194:195]
	v_fma_f64 v[194:195], v[194:195], v[203:204], v[196:197]
	v_div_scale_f64 v[196:197], null, v[194:195], v[194:195], 1.0
	v_rcp_f64_e32 v[209:210], v[196:197]
	v_fma_f64 v[211:212], -v[196:197], v[209:210], 1.0
	v_fma_f64 v[209:210], v[209:210], v[211:212], v[209:210]
	v_fma_f64 v[211:212], -v[196:197], v[209:210], 1.0
	v_fma_f64 v[209:210], v[209:210], v[211:212], v[209:210]
	v_div_scale_f64 v[211:212], vcc_lo, 1.0, v[194:195], 1.0
	v_mul_f64 v[213:214], v[211:212], v[209:210]
	v_fma_f64 v[196:197], -v[196:197], v[213:214], v[211:212]
	v_div_fmas_f64 v[196:197], v[196:197], v[209:210], v[213:214]
	v_div_fixup_f64 v[196:197], v[196:197], v[194:195], 1.0
	v_mul_f64 v[194:195], v[203:204], v[196:197]
	v_xor_b32_e32 v197, 0x80000000, v197
.LBB94_994:
	s_andn2_saveexec_b32 s1, s1
	s_cbranch_execz .LBB94_996
; %bb.995:
	v_div_scale_f64 v[203:204], null, v[194:195], v[194:195], v[196:197]
	v_div_scale_f64 v[213:214], vcc_lo, v[196:197], v[194:195], v[196:197]
	v_rcp_f64_e32 v[209:210], v[203:204]
	v_fma_f64 v[211:212], -v[203:204], v[209:210], 1.0
	v_fma_f64 v[209:210], v[209:210], v[211:212], v[209:210]
	v_fma_f64 v[211:212], -v[203:204], v[209:210], 1.0
	v_fma_f64 v[209:210], v[209:210], v[211:212], v[209:210]
	v_mul_f64 v[211:212], v[213:214], v[209:210]
	v_fma_f64 v[203:204], -v[203:204], v[211:212], v[213:214]
	v_div_fmas_f64 v[203:204], v[203:204], v[209:210], v[211:212]
	v_div_fixup_f64 v[203:204], v[203:204], v[194:195], v[196:197]
	v_fma_f64 v[194:195], v[196:197], v[203:204], v[194:195]
	v_div_scale_f64 v[196:197], null, v[194:195], v[194:195], 1.0
	v_rcp_f64_e32 v[209:210], v[196:197]
	v_fma_f64 v[211:212], -v[196:197], v[209:210], 1.0
	v_fma_f64 v[209:210], v[209:210], v[211:212], v[209:210]
	v_fma_f64 v[211:212], -v[196:197], v[209:210], 1.0
	v_fma_f64 v[209:210], v[209:210], v[211:212], v[209:210]
	v_div_scale_f64 v[211:212], vcc_lo, 1.0, v[194:195], 1.0
	v_mul_f64 v[213:214], v[211:212], v[209:210]
	v_fma_f64 v[196:197], -v[196:197], v[213:214], v[211:212]
	v_div_fmas_f64 v[196:197], v[196:197], v[209:210], v[213:214]
	v_div_fixup_f64 v[194:195], v[196:197], v[194:195], 1.0
	v_mul_f64 v[196:197], v[203:204], -v[194:195]
.LBB94_996:
	s_or_b32 exec_lo, exec_lo, s1
.LBB94_997:
	s_or_b32 exec_lo, exec_lo, s0
	v_mov_b32_e32 v203, 47
	s_mov_b32 s0, exec_lo
	v_cmpx_ne_u32_e64 v208, v202
	s_cbranch_execz .LBB94_1003
; %bb.998:
	s_mov_b32 s1, exec_lo
	v_cmpx_eq_u32_e32 47, v208
	s_cbranch_execz .LBB94_1002
; %bb.999:
	v_cmp_ne_u32_e32 vcc_lo, 47, v202
	s_xor_b32 s7, s16, -1
	s_and_b32 s8, s7, vcc_lo
	s_and_saveexec_b32 s7, s8
	s_cbranch_execz .LBB94_1001
; %bb.1000:
	v_ashrrev_i32_e32 v203, 31, v202
	v_lshlrev_b64 v[0:1], 2, v[202:203]
	v_add_co_u32 v0, vcc_lo, v200, v0
	v_add_co_ci_u32_e64 v1, null, v201, v1, vcc_lo
	s_clause 0x1
	global_load_dword v203, v[0:1], off
	global_load_dword v204, v[200:201], off offset:188
	s_waitcnt vmcnt(1)
	global_store_dword v[200:201], v203, off offset:188
	s_waitcnt vmcnt(0)
	global_store_dword v[0:1], v204, off
.LBB94_1001:
	s_or_b32 exec_lo, exec_lo, s7
	v_mov_b32_e32 v208, v202
	v_mov_b32_e32 v0, v202
.LBB94_1002:
	s_or_b32 exec_lo, exec_lo, s1
	v_mov_b32_e32 v203, v208
.LBB94_1003:
	s_or_b32 exec_lo, exec_lo, s0
	s_mov_b32 s0, exec_lo
	s_waitcnt_vscnt null, 0x0
	s_barrier
	buffer_gl0_inv
	v_cmpx_lt_i32_e32 47, v203
	s_cbranch_execz .LBB94_1005
; %bb.1004:
	v_mul_f64 v[200:201], v[196:197], v[4:5]
	v_mul_f64 v[4:5], v[194:195], v[4:5]
	v_fma_f64 v[194:195], v[194:195], v[2:3], -v[200:201]
	v_fma_f64 v[4:5], v[196:197], v[2:3], v[4:5]
	v_mov_b32_e32 v2, v194
	v_mov_b32_e32 v3, v195
.LBB94_1005:
	s_or_b32 exec_lo, exec_lo, s0
	v_ashrrev_i32_e32 v204, 31, v203
	s_mov_b32 s0, exec_lo
	s_barrier
	buffer_gl0_inv
	v_cmpx_gt_i32_e32 48, v203
	s_cbranch_execz .LBB94_1007
; %bb.1006:
	v_mul_lo_u32 v1, s15, v198
	v_mul_lo_u32 v196, s14, v199
	v_mad_u64_u32 v[194:195], null, s14, v198, 0
	s_lshl_b64 s[8:9], s[12:13], 2
	v_add3_u32 v0, v0, s17, 1
	v_add3_u32 v195, v195, v196, v1
	v_lshlrev_b64 v[194:195], 2, v[194:195]
	v_add_co_u32 v1, vcc_lo, s10, v194
	v_add_co_ci_u32_e64 v196, null, s11, v195, vcc_lo
	v_lshlrev_b64 v[194:195], 2, v[203:204]
	v_add_co_u32 v1, vcc_lo, v1, s8
	v_add_co_ci_u32_e64 v196, null, s9, v196, vcc_lo
	v_add_co_u32 v194, vcc_lo, v1, v194
	v_add_co_ci_u32_e64 v195, null, v196, v195, vcc_lo
	global_store_dword v[194:195], v0, off
.LBB94_1007:
	s_or_b32 exec_lo, exec_lo, s0
	s_mov_b32 s1, exec_lo
	v_cmpx_eq_u32_e32 0, v203
	s_cbranch_execz .LBB94_1010
; %bb.1008:
	v_lshlrev_b64 v[0:1], 2, v[198:199]
	v_cmp_ne_u32_e64 s0, 0, v207
	v_add_co_u32 v0, vcc_lo, s4, v0
	v_add_co_ci_u32_e64 v1, null, s5, v1, vcc_lo
	global_load_dword v194, v[0:1], off
	s_waitcnt vmcnt(0)
	v_cmp_eq_u32_e32 vcc_lo, 0, v194
	s_and_b32 s0, vcc_lo, s0
	s_and_b32 exec_lo, exec_lo, s0
	s_cbranch_execz .LBB94_1010
; %bb.1009:
	v_add_nc_u32_e32 v194, s17, v207
	global_store_dword v[0:1], v194, off
.LBB94_1010:
	s_or_b32 exec_lo, exec_lo, s1
	v_lshlrev_b64 v[194:195], 4, v[203:204]
	v_add3_u32 v0, s6, s6, v203
	v_ashrrev_i32_e32 v1, 31, v0
	v_add_co_u32 v194, vcc_lo, v205, v194
	v_add_co_ci_u32_e64 v195, null, v206, v195, vcc_lo
	v_add_nc_u32_e32 v196, s6, v0
	v_lshlrev_b64 v[0:1], 4, v[0:1]
	global_store_dwordx4 v[194:195], v[190:193], off
	v_add_co_u32 v190, vcc_lo, v194, s2
	v_add_nc_u32_e32 v192, s6, v196
	v_ashrrev_i32_e32 v197, 31, v196
	v_add_co_ci_u32_e64 v191, null, s3, v195, vcc_lo
	v_add_co_u32 v0, vcc_lo, v205, v0
	v_add_nc_u32_e32 v194, s6, v192
	v_add_co_ci_u32_e64 v1, null, v206, v1, vcc_lo
	v_ashrrev_i32_e32 v193, 31, v192
	v_lshlrev_b64 v[196:197], 4, v[196:197]
	v_ashrrev_i32_e32 v195, 31, v194
	global_store_dwordx4 v[190:191], v[186:189], off
	global_store_dwordx4 v[0:1], v[182:185], off
	v_add_nc_u32_e32 v186, s6, v194
	v_lshlrev_b64 v[0:1], 4, v[192:193]
	v_add_co_u32 v182, vcc_lo, v205, v196
	v_lshlrev_b64 v[184:185], 4, v[194:195]
	v_add_co_ci_u32_e64 v183, null, v206, v197, vcc_lo
	v_add_nc_u32_e32 v188, s6, v186
	v_add_co_u32 v0, vcc_lo, v205, v0
	v_add_co_ci_u32_e64 v1, null, v206, v1, vcc_lo
	v_ashrrev_i32_e32 v187, 31, v186
	v_add_co_u32 v184, vcc_lo, v205, v184
	global_store_dwordx4 v[182:183], v[170:173], off
	v_add_nc_u32_e32 v172, s6, v188
	v_add_co_ci_u32_e64 v185, null, v206, v185, vcc_lo
	v_ashrrev_i32_e32 v189, 31, v188
	v_lshlrev_b64 v[170:171], 4, v[186:187]
	global_store_dwordx4 v[0:1], v[178:181], off
	global_store_dwordx4 v[184:185], v[174:177], off
	v_add_nc_u32_e32 v174, s6, v172
	v_ashrrev_i32_e32 v173, 31, v172
	v_lshlrev_b64 v[0:1], 4, v[188:189]
	v_add_co_u32 v170, vcc_lo, v205, v170
	v_add_nc_u32_e32 v176, s6, v174
	v_add_co_ci_u32_e64 v171, null, v206, v171, vcc_lo
	v_add_co_u32 v0, vcc_lo, v205, v0
	v_ashrrev_i32_e32 v175, 31, v174
	v_add_co_ci_u32_e64 v1, null, v206, v1, vcc_lo
	v_ashrrev_i32_e32 v177, 31, v176
	v_lshlrev_b64 v[172:173], 4, v[172:173]
	global_store_dwordx4 v[170:171], v[166:169], off
	global_store_dwordx4 v[0:1], v[162:165], off
	v_lshlrev_b64 v[0:1], 4, v[174:175]
	v_add_nc_u32_e32 v166, s6, v176
	v_lshlrev_b64 v[164:165], 4, v[176:177]
	v_add_co_u32 v162, vcc_lo, v205, v172
	v_add_co_ci_u32_e64 v163, null, v206, v173, vcc_lo
	v_add_co_u32 v0, vcc_lo, v205, v0
	v_add_co_ci_u32_e64 v1, null, v206, v1, vcc_lo
	v_ashrrev_i32_e32 v167, 31, v166
	v_add_co_u32 v164, vcc_lo, v205, v164
	v_add_nc_u32_e32 v168, s6, v166
	v_add_co_ci_u32_e64 v165, null, v206, v165, vcc_lo
	global_store_dwordx4 v[162:163], v[142:145], off
	v_lshlrev_b64 v[142:143], 4, v[166:167]
	v_ashrrev_i32_e32 v169, 31, v168
	global_store_dwordx4 v[0:1], v[138:141], off
	global_store_dwordx4 v[164:165], v[146:149], off
	v_add_nc_u32_e32 v138, s6, v168
	v_lshlrev_b64 v[0:1], 4, v[168:169]
	v_add_co_u32 v140, vcc_lo, v205, v142
	v_add_nc_u32_e32 v142, s6, v138
	v_ashrrev_i32_e32 v139, 31, v138
	v_add_co_ci_u32_e64 v141, null, v206, v143, vcc_lo
	v_add_co_u32 v0, vcc_lo, v205, v0
	v_add_nc_u32_e32 v144, s6, v142
	v_add_co_ci_u32_e64 v1, null, v206, v1, vcc_lo
	v_ashrrev_i32_e32 v143, 31, v142
	v_lshlrev_b64 v[138:139], 4, v[138:139]
	v_ashrrev_i32_e32 v145, 31, v144
	global_store_dwordx4 v[140:141], v[122:125], off
	global_store_dwordx4 v[0:1], v[134:137], off
	v_add_nc_u32_e32 v134, s6, v144
	v_lshlrev_b64 v[0:1], 4, v[142:143]
	v_add_co_u32 v122, vcc_lo, v205, v138
	v_lshlrev_b64 v[124:125], 4, v[144:145]
	v_add_co_ci_u32_e64 v123, null, v206, v139, vcc_lo
	v_add_nc_u32_e32 v136, s6, v134
	v_add_co_u32 v0, vcc_lo, v205, v0
	v_add_co_ci_u32_e64 v1, null, v206, v1, vcc_lo
	v_ashrrev_i32_e32 v135, 31, v134
	v_add_co_u32 v124, vcc_lo, v205, v124
	global_store_dwordx4 v[122:123], v[110:113], off
	v_add_nc_u32_e32 v112, s6, v136
	v_add_co_ci_u32_e64 v125, null, v206, v125, vcc_lo
	v_ashrrev_i32_e32 v137, 31, v136
	v_lshlrev_b64 v[110:111], 4, v[134:135]
	global_store_dwordx4 v[0:1], v[118:121], off
	global_store_dwordx4 v[124:125], v[114:117], off
	v_add_nc_u32_e32 v114, s6, v112
	v_ashrrev_i32_e32 v113, 31, v112
	v_lshlrev_b64 v[0:1], 4, v[136:137]
	v_add_co_u32 v110, vcc_lo, v205, v110
	v_add_nc_u32_e32 v116, s6, v114
	v_add_co_ci_u32_e64 v111, null, v206, v111, vcc_lo
	v_add_co_u32 v0, vcc_lo, v205, v0
	v_ashrrev_i32_e32 v115, 31, v114
	v_add_co_ci_u32_e64 v1, null, v206, v1, vcc_lo
	v_ashrrev_i32_e32 v117, 31, v116
	v_lshlrev_b64 v[112:113], 4, v[112:113]
	global_store_dwordx4 v[110:111], v[94:97], off
	global_store_dwordx4 v[0:1], v[90:93], off
	v_lshlrev_b64 v[0:1], 4, v[114:115]
	v_add_nc_u32_e32 v94, s6, v116
	v_lshlrev_b64 v[92:93], 4, v[116:117]
	v_add_co_u32 v90, vcc_lo, v205, v112
	v_add_co_ci_u32_e64 v91, null, v206, v113, vcc_lo
	v_add_co_u32 v0, vcc_lo, v205, v0
	v_add_co_ci_u32_e64 v1, null, v206, v1, vcc_lo
	v_add_co_u32 v92, vcc_lo, v205, v92
	v_add_nc_u32_e32 v96, s6, v94
	v_add_co_ci_u32_e64 v93, null, v206, v93, vcc_lo
	v_ashrrev_i32_e32 v95, 31, v94
	global_store_dwordx4 v[90:91], v[158:161], off
	global_store_dwordx4 v[0:1], v[154:157], off
	;; [unrolled: 1-line block ×3, first 2 shown]
	v_add_nc_u32_e32 v92, s6, v96
	v_ashrrev_i32_e32 v97, 31, v96
	v_lshlrev_b64 v[90:91], 4, v[94:95]
	v_add_nc_u32_e32 v94, s6, v92
	v_lshlrev_b64 v[0:1], 4, v[96:97]
	v_ashrrev_i32_e32 v93, 31, v92
	v_add_co_u32 v90, vcc_lo, v205, v90
	v_add_nc_u32_e32 v96, s6, v94
	v_add_co_ci_u32_e64 v91, null, v206, v91, vcc_lo
	v_add_co_u32 v0, vcc_lo, v205, v0
	v_lshlrev_b64 v[92:93], 4, v[92:93]
	v_ashrrev_i32_e32 v95, 31, v94
	v_add_co_ci_u32_e64 v1, null, v206, v1, vcc_lo
	v_ashrrev_i32_e32 v97, 31, v96
	global_store_dwordx4 v[90:91], v[130:133], off
	global_store_dwordx4 v[0:1], v[126:129], off
	v_lshlrev_b64 v[0:1], 4, v[94:95]
	v_add_co_u32 v90, vcc_lo, v205, v92
	v_add_co_ci_u32_e64 v91, null, v206, v93, vcc_lo
	v_lshlrev_b64 v[92:93], 4, v[96:97]
	v_add_nc_u32_e32 v94, s6, v96
	v_add_co_u32 v0, vcc_lo, v205, v0
	v_add_co_ci_u32_e64 v1, null, v206, v1, vcc_lo
	v_add_co_u32 v92, vcc_lo, v205, v92
	v_add_nc_u32_e32 v96, s6, v94
	v_add_co_ci_u32_e64 v93, null, v206, v93, vcc_lo
	v_ashrrev_i32_e32 v95, 31, v94
	global_store_dwordx4 v[90:91], v[106:109], off
	global_store_dwordx4 v[0:1], v[102:105], off
	global_store_dwordx4 v[92:93], v[98:101], off
	v_add_nc_u32_e32 v92, s6, v96
	v_ashrrev_i32_e32 v97, 31, v96
	v_lshlrev_b64 v[90:91], 4, v[94:95]
	v_add_nc_u32_e32 v94, s6, v92
	v_lshlrev_b64 v[0:1], 4, v[96:97]
	v_ashrrev_i32_e32 v93, 31, v92
	v_add_co_u32 v90, vcc_lo, v205, v90
	v_add_nc_u32_e32 v96, s6, v94
	v_add_co_ci_u32_e64 v91, null, v206, v91, vcc_lo
	v_add_co_u32 v0, vcc_lo, v205, v0
	v_ashrrev_i32_e32 v95, 31, v94
	v_add_co_ci_u32_e64 v1, null, v206, v1, vcc_lo
	v_ashrrev_i32_e32 v97, 31, v96
	v_lshlrev_b64 v[92:93], 4, v[92:93]
	global_store_dwordx4 v[90:91], v[86:89], off
	global_store_dwordx4 v[0:1], v[82:85], off
	v_lshlrev_b64 v[0:1], 4, v[94:95]
	v_add_nc_u32_e32 v86, s6, v96
	v_lshlrev_b64 v[84:85], 4, v[96:97]
	v_add_co_u32 v82, vcc_lo, v205, v92
	v_add_co_ci_u32_e64 v83, null, v206, v93, vcc_lo
	v_add_co_u32 v0, vcc_lo, v205, v0
	v_add_co_ci_u32_e64 v1, null, v206, v1, vcc_lo
	v_add_co_u32 v84, vcc_lo, v205, v84
	v_add_nc_u32_e32 v88, s6, v86
	v_add_co_ci_u32_e64 v85, null, v206, v85, vcc_lo
	v_ashrrev_i32_e32 v87, 31, v86
	global_store_dwordx4 v[82:83], v[78:81], off
	global_store_dwordx4 v[0:1], v[74:77], off
	global_store_dwordx4 v[84:85], v[70:73], off
	v_add_nc_u32_e32 v70, s6, v88
	v_ashrrev_i32_e32 v89, 31, v88
	v_lshlrev_b64 v[78:79], 4, v[86:87]
	v_add_nc_u32_e32 v74, s6, v70
	v_lshlrev_b64 v[0:1], 4, v[88:89]
	v_ashrrev_i32_e32 v71, 31, v70
	v_add_co_u32 v72, vcc_lo, v205, v78
	v_add_nc_u32_e32 v76, s6, v74
	v_add_co_ci_u32_e64 v73, null, v206, v79, vcc_lo
	v_add_co_u32 v0, vcc_lo, v205, v0
	v_ashrrev_i32_e32 v75, 31, v74
	v_add_co_ci_u32_e64 v1, null, v206, v1, vcc_lo
	v_ashrrev_i32_e32 v77, 31, v76
	v_lshlrev_b64 v[70:71], 4, v[70:71]
	global_store_dwordx4 v[72:73], v[66:69], off
	global_store_dwordx4 v[0:1], v[62:65], off
	v_lshlrev_b64 v[0:1], 4, v[74:75]
	v_add_nc_u32_e32 v66, s6, v76
	v_lshlrev_b64 v[64:65], 4, v[76:77]
	v_add_co_u32 v62, vcc_lo, v205, v70
	v_add_co_ci_u32_e64 v63, null, v206, v71, vcc_lo
	;; [unrolled: 30-line block ×3, first 2 shown]
	v_add_co_u32 v0, vcc_lo, v205, v0
	v_add_nc_u32_e32 v48, s6, v46
	v_add_co_ci_u32_e64 v1, null, v206, v1, vcc_lo
	v_add_co_u32 v44, vcc_lo, v205, v44
	v_ashrrev_i32_e32 v47, 31, v46
	v_add_co_ci_u32_e64 v45, null, v206, v45, vcc_lo
	v_ashrrev_i32_e32 v49, 31, v48
	global_store_dwordx4 v[42:43], v[38:41], off
	v_lshlrev_b64 v[38:39], 4, v[46:47]
	global_store_dwordx4 v[0:1], v[34:37], off
	global_store_dwordx4 v[44:45], v[30:33], off
	v_add_nc_u32_e32 v30, s6, v48
	v_lshlrev_b64 v[0:1], 4, v[48:49]
	v_add_co_u32 v32, vcc_lo, v205, v38
	v_add_nc_u32_e32 v34, s6, v30
	v_add_co_ci_u32_e64 v33, null, v206, v39, vcc_lo
	v_add_co_u32 v0, vcc_lo, v205, v0
	v_add_co_ci_u32_e64 v1, null, v206, v1, vcc_lo
	v_add_nc_u32_e32 v36, s6, v34
	v_ashrrev_i32_e32 v31, 31, v30
	global_store_dwordx4 v[32:33], v[26:29], off
	global_store_dwordx4 v[0:1], v[22:25], off
	v_ashrrev_i32_e32 v35, 31, v34
	v_add_nc_u32_e32 v22, s6, v36
	v_lshlrev_b64 v[26:27], 4, v[30:31]
	v_ashrrev_i32_e32 v37, 31, v36
	v_lshlrev_b64 v[0:1], 4, v[34:35]
	v_add_nc_u32_e32 v28, s6, v22
	v_ashrrev_i32_e32 v23, 31, v22
	v_add_co_u32 v24, vcc_lo, v205, v26
	v_add_co_ci_u32_e64 v25, null, v206, v27, vcc_lo
	v_ashrrev_i32_e32 v29, 31, v28
	v_lshlrev_b64 v[26:27], 4, v[36:37]
	v_lshlrev_b64 v[22:23], 4, v[22:23]
	v_add_co_u32 v0, vcc_lo, v205, v0
	v_lshlrev_b64 v[28:29], 4, v[28:29]
	v_add_co_ci_u32_e64 v1, null, v206, v1, vcc_lo
	v_add_co_u32 v26, vcc_lo, v205, v26
	v_add_co_ci_u32_e64 v27, null, v206, v27, vcc_lo
	v_add_co_u32 v22, vcc_lo, v205, v22
	;; [unrolled: 2-line block ×3, first 2 shown]
	v_add_co_ci_u32_e64 v29, null, v206, v29, vcc_lo
	global_store_dwordx4 v[24:25], v[18:21], off
	global_store_dwordx4 v[0:1], v[14:17], off
	;; [unrolled: 1-line block ×5, first 2 shown]
.LBB94_1011:
	s_endpgm
	.section	.rodata,"a",@progbits
	.p2align	6, 0x0
	.amdhsa_kernel _ZN9rocsolver6v33100L18getf2_small_kernelILi48E19rocblas_complex_numIdEiiPS3_EEvT1_T3_lS5_lPS5_llPT2_S5_S5_S7_l
		.amdhsa_group_segment_fixed_size 0
		.amdhsa_private_segment_fixed_size 0
		.amdhsa_kernarg_size 352
		.amdhsa_user_sgpr_count 6
		.amdhsa_user_sgpr_private_segment_buffer 1
		.amdhsa_user_sgpr_dispatch_ptr 0
		.amdhsa_user_sgpr_queue_ptr 0
		.amdhsa_user_sgpr_kernarg_segment_ptr 1
		.amdhsa_user_sgpr_dispatch_id 0
		.amdhsa_user_sgpr_flat_scratch_init 0
		.amdhsa_user_sgpr_private_segment_size 0
		.amdhsa_wavefront_size32 1
		.amdhsa_uses_dynamic_stack 0
		.amdhsa_system_sgpr_private_segment_wavefront_offset 0
		.amdhsa_system_sgpr_workgroup_id_x 1
		.amdhsa_system_sgpr_workgroup_id_y 1
		.amdhsa_system_sgpr_workgroup_id_z 0
		.amdhsa_system_sgpr_workgroup_info 0
		.amdhsa_system_vgpr_workitem_id 1
		.amdhsa_next_free_vgpr 251
		.amdhsa_next_free_sgpr 20
		.amdhsa_reserve_vcc 1
		.amdhsa_reserve_flat_scratch 0
		.amdhsa_float_round_mode_32 0
		.amdhsa_float_round_mode_16_64 0
		.amdhsa_float_denorm_mode_32 3
		.amdhsa_float_denorm_mode_16_64 3
		.amdhsa_dx10_clamp 1
		.amdhsa_ieee_mode 1
		.amdhsa_fp16_overflow 0
		.amdhsa_workgroup_processor_mode 1
		.amdhsa_memory_ordered 1
		.amdhsa_forward_progress 1
		.amdhsa_shared_vgpr_count 0
		.amdhsa_exception_fp_ieee_invalid_op 0
		.amdhsa_exception_fp_denorm_src 0
		.amdhsa_exception_fp_ieee_div_zero 0
		.amdhsa_exception_fp_ieee_overflow 0
		.amdhsa_exception_fp_ieee_underflow 0
		.amdhsa_exception_fp_ieee_inexact 0
		.amdhsa_exception_int_div_zero 0
	.end_amdhsa_kernel
	.section	.text._ZN9rocsolver6v33100L18getf2_small_kernelILi48E19rocblas_complex_numIdEiiPS3_EEvT1_T3_lS5_lPS5_llPT2_S5_S5_S7_l,"axG",@progbits,_ZN9rocsolver6v33100L18getf2_small_kernelILi48E19rocblas_complex_numIdEiiPS3_EEvT1_T3_lS5_lPS5_llPT2_S5_S5_S7_l,comdat
.Lfunc_end94:
	.size	_ZN9rocsolver6v33100L18getf2_small_kernelILi48E19rocblas_complex_numIdEiiPS3_EEvT1_T3_lS5_lPS5_llPT2_S5_S5_S7_l, .Lfunc_end94-_ZN9rocsolver6v33100L18getf2_small_kernelILi48E19rocblas_complex_numIdEiiPS3_EEvT1_T3_lS5_lPS5_llPT2_S5_S5_S7_l
                                        ; -- End function
	.set _ZN9rocsolver6v33100L18getf2_small_kernelILi48E19rocblas_complex_numIdEiiPS3_EEvT1_T3_lS5_lPS5_llPT2_S5_S5_S7_l.num_vgpr, 251
	.set _ZN9rocsolver6v33100L18getf2_small_kernelILi48E19rocblas_complex_numIdEiiPS3_EEvT1_T3_lS5_lPS5_llPT2_S5_S5_S7_l.num_agpr, 0
	.set _ZN9rocsolver6v33100L18getf2_small_kernelILi48E19rocblas_complex_numIdEiiPS3_EEvT1_T3_lS5_lPS5_llPT2_S5_S5_S7_l.numbered_sgpr, 20
	.set _ZN9rocsolver6v33100L18getf2_small_kernelILi48E19rocblas_complex_numIdEiiPS3_EEvT1_T3_lS5_lPS5_llPT2_S5_S5_S7_l.num_named_barrier, 0
	.set _ZN9rocsolver6v33100L18getf2_small_kernelILi48E19rocblas_complex_numIdEiiPS3_EEvT1_T3_lS5_lPS5_llPT2_S5_S5_S7_l.private_seg_size, 0
	.set _ZN9rocsolver6v33100L18getf2_small_kernelILi48E19rocblas_complex_numIdEiiPS3_EEvT1_T3_lS5_lPS5_llPT2_S5_S5_S7_l.uses_vcc, 1
	.set _ZN9rocsolver6v33100L18getf2_small_kernelILi48E19rocblas_complex_numIdEiiPS3_EEvT1_T3_lS5_lPS5_llPT2_S5_S5_S7_l.uses_flat_scratch, 0
	.set _ZN9rocsolver6v33100L18getf2_small_kernelILi48E19rocblas_complex_numIdEiiPS3_EEvT1_T3_lS5_lPS5_llPT2_S5_S5_S7_l.has_dyn_sized_stack, 0
	.set _ZN9rocsolver6v33100L18getf2_small_kernelILi48E19rocblas_complex_numIdEiiPS3_EEvT1_T3_lS5_lPS5_llPT2_S5_S5_S7_l.has_recursion, 0
	.set _ZN9rocsolver6v33100L18getf2_small_kernelILi48E19rocblas_complex_numIdEiiPS3_EEvT1_T3_lS5_lPS5_llPT2_S5_S5_S7_l.has_indirect_call, 0
	.section	.AMDGPU.csdata,"",@progbits
; Kernel info:
; codeLenInByte = 128240
; TotalNumSgprs: 22
; NumVgprs: 251
; ScratchSize: 0
; MemoryBound: 0
; FloatMode: 240
; IeeeMode: 1
; LDSByteSize: 0 bytes/workgroup (compile time only)
; SGPRBlocks: 0
; VGPRBlocks: 31
; NumSGPRsForWavesPerEU: 22
; NumVGPRsForWavesPerEU: 251
; Occupancy: 4
; WaveLimiterHint : 0
; COMPUTE_PGM_RSRC2:SCRATCH_EN: 0
; COMPUTE_PGM_RSRC2:USER_SGPR: 6
; COMPUTE_PGM_RSRC2:TRAP_HANDLER: 0
; COMPUTE_PGM_RSRC2:TGID_X_EN: 1
; COMPUTE_PGM_RSRC2:TGID_Y_EN: 1
; COMPUTE_PGM_RSRC2:TGID_Z_EN: 0
; COMPUTE_PGM_RSRC2:TIDIG_COMP_CNT: 1
	.section	.text._ZN9rocsolver6v33100L23getf2_npvt_small_kernelILi48E19rocblas_complex_numIdEiiPS3_EEvT1_T3_lS5_lPT2_S5_S5_,"axG",@progbits,_ZN9rocsolver6v33100L23getf2_npvt_small_kernelILi48E19rocblas_complex_numIdEiiPS3_EEvT1_T3_lS5_lPT2_S5_S5_,comdat
	.globl	_ZN9rocsolver6v33100L23getf2_npvt_small_kernelILi48E19rocblas_complex_numIdEiiPS3_EEvT1_T3_lS5_lPT2_S5_S5_ ; -- Begin function _ZN9rocsolver6v33100L23getf2_npvt_small_kernelILi48E19rocblas_complex_numIdEiiPS3_EEvT1_T3_lS5_lPT2_S5_S5_
	.p2align	8
	.type	_ZN9rocsolver6v33100L23getf2_npvt_small_kernelILi48E19rocblas_complex_numIdEiiPS3_EEvT1_T3_lS5_lPT2_S5_S5_,@function
_ZN9rocsolver6v33100L23getf2_npvt_small_kernelILi48E19rocblas_complex_numIdEiiPS3_EEvT1_T3_lS5_lPT2_S5_S5_: ; @_ZN9rocsolver6v33100L23getf2_npvt_small_kernelILi48E19rocblas_complex_numIdEiiPS3_EEvT1_T3_lS5_lPT2_S5_S5_
; %bb.0:
	s_mov_b64 s[18:19], s[2:3]
	s_mov_b64 s[16:17], s[0:1]
	s_clause 0x1
	s_load_dword s0, s[4:5], 0x44
	s_load_dwordx2 s[12:13], s[4:5], 0x30
	s_add_u32 s16, s16, s8
	s_addc_u32 s17, s17, 0
	s_waitcnt lgkmcnt(0)
	s_lshr_b32 s14, s0, 16
	s_mov_b32 s0, exec_lo
	v_mad_u64_u32 v[2:3], null, s7, s14, v[1:2]
	v_cmpx_gt_i32_e64 s12, v2
	s_cbranch_execz .LBB95_437
; %bb.1:
	s_clause 0x2
	s_load_dwordx4 s[8:11], s[4:5], 0x20
	s_load_dword s6, s[4:5], 0x18
	s_load_dwordx4 s[0:3], s[4:5], 0x8
	v_ashrrev_i32_e32 v3, 31, v2
	v_mad_u32_u24 v253, 0x300, v1, 0
	v_lshlrev_b32_e32 v1, 4, v1
	s_mulk_i32 s14, 0x300
	v_add3_u32 v255, 0, s14, v1
	s_waitcnt lgkmcnt(0)
	v_mul_lo_u32 v5, s9, v2
	v_mul_lo_u32 v7, s8, v3
	buffer_store_dword v2, off, s[16:19], 0 offset:944 ; 4-byte Folded Spill
	buffer_store_dword v3, off, s[16:19], 0 offset:948 ; 4-byte Folded Spill
	v_add3_u32 v4, s6, s6, v0
	s_lshl_b64 s[2:3], s[2:3], 4
	s_ashr_i32 s7, s6, 31
	v_add_nc_u32_e32 v6, s6, v4
	v_add_nc_u32_e32 v8, s6, v6
	;; [unrolled: 1-line block ×3, first 2 shown]
	v_ashrrev_i32_e32 v9, 31, v8
	v_add_nc_u32_e32 v12, s6, v10
	v_ashrrev_i32_e32 v11, 31, v10
	v_lshlrev_b64 v[8:9], 4, v[8:9]
	v_add_nc_u32_e32 v14, s6, v12
	v_ashrrev_i32_e32 v13, 31, v12
	v_lshlrev_b64 v[10:11], 4, v[10:11]
	v_ashrrev_i32_e32 v15, 31, v14
	v_mad_u64_u32 v[2:3], null, s8, v2, 0
	v_add3_u32 v3, v3, v7, v5
	v_ashrrev_i32_e32 v5, 31, v4
	v_ashrrev_i32_e32 v7, 31, v6
	v_lshlrev_b64 v[2:3], 4, v[2:3]
	v_lshlrev_b64 v[4:5], 4, v[4:5]
	;; [unrolled: 1-line block ×3, first 2 shown]
	v_add_co_u32 v2, vcc_lo, s0, v2
	v_add_co_ci_u32_e64 v3, null, s1, v3, vcc_lo
	s_lshl_b64 s[0:1], s[6:7], 4
	v_add_co_u32 v2, vcc_lo, v2, s2
	v_add_co_ci_u32_e64 v3, null, s3, v3, vcc_lo
	v_add_co_u32 v60, vcc_lo, v2, v4
	v_add_co_ci_u32_e64 v61, null, v3, v5, vcc_lo
	v_add_co_u32 v56, vcc_lo, v2, v6
	v_add_nc_u32_e32 v6, s6, v14
	v_lshlrev_b64 v[4:5], 4, v[12:13]
	v_add_co_ci_u32_e64 v57, null, v3, v7, vcc_lo
	v_add_co_u32 v58, vcc_lo, v2, v8
	v_add_co_ci_u32_e64 v59, null, v3, v9, vcc_lo
	v_add_co_u32 v62, vcc_lo, v2, v10
	v_ashrrev_i32_e32 v7, 31, v6
	v_add_nc_u32_e32 v10, s6, v6
	v_lshlrev_b64 v[8:9], 4, v[14:15]
	v_add_co_ci_u32_e64 v63, null, v3, v11, vcc_lo
	v_add_co_u32 v64, vcc_lo, v2, v4
	v_add_co_ci_u32_e64 v65, null, v3, v5, vcc_lo
	v_lshlrev_b64 v[4:5], 4, v[6:7]
	v_ashrrev_i32_e32 v11, 31, v10
	v_add_nc_u32_e32 v6, s6, v10
	v_add_co_u32 v66, vcc_lo, v2, v8
	v_add_co_ci_u32_e64 v67, null, v3, v9, vcc_lo
	v_lshlrev_b64 v[8:9], 4, v[10:11]
	v_ashrrev_i32_e32 v7, 31, v6
	v_add_nc_u32_e32 v10, s6, v6
	;; [unrolled: 5-line block ×37, first 2 shown]
	v_add_co_u32 v205, vcc_lo, v2, v8
	v_add_co_ci_u32_e64 v206, null, v3, v9, vcc_lo
	v_lshlrev_b64 v[8:9], 4, v[10:11]
	v_add_nc_u32_e32 v10, s6, v6
	v_ashrrev_i32_e32 v7, 31, v6
	v_add_co_u32 v233, vcc_lo, v2, v4
	v_add_co_ci_u32_e64 v234, null, v3, v5, vcc_lo
	v_ashrrev_i32_e32 v11, 31, v10
	v_lshlrev_b64 v[4:5], 4, v[6:7]
	v_add_co_u32 v8, vcc_lo, v2, v8
	v_add_co_ci_u32_e64 v9, null, v3, v9, vcc_lo
	v_lshlrev_b64 v[6:7], 4, v[10:11]
	v_add_co_u32 v229, vcc_lo, v2, v4
	v_lshlrev_b32_e32 v4, 4, v0
	v_add_co_ci_u32_e64 v230, null, v3, v5, vcc_lo
	v_add_co_u32 v231, vcc_lo, v2, v6
	v_add_co_ci_u32_e64 v232, null, v3, v7, vcc_lo
	v_add_co_u32 v2, vcc_lo, v2, v4
	;; [unrolled: 2-line block ×3, first 2 shown]
	v_add_co_ci_u32_e64 v5, null, s1, v3, vcc_lo
	buffer_store_dword v2, off, s[16:19], 0 offset:312 ; 4-byte Folded Spill
	buffer_store_dword v3, off, s[16:19], 0 offset:316 ; 4-byte Folded Spill
	v_cmp_ne_u32_e64 s1, 0, v0
	v_cmp_eq_u32_e64 s0, 0, v0
	global_load_dwordx4 v[52:55], v[2:3], off
	s_waitcnt vmcnt(0)
	buffer_store_dword v52, off, s[16:19], 0 offset:32 ; 4-byte Folded Spill
	buffer_store_dword v53, off, s[16:19], 0 offset:36 ; 4-byte Folded Spill
	;; [unrolled: 1-line block ×6, first 2 shown]
	global_load_dwordx4 v[1:4], v[4:5], off
	s_waitcnt vmcnt(0)
	buffer_store_dword v1, off, s[16:19], 0 offset:16 ; 4-byte Folded Spill
	buffer_store_dword v2, off, s[16:19], 0 offset:20 ; 4-byte Folded Spill
	;; [unrolled: 1-line block ×6, first 2 shown]
	global_load_dwordx4 v[181:184], v[60:61], off
	buffer_store_dword v56, off, s[16:19], 0 offset:352 ; 4-byte Folded Spill
	buffer_store_dword v57, off, s[16:19], 0 offset:356 ; 4-byte Folded Spill
	global_load_dwordx4 v[1:4], v[56:57], off
	s_waitcnt vmcnt(0)
	buffer_store_dword v1, off, s[16:19], 0 ; 4-byte Folded Spill
	buffer_store_dword v2, off, s[16:19], 0 offset:4 ; 4-byte Folded Spill
	buffer_store_dword v3, off, s[16:19], 0 offset:8 ; 4-byte Folded Spill
	;; [unrolled: 1-line block ×5, first 2 shown]
	global_load_dwordx4 v[173:176], v[58:59], off
	buffer_store_dword v62, off, s[16:19], 0 offset:360 ; 4-byte Folded Spill
	buffer_store_dword v63, off, s[16:19], 0 offset:364 ; 4-byte Folded Spill
	global_load_dwordx4 v[225:228], v[62:63], off
	buffer_store_dword v64, off, s[16:19], 0 offset:416 ; 4-byte Folded Spill
	buffer_store_dword v65, off, s[16:19], 0 offset:420 ; 4-byte Folded Spill
	;; [unrolled: 3-line block ×43, first 2 shown]
	global_load_dwordx4 v[1:4], v[231:232], off
	s_and_saveexec_b32 s3, s0
	s_cbranch_execz .LBB95_8
; %bb.2:
	s_clause 0x3
	buffer_load_dword v193, off, s[16:19], 0 offset:32
	buffer_load_dword v194, off, s[16:19], 0 offset:36
	;; [unrolled: 1-line block ×4, first 2 shown]
	s_waitcnt vmcnt(0)
	ds_write2_b64 v255, v[193:194], v[195:196] offset1:1
	s_clause 0x3
	buffer_load_dword v193, off, s[16:19], 0 offset:16
	buffer_load_dword v194, off, s[16:19], 0 offset:20
	;; [unrolled: 1-line block ×4, first 2 shown]
	s_waitcnt vmcnt(0)
	ds_write2_b64 v253, v[193:194], v[195:196] offset0:2 offset1:3
	ds_write2_b64 v253, v[181:182], v[183:184] offset0:4 offset1:5
	s_clause 0x3
	buffer_load_dword v177, off, s[16:19], 0
	buffer_load_dword v178, off, s[16:19], 0 offset:4
	buffer_load_dword v179, off, s[16:19], 0 offset:8
	buffer_load_dword v180, off, s[16:19], 0 offset:12
	s_waitcnt vmcnt(0)
	ds_write2_b64 v253, v[177:178], v[179:180] offset0:6 offset1:7
	ds_write2_b64 v253, v[173:174], v[175:176] offset0:8 offset1:9
	;; [unrolled: 1-line block ×45, first 2 shown]
	ds_read2_b64 v[193:196], v255 offset1:1
	s_waitcnt lgkmcnt(0)
	v_cmp_neq_f64_e32 vcc_lo, 0, v[193:194]
	v_cmp_neq_f64_e64 s2, 0, v[195:196]
	s_or_b32 s2, vcc_lo, s2
	s_and_b32 exec_lo, exec_lo, s2
	s_cbranch_execz .LBB95_8
; %bb.3:
	v_cmp_ngt_f64_e64 s2, |v[193:194]|, |v[195:196]|
                                        ; implicit-def: $vgpr197_vgpr198
	s_and_saveexec_b32 s4, s2
	s_xor_b32 s2, exec_lo, s4
                                        ; implicit-def: $vgpr199_vgpr200
	s_cbranch_execz .LBB95_5
; %bb.4:
	v_div_scale_f64 v[197:198], null, v[195:196], v[195:196], v[193:194]
	v_div_scale_f64 v[203:204], vcc_lo, v[193:194], v[195:196], v[193:194]
	v_rcp_f64_e32 v[199:200], v[197:198]
	v_fma_f64 v[201:202], -v[197:198], v[199:200], 1.0
	v_fma_f64 v[199:200], v[199:200], v[201:202], v[199:200]
	v_fma_f64 v[201:202], -v[197:198], v[199:200], 1.0
	v_fma_f64 v[199:200], v[199:200], v[201:202], v[199:200]
	v_mul_f64 v[201:202], v[203:204], v[199:200]
	v_fma_f64 v[197:198], -v[197:198], v[201:202], v[203:204]
	v_div_fmas_f64 v[197:198], v[197:198], v[199:200], v[201:202]
	v_div_fixup_f64 v[197:198], v[197:198], v[195:196], v[193:194]
	v_fma_f64 v[193:194], v[193:194], v[197:198], v[195:196]
	v_div_scale_f64 v[195:196], null, v[193:194], v[193:194], 1.0
	v_rcp_f64_e32 v[199:200], v[195:196]
	v_fma_f64 v[201:202], -v[195:196], v[199:200], 1.0
	v_fma_f64 v[199:200], v[199:200], v[201:202], v[199:200]
	v_fma_f64 v[201:202], -v[195:196], v[199:200], 1.0
	v_fma_f64 v[199:200], v[199:200], v[201:202], v[199:200]
	v_div_scale_f64 v[201:202], vcc_lo, 1.0, v[193:194], 1.0
	v_mul_f64 v[203:204], v[201:202], v[199:200]
	v_fma_f64 v[195:196], -v[195:196], v[203:204], v[201:202]
	v_div_fmas_f64 v[195:196], v[195:196], v[199:200], v[203:204]
	v_div_fixup_f64 v[199:200], v[195:196], v[193:194], 1.0
                                        ; implicit-def: $vgpr193_vgpr194
	v_mul_f64 v[197:198], v[197:198], v[199:200]
	v_xor_b32_e32 v200, 0x80000000, v200
.LBB95_5:
	s_andn2_saveexec_b32 s2, s2
	s_cbranch_execz .LBB95_7
; %bb.6:
	v_div_scale_f64 v[197:198], null, v[193:194], v[193:194], v[195:196]
	v_div_scale_f64 v[203:204], vcc_lo, v[195:196], v[193:194], v[195:196]
	v_rcp_f64_e32 v[199:200], v[197:198]
	v_fma_f64 v[201:202], -v[197:198], v[199:200], 1.0
	v_fma_f64 v[199:200], v[199:200], v[201:202], v[199:200]
	v_fma_f64 v[201:202], -v[197:198], v[199:200], 1.0
	v_fma_f64 v[199:200], v[199:200], v[201:202], v[199:200]
	v_mul_f64 v[201:202], v[203:204], v[199:200]
	v_fma_f64 v[197:198], -v[197:198], v[201:202], v[203:204]
	v_div_fmas_f64 v[197:198], v[197:198], v[199:200], v[201:202]
	v_div_fixup_f64 v[199:200], v[197:198], v[193:194], v[195:196]
	v_fma_f64 v[193:194], v[195:196], v[199:200], v[193:194]
	v_div_scale_f64 v[195:196], null, v[193:194], v[193:194], 1.0
	v_rcp_f64_e32 v[197:198], v[195:196]
	v_fma_f64 v[201:202], -v[195:196], v[197:198], 1.0
	v_fma_f64 v[197:198], v[197:198], v[201:202], v[197:198]
	v_fma_f64 v[201:202], -v[195:196], v[197:198], 1.0
	v_fma_f64 v[197:198], v[197:198], v[201:202], v[197:198]
	v_div_scale_f64 v[201:202], vcc_lo, 1.0, v[193:194], 1.0
	v_mul_f64 v[203:204], v[201:202], v[197:198]
	v_fma_f64 v[195:196], -v[195:196], v[203:204], v[201:202]
	v_div_fmas_f64 v[195:196], v[195:196], v[197:198], v[203:204]
	v_div_fixup_f64 v[197:198], v[195:196], v[193:194], 1.0
	v_mul_f64 v[199:200], v[199:200], -v[197:198]
.LBB95_7:
	s_or_b32 exec_lo, exec_lo, s2
	ds_write2_b64 v255, v[197:198], v[199:200] offset1:1
.LBB95_8:
	s_or_b32 exec_lo, exec_lo, s3
	s_waitcnt vmcnt(0) lgkmcnt(0)
	s_waitcnt_vscnt null, 0x0
	s_barrier
	buffer_gl0_inv
	ds_read2_b64 v[193:196], v255 offset1:1
	s_waitcnt lgkmcnt(0)
	buffer_store_dword v193, off, s[16:19], 0 offset:328 ; 4-byte Folded Spill
	buffer_store_dword v194, off, s[16:19], 0 offset:332 ; 4-byte Folded Spill
	buffer_store_dword v195, off, s[16:19], 0 offset:336 ; 4-byte Folded Spill
	buffer_store_dword v196, off, s[16:19], 0 offset:340 ; 4-byte Folded Spill
	s_and_saveexec_b32 s2, s1
	s_cbranch_execz .LBB95_10
; %bb.9:
	s_clause 0x7
	buffer_load_dword v199, off, s[16:19], 0 offset:32
	buffer_load_dword v200, off, s[16:19], 0 offset:36
	;; [unrolled: 1-line block ×8, first 2 shown]
	s_waitcnt vmcnt(2)
	v_mul_f64 v[191:192], v[195:196], v[201:202]
	s_waitcnt vmcnt(0)
	v_mul_f64 v[193:194], v[197:198], v[201:202]
	v_fma_f64 v[201:202], v[197:198], v[199:200], v[191:192]
	v_fma_f64 v[193:194], v[195:196], v[199:200], -v[193:194]
	ds_read2_b64 v[195:198], v253 offset0:2 offset1:3
	s_waitcnt lgkmcnt(0)
	v_mul_f64 v[189:190], v[197:198], v[201:202]
	v_fma_f64 v[189:190], v[195:196], v[193:194], -v[189:190]
	v_mul_f64 v[195:196], v[195:196], v[201:202]
	v_fma_f64 v[195:196], v[197:198], v[193:194], v[195:196]
	s_clause 0x3
	buffer_load_dword v197, off, s[16:19], 0 offset:16
	buffer_load_dword v198, off, s[16:19], 0 offset:20
	;; [unrolled: 1-line block ×4, first 2 shown]
	s_waitcnt vmcnt(2)
	v_add_f64 v[197:198], v[197:198], -v[189:190]
	s_waitcnt vmcnt(0)
	v_add_f64 v[199:200], v[199:200], -v[195:196]
	buffer_store_dword v197, off, s[16:19], 0 offset:16 ; 4-byte Folded Spill
	buffer_store_dword v198, off, s[16:19], 0 offset:20 ; 4-byte Folded Spill
	;; [unrolled: 1-line block ×4, first 2 shown]
	ds_read2_b64 v[195:198], v253 offset0:4 offset1:5
	v_mov_b32_e32 v200, v194
	v_mov_b32_e32 v199, v193
	s_waitcnt lgkmcnt(0)
	v_mul_f64 v[189:190], v[197:198], v[201:202]
	v_fma_f64 v[189:190], v[195:196], v[193:194], -v[189:190]
	v_mul_f64 v[195:196], v[195:196], v[201:202]
	v_add_f64 v[181:182], v[181:182], -v[189:190]
	v_fma_f64 v[195:196], v[197:198], v[193:194], v[195:196]
	v_add_f64 v[183:184], v[183:184], -v[195:196]
	ds_read2_b64 v[195:198], v253 offset0:6 offset1:7
	s_clause 0x3
	buffer_load_dword v177, off, s[16:19], 0
	buffer_load_dword v178, off, s[16:19], 0 offset:4
	buffer_load_dword v179, off, s[16:19], 0 offset:8
	;; [unrolled: 1-line block ×3, first 2 shown]
	s_waitcnt lgkmcnt(0)
	v_mul_f64 v[189:190], v[197:198], v[201:202]
	v_fma_f64 v[189:190], v[195:196], v[193:194], -v[189:190]
	v_mul_f64 v[195:196], v[195:196], v[201:202]
	v_fma_f64 v[195:196], v[197:198], v[193:194], v[195:196]
	s_waitcnt vmcnt(2)
	v_add_f64 v[177:178], v[177:178], -v[189:190]
	s_waitcnt vmcnt(0)
	v_add_f64 v[179:180], v[179:180], -v[195:196]
	buffer_store_dword v177, off, s[16:19], 0 ; 4-byte Folded Spill
	buffer_store_dword v178, off, s[16:19], 0 offset:4 ; 4-byte Folded Spill
	buffer_store_dword v179, off, s[16:19], 0 offset:8 ; 4-byte Folded Spill
	buffer_store_dword v180, off, s[16:19], 0 offset:12 ; 4-byte Folded Spill
	ds_read2_b64 v[195:198], v253 offset0:8 offset1:9
	s_waitcnt lgkmcnt(0)
	v_mul_f64 v[189:190], v[197:198], v[201:202]
	v_fma_f64 v[189:190], v[195:196], v[193:194], -v[189:190]
	v_mul_f64 v[195:196], v[195:196], v[201:202]
	v_add_f64 v[173:174], v[173:174], -v[189:190]
	v_fma_f64 v[195:196], v[197:198], v[193:194], v[195:196]
	v_add_f64 v[175:176], v[175:176], -v[195:196]
	ds_read2_b64 v[195:198], v253 offset0:10 offset1:11
	s_waitcnt lgkmcnt(0)
	v_mul_f64 v[189:190], v[197:198], v[201:202]
	v_fma_f64 v[189:190], v[195:196], v[193:194], -v[189:190]
	v_mul_f64 v[195:196], v[195:196], v[201:202]
	v_add_f64 v[225:226], v[225:226], -v[189:190]
	v_fma_f64 v[195:196], v[197:198], v[193:194], v[195:196]
	v_add_f64 v[227:228], v[227:228], -v[195:196]
	;; [unrolled: 8-line block ×43, first 2 shown]
	ds_read2_b64 v[195:198], v253 offset0:94 offset1:95
	s_waitcnt lgkmcnt(0)
	v_mul_f64 v[189:190], v[197:198], v[201:202]
	v_fma_f64 v[189:190], v[195:196], v[193:194], -v[189:190]
	v_mul_f64 v[195:196], v[195:196], v[201:202]
	buffer_store_dword v199, off, s[16:19], 0 offset:32 ; 4-byte Folded Spill
	buffer_store_dword v200, off, s[16:19], 0 offset:36 ; 4-byte Folded Spill
	;; [unrolled: 1-line block ×4, first 2 shown]
	v_add_f64 v[1:2], v[1:2], -v[189:190]
	v_fma_f64 v[195:196], v[197:198], v[193:194], v[195:196]
	v_add_f64 v[3:4], v[3:4], -v[195:196]
.LBB95_10:
	s_or_b32 exec_lo, exec_lo, s2
	s_mov_b32 s2, exec_lo
	s_waitcnt_vscnt null, 0x0
	s_barrier
	buffer_gl0_inv
	v_cmpx_eq_u32_e32 1, v0
	s_cbranch_execz .LBB95_17
; %bb.11:
	s_clause 0x3
	buffer_load_dword v193, off, s[16:19], 0 offset:16
	buffer_load_dword v194, off, s[16:19], 0 offset:20
	;; [unrolled: 1-line block ×4, first 2 shown]
	s_waitcnt vmcnt(0)
	ds_write2_b64 v255, v[193:194], v[195:196] offset1:1
	ds_write2_b64 v253, v[181:182], v[183:184] offset0:4 offset1:5
	s_clause 0x3
	buffer_load_dword v177, off, s[16:19], 0
	buffer_load_dword v178, off, s[16:19], 0 offset:4
	buffer_load_dword v179, off, s[16:19], 0 offset:8
	;; [unrolled: 1-line block ×3, first 2 shown]
	s_waitcnt vmcnt(0)
	ds_write2_b64 v253, v[177:178], v[179:180] offset0:6 offset1:7
	ds_write2_b64 v253, v[173:174], v[175:176] offset0:8 offset1:9
	;; [unrolled: 1-line block ×45, first 2 shown]
	ds_read2_b64 v[193:196], v255 offset1:1
	s_waitcnt lgkmcnt(0)
	v_cmp_neq_f64_e32 vcc_lo, 0, v[193:194]
	v_cmp_neq_f64_e64 s1, 0, v[195:196]
	s_or_b32 s1, vcc_lo, s1
	s_and_b32 exec_lo, exec_lo, s1
	s_cbranch_execz .LBB95_17
; %bb.12:
	v_cmp_ngt_f64_e64 s1, |v[193:194]|, |v[195:196]|
                                        ; implicit-def: $vgpr197_vgpr198
	s_and_saveexec_b32 s3, s1
	s_xor_b32 s1, exec_lo, s3
                                        ; implicit-def: $vgpr199_vgpr200
	s_cbranch_execz .LBB95_14
; %bb.13:
	v_div_scale_f64 v[197:198], null, v[195:196], v[195:196], v[193:194]
	v_div_scale_f64 v[203:204], vcc_lo, v[193:194], v[195:196], v[193:194]
	v_rcp_f64_e32 v[199:200], v[197:198]
	v_fma_f64 v[201:202], -v[197:198], v[199:200], 1.0
	v_fma_f64 v[199:200], v[199:200], v[201:202], v[199:200]
	v_fma_f64 v[201:202], -v[197:198], v[199:200], 1.0
	v_fma_f64 v[199:200], v[199:200], v[201:202], v[199:200]
	v_mul_f64 v[201:202], v[203:204], v[199:200]
	v_fma_f64 v[197:198], -v[197:198], v[201:202], v[203:204]
	v_div_fmas_f64 v[197:198], v[197:198], v[199:200], v[201:202]
	v_div_fixup_f64 v[197:198], v[197:198], v[195:196], v[193:194]
	v_fma_f64 v[193:194], v[193:194], v[197:198], v[195:196]
	v_div_scale_f64 v[195:196], null, v[193:194], v[193:194], 1.0
	v_rcp_f64_e32 v[199:200], v[195:196]
	v_fma_f64 v[201:202], -v[195:196], v[199:200], 1.0
	v_fma_f64 v[199:200], v[199:200], v[201:202], v[199:200]
	v_fma_f64 v[201:202], -v[195:196], v[199:200], 1.0
	v_fma_f64 v[199:200], v[199:200], v[201:202], v[199:200]
	v_div_scale_f64 v[201:202], vcc_lo, 1.0, v[193:194], 1.0
	v_mul_f64 v[203:204], v[201:202], v[199:200]
	v_fma_f64 v[195:196], -v[195:196], v[203:204], v[201:202]
	v_div_fmas_f64 v[195:196], v[195:196], v[199:200], v[203:204]
	v_div_fixup_f64 v[199:200], v[195:196], v[193:194], 1.0
                                        ; implicit-def: $vgpr193_vgpr194
	v_mul_f64 v[197:198], v[197:198], v[199:200]
	v_xor_b32_e32 v200, 0x80000000, v200
.LBB95_14:
	s_andn2_saveexec_b32 s1, s1
	s_cbranch_execz .LBB95_16
; %bb.15:
	v_div_scale_f64 v[197:198], null, v[193:194], v[193:194], v[195:196]
	v_div_scale_f64 v[203:204], vcc_lo, v[195:196], v[193:194], v[195:196]
	v_rcp_f64_e32 v[199:200], v[197:198]
	v_fma_f64 v[201:202], -v[197:198], v[199:200], 1.0
	v_fma_f64 v[199:200], v[199:200], v[201:202], v[199:200]
	v_fma_f64 v[201:202], -v[197:198], v[199:200], 1.0
	v_fma_f64 v[199:200], v[199:200], v[201:202], v[199:200]
	v_mul_f64 v[201:202], v[203:204], v[199:200]
	v_fma_f64 v[197:198], -v[197:198], v[201:202], v[203:204]
	v_div_fmas_f64 v[197:198], v[197:198], v[199:200], v[201:202]
	v_div_fixup_f64 v[199:200], v[197:198], v[193:194], v[195:196]
	v_fma_f64 v[193:194], v[195:196], v[199:200], v[193:194]
	v_div_scale_f64 v[195:196], null, v[193:194], v[193:194], 1.0
	v_rcp_f64_e32 v[197:198], v[195:196]
	v_fma_f64 v[201:202], -v[195:196], v[197:198], 1.0
	v_fma_f64 v[197:198], v[197:198], v[201:202], v[197:198]
	v_fma_f64 v[201:202], -v[195:196], v[197:198], 1.0
	v_fma_f64 v[197:198], v[197:198], v[201:202], v[197:198]
	v_div_scale_f64 v[201:202], vcc_lo, 1.0, v[193:194], 1.0
	v_mul_f64 v[203:204], v[201:202], v[197:198]
	v_fma_f64 v[195:196], -v[195:196], v[203:204], v[201:202]
	v_div_fmas_f64 v[195:196], v[195:196], v[197:198], v[203:204]
	v_div_fixup_f64 v[197:198], v[195:196], v[193:194], 1.0
	v_mul_f64 v[199:200], v[199:200], -v[197:198]
.LBB95_16:
	s_or_b32 exec_lo, exec_lo, s1
	ds_write2_b64 v255, v[197:198], v[199:200] offset1:1
.LBB95_17:
	s_or_b32 exec_lo, exec_lo, s2
	s_waitcnt lgkmcnt(0)
	s_barrier
	buffer_gl0_inv
	ds_read2_b64 v[209:212], v255 offset1:1
	s_mov_b32 s1, exec_lo
	v_cmpx_lt_u32_e32 1, v0
	s_cbranch_execz .LBB95_19
; %bb.18:
	s_clause 0x3
	buffer_load_dword v197, off, s[16:19], 0 offset:16
	buffer_load_dword v198, off, s[16:19], 0 offset:20
	;; [unrolled: 1-line block ×4, first 2 shown]
	s_waitcnt vmcnt(0) lgkmcnt(0)
	v_mul_f64 v[187:188], v[209:210], v[199:200]
	v_mul_f64 v[193:194], v[211:212], v[199:200]
	v_fma_f64 v[199:200], v[211:212], v[197:198], v[187:188]
	v_fma_f64 v[193:194], v[209:210], v[197:198], -v[193:194]
	ds_read2_b64 v[195:198], v253 offset0:4 offset1:5
	s_waitcnt lgkmcnt(0)
	v_mul_f64 v[185:186], v[197:198], v[199:200]
	v_fma_f64 v[185:186], v[195:196], v[193:194], -v[185:186]
	v_mul_f64 v[195:196], v[195:196], v[199:200]
	v_add_f64 v[181:182], v[181:182], -v[185:186]
	v_fma_f64 v[195:196], v[197:198], v[193:194], v[195:196]
	v_add_f64 v[183:184], v[183:184], -v[195:196]
	ds_read2_b64 v[195:198], v253 offset0:6 offset1:7
	s_clause 0x3
	buffer_load_dword v177, off, s[16:19], 0
	buffer_load_dword v178, off, s[16:19], 0 offset:4
	buffer_load_dword v179, off, s[16:19], 0 offset:8
	;; [unrolled: 1-line block ×3, first 2 shown]
	s_waitcnt lgkmcnt(0)
	v_mul_f64 v[185:186], v[197:198], v[199:200]
	v_fma_f64 v[185:186], v[195:196], v[193:194], -v[185:186]
	v_mul_f64 v[195:196], v[195:196], v[199:200]
	v_fma_f64 v[195:196], v[197:198], v[193:194], v[195:196]
	s_waitcnt vmcnt(2)
	v_add_f64 v[177:178], v[177:178], -v[185:186]
	s_waitcnt vmcnt(0)
	v_add_f64 v[179:180], v[179:180], -v[195:196]
	buffer_store_dword v177, off, s[16:19], 0 ; 4-byte Folded Spill
	buffer_store_dword v178, off, s[16:19], 0 offset:4 ; 4-byte Folded Spill
	buffer_store_dword v179, off, s[16:19], 0 offset:8 ; 4-byte Folded Spill
	buffer_store_dword v180, off, s[16:19], 0 offset:12 ; 4-byte Folded Spill
	ds_read2_b64 v[195:198], v253 offset0:8 offset1:9
	s_waitcnt lgkmcnt(0)
	v_mul_f64 v[185:186], v[197:198], v[199:200]
	v_fma_f64 v[185:186], v[195:196], v[193:194], -v[185:186]
	v_mul_f64 v[195:196], v[195:196], v[199:200]
	v_add_f64 v[173:174], v[173:174], -v[185:186]
	v_fma_f64 v[195:196], v[197:198], v[193:194], v[195:196]
	v_add_f64 v[175:176], v[175:176], -v[195:196]
	ds_read2_b64 v[195:198], v253 offset0:10 offset1:11
	s_waitcnt lgkmcnt(0)
	v_mul_f64 v[185:186], v[197:198], v[199:200]
	v_fma_f64 v[185:186], v[195:196], v[193:194], -v[185:186]
	v_mul_f64 v[195:196], v[195:196], v[199:200]
	v_add_f64 v[225:226], v[225:226], -v[185:186]
	v_fma_f64 v[195:196], v[197:198], v[193:194], v[195:196]
	v_add_f64 v[227:228], v[227:228], -v[195:196]
	;; [unrolled: 8-line block ×43, first 2 shown]
	ds_read2_b64 v[195:198], v253 offset0:94 offset1:95
	s_waitcnt lgkmcnt(0)
	v_mul_f64 v[185:186], v[197:198], v[199:200]
	v_fma_f64 v[185:186], v[195:196], v[193:194], -v[185:186]
	v_mul_f64 v[195:196], v[195:196], v[199:200]
	v_add_f64 v[1:2], v[1:2], -v[185:186]
	v_fma_f64 v[195:196], v[197:198], v[193:194], v[195:196]
	v_mov_b32_e32 v198, v194
	v_mov_b32_e32 v197, v193
	buffer_store_dword v197, off, s[16:19], 0 offset:16 ; 4-byte Folded Spill
	buffer_store_dword v198, off, s[16:19], 0 offset:20 ; 4-byte Folded Spill
	;; [unrolled: 1-line block ×4, first 2 shown]
	v_add_f64 v[3:4], v[3:4], -v[195:196]
.LBB95_19:
	s_or_b32 exec_lo, exec_lo, s1
	s_mov_b32 s2, exec_lo
	s_waitcnt lgkmcnt(0)
	s_waitcnt_vscnt null, 0x0
	s_barrier
	buffer_gl0_inv
	v_cmpx_eq_u32_e32 2, v0
	s_cbranch_execz .LBB95_26
; %bb.20:
	ds_write2_b64 v255, v[181:182], v[183:184] offset1:1
	s_clause 0x3
	buffer_load_dword v177, off, s[16:19], 0
	buffer_load_dword v178, off, s[16:19], 0 offset:4
	buffer_load_dword v179, off, s[16:19], 0 offset:8
	;; [unrolled: 1-line block ×3, first 2 shown]
	s_waitcnt vmcnt(0)
	ds_write2_b64 v253, v[177:178], v[179:180] offset0:6 offset1:7
	ds_write2_b64 v253, v[173:174], v[175:176] offset0:8 offset1:9
	;; [unrolled: 1-line block ×45, first 2 shown]
	ds_read2_b64 v[193:196], v255 offset1:1
	s_waitcnt lgkmcnt(0)
	v_cmp_neq_f64_e32 vcc_lo, 0, v[193:194]
	v_cmp_neq_f64_e64 s1, 0, v[195:196]
	s_or_b32 s1, vcc_lo, s1
	s_and_b32 exec_lo, exec_lo, s1
	s_cbranch_execz .LBB95_26
; %bb.21:
	v_cmp_ngt_f64_e64 s1, |v[193:194]|, |v[195:196]|
                                        ; implicit-def: $vgpr197_vgpr198
	s_and_saveexec_b32 s3, s1
	s_xor_b32 s1, exec_lo, s3
                                        ; implicit-def: $vgpr199_vgpr200
	s_cbranch_execz .LBB95_23
; %bb.22:
	v_div_scale_f64 v[197:198], null, v[195:196], v[195:196], v[193:194]
	v_div_scale_f64 v[203:204], vcc_lo, v[193:194], v[195:196], v[193:194]
	v_rcp_f64_e32 v[199:200], v[197:198]
	v_fma_f64 v[201:202], -v[197:198], v[199:200], 1.0
	v_fma_f64 v[199:200], v[199:200], v[201:202], v[199:200]
	v_fma_f64 v[201:202], -v[197:198], v[199:200], 1.0
	v_fma_f64 v[199:200], v[199:200], v[201:202], v[199:200]
	v_mul_f64 v[201:202], v[203:204], v[199:200]
	v_fma_f64 v[197:198], -v[197:198], v[201:202], v[203:204]
	v_div_fmas_f64 v[197:198], v[197:198], v[199:200], v[201:202]
	v_div_fixup_f64 v[197:198], v[197:198], v[195:196], v[193:194]
	v_fma_f64 v[193:194], v[193:194], v[197:198], v[195:196]
	v_div_scale_f64 v[195:196], null, v[193:194], v[193:194], 1.0
	v_rcp_f64_e32 v[199:200], v[195:196]
	v_fma_f64 v[201:202], -v[195:196], v[199:200], 1.0
	v_fma_f64 v[199:200], v[199:200], v[201:202], v[199:200]
	v_fma_f64 v[201:202], -v[195:196], v[199:200], 1.0
	v_fma_f64 v[199:200], v[199:200], v[201:202], v[199:200]
	v_div_scale_f64 v[201:202], vcc_lo, 1.0, v[193:194], 1.0
	v_mul_f64 v[203:204], v[201:202], v[199:200]
	v_fma_f64 v[195:196], -v[195:196], v[203:204], v[201:202]
	v_div_fmas_f64 v[195:196], v[195:196], v[199:200], v[203:204]
	v_div_fixup_f64 v[199:200], v[195:196], v[193:194], 1.0
                                        ; implicit-def: $vgpr193_vgpr194
	v_mul_f64 v[197:198], v[197:198], v[199:200]
	v_xor_b32_e32 v200, 0x80000000, v200
.LBB95_23:
	s_andn2_saveexec_b32 s1, s1
	s_cbranch_execz .LBB95_25
; %bb.24:
	v_div_scale_f64 v[197:198], null, v[193:194], v[193:194], v[195:196]
	v_div_scale_f64 v[203:204], vcc_lo, v[195:196], v[193:194], v[195:196]
	v_rcp_f64_e32 v[199:200], v[197:198]
	v_fma_f64 v[201:202], -v[197:198], v[199:200], 1.0
	v_fma_f64 v[199:200], v[199:200], v[201:202], v[199:200]
	v_fma_f64 v[201:202], -v[197:198], v[199:200], 1.0
	v_fma_f64 v[199:200], v[199:200], v[201:202], v[199:200]
	v_mul_f64 v[201:202], v[203:204], v[199:200]
	v_fma_f64 v[197:198], -v[197:198], v[201:202], v[203:204]
	v_div_fmas_f64 v[197:198], v[197:198], v[199:200], v[201:202]
	v_div_fixup_f64 v[199:200], v[197:198], v[193:194], v[195:196]
	v_fma_f64 v[193:194], v[195:196], v[199:200], v[193:194]
	v_div_scale_f64 v[195:196], null, v[193:194], v[193:194], 1.0
	v_rcp_f64_e32 v[197:198], v[195:196]
	v_fma_f64 v[201:202], -v[195:196], v[197:198], 1.0
	v_fma_f64 v[197:198], v[197:198], v[201:202], v[197:198]
	v_fma_f64 v[201:202], -v[195:196], v[197:198], 1.0
	v_fma_f64 v[197:198], v[197:198], v[201:202], v[197:198]
	v_div_scale_f64 v[201:202], vcc_lo, 1.0, v[193:194], 1.0
	v_mul_f64 v[203:204], v[201:202], v[197:198]
	v_fma_f64 v[195:196], -v[195:196], v[203:204], v[201:202]
	v_div_fmas_f64 v[195:196], v[195:196], v[197:198], v[203:204]
	v_div_fixup_f64 v[197:198], v[195:196], v[193:194], 1.0
	v_mul_f64 v[199:200], v[199:200], -v[197:198]
.LBB95_25:
	s_or_b32 exec_lo, exec_lo, s1
	ds_write2_b64 v255, v[197:198], v[199:200] offset1:1
.LBB95_26:
	s_or_b32 exec_lo, exec_lo, s2
	s_waitcnt lgkmcnt(0)
	s_barrier
	buffer_gl0_inv
	ds_read2_b64 v[177:180], v255 offset1:1
	s_mov_b32 s1, exec_lo
	s_waitcnt lgkmcnt(0)
	buffer_store_dword v177, off, s[16:19], 0 offset:376 ; 4-byte Folded Spill
	buffer_store_dword v178, off, s[16:19], 0 offset:380 ; 4-byte Folded Spill
	;; [unrolled: 1-line block ×4, first 2 shown]
	v_cmpx_lt_u32_e32 2, v0
	s_cbranch_execz .LBB95_28
; %bb.27:
	s_clause 0x3
	buffer_load_dword v177, off, s[16:19], 0 offset:376
	buffer_load_dword v178, off, s[16:19], 0 offset:380
	;; [unrolled: 1-line block ×4, first 2 shown]
	ds_read2_b64 v[195:198], v253 offset0:6 offset1:7
	s_waitcnt vmcnt(0)
	v_mul_f64 v[193:194], v[179:180], v[183:184]
	v_mul_f64 v[183:184], v[177:178], v[183:184]
	v_fma_f64 v[193:194], v[177:178], v[181:182], -v[193:194]
	v_fma_f64 v[183:184], v[179:180], v[181:182], v[183:184]
	s_clause 0x3
	buffer_load_dword v177, off, s[16:19], 0
	buffer_load_dword v178, off, s[16:19], 0 offset:4
	buffer_load_dword v179, off, s[16:19], 0 offset:8
	;; [unrolled: 1-line block ×3, first 2 shown]
	s_waitcnt lgkmcnt(0)
	v_mul_f64 v[181:182], v[197:198], v[183:184]
	v_fma_f64 v[181:182], v[195:196], v[193:194], -v[181:182]
	v_mul_f64 v[195:196], v[195:196], v[183:184]
	v_fma_f64 v[195:196], v[197:198], v[193:194], v[195:196]
	s_waitcnt vmcnt(2)
	v_add_f64 v[177:178], v[177:178], -v[181:182]
	s_waitcnt vmcnt(0)
	v_add_f64 v[179:180], v[179:180], -v[195:196]
	buffer_store_dword v177, off, s[16:19], 0 ; 4-byte Folded Spill
	buffer_store_dword v178, off, s[16:19], 0 offset:4 ; 4-byte Folded Spill
	buffer_store_dword v179, off, s[16:19], 0 offset:8 ; 4-byte Folded Spill
	;; [unrolled: 1-line block ×3, first 2 shown]
	ds_read2_b64 v[195:198], v253 offset0:8 offset1:9
	s_waitcnt lgkmcnt(0)
	v_mul_f64 v[181:182], v[197:198], v[183:184]
	v_fma_f64 v[181:182], v[195:196], v[193:194], -v[181:182]
	v_mul_f64 v[195:196], v[195:196], v[183:184]
	v_add_f64 v[173:174], v[173:174], -v[181:182]
	v_fma_f64 v[195:196], v[197:198], v[193:194], v[195:196]
	v_add_f64 v[175:176], v[175:176], -v[195:196]
	ds_read2_b64 v[195:198], v253 offset0:10 offset1:11
	s_waitcnt lgkmcnt(0)
	v_mul_f64 v[181:182], v[197:198], v[183:184]
	v_fma_f64 v[181:182], v[195:196], v[193:194], -v[181:182]
	v_mul_f64 v[195:196], v[195:196], v[183:184]
	v_add_f64 v[225:226], v[225:226], -v[181:182]
	v_fma_f64 v[195:196], v[197:198], v[193:194], v[195:196]
	v_add_f64 v[227:228], v[227:228], -v[195:196]
	;; [unrolled: 8-line block ×43, first 2 shown]
	ds_read2_b64 v[195:198], v253 offset0:94 offset1:95
	s_waitcnt lgkmcnt(0)
	v_mul_f64 v[181:182], v[197:198], v[183:184]
	v_fma_f64 v[181:182], v[195:196], v[193:194], -v[181:182]
	v_mul_f64 v[195:196], v[195:196], v[183:184]
	v_add_f64 v[1:2], v[1:2], -v[181:182]
	v_fma_f64 v[195:196], v[197:198], v[193:194], v[195:196]
	v_mov_b32_e32 v181, v193
	v_mov_b32_e32 v182, v194
	v_add_f64 v[3:4], v[3:4], -v[195:196]
.LBB95_28:
	s_or_b32 exec_lo, exec_lo, s1
	s_mov_b32 s2, exec_lo
	s_waitcnt_vscnt null, 0x0
	s_barrier
	buffer_gl0_inv
	v_cmpx_eq_u32_e32 3, v0
	s_cbranch_execz .LBB95_35
; %bb.29:
	s_clause 0x3
	buffer_load_dword v177, off, s[16:19], 0
	buffer_load_dword v178, off, s[16:19], 0 offset:4
	buffer_load_dword v179, off, s[16:19], 0 offset:8
	;; [unrolled: 1-line block ×3, first 2 shown]
	s_waitcnt vmcnt(0)
	ds_write2_b64 v255, v[177:178], v[179:180] offset1:1
	ds_write2_b64 v253, v[173:174], v[175:176] offset0:8 offset1:9
	ds_write2_b64 v253, v[225:226], v[227:228] offset0:10 offset1:11
	;; [unrolled: 1-line block ×44, first 2 shown]
	ds_read2_b64 v[193:196], v255 offset1:1
	s_waitcnt lgkmcnt(0)
	v_cmp_neq_f64_e32 vcc_lo, 0, v[193:194]
	v_cmp_neq_f64_e64 s1, 0, v[195:196]
	s_or_b32 s1, vcc_lo, s1
	s_and_b32 exec_lo, exec_lo, s1
	s_cbranch_execz .LBB95_35
; %bb.30:
	v_cmp_ngt_f64_e64 s1, |v[193:194]|, |v[195:196]|
                                        ; implicit-def: $vgpr197_vgpr198
	s_and_saveexec_b32 s3, s1
	s_xor_b32 s1, exec_lo, s3
                                        ; implicit-def: $vgpr199_vgpr200
	s_cbranch_execz .LBB95_32
; %bb.31:
	v_div_scale_f64 v[197:198], null, v[195:196], v[195:196], v[193:194]
	v_div_scale_f64 v[203:204], vcc_lo, v[193:194], v[195:196], v[193:194]
	v_rcp_f64_e32 v[199:200], v[197:198]
	v_fma_f64 v[201:202], -v[197:198], v[199:200], 1.0
	v_fma_f64 v[199:200], v[199:200], v[201:202], v[199:200]
	v_fma_f64 v[201:202], -v[197:198], v[199:200], 1.0
	v_fma_f64 v[199:200], v[199:200], v[201:202], v[199:200]
	v_mul_f64 v[201:202], v[203:204], v[199:200]
	v_fma_f64 v[197:198], -v[197:198], v[201:202], v[203:204]
	v_div_fmas_f64 v[197:198], v[197:198], v[199:200], v[201:202]
	v_div_fixup_f64 v[197:198], v[197:198], v[195:196], v[193:194]
	v_fma_f64 v[193:194], v[193:194], v[197:198], v[195:196]
	v_div_scale_f64 v[195:196], null, v[193:194], v[193:194], 1.0
	v_rcp_f64_e32 v[199:200], v[195:196]
	v_fma_f64 v[201:202], -v[195:196], v[199:200], 1.0
	v_fma_f64 v[199:200], v[199:200], v[201:202], v[199:200]
	v_fma_f64 v[201:202], -v[195:196], v[199:200], 1.0
	v_fma_f64 v[199:200], v[199:200], v[201:202], v[199:200]
	v_div_scale_f64 v[201:202], vcc_lo, 1.0, v[193:194], 1.0
	v_mul_f64 v[203:204], v[201:202], v[199:200]
	v_fma_f64 v[195:196], -v[195:196], v[203:204], v[201:202]
	v_div_fmas_f64 v[195:196], v[195:196], v[199:200], v[203:204]
	v_div_fixup_f64 v[199:200], v[195:196], v[193:194], 1.0
                                        ; implicit-def: $vgpr193_vgpr194
	v_mul_f64 v[197:198], v[197:198], v[199:200]
	v_xor_b32_e32 v200, 0x80000000, v200
.LBB95_32:
	s_andn2_saveexec_b32 s1, s1
	s_cbranch_execz .LBB95_34
; %bb.33:
	v_div_scale_f64 v[197:198], null, v[193:194], v[193:194], v[195:196]
	v_div_scale_f64 v[203:204], vcc_lo, v[195:196], v[193:194], v[195:196]
	v_rcp_f64_e32 v[199:200], v[197:198]
	v_fma_f64 v[201:202], -v[197:198], v[199:200], 1.0
	v_fma_f64 v[199:200], v[199:200], v[201:202], v[199:200]
	v_fma_f64 v[201:202], -v[197:198], v[199:200], 1.0
	v_fma_f64 v[199:200], v[199:200], v[201:202], v[199:200]
	v_mul_f64 v[201:202], v[203:204], v[199:200]
	v_fma_f64 v[197:198], -v[197:198], v[201:202], v[203:204]
	v_div_fmas_f64 v[197:198], v[197:198], v[199:200], v[201:202]
	v_div_fixup_f64 v[199:200], v[197:198], v[193:194], v[195:196]
	v_fma_f64 v[193:194], v[195:196], v[199:200], v[193:194]
	v_div_scale_f64 v[195:196], null, v[193:194], v[193:194], 1.0
	v_rcp_f64_e32 v[197:198], v[195:196]
	v_fma_f64 v[201:202], -v[195:196], v[197:198], 1.0
	v_fma_f64 v[197:198], v[197:198], v[201:202], v[197:198]
	v_fma_f64 v[201:202], -v[195:196], v[197:198], 1.0
	v_fma_f64 v[197:198], v[197:198], v[201:202], v[197:198]
	v_div_scale_f64 v[201:202], vcc_lo, 1.0, v[193:194], 1.0
	v_mul_f64 v[203:204], v[201:202], v[197:198]
	v_fma_f64 v[195:196], -v[195:196], v[203:204], v[201:202]
	v_div_fmas_f64 v[195:196], v[195:196], v[197:198], v[203:204]
	v_div_fixup_f64 v[197:198], v[195:196], v[193:194], 1.0
	v_mul_f64 v[199:200], v[199:200], -v[197:198]
.LBB95_34:
	s_or_b32 exec_lo, exec_lo, s1
	ds_write2_b64 v255, v[197:198], v[199:200] offset1:1
.LBB95_35:
	s_or_b32 exec_lo, exec_lo, s2
	s_waitcnt lgkmcnt(0)
	s_barrier
	buffer_gl0_inv
	ds_read2_b64 v[177:180], v255 offset1:1
	s_mov_b32 s1, exec_lo
	s_waitcnt lgkmcnt(0)
	buffer_store_dword v177, off, s[16:19], 0 offset:392 ; 4-byte Folded Spill
	buffer_store_dword v178, off, s[16:19], 0 offset:396 ; 4-byte Folded Spill
	buffer_store_dword v179, off, s[16:19], 0 offset:400 ; 4-byte Folded Spill
	buffer_store_dword v180, off, s[16:19], 0 offset:404 ; 4-byte Folded Spill
	v_cmpx_lt_u32_e32 3, v0
	s_cbranch_execz .LBB95_37
; %bb.36:
	s_clause 0x7
	buffer_load_dword v195, off, s[16:19], 0 offset:392
	buffer_load_dword v196, off, s[16:19], 0 offset:396
	;; [unrolled: 1-line block ×4, first 2 shown]
	buffer_load_dword v177, off, s[16:19], 0
	buffer_load_dword v178, off, s[16:19], 0 offset:4
	buffer_load_dword v179, off, s[16:19], 0 offset:8
	;; [unrolled: 1-line block ×3, first 2 shown]
	s_waitcnt vmcnt(0)
	v_mul_f64 v[193:194], v[197:198], v[179:180]
	v_mul_f64 v[179:180], v[195:196], v[179:180]
	v_fma_f64 v[193:194], v[195:196], v[177:178], -v[193:194]
	v_fma_f64 v[179:180], v[197:198], v[177:178], v[179:180]
	ds_read2_b64 v[195:198], v253 offset0:8 offset1:9
	s_waitcnt lgkmcnt(0)
	v_mul_f64 v[177:178], v[197:198], v[179:180]
	v_fma_f64 v[177:178], v[195:196], v[193:194], -v[177:178]
	v_mul_f64 v[195:196], v[195:196], v[179:180]
	v_add_f64 v[173:174], v[173:174], -v[177:178]
	v_fma_f64 v[195:196], v[197:198], v[193:194], v[195:196]
	v_add_f64 v[175:176], v[175:176], -v[195:196]
	ds_read2_b64 v[195:198], v253 offset0:10 offset1:11
	s_waitcnt lgkmcnt(0)
	v_mul_f64 v[177:178], v[197:198], v[179:180]
	v_fma_f64 v[177:178], v[195:196], v[193:194], -v[177:178]
	v_mul_f64 v[195:196], v[195:196], v[179:180]
	v_add_f64 v[225:226], v[225:226], -v[177:178]
	v_fma_f64 v[195:196], v[197:198], v[193:194], v[195:196]
	v_add_f64 v[227:228], v[227:228], -v[195:196]
	;; [unrolled: 8-line block ×43, first 2 shown]
	ds_read2_b64 v[195:198], v253 offset0:94 offset1:95
	s_waitcnt lgkmcnt(0)
	v_mul_f64 v[177:178], v[197:198], v[179:180]
	v_fma_f64 v[177:178], v[195:196], v[193:194], -v[177:178]
	v_mul_f64 v[195:196], v[195:196], v[179:180]
	v_add_f64 v[1:2], v[1:2], -v[177:178]
	v_fma_f64 v[195:196], v[197:198], v[193:194], v[195:196]
	v_mov_b32_e32 v177, v193
	v_mov_b32_e32 v178, v194
	buffer_store_dword v177, off, s[16:19], 0 ; 4-byte Folded Spill
	buffer_store_dword v178, off, s[16:19], 0 offset:4 ; 4-byte Folded Spill
	buffer_store_dword v179, off, s[16:19], 0 offset:8 ; 4-byte Folded Spill
	;; [unrolled: 1-line block ×3, first 2 shown]
	v_add_f64 v[3:4], v[3:4], -v[195:196]
.LBB95_37:
	s_or_b32 exec_lo, exec_lo, s1
	s_mov_b32 s2, exec_lo
	s_waitcnt_vscnt null, 0x0
	s_barrier
	buffer_gl0_inv
	v_cmpx_eq_u32_e32 4, v0
	s_cbranch_execz .LBB95_44
; %bb.38:
	ds_write2_b64 v255, v[173:174], v[175:176] offset1:1
	ds_write2_b64 v253, v[225:226], v[227:228] offset0:10 offset1:11
	ds_write2_b64 v253, v[165:166], v[167:168] offset0:12 offset1:13
	;; [unrolled: 1-line block ×43, first 2 shown]
	ds_read2_b64 v[193:196], v255 offset1:1
	s_waitcnt lgkmcnt(0)
	v_cmp_neq_f64_e32 vcc_lo, 0, v[193:194]
	v_cmp_neq_f64_e64 s1, 0, v[195:196]
	s_or_b32 s1, vcc_lo, s1
	s_and_b32 exec_lo, exec_lo, s1
	s_cbranch_execz .LBB95_44
; %bb.39:
	v_cmp_ngt_f64_e64 s1, |v[193:194]|, |v[195:196]|
                                        ; implicit-def: $vgpr197_vgpr198
	s_and_saveexec_b32 s3, s1
	s_xor_b32 s1, exec_lo, s3
                                        ; implicit-def: $vgpr199_vgpr200
	s_cbranch_execz .LBB95_41
; %bb.40:
	v_div_scale_f64 v[197:198], null, v[195:196], v[195:196], v[193:194]
	v_div_scale_f64 v[203:204], vcc_lo, v[193:194], v[195:196], v[193:194]
	v_rcp_f64_e32 v[199:200], v[197:198]
	v_fma_f64 v[201:202], -v[197:198], v[199:200], 1.0
	v_fma_f64 v[199:200], v[199:200], v[201:202], v[199:200]
	v_fma_f64 v[201:202], -v[197:198], v[199:200], 1.0
	v_fma_f64 v[199:200], v[199:200], v[201:202], v[199:200]
	v_mul_f64 v[201:202], v[203:204], v[199:200]
	v_fma_f64 v[197:198], -v[197:198], v[201:202], v[203:204]
	v_div_fmas_f64 v[197:198], v[197:198], v[199:200], v[201:202]
	v_div_fixup_f64 v[197:198], v[197:198], v[195:196], v[193:194]
	v_fma_f64 v[193:194], v[193:194], v[197:198], v[195:196]
	v_div_scale_f64 v[195:196], null, v[193:194], v[193:194], 1.0
	v_rcp_f64_e32 v[199:200], v[195:196]
	v_fma_f64 v[201:202], -v[195:196], v[199:200], 1.0
	v_fma_f64 v[199:200], v[199:200], v[201:202], v[199:200]
	v_fma_f64 v[201:202], -v[195:196], v[199:200], 1.0
	v_fma_f64 v[199:200], v[199:200], v[201:202], v[199:200]
	v_div_scale_f64 v[201:202], vcc_lo, 1.0, v[193:194], 1.0
	v_mul_f64 v[203:204], v[201:202], v[199:200]
	v_fma_f64 v[195:196], -v[195:196], v[203:204], v[201:202]
	v_div_fmas_f64 v[195:196], v[195:196], v[199:200], v[203:204]
	v_div_fixup_f64 v[199:200], v[195:196], v[193:194], 1.0
                                        ; implicit-def: $vgpr193_vgpr194
	v_mul_f64 v[197:198], v[197:198], v[199:200]
	v_xor_b32_e32 v200, 0x80000000, v200
.LBB95_41:
	s_andn2_saveexec_b32 s1, s1
	s_cbranch_execz .LBB95_43
; %bb.42:
	v_div_scale_f64 v[197:198], null, v[193:194], v[193:194], v[195:196]
	v_div_scale_f64 v[203:204], vcc_lo, v[195:196], v[193:194], v[195:196]
	v_rcp_f64_e32 v[199:200], v[197:198]
	v_fma_f64 v[201:202], -v[197:198], v[199:200], 1.0
	v_fma_f64 v[199:200], v[199:200], v[201:202], v[199:200]
	v_fma_f64 v[201:202], -v[197:198], v[199:200], 1.0
	v_fma_f64 v[199:200], v[199:200], v[201:202], v[199:200]
	v_mul_f64 v[201:202], v[203:204], v[199:200]
	v_fma_f64 v[197:198], -v[197:198], v[201:202], v[203:204]
	v_div_fmas_f64 v[197:198], v[197:198], v[199:200], v[201:202]
	v_div_fixup_f64 v[199:200], v[197:198], v[193:194], v[195:196]
	v_fma_f64 v[193:194], v[195:196], v[199:200], v[193:194]
	v_div_scale_f64 v[195:196], null, v[193:194], v[193:194], 1.0
	v_rcp_f64_e32 v[197:198], v[195:196]
	v_fma_f64 v[201:202], -v[195:196], v[197:198], 1.0
	v_fma_f64 v[197:198], v[197:198], v[201:202], v[197:198]
	v_fma_f64 v[201:202], -v[195:196], v[197:198], 1.0
	v_fma_f64 v[197:198], v[197:198], v[201:202], v[197:198]
	v_div_scale_f64 v[201:202], vcc_lo, 1.0, v[193:194], 1.0
	v_mul_f64 v[203:204], v[201:202], v[197:198]
	v_fma_f64 v[195:196], -v[195:196], v[203:204], v[201:202]
	v_div_fmas_f64 v[195:196], v[195:196], v[197:198], v[203:204]
	v_div_fixup_f64 v[197:198], v[195:196], v[193:194], 1.0
	v_mul_f64 v[199:200], v[199:200], -v[197:198]
.LBB95_43:
	s_or_b32 exec_lo, exec_lo, s1
	ds_write2_b64 v255, v[197:198], v[199:200] offset1:1
.LBB95_44:
	s_or_b32 exec_lo, exec_lo, s2
	s_waitcnt lgkmcnt(0)
	s_barrier
	buffer_gl0_inv
	ds_read2_b64 v[177:180], v255 offset1:1
	s_mov_b32 s1, exec_lo
	v_cmpx_lt_u32_e32 4, v0
	s_cbranch_execz .LBB95_46
; %bb.45:
	s_waitcnt lgkmcnt(0)
	v_mul_f64 v[193:194], v[179:180], v[175:176]
	v_mul_f64 v[175:176], v[177:178], v[175:176]
	ds_read2_b64 v[195:198], v253 offset0:10 offset1:11
	v_fma_f64 v[193:194], v[177:178], v[173:174], -v[193:194]
	v_fma_f64 v[175:176], v[179:180], v[173:174], v[175:176]
	s_waitcnt lgkmcnt(0)
	v_mul_f64 v[173:174], v[197:198], v[175:176]
	v_fma_f64 v[173:174], v[195:196], v[193:194], -v[173:174]
	v_mul_f64 v[195:196], v[195:196], v[175:176]
	v_add_f64 v[225:226], v[225:226], -v[173:174]
	v_fma_f64 v[195:196], v[197:198], v[193:194], v[195:196]
	v_add_f64 v[227:228], v[227:228], -v[195:196]
	ds_read2_b64 v[195:198], v253 offset0:12 offset1:13
	s_waitcnt lgkmcnt(0)
	v_mul_f64 v[173:174], v[197:198], v[175:176]
	v_fma_f64 v[173:174], v[195:196], v[193:194], -v[173:174]
	v_mul_f64 v[195:196], v[195:196], v[175:176]
	v_add_f64 v[165:166], v[165:166], -v[173:174]
	v_fma_f64 v[195:196], v[197:198], v[193:194], v[195:196]
	v_add_f64 v[167:168], v[167:168], -v[195:196]
	ds_read2_b64 v[195:198], v253 offset0:14 offset1:15
	;; [unrolled: 8-line block ×42, first 2 shown]
	s_waitcnt lgkmcnt(0)
	v_mul_f64 v[173:174], v[197:198], v[175:176]
	v_fma_f64 v[173:174], v[195:196], v[193:194], -v[173:174]
	v_mul_f64 v[195:196], v[195:196], v[175:176]
	v_add_f64 v[1:2], v[1:2], -v[173:174]
	v_fma_f64 v[195:196], v[197:198], v[193:194], v[195:196]
	v_mov_b32_e32 v173, v193
	v_mov_b32_e32 v174, v194
	v_add_f64 v[3:4], v[3:4], -v[195:196]
.LBB95_46:
	s_or_b32 exec_lo, exec_lo, s1
	s_mov_b32 s2, exec_lo
	s_waitcnt lgkmcnt(0)
	s_barrier
	buffer_gl0_inv
	v_cmpx_eq_u32_e32 5, v0
	s_cbranch_execz .LBB95_53
; %bb.47:
	ds_write2_b64 v255, v[225:226], v[227:228] offset1:1
	ds_write2_b64 v253, v[165:166], v[167:168] offset0:12 offset1:13
	ds_write2_b64 v253, v[161:162], v[163:164] offset0:14 offset1:15
	;; [unrolled: 1-line block ×42, first 2 shown]
	ds_read2_b64 v[193:196], v255 offset1:1
	s_waitcnt lgkmcnt(0)
	v_cmp_neq_f64_e32 vcc_lo, 0, v[193:194]
	v_cmp_neq_f64_e64 s1, 0, v[195:196]
	s_or_b32 s1, vcc_lo, s1
	s_and_b32 exec_lo, exec_lo, s1
	s_cbranch_execz .LBB95_53
; %bb.48:
	v_cmp_ngt_f64_e64 s1, |v[193:194]|, |v[195:196]|
                                        ; implicit-def: $vgpr197_vgpr198
	s_and_saveexec_b32 s3, s1
	s_xor_b32 s1, exec_lo, s3
                                        ; implicit-def: $vgpr199_vgpr200
	s_cbranch_execz .LBB95_50
; %bb.49:
	v_div_scale_f64 v[197:198], null, v[195:196], v[195:196], v[193:194]
	v_div_scale_f64 v[203:204], vcc_lo, v[193:194], v[195:196], v[193:194]
	v_rcp_f64_e32 v[199:200], v[197:198]
	v_fma_f64 v[201:202], -v[197:198], v[199:200], 1.0
	v_fma_f64 v[199:200], v[199:200], v[201:202], v[199:200]
	v_fma_f64 v[201:202], -v[197:198], v[199:200], 1.0
	v_fma_f64 v[199:200], v[199:200], v[201:202], v[199:200]
	v_mul_f64 v[201:202], v[203:204], v[199:200]
	v_fma_f64 v[197:198], -v[197:198], v[201:202], v[203:204]
	v_div_fmas_f64 v[197:198], v[197:198], v[199:200], v[201:202]
	v_div_fixup_f64 v[197:198], v[197:198], v[195:196], v[193:194]
	v_fma_f64 v[193:194], v[193:194], v[197:198], v[195:196]
	v_div_scale_f64 v[195:196], null, v[193:194], v[193:194], 1.0
	v_rcp_f64_e32 v[199:200], v[195:196]
	v_fma_f64 v[201:202], -v[195:196], v[199:200], 1.0
	v_fma_f64 v[199:200], v[199:200], v[201:202], v[199:200]
	v_fma_f64 v[201:202], -v[195:196], v[199:200], 1.0
	v_fma_f64 v[199:200], v[199:200], v[201:202], v[199:200]
	v_div_scale_f64 v[201:202], vcc_lo, 1.0, v[193:194], 1.0
	v_mul_f64 v[203:204], v[201:202], v[199:200]
	v_fma_f64 v[195:196], -v[195:196], v[203:204], v[201:202]
	v_div_fmas_f64 v[195:196], v[195:196], v[199:200], v[203:204]
	v_div_fixup_f64 v[199:200], v[195:196], v[193:194], 1.0
                                        ; implicit-def: $vgpr193_vgpr194
	v_mul_f64 v[197:198], v[197:198], v[199:200]
	v_xor_b32_e32 v200, 0x80000000, v200
.LBB95_50:
	s_andn2_saveexec_b32 s1, s1
	s_cbranch_execz .LBB95_52
; %bb.51:
	v_div_scale_f64 v[197:198], null, v[193:194], v[193:194], v[195:196]
	v_div_scale_f64 v[203:204], vcc_lo, v[195:196], v[193:194], v[195:196]
	v_rcp_f64_e32 v[199:200], v[197:198]
	v_fma_f64 v[201:202], -v[197:198], v[199:200], 1.0
	v_fma_f64 v[199:200], v[199:200], v[201:202], v[199:200]
	v_fma_f64 v[201:202], -v[197:198], v[199:200], 1.0
	v_fma_f64 v[199:200], v[199:200], v[201:202], v[199:200]
	v_mul_f64 v[201:202], v[203:204], v[199:200]
	v_fma_f64 v[197:198], -v[197:198], v[201:202], v[203:204]
	v_div_fmas_f64 v[197:198], v[197:198], v[199:200], v[201:202]
	v_div_fixup_f64 v[199:200], v[197:198], v[193:194], v[195:196]
	v_fma_f64 v[193:194], v[195:196], v[199:200], v[193:194]
	v_div_scale_f64 v[195:196], null, v[193:194], v[193:194], 1.0
	v_rcp_f64_e32 v[197:198], v[195:196]
	v_fma_f64 v[201:202], -v[195:196], v[197:198], 1.0
	v_fma_f64 v[197:198], v[197:198], v[201:202], v[197:198]
	v_fma_f64 v[201:202], -v[195:196], v[197:198], 1.0
	v_fma_f64 v[197:198], v[197:198], v[201:202], v[197:198]
	v_div_scale_f64 v[201:202], vcc_lo, 1.0, v[193:194], 1.0
	v_mul_f64 v[203:204], v[201:202], v[197:198]
	v_fma_f64 v[195:196], -v[195:196], v[203:204], v[201:202]
	v_div_fmas_f64 v[195:196], v[195:196], v[197:198], v[203:204]
	v_div_fixup_f64 v[197:198], v[195:196], v[193:194], 1.0
	v_mul_f64 v[199:200], v[199:200], -v[197:198]
.LBB95_52:
	s_or_b32 exec_lo, exec_lo, s1
	ds_write2_b64 v255, v[197:198], v[199:200] offset1:1
.LBB95_53:
	s_or_b32 exec_lo, exec_lo, s2
	s_waitcnt lgkmcnt(0)
	s_barrier
	buffer_gl0_inv
	ds_read2_b64 v[101:104], v255 offset1:1
	s_mov_b32 s1, exec_lo
	s_waitcnt lgkmcnt(0)
	buffer_store_dword v101, off, s[16:19], 0 offset:496 ; 4-byte Folded Spill
	buffer_store_dword v102, off, s[16:19], 0 offset:500 ; 4-byte Folded Spill
	;; [unrolled: 1-line block ×4, first 2 shown]
	v_cmpx_lt_u32_e32 5, v0
	s_cbranch_execz .LBB95_55
; %bb.54:
	s_clause 0x3
	buffer_load_dword v101, off, s[16:19], 0 offset:496
	buffer_load_dword v102, off, s[16:19], 0 offset:500
	;; [unrolled: 1-line block ×4, first 2 shown]
	ds_read2_b64 v[195:198], v253 offset0:12 offset1:13
	s_waitcnt vmcnt(2)
	v_mul_f64 v[171:172], v[101:102], v[227:228]
	s_waitcnt vmcnt(0)
	v_mul_f64 v[193:194], v[103:104], v[227:228]
	v_fma_f64 v[227:228], v[103:104], v[225:226], v[171:172]
	v_fma_f64 v[193:194], v[101:102], v[225:226], -v[193:194]
	s_waitcnt lgkmcnt(0)
	v_mul_f64 v[169:170], v[197:198], v[227:228]
	v_mov_b32_e32 v226, v194
	v_mov_b32_e32 v225, v193
	v_fma_f64 v[169:170], v[195:196], v[193:194], -v[169:170]
	v_mul_f64 v[195:196], v[195:196], v[227:228]
	v_add_f64 v[165:166], v[165:166], -v[169:170]
	v_fma_f64 v[195:196], v[197:198], v[193:194], v[195:196]
	v_add_f64 v[167:168], v[167:168], -v[195:196]
	ds_read2_b64 v[195:198], v253 offset0:14 offset1:15
	s_waitcnt lgkmcnt(0)
	v_mul_f64 v[169:170], v[197:198], v[227:228]
	v_fma_f64 v[169:170], v[195:196], v[193:194], -v[169:170]
	v_mul_f64 v[195:196], v[195:196], v[227:228]
	v_add_f64 v[161:162], v[161:162], -v[169:170]
	v_fma_f64 v[195:196], v[197:198], v[193:194], v[195:196]
	v_add_f64 v[163:164], v[163:164], -v[195:196]
	ds_read2_b64 v[195:198], v253 offset0:16 offset1:17
	s_waitcnt lgkmcnt(0)
	v_mul_f64 v[169:170], v[197:198], v[227:228]
	;; [unrolled: 8-line block ×41, first 2 shown]
	v_fma_f64 v[169:170], v[195:196], v[193:194], -v[169:170]
	v_mul_f64 v[195:196], v[195:196], v[227:228]
	v_add_f64 v[1:2], v[1:2], -v[169:170]
	v_fma_f64 v[195:196], v[197:198], v[193:194], v[195:196]
	v_add_f64 v[3:4], v[3:4], -v[195:196]
.LBB95_55:
	s_or_b32 exec_lo, exec_lo, s1
	s_mov_b32 s2, exec_lo
	s_waitcnt_vscnt null, 0x0
	s_barrier
	buffer_gl0_inv
	v_cmpx_eq_u32_e32 6, v0
	s_cbranch_execz .LBB95_62
; %bb.56:
	ds_write2_b64 v255, v[165:166], v[167:168] offset1:1
	ds_write2_b64 v253, v[161:162], v[163:164] offset0:14 offset1:15
	ds_write2_b64 v253, v[157:158], v[159:160] offset0:16 offset1:17
	;; [unrolled: 1-line block ×41, first 2 shown]
	ds_read2_b64 v[193:196], v255 offset1:1
	s_waitcnt lgkmcnt(0)
	v_cmp_neq_f64_e32 vcc_lo, 0, v[193:194]
	v_cmp_neq_f64_e64 s1, 0, v[195:196]
	s_or_b32 s1, vcc_lo, s1
	s_and_b32 exec_lo, exec_lo, s1
	s_cbranch_execz .LBB95_62
; %bb.57:
	v_cmp_ngt_f64_e64 s1, |v[193:194]|, |v[195:196]|
                                        ; implicit-def: $vgpr197_vgpr198
	s_and_saveexec_b32 s3, s1
	s_xor_b32 s1, exec_lo, s3
                                        ; implicit-def: $vgpr199_vgpr200
	s_cbranch_execz .LBB95_59
; %bb.58:
	v_div_scale_f64 v[197:198], null, v[195:196], v[195:196], v[193:194]
	v_div_scale_f64 v[203:204], vcc_lo, v[193:194], v[195:196], v[193:194]
	v_rcp_f64_e32 v[199:200], v[197:198]
	v_fma_f64 v[201:202], -v[197:198], v[199:200], 1.0
	v_fma_f64 v[199:200], v[199:200], v[201:202], v[199:200]
	v_fma_f64 v[201:202], -v[197:198], v[199:200], 1.0
	v_fma_f64 v[199:200], v[199:200], v[201:202], v[199:200]
	v_mul_f64 v[201:202], v[203:204], v[199:200]
	v_fma_f64 v[197:198], -v[197:198], v[201:202], v[203:204]
	v_div_fmas_f64 v[197:198], v[197:198], v[199:200], v[201:202]
	v_div_fixup_f64 v[197:198], v[197:198], v[195:196], v[193:194]
	v_fma_f64 v[193:194], v[193:194], v[197:198], v[195:196]
	v_div_scale_f64 v[195:196], null, v[193:194], v[193:194], 1.0
	v_rcp_f64_e32 v[199:200], v[195:196]
	v_fma_f64 v[201:202], -v[195:196], v[199:200], 1.0
	v_fma_f64 v[199:200], v[199:200], v[201:202], v[199:200]
	v_fma_f64 v[201:202], -v[195:196], v[199:200], 1.0
	v_fma_f64 v[199:200], v[199:200], v[201:202], v[199:200]
	v_div_scale_f64 v[201:202], vcc_lo, 1.0, v[193:194], 1.0
	v_mul_f64 v[203:204], v[201:202], v[199:200]
	v_fma_f64 v[195:196], -v[195:196], v[203:204], v[201:202]
	v_div_fmas_f64 v[195:196], v[195:196], v[199:200], v[203:204]
	v_div_fixup_f64 v[199:200], v[195:196], v[193:194], 1.0
                                        ; implicit-def: $vgpr193_vgpr194
	v_mul_f64 v[197:198], v[197:198], v[199:200]
	v_xor_b32_e32 v200, 0x80000000, v200
.LBB95_59:
	s_andn2_saveexec_b32 s1, s1
	s_cbranch_execz .LBB95_61
; %bb.60:
	v_div_scale_f64 v[197:198], null, v[193:194], v[193:194], v[195:196]
	v_div_scale_f64 v[203:204], vcc_lo, v[195:196], v[193:194], v[195:196]
	v_rcp_f64_e32 v[199:200], v[197:198]
	v_fma_f64 v[201:202], -v[197:198], v[199:200], 1.0
	v_fma_f64 v[199:200], v[199:200], v[201:202], v[199:200]
	v_fma_f64 v[201:202], -v[197:198], v[199:200], 1.0
	v_fma_f64 v[199:200], v[199:200], v[201:202], v[199:200]
	v_mul_f64 v[201:202], v[203:204], v[199:200]
	v_fma_f64 v[197:198], -v[197:198], v[201:202], v[203:204]
	v_div_fmas_f64 v[197:198], v[197:198], v[199:200], v[201:202]
	v_div_fixup_f64 v[199:200], v[197:198], v[193:194], v[195:196]
	v_fma_f64 v[193:194], v[195:196], v[199:200], v[193:194]
	v_div_scale_f64 v[195:196], null, v[193:194], v[193:194], 1.0
	v_rcp_f64_e32 v[197:198], v[195:196]
	v_fma_f64 v[201:202], -v[195:196], v[197:198], 1.0
	v_fma_f64 v[197:198], v[197:198], v[201:202], v[197:198]
	v_fma_f64 v[201:202], -v[195:196], v[197:198], 1.0
	v_fma_f64 v[197:198], v[197:198], v[201:202], v[197:198]
	v_div_scale_f64 v[201:202], vcc_lo, 1.0, v[193:194], 1.0
	v_mul_f64 v[203:204], v[201:202], v[197:198]
	v_fma_f64 v[195:196], -v[195:196], v[203:204], v[201:202]
	v_div_fmas_f64 v[195:196], v[195:196], v[197:198], v[203:204]
	v_div_fixup_f64 v[197:198], v[195:196], v[193:194], 1.0
	v_mul_f64 v[199:200], v[199:200], -v[197:198]
.LBB95_61:
	s_or_b32 exec_lo, exec_lo, s1
	ds_write2_b64 v255, v[197:198], v[199:200] offset1:1
.LBB95_62:
	s_or_b32 exec_lo, exec_lo, s2
	s_waitcnt lgkmcnt(0)
	s_barrier
	buffer_gl0_inv
	ds_read2_b64 v[101:104], v255 offset1:1
	s_mov_b32 s1, exec_lo
	s_waitcnt lgkmcnt(0)
	buffer_store_dword v101, off, s[16:19], 0 offset:928 ; 4-byte Folded Spill
	buffer_store_dword v102, off, s[16:19], 0 offset:932 ; 4-byte Folded Spill
	;; [unrolled: 1-line block ×4, first 2 shown]
	v_cmpx_lt_u32_e32 6, v0
	s_cbranch_execz .LBB95_64
; %bb.63:
	s_clause 0x3
	buffer_load_dword v101, off, s[16:19], 0 offset:928
	buffer_load_dword v102, off, s[16:19], 0 offset:932
	;; [unrolled: 1-line block ×4, first 2 shown]
	ds_read2_b64 v[195:198], v253 offset0:14 offset1:15
	s_waitcnt vmcnt(0)
	v_mul_f64 v[193:194], v[103:104], v[167:168]
	v_mul_f64 v[167:168], v[101:102], v[167:168]
	v_fma_f64 v[193:194], v[101:102], v[165:166], -v[193:194]
	v_fma_f64 v[167:168], v[103:104], v[165:166], v[167:168]
	s_waitcnt lgkmcnt(0)
	v_mul_f64 v[165:166], v[197:198], v[167:168]
	v_fma_f64 v[165:166], v[195:196], v[193:194], -v[165:166]
	v_mul_f64 v[195:196], v[195:196], v[167:168]
	v_add_f64 v[161:162], v[161:162], -v[165:166]
	v_fma_f64 v[195:196], v[197:198], v[193:194], v[195:196]
	v_add_f64 v[163:164], v[163:164], -v[195:196]
	ds_read2_b64 v[195:198], v253 offset0:16 offset1:17
	s_waitcnt lgkmcnt(0)
	v_mul_f64 v[165:166], v[197:198], v[167:168]
	v_fma_f64 v[165:166], v[195:196], v[193:194], -v[165:166]
	v_mul_f64 v[195:196], v[195:196], v[167:168]
	v_add_f64 v[157:158], v[157:158], -v[165:166]
	v_fma_f64 v[195:196], v[197:198], v[193:194], v[195:196]
	v_add_f64 v[159:160], v[159:160], -v[195:196]
	ds_read2_b64 v[195:198], v253 offset0:18 offset1:19
	;; [unrolled: 8-line block ×40, first 2 shown]
	s_waitcnt lgkmcnt(0)
	v_mul_f64 v[165:166], v[197:198], v[167:168]
	v_fma_f64 v[165:166], v[195:196], v[193:194], -v[165:166]
	v_mul_f64 v[195:196], v[195:196], v[167:168]
	v_add_f64 v[1:2], v[1:2], -v[165:166]
	v_fma_f64 v[195:196], v[197:198], v[193:194], v[195:196]
	v_mov_b32_e32 v165, v193
	v_mov_b32_e32 v166, v194
	v_add_f64 v[3:4], v[3:4], -v[195:196]
.LBB95_64:
	s_or_b32 exec_lo, exec_lo, s1
	s_mov_b32 s2, exec_lo
	s_waitcnt_vscnt null, 0x0
	s_barrier
	buffer_gl0_inv
	v_cmpx_eq_u32_e32 7, v0
	s_cbranch_execz .LBB95_71
; %bb.65:
	ds_write2_b64 v255, v[161:162], v[163:164] offset1:1
	ds_write2_b64 v253, v[157:158], v[159:160] offset0:16 offset1:17
	ds_write2_b64 v253, v[153:154], v[155:156] offset0:18 offset1:19
	;; [unrolled: 1-line block ×40, first 2 shown]
	ds_read2_b64 v[193:196], v255 offset1:1
	s_waitcnt lgkmcnt(0)
	v_cmp_neq_f64_e32 vcc_lo, 0, v[193:194]
	v_cmp_neq_f64_e64 s1, 0, v[195:196]
	s_or_b32 s1, vcc_lo, s1
	s_and_b32 exec_lo, exec_lo, s1
	s_cbranch_execz .LBB95_71
; %bb.66:
	v_cmp_ngt_f64_e64 s1, |v[193:194]|, |v[195:196]|
                                        ; implicit-def: $vgpr197_vgpr198
	s_and_saveexec_b32 s3, s1
	s_xor_b32 s1, exec_lo, s3
                                        ; implicit-def: $vgpr199_vgpr200
	s_cbranch_execz .LBB95_68
; %bb.67:
	v_div_scale_f64 v[197:198], null, v[195:196], v[195:196], v[193:194]
	v_div_scale_f64 v[203:204], vcc_lo, v[193:194], v[195:196], v[193:194]
	v_rcp_f64_e32 v[199:200], v[197:198]
	v_fma_f64 v[201:202], -v[197:198], v[199:200], 1.0
	v_fma_f64 v[199:200], v[199:200], v[201:202], v[199:200]
	v_fma_f64 v[201:202], -v[197:198], v[199:200], 1.0
	v_fma_f64 v[199:200], v[199:200], v[201:202], v[199:200]
	v_mul_f64 v[201:202], v[203:204], v[199:200]
	v_fma_f64 v[197:198], -v[197:198], v[201:202], v[203:204]
	v_div_fmas_f64 v[197:198], v[197:198], v[199:200], v[201:202]
	v_div_fixup_f64 v[197:198], v[197:198], v[195:196], v[193:194]
	v_fma_f64 v[193:194], v[193:194], v[197:198], v[195:196]
	v_div_scale_f64 v[195:196], null, v[193:194], v[193:194], 1.0
	v_rcp_f64_e32 v[199:200], v[195:196]
	v_fma_f64 v[201:202], -v[195:196], v[199:200], 1.0
	v_fma_f64 v[199:200], v[199:200], v[201:202], v[199:200]
	v_fma_f64 v[201:202], -v[195:196], v[199:200], 1.0
	v_fma_f64 v[199:200], v[199:200], v[201:202], v[199:200]
	v_div_scale_f64 v[201:202], vcc_lo, 1.0, v[193:194], 1.0
	v_mul_f64 v[203:204], v[201:202], v[199:200]
	v_fma_f64 v[195:196], -v[195:196], v[203:204], v[201:202]
	v_div_fmas_f64 v[195:196], v[195:196], v[199:200], v[203:204]
	v_div_fixup_f64 v[199:200], v[195:196], v[193:194], 1.0
                                        ; implicit-def: $vgpr193_vgpr194
	v_mul_f64 v[197:198], v[197:198], v[199:200]
	v_xor_b32_e32 v200, 0x80000000, v200
.LBB95_68:
	s_andn2_saveexec_b32 s1, s1
	s_cbranch_execz .LBB95_70
; %bb.69:
	v_div_scale_f64 v[197:198], null, v[193:194], v[193:194], v[195:196]
	v_div_scale_f64 v[203:204], vcc_lo, v[195:196], v[193:194], v[195:196]
	v_rcp_f64_e32 v[199:200], v[197:198]
	v_fma_f64 v[201:202], -v[197:198], v[199:200], 1.0
	v_fma_f64 v[199:200], v[199:200], v[201:202], v[199:200]
	v_fma_f64 v[201:202], -v[197:198], v[199:200], 1.0
	v_fma_f64 v[199:200], v[199:200], v[201:202], v[199:200]
	v_mul_f64 v[201:202], v[203:204], v[199:200]
	v_fma_f64 v[197:198], -v[197:198], v[201:202], v[203:204]
	v_div_fmas_f64 v[197:198], v[197:198], v[199:200], v[201:202]
	v_div_fixup_f64 v[199:200], v[197:198], v[193:194], v[195:196]
	v_fma_f64 v[193:194], v[195:196], v[199:200], v[193:194]
	v_div_scale_f64 v[195:196], null, v[193:194], v[193:194], 1.0
	v_rcp_f64_e32 v[197:198], v[195:196]
	v_fma_f64 v[201:202], -v[195:196], v[197:198], 1.0
	v_fma_f64 v[197:198], v[197:198], v[201:202], v[197:198]
	v_fma_f64 v[201:202], -v[195:196], v[197:198], 1.0
	v_fma_f64 v[197:198], v[197:198], v[201:202], v[197:198]
	v_div_scale_f64 v[201:202], vcc_lo, 1.0, v[193:194], 1.0
	v_mul_f64 v[203:204], v[201:202], v[197:198]
	v_fma_f64 v[195:196], -v[195:196], v[203:204], v[201:202]
	v_div_fmas_f64 v[195:196], v[195:196], v[197:198], v[203:204]
	v_div_fixup_f64 v[197:198], v[195:196], v[193:194], 1.0
	v_mul_f64 v[199:200], v[199:200], -v[197:198]
.LBB95_70:
	s_or_b32 exec_lo, exec_lo, s1
	ds_write2_b64 v255, v[197:198], v[199:200] offset1:1
.LBB95_71:
	s_or_b32 exec_lo, exec_lo, s2
	s_waitcnt lgkmcnt(0)
	s_barrier
	buffer_gl0_inv
	ds_read2_b64 v[185:188], v255 offset1:1
	s_mov_b32 s1, exec_lo
	s_waitcnt lgkmcnt(0)
	buffer_store_dword v185, off, s[16:19], 0 offset:472 ; 4-byte Folded Spill
	buffer_store_dword v186, off, s[16:19], 0 offset:476 ; 4-byte Folded Spill
	;; [unrolled: 1-line block ×4, first 2 shown]
	v_cmpx_lt_u32_e32 7, v0
	s_cbranch_execz .LBB95_73
; %bb.72:
	s_clause 0x3
	buffer_load_dword v185, off, s[16:19], 0 offset:472
	buffer_load_dword v186, off, s[16:19], 0 offset:476
	buffer_load_dword v187, off, s[16:19], 0 offset:480
	buffer_load_dword v188, off, s[16:19], 0 offset:484
	ds_read2_b64 v[195:198], v253 offset0:16 offset1:17
	s_waitcnt vmcnt(0)
	v_mul_f64 v[193:194], v[187:188], v[163:164]
	v_mul_f64 v[163:164], v[185:186], v[163:164]
	v_fma_f64 v[193:194], v[185:186], v[161:162], -v[193:194]
	v_fma_f64 v[163:164], v[187:188], v[161:162], v[163:164]
	s_waitcnt lgkmcnt(0)
	v_mul_f64 v[161:162], v[197:198], v[163:164]
	v_fma_f64 v[161:162], v[195:196], v[193:194], -v[161:162]
	v_mul_f64 v[195:196], v[195:196], v[163:164]
	v_add_f64 v[157:158], v[157:158], -v[161:162]
	v_fma_f64 v[195:196], v[197:198], v[193:194], v[195:196]
	v_add_f64 v[159:160], v[159:160], -v[195:196]
	ds_read2_b64 v[195:198], v253 offset0:18 offset1:19
	s_waitcnt lgkmcnt(0)
	v_mul_f64 v[161:162], v[197:198], v[163:164]
	v_fma_f64 v[161:162], v[195:196], v[193:194], -v[161:162]
	v_mul_f64 v[195:196], v[195:196], v[163:164]
	v_add_f64 v[153:154], v[153:154], -v[161:162]
	v_fma_f64 v[195:196], v[197:198], v[193:194], v[195:196]
	v_add_f64 v[155:156], v[155:156], -v[195:196]
	ds_read2_b64 v[195:198], v253 offset0:20 offset1:21
	;; [unrolled: 8-line block ×39, first 2 shown]
	s_waitcnt lgkmcnt(0)
	v_mul_f64 v[161:162], v[197:198], v[163:164]
	v_fma_f64 v[161:162], v[195:196], v[193:194], -v[161:162]
	v_mul_f64 v[195:196], v[195:196], v[163:164]
	v_add_f64 v[1:2], v[1:2], -v[161:162]
	v_fma_f64 v[195:196], v[197:198], v[193:194], v[195:196]
	v_mov_b32_e32 v161, v193
	v_mov_b32_e32 v162, v194
	v_add_f64 v[3:4], v[3:4], -v[195:196]
.LBB95_73:
	s_or_b32 exec_lo, exec_lo, s1
	s_mov_b32 s2, exec_lo
	s_waitcnt_vscnt null, 0x0
	s_barrier
	buffer_gl0_inv
	v_cmpx_eq_u32_e32 8, v0
	s_cbranch_execz .LBB95_80
; %bb.74:
	ds_write2_b64 v255, v[157:158], v[159:160] offset1:1
	ds_write2_b64 v253, v[153:154], v[155:156] offset0:18 offset1:19
	ds_write2_b64 v253, v[149:150], v[151:152] offset0:20 offset1:21
	;; [unrolled: 1-line block ×39, first 2 shown]
	ds_read2_b64 v[193:196], v255 offset1:1
	s_waitcnt lgkmcnt(0)
	v_cmp_neq_f64_e32 vcc_lo, 0, v[193:194]
	v_cmp_neq_f64_e64 s1, 0, v[195:196]
	s_or_b32 s1, vcc_lo, s1
	s_and_b32 exec_lo, exec_lo, s1
	s_cbranch_execz .LBB95_80
; %bb.75:
	v_cmp_ngt_f64_e64 s1, |v[193:194]|, |v[195:196]|
                                        ; implicit-def: $vgpr197_vgpr198
	s_and_saveexec_b32 s3, s1
	s_xor_b32 s1, exec_lo, s3
                                        ; implicit-def: $vgpr199_vgpr200
	s_cbranch_execz .LBB95_77
; %bb.76:
	v_div_scale_f64 v[197:198], null, v[195:196], v[195:196], v[193:194]
	v_div_scale_f64 v[203:204], vcc_lo, v[193:194], v[195:196], v[193:194]
	v_rcp_f64_e32 v[199:200], v[197:198]
	v_fma_f64 v[201:202], -v[197:198], v[199:200], 1.0
	v_fma_f64 v[199:200], v[199:200], v[201:202], v[199:200]
	v_fma_f64 v[201:202], -v[197:198], v[199:200], 1.0
	v_fma_f64 v[199:200], v[199:200], v[201:202], v[199:200]
	v_mul_f64 v[201:202], v[203:204], v[199:200]
	v_fma_f64 v[197:198], -v[197:198], v[201:202], v[203:204]
	v_div_fmas_f64 v[197:198], v[197:198], v[199:200], v[201:202]
	v_div_fixup_f64 v[197:198], v[197:198], v[195:196], v[193:194]
	v_fma_f64 v[193:194], v[193:194], v[197:198], v[195:196]
	v_div_scale_f64 v[195:196], null, v[193:194], v[193:194], 1.0
	v_rcp_f64_e32 v[199:200], v[195:196]
	v_fma_f64 v[201:202], -v[195:196], v[199:200], 1.0
	v_fma_f64 v[199:200], v[199:200], v[201:202], v[199:200]
	v_fma_f64 v[201:202], -v[195:196], v[199:200], 1.0
	v_fma_f64 v[199:200], v[199:200], v[201:202], v[199:200]
	v_div_scale_f64 v[201:202], vcc_lo, 1.0, v[193:194], 1.0
	v_mul_f64 v[203:204], v[201:202], v[199:200]
	v_fma_f64 v[195:196], -v[195:196], v[203:204], v[201:202]
	v_div_fmas_f64 v[195:196], v[195:196], v[199:200], v[203:204]
	v_div_fixup_f64 v[199:200], v[195:196], v[193:194], 1.0
                                        ; implicit-def: $vgpr193_vgpr194
	v_mul_f64 v[197:198], v[197:198], v[199:200]
	v_xor_b32_e32 v200, 0x80000000, v200
.LBB95_77:
	s_andn2_saveexec_b32 s1, s1
	s_cbranch_execz .LBB95_79
; %bb.78:
	v_div_scale_f64 v[197:198], null, v[193:194], v[193:194], v[195:196]
	v_div_scale_f64 v[203:204], vcc_lo, v[195:196], v[193:194], v[195:196]
	v_rcp_f64_e32 v[199:200], v[197:198]
	v_fma_f64 v[201:202], -v[197:198], v[199:200], 1.0
	v_fma_f64 v[199:200], v[199:200], v[201:202], v[199:200]
	v_fma_f64 v[201:202], -v[197:198], v[199:200], 1.0
	v_fma_f64 v[199:200], v[199:200], v[201:202], v[199:200]
	v_mul_f64 v[201:202], v[203:204], v[199:200]
	v_fma_f64 v[197:198], -v[197:198], v[201:202], v[203:204]
	v_div_fmas_f64 v[197:198], v[197:198], v[199:200], v[201:202]
	v_div_fixup_f64 v[199:200], v[197:198], v[193:194], v[195:196]
	v_fma_f64 v[193:194], v[195:196], v[199:200], v[193:194]
	v_div_scale_f64 v[195:196], null, v[193:194], v[193:194], 1.0
	v_rcp_f64_e32 v[197:198], v[195:196]
	v_fma_f64 v[201:202], -v[195:196], v[197:198], 1.0
	v_fma_f64 v[197:198], v[197:198], v[201:202], v[197:198]
	v_fma_f64 v[201:202], -v[195:196], v[197:198], 1.0
	v_fma_f64 v[197:198], v[197:198], v[201:202], v[197:198]
	v_div_scale_f64 v[201:202], vcc_lo, 1.0, v[193:194], 1.0
	v_mul_f64 v[203:204], v[201:202], v[197:198]
	v_fma_f64 v[195:196], -v[195:196], v[203:204], v[201:202]
	v_div_fmas_f64 v[195:196], v[195:196], v[197:198], v[203:204]
	v_div_fixup_f64 v[197:198], v[195:196], v[193:194], 1.0
	v_mul_f64 v[199:200], v[199:200], -v[197:198]
.LBB95_79:
	s_or_b32 exec_lo, exec_lo, s1
	ds_write2_b64 v255, v[197:198], v[199:200] offset1:1
.LBB95_80:
	s_or_b32 exec_lo, exec_lo, s2
	s_waitcnt lgkmcnt(0)
	s_barrier
	buffer_gl0_inv
	ds_read2_b64 v[185:188], v255 offset1:1
	s_mov_b32 s1, exec_lo
	v_cmpx_lt_u32_e32 8, v0
	s_cbranch_execz .LBB95_82
; %bb.81:
	s_waitcnt lgkmcnt(0)
	v_mul_f64 v[193:194], v[187:188], v[159:160]
	v_mul_f64 v[159:160], v[185:186], v[159:160]
	ds_read2_b64 v[195:198], v253 offset0:18 offset1:19
	v_fma_f64 v[193:194], v[185:186], v[157:158], -v[193:194]
	v_fma_f64 v[159:160], v[187:188], v[157:158], v[159:160]
	s_waitcnt lgkmcnt(0)
	v_mul_f64 v[157:158], v[197:198], v[159:160]
	v_fma_f64 v[157:158], v[195:196], v[193:194], -v[157:158]
	v_mul_f64 v[195:196], v[195:196], v[159:160]
	v_add_f64 v[153:154], v[153:154], -v[157:158]
	v_fma_f64 v[195:196], v[197:198], v[193:194], v[195:196]
	v_add_f64 v[155:156], v[155:156], -v[195:196]
	ds_read2_b64 v[195:198], v253 offset0:20 offset1:21
	s_waitcnt lgkmcnt(0)
	v_mul_f64 v[157:158], v[197:198], v[159:160]
	v_fma_f64 v[157:158], v[195:196], v[193:194], -v[157:158]
	v_mul_f64 v[195:196], v[195:196], v[159:160]
	v_add_f64 v[149:150], v[149:150], -v[157:158]
	v_fma_f64 v[195:196], v[197:198], v[193:194], v[195:196]
	v_add_f64 v[151:152], v[151:152], -v[195:196]
	ds_read2_b64 v[195:198], v253 offset0:22 offset1:23
	;; [unrolled: 8-line block ×38, first 2 shown]
	s_waitcnt lgkmcnt(0)
	v_mul_f64 v[157:158], v[197:198], v[159:160]
	v_fma_f64 v[157:158], v[195:196], v[193:194], -v[157:158]
	v_mul_f64 v[195:196], v[195:196], v[159:160]
	v_add_f64 v[1:2], v[1:2], -v[157:158]
	v_fma_f64 v[195:196], v[197:198], v[193:194], v[195:196]
	v_mov_b32_e32 v157, v193
	v_mov_b32_e32 v158, v194
	v_add_f64 v[3:4], v[3:4], -v[195:196]
.LBB95_82:
	s_or_b32 exec_lo, exec_lo, s1
	s_mov_b32 s2, exec_lo
	s_waitcnt lgkmcnt(0)
	s_barrier
	buffer_gl0_inv
	v_cmpx_eq_u32_e32 9, v0
	s_cbranch_execz .LBB95_89
; %bb.83:
	ds_write2_b64 v255, v[153:154], v[155:156] offset1:1
	ds_write2_b64 v253, v[149:150], v[151:152] offset0:20 offset1:21
	ds_write2_b64 v253, v[145:146], v[147:148] offset0:22 offset1:23
	;; [unrolled: 1-line block ×38, first 2 shown]
	ds_read2_b64 v[193:196], v255 offset1:1
	s_waitcnt lgkmcnt(0)
	v_cmp_neq_f64_e32 vcc_lo, 0, v[193:194]
	v_cmp_neq_f64_e64 s1, 0, v[195:196]
	s_or_b32 s1, vcc_lo, s1
	s_and_b32 exec_lo, exec_lo, s1
	s_cbranch_execz .LBB95_89
; %bb.84:
	v_cmp_ngt_f64_e64 s1, |v[193:194]|, |v[195:196]|
                                        ; implicit-def: $vgpr197_vgpr198
	s_and_saveexec_b32 s3, s1
	s_xor_b32 s1, exec_lo, s3
                                        ; implicit-def: $vgpr199_vgpr200
	s_cbranch_execz .LBB95_86
; %bb.85:
	v_div_scale_f64 v[197:198], null, v[195:196], v[195:196], v[193:194]
	v_div_scale_f64 v[203:204], vcc_lo, v[193:194], v[195:196], v[193:194]
	v_rcp_f64_e32 v[199:200], v[197:198]
	v_fma_f64 v[201:202], -v[197:198], v[199:200], 1.0
	v_fma_f64 v[199:200], v[199:200], v[201:202], v[199:200]
	v_fma_f64 v[201:202], -v[197:198], v[199:200], 1.0
	v_fma_f64 v[199:200], v[199:200], v[201:202], v[199:200]
	v_mul_f64 v[201:202], v[203:204], v[199:200]
	v_fma_f64 v[197:198], -v[197:198], v[201:202], v[203:204]
	v_div_fmas_f64 v[197:198], v[197:198], v[199:200], v[201:202]
	v_div_fixup_f64 v[197:198], v[197:198], v[195:196], v[193:194]
	v_fma_f64 v[193:194], v[193:194], v[197:198], v[195:196]
	v_div_scale_f64 v[195:196], null, v[193:194], v[193:194], 1.0
	v_rcp_f64_e32 v[199:200], v[195:196]
	v_fma_f64 v[201:202], -v[195:196], v[199:200], 1.0
	v_fma_f64 v[199:200], v[199:200], v[201:202], v[199:200]
	v_fma_f64 v[201:202], -v[195:196], v[199:200], 1.0
	v_fma_f64 v[199:200], v[199:200], v[201:202], v[199:200]
	v_div_scale_f64 v[201:202], vcc_lo, 1.0, v[193:194], 1.0
	v_mul_f64 v[203:204], v[201:202], v[199:200]
	v_fma_f64 v[195:196], -v[195:196], v[203:204], v[201:202]
	v_div_fmas_f64 v[195:196], v[195:196], v[199:200], v[203:204]
	v_div_fixup_f64 v[199:200], v[195:196], v[193:194], 1.0
                                        ; implicit-def: $vgpr193_vgpr194
	v_mul_f64 v[197:198], v[197:198], v[199:200]
	v_xor_b32_e32 v200, 0x80000000, v200
.LBB95_86:
	s_andn2_saveexec_b32 s1, s1
	s_cbranch_execz .LBB95_88
; %bb.87:
	v_div_scale_f64 v[197:198], null, v[193:194], v[193:194], v[195:196]
	v_div_scale_f64 v[203:204], vcc_lo, v[195:196], v[193:194], v[195:196]
	v_rcp_f64_e32 v[199:200], v[197:198]
	v_fma_f64 v[201:202], -v[197:198], v[199:200], 1.0
	v_fma_f64 v[199:200], v[199:200], v[201:202], v[199:200]
	v_fma_f64 v[201:202], -v[197:198], v[199:200], 1.0
	v_fma_f64 v[199:200], v[199:200], v[201:202], v[199:200]
	v_mul_f64 v[201:202], v[203:204], v[199:200]
	v_fma_f64 v[197:198], -v[197:198], v[201:202], v[203:204]
	v_div_fmas_f64 v[197:198], v[197:198], v[199:200], v[201:202]
	v_div_fixup_f64 v[199:200], v[197:198], v[193:194], v[195:196]
	v_fma_f64 v[193:194], v[195:196], v[199:200], v[193:194]
	v_div_scale_f64 v[195:196], null, v[193:194], v[193:194], 1.0
	v_rcp_f64_e32 v[197:198], v[195:196]
	v_fma_f64 v[201:202], -v[195:196], v[197:198], 1.0
	v_fma_f64 v[197:198], v[197:198], v[201:202], v[197:198]
	v_fma_f64 v[201:202], -v[195:196], v[197:198], 1.0
	v_fma_f64 v[197:198], v[197:198], v[201:202], v[197:198]
	v_div_scale_f64 v[201:202], vcc_lo, 1.0, v[193:194], 1.0
	v_mul_f64 v[203:204], v[201:202], v[197:198]
	v_fma_f64 v[195:196], -v[195:196], v[203:204], v[201:202]
	v_div_fmas_f64 v[195:196], v[195:196], v[197:198], v[203:204]
	v_div_fixup_f64 v[197:198], v[195:196], v[193:194], 1.0
	v_mul_f64 v[199:200], v[199:200], -v[197:198]
.LBB95_88:
	s_or_b32 exec_lo, exec_lo, s1
	ds_write2_b64 v255, v[197:198], v[199:200] offset1:1
.LBB95_89:
	s_or_b32 exec_lo, exec_lo, s2
	s_waitcnt lgkmcnt(0)
	s_barrier
	buffer_gl0_inv
	ds_read2_b64 v[213:216], v255 offset1:1
	s_mov_b32 s1, exec_lo
	v_cmpx_lt_u32_e32 9, v0
	s_cbranch_execz .LBB95_91
; %bb.90:
	s_waitcnt lgkmcnt(0)
	v_mul_f64 v[193:194], v[215:216], v[155:156]
	v_mul_f64 v[155:156], v[213:214], v[155:156]
	ds_read2_b64 v[195:198], v253 offset0:20 offset1:21
	v_fma_f64 v[193:194], v[213:214], v[153:154], -v[193:194]
	v_fma_f64 v[155:156], v[215:216], v[153:154], v[155:156]
	s_waitcnt lgkmcnt(0)
	v_mul_f64 v[153:154], v[197:198], v[155:156]
	v_fma_f64 v[153:154], v[195:196], v[193:194], -v[153:154]
	v_mul_f64 v[195:196], v[195:196], v[155:156]
	v_add_f64 v[149:150], v[149:150], -v[153:154]
	v_fma_f64 v[195:196], v[197:198], v[193:194], v[195:196]
	v_add_f64 v[151:152], v[151:152], -v[195:196]
	ds_read2_b64 v[195:198], v253 offset0:22 offset1:23
	s_waitcnt lgkmcnt(0)
	v_mul_f64 v[153:154], v[197:198], v[155:156]
	v_fma_f64 v[153:154], v[195:196], v[193:194], -v[153:154]
	v_mul_f64 v[195:196], v[195:196], v[155:156]
	v_add_f64 v[145:146], v[145:146], -v[153:154]
	v_fma_f64 v[195:196], v[197:198], v[193:194], v[195:196]
	v_add_f64 v[147:148], v[147:148], -v[195:196]
	ds_read2_b64 v[195:198], v253 offset0:24 offset1:25
	s_waitcnt lgkmcnt(0)
	v_mul_f64 v[153:154], v[197:198], v[155:156]
	v_fma_f64 v[153:154], v[195:196], v[193:194], -v[153:154]
	v_mul_f64 v[195:196], v[195:196], v[155:156]
	v_add_f64 v[141:142], v[141:142], -v[153:154]
	v_fma_f64 v[195:196], v[197:198], v[193:194], v[195:196]
	v_add_f64 v[143:144], v[143:144], -v[195:196]
	ds_read2_b64 v[195:198], v253 offset0:26 offset1:27
	s_waitcnt lgkmcnt(0)
	v_mul_f64 v[153:154], v[197:198], v[155:156]
	v_fma_f64 v[153:154], v[195:196], v[193:194], -v[153:154]
	v_mul_f64 v[195:196], v[195:196], v[155:156]
	v_add_f64 v[137:138], v[137:138], -v[153:154]
	v_fma_f64 v[195:196], v[197:198], v[193:194], v[195:196]
	v_add_f64 v[139:140], v[139:140], -v[195:196]
	ds_read2_b64 v[195:198], v253 offset0:28 offset1:29
	s_waitcnt lgkmcnt(0)
	v_mul_f64 v[153:154], v[197:198], v[155:156]
	v_fma_f64 v[153:154], v[195:196], v[193:194], -v[153:154]
	v_mul_f64 v[195:196], v[195:196], v[155:156]
	v_add_f64 v[133:134], v[133:134], -v[153:154]
	v_fma_f64 v[195:196], v[197:198], v[193:194], v[195:196]
	v_add_f64 v[135:136], v[135:136], -v[195:196]
	ds_read2_b64 v[195:198], v253 offset0:30 offset1:31
	s_waitcnt lgkmcnt(0)
	v_mul_f64 v[153:154], v[197:198], v[155:156]
	v_fma_f64 v[153:154], v[195:196], v[193:194], -v[153:154]
	v_mul_f64 v[195:196], v[195:196], v[155:156]
	v_add_f64 v[129:130], v[129:130], -v[153:154]
	v_fma_f64 v[195:196], v[197:198], v[193:194], v[195:196]
	v_add_f64 v[131:132], v[131:132], -v[195:196]
	ds_read2_b64 v[195:198], v253 offset0:32 offset1:33
	s_waitcnt lgkmcnt(0)
	v_mul_f64 v[153:154], v[197:198], v[155:156]
	v_fma_f64 v[153:154], v[195:196], v[193:194], -v[153:154]
	v_mul_f64 v[195:196], v[195:196], v[155:156]
	v_add_f64 v[125:126], v[125:126], -v[153:154]
	v_fma_f64 v[195:196], v[197:198], v[193:194], v[195:196]
	v_add_f64 v[127:128], v[127:128], -v[195:196]
	ds_read2_b64 v[195:198], v253 offset0:34 offset1:35
	s_waitcnt lgkmcnt(0)
	v_mul_f64 v[153:154], v[197:198], v[155:156]
	v_fma_f64 v[153:154], v[195:196], v[193:194], -v[153:154]
	v_mul_f64 v[195:196], v[195:196], v[155:156]
	v_add_f64 v[121:122], v[121:122], -v[153:154]
	v_fma_f64 v[195:196], v[197:198], v[193:194], v[195:196]
	v_add_f64 v[123:124], v[123:124], -v[195:196]
	ds_read2_b64 v[195:198], v253 offset0:36 offset1:37
	s_waitcnt lgkmcnt(0)
	v_mul_f64 v[153:154], v[197:198], v[155:156]
	v_fma_f64 v[153:154], v[195:196], v[193:194], -v[153:154]
	v_mul_f64 v[195:196], v[195:196], v[155:156]
	v_add_f64 v[117:118], v[117:118], -v[153:154]
	v_fma_f64 v[195:196], v[197:198], v[193:194], v[195:196]
	v_add_f64 v[119:120], v[119:120], -v[195:196]
	ds_read2_b64 v[195:198], v253 offset0:38 offset1:39
	s_waitcnt lgkmcnt(0)
	v_mul_f64 v[153:154], v[197:198], v[155:156]
	v_fma_f64 v[153:154], v[195:196], v[193:194], -v[153:154]
	v_mul_f64 v[195:196], v[195:196], v[155:156]
	v_add_f64 v[113:114], v[113:114], -v[153:154]
	v_fma_f64 v[195:196], v[197:198], v[193:194], v[195:196]
	v_add_f64 v[115:116], v[115:116], -v[195:196]
	ds_read2_b64 v[195:198], v253 offset0:40 offset1:41
	s_waitcnt lgkmcnt(0)
	v_mul_f64 v[153:154], v[197:198], v[155:156]
	v_fma_f64 v[153:154], v[195:196], v[193:194], -v[153:154]
	v_mul_f64 v[195:196], v[195:196], v[155:156]
	v_add_f64 v[109:110], v[109:110], -v[153:154]
	v_fma_f64 v[195:196], v[197:198], v[193:194], v[195:196]
	v_add_f64 v[111:112], v[111:112], -v[195:196]
	ds_read2_b64 v[195:198], v253 offset0:42 offset1:43
	s_waitcnt lgkmcnt(0)
	v_mul_f64 v[153:154], v[197:198], v[155:156]
	v_fma_f64 v[153:154], v[195:196], v[193:194], -v[153:154]
	v_mul_f64 v[195:196], v[195:196], v[155:156]
	v_add_f64 v[105:106], v[105:106], -v[153:154]
	v_fma_f64 v[195:196], v[197:198], v[193:194], v[195:196]
	v_add_f64 v[107:108], v[107:108], -v[195:196]
	ds_read2_b64 v[195:198], v253 offset0:44 offset1:45
	s_waitcnt lgkmcnt(0)
	v_mul_f64 v[153:154], v[197:198], v[155:156]
	v_fma_f64 v[153:154], v[195:196], v[193:194], -v[153:154]
	v_mul_f64 v[195:196], v[195:196], v[155:156]
	v_add_f64 v[237:238], v[237:238], -v[153:154]
	v_fma_f64 v[195:196], v[197:198], v[193:194], v[195:196]
	v_add_f64 v[239:240], v[239:240], -v[195:196]
	ds_read2_b64 v[195:198], v253 offset0:46 offset1:47
	s_waitcnt lgkmcnt(0)
	v_mul_f64 v[153:154], v[197:198], v[155:156]
	v_fma_f64 v[153:154], v[195:196], v[193:194], -v[153:154]
	v_mul_f64 v[195:196], v[195:196], v[155:156]
	v_add_f64 v[97:98], v[97:98], -v[153:154]
	v_fma_f64 v[195:196], v[197:198], v[193:194], v[195:196]
	v_add_f64 v[99:100], v[99:100], -v[195:196]
	ds_read2_b64 v[195:198], v253 offset0:48 offset1:49
	s_waitcnt lgkmcnt(0)
	v_mul_f64 v[153:154], v[197:198], v[155:156]
	v_fma_f64 v[153:154], v[195:196], v[193:194], -v[153:154]
	v_mul_f64 v[195:196], v[195:196], v[155:156]
	v_add_f64 v[93:94], v[93:94], -v[153:154]
	v_fma_f64 v[195:196], v[197:198], v[193:194], v[195:196]
	v_add_f64 v[95:96], v[95:96], -v[195:196]
	ds_read2_b64 v[195:198], v253 offset0:50 offset1:51
	s_waitcnt lgkmcnt(0)
	v_mul_f64 v[153:154], v[197:198], v[155:156]
	v_fma_f64 v[153:154], v[195:196], v[193:194], -v[153:154]
	v_mul_f64 v[195:196], v[195:196], v[155:156]
	v_add_f64 v[89:90], v[89:90], -v[153:154]
	v_fma_f64 v[195:196], v[197:198], v[193:194], v[195:196]
	v_add_f64 v[91:92], v[91:92], -v[195:196]
	ds_read2_b64 v[195:198], v253 offset0:52 offset1:53
	s_waitcnt lgkmcnt(0)
	v_mul_f64 v[153:154], v[197:198], v[155:156]
	v_fma_f64 v[153:154], v[195:196], v[193:194], -v[153:154]
	v_mul_f64 v[195:196], v[195:196], v[155:156]
	v_add_f64 v[85:86], v[85:86], -v[153:154]
	v_fma_f64 v[195:196], v[197:198], v[193:194], v[195:196]
	v_add_f64 v[87:88], v[87:88], -v[195:196]
	ds_read2_b64 v[195:198], v253 offset0:54 offset1:55
	s_waitcnt lgkmcnt(0)
	v_mul_f64 v[153:154], v[197:198], v[155:156]
	v_fma_f64 v[153:154], v[195:196], v[193:194], -v[153:154]
	v_mul_f64 v[195:196], v[195:196], v[155:156]
	v_add_f64 v[81:82], v[81:82], -v[153:154]
	v_fma_f64 v[195:196], v[197:198], v[193:194], v[195:196]
	v_add_f64 v[83:84], v[83:84], -v[195:196]
	ds_read2_b64 v[195:198], v253 offset0:56 offset1:57
	s_waitcnt lgkmcnt(0)
	v_mul_f64 v[153:154], v[197:198], v[155:156]
	v_fma_f64 v[153:154], v[195:196], v[193:194], -v[153:154]
	v_mul_f64 v[195:196], v[195:196], v[155:156]
	v_add_f64 v[77:78], v[77:78], -v[153:154]
	v_fma_f64 v[195:196], v[197:198], v[193:194], v[195:196]
	v_add_f64 v[79:80], v[79:80], -v[195:196]
	ds_read2_b64 v[195:198], v253 offset0:58 offset1:59
	s_waitcnt lgkmcnt(0)
	v_mul_f64 v[153:154], v[197:198], v[155:156]
	v_fma_f64 v[153:154], v[195:196], v[193:194], -v[153:154]
	v_mul_f64 v[195:196], v[195:196], v[155:156]
	v_add_f64 v[73:74], v[73:74], -v[153:154]
	v_fma_f64 v[195:196], v[197:198], v[193:194], v[195:196]
	v_add_f64 v[75:76], v[75:76], -v[195:196]
	ds_read2_b64 v[195:198], v253 offset0:60 offset1:61
	s_waitcnt lgkmcnt(0)
	v_mul_f64 v[153:154], v[197:198], v[155:156]
	v_fma_f64 v[153:154], v[195:196], v[193:194], -v[153:154]
	v_mul_f64 v[195:196], v[195:196], v[155:156]
	v_add_f64 v[69:70], v[69:70], -v[153:154]
	v_fma_f64 v[195:196], v[197:198], v[193:194], v[195:196]
	v_add_f64 v[71:72], v[71:72], -v[195:196]
	ds_read2_b64 v[195:198], v253 offset0:62 offset1:63
	s_waitcnt lgkmcnt(0)
	v_mul_f64 v[153:154], v[197:198], v[155:156]
	v_fma_f64 v[153:154], v[195:196], v[193:194], -v[153:154]
	v_mul_f64 v[195:196], v[195:196], v[155:156]
	v_add_f64 v[65:66], v[65:66], -v[153:154]
	v_fma_f64 v[195:196], v[197:198], v[193:194], v[195:196]
	v_add_f64 v[67:68], v[67:68], -v[195:196]
	ds_read2_b64 v[195:198], v253 offset0:64 offset1:65
	s_waitcnt lgkmcnt(0)
	v_mul_f64 v[153:154], v[197:198], v[155:156]
	v_fma_f64 v[153:154], v[195:196], v[193:194], -v[153:154]
	v_mul_f64 v[195:196], v[195:196], v[155:156]
	v_add_f64 v[61:62], v[61:62], -v[153:154]
	v_fma_f64 v[195:196], v[197:198], v[193:194], v[195:196]
	v_add_f64 v[63:64], v[63:64], -v[195:196]
	ds_read2_b64 v[195:198], v253 offset0:66 offset1:67
	s_waitcnt lgkmcnt(0)
	v_mul_f64 v[153:154], v[197:198], v[155:156]
	v_fma_f64 v[153:154], v[195:196], v[193:194], -v[153:154]
	v_mul_f64 v[195:196], v[195:196], v[155:156]
	v_add_f64 v[57:58], v[57:58], -v[153:154]
	v_fma_f64 v[195:196], v[197:198], v[193:194], v[195:196]
	v_add_f64 v[59:60], v[59:60], -v[195:196]
	ds_read2_b64 v[195:198], v253 offset0:68 offset1:69
	s_waitcnt lgkmcnt(0)
	v_mul_f64 v[153:154], v[197:198], v[155:156]
	v_fma_f64 v[153:154], v[195:196], v[193:194], -v[153:154]
	v_mul_f64 v[195:196], v[195:196], v[155:156]
	v_add_f64 v[53:54], v[53:54], -v[153:154]
	v_fma_f64 v[195:196], v[197:198], v[193:194], v[195:196]
	v_add_f64 v[55:56], v[55:56], -v[195:196]
	ds_read2_b64 v[195:198], v253 offset0:70 offset1:71
	s_waitcnt lgkmcnt(0)
	v_mul_f64 v[153:154], v[197:198], v[155:156]
	v_fma_f64 v[153:154], v[195:196], v[193:194], -v[153:154]
	v_mul_f64 v[195:196], v[195:196], v[155:156]
	v_add_f64 v[49:50], v[49:50], -v[153:154]
	v_fma_f64 v[195:196], v[197:198], v[193:194], v[195:196]
	v_add_f64 v[51:52], v[51:52], -v[195:196]
	ds_read2_b64 v[195:198], v253 offset0:72 offset1:73
	s_waitcnt lgkmcnt(0)
	v_mul_f64 v[153:154], v[197:198], v[155:156]
	v_fma_f64 v[153:154], v[195:196], v[193:194], -v[153:154]
	v_mul_f64 v[195:196], v[195:196], v[155:156]
	v_add_f64 v[45:46], v[45:46], -v[153:154]
	v_fma_f64 v[195:196], v[197:198], v[193:194], v[195:196]
	v_add_f64 v[47:48], v[47:48], -v[195:196]
	ds_read2_b64 v[195:198], v253 offset0:74 offset1:75
	s_waitcnt lgkmcnt(0)
	v_mul_f64 v[153:154], v[197:198], v[155:156]
	v_fma_f64 v[153:154], v[195:196], v[193:194], -v[153:154]
	v_mul_f64 v[195:196], v[195:196], v[155:156]
	v_add_f64 v[41:42], v[41:42], -v[153:154]
	v_fma_f64 v[195:196], v[197:198], v[193:194], v[195:196]
	v_add_f64 v[43:44], v[43:44], -v[195:196]
	ds_read2_b64 v[195:198], v253 offset0:76 offset1:77
	s_waitcnt lgkmcnt(0)
	v_mul_f64 v[153:154], v[197:198], v[155:156]
	v_fma_f64 v[153:154], v[195:196], v[193:194], -v[153:154]
	v_mul_f64 v[195:196], v[195:196], v[155:156]
	v_add_f64 v[37:38], v[37:38], -v[153:154]
	v_fma_f64 v[195:196], v[197:198], v[193:194], v[195:196]
	v_add_f64 v[39:40], v[39:40], -v[195:196]
	ds_read2_b64 v[195:198], v253 offset0:78 offset1:79
	s_waitcnt lgkmcnt(0)
	v_mul_f64 v[153:154], v[197:198], v[155:156]
	v_fma_f64 v[153:154], v[195:196], v[193:194], -v[153:154]
	v_mul_f64 v[195:196], v[195:196], v[155:156]
	v_add_f64 v[33:34], v[33:34], -v[153:154]
	v_fma_f64 v[195:196], v[197:198], v[193:194], v[195:196]
	v_add_f64 v[35:36], v[35:36], -v[195:196]
	ds_read2_b64 v[195:198], v253 offset0:80 offset1:81
	s_waitcnt lgkmcnt(0)
	v_mul_f64 v[153:154], v[197:198], v[155:156]
	v_fma_f64 v[153:154], v[195:196], v[193:194], -v[153:154]
	v_mul_f64 v[195:196], v[195:196], v[155:156]
	v_add_f64 v[29:30], v[29:30], -v[153:154]
	v_fma_f64 v[195:196], v[197:198], v[193:194], v[195:196]
	v_add_f64 v[31:32], v[31:32], -v[195:196]
	ds_read2_b64 v[195:198], v253 offset0:82 offset1:83
	s_waitcnt lgkmcnt(0)
	v_mul_f64 v[153:154], v[197:198], v[155:156]
	v_fma_f64 v[153:154], v[195:196], v[193:194], -v[153:154]
	v_mul_f64 v[195:196], v[195:196], v[155:156]
	v_add_f64 v[25:26], v[25:26], -v[153:154]
	v_fma_f64 v[195:196], v[197:198], v[193:194], v[195:196]
	v_add_f64 v[27:28], v[27:28], -v[195:196]
	ds_read2_b64 v[195:198], v253 offset0:84 offset1:85
	s_waitcnt lgkmcnt(0)
	v_mul_f64 v[153:154], v[197:198], v[155:156]
	v_fma_f64 v[153:154], v[195:196], v[193:194], -v[153:154]
	v_mul_f64 v[195:196], v[195:196], v[155:156]
	v_add_f64 v[21:22], v[21:22], -v[153:154]
	v_fma_f64 v[195:196], v[197:198], v[193:194], v[195:196]
	v_add_f64 v[23:24], v[23:24], -v[195:196]
	ds_read2_b64 v[195:198], v253 offset0:86 offset1:87
	s_waitcnt lgkmcnt(0)
	v_mul_f64 v[153:154], v[197:198], v[155:156]
	v_fma_f64 v[153:154], v[195:196], v[193:194], -v[153:154]
	v_mul_f64 v[195:196], v[195:196], v[155:156]
	v_add_f64 v[17:18], v[17:18], -v[153:154]
	v_fma_f64 v[195:196], v[197:198], v[193:194], v[195:196]
	v_add_f64 v[19:20], v[19:20], -v[195:196]
	ds_read2_b64 v[195:198], v253 offset0:88 offset1:89
	s_waitcnt lgkmcnt(0)
	v_mul_f64 v[153:154], v[197:198], v[155:156]
	v_fma_f64 v[153:154], v[195:196], v[193:194], -v[153:154]
	v_mul_f64 v[195:196], v[195:196], v[155:156]
	v_add_f64 v[13:14], v[13:14], -v[153:154]
	v_fma_f64 v[195:196], v[197:198], v[193:194], v[195:196]
	v_add_f64 v[15:16], v[15:16], -v[195:196]
	ds_read2_b64 v[195:198], v253 offset0:90 offset1:91
	s_waitcnt lgkmcnt(0)
	v_mul_f64 v[153:154], v[197:198], v[155:156]
	v_fma_f64 v[153:154], v[195:196], v[193:194], -v[153:154]
	v_mul_f64 v[195:196], v[195:196], v[155:156]
	v_add_f64 v[9:10], v[9:10], -v[153:154]
	v_fma_f64 v[195:196], v[197:198], v[193:194], v[195:196]
	v_add_f64 v[11:12], v[11:12], -v[195:196]
	ds_read2_b64 v[195:198], v253 offset0:92 offset1:93
	s_waitcnt lgkmcnt(0)
	v_mul_f64 v[153:154], v[197:198], v[155:156]
	v_fma_f64 v[153:154], v[195:196], v[193:194], -v[153:154]
	v_mul_f64 v[195:196], v[195:196], v[155:156]
	v_add_f64 v[5:6], v[5:6], -v[153:154]
	v_fma_f64 v[195:196], v[197:198], v[193:194], v[195:196]
	v_add_f64 v[7:8], v[7:8], -v[195:196]
	ds_read2_b64 v[195:198], v253 offset0:94 offset1:95
	s_waitcnt lgkmcnt(0)
	v_mul_f64 v[153:154], v[197:198], v[155:156]
	v_fma_f64 v[153:154], v[195:196], v[193:194], -v[153:154]
	v_mul_f64 v[195:196], v[195:196], v[155:156]
	v_add_f64 v[1:2], v[1:2], -v[153:154]
	v_fma_f64 v[195:196], v[197:198], v[193:194], v[195:196]
	v_mov_b32_e32 v153, v193
	v_mov_b32_e32 v154, v194
	v_add_f64 v[3:4], v[3:4], -v[195:196]
.LBB95_91:
	s_or_b32 exec_lo, exec_lo, s1
	s_mov_b32 s2, exec_lo
	s_waitcnt lgkmcnt(0)
	s_barrier
	buffer_gl0_inv
	v_cmpx_eq_u32_e32 10, v0
	s_cbranch_execz .LBB95_98
; %bb.92:
	ds_write2_b64 v255, v[149:150], v[151:152] offset1:1
	ds_write2_b64 v253, v[145:146], v[147:148] offset0:22 offset1:23
	ds_write2_b64 v253, v[141:142], v[143:144] offset0:24 offset1:25
	;; [unrolled: 1-line block ×37, first 2 shown]
	ds_read2_b64 v[193:196], v255 offset1:1
	s_waitcnt lgkmcnt(0)
	v_cmp_neq_f64_e32 vcc_lo, 0, v[193:194]
	v_cmp_neq_f64_e64 s1, 0, v[195:196]
	s_or_b32 s1, vcc_lo, s1
	s_and_b32 exec_lo, exec_lo, s1
	s_cbranch_execz .LBB95_98
; %bb.93:
	v_cmp_ngt_f64_e64 s1, |v[193:194]|, |v[195:196]|
                                        ; implicit-def: $vgpr197_vgpr198
	s_and_saveexec_b32 s3, s1
	s_xor_b32 s1, exec_lo, s3
                                        ; implicit-def: $vgpr199_vgpr200
	s_cbranch_execz .LBB95_95
; %bb.94:
	v_div_scale_f64 v[197:198], null, v[195:196], v[195:196], v[193:194]
	v_div_scale_f64 v[203:204], vcc_lo, v[193:194], v[195:196], v[193:194]
	v_rcp_f64_e32 v[199:200], v[197:198]
	v_fma_f64 v[201:202], -v[197:198], v[199:200], 1.0
	v_fma_f64 v[199:200], v[199:200], v[201:202], v[199:200]
	v_fma_f64 v[201:202], -v[197:198], v[199:200], 1.0
	v_fma_f64 v[199:200], v[199:200], v[201:202], v[199:200]
	v_mul_f64 v[201:202], v[203:204], v[199:200]
	v_fma_f64 v[197:198], -v[197:198], v[201:202], v[203:204]
	v_div_fmas_f64 v[197:198], v[197:198], v[199:200], v[201:202]
	v_div_fixup_f64 v[197:198], v[197:198], v[195:196], v[193:194]
	v_fma_f64 v[193:194], v[193:194], v[197:198], v[195:196]
	v_div_scale_f64 v[195:196], null, v[193:194], v[193:194], 1.0
	v_rcp_f64_e32 v[199:200], v[195:196]
	v_fma_f64 v[201:202], -v[195:196], v[199:200], 1.0
	v_fma_f64 v[199:200], v[199:200], v[201:202], v[199:200]
	v_fma_f64 v[201:202], -v[195:196], v[199:200], 1.0
	v_fma_f64 v[199:200], v[199:200], v[201:202], v[199:200]
	v_div_scale_f64 v[201:202], vcc_lo, 1.0, v[193:194], 1.0
	v_mul_f64 v[203:204], v[201:202], v[199:200]
	v_fma_f64 v[195:196], -v[195:196], v[203:204], v[201:202]
	v_div_fmas_f64 v[195:196], v[195:196], v[199:200], v[203:204]
	v_div_fixup_f64 v[199:200], v[195:196], v[193:194], 1.0
                                        ; implicit-def: $vgpr193_vgpr194
	v_mul_f64 v[197:198], v[197:198], v[199:200]
	v_xor_b32_e32 v200, 0x80000000, v200
.LBB95_95:
	s_andn2_saveexec_b32 s1, s1
	s_cbranch_execz .LBB95_97
; %bb.96:
	v_div_scale_f64 v[197:198], null, v[193:194], v[193:194], v[195:196]
	v_div_scale_f64 v[203:204], vcc_lo, v[195:196], v[193:194], v[195:196]
	v_rcp_f64_e32 v[199:200], v[197:198]
	v_fma_f64 v[201:202], -v[197:198], v[199:200], 1.0
	v_fma_f64 v[199:200], v[199:200], v[201:202], v[199:200]
	v_fma_f64 v[201:202], -v[197:198], v[199:200], 1.0
	v_fma_f64 v[199:200], v[199:200], v[201:202], v[199:200]
	v_mul_f64 v[201:202], v[203:204], v[199:200]
	v_fma_f64 v[197:198], -v[197:198], v[201:202], v[203:204]
	v_div_fmas_f64 v[197:198], v[197:198], v[199:200], v[201:202]
	v_div_fixup_f64 v[199:200], v[197:198], v[193:194], v[195:196]
	v_fma_f64 v[193:194], v[195:196], v[199:200], v[193:194]
	v_div_scale_f64 v[195:196], null, v[193:194], v[193:194], 1.0
	v_rcp_f64_e32 v[197:198], v[195:196]
	v_fma_f64 v[201:202], -v[195:196], v[197:198], 1.0
	v_fma_f64 v[197:198], v[197:198], v[201:202], v[197:198]
	v_fma_f64 v[201:202], -v[195:196], v[197:198], 1.0
	v_fma_f64 v[197:198], v[197:198], v[201:202], v[197:198]
	v_div_scale_f64 v[201:202], vcc_lo, 1.0, v[193:194], 1.0
	v_mul_f64 v[203:204], v[201:202], v[197:198]
	v_fma_f64 v[195:196], -v[195:196], v[203:204], v[201:202]
	v_div_fmas_f64 v[195:196], v[195:196], v[197:198], v[203:204]
	v_div_fixup_f64 v[197:198], v[195:196], v[193:194], 1.0
	v_mul_f64 v[199:200], v[199:200], -v[197:198]
.LBB95_97:
	s_or_b32 exec_lo, exec_lo, s1
	ds_write2_b64 v255, v[197:198], v[199:200] offset1:1
.LBB95_98:
	s_or_b32 exec_lo, exec_lo, s2
	s_waitcnt lgkmcnt(0)
	s_barrier
	buffer_gl0_inv
	ds_read2_b64 v[189:192], v255 offset1:1
	s_mov_b32 s1, exec_lo
	v_cmpx_lt_u32_e32 10, v0
	s_cbranch_execz .LBB95_100
; %bb.99:
	s_waitcnt lgkmcnt(0)
	v_mul_f64 v[193:194], v[191:192], v[151:152]
	v_mul_f64 v[151:152], v[189:190], v[151:152]
	ds_read2_b64 v[195:198], v253 offset0:22 offset1:23
	v_fma_f64 v[193:194], v[189:190], v[149:150], -v[193:194]
	v_fma_f64 v[151:152], v[191:192], v[149:150], v[151:152]
	s_waitcnt lgkmcnt(0)
	v_mul_f64 v[149:150], v[197:198], v[151:152]
	v_fma_f64 v[149:150], v[195:196], v[193:194], -v[149:150]
	v_mul_f64 v[195:196], v[195:196], v[151:152]
	v_add_f64 v[145:146], v[145:146], -v[149:150]
	v_fma_f64 v[195:196], v[197:198], v[193:194], v[195:196]
	v_add_f64 v[147:148], v[147:148], -v[195:196]
	ds_read2_b64 v[195:198], v253 offset0:24 offset1:25
	s_waitcnt lgkmcnt(0)
	v_mul_f64 v[149:150], v[197:198], v[151:152]
	v_fma_f64 v[149:150], v[195:196], v[193:194], -v[149:150]
	v_mul_f64 v[195:196], v[195:196], v[151:152]
	v_add_f64 v[141:142], v[141:142], -v[149:150]
	v_fma_f64 v[195:196], v[197:198], v[193:194], v[195:196]
	v_add_f64 v[143:144], v[143:144], -v[195:196]
	ds_read2_b64 v[195:198], v253 offset0:26 offset1:27
	;; [unrolled: 8-line block ×36, first 2 shown]
	s_waitcnt lgkmcnt(0)
	v_mul_f64 v[149:150], v[197:198], v[151:152]
	v_fma_f64 v[149:150], v[195:196], v[193:194], -v[149:150]
	v_mul_f64 v[195:196], v[195:196], v[151:152]
	v_add_f64 v[1:2], v[1:2], -v[149:150]
	v_fma_f64 v[195:196], v[197:198], v[193:194], v[195:196]
	v_mov_b32_e32 v149, v193
	v_mov_b32_e32 v150, v194
	v_add_f64 v[3:4], v[3:4], -v[195:196]
.LBB95_100:
	s_or_b32 exec_lo, exec_lo, s1
	s_mov_b32 s2, exec_lo
	s_waitcnt lgkmcnt(0)
	s_barrier
	buffer_gl0_inv
	v_cmpx_eq_u32_e32 11, v0
	s_cbranch_execz .LBB95_107
; %bb.101:
	ds_write2_b64 v255, v[145:146], v[147:148] offset1:1
	ds_write2_b64 v253, v[141:142], v[143:144] offset0:24 offset1:25
	ds_write2_b64 v253, v[137:138], v[139:140] offset0:26 offset1:27
	ds_write2_b64 v253, v[133:134], v[135:136] offset0:28 offset1:29
	ds_write2_b64 v253, v[129:130], v[131:132] offset0:30 offset1:31
	ds_write2_b64 v253, v[125:126], v[127:128] offset0:32 offset1:33
	ds_write2_b64 v253, v[121:122], v[123:124] offset0:34 offset1:35
	ds_write2_b64 v253, v[117:118], v[119:120] offset0:36 offset1:37
	ds_write2_b64 v253, v[113:114], v[115:116] offset0:38 offset1:39
	ds_write2_b64 v253, v[109:110], v[111:112] offset0:40 offset1:41
	ds_write2_b64 v253, v[105:106], v[107:108] offset0:42 offset1:43
	ds_write2_b64 v253, v[237:238], v[239:240] offset0:44 offset1:45
	ds_write2_b64 v253, v[97:98], v[99:100] offset0:46 offset1:47
	ds_write2_b64 v253, v[93:94], v[95:96] offset0:48 offset1:49
	ds_write2_b64 v253, v[89:90], v[91:92] offset0:50 offset1:51
	ds_write2_b64 v253, v[85:86], v[87:88] offset0:52 offset1:53
	ds_write2_b64 v253, v[81:82], v[83:84] offset0:54 offset1:55
	ds_write2_b64 v253, v[77:78], v[79:80] offset0:56 offset1:57
	ds_write2_b64 v253, v[73:74], v[75:76] offset0:58 offset1:59
	ds_write2_b64 v253, v[69:70], v[71:72] offset0:60 offset1:61
	ds_write2_b64 v253, v[65:66], v[67:68] offset0:62 offset1:63
	ds_write2_b64 v253, v[61:62], v[63:64] offset0:64 offset1:65
	ds_write2_b64 v253, v[57:58], v[59:60] offset0:66 offset1:67
	ds_write2_b64 v253, v[53:54], v[55:56] offset0:68 offset1:69
	ds_write2_b64 v253, v[49:50], v[51:52] offset0:70 offset1:71
	ds_write2_b64 v253, v[45:46], v[47:48] offset0:72 offset1:73
	ds_write2_b64 v253, v[41:42], v[43:44] offset0:74 offset1:75
	ds_write2_b64 v253, v[37:38], v[39:40] offset0:76 offset1:77
	ds_write2_b64 v253, v[33:34], v[35:36] offset0:78 offset1:79
	ds_write2_b64 v253, v[29:30], v[31:32] offset0:80 offset1:81
	ds_write2_b64 v253, v[25:26], v[27:28] offset0:82 offset1:83
	ds_write2_b64 v253, v[21:22], v[23:24] offset0:84 offset1:85
	ds_write2_b64 v253, v[17:18], v[19:20] offset0:86 offset1:87
	ds_write2_b64 v253, v[13:14], v[15:16] offset0:88 offset1:89
	ds_write2_b64 v253, v[9:10], v[11:12] offset0:90 offset1:91
	ds_write2_b64 v253, v[5:6], v[7:8] offset0:92 offset1:93
	ds_write2_b64 v253, v[1:2], v[3:4] offset0:94 offset1:95
	ds_read2_b64 v[193:196], v255 offset1:1
	s_waitcnt lgkmcnt(0)
	v_cmp_neq_f64_e32 vcc_lo, 0, v[193:194]
	v_cmp_neq_f64_e64 s1, 0, v[195:196]
	s_or_b32 s1, vcc_lo, s1
	s_and_b32 exec_lo, exec_lo, s1
	s_cbranch_execz .LBB95_107
; %bb.102:
	v_cmp_ngt_f64_e64 s1, |v[193:194]|, |v[195:196]|
                                        ; implicit-def: $vgpr197_vgpr198
	s_and_saveexec_b32 s3, s1
	s_xor_b32 s1, exec_lo, s3
                                        ; implicit-def: $vgpr199_vgpr200
	s_cbranch_execz .LBB95_104
; %bb.103:
	v_div_scale_f64 v[197:198], null, v[195:196], v[195:196], v[193:194]
	v_div_scale_f64 v[203:204], vcc_lo, v[193:194], v[195:196], v[193:194]
	v_rcp_f64_e32 v[199:200], v[197:198]
	v_fma_f64 v[201:202], -v[197:198], v[199:200], 1.0
	v_fma_f64 v[199:200], v[199:200], v[201:202], v[199:200]
	v_fma_f64 v[201:202], -v[197:198], v[199:200], 1.0
	v_fma_f64 v[199:200], v[199:200], v[201:202], v[199:200]
	v_mul_f64 v[201:202], v[203:204], v[199:200]
	v_fma_f64 v[197:198], -v[197:198], v[201:202], v[203:204]
	v_div_fmas_f64 v[197:198], v[197:198], v[199:200], v[201:202]
	v_div_fixup_f64 v[197:198], v[197:198], v[195:196], v[193:194]
	v_fma_f64 v[193:194], v[193:194], v[197:198], v[195:196]
	v_div_scale_f64 v[195:196], null, v[193:194], v[193:194], 1.0
	v_rcp_f64_e32 v[199:200], v[195:196]
	v_fma_f64 v[201:202], -v[195:196], v[199:200], 1.0
	v_fma_f64 v[199:200], v[199:200], v[201:202], v[199:200]
	v_fma_f64 v[201:202], -v[195:196], v[199:200], 1.0
	v_fma_f64 v[199:200], v[199:200], v[201:202], v[199:200]
	v_div_scale_f64 v[201:202], vcc_lo, 1.0, v[193:194], 1.0
	v_mul_f64 v[203:204], v[201:202], v[199:200]
	v_fma_f64 v[195:196], -v[195:196], v[203:204], v[201:202]
	v_div_fmas_f64 v[195:196], v[195:196], v[199:200], v[203:204]
	v_div_fixup_f64 v[199:200], v[195:196], v[193:194], 1.0
                                        ; implicit-def: $vgpr193_vgpr194
	v_mul_f64 v[197:198], v[197:198], v[199:200]
	v_xor_b32_e32 v200, 0x80000000, v200
.LBB95_104:
	s_andn2_saveexec_b32 s1, s1
	s_cbranch_execz .LBB95_106
; %bb.105:
	v_div_scale_f64 v[197:198], null, v[193:194], v[193:194], v[195:196]
	v_div_scale_f64 v[203:204], vcc_lo, v[195:196], v[193:194], v[195:196]
	v_rcp_f64_e32 v[199:200], v[197:198]
	v_fma_f64 v[201:202], -v[197:198], v[199:200], 1.0
	v_fma_f64 v[199:200], v[199:200], v[201:202], v[199:200]
	v_fma_f64 v[201:202], -v[197:198], v[199:200], 1.0
	v_fma_f64 v[199:200], v[199:200], v[201:202], v[199:200]
	v_mul_f64 v[201:202], v[203:204], v[199:200]
	v_fma_f64 v[197:198], -v[197:198], v[201:202], v[203:204]
	v_div_fmas_f64 v[197:198], v[197:198], v[199:200], v[201:202]
	v_div_fixup_f64 v[199:200], v[197:198], v[193:194], v[195:196]
	v_fma_f64 v[193:194], v[195:196], v[199:200], v[193:194]
	v_div_scale_f64 v[195:196], null, v[193:194], v[193:194], 1.0
	v_rcp_f64_e32 v[197:198], v[195:196]
	v_fma_f64 v[201:202], -v[195:196], v[197:198], 1.0
	v_fma_f64 v[197:198], v[197:198], v[201:202], v[197:198]
	v_fma_f64 v[201:202], -v[195:196], v[197:198], 1.0
	v_fma_f64 v[197:198], v[197:198], v[201:202], v[197:198]
	v_div_scale_f64 v[201:202], vcc_lo, 1.0, v[193:194], 1.0
	v_mul_f64 v[203:204], v[201:202], v[197:198]
	v_fma_f64 v[195:196], -v[195:196], v[203:204], v[201:202]
	v_div_fmas_f64 v[195:196], v[195:196], v[197:198], v[203:204]
	v_div_fixup_f64 v[197:198], v[195:196], v[193:194], 1.0
	v_mul_f64 v[199:200], v[199:200], -v[197:198]
.LBB95_106:
	s_or_b32 exec_lo, exec_lo, s1
	ds_write2_b64 v255, v[197:198], v[199:200] offset1:1
.LBB95_107:
	s_or_b32 exec_lo, exec_lo, s2
	s_waitcnt lgkmcnt(0)
	s_barrier
	buffer_gl0_inv
	ds_read2_b64 v[169:172], v255 offset1:1
	s_mov_b32 s1, exec_lo
	v_cmpx_lt_u32_e32 11, v0
	s_cbranch_execz .LBB95_109
; %bb.108:
	s_waitcnt lgkmcnt(0)
	v_mul_f64 v[193:194], v[171:172], v[147:148]
	v_mul_f64 v[147:148], v[169:170], v[147:148]
	ds_read2_b64 v[195:198], v253 offset0:24 offset1:25
	v_fma_f64 v[193:194], v[169:170], v[145:146], -v[193:194]
	v_fma_f64 v[147:148], v[171:172], v[145:146], v[147:148]
	s_waitcnt lgkmcnt(0)
	v_mul_f64 v[145:146], v[197:198], v[147:148]
	v_fma_f64 v[145:146], v[195:196], v[193:194], -v[145:146]
	v_mul_f64 v[195:196], v[195:196], v[147:148]
	v_add_f64 v[141:142], v[141:142], -v[145:146]
	v_fma_f64 v[195:196], v[197:198], v[193:194], v[195:196]
	v_add_f64 v[143:144], v[143:144], -v[195:196]
	ds_read2_b64 v[195:198], v253 offset0:26 offset1:27
	s_waitcnt lgkmcnt(0)
	v_mul_f64 v[145:146], v[197:198], v[147:148]
	v_fma_f64 v[145:146], v[195:196], v[193:194], -v[145:146]
	v_mul_f64 v[195:196], v[195:196], v[147:148]
	v_add_f64 v[137:138], v[137:138], -v[145:146]
	v_fma_f64 v[195:196], v[197:198], v[193:194], v[195:196]
	v_add_f64 v[139:140], v[139:140], -v[195:196]
	ds_read2_b64 v[195:198], v253 offset0:28 offset1:29
	;; [unrolled: 8-line block ×35, first 2 shown]
	s_waitcnt lgkmcnt(0)
	v_mul_f64 v[145:146], v[197:198], v[147:148]
	v_fma_f64 v[145:146], v[195:196], v[193:194], -v[145:146]
	v_mul_f64 v[195:196], v[195:196], v[147:148]
	v_add_f64 v[1:2], v[1:2], -v[145:146]
	v_fma_f64 v[195:196], v[197:198], v[193:194], v[195:196]
	v_mov_b32_e32 v145, v193
	v_mov_b32_e32 v146, v194
	v_add_f64 v[3:4], v[3:4], -v[195:196]
.LBB95_109:
	s_or_b32 exec_lo, exec_lo, s1
	s_mov_b32 s2, exec_lo
	s_waitcnt lgkmcnt(0)
	s_barrier
	buffer_gl0_inv
	v_cmpx_eq_u32_e32 12, v0
	s_cbranch_execz .LBB95_116
; %bb.110:
	ds_write2_b64 v255, v[141:142], v[143:144] offset1:1
	ds_write2_b64 v253, v[137:138], v[139:140] offset0:26 offset1:27
	ds_write2_b64 v253, v[133:134], v[135:136] offset0:28 offset1:29
	;; [unrolled: 1-line block ×35, first 2 shown]
	ds_read2_b64 v[193:196], v255 offset1:1
	s_waitcnt lgkmcnt(0)
	v_cmp_neq_f64_e32 vcc_lo, 0, v[193:194]
	v_cmp_neq_f64_e64 s1, 0, v[195:196]
	s_or_b32 s1, vcc_lo, s1
	s_and_b32 exec_lo, exec_lo, s1
	s_cbranch_execz .LBB95_116
; %bb.111:
	v_cmp_ngt_f64_e64 s1, |v[193:194]|, |v[195:196]|
                                        ; implicit-def: $vgpr197_vgpr198
	s_and_saveexec_b32 s3, s1
	s_xor_b32 s1, exec_lo, s3
                                        ; implicit-def: $vgpr199_vgpr200
	s_cbranch_execz .LBB95_113
; %bb.112:
	v_div_scale_f64 v[197:198], null, v[195:196], v[195:196], v[193:194]
	v_div_scale_f64 v[203:204], vcc_lo, v[193:194], v[195:196], v[193:194]
	v_rcp_f64_e32 v[199:200], v[197:198]
	v_fma_f64 v[201:202], -v[197:198], v[199:200], 1.0
	v_fma_f64 v[199:200], v[199:200], v[201:202], v[199:200]
	v_fma_f64 v[201:202], -v[197:198], v[199:200], 1.0
	v_fma_f64 v[199:200], v[199:200], v[201:202], v[199:200]
	v_mul_f64 v[201:202], v[203:204], v[199:200]
	v_fma_f64 v[197:198], -v[197:198], v[201:202], v[203:204]
	v_div_fmas_f64 v[197:198], v[197:198], v[199:200], v[201:202]
	v_div_fixup_f64 v[197:198], v[197:198], v[195:196], v[193:194]
	v_fma_f64 v[193:194], v[193:194], v[197:198], v[195:196]
	v_div_scale_f64 v[195:196], null, v[193:194], v[193:194], 1.0
	v_rcp_f64_e32 v[199:200], v[195:196]
	v_fma_f64 v[201:202], -v[195:196], v[199:200], 1.0
	v_fma_f64 v[199:200], v[199:200], v[201:202], v[199:200]
	v_fma_f64 v[201:202], -v[195:196], v[199:200], 1.0
	v_fma_f64 v[199:200], v[199:200], v[201:202], v[199:200]
	v_div_scale_f64 v[201:202], vcc_lo, 1.0, v[193:194], 1.0
	v_mul_f64 v[203:204], v[201:202], v[199:200]
	v_fma_f64 v[195:196], -v[195:196], v[203:204], v[201:202]
	v_div_fmas_f64 v[195:196], v[195:196], v[199:200], v[203:204]
	v_div_fixup_f64 v[199:200], v[195:196], v[193:194], 1.0
                                        ; implicit-def: $vgpr193_vgpr194
	v_mul_f64 v[197:198], v[197:198], v[199:200]
	v_xor_b32_e32 v200, 0x80000000, v200
.LBB95_113:
	s_andn2_saveexec_b32 s1, s1
	s_cbranch_execz .LBB95_115
; %bb.114:
	v_div_scale_f64 v[197:198], null, v[193:194], v[193:194], v[195:196]
	v_div_scale_f64 v[203:204], vcc_lo, v[195:196], v[193:194], v[195:196]
	v_rcp_f64_e32 v[199:200], v[197:198]
	v_fma_f64 v[201:202], -v[197:198], v[199:200], 1.0
	v_fma_f64 v[199:200], v[199:200], v[201:202], v[199:200]
	v_fma_f64 v[201:202], -v[197:198], v[199:200], 1.0
	v_fma_f64 v[199:200], v[199:200], v[201:202], v[199:200]
	v_mul_f64 v[201:202], v[203:204], v[199:200]
	v_fma_f64 v[197:198], -v[197:198], v[201:202], v[203:204]
	v_div_fmas_f64 v[197:198], v[197:198], v[199:200], v[201:202]
	v_div_fixup_f64 v[199:200], v[197:198], v[193:194], v[195:196]
	v_fma_f64 v[193:194], v[195:196], v[199:200], v[193:194]
	v_div_scale_f64 v[195:196], null, v[193:194], v[193:194], 1.0
	v_rcp_f64_e32 v[197:198], v[195:196]
	v_fma_f64 v[201:202], -v[195:196], v[197:198], 1.0
	v_fma_f64 v[197:198], v[197:198], v[201:202], v[197:198]
	v_fma_f64 v[201:202], -v[195:196], v[197:198], 1.0
	v_fma_f64 v[197:198], v[197:198], v[201:202], v[197:198]
	v_div_scale_f64 v[201:202], vcc_lo, 1.0, v[193:194], 1.0
	v_mul_f64 v[203:204], v[201:202], v[197:198]
	v_fma_f64 v[195:196], -v[195:196], v[203:204], v[201:202]
	v_div_fmas_f64 v[195:196], v[195:196], v[197:198], v[203:204]
	v_div_fixup_f64 v[197:198], v[195:196], v[193:194], 1.0
	v_mul_f64 v[199:200], v[199:200], -v[197:198]
.LBB95_115:
	s_or_b32 exec_lo, exec_lo, s1
	ds_write2_b64 v255, v[197:198], v[199:200] offset1:1
.LBB95_116:
	s_or_b32 exec_lo, exec_lo, s2
	s_waitcnt lgkmcnt(0)
	s_barrier
	buffer_gl0_inv
	ds_read2_b64 v[229:232], v255 offset1:1
	s_mov_b32 s1, exec_lo
	v_cmpx_lt_u32_e32 12, v0
	s_cbranch_execz .LBB95_118
; %bb.117:
	s_waitcnt lgkmcnt(0)
	v_mul_f64 v[193:194], v[231:232], v[143:144]
	v_mul_f64 v[143:144], v[229:230], v[143:144]
	ds_read2_b64 v[195:198], v253 offset0:26 offset1:27
	v_fma_f64 v[193:194], v[229:230], v[141:142], -v[193:194]
	v_fma_f64 v[143:144], v[231:232], v[141:142], v[143:144]
	s_waitcnt lgkmcnt(0)
	v_mul_f64 v[141:142], v[197:198], v[143:144]
	v_fma_f64 v[141:142], v[195:196], v[193:194], -v[141:142]
	v_mul_f64 v[195:196], v[195:196], v[143:144]
	v_add_f64 v[137:138], v[137:138], -v[141:142]
	v_fma_f64 v[195:196], v[197:198], v[193:194], v[195:196]
	v_add_f64 v[139:140], v[139:140], -v[195:196]
	ds_read2_b64 v[195:198], v253 offset0:28 offset1:29
	s_waitcnt lgkmcnt(0)
	v_mul_f64 v[141:142], v[197:198], v[143:144]
	v_fma_f64 v[141:142], v[195:196], v[193:194], -v[141:142]
	v_mul_f64 v[195:196], v[195:196], v[143:144]
	v_add_f64 v[133:134], v[133:134], -v[141:142]
	v_fma_f64 v[195:196], v[197:198], v[193:194], v[195:196]
	v_add_f64 v[135:136], v[135:136], -v[195:196]
	ds_read2_b64 v[195:198], v253 offset0:30 offset1:31
	;; [unrolled: 8-line block ×34, first 2 shown]
	s_waitcnt lgkmcnt(0)
	v_mul_f64 v[141:142], v[197:198], v[143:144]
	v_fma_f64 v[141:142], v[195:196], v[193:194], -v[141:142]
	v_mul_f64 v[195:196], v[195:196], v[143:144]
	v_add_f64 v[1:2], v[1:2], -v[141:142]
	v_fma_f64 v[195:196], v[197:198], v[193:194], v[195:196]
	v_mov_b32_e32 v141, v193
	v_mov_b32_e32 v142, v194
	v_add_f64 v[3:4], v[3:4], -v[195:196]
.LBB95_118:
	s_or_b32 exec_lo, exec_lo, s1
	s_mov_b32 s2, exec_lo
	s_waitcnt lgkmcnt(0)
	s_barrier
	buffer_gl0_inv
	v_cmpx_eq_u32_e32 13, v0
	s_cbranch_execz .LBB95_125
; %bb.119:
	ds_write2_b64 v255, v[137:138], v[139:140] offset1:1
	ds_write2_b64 v253, v[133:134], v[135:136] offset0:28 offset1:29
	ds_write2_b64 v253, v[129:130], v[131:132] offset0:30 offset1:31
	ds_write2_b64 v253, v[125:126], v[127:128] offset0:32 offset1:33
	ds_write2_b64 v253, v[121:122], v[123:124] offset0:34 offset1:35
	ds_write2_b64 v253, v[117:118], v[119:120] offset0:36 offset1:37
	ds_write2_b64 v253, v[113:114], v[115:116] offset0:38 offset1:39
	ds_write2_b64 v253, v[109:110], v[111:112] offset0:40 offset1:41
	ds_write2_b64 v253, v[105:106], v[107:108] offset0:42 offset1:43
	ds_write2_b64 v253, v[237:238], v[239:240] offset0:44 offset1:45
	ds_write2_b64 v253, v[97:98], v[99:100] offset0:46 offset1:47
	ds_write2_b64 v253, v[93:94], v[95:96] offset0:48 offset1:49
	ds_write2_b64 v253, v[89:90], v[91:92] offset0:50 offset1:51
	ds_write2_b64 v253, v[85:86], v[87:88] offset0:52 offset1:53
	ds_write2_b64 v253, v[81:82], v[83:84] offset0:54 offset1:55
	ds_write2_b64 v253, v[77:78], v[79:80] offset0:56 offset1:57
	ds_write2_b64 v253, v[73:74], v[75:76] offset0:58 offset1:59
	ds_write2_b64 v253, v[69:70], v[71:72] offset0:60 offset1:61
	ds_write2_b64 v253, v[65:66], v[67:68] offset0:62 offset1:63
	ds_write2_b64 v253, v[61:62], v[63:64] offset0:64 offset1:65
	ds_write2_b64 v253, v[57:58], v[59:60] offset0:66 offset1:67
	ds_write2_b64 v253, v[53:54], v[55:56] offset0:68 offset1:69
	ds_write2_b64 v253, v[49:50], v[51:52] offset0:70 offset1:71
	ds_write2_b64 v253, v[45:46], v[47:48] offset0:72 offset1:73
	ds_write2_b64 v253, v[41:42], v[43:44] offset0:74 offset1:75
	ds_write2_b64 v253, v[37:38], v[39:40] offset0:76 offset1:77
	ds_write2_b64 v253, v[33:34], v[35:36] offset0:78 offset1:79
	ds_write2_b64 v253, v[29:30], v[31:32] offset0:80 offset1:81
	ds_write2_b64 v253, v[25:26], v[27:28] offset0:82 offset1:83
	ds_write2_b64 v253, v[21:22], v[23:24] offset0:84 offset1:85
	ds_write2_b64 v253, v[17:18], v[19:20] offset0:86 offset1:87
	ds_write2_b64 v253, v[13:14], v[15:16] offset0:88 offset1:89
	ds_write2_b64 v253, v[9:10], v[11:12] offset0:90 offset1:91
	ds_write2_b64 v253, v[5:6], v[7:8] offset0:92 offset1:93
	ds_write2_b64 v253, v[1:2], v[3:4] offset0:94 offset1:95
	ds_read2_b64 v[193:196], v255 offset1:1
	s_waitcnt lgkmcnt(0)
	v_cmp_neq_f64_e32 vcc_lo, 0, v[193:194]
	v_cmp_neq_f64_e64 s1, 0, v[195:196]
	s_or_b32 s1, vcc_lo, s1
	s_and_b32 exec_lo, exec_lo, s1
	s_cbranch_execz .LBB95_125
; %bb.120:
	v_cmp_ngt_f64_e64 s1, |v[193:194]|, |v[195:196]|
                                        ; implicit-def: $vgpr197_vgpr198
	s_and_saveexec_b32 s3, s1
	s_xor_b32 s1, exec_lo, s3
                                        ; implicit-def: $vgpr199_vgpr200
	s_cbranch_execz .LBB95_122
; %bb.121:
	v_div_scale_f64 v[197:198], null, v[195:196], v[195:196], v[193:194]
	v_div_scale_f64 v[203:204], vcc_lo, v[193:194], v[195:196], v[193:194]
	v_rcp_f64_e32 v[199:200], v[197:198]
	v_fma_f64 v[201:202], -v[197:198], v[199:200], 1.0
	v_fma_f64 v[199:200], v[199:200], v[201:202], v[199:200]
	v_fma_f64 v[201:202], -v[197:198], v[199:200], 1.0
	v_fma_f64 v[199:200], v[199:200], v[201:202], v[199:200]
	v_mul_f64 v[201:202], v[203:204], v[199:200]
	v_fma_f64 v[197:198], -v[197:198], v[201:202], v[203:204]
	v_div_fmas_f64 v[197:198], v[197:198], v[199:200], v[201:202]
	v_div_fixup_f64 v[197:198], v[197:198], v[195:196], v[193:194]
	v_fma_f64 v[193:194], v[193:194], v[197:198], v[195:196]
	v_div_scale_f64 v[195:196], null, v[193:194], v[193:194], 1.0
	v_rcp_f64_e32 v[199:200], v[195:196]
	v_fma_f64 v[201:202], -v[195:196], v[199:200], 1.0
	v_fma_f64 v[199:200], v[199:200], v[201:202], v[199:200]
	v_fma_f64 v[201:202], -v[195:196], v[199:200], 1.0
	v_fma_f64 v[199:200], v[199:200], v[201:202], v[199:200]
	v_div_scale_f64 v[201:202], vcc_lo, 1.0, v[193:194], 1.0
	v_mul_f64 v[203:204], v[201:202], v[199:200]
	v_fma_f64 v[195:196], -v[195:196], v[203:204], v[201:202]
	v_div_fmas_f64 v[195:196], v[195:196], v[199:200], v[203:204]
	v_div_fixup_f64 v[199:200], v[195:196], v[193:194], 1.0
                                        ; implicit-def: $vgpr193_vgpr194
	v_mul_f64 v[197:198], v[197:198], v[199:200]
	v_xor_b32_e32 v200, 0x80000000, v200
.LBB95_122:
	s_andn2_saveexec_b32 s1, s1
	s_cbranch_execz .LBB95_124
; %bb.123:
	v_div_scale_f64 v[197:198], null, v[193:194], v[193:194], v[195:196]
	v_div_scale_f64 v[203:204], vcc_lo, v[195:196], v[193:194], v[195:196]
	v_rcp_f64_e32 v[199:200], v[197:198]
	v_fma_f64 v[201:202], -v[197:198], v[199:200], 1.0
	v_fma_f64 v[199:200], v[199:200], v[201:202], v[199:200]
	v_fma_f64 v[201:202], -v[197:198], v[199:200], 1.0
	v_fma_f64 v[199:200], v[199:200], v[201:202], v[199:200]
	v_mul_f64 v[201:202], v[203:204], v[199:200]
	v_fma_f64 v[197:198], -v[197:198], v[201:202], v[203:204]
	v_div_fmas_f64 v[197:198], v[197:198], v[199:200], v[201:202]
	v_div_fixup_f64 v[199:200], v[197:198], v[193:194], v[195:196]
	v_fma_f64 v[193:194], v[195:196], v[199:200], v[193:194]
	v_div_scale_f64 v[195:196], null, v[193:194], v[193:194], 1.0
	v_rcp_f64_e32 v[197:198], v[195:196]
	v_fma_f64 v[201:202], -v[195:196], v[197:198], 1.0
	v_fma_f64 v[197:198], v[197:198], v[201:202], v[197:198]
	v_fma_f64 v[201:202], -v[195:196], v[197:198], 1.0
	v_fma_f64 v[197:198], v[197:198], v[201:202], v[197:198]
	v_div_scale_f64 v[201:202], vcc_lo, 1.0, v[193:194], 1.0
	v_mul_f64 v[203:204], v[201:202], v[197:198]
	v_fma_f64 v[195:196], -v[195:196], v[203:204], v[201:202]
	v_div_fmas_f64 v[195:196], v[195:196], v[197:198], v[203:204]
	v_div_fixup_f64 v[197:198], v[195:196], v[193:194], 1.0
	v_mul_f64 v[199:200], v[199:200], -v[197:198]
.LBB95_124:
	s_or_b32 exec_lo, exec_lo, s1
	ds_write2_b64 v255, v[197:198], v[199:200] offset1:1
.LBB95_125:
	s_or_b32 exec_lo, exec_lo, s2
	s_waitcnt lgkmcnt(0)
	s_barrier
	buffer_gl0_inv
	ds_read2_b64 v[233:236], v255 offset1:1
	s_mov_b32 s1, exec_lo
	v_cmpx_lt_u32_e32 13, v0
	s_cbranch_execz .LBB95_127
; %bb.126:
	s_waitcnt lgkmcnt(0)
	v_mul_f64 v[193:194], v[235:236], v[139:140]
	v_mul_f64 v[139:140], v[233:234], v[139:140]
	ds_read2_b64 v[195:198], v253 offset0:28 offset1:29
	v_fma_f64 v[193:194], v[233:234], v[137:138], -v[193:194]
	v_fma_f64 v[139:140], v[235:236], v[137:138], v[139:140]
	s_waitcnt lgkmcnt(0)
	v_mul_f64 v[137:138], v[197:198], v[139:140]
	v_fma_f64 v[137:138], v[195:196], v[193:194], -v[137:138]
	v_mul_f64 v[195:196], v[195:196], v[139:140]
	v_add_f64 v[133:134], v[133:134], -v[137:138]
	v_fma_f64 v[195:196], v[197:198], v[193:194], v[195:196]
	v_add_f64 v[135:136], v[135:136], -v[195:196]
	ds_read2_b64 v[195:198], v253 offset0:30 offset1:31
	s_waitcnt lgkmcnt(0)
	v_mul_f64 v[137:138], v[197:198], v[139:140]
	v_fma_f64 v[137:138], v[195:196], v[193:194], -v[137:138]
	v_mul_f64 v[195:196], v[195:196], v[139:140]
	v_add_f64 v[129:130], v[129:130], -v[137:138]
	v_fma_f64 v[195:196], v[197:198], v[193:194], v[195:196]
	v_add_f64 v[131:132], v[131:132], -v[195:196]
	ds_read2_b64 v[195:198], v253 offset0:32 offset1:33
	;; [unrolled: 8-line block ×33, first 2 shown]
	s_waitcnt lgkmcnt(0)
	v_mul_f64 v[137:138], v[197:198], v[139:140]
	v_fma_f64 v[137:138], v[195:196], v[193:194], -v[137:138]
	v_mul_f64 v[195:196], v[195:196], v[139:140]
	v_add_f64 v[1:2], v[1:2], -v[137:138]
	v_fma_f64 v[195:196], v[197:198], v[193:194], v[195:196]
	v_mov_b32_e32 v137, v193
	v_mov_b32_e32 v138, v194
	v_add_f64 v[3:4], v[3:4], -v[195:196]
.LBB95_127:
	s_or_b32 exec_lo, exec_lo, s1
	s_mov_b32 s2, exec_lo
	s_waitcnt lgkmcnt(0)
	s_barrier
	buffer_gl0_inv
	v_cmpx_eq_u32_e32 14, v0
	s_cbranch_execz .LBB95_134
; %bb.128:
	ds_write2_b64 v255, v[133:134], v[135:136] offset1:1
	ds_write2_b64 v253, v[129:130], v[131:132] offset0:30 offset1:31
	ds_write2_b64 v253, v[125:126], v[127:128] offset0:32 offset1:33
	;; [unrolled: 1-line block ×33, first 2 shown]
	ds_read2_b64 v[193:196], v255 offset1:1
	s_waitcnt lgkmcnt(0)
	v_cmp_neq_f64_e32 vcc_lo, 0, v[193:194]
	v_cmp_neq_f64_e64 s1, 0, v[195:196]
	s_or_b32 s1, vcc_lo, s1
	s_and_b32 exec_lo, exec_lo, s1
	s_cbranch_execz .LBB95_134
; %bb.129:
	v_cmp_ngt_f64_e64 s1, |v[193:194]|, |v[195:196]|
                                        ; implicit-def: $vgpr197_vgpr198
	s_and_saveexec_b32 s3, s1
	s_xor_b32 s1, exec_lo, s3
                                        ; implicit-def: $vgpr199_vgpr200
	s_cbranch_execz .LBB95_131
; %bb.130:
	v_div_scale_f64 v[197:198], null, v[195:196], v[195:196], v[193:194]
	v_div_scale_f64 v[203:204], vcc_lo, v[193:194], v[195:196], v[193:194]
	v_rcp_f64_e32 v[199:200], v[197:198]
	v_fma_f64 v[201:202], -v[197:198], v[199:200], 1.0
	v_fma_f64 v[199:200], v[199:200], v[201:202], v[199:200]
	v_fma_f64 v[201:202], -v[197:198], v[199:200], 1.0
	v_fma_f64 v[199:200], v[199:200], v[201:202], v[199:200]
	v_mul_f64 v[201:202], v[203:204], v[199:200]
	v_fma_f64 v[197:198], -v[197:198], v[201:202], v[203:204]
	v_div_fmas_f64 v[197:198], v[197:198], v[199:200], v[201:202]
	v_div_fixup_f64 v[197:198], v[197:198], v[195:196], v[193:194]
	v_fma_f64 v[193:194], v[193:194], v[197:198], v[195:196]
	v_div_scale_f64 v[195:196], null, v[193:194], v[193:194], 1.0
	v_rcp_f64_e32 v[199:200], v[195:196]
	v_fma_f64 v[201:202], -v[195:196], v[199:200], 1.0
	v_fma_f64 v[199:200], v[199:200], v[201:202], v[199:200]
	v_fma_f64 v[201:202], -v[195:196], v[199:200], 1.0
	v_fma_f64 v[199:200], v[199:200], v[201:202], v[199:200]
	v_div_scale_f64 v[201:202], vcc_lo, 1.0, v[193:194], 1.0
	v_mul_f64 v[203:204], v[201:202], v[199:200]
	v_fma_f64 v[195:196], -v[195:196], v[203:204], v[201:202]
	v_div_fmas_f64 v[195:196], v[195:196], v[199:200], v[203:204]
	v_div_fixup_f64 v[199:200], v[195:196], v[193:194], 1.0
                                        ; implicit-def: $vgpr193_vgpr194
	v_mul_f64 v[197:198], v[197:198], v[199:200]
	v_xor_b32_e32 v200, 0x80000000, v200
.LBB95_131:
	s_andn2_saveexec_b32 s1, s1
	s_cbranch_execz .LBB95_133
; %bb.132:
	v_div_scale_f64 v[197:198], null, v[193:194], v[193:194], v[195:196]
	v_div_scale_f64 v[203:204], vcc_lo, v[195:196], v[193:194], v[195:196]
	v_rcp_f64_e32 v[199:200], v[197:198]
	v_fma_f64 v[201:202], -v[197:198], v[199:200], 1.0
	v_fma_f64 v[199:200], v[199:200], v[201:202], v[199:200]
	v_fma_f64 v[201:202], -v[197:198], v[199:200], 1.0
	v_fma_f64 v[199:200], v[199:200], v[201:202], v[199:200]
	v_mul_f64 v[201:202], v[203:204], v[199:200]
	v_fma_f64 v[197:198], -v[197:198], v[201:202], v[203:204]
	v_div_fmas_f64 v[197:198], v[197:198], v[199:200], v[201:202]
	v_div_fixup_f64 v[199:200], v[197:198], v[193:194], v[195:196]
	v_fma_f64 v[193:194], v[195:196], v[199:200], v[193:194]
	v_div_scale_f64 v[195:196], null, v[193:194], v[193:194], 1.0
	v_rcp_f64_e32 v[197:198], v[195:196]
	v_fma_f64 v[201:202], -v[195:196], v[197:198], 1.0
	v_fma_f64 v[197:198], v[197:198], v[201:202], v[197:198]
	v_fma_f64 v[201:202], -v[195:196], v[197:198], 1.0
	v_fma_f64 v[197:198], v[197:198], v[201:202], v[197:198]
	v_div_scale_f64 v[201:202], vcc_lo, 1.0, v[193:194], 1.0
	v_mul_f64 v[203:204], v[201:202], v[197:198]
	v_fma_f64 v[195:196], -v[195:196], v[203:204], v[201:202]
	v_div_fmas_f64 v[195:196], v[195:196], v[197:198], v[203:204]
	v_div_fixup_f64 v[197:198], v[195:196], v[193:194], 1.0
	v_mul_f64 v[199:200], v[199:200], -v[197:198]
.LBB95_133:
	s_or_b32 exec_lo, exec_lo, s1
	ds_write2_b64 v255, v[197:198], v[199:200] offset1:1
.LBB95_134:
	s_or_b32 exec_lo, exec_lo, s2
	s_waitcnt lgkmcnt(0)
	s_barrier
	buffer_gl0_inv
	ds_read2_b64 v[241:244], v255 offset1:1
	s_mov_b32 s1, exec_lo
	v_cmpx_lt_u32_e32 14, v0
	s_cbranch_execz .LBB95_136
; %bb.135:
	s_waitcnt lgkmcnt(0)
	v_mul_f64 v[193:194], v[243:244], v[135:136]
	v_mul_f64 v[135:136], v[241:242], v[135:136]
	ds_read2_b64 v[195:198], v253 offset0:30 offset1:31
	v_fma_f64 v[193:194], v[241:242], v[133:134], -v[193:194]
	v_fma_f64 v[135:136], v[243:244], v[133:134], v[135:136]
	s_waitcnt lgkmcnt(0)
	v_mul_f64 v[133:134], v[197:198], v[135:136]
	v_fma_f64 v[133:134], v[195:196], v[193:194], -v[133:134]
	v_mul_f64 v[195:196], v[195:196], v[135:136]
	v_add_f64 v[129:130], v[129:130], -v[133:134]
	v_fma_f64 v[195:196], v[197:198], v[193:194], v[195:196]
	v_add_f64 v[131:132], v[131:132], -v[195:196]
	ds_read2_b64 v[195:198], v253 offset0:32 offset1:33
	s_waitcnt lgkmcnt(0)
	v_mul_f64 v[133:134], v[197:198], v[135:136]
	v_fma_f64 v[133:134], v[195:196], v[193:194], -v[133:134]
	v_mul_f64 v[195:196], v[195:196], v[135:136]
	v_add_f64 v[125:126], v[125:126], -v[133:134]
	v_fma_f64 v[195:196], v[197:198], v[193:194], v[195:196]
	v_add_f64 v[127:128], v[127:128], -v[195:196]
	ds_read2_b64 v[195:198], v253 offset0:34 offset1:35
	;; [unrolled: 8-line block ×32, first 2 shown]
	s_waitcnt lgkmcnt(0)
	v_mul_f64 v[133:134], v[197:198], v[135:136]
	v_fma_f64 v[133:134], v[195:196], v[193:194], -v[133:134]
	v_mul_f64 v[195:196], v[195:196], v[135:136]
	v_add_f64 v[1:2], v[1:2], -v[133:134]
	v_fma_f64 v[195:196], v[197:198], v[193:194], v[195:196]
	v_mov_b32_e32 v133, v193
	v_mov_b32_e32 v134, v194
	v_add_f64 v[3:4], v[3:4], -v[195:196]
.LBB95_136:
	s_or_b32 exec_lo, exec_lo, s1
	s_mov_b32 s2, exec_lo
	s_waitcnt lgkmcnt(0)
	s_barrier
	buffer_gl0_inv
	v_cmpx_eq_u32_e32 15, v0
	s_cbranch_execz .LBB95_143
; %bb.137:
	ds_write2_b64 v255, v[129:130], v[131:132] offset1:1
	ds_write2_b64 v253, v[125:126], v[127:128] offset0:32 offset1:33
	ds_write2_b64 v253, v[121:122], v[123:124] offset0:34 offset1:35
	;; [unrolled: 1-line block ×32, first 2 shown]
	ds_read2_b64 v[193:196], v255 offset1:1
	s_waitcnt lgkmcnt(0)
	v_cmp_neq_f64_e32 vcc_lo, 0, v[193:194]
	v_cmp_neq_f64_e64 s1, 0, v[195:196]
	s_or_b32 s1, vcc_lo, s1
	s_and_b32 exec_lo, exec_lo, s1
	s_cbranch_execz .LBB95_143
; %bb.138:
	v_cmp_ngt_f64_e64 s1, |v[193:194]|, |v[195:196]|
                                        ; implicit-def: $vgpr197_vgpr198
	s_and_saveexec_b32 s3, s1
	s_xor_b32 s1, exec_lo, s3
                                        ; implicit-def: $vgpr199_vgpr200
	s_cbranch_execz .LBB95_140
; %bb.139:
	v_div_scale_f64 v[197:198], null, v[195:196], v[195:196], v[193:194]
	v_div_scale_f64 v[203:204], vcc_lo, v[193:194], v[195:196], v[193:194]
	v_rcp_f64_e32 v[199:200], v[197:198]
	v_fma_f64 v[201:202], -v[197:198], v[199:200], 1.0
	v_fma_f64 v[199:200], v[199:200], v[201:202], v[199:200]
	v_fma_f64 v[201:202], -v[197:198], v[199:200], 1.0
	v_fma_f64 v[199:200], v[199:200], v[201:202], v[199:200]
	v_mul_f64 v[201:202], v[203:204], v[199:200]
	v_fma_f64 v[197:198], -v[197:198], v[201:202], v[203:204]
	v_div_fmas_f64 v[197:198], v[197:198], v[199:200], v[201:202]
	v_div_fixup_f64 v[197:198], v[197:198], v[195:196], v[193:194]
	v_fma_f64 v[193:194], v[193:194], v[197:198], v[195:196]
	v_div_scale_f64 v[195:196], null, v[193:194], v[193:194], 1.0
	v_rcp_f64_e32 v[199:200], v[195:196]
	v_fma_f64 v[201:202], -v[195:196], v[199:200], 1.0
	v_fma_f64 v[199:200], v[199:200], v[201:202], v[199:200]
	v_fma_f64 v[201:202], -v[195:196], v[199:200], 1.0
	v_fma_f64 v[199:200], v[199:200], v[201:202], v[199:200]
	v_div_scale_f64 v[201:202], vcc_lo, 1.0, v[193:194], 1.0
	v_mul_f64 v[203:204], v[201:202], v[199:200]
	v_fma_f64 v[195:196], -v[195:196], v[203:204], v[201:202]
	v_div_fmas_f64 v[195:196], v[195:196], v[199:200], v[203:204]
	v_div_fixup_f64 v[199:200], v[195:196], v[193:194], 1.0
                                        ; implicit-def: $vgpr193_vgpr194
	v_mul_f64 v[197:198], v[197:198], v[199:200]
	v_xor_b32_e32 v200, 0x80000000, v200
.LBB95_140:
	s_andn2_saveexec_b32 s1, s1
	s_cbranch_execz .LBB95_142
; %bb.141:
	v_div_scale_f64 v[197:198], null, v[193:194], v[193:194], v[195:196]
	v_div_scale_f64 v[203:204], vcc_lo, v[195:196], v[193:194], v[195:196]
	v_rcp_f64_e32 v[199:200], v[197:198]
	v_fma_f64 v[201:202], -v[197:198], v[199:200], 1.0
	v_fma_f64 v[199:200], v[199:200], v[201:202], v[199:200]
	v_fma_f64 v[201:202], -v[197:198], v[199:200], 1.0
	v_fma_f64 v[199:200], v[199:200], v[201:202], v[199:200]
	v_mul_f64 v[201:202], v[203:204], v[199:200]
	v_fma_f64 v[197:198], -v[197:198], v[201:202], v[203:204]
	v_div_fmas_f64 v[197:198], v[197:198], v[199:200], v[201:202]
	v_div_fixup_f64 v[199:200], v[197:198], v[193:194], v[195:196]
	v_fma_f64 v[193:194], v[195:196], v[199:200], v[193:194]
	v_div_scale_f64 v[195:196], null, v[193:194], v[193:194], 1.0
	v_rcp_f64_e32 v[197:198], v[195:196]
	v_fma_f64 v[201:202], -v[195:196], v[197:198], 1.0
	v_fma_f64 v[197:198], v[197:198], v[201:202], v[197:198]
	v_fma_f64 v[201:202], -v[195:196], v[197:198], 1.0
	v_fma_f64 v[197:198], v[197:198], v[201:202], v[197:198]
	v_div_scale_f64 v[201:202], vcc_lo, 1.0, v[193:194], 1.0
	v_mul_f64 v[203:204], v[201:202], v[197:198]
	v_fma_f64 v[195:196], -v[195:196], v[203:204], v[201:202]
	v_div_fmas_f64 v[195:196], v[195:196], v[197:198], v[203:204]
	v_div_fixup_f64 v[197:198], v[195:196], v[193:194], 1.0
	v_mul_f64 v[199:200], v[199:200], -v[197:198]
.LBB95_142:
	s_or_b32 exec_lo, exec_lo, s1
	ds_write2_b64 v255, v[197:198], v[199:200] offset1:1
.LBB95_143:
	s_or_b32 exec_lo, exec_lo, s2
	s_waitcnt lgkmcnt(0)
	s_barrier
	buffer_gl0_inv
	ds_read2_b64 v[245:248], v255 offset1:1
	s_mov_b32 s1, exec_lo
	v_cmpx_lt_u32_e32 15, v0
	s_cbranch_execz .LBB95_145
; %bb.144:
	s_waitcnt lgkmcnt(0)
	v_mul_f64 v[193:194], v[247:248], v[131:132]
	v_mul_f64 v[131:132], v[245:246], v[131:132]
	ds_read2_b64 v[195:198], v253 offset0:32 offset1:33
	v_fma_f64 v[193:194], v[245:246], v[129:130], -v[193:194]
	v_fma_f64 v[131:132], v[247:248], v[129:130], v[131:132]
	s_waitcnt lgkmcnt(0)
	v_mul_f64 v[129:130], v[197:198], v[131:132]
	v_fma_f64 v[129:130], v[195:196], v[193:194], -v[129:130]
	v_mul_f64 v[195:196], v[195:196], v[131:132]
	v_add_f64 v[125:126], v[125:126], -v[129:130]
	v_fma_f64 v[195:196], v[197:198], v[193:194], v[195:196]
	v_add_f64 v[127:128], v[127:128], -v[195:196]
	ds_read2_b64 v[195:198], v253 offset0:34 offset1:35
	s_waitcnt lgkmcnt(0)
	v_mul_f64 v[129:130], v[197:198], v[131:132]
	v_fma_f64 v[129:130], v[195:196], v[193:194], -v[129:130]
	v_mul_f64 v[195:196], v[195:196], v[131:132]
	v_add_f64 v[121:122], v[121:122], -v[129:130]
	v_fma_f64 v[195:196], v[197:198], v[193:194], v[195:196]
	v_add_f64 v[123:124], v[123:124], -v[195:196]
	ds_read2_b64 v[195:198], v253 offset0:36 offset1:37
	;; [unrolled: 8-line block ×31, first 2 shown]
	s_waitcnt lgkmcnt(0)
	v_mul_f64 v[129:130], v[197:198], v[131:132]
	v_fma_f64 v[129:130], v[195:196], v[193:194], -v[129:130]
	v_mul_f64 v[195:196], v[195:196], v[131:132]
	v_add_f64 v[1:2], v[1:2], -v[129:130]
	v_fma_f64 v[195:196], v[197:198], v[193:194], v[195:196]
	v_mov_b32_e32 v129, v193
	v_mov_b32_e32 v130, v194
	v_add_f64 v[3:4], v[3:4], -v[195:196]
.LBB95_145:
	s_or_b32 exec_lo, exec_lo, s1
	s_mov_b32 s2, exec_lo
	s_waitcnt lgkmcnt(0)
	s_barrier
	buffer_gl0_inv
	v_cmpx_eq_u32_e32 16, v0
	s_cbranch_execz .LBB95_152
; %bb.146:
	ds_write2_b64 v255, v[125:126], v[127:128] offset1:1
	ds_write2_b64 v253, v[121:122], v[123:124] offset0:34 offset1:35
	ds_write2_b64 v253, v[117:118], v[119:120] offset0:36 offset1:37
	;; [unrolled: 1-line block ×31, first 2 shown]
	ds_read2_b64 v[193:196], v255 offset1:1
	s_waitcnt lgkmcnt(0)
	v_cmp_neq_f64_e32 vcc_lo, 0, v[193:194]
	v_cmp_neq_f64_e64 s1, 0, v[195:196]
	s_or_b32 s1, vcc_lo, s1
	s_and_b32 exec_lo, exec_lo, s1
	s_cbranch_execz .LBB95_152
; %bb.147:
	v_cmp_ngt_f64_e64 s1, |v[193:194]|, |v[195:196]|
                                        ; implicit-def: $vgpr197_vgpr198
	s_and_saveexec_b32 s3, s1
	s_xor_b32 s1, exec_lo, s3
                                        ; implicit-def: $vgpr199_vgpr200
	s_cbranch_execz .LBB95_149
; %bb.148:
	v_div_scale_f64 v[197:198], null, v[195:196], v[195:196], v[193:194]
	v_div_scale_f64 v[203:204], vcc_lo, v[193:194], v[195:196], v[193:194]
	v_rcp_f64_e32 v[199:200], v[197:198]
	v_fma_f64 v[201:202], -v[197:198], v[199:200], 1.0
	v_fma_f64 v[199:200], v[199:200], v[201:202], v[199:200]
	v_fma_f64 v[201:202], -v[197:198], v[199:200], 1.0
	v_fma_f64 v[199:200], v[199:200], v[201:202], v[199:200]
	v_mul_f64 v[201:202], v[203:204], v[199:200]
	v_fma_f64 v[197:198], -v[197:198], v[201:202], v[203:204]
	v_div_fmas_f64 v[197:198], v[197:198], v[199:200], v[201:202]
	v_div_fixup_f64 v[197:198], v[197:198], v[195:196], v[193:194]
	v_fma_f64 v[193:194], v[193:194], v[197:198], v[195:196]
	v_div_scale_f64 v[195:196], null, v[193:194], v[193:194], 1.0
	v_rcp_f64_e32 v[199:200], v[195:196]
	v_fma_f64 v[201:202], -v[195:196], v[199:200], 1.0
	v_fma_f64 v[199:200], v[199:200], v[201:202], v[199:200]
	v_fma_f64 v[201:202], -v[195:196], v[199:200], 1.0
	v_fma_f64 v[199:200], v[199:200], v[201:202], v[199:200]
	v_div_scale_f64 v[201:202], vcc_lo, 1.0, v[193:194], 1.0
	v_mul_f64 v[203:204], v[201:202], v[199:200]
	v_fma_f64 v[195:196], -v[195:196], v[203:204], v[201:202]
	v_div_fmas_f64 v[195:196], v[195:196], v[199:200], v[203:204]
	v_div_fixup_f64 v[199:200], v[195:196], v[193:194], 1.0
                                        ; implicit-def: $vgpr193_vgpr194
	v_mul_f64 v[197:198], v[197:198], v[199:200]
	v_xor_b32_e32 v200, 0x80000000, v200
.LBB95_149:
	s_andn2_saveexec_b32 s1, s1
	s_cbranch_execz .LBB95_151
; %bb.150:
	v_div_scale_f64 v[197:198], null, v[193:194], v[193:194], v[195:196]
	v_div_scale_f64 v[203:204], vcc_lo, v[195:196], v[193:194], v[195:196]
	v_rcp_f64_e32 v[199:200], v[197:198]
	v_fma_f64 v[201:202], -v[197:198], v[199:200], 1.0
	v_fma_f64 v[199:200], v[199:200], v[201:202], v[199:200]
	v_fma_f64 v[201:202], -v[197:198], v[199:200], 1.0
	v_fma_f64 v[199:200], v[199:200], v[201:202], v[199:200]
	v_mul_f64 v[201:202], v[203:204], v[199:200]
	v_fma_f64 v[197:198], -v[197:198], v[201:202], v[203:204]
	v_div_fmas_f64 v[197:198], v[197:198], v[199:200], v[201:202]
	v_div_fixup_f64 v[199:200], v[197:198], v[193:194], v[195:196]
	v_fma_f64 v[193:194], v[195:196], v[199:200], v[193:194]
	v_div_scale_f64 v[195:196], null, v[193:194], v[193:194], 1.0
	v_rcp_f64_e32 v[197:198], v[195:196]
	v_fma_f64 v[201:202], -v[195:196], v[197:198], 1.0
	v_fma_f64 v[197:198], v[197:198], v[201:202], v[197:198]
	v_fma_f64 v[201:202], -v[195:196], v[197:198], 1.0
	v_fma_f64 v[197:198], v[197:198], v[201:202], v[197:198]
	v_div_scale_f64 v[201:202], vcc_lo, 1.0, v[193:194], 1.0
	v_mul_f64 v[203:204], v[201:202], v[197:198]
	v_fma_f64 v[195:196], -v[195:196], v[203:204], v[201:202]
	v_div_fmas_f64 v[195:196], v[195:196], v[197:198], v[203:204]
	v_div_fixup_f64 v[197:198], v[195:196], v[193:194], 1.0
	v_mul_f64 v[199:200], v[199:200], -v[197:198]
.LBB95_151:
	s_or_b32 exec_lo, exec_lo, s1
	ds_write2_b64 v255, v[197:198], v[199:200] offset1:1
.LBB95_152:
	s_or_b32 exec_lo, exec_lo, s2
	s_waitcnt lgkmcnt(0)
	s_barrier
	buffer_gl0_inv
	ds_read2_b64 v[249:252], v255 offset1:1
	s_mov_b32 s1, exec_lo
	v_cmpx_lt_u32_e32 16, v0
	s_cbranch_execz .LBB95_154
; %bb.153:
	s_waitcnt lgkmcnt(0)
	v_mul_f64 v[193:194], v[251:252], v[127:128]
	v_mul_f64 v[127:128], v[249:250], v[127:128]
	ds_read2_b64 v[195:198], v253 offset0:34 offset1:35
	v_fma_f64 v[193:194], v[249:250], v[125:126], -v[193:194]
	v_fma_f64 v[127:128], v[251:252], v[125:126], v[127:128]
	s_waitcnt lgkmcnt(0)
	v_mul_f64 v[125:126], v[197:198], v[127:128]
	v_fma_f64 v[125:126], v[195:196], v[193:194], -v[125:126]
	v_mul_f64 v[195:196], v[195:196], v[127:128]
	v_add_f64 v[121:122], v[121:122], -v[125:126]
	v_fma_f64 v[195:196], v[197:198], v[193:194], v[195:196]
	v_add_f64 v[123:124], v[123:124], -v[195:196]
	ds_read2_b64 v[195:198], v253 offset0:36 offset1:37
	s_waitcnt lgkmcnt(0)
	v_mul_f64 v[125:126], v[197:198], v[127:128]
	v_fma_f64 v[125:126], v[195:196], v[193:194], -v[125:126]
	v_mul_f64 v[195:196], v[195:196], v[127:128]
	v_add_f64 v[117:118], v[117:118], -v[125:126]
	v_fma_f64 v[195:196], v[197:198], v[193:194], v[195:196]
	v_add_f64 v[119:120], v[119:120], -v[195:196]
	ds_read2_b64 v[195:198], v253 offset0:38 offset1:39
	;; [unrolled: 8-line block ×30, first 2 shown]
	s_waitcnt lgkmcnt(0)
	v_mul_f64 v[125:126], v[197:198], v[127:128]
	v_fma_f64 v[125:126], v[195:196], v[193:194], -v[125:126]
	v_mul_f64 v[195:196], v[195:196], v[127:128]
	v_add_f64 v[1:2], v[1:2], -v[125:126]
	v_fma_f64 v[195:196], v[197:198], v[193:194], v[195:196]
	v_mov_b32_e32 v125, v193
	v_mov_b32_e32 v126, v194
	v_add_f64 v[3:4], v[3:4], -v[195:196]
.LBB95_154:
	s_or_b32 exec_lo, exec_lo, s1
	s_mov_b32 s2, exec_lo
	s_waitcnt lgkmcnt(0)
	s_barrier
	buffer_gl0_inv
	v_cmpx_eq_u32_e32 17, v0
	s_cbranch_execz .LBB95_161
; %bb.155:
	ds_write2_b64 v255, v[121:122], v[123:124] offset1:1
	ds_write2_b64 v253, v[117:118], v[119:120] offset0:36 offset1:37
	ds_write2_b64 v253, v[113:114], v[115:116] offset0:38 offset1:39
	;; [unrolled: 1-line block ×30, first 2 shown]
	ds_read2_b64 v[193:196], v255 offset1:1
	s_waitcnt lgkmcnt(0)
	v_cmp_neq_f64_e32 vcc_lo, 0, v[193:194]
	v_cmp_neq_f64_e64 s1, 0, v[195:196]
	s_or_b32 s1, vcc_lo, s1
	s_and_b32 exec_lo, exec_lo, s1
	s_cbranch_execz .LBB95_161
; %bb.156:
	v_cmp_ngt_f64_e64 s1, |v[193:194]|, |v[195:196]|
                                        ; implicit-def: $vgpr197_vgpr198
	s_and_saveexec_b32 s3, s1
	s_xor_b32 s1, exec_lo, s3
                                        ; implicit-def: $vgpr199_vgpr200
	s_cbranch_execz .LBB95_158
; %bb.157:
	v_div_scale_f64 v[197:198], null, v[195:196], v[195:196], v[193:194]
	v_div_scale_f64 v[203:204], vcc_lo, v[193:194], v[195:196], v[193:194]
	v_rcp_f64_e32 v[199:200], v[197:198]
	v_fma_f64 v[201:202], -v[197:198], v[199:200], 1.0
	v_fma_f64 v[199:200], v[199:200], v[201:202], v[199:200]
	v_fma_f64 v[201:202], -v[197:198], v[199:200], 1.0
	v_fma_f64 v[199:200], v[199:200], v[201:202], v[199:200]
	v_mul_f64 v[201:202], v[203:204], v[199:200]
	v_fma_f64 v[197:198], -v[197:198], v[201:202], v[203:204]
	v_div_fmas_f64 v[197:198], v[197:198], v[199:200], v[201:202]
	v_div_fixup_f64 v[197:198], v[197:198], v[195:196], v[193:194]
	v_fma_f64 v[193:194], v[193:194], v[197:198], v[195:196]
	v_div_scale_f64 v[195:196], null, v[193:194], v[193:194], 1.0
	v_rcp_f64_e32 v[199:200], v[195:196]
	v_fma_f64 v[201:202], -v[195:196], v[199:200], 1.0
	v_fma_f64 v[199:200], v[199:200], v[201:202], v[199:200]
	v_fma_f64 v[201:202], -v[195:196], v[199:200], 1.0
	v_fma_f64 v[199:200], v[199:200], v[201:202], v[199:200]
	v_div_scale_f64 v[201:202], vcc_lo, 1.0, v[193:194], 1.0
	v_mul_f64 v[203:204], v[201:202], v[199:200]
	v_fma_f64 v[195:196], -v[195:196], v[203:204], v[201:202]
	v_div_fmas_f64 v[195:196], v[195:196], v[199:200], v[203:204]
	v_div_fixup_f64 v[199:200], v[195:196], v[193:194], 1.0
                                        ; implicit-def: $vgpr193_vgpr194
	v_mul_f64 v[197:198], v[197:198], v[199:200]
	v_xor_b32_e32 v200, 0x80000000, v200
.LBB95_158:
	s_andn2_saveexec_b32 s1, s1
	s_cbranch_execz .LBB95_160
; %bb.159:
	v_div_scale_f64 v[197:198], null, v[193:194], v[193:194], v[195:196]
	v_div_scale_f64 v[203:204], vcc_lo, v[195:196], v[193:194], v[195:196]
	v_rcp_f64_e32 v[199:200], v[197:198]
	v_fma_f64 v[201:202], -v[197:198], v[199:200], 1.0
	v_fma_f64 v[199:200], v[199:200], v[201:202], v[199:200]
	v_fma_f64 v[201:202], -v[197:198], v[199:200], 1.0
	v_fma_f64 v[199:200], v[199:200], v[201:202], v[199:200]
	v_mul_f64 v[201:202], v[203:204], v[199:200]
	v_fma_f64 v[197:198], -v[197:198], v[201:202], v[203:204]
	v_div_fmas_f64 v[197:198], v[197:198], v[199:200], v[201:202]
	v_div_fixup_f64 v[199:200], v[197:198], v[193:194], v[195:196]
	v_fma_f64 v[193:194], v[195:196], v[199:200], v[193:194]
	v_div_scale_f64 v[195:196], null, v[193:194], v[193:194], 1.0
	v_rcp_f64_e32 v[197:198], v[195:196]
	v_fma_f64 v[201:202], -v[195:196], v[197:198], 1.0
	v_fma_f64 v[197:198], v[197:198], v[201:202], v[197:198]
	v_fma_f64 v[201:202], -v[195:196], v[197:198], 1.0
	v_fma_f64 v[197:198], v[197:198], v[201:202], v[197:198]
	v_div_scale_f64 v[201:202], vcc_lo, 1.0, v[193:194], 1.0
	v_mul_f64 v[203:204], v[201:202], v[197:198]
	v_fma_f64 v[195:196], -v[195:196], v[203:204], v[201:202]
	v_div_fmas_f64 v[195:196], v[195:196], v[197:198], v[203:204]
	v_div_fixup_f64 v[197:198], v[195:196], v[193:194], 1.0
	v_mul_f64 v[199:200], v[199:200], -v[197:198]
.LBB95_160:
	s_or_b32 exec_lo, exec_lo, s1
	ds_write2_b64 v255, v[197:198], v[199:200] offset1:1
.LBB95_161:
	s_or_b32 exec_lo, exec_lo, s2
	s_waitcnt lgkmcnt(0)
	s_barrier
	buffer_gl0_inv
	ds_read2_b64 v[217:220], v255 offset1:1
	s_mov_b32 s1, exec_lo
	v_cmpx_lt_u32_e32 17, v0
	s_cbranch_execz .LBB95_163
; %bb.162:
	s_waitcnt lgkmcnt(0)
	v_mul_f64 v[193:194], v[219:220], v[123:124]
	v_mul_f64 v[123:124], v[217:218], v[123:124]
	ds_read2_b64 v[195:198], v253 offset0:36 offset1:37
	v_fma_f64 v[193:194], v[217:218], v[121:122], -v[193:194]
	v_fma_f64 v[123:124], v[219:220], v[121:122], v[123:124]
	s_waitcnt lgkmcnt(0)
	v_mul_f64 v[121:122], v[197:198], v[123:124]
	v_fma_f64 v[121:122], v[195:196], v[193:194], -v[121:122]
	v_mul_f64 v[195:196], v[195:196], v[123:124]
	v_add_f64 v[117:118], v[117:118], -v[121:122]
	v_fma_f64 v[195:196], v[197:198], v[193:194], v[195:196]
	v_add_f64 v[119:120], v[119:120], -v[195:196]
	ds_read2_b64 v[195:198], v253 offset0:38 offset1:39
	s_waitcnt lgkmcnt(0)
	v_mul_f64 v[121:122], v[197:198], v[123:124]
	v_fma_f64 v[121:122], v[195:196], v[193:194], -v[121:122]
	v_mul_f64 v[195:196], v[195:196], v[123:124]
	v_add_f64 v[113:114], v[113:114], -v[121:122]
	v_fma_f64 v[195:196], v[197:198], v[193:194], v[195:196]
	v_add_f64 v[115:116], v[115:116], -v[195:196]
	ds_read2_b64 v[195:198], v253 offset0:40 offset1:41
	;; [unrolled: 8-line block ×29, first 2 shown]
	s_waitcnt lgkmcnt(0)
	v_mul_f64 v[121:122], v[197:198], v[123:124]
	v_fma_f64 v[121:122], v[195:196], v[193:194], -v[121:122]
	v_mul_f64 v[195:196], v[195:196], v[123:124]
	v_add_f64 v[1:2], v[1:2], -v[121:122]
	v_fma_f64 v[195:196], v[197:198], v[193:194], v[195:196]
	v_mov_b32_e32 v121, v193
	v_mov_b32_e32 v122, v194
	v_add_f64 v[3:4], v[3:4], -v[195:196]
.LBB95_163:
	s_or_b32 exec_lo, exec_lo, s1
	s_mov_b32 s2, exec_lo
	s_waitcnt lgkmcnt(0)
	s_barrier
	buffer_gl0_inv
	v_cmpx_eq_u32_e32 18, v0
	s_cbranch_execz .LBB95_170
; %bb.164:
	ds_write2_b64 v255, v[117:118], v[119:120] offset1:1
	ds_write2_b64 v253, v[113:114], v[115:116] offset0:38 offset1:39
	ds_write2_b64 v253, v[109:110], v[111:112] offset0:40 offset1:41
	;; [unrolled: 1-line block ×29, first 2 shown]
	ds_read2_b64 v[193:196], v255 offset1:1
	s_waitcnt lgkmcnt(0)
	v_cmp_neq_f64_e32 vcc_lo, 0, v[193:194]
	v_cmp_neq_f64_e64 s1, 0, v[195:196]
	s_or_b32 s1, vcc_lo, s1
	s_and_b32 exec_lo, exec_lo, s1
	s_cbranch_execz .LBB95_170
; %bb.165:
	v_cmp_ngt_f64_e64 s1, |v[193:194]|, |v[195:196]|
                                        ; implicit-def: $vgpr197_vgpr198
	s_and_saveexec_b32 s3, s1
	s_xor_b32 s1, exec_lo, s3
                                        ; implicit-def: $vgpr199_vgpr200
	s_cbranch_execz .LBB95_167
; %bb.166:
	v_div_scale_f64 v[197:198], null, v[195:196], v[195:196], v[193:194]
	v_div_scale_f64 v[203:204], vcc_lo, v[193:194], v[195:196], v[193:194]
	v_rcp_f64_e32 v[199:200], v[197:198]
	v_fma_f64 v[201:202], -v[197:198], v[199:200], 1.0
	v_fma_f64 v[199:200], v[199:200], v[201:202], v[199:200]
	v_fma_f64 v[201:202], -v[197:198], v[199:200], 1.0
	v_fma_f64 v[199:200], v[199:200], v[201:202], v[199:200]
	v_mul_f64 v[201:202], v[203:204], v[199:200]
	v_fma_f64 v[197:198], -v[197:198], v[201:202], v[203:204]
	v_div_fmas_f64 v[197:198], v[197:198], v[199:200], v[201:202]
	v_div_fixup_f64 v[197:198], v[197:198], v[195:196], v[193:194]
	v_fma_f64 v[193:194], v[193:194], v[197:198], v[195:196]
	v_div_scale_f64 v[195:196], null, v[193:194], v[193:194], 1.0
	v_rcp_f64_e32 v[199:200], v[195:196]
	v_fma_f64 v[201:202], -v[195:196], v[199:200], 1.0
	v_fma_f64 v[199:200], v[199:200], v[201:202], v[199:200]
	v_fma_f64 v[201:202], -v[195:196], v[199:200], 1.0
	v_fma_f64 v[199:200], v[199:200], v[201:202], v[199:200]
	v_div_scale_f64 v[201:202], vcc_lo, 1.0, v[193:194], 1.0
	v_mul_f64 v[203:204], v[201:202], v[199:200]
	v_fma_f64 v[195:196], -v[195:196], v[203:204], v[201:202]
	v_div_fmas_f64 v[195:196], v[195:196], v[199:200], v[203:204]
	v_div_fixup_f64 v[199:200], v[195:196], v[193:194], 1.0
                                        ; implicit-def: $vgpr193_vgpr194
	v_mul_f64 v[197:198], v[197:198], v[199:200]
	v_xor_b32_e32 v200, 0x80000000, v200
.LBB95_167:
	s_andn2_saveexec_b32 s1, s1
	s_cbranch_execz .LBB95_169
; %bb.168:
	v_div_scale_f64 v[197:198], null, v[193:194], v[193:194], v[195:196]
	v_div_scale_f64 v[203:204], vcc_lo, v[195:196], v[193:194], v[195:196]
	v_rcp_f64_e32 v[199:200], v[197:198]
	v_fma_f64 v[201:202], -v[197:198], v[199:200], 1.0
	v_fma_f64 v[199:200], v[199:200], v[201:202], v[199:200]
	v_fma_f64 v[201:202], -v[197:198], v[199:200], 1.0
	v_fma_f64 v[199:200], v[199:200], v[201:202], v[199:200]
	v_mul_f64 v[201:202], v[203:204], v[199:200]
	v_fma_f64 v[197:198], -v[197:198], v[201:202], v[203:204]
	v_div_fmas_f64 v[197:198], v[197:198], v[199:200], v[201:202]
	v_div_fixup_f64 v[199:200], v[197:198], v[193:194], v[195:196]
	v_fma_f64 v[193:194], v[195:196], v[199:200], v[193:194]
	v_div_scale_f64 v[195:196], null, v[193:194], v[193:194], 1.0
	v_rcp_f64_e32 v[197:198], v[195:196]
	v_fma_f64 v[201:202], -v[195:196], v[197:198], 1.0
	v_fma_f64 v[197:198], v[197:198], v[201:202], v[197:198]
	v_fma_f64 v[201:202], -v[195:196], v[197:198], 1.0
	v_fma_f64 v[197:198], v[197:198], v[201:202], v[197:198]
	v_div_scale_f64 v[201:202], vcc_lo, 1.0, v[193:194], 1.0
	v_mul_f64 v[203:204], v[201:202], v[197:198]
	v_fma_f64 v[195:196], -v[195:196], v[203:204], v[201:202]
	v_div_fmas_f64 v[195:196], v[195:196], v[197:198], v[203:204]
	v_div_fixup_f64 v[197:198], v[195:196], v[193:194], 1.0
	v_mul_f64 v[199:200], v[199:200], -v[197:198]
.LBB95_169:
	s_or_b32 exec_lo, exec_lo, s1
	ds_write2_b64 v255, v[197:198], v[199:200] offset1:1
.LBB95_170:
	s_or_b32 exec_lo, exec_lo, s2
	s_waitcnt lgkmcnt(0)
	s_barrier
	buffer_gl0_inv
	ds_read2_b64 v[101:104], v255 offset1:1
	s_mov_b32 s1, exec_lo
	s_waitcnt lgkmcnt(0)
	buffer_store_dword v101, off, s[16:19], 0 offset:512 ; 4-byte Folded Spill
	buffer_store_dword v102, off, s[16:19], 0 offset:516 ; 4-byte Folded Spill
	;; [unrolled: 1-line block ×4, first 2 shown]
	v_cmpx_lt_u32_e32 18, v0
	s_cbranch_execz .LBB95_172
; %bb.171:
	s_clause 0x3
	buffer_load_dword v101, off, s[16:19], 0 offset:512
	buffer_load_dword v102, off, s[16:19], 0 offset:516
	;; [unrolled: 1-line block ×4, first 2 shown]
	ds_read2_b64 v[195:198], v253 offset0:38 offset1:39
	s_waitcnt vmcnt(0)
	v_mul_f64 v[193:194], v[103:104], v[119:120]
	v_mul_f64 v[119:120], v[101:102], v[119:120]
	v_fma_f64 v[193:194], v[101:102], v[117:118], -v[193:194]
	v_fma_f64 v[119:120], v[103:104], v[117:118], v[119:120]
	s_waitcnt lgkmcnt(0)
	v_mul_f64 v[117:118], v[197:198], v[119:120]
	v_fma_f64 v[117:118], v[195:196], v[193:194], -v[117:118]
	v_mul_f64 v[195:196], v[195:196], v[119:120]
	v_add_f64 v[113:114], v[113:114], -v[117:118]
	v_fma_f64 v[195:196], v[197:198], v[193:194], v[195:196]
	v_add_f64 v[115:116], v[115:116], -v[195:196]
	ds_read2_b64 v[195:198], v253 offset0:40 offset1:41
	s_waitcnt lgkmcnt(0)
	v_mul_f64 v[117:118], v[197:198], v[119:120]
	v_fma_f64 v[117:118], v[195:196], v[193:194], -v[117:118]
	v_mul_f64 v[195:196], v[195:196], v[119:120]
	v_add_f64 v[109:110], v[109:110], -v[117:118]
	v_fma_f64 v[195:196], v[197:198], v[193:194], v[195:196]
	v_add_f64 v[111:112], v[111:112], -v[195:196]
	ds_read2_b64 v[195:198], v253 offset0:42 offset1:43
	;; [unrolled: 8-line block ×28, first 2 shown]
	s_waitcnt lgkmcnt(0)
	v_mul_f64 v[117:118], v[197:198], v[119:120]
	v_fma_f64 v[117:118], v[195:196], v[193:194], -v[117:118]
	v_mul_f64 v[195:196], v[195:196], v[119:120]
	v_add_f64 v[1:2], v[1:2], -v[117:118]
	v_fma_f64 v[195:196], v[197:198], v[193:194], v[195:196]
	v_mov_b32_e32 v117, v193
	v_mov_b32_e32 v118, v194
	v_add_f64 v[3:4], v[3:4], -v[195:196]
.LBB95_172:
	s_or_b32 exec_lo, exec_lo, s1
	s_mov_b32 s2, exec_lo
	s_waitcnt_vscnt null, 0x0
	s_barrier
	buffer_gl0_inv
	v_cmpx_eq_u32_e32 19, v0
	s_cbranch_execz .LBB95_179
; %bb.173:
	ds_write2_b64 v255, v[113:114], v[115:116] offset1:1
	ds_write2_b64 v253, v[109:110], v[111:112] offset0:40 offset1:41
	ds_write2_b64 v253, v[105:106], v[107:108] offset0:42 offset1:43
	;; [unrolled: 1-line block ×28, first 2 shown]
	ds_read2_b64 v[193:196], v255 offset1:1
	s_waitcnt lgkmcnt(0)
	v_cmp_neq_f64_e32 vcc_lo, 0, v[193:194]
	v_cmp_neq_f64_e64 s1, 0, v[195:196]
	s_or_b32 s1, vcc_lo, s1
	s_and_b32 exec_lo, exec_lo, s1
	s_cbranch_execz .LBB95_179
; %bb.174:
	v_cmp_ngt_f64_e64 s1, |v[193:194]|, |v[195:196]|
                                        ; implicit-def: $vgpr197_vgpr198
	s_and_saveexec_b32 s3, s1
	s_xor_b32 s1, exec_lo, s3
                                        ; implicit-def: $vgpr199_vgpr200
	s_cbranch_execz .LBB95_176
; %bb.175:
	v_div_scale_f64 v[197:198], null, v[195:196], v[195:196], v[193:194]
	v_div_scale_f64 v[203:204], vcc_lo, v[193:194], v[195:196], v[193:194]
	v_rcp_f64_e32 v[199:200], v[197:198]
	v_fma_f64 v[201:202], -v[197:198], v[199:200], 1.0
	v_fma_f64 v[199:200], v[199:200], v[201:202], v[199:200]
	v_fma_f64 v[201:202], -v[197:198], v[199:200], 1.0
	v_fma_f64 v[199:200], v[199:200], v[201:202], v[199:200]
	v_mul_f64 v[201:202], v[203:204], v[199:200]
	v_fma_f64 v[197:198], -v[197:198], v[201:202], v[203:204]
	v_div_fmas_f64 v[197:198], v[197:198], v[199:200], v[201:202]
	v_div_fixup_f64 v[197:198], v[197:198], v[195:196], v[193:194]
	v_fma_f64 v[193:194], v[193:194], v[197:198], v[195:196]
	v_div_scale_f64 v[195:196], null, v[193:194], v[193:194], 1.0
	v_rcp_f64_e32 v[199:200], v[195:196]
	v_fma_f64 v[201:202], -v[195:196], v[199:200], 1.0
	v_fma_f64 v[199:200], v[199:200], v[201:202], v[199:200]
	v_fma_f64 v[201:202], -v[195:196], v[199:200], 1.0
	v_fma_f64 v[199:200], v[199:200], v[201:202], v[199:200]
	v_div_scale_f64 v[201:202], vcc_lo, 1.0, v[193:194], 1.0
	v_mul_f64 v[203:204], v[201:202], v[199:200]
	v_fma_f64 v[195:196], -v[195:196], v[203:204], v[201:202]
	v_div_fmas_f64 v[195:196], v[195:196], v[199:200], v[203:204]
	v_div_fixup_f64 v[199:200], v[195:196], v[193:194], 1.0
                                        ; implicit-def: $vgpr193_vgpr194
	v_mul_f64 v[197:198], v[197:198], v[199:200]
	v_xor_b32_e32 v200, 0x80000000, v200
.LBB95_176:
	s_andn2_saveexec_b32 s1, s1
	s_cbranch_execz .LBB95_178
; %bb.177:
	v_div_scale_f64 v[197:198], null, v[193:194], v[193:194], v[195:196]
	v_div_scale_f64 v[203:204], vcc_lo, v[195:196], v[193:194], v[195:196]
	v_rcp_f64_e32 v[199:200], v[197:198]
	v_fma_f64 v[201:202], -v[197:198], v[199:200], 1.0
	v_fma_f64 v[199:200], v[199:200], v[201:202], v[199:200]
	v_fma_f64 v[201:202], -v[197:198], v[199:200], 1.0
	v_fma_f64 v[199:200], v[199:200], v[201:202], v[199:200]
	v_mul_f64 v[201:202], v[203:204], v[199:200]
	v_fma_f64 v[197:198], -v[197:198], v[201:202], v[203:204]
	v_div_fmas_f64 v[197:198], v[197:198], v[199:200], v[201:202]
	v_div_fixup_f64 v[199:200], v[197:198], v[193:194], v[195:196]
	v_fma_f64 v[193:194], v[195:196], v[199:200], v[193:194]
	v_div_scale_f64 v[195:196], null, v[193:194], v[193:194], 1.0
	v_rcp_f64_e32 v[197:198], v[195:196]
	v_fma_f64 v[201:202], -v[195:196], v[197:198], 1.0
	v_fma_f64 v[197:198], v[197:198], v[201:202], v[197:198]
	v_fma_f64 v[201:202], -v[195:196], v[197:198], 1.0
	v_fma_f64 v[197:198], v[197:198], v[201:202], v[197:198]
	v_div_scale_f64 v[201:202], vcc_lo, 1.0, v[193:194], 1.0
	v_mul_f64 v[203:204], v[201:202], v[197:198]
	v_fma_f64 v[195:196], -v[195:196], v[203:204], v[201:202]
	v_div_fmas_f64 v[195:196], v[195:196], v[197:198], v[203:204]
	v_div_fixup_f64 v[197:198], v[195:196], v[193:194], 1.0
	v_mul_f64 v[199:200], v[199:200], -v[197:198]
.LBB95_178:
	s_or_b32 exec_lo, exec_lo, s1
	ds_write2_b64 v255, v[197:198], v[199:200] offset1:1
.LBB95_179:
	s_or_b32 exec_lo, exec_lo, s2
	s_waitcnt lgkmcnt(0)
	s_barrier
	buffer_gl0_inv
	ds_read2_b64 v[101:104], v255 offset1:1
	s_mov_b32 s1, exec_lo
	s_waitcnt lgkmcnt(0)
	buffer_store_dword v101, off, s[16:19], 0 offset:528 ; 4-byte Folded Spill
	buffer_store_dword v102, off, s[16:19], 0 offset:532 ; 4-byte Folded Spill
	;; [unrolled: 1-line block ×4, first 2 shown]
	v_cmpx_lt_u32_e32 19, v0
	s_cbranch_execz .LBB95_181
; %bb.180:
	s_clause 0x3
	buffer_load_dword v101, off, s[16:19], 0 offset:528
	buffer_load_dword v102, off, s[16:19], 0 offset:532
	buffer_load_dword v103, off, s[16:19], 0 offset:536
	buffer_load_dword v104, off, s[16:19], 0 offset:540
	ds_read2_b64 v[195:198], v253 offset0:40 offset1:41
	s_waitcnt vmcnt(0)
	v_mul_f64 v[193:194], v[103:104], v[115:116]
	v_mul_f64 v[115:116], v[101:102], v[115:116]
	v_fma_f64 v[193:194], v[101:102], v[113:114], -v[193:194]
	v_fma_f64 v[115:116], v[103:104], v[113:114], v[115:116]
	s_waitcnt lgkmcnt(0)
	v_mul_f64 v[113:114], v[197:198], v[115:116]
	v_fma_f64 v[113:114], v[195:196], v[193:194], -v[113:114]
	v_mul_f64 v[195:196], v[195:196], v[115:116]
	v_add_f64 v[109:110], v[109:110], -v[113:114]
	v_fma_f64 v[195:196], v[197:198], v[193:194], v[195:196]
	v_add_f64 v[111:112], v[111:112], -v[195:196]
	ds_read2_b64 v[195:198], v253 offset0:42 offset1:43
	s_waitcnt lgkmcnt(0)
	v_mul_f64 v[113:114], v[197:198], v[115:116]
	v_fma_f64 v[113:114], v[195:196], v[193:194], -v[113:114]
	v_mul_f64 v[195:196], v[195:196], v[115:116]
	v_add_f64 v[105:106], v[105:106], -v[113:114]
	v_fma_f64 v[195:196], v[197:198], v[193:194], v[195:196]
	v_add_f64 v[107:108], v[107:108], -v[195:196]
	ds_read2_b64 v[195:198], v253 offset0:44 offset1:45
	;; [unrolled: 8-line block ×27, first 2 shown]
	s_waitcnt lgkmcnt(0)
	v_mul_f64 v[113:114], v[197:198], v[115:116]
	v_fma_f64 v[113:114], v[195:196], v[193:194], -v[113:114]
	v_mul_f64 v[195:196], v[195:196], v[115:116]
	v_add_f64 v[1:2], v[1:2], -v[113:114]
	v_fma_f64 v[195:196], v[197:198], v[193:194], v[195:196]
	v_mov_b32_e32 v113, v193
	v_mov_b32_e32 v114, v194
	v_add_f64 v[3:4], v[3:4], -v[195:196]
.LBB95_181:
	s_or_b32 exec_lo, exec_lo, s1
	s_mov_b32 s2, exec_lo
	s_waitcnt_vscnt null, 0x0
	s_barrier
	buffer_gl0_inv
	v_cmpx_eq_u32_e32 20, v0
	s_cbranch_execz .LBB95_188
; %bb.182:
	ds_write2_b64 v255, v[109:110], v[111:112] offset1:1
	ds_write2_b64 v253, v[105:106], v[107:108] offset0:42 offset1:43
	ds_write2_b64 v253, v[237:238], v[239:240] offset0:44 offset1:45
	;; [unrolled: 1-line block ×27, first 2 shown]
	ds_read2_b64 v[193:196], v255 offset1:1
	s_waitcnt lgkmcnt(0)
	v_cmp_neq_f64_e32 vcc_lo, 0, v[193:194]
	v_cmp_neq_f64_e64 s1, 0, v[195:196]
	s_or_b32 s1, vcc_lo, s1
	s_and_b32 exec_lo, exec_lo, s1
	s_cbranch_execz .LBB95_188
; %bb.183:
	v_cmp_ngt_f64_e64 s1, |v[193:194]|, |v[195:196]|
                                        ; implicit-def: $vgpr197_vgpr198
	s_and_saveexec_b32 s3, s1
	s_xor_b32 s1, exec_lo, s3
                                        ; implicit-def: $vgpr199_vgpr200
	s_cbranch_execz .LBB95_185
; %bb.184:
	v_div_scale_f64 v[197:198], null, v[195:196], v[195:196], v[193:194]
	v_div_scale_f64 v[203:204], vcc_lo, v[193:194], v[195:196], v[193:194]
	v_rcp_f64_e32 v[199:200], v[197:198]
	v_fma_f64 v[201:202], -v[197:198], v[199:200], 1.0
	v_fma_f64 v[199:200], v[199:200], v[201:202], v[199:200]
	v_fma_f64 v[201:202], -v[197:198], v[199:200], 1.0
	v_fma_f64 v[199:200], v[199:200], v[201:202], v[199:200]
	v_mul_f64 v[201:202], v[203:204], v[199:200]
	v_fma_f64 v[197:198], -v[197:198], v[201:202], v[203:204]
	v_div_fmas_f64 v[197:198], v[197:198], v[199:200], v[201:202]
	v_div_fixup_f64 v[197:198], v[197:198], v[195:196], v[193:194]
	v_fma_f64 v[193:194], v[193:194], v[197:198], v[195:196]
	v_div_scale_f64 v[195:196], null, v[193:194], v[193:194], 1.0
	v_rcp_f64_e32 v[199:200], v[195:196]
	v_fma_f64 v[201:202], -v[195:196], v[199:200], 1.0
	v_fma_f64 v[199:200], v[199:200], v[201:202], v[199:200]
	v_fma_f64 v[201:202], -v[195:196], v[199:200], 1.0
	v_fma_f64 v[199:200], v[199:200], v[201:202], v[199:200]
	v_div_scale_f64 v[201:202], vcc_lo, 1.0, v[193:194], 1.0
	v_mul_f64 v[203:204], v[201:202], v[199:200]
	v_fma_f64 v[195:196], -v[195:196], v[203:204], v[201:202]
	v_div_fmas_f64 v[195:196], v[195:196], v[199:200], v[203:204]
	v_div_fixup_f64 v[199:200], v[195:196], v[193:194], 1.0
                                        ; implicit-def: $vgpr193_vgpr194
	v_mul_f64 v[197:198], v[197:198], v[199:200]
	v_xor_b32_e32 v200, 0x80000000, v200
.LBB95_185:
	s_andn2_saveexec_b32 s1, s1
	s_cbranch_execz .LBB95_187
; %bb.186:
	v_div_scale_f64 v[197:198], null, v[193:194], v[193:194], v[195:196]
	v_div_scale_f64 v[203:204], vcc_lo, v[195:196], v[193:194], v[195:196]
	v_rcp_f64_e32 v[199:200], v[197:198]
	v_fma_f64 v[201:202], -v[197:198], v[199:200], 1.0
	v_fma_f64 v[199:200], v[199:200], v[201:202], v[199:200]
	v_fma_f64 v[201:202], -v[197:198], v[199:200], 1.0
	v_fma_f64 v[199:200], v[199:200], v[201:202], v[199:200]
	v_mul_f64 v[201:202], v[203:204], v[199:200]
	v_fma_f64 v[197:198], -v[197:198], v[201:202], v[203:204]
	v_div_fmas_f64 v[197:198], v[197:198], v[199:200], v[201:202]
	v_div_fixup_f64 v[199:200], v[197:198], v[193:194], v[195:196]
	v_fma_f64 v[193:194], v[195:196], v[199:200], v[193:194]
	v_div_scale_f64 v[195:196], null, v[193:194], v[193:194], 1.0
	v_rcp_f64_e32 v[197:198], v[195:196]
	v_fma_f64 v[201:202], -v[195:196], v[197:198], 1.0
	v_fma_f64 v[197:198], v[197:198], v[201:202], v[197:198]
	v_fma_f64 v[201:202], -v[195:196], v[197:198], 1.0
	v_fma_f64 v[197:198], v[197:198], v[201:202], v[197:198]
	v_div_scale_f64 v[201:202], vcc_lo, 1.0, v[193:194], 1.0
	v_mul_f64 v[203:204], v[201:202], v[197:198]
	v_fma_f64 v[195:196], -v[195:196], v[203:204], v[201:202]
	v_div_fmas_f64 v[195:196], v[195:196], v[197:198], v[203:204]
	v_div_fixup_f64 v[197:198], v[195:196], v[193:194], 1.0
	v_mul_f64 v[199:200], v[199:200], -v[197:198]
.LBB95_187:
	s_or_b32 exec_lo, exec_lo, s1
	ds_write2_b64 v255, v[197:198], v[199:200] offset1:1
.LBB95_188:
	s_or_b32 exec_lo, exec_lo, s2
	s_waitcnt lgkmcnt(0)
	s_barrier
	buffer_gl0_inv
	ds_read2_b64 v[101:104], v255 offset1:1
	s_mov_b32 s1, exec_lo
	s_waitcnt lgkmcnt(0)
	buffer_store_dword v101, off, s[16:19], 0 offset:544 ; 4-byte Folded Spill
	buffer_store_dword v102, off, s[16:19], 0 offset:548 ; 4-byte Folded Spill
	;; [unrolled: 1-line block ×4, first 2 shown]
	v_cmpx_lt_u32_e32 20, v0
	s_cbranch_execz .LBB95_190
; %bb.189:
	s_clause 0x3
	buffer_load_dword v101, off, s[16:19], 0 offset:544
	buffer_load_dword v102, off, s[16:19], 0 offset:548
	;; [unrolled: 1-line block ×4, first 2 shown]
	ds_read2_b64 v[195:198], v253 offset0:42 offset1:43
	s_waitcnt vmcnt(0)
	v_mul_f64 v[193:194], v[103:104], v[111:112]
	v_mul_f64 v[111:112], v[101:102], v[111:112]
	v_fma_f64 v[193:194], v[101:102], v[109:110], -v[193:194]
	v_fma_f64 v[111:112], v[103:104], v[109:110], v[111:112]
	s_waitcnt lgkmcnt(0)
	v_mul_f64 v[109:110], v[197:198], v[111:112]
	v_fma_f64 v[109:110], v[195:196], v[193:194], -v[109:110]
	v_mul_f64 v[195:196], v[195:196], v[111:112]
	v_add_f64 v[105:106], v[105:106], -v[109:110]
	v_fma_f64 v[195:196], v[197:198], v[193:194], v[195:196]
	v_add_f64 v[107:108], v[107:108], -v[195:196]
	ds_read2_b64 v[195:198], v253 offset0:44 offset1:45
	s_waitcnt lgkmcnt(0)
	v_mul_f64 v[109:110], v[197:198], v[111:112]
	v_fma_f64 v[109:110], v[195:196], v[193:194], -v[109:110]
	v_mul_f64 v[195:196], v[195:196], v[111:112]
	v_add_f64 v[237:238], v[237:238], -v[109:110]
	v_fma_f64 v[195:196], v[197:198], v[193:194], v[195:196]
	v_add_f64 v[239:240], v[239:240], -v[195:196]
	ds_read2_b64 v[195:198], v253 offset0:46 offset1:47
	;; [unrolled: 8-line block ×26, first 2 shown]
	s_waitcnt lgkmcnt(0)
	v_mul_f64 v[109:110], v[197:198], v[111:112]
	v_fma_f64 v[109:110], v[195:196], v[193:194], -v[109:110]
	v_mul_f64 v[195:196], v[195:196], v[111:112]
	v_add_f64 v[1:2], v[1:2], -v[109:110]
	v_fma_f64 v[195:196], v[197:198], v[193:194], v[195:196]
	v_mov_b32_e32 v109, v193
	v_mov_b32_e32 v110, v194
	v_add_f64 v[3:4], v[3:4], -v[195:196]
.LBB95_190:
	s_or_b32 exec_lo, exec_lo, s1
	s_mov_b32 s2, exec_lo
	s_waitcnt_vscnt null, 0x0
	s_barrier
	buffer_gl0_inv
	v_cmpx_eq_u32_e32 21, v0
	s_cbranch_execz .LBB95_197
; %bb.191:
	ds_write2_b64 v255, v[105:106], v[107:108] offset1:1
	ds_write2_b64 v253, v[237:238], v[239:240] offset0:44 offset1:45
	ds_write2_b64 v253, v[97:98], v[99:100] offset0:46 offset1:47
	;; [unrolled: 1-line block ×26, first 2 shown]
	ds_read2_b64 v[193:196], v255 offset1:1
	s_waitcnt lgkmcnt(0)
	v_cmp_neq_f64_e32 vcc_lo, 0, v[193:194]
	v_cmp_neq_f64_e64 s1, 0, v[195:196]
	s_or_b32 s1, vcc_lo, s1
	s_and_b32 exec_lo, exec_lo, s1
	s_cbranch_execz .LBB95_197
; %bb.192:
	v_cmp_ngt_f64_e64 s1, |v[193:194]|, |v[195:196]|
                                        ; implicit-def: $vgpr197_vgpr198
	s_and_saveexec_b32 s3, s1
	s_xor_b32 s1, exec_lo, s3
                                        ; implicit-def: $vgpr199_vgpr200
	s_cbranch_execz .LBB95_194
; %bb.193:
	v_div_scale_f64 v[197:198], null, v[195:196], v[195:196], v[193:194]
	v_div_scale_f64 v[203:204], vcc_lo, v[193:194], v[195:196], v[193:194]
	v_rcp_f64_e32 v[199:200], v[197:198]
	v_fma_f64 v[201:202], -v[197:198], v[199:200], 1.0
	v_fma_f64 v[199:200], v[199:200], v[201:202], v[199:200]
	v_fma_f64 v[201:202], -v[197:198], v[199:200], 1.0
	v_fma_f64 v[199:200], v[199:200], v[201:202], v[199:200]
	v_mul_f64 v[201:202], v[203:204], v[199:200]
	v_fma_f64 v[197:198], -v[197:198], v[201:202], v[203:204]
	v_div_fmas_f64 v[197:198], v[197:198], v[199:200], v[201:202]
	v_div_fixup_f64 v[197:198], v[197:198], v[195:196], v[193:194]
	v_fma_f64 v[193:194], v[193:194], v[197:198], v[195:196]
	v_div_scale_f64 v[195:196], null, v[193:194], v[193:194], 1.0
	v_rcp_f64_e32 v[199:200], v[195:196]
	v_fma_f64 v[201:202], -v[195:196], v[199:200], 1.0
	v_fma_f64 v[199:200], v[199:200], v[201:202], v[199:200]
	v_fma_f64 v[201:202], -v[195:196], v[199:200], 1.0
	v_fma_f64 v[199:200], v[199:200], v[201:202], v[199:200]
	v_div_scale_f64 v[201:202], vcc_lo, 1.0, v[193:194], 1.0
	v_mul_f64 v[203:204], v[201:202], v[199:200]
	v_fma_f64 v[195:196], -v[195:196], v[203:204], v[201:202]
	v_div_fmas_f64 v[195:196], v[195:196], v[199:200], v[203:204]
	v_div_fixup_f64 v[199:200], v[195:196], v[193:194], 1.0
                                        ; implicit-def: $vgpr193_vgpr194
	v_mul_f64 v[197:198], v[197:198], v[199:200]
	v_xor_b32_e32 v200, 0x80000000, v200
.LBB95_194:
	s_andn2_saveexec_b32 s1, s1
	s_cbranch_execz .LBB95_196
; %bb.195:
	v_div_scale_f64 v[197:198], null, v[193:194], v[193:194], v[195:196]
	v_div_scale_f64 v[203:204], vcc_lo, v[195:196], v[193:194], v[195:196]
	v_rcp_f64_e32 v[199:200], v[197:198]
	v_fma_f64 v[201:202], -v[197:198], v[199:200], 1.0
	v_fma_f64 v[199:200], v[199:200], v[201:202], v[199:200]
	v_fma_f64 v[201:202], -v[197:198], v[199:200], 1.0
	v_fma_f64 v[199:200], v[199:200], v[201:202], v[199:200]
	v_mul_f64 v[201:202], v[203:204], v[199:200]
	v_fma_f64 v[197:198], -v[197:198], v[201:202], v[203:204]
	v_div_fmas_f64 v[197:198], v[197:198], v[199:200], v[201:202]
	v_div_fixup_f64 v[199:200], v[197:198], v[193:194], v[195:196]
	v_fma_f64 v[193:194], v[195:196], v[199:200], v[193:194]
	v_div_scale_f64 v[195:196], null, v[193:194], v[193:194], 1.0
	v_rcp_f64_e32 v[197:198], v[195:196]
	v_fma_f64 v[201:202], -v[195:196], v[197:198], 1.0
	v_fma_f64 v[197:198], v[197:198], v[201:202], v[197:198]
	v_fma_f64 v[201:202], -v[195:196], v[197:198], 1.0
	v_fma_f64 v[197:198], v[197:198], v[201:202], v[197:198]
	v_div_scale_f64 v[201:202], vcc_lo, 1.0, v[193:194], 1.0
	v_mul_f64 v[203:204], v[201:202], v[197:198]
	v_fma_f64 v[195:196], -v[195:196], v[203:204], v[201:202]
	v_div_fmas_f64 v[195:196], v[195:196], v[197:198], v[203:204]
	v_div_fixup_f64 v[197:198], v[195:196], v[193:194], 1.0
	v_mul_f64 v[199:200], v[199:200], -v[197:198]
.LBB95_196:
	s_or_b32 exec_lo, exec_lo, s1
	ds_write2_b64 v255, v[197:198], v[199:200] offset1:1
.LBB95_197:
	s_or_b32 exec_lo, exec_lo, s2
	s_waitcnt lgkmcnt(0)
	s_barrier
	buffer_gl0_inv
	ds_read2_b64 v[101:104], v255 offset1:1
	s_mov_b32 s1, exec_lo
	s_waitcnt lgkmcnt(0)
	buffer_store_dword v101, off, s[16:19], 0 offset:560 ; 4-byte Folded Spill
	buffer_store_dword v102, off, s[16:19], 0 offset:564 ; 4-byte Folded Spill
	;; [unrolled: 1-line block ×4, first 2 shown]
	v_cmpx_lt_u32_e32 21, v0
	s_cbranch_execz .LBB95_199
; %bb.198:
	s_clause 0x3
	buffer_load_dword v101, off, s[16:19], 0 offset:560
	buffer_load_dword v102, off, s[16:19], 0 offset:564
	;; [unrolled: 1-line block ×4, first 2 shown]
	ds_read2_b64 v[195:198], v253 offset0:44 offset1:45
	s_waitcnt vmcnt(0)
	v_mul_f64 v[193:194], v[103:104], v[107:108]
	v_mul_f64 v[107:108], v[101:102], v[107:108]
	v_fma_f64 v[193:194], v[101:102], v[105:106], -v[193:194]
	v_fma_f64 v[107:108], v[103:104], v[105:106], v[107:108]
	s_waitcnt lgkmcnt(0)
	v_mul_f64 v[105:106], v[197:198], v[107:108]
	v_fma_f64 v[105:106], v[195:196], v[193:194], -v[105:106]
	v_mul_f64 v[195:196], v[195:196], v[107:108]
	v_add_f64 v[237:238], v[237:238], -v[105:106]
	v_fma_f64 v[195:196], v[197:198], v[193:194], v[195:196]
	v_add_f64 v[239:240], v[239:240], -v[195:196]
	ds_read2_b64 v[195:198], v253 offset0:46 offset1:47
	s_waitcnt lgkmcnt(0)
	v_mul_f64 v[105:106], v[197:198], v[107:108]
	v_fma_f64 v[105:106], v[195:196], v[193:194], -v[105:106]
	v_mul_f64 v[195:196], v[195:196], v[107:108]
	v_add_f64 v[97:98], v[97:98], -v[105:106]
	v_fma_f64 v[195:196], v[197:198], v[193:194], v[195:196]
	v_add_f64 v[99:100], v[99:100], -v[195:196]
	ds_read2_b64 v[195:198], v253 offset0:48 offset1:49
	;; [unrolled: 8-line block ×25, first 2 shown]
	s_waitcnt lgkmcnt(0)
	v_mul_f64 v[105:106], v[197:198], v[107:108]
	v_fma_f64 v[105:106], v[195:196], v[193:194], -v[105:106]
	v_mul_f64 v[195:196], v[195:196], v[107:108]
	v_add_f64 v[1:2], v[1:2], -v[105:106]
	v_fma_f64 v[195:196], v[197:198], v[193:194], v[195:196]
	v_mov_b32_e32 v105, v193
	v_mov_b32_e32 v106, v194
	v_add_f64 v[3:4], v[3:4], -v[195:196]
.LBB95_199:
	s_or_b32 exec_lo, exec_lo, s1
	s_mov_b32 s2, exec_lo
	s_waitcnt_vscnt null, 0x0
	s_barrier
	buffer_gl0_inv
	v_cmpx_eq_u32_e32 22, v0
	s_cbranch_execz .LBB95_206
; %bb.200:
	ds_write2_b64 v255, v[237:238], v[239:240] offset1:1
	ds_write2_b64 v253, v[97:98], v[99:100] offset0:46 offset1:47
	ds_write2_b64 v253, v[93:94], v[95:96] offset0:48 offset1:49
	;; [unrolled: 1-line block ×25, first 2 shown]
	ds_read2_b64 v[193:196], v255 offset1:1
	s_waitcnt lgkmcnt(0)
	v_cmp_neq_f64_e32 vcc_lo, 0, v[193:194]
	v_cmp_neq_f64_e64 s1, 0, v[195:196]
	s_or_b32 s1, vcc_lo, s1
	s_and_b32 exec_lo, exec_lo, s1
	s_cbranch_execz .LBB95_206
; %bb.201:
	v_cmp_ngt_f64_e64 s1, |v[193:194]|, |v[195:196]|
                                        ; implicit-def: $vgpr197_vgpr198
	s_and_saveexec_b32 s3, s1
	s_xor_b32 s1, exec_lo, s3
                                        ; implicit-def: $vgpr199_vgpr200
	s_cbranch_execz .LBB95_203
; %bb.202:
	v_div_scale_f64 v[197:198], null, v[195:196], v[195:196], v[193:194]
	v_div_scale_f64 v[203:204], vcc_lo, v[193:194], v[195:196], v[193:194]
	v_rcp_f64_e32 v[199:200], v[197:198]
	v_fma_f64 v[201:202], -v[197:198], v[199:200], 1.0
	v_fma_f64 v[199:200], v[199:200], v[201:202], v[199:200]
	v_fma_f64 v[201:202], -v[197:198], v[199:200], 1.0
	v_fma_f64 v[199:200], v[199:200], v[201:202], v[199:200]
	v_mul_f64 v[201:202], v[203:204], v[199:200]
	v_fma_f64 v[197:198], -v[197:198], v[201:202], v[203:204]
	v_div_fmas_f64 v[197:198], v[197:198], v[199:200], v[201:202]
	v_div_fixup_f64 v[197:198], v[197:198], v[195:196], v[193:194]
	v_fma_f64 v[193:194], v[193:194], v[197:198], v[195:196]
	v_div_scale_f64 v[195:196], null, v[193:194], v[193:194], 1.0
	v_rcp_f64_e32 v[199:200], v[195:196]
	v_fma_f64 v[201:202], -v[195:196], v[199:200], 1.0
	v_fma_f64 v[199:200], v[199:200], v[201:202], v[199:200]
	v_fma_f64 v[201:202], -v[195:196], v[199:200], 1.0
	v_fma_f64 v[199:200], v[199:200], v[201:202], v[199:200]
	v_div_scale_f64 v[201:202], vcc_lo, 1.0, v[193:194], 1.0
	v_mul_f64 v[203:204], v[201:202], v[199:200]
	v_fma_f64 v[195:196], -v[195:196], v[203:204], v[201:202]
	v_div_fmas_f64 v[195:196], v[195:196], v[199:200], v[203:204]
	v_div_fixup_f64 v[199:200], v[195:196], v[193:194], 1.0
                                        ; implicit-def: $vgpr193_vgpr194
	v_mul_f64 v[197:198], v[197:198], v[199:200]
	v_xor_b32_e32 v200, 0x80000000, v200
.LBB95_203:
	s_andn2_saveexec_b32 s1, s1
	s_cbranch_execz .LBB95_205
; %bb.204:
	v_div_scale_f64 v[197:198], null, v[193:194], v[193:194], v[195:196]
	v_div_scale_f64 v[203:204], vcc_lo, v[195:196], v[193:194], v[195:196]
	v_rcp_f64_e32 v[199:200], v[197:198]
	v_fma_f64 v[201:202], -v[197:198], v[199:200], 1.0
	v_fma_f64 v[199:200], v[199:200], v[201:202], v[199:200]
	v_fma_f64 v[201:202], -v[197:198], v[199:200], 1.0
	v_fma_f64 v[199:200], v[199:200], v[201:202], v[199:200]
	v_mul_f64 v[201:202], v[203:204], v[199:200]
	v_fma_f64 v[197:198], -v[197:198], v[201:202], v[203:204]
	v_div_fmas_f64 v[197:198], v[197:198], v[199:200], v[201:202]
	v_div_fixup_f64 v[199:200], v[197:198], v[193:194], v[195:196]
	v_fma_f64 v[193:194], v[195:196], v[199:200], v[193:194]
	v_div_scale_f64 v[195:196], null, v[193:194], v[193:194], 1.0
	v_rcp_f64_e32 v[197:198], v[195:196]
	v_fma_f64 v[201:202], -v[195:196], v[197:198], 1.0
	v_fma_f64 v[197:198], v[197:198], v[201:202], v[197:198]
	v_fma_f64 v[201:202], -v[195:196], v[197:198], 1.0
	v_fma_f64 v[197:198], v[197:198], v[201:202], v[197:198]
	v_div_scale_f64 v[201:202], vcc_lo, 1.0, v[193:194], 1.0
	v_mul_f64 v[203:204], v[201:202], v[197:198]
	v_fma_f64 v[195:196], -v[195:196], v[203:204], v[201:202]
	v_div_fmas_f64 v[195:196], v[195:196], v[197:198], v[203:204]
	v_div_fixup_f64 v[197:198], v[195:196], v[193:194], 1.0
	v_mul_f64 v[199:200], v[199:200], -v[197:198]
.LBB95_205:
	s_or_b32 exec_lo, exec_lo, s1
	ds_write2_b64 v255, v[197:198], v[199:200] offset1:1
.LBB95_206:
	s_or_b32 exec_lo, exec_lo, s2
	s_waitcnt lgkmcnt(0)
	s_barrier
	buffer_gl0_inv
	ds_read2_b64 v[101:104], v255 offset1:1
	s_mov_b32 s1, exec_lo
	s_waitcnt lgkmcnt(0)
	buffer_store_dword v101, off, s[16:19], 0 offset:576 ; 4-byte Folded Spill
	buffer_store_dword v102, off, s[16:19], 0 offset:580 ; 4-byte Folded Spill
	;; [unrolled: 1-line block ×4, first 2 shown]
	v_cmpx_lt_u32_e32 22, v0
	s_cbranch_execz .LBB95_208
; %bb.207:
	s_clause 0x3
	buffer_load_dword v195, off, s[16:19], 0 offset:576
	buffer_load_dword v196, off, s[16:19], 0 offset:580
	;; [unrolled: 1-line block ×4, first 2 shown]
	s_waitcnt vmcnt(2)
	v_mul_f64 v[103:104], v[195:196], v[239:240]
	s_waitcnt vmcnt(0)
	v_mul_f64 v[193:194], v[197:198], v[239:240]
	v_fma_f64 v[239:240], v[197:198], v[237:238], v[103:104]
	v_fma_f64 v[193:194], v[195:196], v[237:238], -v[193:194]
	ds_read2_b64 v[195:198], v253 offset0:46 offset1:47
	s_waitcnt lgkmcnt(0)
	v_mul_f64 v[101:102], v[197:198], v[239:240]
	v_mov_b32_e32 v238, v194
	v_mov_b32_e32 v237, v193
	v_fma_f64 v[101:102], v[195:196], v[193:194], -v[101:102]
	v_mul_f64 v[195:196], v[195:196], v[239:240]
	v_add_f64 v[97:98], v[97:98], -v[101:102]
	v_fma_f64 v[195:196], v[197:198], v[193:194], v[195:196]
	v_add_f64 v[99:100], v[99:100], -v[195:196]
	ds_read2_b64 v[195:198], v253 offset0:48 offset1:49
	s_waitcnt lgkmcnt(0)
	v_mul_f64 v[101:102], v[197:198], v[239:240]
	v_fma_f64 v[101:102], v[195:196], v[193:194], -v[101:102]
	v_mul_f64 v[195:196], v[195:196], v[239:240]
	v_add_f64 v[93:94], v[93:94], -v[101:102]
	v_fma_f64 v[195:196], v[197:198], v[193:194], v[195:196]
	v_add_f64 v[95:96], v[95:96], -v[195:196]
	ds_read2_b64 v[195:198], v253 offset0:50 offset1:51
	s_waitcnt lgkmcnt(0)
	v_mul_f64 v[101:102], v[197:198], v[239:240]
	;; [unrolled: 8-line block ×24, first 2 shown]
	v_fma_f64 v[101:102], v[195:196], v[193:194], -v[101:102]
	v_mul_f64 v[195:196], v[195:196], v[239:240]
	v_add_f64 v[1:2], v[1:2], -v[101:102]
	v_fma_f64 v[195:196], v[197:198], v[193:194], v[195:196]
	v_add_f64 v[3:4], v[3:4], -v[195:196]
.LBB95_208:
	s_or_b32 exec_lo, exec_lo, s1
	s_mov_b32 s2, exec_lo
	s_waitcnt_vscnt null, 0x0
	s_barrier
	buffer_gl0_inv
	v_cmpx_eq_u32_e32 23, v0
	s_cbranch_execz .LBB95_215
; %bb.209:
	ds_write2_b64 v255, v[97:98], v[99:100] offset1:1
	ds_write2_b64 v253, v[93:94], v[95:96] offset0:48 offset1:49
	ds_write2_b64 v253, v[89:90], v[91:92] offset0:50 offset1:51
	;; [unrolled: 1-line block ×24, first 2 shown]
	ds_read2_b64 v[193:196], v255 offset1:1
	s_waitcnt lgkmcnt(0)
	v_cmp_neq_f64_e32 vcc_lo, 0, v[193:194]
	v_cmp_neq_f64_e64 s1, 0, v[195:196]
	s_or_b32 s1, vcc_lo, s1
	s_and_b32 exec_lo, exec_lo, s1
	s_cbranch_execz .LBB95_215
; %bb.210:
	v_cmp_ngt_f64_e64 s1, |v[193:194]|, |v[195:196]|
                                        ; implicit-def: $vgpr197_vgpr198
	s_and_saveexec_b32 s3, s1
	s_xor_b32 s1, exec_lo, s3
                                        ; implicit-def: $vgpr199_vgpr200
	s_cbranch_execz .LBB95_212
; %bb.211:
	v_div_scale_f64 v[197:198], null, v[195:196], v[195:196], v[193:194]
	v_div_scale_f64 v[203:204], vcc_lo, v[193:194], v[195:196], v[193:194]
	v_rcp_f64_e32 v[199:200], v[197:198]
	v_fma_f64 v[201:202], -v[197:198], v[199:200], 1.0
	v_fma_f64 v[199:200], v[199:200], v[201:202], v[199:200]
	v_fma_f64 v[201:202], -v[197:198], v[199:200], 1.0
	v_fma_f64 v[199:200], v[199:200], v[201:202], v[199:200]
	v_mul_f64 v[201:202], v[203:204], v[199:200]
	v_fma_f64 v[197:198], -v[197:198], v[201:202], v[203:204]
	v_div_fmas_f64 v[197:198], v[197:198], v[199:200], v[201:202]
	v_div_fixup_f64 v[197:198], v[197:198], v[195:196], v[193:194]
	v_fma_f64 v[193:194], v[193:194], v[197:198], v[195:196]
	v_div_scale_f64 v[195:196], null, v[193:194], v[193:194], 1.0
	v_rcp_f64_e32 v[199:200], v[195:196]
	v_fma_f64 v[201:202], -v[195:196], v[199:200], 1.0
	v_fma_f64 v[199:200], v[199:200], v[201:202], v[199:200]
	v_fma_f64 v[201:202], -v[195:196], v[199:200], 1.0
	v_fma_f64 v[199:200], v[199:200], v[201:202], v[199:200]
	v_div_scale_f64 v[201:202], vcc_lo, 1.0, v[193:194], 1.0
	v_mul_f64 v[203:204], v[201:202], v[199:200]
	v_fma_f64 v[195:196], -v[195:196], v[203:204], v[201:202]
	v_div_fmas_f64 v[195:196], v[195:196], v[199:200], v[203:204]
	v_div_fixup_f64 v[199:200], v[195:196], v[193:194], 1.0
                                        ; implicit-def: $vgpr193_vgpr194
	v_mul_f64 v[197:198], v[197:198], v[199:200]
	v_xor_b32_e32 v200, 0x80000000, v200
.LBB95_212:
	s_andn2_saveexec_b32 s1, s1
	s_cbranch_execz .LBB95_214
; %bb.213:
	v_div_scale_f64 v[197:198], null, v[193:194], v[193:194], v[195:196]
	v_div_scale_f64 v[203:204], vcc_lo, v[195:196], v[193:194], v[195:196]
	v_rcp_f64_e32 v[199:200], v[197:198]
	v_fma_f64 v[201:202], -v[197:198], v[199:200], 1.0
	v_fma_f64 v[199:200], v[199:200], v[201:202], v[199:200]
	v_fma_f64 v[201:202], -v[197:198], v[199:200], 1.0
	v_fma_f64 v[199:200], v[199:200], v[201:202], v[199:200]
	v_mul_f64 v[201:202], v[203:204], v[199:200]
	v_fma_f64 v[197:198], -v[197:198], v[201:202], v[203:204]
	v_div_fmas_f64 v[197:198], v[197:198], v[199:200], v[201:202]
	v_div_fixup_f64 v[199:200], v[197:198], v[193:194], v[195:196]
	v_fma_f64 v[193:194], v[195:196], v[199:200], v[193:194]
	v_div_scale_f64 v[195:196], null, v[193:194], v[193:194], 1.0
	v_rcp_f64_e32 v[197:198], v[195:196]
	v_fma_f64 v[201:202], -v[195:196], v[197:198], 1.0
	v_fma_f64 v[197:198], v[197:198], v[201:202], v[197:198]
	v_fma_f64 v[201:202], -v[195:196], v[197:198], 1.0
	v_fma_f64 v[197:198], v[197:198], v[201:202], v[197:198]
	v_div_scale_f64 v[201:202], vcc_lo, 1.0, v[193:194], 1.0
	v_mul_f64 v[203:204], v[201:202], v[197:198]
	v_fma_f64 v[195:196], -v[195:196], v[203:204], v[201:202]
	v_div_fmas_f64 v[195:196], v[195:196], v[197:198], v[203:204]
	v_div_fixup_f64 v[197:198], v[195:196], v[193:194], 1.0
	v_mul_f64 v[199:200], v[199:200], -v[197:198]
.LBB95_214:
	s_or_b32 exec_lo, exec_lo, s1
	ds_write2_b64 v255, v[197:198], v[199:200] offset1:1
.LBB95_215:
	s_or_b32 exec_lo, exec_lo, s2
	s_waitcnt lgkmcnt(0)
	s_barrier
	buffer_gl0_inv
	ds_read2_b64 v[101:104], v255 offset1:1
	s_mov_b32 s1, exec_lo
	v_cmpx_lt_u32_e32 23, v0
	s_cbranch_execz .LBB95_217
; %bb.216:
	s_waitcnt lgkmcnt(0)
	v_mul_f64 v[193:194], v[103:104], v[99:100]
	v_mul_f64 v[99:100], v[101:102], v[99:100]
	ds_read2_b64 v[195:198], v253 offset0:48 offset1:49
	v_fma_f64 v[193:194], v[101:102], v[97:98], -v[193:194]
	v_fma_f64 v[99:100], v[103:104], v[97:98], v[99:100]
	s_waitcnt lgkmcnt(0)
	v_mul_f64 v[97:98], v[197:198], v[99:100]
	v_fma_f64 v[97:98], v[195:196], v[193:194], -v[97:98]
	v_mul_f64 v[195:196], v[195:196], v[99:100]
	v_add_f64 v[93:94], v[93:94], -v[97:98]
	v_fma_f64 v[195:196], v[197:198], v[193:194], v[195:196]
	v_add_f64 v[95:96], v[95:96], -v[195:196]
	ds_read2_b64 v[195:198], v253 offset0:50 offset1:51
	s_waitcnt lgkmcnt(0)
	v_mul_f64 v[97:98], v[197:198], v[99:100]
	v_fma_f64 v[97:98], v[195:196], v[193:194], -v[97:98]
	v_mul_f64 v[195:196], v[195:196], v[99:100]
	v_add_f64 v[89:90], v[89:90], -v[97:98]
	v_fma_f64 v[195:196], v[197:198], v[193:194], v[195:196]
	v_add_f64 v[91:92], v[91:92], -v[195:196]
	ds_read2_b64 v[195:198], v253 offset0:52 offset1:53
	;; [unrolled: 8-line block ×23, first 2 shown]
	s_waitcnt lgkmcnt(0)
	v_mul_f64 v[97:98], v[197:198], v[99:100]
	v_fma_f64 v[97:98], v[195:196], v[193:194], -v[97:98]
	v_mul_f64 v[195:196], v[195:196], v[99:100]
	v_add_f64 v[1:2], v[1:2], -v[97:98]
	v_fma_f64 v[195:196], v[197:198], v[193:194], v[195:196]
	v_mov_b32_e32 v97, v193
	v_mov_b32_e32 v98, v194
	v_add_f64 v[3:4], v[3:4], -v[195:196]
.LBB95_217:
	s_or_b32 exec_lo, exec_lo, s1
	s_mov_b32 s2, exec_lo
	s_waitcnt lgkmcnt(0)
	s_barrier
	buffer_gl0_inv
	v_cmpx_eq_u32_e32 24, v0
	s_cbranch_execz .LBB95_224
; %bb.218:
	ds_write2_b64 v255, v[93:94], v[95:96] offset1:1
	ds_write2_b64 v253, v[89:90], v[91:92] offset0:50 offset1:51
	ds_write2_b64 v253, v[85:86], v[87:88] offset0:52 offset1:53
	;; [unrolled: 1-line block ×23, first 2 shown]
	ds_read2_b64 v[193:196], v255 offset1:1
	s_waitcnt lgkmcnt(0)
	v_cmp_neq_f64_e32 vcc_lo, 0, v[193:194]
	v_cmp_neq_f64_e64 s1, 0, v[195:196]
	s_or_b32 s1, vcc_lo, s1
	s_and_b32 exec_lo, exec_lo, s1
	s_cbranch_execz .LBB95_224
; %bb.219:
	v_cmp_ngt_f64_e64 s1, |v[193:194]|, |v[195:196]|
                                        ; implicit-def: $vgpr197_vgpr198
	s_and_saveexec_b32 s3, s1
	s_xor_b32 s1, exec_lo, s3
                                        ; implicit-def: $vgpr199_vgpr200
	s_cbranch_execz .LBB95_221
; %bb.220:
	v_div_scale_f64 v[197:198], null, v[195:196], v[195:196], v[193:194]
	v_div_scale_f64 v[203:204], vcc_lo, v[193:194], v[195:196], v[193:194]
	v_rcp_f64_e32 v[199:200], v[197:198]
	v_fma_f64 v[201:202], -v[197:198], v[199:200], 1.0
	v_fma_f64 v[199:200], v[199:200], v[201:202], v[199:200]
	v_fma_f64 v[201:202], -v[197:198], v[199:200], 1.0
	v_fma_f64 v[199:200], v[199:200], v[201:202], v[199:200]
	v_mul_f64 v[201:202], v[203:204], v[199:200]
	v_fma_f64 v[197:198], -v[197:198], v[201:202], v[203:204]
	v_div_fmas_f64 v[197:198], v[197:198], v[199:200], v[201:202]
	v_div_fixup_f64 v[197:198], v[197:198], v[195:196], v[193:194]
	v_fma_f64 v[193:194], v[193:194], v[197:198], v[195:196]
	v_div_scale_f64 v[195:196], null, v[193:194], v[193:194], 1.0
	v_rcp_f64_e32 v[199:200], v[195:196]
	v_fma_f64 v[201:202], -v[195:196], v[199:200], 1.0
	v_fma_f64 v[199:200], v[199:200], v[201:202], v[199:200]
	v_fma_f64 v[201:202], -v[195:196], v[199:200], 1.0
	v_fma_f64 v[199:200], v[199:200], v[201:202], v[199:200]
	v_div_scale_f64 v[201:202], vcc_lo, 1.0, v[193:194], 1.0
	v_mul_f64 v[203:204], v[201:202], v[199:200]
	v_fma_f64 v[195:196], -v[195:196], v[203:204], v[201:202]
	v_div_fmas_f64 v[195:196], v[195:196], v[199:200], v[203:204]
	v_div_fixup_f64 v[199:200], v[195:196], v[193:194], 1.0
                                        ; implicit-def: $vgpr193_vgpr194
	v_mul_f64 v[197:198], v[197:198], v[199:200]
	v_xor_b32_e32 v200, 0x80000000, v200
.LBB95_221:
	s_andn2_saveexec_b32 s1, s1
	s_cbranch_execz .LBB95_223
; %bb.222:
	v_div_scale_f64 v[197:198], null, v[193:194], v[193:194], v[195:196]
	v_div_scale_f64 v[203:204], vcc_lo, v[195:196], v[193:194], v[195:196]
	v_rcp_f64_e32 v[199:200], v[197:198]
	v_fma_f64 v[201:202], -v[197:198], v[199:200], 1.0
	v_fma_f64 v[199:200], v[199:200], v[201:202], v[199:200]
	v_fma_f64 v[201:202], -v[197:198], v[199:200], 1.0
	v_fma_f64 v[199:200], v[199:200], v[201:202], v[199:200]
	v_mul_f64 v[201:202], v[203:204], v[199:200]
	v_fma_f64 v[197:198], -v[197:198], v[201:202], v[203:204]
	v_div_fmas_f64 v[197:198], v[197:198], v[199:200], v[201:202]
	v_div_fixup_f64 v[199:200], v[197:198], v[193:194], v[195:196]
	v_fma_f64 v[193:194], v[195:196], v[199:200], v[193:194]
	v_div_scale_f64 v[195:196], null, v[193:194], v[193:194], 1.0
	v_rcp_f64_e32 v[197:198], v[195:196]
	v_fma_f64 v[201:202], -v[195:196], v[197:198], 1.0
	v_fma_f64 v[197:198], v[197:198], v[201:202], v[197:198]
	v_fma_f64 v[201:202], -v[195:196], v[197:198], 1.0
	v_fma_f64 v[197:198], v[197:198], v[201:202], v[197:198]
	v_div_scale_f64 v[201:202], vcc_lo, 1.0, v[193:194], 1.0
	v_mul_f64 v[203:204], v[201:202], v[197:198]
	v_fma_f64 v[195:196], -v[195:196], v[203:204], v[201:202]
	v_div_fmas_f64 v[195:196], v[195:196], v[197:198], v[203:204]
	v_div_fixup_f64 v[197:198], v[195:196], v[193:194], 1.0
	v_mul_f64 v[199:200], v[199:200], -v[197:198]
.LBB95_223:
	s_or_b32 exec_lo, exec_lo, s1
	ds_write2_b64 v255, v[197:198], v[199:200] offset1:1
.LBB95_224:
	s_or_b32 exec_lo, exec_lo, s2
	s_waitcnt lgkmcnt(0)
	s_barrier
	buffer_gl0_inv
	ds_read2_b64 v[193:196], v255 offset1:1
	s_mov_b32 s1, exec_lo
	s_waitcnt lgkmcnt(0)
	buffer_store_dword v193, off, s[16:19], 0 offset:592 ; 4-byte Folded Spill
	buffer_store_dword v194, off, s[16:19], 0 offset:596 ; 4-byte Folded Spill
	;; [unrolled: 1-line block ×4, first 2 shown]
	v_cmpx_lt_u32_e32 24, v0
	s_cbranch_execz .LBB95_226
; %bb.225:
	s_clause 0x3
	buffer_load_dword v195, off, s[16:19], 0 offset:592
	buffer_load_dword v196, off, s[16:19], 0 offset:596
	;; [unrolled: 1-line block ×4, first 2 shown]
	s_waitcnt vmcnt(0)
	v_mul_f64 v[193:194], v[197:198], v[95:96]
	v_mul_f64 v[95:96], v[195:196], v[95:96]
	v_fma_f64 v[193:194], v[195:196], v[93:94], -v[193:194]
	v_fma_f64 v[95:96], v[197:198], v[93:94], v[95:96]
	ds_read2_b64 v[195:198], v253 offset0:50 offset1:51
	s_waitcnt lgkmcnt(0)
	v_mul_f64 v[93:94], v[197:198], v[95:96]
	v_fma_f64 v[93:94], v[195:196], v[193:194], -v[93:94]
	v_mul_f64 v[195:196], v[195:196], v[95:96]
	v_add_f64 v[89:90], v[89:90], -v[93:94]
	v_fma_f64 v[195:196], v[197:198], v[193:194], v[195:196]
	v_add_f64 v[91:92], v[91:92], -v[195:196]
	ds_read2_b64 v[195:198], v253 offset0:52 offset1:53
	s_waitcnt lgkmcnt(0)
	v_mul_f64 v[93:94], v[197:198], v[95:96]
	v_fma_f64 v[93:94], v[195:196], v[193:194], -v[93:94]
	v_mul_f64 v[195:196], v[195:196], v[95:96]
	v_add_f64 v[85:86], v[85:86], -v[93:94]
	v_fma_f64 v[195:196], v[197:198], v[193:194], v[195:196]
	v_add_f64 v[87:88], v[87:88], -v[195:196]
	;; [unrolled: 8-line block ×22, first 2 shown]
	ds_read2_b64 v[195:198], v253 offset0:94 offset1:95
	s_waitcnt lgkmcnt(0)
	v_mul_f64 v[93:94], v[197:198], v[95:96]
	v_fma_f64 v[93:94], v[195:196], v[193:194], -v[93:94]
	v_mul_f64 v[195:196], v[195:196], v[95:96]
	v_add_f64 v[1:2], v[1:2], -v[93:94]
	v_fma_f64 v[195:196], v[197:198], v[193:194], v[195:196]
	v_mov_b32_e32 v93, v193
	v_mov_b32_e32 v94, v194
	v_add_f64 v[3:4], v[3:4], -v[195:196]
.LBB95_226:
	s_or_b32 exec_lo, exec_lo, s1
	s_mov_b32 s2, exec_lo
	s_waitcnt_vscnt null, 0x0
	s_barrier
	buffer_gl0_inv
	v_cmpx_eq_u32_e32 25, v0
	s_cbranch_execz .LBB95_233
; %bb.227:
	ds_write2_b64 v255, v[89:90], v[91:92] offset1:1
	ds_write2_b64 v253, v[85:86], v[87:88] offset0:52 offset1:53
	ds_write2_b64 v253, v[81:82], v[83:84] offset0:54 offset1:55
	;; [unrolled: 1-line block ×22, first 2 shown]
	ds_read2_b64 v[193:196], v255 offset1:1
	s_waitcnt lgkmcnt(0)
	v_cmp_neq_f64_e32 vcc_lo, 0, v[193:194]
	v_cmp_neq_f64_e64 s1, 0, v[195:196]
	s_or_b32 s1, vcc_lo, s1
	s_and_b32 exec_lo, exec_lo, s1
	s_cbranch_execz .LBB95_233
; %bb.228:
	v_cmp_ngt_f64_e64 s1, |v[193:194]|, |v[195:196]|
                                        ; implicit-def: $vgpr197_vgpr198
	s_and_saveexec_b32 s3, s1
	s_xor_b32 s1, exec_lo, s3
                                        ; implicit-def: $vgpr199_vgpr200
	s_cbranch_execz .LBB95_230
; %bb.229:
	v_div_scale_f64 v[197:198], null, v[195:196], v[195:196], v[193:194]
	v_div_scale_f64 v[203:204], vcc_lo, v[193:194], v[195:196], v[193:194]
	v_rcp_f64_e32 v[199:200], v[197:198]
	v_fma_f64 v[201:202], -v[197:198], v[199:200], 1.0
	v_fma_f64 v[199:200], v[199:200], v[201:202], v[199:200]
	v_fma_f64 v[201:202], -v[197:198], v[199:200], 1.0
	v_fma_f64 v[199:200], v[199:200], v[201:202], v[199:200]
	v_mul_f64 v[201:202], v[203:204], v[199:200]
	v_fma_f64 v[197:198], -v[197:198], v[201:202], v[203:204]
	v_div_fmas_f64 v[197:198], v[197:198], v[199:200], v[201:202]
	v_div_fixup_f64 v[197:198], v[197:198], v[195:196], v[193:194]
	v_fma_f64 v[193:194], v[193:194], v[197:198], v[195:196]
	v_div_scale_f64 v[195:196], null, v[193:194], v[193:194], 1.0
	v_rcp_f64_e32 v[199:200], v[195:196]
	v_fma_f64 v[201:202], -v[195:196], v[199:200], 1.0
	v_fma_f64 v[199:200], v[199:200], v[201:202], v[199:200]
	v_fma_f64 v[201:202], -v[195:196], v[199:200], 1.0
	v_fma_f64 v[199:200], v[199:200], v[201:202], v[199:200]
	v_div_scale_f64 v[201:202], vcc_lo, 1.0, v[193:194], 1.0
	v_mul_f64 v[203:204], v[201:202], v[199:200]
	v_fma_f64 v[195:196], -v[195:196], v[203:204], v[201:202]
	v_div_fmas_f64 v[195:196], v[195:196], v[199:200], v[203:204]
	v_div_fixup_f64 v[199:200], v[195:196], v[193:194], 1.0
                                        ; implicit-def: $vgpr193_vgpr194
	v_mul_f64 v[197:198], v[197:198], v[199:200]
	v_xor_b32_e32 v200, 0x80000000, v200
.LBB95_230:
	s_andn2_saveexec_b32 s1, s1
	s_cbranch_execz .LBB95_232
; %bb.231:
	v_div_scale_f64 v[197:198], null, v[193:194], v[193:194], v[195:196]
	v_div_scale_f64 v[203:204], vcc_lo, v[195:196], v[193:194], v[195:196]
	v_rcp_f64_e32 v[199:200], v[197:198]
	v_fma_f64 v[201:202], -v[197:198], v[199:200], 1.0
	v_fma_f64 v[199:200], v[199:200], v[201:202], v[199:200]
	v_fma_f64 v[201:202], -v[197:198], v[199:200], 1.0
	v_fma_f64 v[199:200], v[199:200], v[201:202], v[199:200]
	v_mul_f64 v[201:202], v[203:204], v[199:200]
	v_fma_f64 v[197:198], -v[197:198], v[201:202], v[203:204]
	v_div_fmas_f64 v[197:198], v[197:198], v[199:200], v[201:202]
	v_div_fixup_f64 v[199:200], v[197:198], v[193:194], v[195:196]
	v_fma_f64 v[193:194], v[195:196], v[199:200], v[193:194]
	v_div_scale_f64 v[195:196], null, v[193:194], v[193:194], 1.0
	v_rcp_f64_e32 v[197:198], v[195:196]
	v_fma_f64 v[201:202], -v[195:196], v[197:198], 1.0
	v_fma_f64 v[197:198], v[197:198], v[201:202], v[197:198]
	v_fma_f64 v[201:202], -v[195:196], v[197:198], 1.0
	v_fma_f64 v[197:198], v[197:198], v[201:202], v[197:198]
	v_div_scale_f64 v[201:202], vcc_lo, 1.0, v[193:194], 1.0
	v_mul_f64 v[203:204], v[201:202], v[197:198]
	v_fma_f64 v[195:196], -v[195:196], v[203:204], v[201:202]
	v_div_fmas_f64 v[195:196], v[195:196], v[197:198], v[203:204]
	v_div_fixup_f64 v[197:198], v[195:196], v[193:194], 1.0
	v_mul_f64 v[199:200], v[199:200], -v[197:198]
.LBB95_232:
	s_or_b32 exec_lo, exec_lo, s1
	ds_write2_b64 v255, v[197:198], v[199:200] offset1:1
.LBB95_233:
	s_or_b32 exec_lo, exec_lo, s2
	s_waitcnt lgkmcnt(0)
	s_barrier
	buffer_gl0_inv
	ds_read2_b64 v[193:196], v255 offset1:1
	s_mov_b32 s1, exec_lo
	s_waitcnt lgkmcnt(0)
	buffer_store_dword v193, off, s[16:19], 0 offset:608 ; 4-byte Folded Spill
	buffer_store_dword v194, off, s[16:19], 0 offset:612 ; 4-byte Folded Spill
	;; [unrolled: 1-line block ×4, first 2 shown]
	v_cmpx_lt_u32_e32 25, v0
	s_cbranch_execz .LBB95_235
; %bb.234:
	s_clause 0x3
	buffer_load_dword v195, off, s[16:19], 0 offset:608
	buffer_load_dword v196, off, s[16:19], 0 offset:612
	;; [unrolled: 1-line block ×4, first 2 shown]
	s_waitcnt vmcnt(0)
	v_mul_f64 v[193:194], v[197:198], v[91:92]
	v_mul_f64 v[91:92], v[195:196], v[91:92]
	v_fma_f64 v[193:194], v[195:196], v[89:90], -v[193:194]
	v_fma_f64 v[91:92], v[197:198], v[89:90], v[91:92]
	ds_read2_b64 v[195:198], v253 offset0:52 offset1:53
	s_waitcnt lgkmcnt(0)
	v_mul_f64 v[89:90], v[197:198], v[91:92]
	v_fma_f64 v[89:90], v[195:196], v[193:194], -v[89:90]
	v_mul_f64 v[195:196], v[195:196], v[91:92]
	v_add_f64 v[85:86], v[85:86], -v[89:90]
	v_fma_f64 v[195:196], v[197:198], v[193:194], v[195:196]
	v_add_f64 v[87:88], v[87:88], -v[195:196]
	ds_read2_b64 v[195:198], v253 offset0:54 offset1:55
	s_waitcnt lgkmcnt(0)
	v_mul_f64 v[89:90], v[197:198], v[91:92]
	v_fma_f64 v[89:90], v[195:196], v[193:194], -v[89:90]
	v_mul_f64 v[195:196], v[195:196], v[91:92]
	v_add_f64 v[81:82], v[81:82], -v[89:90]
	v_fma_f64 v[195:196], v[197:198], v[193:194], v[195:196]
	v_add_f64 v[83:84], v[83:84], -v[195:196]
	;; [unrolled: 8-line block ×21, first 2 shown]
	ds_read2_b64 v[195:198], v253 offset0:94 offset1:95
	s_waitcnt lgkmcnt(0)
	v_mul_f64 v[89:90], v[197:198], v[91:92]
	v_fma_f64 v[89:90], v[195:196], v[193:194], -v[89:90]
	v_mul_f64 v[195:196], v[195:196], v[91:92]
	v_add_f64 v[1:2], v[1:2], -v[89:90]
	v_fma_f64 v[195:196], v[197:198], v[193:194], v[195:196]
	v_mov_b32_e32 v89, v193
	v_mov_b32_e32 v90, v194
	v_add_f64 v[3:4], v[3:4], -v[195:196]
.LBB95_235:
	s_or_b32 exec_lo, exec_lo, s1
	s_mov_b32 s2, exec_lo
	s_waitcnt_vscnt null, 0x0
	s_barrier
	buffer_gl0_inv
	v_cmpx_eq_u32_e32 26, v0
	s_cbranch_execz .LBB95_242
; %bb.236:
	ds_write2_b64 v255, v[85:86], v[87:88] offset1:1
	ds_write2_b64 v253, v[81:82], v[83:84] offset0:54 offset1:55
	ds_write2_b64 v253, v[77:78], v[79:80] offset0:56 offset1:57
	;; [unrolled: 1-line block ×21, first 2 shown]
	ds_read2_b64 v[193:196], v255 offset1:1
	s_waitcnt lgkmcnt(0)
	v_cmp_neq_f64_e32 vcc_lo, 0, v[193:194]
	v_cmp_neq_f64_e64 s1, 0, v[195:196]
	s_or_b32 s1, vcc_lo, s1
	s_and_b32 exec_lo, exec_lo, s1
	s_cbranch_execz .LBB95_242
; %bb.237:
	v_cmp_ngt_f64_e64 s1, |v[193:194]|, |v[195:196]|
                                        ; implicit-def: $vgpr197_vgpr198
	s_and_saveexec_b32 s3, s1
	s_xor_b32 s1, exec_lo, s3
                                        ; implicit-def: $vgpr199_vgpr200
	s_cbranch_execz .LBB95_239
; %bb.238:
	v_div_scale_f64 v[197:198], null, v[195:196], v[195:196], v[193:194]
	v_div_scale_f64 v[203:204], vcc_lo, v[193:194], v[195:196], v[193:194]
	v_rcp_f64_e32 v[199:200], v[197:198]
	v_fma_f64 v[201:202], -v[197:198], v[199:200], 1.0
	v_fma_f64 v[199:200], v[199:200], v[201:202], v[199:200]
	v_fma_f64 v[201:202], -v[197:198], v[199:200], 1.0
	v_fma_f64 v[199:200], v[199:200], v[201:202], v[199:200]
	v_mul_f64 v[201:202], v[203:204], v[199:200]
	v_fma_f64 v[197:198], -v[197:198], v[201:202], v[203:204]
	v_div_fmas_f64 v[197:198], v[197:198], v[199:200], v[201:202]
	v_div_fixup_f64 v[197:198], v[197:198], v[195:196], v[193:194]
	v_fma_f64 v[193:194], v[193:194], v[197:198], v[195:196]
	v_div_scale_f64 v[195:196], null, v[193:194], v[193:194], 1.0
	v_rcp_f64_e32 v[199:200], v[195:196]
	v_fma_f64 v[201:202], -v[195:196], v[199:200], 1.0
	v_fma_f64 v[199:200], v[199:200], v[201:202], v[199:200]
	v_fma_f64 v[201:202], -v[195:196], v[199:200], 1.0
	v_fma_f64 v[199:200], v[199:200], v[201:202], v[199:200]
	v_div_scale_f64 v[201:202], vcc_lo, 1.0, v[193:194], 1.0
	v_mul_f64 v[203:204], v[201:202], v[199:200]
	v_fma_f64 v[195:196], -v[195:196], v[203:204], v[201:202]
	v_div_fmas_f64 v[195:196], v[195:196], v[199:200], v[203:204]
	v_div_fixup_f64 v[199:200], v[195:196], v[193:194], 1.0
                                        ; implicit-def: $vgpr193_vgpr194
	v_mul_f64 v[197:198], v[197:198], v[199:200]
	v_xor_b32_e32 v200, 0x80000000, v200
.LBB95_239:
	s_andn2_saveexec_b32 s1, s1
	s_cbranch_execz .LBB95_241
; %bb.240:
	v_div_scale_f64 v[197:198], null, v[193:194], v[193:194], v[195:196]
	v_div_scale_f64 v[203:204], vcc_lo, v[195:196], v[193:194], v[195:196]
	v_rcp_f64_e32 v[199:200], v[197:198]
	v_fma_f64 v[201:202], -v[197:198], v[199:200], 1.0
	v_fma_f64 v[199:200], v[199:200], v[201:202], v[199:200]
	v_fma_f64 v[201:202], -v[197:198], v[199:200], 1.0
	v_fma_f64 v[199:200], v[199:200], v[201:202], v[199:200]
	v_mul_f64 v[201:202], v[203:204], v[199:200]
	v_fma_f64 v[197:198], -v[197:198], v[201:202], v[203:204]
	v_div_fmas_f64 v[197:198], v[197:198], v[199:200], v[201:202]
	v_div_fixup_f64 v[199:200], v[197:198], v[193:194], v[195:196]
	v_fma_f64 v[193:194], v[195:196], v[199:200], v[193:194]
	v_div_scale_f64 v[195:196], null, v[193:194], v[193:194], 1.0
	v_rcp_f64_e32 v[197:198], v[195:196]
	v_fma_f64 v[201:202], -v[195:196], v[197:198], 1.0
	v_fma_f64 v[197:198], v[197:198], v[201:202], v[197:198]
	v_fma_f64 v[201:202], -v[195:196], v[197:198], 1.0
	v_fma_f64 v[197:198], v[197:198], v[201:202], v[197:198]
	v_div_scale_f64 v[201:202], vcc_lo, 1.0, v[193:194], 1.0
	v_mul_f64 v[203:204], v[201:202], v[197:198]
	v_fma_f64 v[195:196], -v[195:196], v[203:204], v[201:202]
	v_div_fmas_f64 v[195:196], v[195:196], v[197:198], v[203:204]
	v_div_fixup_f64 v[197:198], v[195:196], v[193:194], 1.0
	v_mul_f64 v[199:200], v[199:200], -v[197:198]
.LBB95_241:
	s_or_b32 exec_lo, exec_lo, s1
	ds_write2_b64 v255, v[197:198], v[199:200] offset1:1
.LBB95_242:
	s_or_b32 exec_lo, exec_lo, s2
	s_waitcnt lgkmcnt(0)
	s_barrier
	buffer_gl0_inv
	ds_read2_b64 v[193:196], v255 offset1:1
	s_mov_b32 s1, exec_lo
	s_waitcnt lgkmcnt(0)
	buffer_store_dword v193, off, s[16:19], 0 offset:624 ; 4-byte Folded Spill
	buffer_store_dword v194, off, s[16:19], 0 offset:628 ; 4-byte Folded Spill
	;; [unrolled: 1-line block ×4, first 2 shown]
	v_cmpx_lt_u32_e32 26, v0
	s_cbranch_execz .LBB95_244
; %bb.243:
	s_clause 0x3
	buffer_load_dword v195, off, s[16:19], 0 offset:624
	buffer_load_dword v196, off, s[16:19], 0 offset:628
	;; [unrolled: 1-line block ×4, first 2 shown]
	s_waitcnt vmcnt(0)
	v_mul_f64 v[193:194], v[197:198], v[87:88]
	v_mul_f64 v[87:88], v[195:196], v[87:88]
	v_fma_f64 v[193:194], v[195:196], v[85:86], -v[193:194]
	v_fma_f64 v[87:88], v[197:198], v[85:86], v[87:88]
	ds_read2_b64 v[195:198], v253 offset0:54 offset1:55
	s_waitcnt lgkmcnt(0)
	v_mul_f64 v[85:86], v[197:198], v[87:88]
	v_fma_f64 v[85:86], v[195:196], v[193:194], -v[85:86]
	v_mul_f64 v[195:196], v[195:196], v[87:88]
	v_add_f64 v[81:82], v[81:82], -v[85:86]
	v_fma_f64 v[195:196], v[197:198], v[193:194], v[195:196]
	v_add_f64 v[83:84], v[83:84], -v[195:196]
	ds_read2_b64 v[195:198], v253 offset0:56 offset1:57
	s_waitcnt lgkmcnt(0)
	v_mul_f64 v[85:86], v[197:198], v[87:88]
	v_fma_f64 v[85:86], v[195:196], v[193:194], -v[85:86]
	v_mul_f64 v[195:196], v[195:196], v[87:88]
	v_add_f64 v[77:78], v[77:78], -v[85:86]
	v_fma_f64 v[195:196], v[197:198], v[193:194], v[195:196]
	v_add_f64 v[79:80], v[79:80], -v[195:196]
	;; [unrolled: 8-line block ×20, first 2 shown]
	ds_read2_b64 v[195:198], v253 offset0:94 offset1:95
	s_waitcnt lgkmcnt(0)
	v_mul_f64 v[85:86], v[197:198], v[87:88]
	v_fma_f64 v[85:86], v[195:196], v[193:194], -v[85:86]
	v_mul_f64 v[195:196], v[195:196], v[87:88]
	v_add_f64 v[1:2], v[1:2], -v[85:86]
	v_fma_f64 v[195:196], v[197:198], v[193:194], v[195:196]
	v_mov_b32_e32 v85, v193
	v_mov_b32_e32 v86, v194
	v_add_f64 v[3:4], v[3:4], -v[195:196]
.LBB95_244:
	s_or_b32 exec_lo, exec_lo, s1
	s_mov_b32 s2, exec_lo
	s_waitcnt_vscnt null, 0x0
	s_barrier
	buffer_gl0_inv
	v_cmpx_eq_u32_e32 27, v0
	s_cbranch_execz .LBB95_251
; %bb.245:
	ds_write2_b64 v255, v[81:82], v[83:84] offset1:1
	ds_write2_b64 v253, v[77:78], v[79:80] offset0:56 offset1:57
	ds_write2_b64 v253, v[73:74], v[75:76] offset0:58 offset1:59
	;; [unrolled: 1-line block ×20, first 2 shown]
	ds_read2_b64 v[193:196], v255 offset1:1
	s_waitcnt lgkmcnt(0)
	v_cmp_neq_f64_e32 vcc_lo, 0, v[193:194]
	v_cmp_neq_f64_e64 s1, 0, v[195:196]
	s_or_b32 s1, vcc_lo, s1
	s_and_b32 exec_lo, exec_lo, s1
	s_cbranch_execz .LBB95_251
; %bb.246:
	v_cmp_ngt_f64_e64 s1, |v[193:194]|, |v[195:196]|
                                        ; implicit-def: $vgpr197_vgpr198
	s_and_saveexec_b32 s3, s1
	s_xor_b32 s1, exec_lo, s3
                                        ; implicit-def: $vgpr199_vgpr200
	s_cbranch_execz .LBB95_248
; %bb.247:
	v_div_scale_f64 v[197:198], null, v[195:196], v[195:196], v[193:194]
	v_div_scale_f64 v[203:204], vcc_lo, v[193:194], v[195:196], v[193:194]
	v_rcp_f64_e32 v[199:200], v[197:198]
	v_fma_f64 v[201:202], -v[197:198], v[199:200], 1.0
	v_fma_f64 v[199:200], v[199:200], v[201:202], v[199:200]
	v_fma_f64 v[201:202], -v[197:198], v[199:200], 1.0
	v_fma_f64 v[199:200], v[199:200], v[201:202], v[199:200]
	v_mul_f64 v[201:202], v[203:204], v[199:200]
	v_fma_f64 v[197:198], -v[197:198], v[201:202], v[203:204]
	v_div_fmas_f64 v[197:198], v[197:198], v[199:200], v[201:202]
	v_div_fixup_f64 v[197:198], v[197:198], v[195:196], v[193:194]
	v_fma_f64 v[193:194], v[193:194], v[197:198], v[195:196]
	v_div_scale_f64 v[195:196], null, v[193:194], v[193:194], 1.0
	v_rcp_f64_e32 v[199:200], v[195:196]
	v_fma_f64 v[201:202], -v[195:196], v[199:200], 1.0
	v_fma_f64 v[199:200], v[199:200], v[201:202], v[199:200]
	v_fma_f64 v[201:202], -v[195:196], v[199:200], 1.0
	v_fma_f64 v[199:200], v[199:200], v[201:202], v[199:200]
	v_div_scale_f64 v[201:202], vcc_lo, 1.0, v[193:194], 1.0
	v_mul_f64 v[203:204], v[201:202], v[199:200]
	v_fma_f64 v[195:196], -v[195:196], v[203:204], v[201:202]
	v_div_fmas_f64 v[195:196], v[195:196], v[199:200], v[203:204]
	v_div_fixup_f64 v[199:200], v[195:196], v[193:194], 1.0
                                        ; implicit-def: $vgpr193_vgpr194
	v_mul_f64 v[197:198], v[197:198], v[199:200]
	v_xor_b32_e32 v200, 0x80000000, v200
.LBB95_248:
	s_andn2_saveexec_b32 s1, s1
	s_cbranch_execz .LBB95_250
; %bb.249:
	v_div_scale_f64 v[197:198], null, v[193:194], v[193:194], v[195:196]
	v_div_scale_f64 v[203:204], vcc_lo, v[195:196], v[193:194], v[195:196]
	v_rcp_f64_e32 v[199:200], v[197:198]
	v_fma_f64 v[201:202], -v[197:198], v[199:200], 1.0
	v_fma_f64 v[199:200], v[199:200], v[201:202], v[199:200]
	v_fma_f64 v[201:202], -v[197:198], v[199:200], 1.0
	v_fma_f64 v[199:200], v[199:200], v[201:202], v[199:200]
	v_mul_f64 v[201:202], v[203:204], v[199:200]
	v_fma_f64 v[197:198], -v[197:198], v[201:202], v[203:204]
	v_div_fmas_f64 v[197:198], v[197:198], v[199:200], v[201:202]
	v_div_fixup_f64 v[199:200], v[197:198], v[193:194], v[195:196]
	v_fma_f64 v[193:194], v[195:196], v[199:200], v[193:194]
	v_div_scale_f64 v[195:196], null, v[193:194], v[193:194], 1.0
	v_rcp_f64_e32 v[197:198], v[195:196]
	v_fma_f64 v[201:202], -v[195:196], v[197:198], 1.0
	v_fma_f64 v[197:198], v[197:198], v[201:202], v[197:198]
	v_fma_f64 v[201:202], -v[195:196], v[197:198], 1.0
	v_fma_f64 v[197:198], v[197:198], v[201:202], v[197:198]
	v_div_scale_f64 v[201:202], vcc_lo, 1.0, v[193:194], 1.0
	v_mul_f64 v[203:204], v[201:202], v[197:198]
	v_fma_f64 v[195:196], -v[195:196], v[203:204], v[201:202]
	v_div_fmas_f64 v[195:196], v[195:196], v[197:198], v[203:204]
	v_div_fixup_f64 v[197:198], v[195:196], v[193:194], 1.0
	v_mul_f64 v[199:200], v[199:200], -v[197:198]
.LBB95_250:
	s_or_b32 exec_lo, exec_lo, s1
	ds_write2_b64 v255, v[197:198], v[199:200] offset1:1
.LBB95_251:
	s_or_b32 exec_lo, exec_lo, s2
	s_waitcnt lgkmcnt(0)
	s_barrier
	buffer_gl0_inv
	ds_read2_b64 v[193:196], v255 offset1:1
	s_mov_b32 s1, exec_lo
	s_waitcnt lgkmcnt(0)
	buffer_store_dword v193, off, s[16:19], 0 offset:640 ; 4-byte Folded Spill
	buffer_store_dword v194, off, s[16:19], 0 offset:644 ; 4-byte Folded Spill
	;; [unrolled: 1-line block ×4, first 2 shown]
	v_cmpx_lt_u32_e32 27, v0
	s_cbranch_execz .LBB95_253
; %bb.252:
	s_clause 0x3
	buffer_load_dword v195, off, s[16:19], 0 offset:640
	buffer_load_dword v196, off, s[16:19], 0 offset:644
	;; [unrolled: 1-line block ×4, first 2 shown]
	s_waitcnt vmcnt(0)
	v_mul_f64 v[193:194], v[197:198], v[83:84]
	v_mul_f64 v[83:84], v[195:196], v[83:84]
	v_fma_f64 v[193:194], v[195:196], v[81:82], -v[193:194]
	v_fma_f64 v[83:84], v[197:198], v[81:82], v[83:84]
	ds_read2_b64 v[195:198], v253 offset0:56 offset1:57
	s_waitcnt lgkmcnt(0)
	v_mul_f64 v[81:82], v[197:198], v[83:84]
	v_fma_f64 v[81:82], v[195:196], v[193:194], -v[81:82]
	v_mul_f64 v[195:196], v[195:196], v[83:84]
	v_add_f64 v[77:78], v[77:78], -v[81:82]
	v_fma_f64 v[195:196], v[197:198], v[193:194], v[195:196]
	v_add_f64 v[79:80], v[79:80], -v[195:196]
	ds_read2_b64 v[195:198], v253 offset0:58 offset1:59
	s_waitcnt lgkmcnt(0)
	v_mul_f64 v[81:82], v[197:198], v[83:84]
	v_fma_f64 v[81:82], v[195:196], v[193:194], -v[81:82]
	v_mul_f64 v[195:196], v[195:196], v[83:84]
	v_add_f64 v[73:74], v[73:74], -v[81:82]
	v_fma_f64 v[195:196], v[197:198], v[193:194], v[195:196]
	v_add_f64 v[75:76], v[75:76], -v[195:196]
	ds_read2_b64 v[195:198], v253 offset0:60 offset1:61
	s_waitcnt lgkmcnt(0)
	v_mul_f64 v[81:82], v[197:198], v[83:84]
	v_fma_f64 v[81:82], v[195:196], v[193:194], -v[81:82]
	v_mul_f64 v[195:196], v[195:196], v[83:84]
	v_add_f64 v[69:70], v[69:70], -v[81:82]
	v_fma_f64 v[195:196], v[197:198], v[193:194], v[195:196]
	v_add_f64 v[71:72], v[71:72], -v[195:196]
	ds_read2_b64 v[195:198], v253 offset0:62 offset1:63
	s_waitcnt lgkmcnt(0)
	v_mul_f64 v[81:82], v[197:198], v[83:84]
	v_fma_f64 v[81:82], v[195:196], v[193:194], -v[81:82]
	v_mul_f64 v[195:196], v[195:196], v[83:84]
	v_add_f64 v[65:66], v[65:66], -v[81:82]
	v_fma_f64 v[195:196], v[197:198], v[193:194], v[195:196]
	v_add_f64 v[67:68], v[67:68], -v[195:196]
	ds_read2_b64 v[195:198], v253 offset0:64 offset1:65
	s_waitcnt lgkmcnt(0)
	v_mul_f64 v[81:82], v[197:198], v[83:84]
	v_fma_f64 v[81:82], v[195:196], v[193:194], -v[81:82]
	v_mul_f64 v[195:196], v[195:196], v[83:84]
	v_add_f64 v[61:62], v[61:62], -v[81:82]
	v_fma_f64 v[195:196], v[197:198], v[193:194], v[195:196]
	v_add_f64 v[63:64], v[63:64], -v[195:196]
	ds_read2_b64 v[195:198], v253 offset0:66 offset1:67
	s_waitcnt lgkmcnt(0)
	v_mul_f64 v[81:82], v[197:198], v[83:84]
	v_fma_f64 v[81:82], v[195:196], v[193:194], -v[81:82]
	v_mul_f64 v[195:196], v[195:196], v[83:84]
	v_add_f64 v[57:58], v[57:58], -v[81:82]
	v_fma_f64 v[195:196], v[197:198], v[193:194], v[195:196]
	v_add_f64 v[59:60], v[59:60], -v[195:196]
	ds_read2_b64 v[195:198], v253 offset0:68 offset1:69
	s_waitcnt lgkmcnt(0)
	v_mul_f64 v[81:82], v[197:198], v[83:84]
	v_fma_f64 v[81:82], v[195:196], v[193:194], -v[81:82]
	v_mul_f64 v[195:196], v[195:196], v[83:84]
	v_add_f64 v[53:54], v[53:54], -v[81:82]
	v_fma_f64 v[195:196], v[197:198], v[193:194], v[195:196]
	v_add_f64 v[55:56], v[55:56], -v[195:196]
	ds_read2_b64 v[195:198], v253 offset0:70 offset1:71
	s_waitcnt lgkmcnt(0)
	v_mul_f64 v[81:82], v[197:198], v[83:84]
	v_fma_f64 v[81:82], v[195:196], v[193:194], -v[81:82]
	v_mul_f64 v[195:196], v[195:196], v[83:84]
	v_add_f64 v[49:50], v[49:50], -v[81:82]
	v_fma_f64 v[195:196], v[197:198], v[193:194], v[195:196]
	v_add_f64 v[51:52], v[51:52], -v[195:196]
	ds_read2_b64 v[195:198], v253 offset0:72 offset1:73
	s_waitcnt lgkmcnt(0)
	v_mul_f64 v[81:82], v[197:198], v[83:84]
	v_fma_f64 v[81:82], v[195:196], v[193:194], -v[81:82]
	v_mul_f64 v[195:196], v[195:196], v[83:84]
	v_add_f64 v[45:46], v[45:46], -v[81:82]
	v_fma_f64 v[195:196], v[197:198], v[193:194], v[195:196]
	v_add_f64 v[47:48], v[47:48], -v[195:196]
	ds_read2_b64 v[195:198], v253 offset0:74 offset1:75
	s_waitcnt lgkmcnt(0)
	v_mul_f64 v[81:82], v[197:198], v[83:84]
	v_fma_f64 v[81:82], v[195:196], v[193:194], -v[81:82]
	v_mul_f64 v[195:196], v[195:196], v[83:84]
	v_add_f64 v[41:42], v[41:42], -v[81:82]
	v_fma_f64 v[195:196], v[197:198], v[193:194], v[195:196]
	v_add_f64 v[43:44], v[43:44], -v[195:196]
	ds_read2_b64 v[195:198], v253 offset0:76 offset1:77
	s_waitcnt lgkmcnt(0)
	v_mul_f64 v[81:82], v[197:198], v[83:84]
	v_fma_f64 v[81:82], v[195:196], v[193:194], -v[81:82]
	v_mul_f64 v[195:196], v[195:196], v[83:84]
	v_add_f64 v[37:38], v[37:38], -v[81:82]
	v_fma_f64 v[195:196], v[197:198], v[193:194], v[195:196]
	v_add_f64 v[39:40], v[39:40], -v[195:196]
	ds_read2_b64 v[195:198], v253 offset0:78 offset1:79
	s_waitcnt lgkmcnt(0)
	v_mul_f64 v[81:82], v[197:198], v[83:84]
	v_fma_f64 v[81:82], v[195:196], v[193:194], -v[81:82]
	v_mul_f64 v[195:196], v[195:196], v[83:84]
	v_add_f64 v[33:34], v[33:34], -v[81:82]
	v_fma_f64 v[195:196], v[197:198], v[193:194], v[195:196]
	v_add_f64 v[35:36], v[35:36], -v[195:196]
	ds_read2_b64 v[195:198], v253 offset0:80 offset1:81
	s_waitcnt lgkmcnt(0)
	v_mul_f64 v[81:82], v[197:198], v[83:84]
	v_fma_f64 v[81:82], v[195:196], v[193:194], -v[81:82]
	v_mul_f64 v[195:196], v[195:196], v[83:84]
	v_add_f64 v[29:30], v[29:30], -v[81:82]
	v_fma_f64 v[195:196], v[197:198], v[193:194], v[195:196]
	v_add_f64 v[31:32], v[31:32], -v[195:196]
	ds_read2_b64 v[195:198], v253 offset0:82 offset1:83
	s_waitcnt lgkmcnt(0)
	v_mul_f64 v[81:82], v[197:198], v[83:84]
	v_fma_f64 v[81:82], v[195:196], v[193:194], -v[81:82]
	v_mul_f64 v[195:196], v[195:196], v[83:84]
	v_add_f64 v[25:26], v[25:26], -v[81:82]
	v_fma_f64 v[195:196], v[197:198], v[193:194], v[195:196]
	v_add_f64 v[27:28], v[27:28], -v[195:196]
	ds_read2_b64 v[195:198], v253 offset0:84 offset1:85
	s_waitcnt lgkmcnt(0)
	v_mul_f64 v[81:82], v[197:198], v[83:84]
	v_fma_f64 v[81:82], v[195:196], v[193:194], -v[81:82]
	v_mul_f64 v[195:196], v[195:196], v[83:84]
	v_add_f64 v[21:22], v[21:22], -v[81:82]
	v_fma_f64 v[195:196], v[197:198], v[193:194], v[195:196]
	v_add_f64 v[23:24], v[23:24], -v[195:196]
	ds_read2_b64 v[195:198], v253 offset0:86 offset1:87
	s_waitcnt lgkmcnt(0)
	v_mul_f64 v[81:82], v[197:198], v[83:84]
	v_fma_f64 v[81:82], v[195:196], v[193:194], -v[81:82]
	v_mul_f64 v[195:196], v[195:196], v[83:84]
	v_add_f64 v[17:18], v[17:18], -v[81:82]
	v_fma_f64 v[195:196], v[197:198], v[193:194], v[195:196]
	v_add_f64 v[19:20], v[19:20], -v[195:196]
	ds_read2_b64 v[195:198], v253 offset0:88 offset1:89
	s_waitcnt lgkmcnt(0)
	v_mul_f64 v[81:82], v[197:198], v[83:84]
	v_fma_f64 v[81:82], v[195:196], v[193:194], -v[81:82]
	v_mul_f64 v[195:196], v[195:196], v[83:84]
	v_add_f64 v[13:14], v[13:14], -v[81:82]
	v_fma_f64 v[195:196], v[197:198], v[193:194], v[195:196]
	v_add_f64 v[15:16], v[15:16], -v[195:196]
	ds_read2_b64 v[195:198], v253 offset0:90 offset1:91
	s_waitcnt lgkmcnt(0)
	v_mul_f64 v[81:82], v[197:198], v[83:84]
	v_fma_f64 v[81:82], v[195:196], v[193:194], -v[81:82]
	v_mul_f64 v[195:196], v[195:196], v[83:84]
	v_add_f64 v[9:10], v[9:10], -v[81:82]
	v_fma_f64 v[195:196], v[197:198], v[193:194], v[195:196]
	v_add_f64 v[11:12], v[11:12], -v[195:196]
	ds_read2_b64 v[195:198], v253 offset0:92 offset1:93
	s_waitcnt lgkmcnt(0)
	v_mul_f64 v[81:82], v[197:198], v[83:84]
	v_fma_f64 v[81:82], v[195:196], v[193:194], -v[81:82]
	v_mul_f64 v[195:196], v[195:196], v[83:84]
	v_add_f64 v[5:6], v[5:6], -v[81:82]
	v_fma_f64 v[195:196], v[197:198], v[193:194], v[195:196]
	v_add_f64 v[7:8], v[7:8], -v[195:196]
	ds_read2_b64 v[195:198], v253 offset0:94 offset1:95
	s_waitcnt lgkmcnt(0)
	v_mul_f64 v[81:82], v[197:198], v[83:84]
	v_fma_f64 v[81:82], v[195:196], v[193:194], -v[81:82]
	v_mul_f64 v[195:196], v[195:196], v[83:84]
	v_add_f64 v[1:2], v[1:2], -v[81:82]
	v_fma_f64 v[195:196], v[197:198], v[193:194], v[195:196]
	v_mov_b32_e32 v81, v193
	v_mov_b32_e32 v82, v194
	v_add_f64 v[3:4], v[3:4], -v[195:196]
.LBB95_253:
	s_or_b32 exec_lo, exec_lo, s1
	s_mov_b32 s2, exec_lo
	s_waitcnt_vscnt null, 0x0
	s_barrier
	buffer_gl0_inv
	v_cmpx_eq_u32_e32 28, v0
	s_cbranch_execz .LBB95_260
; %bb.254:
	ds_write2_b64 v255, v[77:78], v[79:80] offset1:1
	ds_write2_b64 v253, v[73:74], v[75:76] offset0:58 offset1:59
	ds_write2_b64 v253, v[69:70], v[71:72] offset0:60 offset1:61
	;; [unrolled: 1-line block ×19, first 2 shown]
	ds_read2_b64 v[193:196], v255 offset1:1
	s_waitcnt lgkmcnt(0)
	v_cmp_neq_f64_e32 vcc_lo, 0, v[193:194]
	v_cmp_neq_f64_e64 s1, 0, v[195:196]
	s_or_b32 s1, vcc_lo, s1
	s_and_b32 exec_lo, exec_lo, s1
	s_cbranch_execz .LBB95_260
; %bb.255:
	v_cmp_ngt_f64_e64 s1, |v[193:194]|, |v[195:196]|
                                        ; implicit-def: $vgpr197_vgpr198
	s_and_saveexec_b32 s3, s1
	s_xor_b32 s1, exec_lo, s3
                                        ; implicit-def: $vgpr199_vgpr200
	s_cbranch_execz .LBB95_257
; %bb.256:
	v_div_scale_f64 v[197:198], null, v[195:196], v[195:196], v[193:194]
	v_div_scale_f64 v[203:204], vcc_lo, v[193:194], v[195:196], v[193:194]
	v_rcp_f64_e32 v[199:200], v[197:198]
	v_fma_f64 v[201:202], -v[197:198], v[199:200], 1.0
	v_fma_f64 v[199:200], v[199:200], v[201:202], v[199:200]
	v_fma_f64 v[201:202], -v[197:198], v[199:200], 1.0
	v_fma_f64 v[199:200], v[199:200], v[201:202], v[199:200]
	v_mul_f64 v[201:202], v[203:204], v[199:200]
	v_fma_f64 v[197:198], -v[197:198], v[201:202], v[203:204]
	v_div_fmas_f64 v[197:198], v[197:198], v[199:200], v[201:202]
	v_div_fixup_f64 v[197:198], v[197:198], v[195:196], v[193:194]
	v_fma_f64 v[193:194], v[193:194], v[197:198], v[195:196]
	v_div_scale_f64 v[195:196], null, v[193:194], v[193:194], 1.0
	v_rcp_f64_e32 v[199:200], v[195:196]
	v_fma_f64 v[201:202], -v[195:196], v[199:200], 1.0
	v_fma_f64 v[199:200], v[199:200], v[201:202], v[199:200]
	v_fma_f64 v[201:202], -v[195:196], v[199:200], 1.0
	v_fma_f64 v[199:200], v[199:200], v[201:202], v[199:200]
	v_div_scale_f64 v[201:202], vcc_lo, 1.0, v[193:194], 1.0
	v_mul_f64 v[203:204], v[201:202], v[199:200]
	v_fma_f64 v[195:196], -v[195:196], v[203:204], v[201:202]
	v_div_fmas_f64 v[195:196], v[195:196], v[199:200], v[203:204]
	v_div_fixup_f64 v[199:200], v[195:196], v[193:194], 1.0
                                        ; implicit-def: $vgpr193_vgpr194
	v_mul_f64 v[197:198], v[197:198], v[199:200]
	v_xor_b32_e32 v200, 0x80000000, v200
.LBB95_257:
	s_andn2_saveexec_b32 s1, s1
	s_cbranch_execz .LBB95_259
; %bb.258:
	v_div_scale_f64 v[197:198], null, v[193:194], v[193:194], v[195:196]
	v_div_scale_f64 v[203:204], vcc_lo, v[195:196], v[193:194], v[195:196]
	v_rcp_f64_e32 v[199:200], v[197:198]
	v_fma_f64 v[201:202], -v[197:198], v[199:200], 1.0
	v_fma_f64 v[199:200], v[199:200], v[201:202], v[199:200]
	v_fma_f64 v[201:202], -v[197:198], v[199:200], 1.0
	v_fma_f64 v[199:200], v[199:200], v[201:202], v[199:200]
	v_mul_f64 v[201:202], v[203:204], v[199:200]
	v_fma_f64 v[197:198], -v[197:198], v[201:202], v[203:204]
	v_div_fmas_f64 v[197:198], v[197:198], v[199:200], v[201:202]
	v_div_fixup_f64 v[199:200], v[197:198], v[193:194], v[195:196]
	v_fma_f64 v[193:194], v[195:196], v[199:200], v[193:194]
	v_div_scale_f64 v[195:196], null, v[193:194], v[193:194], 1.0
	v_rcp_f64_e32 v[197:198], v[195:196]
	v_fma_f64 v[201:202], -v[195:196], v[197:198], 1.0
	v_fma_f64 v[197:198], v[197:198], v[201:202], v[197:198]
	v_fma_f64 v[201:202], -v[195:196], v[197:198], 1.0
	v_fma_f64 v[197:198], v[197:198], v[201:202], v[197:198]
	v_div_scale_f64 v[201:202], vcc_lo, 1.0, v[193:194], 1.0
	v_mul_f64 v[203:204], v[201:202], v[197:198]
	v_fma_f64 v[195:196], -v[195:196], v[203:204], v[201:202]
	v_div_fmas_f64 v[195:196], v[195:196], v[197:198], v[203:204]
	v_div_fixup_f64 v[197:198], v[195:196], v[193:194], 1.0
	v_mul_f64 v[199:200], v[199:200], -v[197:198]
.LBB95_259:
	s_or_b32 exec_lo, exec_lo, s1
	ds_write2_b64 v255, v[197:198], v[199:200] offset1:1
.LBB95_260:
	s_or_b32 exec_lo, exec_lo, s2
	s_waitcnt lgkmcnt(0)
	s_barrier
	buffer_gl0_inv
	ds_read2_b64 v[193:196], v255 offset1:1
	s_mov_b32 s1, exec_lo
	s_waitcnt lgkmcnt(0)
	buffer_store_dword v193, off, s[16:19], 0 offset:656 ; 4-byte Folded Spill
	buffer_store_dword v194, off, s[16:19], 0 offset:660 ; 4-byte Folded Spill
	;; [unrolled: 1-line block ×4, first 2 shown]
	v_cmpx_lt_u32_e32 28, v0
	s_cbranch_execz .LBB95_262
; %bb.261:
	s_clause 0x3
	buffer_load_dword v195, off, s[16:19], 0 offset:656
	buffer_load_dword v196, off, s[16:19], 0 offset:660
	;; [unrolled: 1-line block ×4, first 2 shown]
	s_waitcnt vmcnt(0)
	v_mul_f64 v[193:194], v[197:198], v[79:80]
	v_mul_f64 v[79:80], v[195:196], v[79:80]
	v_fma_f64 v[193:194], v[195:196], v[77:78], -v[193:194]
	v_fma_f64 v[79:80], v[197:198], v[77:78], v[79:80]
	ds_read2_b64 v[195:198], v253 offset0:58 offset1:59
	s_waitcnt lgkmcnt(0)
	v_mul_f64 v[77:78], v[197:198], v[79:80]
	v_fma_f64 v[77:78], v[195:196], v[193:194], -v[77:78]
	v_mul_f64 v[195:196], v[195:196], v[79:80]
	v_add_f64 v[73:74], v[73:74], -v[77:78]
	v_fma_f64 v[195:196], v[197:198], v[193:194], v[195:196]
	v_add_f64 v[75:76], v[75:76], -v[195:196]
	ds_read2_b64 v[195:198], v253 offset0:60 offset1:61
	s_waitcnt lgkmcnt(0)
	v_mul_f64 v[77:78], v[197:198], v[79:80]
	v_fma_f64 v[77:78], v[195:196], v[193:194], -v[77:78]
	v_mul_f64 v[195:196], v[195:196], v[79:80]
	v_add_f64 v[69:70], v[69:70], -v[77:78]
	v_fma_f64 v[195:196], v[197:198], v[193:194], v[195:196]
	v_add_f64 v[71:72], v[71:72], -v[195:196]
	;; [unrolled: 8-line block ×18, first 2 shown]
	ds_read2_b64 v[195:198], v253 offset0:94 offset1:95
	s_waitcnt lgkmcnt(0)
	v_mul_f64 v[77:78], v[197:198], v[79:80]
	v_fma_f64 v[77:78], v[195:196], v[193:194], -v[77:78]
	v_mul_f64 v[195:196], v[195:196], v[79:80]
	v_add_f64 v[1:2], v[1:2], -v[77:78]
	v_fma_f64 v[195:196], v[197:198], v[193:194], v[195:196]
	v_mov_b32_e32 v77, v193
	v_mov_b32_e32 v78, v194
	v_add_f64 v[3:4], v[3:4], -v[195:196]
.LBB95_262:
	s_or_b32 exec_lo, exec_lo, s1
	s_mov_b32 s2, exec_lo
	s_waitcnt_vscnt null, 0x0
	s_barrier
	buffer_gl0_inv
	v_cmpx_eq_u32_e32 29, v0
	s_cbranch_execz .LBB95_269
; %bb.263:
	ds_write2_b64 v255, v[73:74], v[75:76] offset1:1
	ds_write2_b64 v253, v[69:70], v[71:72] offset0:60 offset1:61
	ds_write2_b64 v253, v[65:66], v[67:68] offset0:62 offset1:63
	;; [unrolled: 1-line block ×18, first 2 shown]
	ds_read2_b64 v[193:196], v255 offset1:1
	s_waitcnt lgkmcnt(0)
	v_cmp_neq_f64_e32 vcc_lo, 0, v[193:194]
	v_cmp_neq_f64_e64 s1, 0, v[195:196]
	s_or_b32 s1, vcc_lo, s1
	s_and_b32 exec_lo, exec_lo, s1
	s_cbranch_execz .LBB95_269
; %bb.264:
	v_cmp_ngt_f64_e64 s1, |v[193:194]|, |v[195:196]|
                                        ; implicit-def: $vgpr197_vgpr198
	s_and_saveexec_b32 s3, s1
	s_xor_b32 s1, exec_lo, s3
                                        ; implicit-def: $vgpr199_vgpr200
	s_cbranch_execz .LBB95_266
; %bb.265:
	v_div_scale_f64 v[197:198], null, v[195:196], v[195:196], v[193:194]
	v_div_scale_f64 v[203:204], vcc_lo, v[193:194], v[195:196], v[193:194]
	v_rcp_f64_e32 v[199:200], v[197:198]
	v_fma_f64 v[201:202], -v[197:198], v[199:200], 1.0
	v_fma_f64 v[199:200], v[199:200], v[201:202], v[199:200]
	v_fma_f64 v[201:202], -v[197:198], v[199:200], 1.0
	v_fma_f64 v[199:200], v[199:200], v[201:202], v[199:200]
	v_mul_f64 v[201:202], v[203:204], v[199:200]
	v_fma_f64 v[197:198], -v[197:198], v[201:202], v[203:204]
	v_div_fmas_f64 v[197:198], v[197:198], v[199:200], v[201:202]
	v_div_fixup_f64 v[197:198], v[197:198], v[195:196], v[193:194]
	v_fma_f64 v[193:194], v[193:194], v[197:198], v[195:196]
	v_div_scale_f64 v[195:196], null, v[193:194], v[193:194], 1.0
	v_rcp_f64_e32 v[199:200], v[195:196]
	v_fma_f64 v[201:202], -v[195:196], v[199:200], 1.0
	v_fma_f64 v[199:200], v[199:200], v[201:202], v[199:200]
	v_fma_f64 v[201:202], -v[195:196], v[199:200], 1.0
	v_fma_f64 v[199:200], v[199:200], v[201:202], v[199:200]
	v_div_scale_f64 v[201:202], vcc_lo, 1.0, v[193:194], 1.0
	v_mul_f64 v[203:204], v[201:202], v[199:200]
	v_fma_f64 v[195:196], -v[195:196], v[203:204], v[201:202]
	v_div_fmas_f64 v[195:196], v[195:196], v[199:200], v[203:204]
	v_div_fixup_f64 v[199:200], v[195:196], v[193:194], 1.0
                                        ; implicit-def: $vgpr193_vgpr194
	v_mul_f64 v[197:198], v[197:198], v[199:200]
	v_xor_b32_e32 v200, 0x80000000, v200
.LBB95_266:
	s_andn2_saveexec_b32 s1, s1
	s_cbranch_execz .LBB95_268
; %bb.267:
	v_div_scale_f64 v[197:198], null, v[193:194], v[193:194], v[195:196]
	v_div_scale_f64 v[203:204], vcc_lo, v[195:196], v[193:194], v[195:196]
	v_rcp_f64_e32 v[199:200], v[197:198]
	v_fma_f64 v[201:202], -v[197:198], v[199:200], 1.0
	v_fma_f64 v[199:200], v[199:200], v[201:202], v[199:200]
	v_fma_f64 v[201:202], -v[197:198], v[199:200], 1.0
	v_fma_f64 v[199:200], v[199:200], v[201:202], v[199:200]
	v_mul_f64 v[201:202], v[203:204], v[199:200]
	v_fma_f64 v[197:198], -v[197:198], v[201:202], v[203:204]
	v_div_fmas_f64 v[197:198], v[197:198], v[199:200], v[201:202]
	v_div_fixup_f64 v[199:200], v[197:198], v[193:194], v[195:196]
	v_fma_f64 v[193:194], v[195:196], v[199:200], v[193:194]
	v_div_scale_f64 v[195:196], null, v[193:194], v[193:194], 1.0
	v_rcp_f64_e32 v[197:198], v[195:196]
	v_fma_f64 v[201:202], -v[195:196], v[197:198], 1.0
	v_fma_f64 v[197:198], v[197:198], v[201:202], v[197:198]
	v_fma_f64 v[201:202], -v[195:196], v[197:198], 1.0
	v_fma_f64 v[197:198], v[197:198], v[201:202], v[197:198]
	v_div_scale_f64 v[201:202], vcc_lo, 1.0, v[193:194], 1.0
	v_mul_f64 v[203:204], v[201:202], v[197:198]
	v_fma_f64 v[195:196], -v[195:196], v[203:204], v[201:202]
	v_div_fmas_f64 v[195:196], v[195:196], v[197:198], v[203:204]
	v_div_fixup_f64 v[197:198], v[195:196], v[193:194], 1.0
	v_mul_f64 v[199:200], v[199:200], -v[197:198]
.LBB95_268:
	s_or_b32 exec_lo, exec_lo, s1
	ds_write2_b64 v255, v[197:198], v[199:200] offset1:1
.LBB95_269:
	s_or_b32 exec_lo, exec_lo, s2
	s_waitcnt lgkmcnt(0)
	s_barrier
	buffer_gl0_inv
	ds_read2_b64 v[193:196], v255 offset1:1
	s_mov_b32 s1, exec_lo
	s_waitcnt lgkmcnt(0)
	buffer_store_dword v193, off, s[16:19], 0 offset:672 ; 4-byte Folded Spill
	buffer_store_dword v194, off, s[16:19], 0 offset:676 ; 4-byte Folded Spill
	;; [unrolled: 1-line block ×4, first 2 shown]
	v_cmpx_lt_u32_e32 29, v0
	s_cbranch_execz .LBB95_271
; %bb.270:
	s_clause 0x3
	buffer_load_dword v195, off, s[16:19], 0 offset:672
	buffer_load_dword v196, off, s[16:19], 0 offset:676
	;; [unrolled: 1-line block ×4, first 2 shown]
	s_waitcnt vmcnt(0)
	v_mul_f64 v[193:194], v[197:198], v[75:76]
	v_mul_f64 v[75:76], v[195:196], v[75:76]
	v_fma_f64 v[193:194], v[195:196], v[73:74], -v[193:194]
	v_fma_f64 v[75:76], v[197:198], v[73:74], v[75:76]
	ds_read2_b64 v[195:198], v253 offset0:60 offset1:61
	s_waitcnt lgkmcnt(0)
	v_mul_f64 v[73:74], v[197:198], v[75:76]
	v_fma_f64 v[73:74], v[195:196], v[193:194], -v[73:74]
	v_mul_f64 v[195:196], v[195:196], v[75:76]
	v_add_f64 v[69:70], v[69:70], -v[73:74]
	v_fma_f64 v[195:196], v[197:198], v[193:194], v[195:196]
	v_add_f64 v[71:72], v[71:72], -v[195:196]
	ds_read2_b64 v[195:198], v253 offset0:62 offset1:63
	s_waitcnt lgkmcnt(0)
	v_mul_f64 v[73:74], v[197:198], v[75:76]
	v_fma_f64 v[73:74], v[195:196], v[193:194], -v[73:74]
	v_mul_f64 v[195:196], v[195:196], v[75:76]
	v_add_f64 v[65:66], v[65:66], -v[73:74]
	v_fma_f64 v[195:196], v[197:198], v[193:194], v[195:196]
	v_add_f64 v[67:68], v[67:68], -v[195:196]
	;; [unrolled: 8-line block ×17, first 2 shown]
	ds_read2_b64 v[195:198], v253 offset0:94 offset1:95
	s_waitcnt lgkmcnt(0)
	v_mul_f64 v[73:74], v[197:198], v[75:76]
	v_fma_f64 v[73:74], v[195:196], v[193:194], -v[73:74]
	v_mul_f64 v[195:196], v[195:196], v[75:76]
	v_add_f64 v[1:2], v[1:2], -v[73:74]
	v_fma_f64 v[195:196], v[197:198], v[193:194], v[195:196]
	v_mov_b32_e32 v73, v193
	v_mov_b32_e32 v74, v194
	v_add_f64 v[3:4], v[3:4], -v[195:196]
.LBB95_271:
	s_or_b32 exec_lo, exec_lo, s1
	s_mov_b32 s2, exec_lo
	s_waitcnt_vscnt null, 0x0
	s_barrier
	buffer_gl0_inv
	v_cmpx_eq_u32_e32 30, v0
	s_cbranch_execz .LBB95_278
; %bb.272:
	ds_write2_b64 v255, v[69:70], v[71:72] offset1:1
	ds_write2_b64 v253, v[65:66], v[67:68] offset0:62 offset1:63
	ds_write2_b64 v253, v[61:62], v[63:64] offset0:64 offset1:65
	;; [unrolled: 1-line block ×17, first 2 shown]
	ds_read2_b64 v[193:196], v255 offset1:1
	s_waitcnt lgkmcnt(0)
	v_cmp_neq_f64_e32 vcc_lo, 0, v[193:194]
	v_cmp_neq_f64_e64 s1, 0, v[195:196]
	s_or_b32 s1, vcc_lo, s1
	s_and_b32 exec_lo, exec_lo, s1
	s_cbranch_execz .LBB95_278
; %bb.273:
	v_cmp_ngt_f64_e64 s1, |v[193:194]|, |v[195:196]|
                                        ; implicit-def: $vgpr197_vgpr198
	s_and_saveexec_b32 s3, s1
	s_xor_b32 s1, exec_lo, s3
                                        ; implicit-def: $vgpr199_vgpr200
	s_cbranch_execz .LBB95_275
; %bb.274:
	v_div_scale_f64 v[197:198], null, v[195:196], v[195:196], v[193:194]
	v_div_scale_f64 v[203:204], vcc_lo, v[193:194], v[195:196], v[193:194]
	v_rcp_f64_e32 v[199:200], v[197:198]
	v_fma_f64 v[201:202], -v[197:198], v[199:200], 1.0
	v_fma_f64 v[199:200], v[199:200], v[201:202], v[199:200]
	v_fma_f64 v[201:202], -v[197:198], v[199:200], 1.0
	v_fma_f64 v[199:200], v[199:200], v[201:202], v[199:200]
	v_mul_f64 v[201:202], v[203:204], v[199:200]
	v_fma_f64 v[197:198], -v[197:198], v[201:202], v[203:204]
	v_div_fmas_f64 v[197:198], v[197:198], v[199:200], v[201:202]
	v_div_fixup_f64 v[197:198], v[197:198], v[195:196], v[193:194]
	v_fma_f64 v[193:194], v[193:194], v[197:198], v[195:196]
	v_div_scale_f64 v[195:196], null, v[193:194], v[193:194], 1.0
	v_rcp_f64_e32 v[199:200], v[195:196]
	v_fma_f64 v[201:202], -v[195:196], v[199:200], 1.0
	v_fma_f64 v[199:200], v[199:200], v[201:202], v[199:200]
	v_fma_f64 v[201:202], -v[195:196], v[199:200], 1.0
	v_fma_f64 v[199:200], v[199:200], v[201:202], v[199:200]
	v_div_scale_f64 v[201:202], vcc_lo, 1.0, v[193:194], 1.0
	v_mul_f64 v[203:204], v[201:202], v[199:200]
	v_fma_f64 v[195:196], -v[195:196], v[203:204], v[201:202]
	v_div_fmas_f64 v[195:196], v[195:196], v[199:200], v[203:204]
	v_div_fixup_f64 v[199:200], v[195:196], v[193:194], 1.0
                                        ; implicit-def: $vgpr193_vgpr194
	v_mul_f64 v[197:198], v[197:198], v[199:200]
	v_xor_b32_e32 v200, 0x80000000, v200
.LBB95_275:
	s_andn2_saveexec_b32 s1, s1
	s_cbranch_execz .LBB95_277
; %bb.276:
	v_div_scale_f64 v[197:198], null, v[193:194], v[193:194], v[195:196]
	v_div_scale_f64 v[203:204], vcc_lo, v[195:196], v[193:194], v[195:196]
	v_rcp_f64_e32 v[199:200], v[197:198]
	v_fma_f64 v[201:202], -v[197:198], v[199:200], 1.0
	v_fma_f64 v[199:200], v[199:200], v[201:202], v[199:200]
	v_fma_f64 v[201:202], -v[197:198], v[199:200], 1.0
	v_fma_f64 v[199:200], v[199:200], v[201:202], v[199:200]
	v_mul_f64 v[201:202], v[203:204], v[199:200]
	v_fma_f64 v[197:198], -v[197:198], v[201:202], v[203:204]
	v_div_fmas_f64 v[197:198], v[197:198], v[199:200], v[201:202]
	v_div_fixup_f64 v[199:200], v[197:198], v[193:194], v[195:196]
	v_fma_f64 v[193:194], v[195:196], v[199:200], v[193:194]
	v_div_scale_f64 v[195:196], null, v[193:194], v[193:194], 1.0
	v_rcp_f64_e32 v[197:198], v[195:196]
	v_fma_f64 v[201:202], -v[195:196], v[197:198], 1.0
	v_fma_f64 v[197:198], v[197:198], v[201:202], v[197:198]
	v_fma_f64 v[201:202], -v[195:196], v[197:198], 1.0
	v_fma_f64 v[197:198], v[197:198], v[201:202], v[197:198]
	v_div_scale_f64 v[201:202], vcc_lo, 1.0, v[193:194], 1.0
	v_mul_f64 v[203:204], v[201:202], v[197:198]
	v_fma_f64 v[195:196], -v[195:196], v[203:204], v[201:202]
	v_div_fmas_f64 v[195:196], v[195:196], v[197:198], v[203:204]
	v_div_fixup_f64 v[197:198], v[195:196], v[193:194], 1.0
	v_mul_f64 v[199:200], v[199:200], -v[197:198]
.LBB95_277:
	s_or_b32 exec_lo, exec_lo, s1
	ds_write2_b64 v255, v[197:198], v[199:200] offset1:1
.LBB95_278:
	s_or_b32 exec_lo, exec_lo, s2
	s_waitcnt lgkmcnt(0)
	s_barrier
	buffer_gl0_inv
	ds_read2_b64 v[193:196], v255 offset1:1
	s_mov_b32 s1, exec_lo
	s_waitcnt lgkmcnt(0)
	buffer_store_dword v193, off, s[16:19], 0 offset:688 ; 4-byte Folded Spill
	buffer_store_dword v194, off, s[16:19], 0 offset:692 ; 4-byte Folded Spill
	buffer_store_dword v195, off, s[16:19], 0 offset:696 ; 4-byte Folded Spill
	buffer_store_dword v196, off, s[16:19], 0 offset:700 ; 4-byte Folded Spill
	v_cmpx_lt_u32_e32 30, v0
	s_cbranch_execz .LBB95_280
; %bb.279:
	s_clause 0x3
	buffer_load_dword v195, off, s[16:19], 0 offset:688
	buffer_load_dword v196, off, s[16:19], 0 offset:692
	;; [unrolled: 1-line block ×4, first 2 shown]
	s_waitcnt vmcnt(0)
	v_mul_f64 v[193:194], v[197:198], v[71:72]
	v_mul_f64 v[71:72], v[195:196], v[71:72]
	v_fma_f64 v[193:194], v[195:196], v[69:70], -v[193:194]
	v_fma_f64 v[71:72], v[197:198], v[69:70], v[71:72]
	ds_read2_b64 v[195:198], v253 offset0:62 offset1:63
	s_waitcnt lgkmcnt(0)
	v_mul_f64 v[69:70], v[197:198], v[71:72]
	v_fma_f64 v[69:70], v[195:196], v[193:194], -v[69:70]
	v_mul_f64 v[195:196], v[195:196], v[71:72]
	v_add_f64 v[65:66], v[65:66], -v[69:70]
	v_fma_f64 v[195:196], v[197:198], v[193:194], v[195:196]
	v_add_f64 v[67:68], v[67:68], -v[195:196]
	ds_read2_b64 v[195:198], v253 offset0:64 offset1:65
	s_waitcnt lgkmcnt(0)
	v_mul_f64 v[69:70], v[197:198], v[71:72]
	v_fma_f64 v[69:70], v[195:196], v[193:194], -v[69:70]
	v_mul_f64 v[195:196], v[195:196], v[71:72]
	v_add_f64 v[61:62], v[61:62], -v[69:70]
	v_fma_f64 v[195:196], v[197:198], v[193:194], v[195:196]
	v_add_f64 v[63:64], v[63:64], -v[195:196]
	ds_read2_b64 v[195:198], v253 offset0:66 offset1:67
	s_waitcnt lgkmcnt(0)
	v_mul_f64 v[69:70], v[197:198], v[71:72]
	v_fma_f64 v[69:70], v[195:196], v[193:194], -v[69:70]
	v_mul_f64 v[195:196], v[195:196], v[71:72]
	v_add_f64 v[57:58], v[57:58], -v[69:70]
	v_fma_f64 v[195:196], v[197:198], v[193:194], v[195:196]
	v_add_f64 v[59:60], v[59:60], -v[195:196]
	ds_read2_b64 v[195:198], v253 offset0:68 offset1:69
	s_waitcnt lgkmcnt(0)
	v_mul_f64 v[69:70], v[197:198], v[71:72]
	v_fma_f64 v[69:70], v[195:196], v[193:194], -v[69:70]
	v_mul_f64 v[195:196], v[195:196], v[71:72]
	v_add_f64 v[53:54], v[53:54], -v[69:70]
	v_fma_f64 v[195:196], v[197:198], v[193:194], v[195:196]
	v_add_f64 v[55:56], v[55:56], -v[195:196]
	ds_read2_b64 v[195:198], v253 offset0:70 offset1:71
	s_waitcnt lgkmcnt(0)
	v_mul_f64 v[69:70], v[197:198], v[71:72]
	v_fma_f64 v[69:70], v[195:196], v[193:194], -v[69:70]
	v_mul_f64 v[195:196], v[195:196], v[71:72]
	v_add_f64 v[49:50], v[49:50], -v[69:70]
	v_fma_f64 v[195:196], v[197:198], v[193:194], v[195:196]
	v_add_f64 v[51:52], v[51:52], -v[195:196]
	ds_read2_b64 v[195:198], v253 offset0:72 offset1:73
	s_waitcnt lgkmcnt(0)
	v_mul_f64 v[69:70], v[197:198], v[71:72]
	v_fma_f64 v[69:70], v[195:196], v[193:194], -v[69:70]
	v_mul_f64 v[195:196], v[195:196], v[71:72]
	v_add_f64 v[45:46], v[45:46], -v[69:70]
	v_fma_f64 v[195:196], v[197:198], v[193:194], v[195:196]
	v_add_f64 v[47:48], v[47:48], -v[195:196]
	ds_read2_b64 v[195:198], v253 offset0:74 offset1:75
	s_waitcnt lgkmcnt(0)
	v_mul_f64 v[69:70], v[197:198], v[71:72]
	v_fma_f64 v[69:70], v[195:196], v[193:194], -v[69:70]
	v_mul_f64 v[195:196], v[195:196], v[71:72]
	v_add_f64 v[41:42], v[41:42], -v[69:70]
	v_fma_f64 v[195:196], v[197:198], v[193:194], v[195:196]
	v_add_f64 v[43:44], v[43:44], -v[195:196]
	ds_read2_b64 v[195:198], v253 offset0:76 offset1:77
	s_waitcnt lgkmcnt(0)
	v_mul_f64 v[69:70], v[197:198], v[71:72]
	v_fma_f64 v[69:70], v[195:196], v[193:194], -v[69:70]
	v_mul_f64 v[195:196], v[195:196], v[71:72]
	v_add_f64 v[37:38], v[37:38], -v[69:70]
	v_fma_f64 v[195:196], v[197:198], v[193:194], v[195:196]
	v_add_f64 v[39:40], v[39:40], -v[195:196]
	ds_read2_b64 v[195:198], v253 offset0:78 offset1:79
	s_waitcnt lgkmcnt(0)
	v_mul_f64 v[69:70], v[197:198], v[71:72]
	v_fma_f64 v[69:70], v[195:196], v[193:194], -v[69:70]
	v_mul_f64 v[195:196], v[195:196], v[71:72]
	v_add_f64 v[33:34], v[33:34], -v[69:70]
	v_fma_f64 v[195:196], v[197:198], v[193:194], v[195:196]
	v_add_f64 v[35:36], v[35:36], -v[195:196]
	ds_read2_b64 v[195:198], v253 offset0:80 offset1:81
	s_waitcnt lgkmcnt(0)
	v_mul_f64 v[69:70], v[197:198], v[71:72]
	v_fma_f64 v[69:70], v[195:196], v[193:194], -v[69:70]
	v_mul_f64 v[195:196], v[195:196], v[71:72]
	v_add_f64 v[29:30], v[29:30], -v[69:70]
	v_fma_f64 v[195:196], v[197:198], v[193:194], v[195:196]
	v_add_f64 v[31:32], v[31:32], -v[195:196]
	ds_read2_b64 v[195:198], v253 offset0:82 offset1:83
	s_waitcnt lgkmcnt(0)
	v_mul_f64 v[69:70], v[197:198], v[71:72]
	v_fma_f64 v[69:70], v[195:196], v[193:194], -v[69:70]
	v_mul_f64 v[195:196], v[195:196], v[71:72]
	v_add_f64 v[25:26], v[25:26], -v[69:70]
	v_fma_f64 v[195:196], v[197:198], v[193:194], v[195:196]
	v_add_f64 v[27:28], v[27:28], -v[195:196]
	ds_read2_b64 v[195:198], v253 offset0:84 offset1:85
	s_waitcnt lgkmcnt(0)
	v_mul_f64 v[69:70], v[197:198], v[71:72]
	v_fma_f64 v[69:70], v[195:196], v[193:194], -v[69:70]
	v_mul_f64 v[195:196], v[195:196], v[71:72]
	v_add_f64 v[21:22], v[21:22], -v[69:70]
	v_fma_f64 v[195:196], v[197:198], v[193:194], v[195:196]
	v_add_f64 v[23:24], v[23:24], -v[195:196]
	ds_read2_b64 v[195:198], v253 offset0:86 offset1:87
	s_waitcnt lgkmcnt(0)
	v_mul_f64 v[69:70], v[197:198], v[71:72]
	v_fma_f64 v[69:70], v[195:196], v[193:194], -v[69:70]
	v_mul_f64 v[195:196], v[195:196], v[71:72]
	v_add_f64 v[17:18], v[17:18], -v[69:70]
	v_fma_f64 v[195:196], v[197:198], v[193:194], v[195:196]
	v_add_f64 v[19:20], v[19:20], -v[195:196]
	ds_read2_b64 v[195:198], v253 offset0:88 offset1:89
	s_waitcnt lgkmcnt(0)
	v_mul_f64 v[69:70], v[197:198], v[71:72]
	v_fma_f64 v[69:70], v[195:196], v[193:194], -v[69:70]
	v_mul_f64 v[195:196], v[195:196], v[71:72]
	v_add_f64 v[13:14], v[13:14], -v[69:70]
	v_fma_f64 v[195:196], v[197:198], v[193:194], v[195:196]
	v_add_f64 v[15:16], v[15:16], -v[195:196]
	ds_read2_b64 v[195:198], v253 offset0:90 offset1:91
	s_waitcnt lgkmcnt(0)
	v_mul_f64 v[69:70], v[197:198], v[71:72]
	v_fma_f64 v[69:70], v[195:196], v[193:194], -v[69:70]
	v_mul_f64 v[195:196], v[195:196], v[71:72]
	v_add_f64 v[9:10], v[9:10], -v[69:70]
	v_fma_f64 v[195:196], v[197:198], v[193:194], v[195:196]
	v_add_f64 v[11:12], v[11:12], -v[195:196]
	ds_read2_b64 v[195:198], v253 offset0:92 offset1:93
	s_waitcnt lgkmcnt(0)
	v_mul_f64 v[69:70], v[197:198], v[71:72]
	v_fma_f64 v[69:70], v[195:196], v[193:194], -v[69:70]
	v_mul_f64 v[195:196], v[195:196], v[71:72]
	v_add_f64 v[5:6], v[5:6], -v[69:70]
	v_fma_f64 v[195:196], v[197:198], v[193:194], v[195:196]
	v_add_f64 v[7:8], v[7:8], -v[195:196]
	ds_read2_b64 v[195:198], v253 offset0:94 offset1:95
	s_waitcnt lgkmcnt(0)
	v_mul_f64 v[69:70], v[197:198], v[71:72]
	v_fma_f64 v[69:70], v[195:196], v[193:194], -v[69:70]
	v_mul_f64 v[195:196], v[195:196], v[71:72]
	v_add_f64 v[1:2], v[1:2], -v[69:70]
	v_fma_f64 v[195:196], v[197:198], v[193:194], v[195:196]
	v_mov_b32_e32 v69, v193
	v_mov_b32_e32 v70, v194
	v_add_f64 v[3:4], v[3:4], -v[195:196]
.LBB95_280:
	s_or_b32 exec_lo, exec_lo, s1
	s_mov_b32 s2, exec_lo
	s_waitcnt_vscnt null, 0x0
	s_barrier
	buffer_gl0_inv
	v_cmpx_eq_u32_e32 31, v0
	s_cbranch_execz .LBB95_287
; %bb.281:
	ds_write2_b64 v255, v[65:66], v[67:68] offset1:1
	ds_write2_b64 v253, v[61:62], v[63:64] offset0:64 offset1:65
	ds_write2_b64 v253, v[57:58], v[59:60] offset0:66 offset1:67
	;; [unrolled: 1-line block ×16, first 2 shown]
	ds_read2_b64 v[193:196], v255 offset1:1
	s_waitcnt lgkmcnt(0)
	v_cmp_neq_f64_e32 vcc_lo, 0, v[193:194]
	v_cmp_neq_f64_e64 s1, 0, v[195:196]
	s_or_b32 s1, vcc_lo, s1
	s_and_b32 exec_lo, exec_lo, s1
	s_cbranch_execz .LBB95_287
; %bb.282:
	v_cmp_ngt_f64_e64 s1, |v[193:194]|, |v[195:196]|
                                        ; implicit-def: $vgpr197_vgpr198
	s_and_saveexec_b32 s3, s1
	s_xor_b32 s1, exec_lo, s3
                                        ; implicit-def: $vgpr199_vgpr200
	s_cbranch_execz .LBB95_284
; %bb.283:
	v_div_scale_f64 v[197:198], null, v[195:196], v[195:196], v[193:194]
	v_div_scale_f64 v[203:204], vcc_lo, v[193:194], v[195:196], v[193:194]
	v_rcp_f64_e32 v[199:200], v[197:198]
	v_fma_f64 v[201:202], -v[197:198], v[199:200], 1.0
	v_fma_f64 v[199:200], v[199:200], v[201:202], v[199:200]
	v_fma_f64 v[201:202], -v[197:198], v[199:200], 1.0
	v_fma_f64 v[199:200], v[199:200], v[201:202], v[199:200]
	v_mul_f64 v[201:202], v[203:204], v[199:200]
	v_fma_f64 v[197:198], -v[197:198], v[201:202], v[203:204]
	v_div_fmas_f64 v[197:198], v[197:198], v[199:200], v[201:202]
	v_div_fixup_f64 v[197:198], v[197:198], v[195:196], v[193:194]
	v_fma_f64 v[193:194], v[193:194], v[197:198], v[195:196]
	v_div_scale_f64 v[195:196], null, v[193:194], v[193:194], 1.0
	v_rcp_f64_e32 v[199:200], v[195:196]
	v_fma_f64 v[201:202], -v[195:196], v[199:200], 1.0
	v_fma_f64 v[199:200], v[199:200], v[201:202], v[199:200]
	v_fma_f64 v[201:202], -v[195:196], v[199:200], 1.0
	v_fma_f64 v[199:200], v[199:200], v[201:202], v[199:200]
	v_div_scale_f64 v[201:202], vcc_lo, 1.0, v[193:194], 1.0
	v_mul_f64 v[203:204], v[201:202], v[199:200]
	v_fma_f64 v[195:196], -v[195:196], v[203:204], v[201:202]
	v_div_fmas_f64 v[195:196], v[195:196], v[199:200], v[203:204]
	v_div_fixup_f64 v[199:200], v[195:196], v[193:194], 1.0
                                        ; implicit-def: $vgpr193_vgpr194
	v_mul_f64 v[197:198], v[197:198], v[199:200]
	v_xor_b32_e32 v200, 0x80000000, v200
.LBB95_284:
	s_andn2_saveexec_b32 s1, s1
	s_cbranch_execz .LBB95_286
; %bb.285:
	v_div_scale_f64 v[197:198], null, v[193:194], v[193:194], v[195:196]
	v_div_scale_f64 v[203:204], vcc_lo, v[195:196], v[193:194], v[195:196]
	v_rcp_f64_e32 v[199:200], v[197:198]
	v_fma_f64 v[201:202], -v[197:198], v[199:200], 1.0
	v_fma_f64 v[199:200], v[199:200], v[201:202], v[199:200]
	v_fma_f64 v[201:202], -v[197:198], v[199:200], 1.0
	v_fma_f64 v[199:200], v[199:200], v[201:202], v[199:200]
	v_mul_f64 v[201:202], v[203:204], v[199:200]
	v_fma_f64 v[197:198], -v[197:198], v[201:202], v[203:204]
	v_div_fmas_f64 v[197:198], v[197:198], v[199:200], v[201:202]
	v_div_fixup_f64 v[199:200], v[197:198], v[193:194], v[195:196]
	v_fma_f64 v[193:194], v[195:196], v[199:200], v[193:194]
	v_div_scale_f64 v[195:196], null, v[193:194], v[193:194], 1.0
	v_rcp_f64_e32 v[197:198], v[195:196]
	v_fma_f64 v[201:202], -v[195:196], v[197:198], 1.0
	v_fma_f64 v[197:198], v[197:198], v[201:202], v[197:198]
	v_fma_f64 v[201:202], -v[195:196], v[197:198], 1.0
	v_fma_f64 v[197:198], v[197:198], v[201:202], v[197:198]
	v_div_scale_f64 v[201:202], vcc_lo, 1.0, v[193:194], 1.0
	v_mul_f64 v[203:204], v[201:202], v[197:198]
	v_fma_f64 v[195:196], -v[195:196], v[203:204], v[201:202]
	v_div_fmas_f64 v[195:196], v[195:196], v[197:198], v[203:204]
	v_div_fixup_f64 v[197:198], v[195:196], v[193:194], 1.0
	v_mul_f64 v[199:200], v[199:200], -v[197:198]
.LBB95_286:
	s_or_b32 exec_lo, exec_lo, s1
	ds_write2_b64 v255, v[197:198], v[199:200] offset1:1
.LBB95_287:
	s_or_b32 exec_lo, exec_lo, s2
	s_waitcnt lgkmcnt(0)
	s_barrier
	buffer_gl0_inv
	ds_read2_b64 v[193:196], v255 offset1:1
	s_mov_b32 s1, exec_lo
	s_waitcnt lgkmcnt(0)
	buffer_store_dword v193, off, s[16:19], 0 offset:704 ; 4-byte Folded Spill
	buffer_store_dword v194, off, s[16:19], 0 offset:708 ; 4-byte Folded Spill
	;; [unrolled: 1-line block ×4, first 2 shown]
	v_cmpx_lt_u32_e32 31, v0
	s_cbranch_execz .LBB95_289
; %bb.288:
	s_clause 0x3
	buffer_load_dword v195, off, s[16:19], 0 offset:704
	buffer_load_dword v196, off, s[16:19], 0 offset:708
	;; [unrolled: 1-line block ×4, first 2 shown]
	s_waitcnt vmcnt(2)
	v_mul_f64 v[193:194], v[195:196], v[67:68]
	s_waitcnt vmcnt(0)
	v_mul_f64 v[67:68], v[197:198], v[67:68]
	v_fma_f64 v[193:194], v[197:198], v[65:66], v[193:194]
	v_fma_f64 v[65:66], v[195:196], v[65:66], -v[67:68]
	ds_read2_b64 v[195:198], v253 offset0:64 offset1:65
	s_waitcnt lgkmcnt(0)
	v_mul_f64 v[67:68], v[197:198], v[193:194]
	v_fma_f64 v[67:68], v[195:196], v[65:66], -v[67:68]
	v_mul_f64 v[195:196], v[195:196], v[193:194]
	v_add_f64 v[61:62], v[61:62], -v[67:68]
	v_fma_f64 v[195:196], v[197:198], v[65:66], v[195:196]
	v_add_f64 v[63:64], v[63:64], -v[195:196]
	ds_read2_b64 v[195:198], v253 offset0:66 offset1:67
	s_waitcnt lgkmcnt(0)
	v_mul_f64 v[67:68], v[197:198], v[193:194]
	v_fma_f64 v[67:68], v[195:196], v[65:66], -v[67:68]
	v_mul_f64 v[195:196], v[195:196], v[193:194]
	v_add_f64 v[57:58], v[57:58], -v[67:68]
	v_fma_f64 v[195:196], v[197:198], v[65:66], v[195:196]
	v_add_f64 v[59:60], v[59:60], -v[195:196]
	;; [unrolled: 8-line block ×15, first 2 shown]
	ds_read2_b64 v[195:198], v253 offset0:94 offset1:95
	s_waitcnt lgkmcnt(0)
	v_mul_f64 v[67:68], v[197:198], v[193:194]
	v_fma_f64 v[67:68], v[195:196], v[65:66], -v[67:68]
	v_mul_f64 v[195:196], v[195:196], v[193:194]
	v_add_f64 v[1:2], v[1:2], -v[67:68]
	v_fma_f64 v[195:196], v[197:198], v[65:66], v[195:196]
	v_mov_b32_e32 v67, v193
	v_mov_b32_e32 v68, v194
	v_add_f64 v[3:4], v[3:4], -v[195:196]
.LBB95_289:
	s_or_b32 exec_lo, exec_lo, s1
	s_mov_b32 s2, exec_lo
	s_waitcnt_vscnt null, 0x0
	s_barrier
	buffer_gl0_inv
	v_cmpx_eq_u32_e32 32, v0
	s_cbranch_execz .LBB95_296
; %bb.290:
	ds_write2_b64 v255, v[61:62], v[63:64] offset1:1
	ds_write2_b64 v253, v[57:58], v[59:60] offset0:66 offset1:67
	ds_write2_b64 v253, v[53:54], v[55:56] offset0:68 offset1:69
	;; [unrolled: 1-line block ×15, first 2 shown]
	ds_read2_b64 v[193:196], v255 offset1:1
	s_waitcnt lgkmcnt(0)
	v_cmp_neq_f64_e32 vcc_lo, 0, v[193:194]
	v_cmp_neq_f64_e64 s1, 0, v[195:196]
	s_or_b32 s1, vcc_lo, s1
	s_and_b32 exec_lo, exec_lo, s1
	s_cbranch_execz .LBB95_296
; %bb.291:
	v_cmp_ngt_f64_e64 s1, |v[193:194]|, |v[195:196]|
                                        ; implicit-def: $vgpr197_vgpr198
	s_and_saveexec_b32 s3, s1
	s_xor_b32 s1, exec_lo, s3
                                        ; implicit-def: $vgpr199_vgpr200
	s_cbranch_execz .LBB95_293
; %bb.292:
	v_div_scale_f64 v[197:198], null, v[195:196], v[195:196], v[193:194]
	v_div_scale_f64 v[203:204], vcc_lo, v[193:194], v[195:196], v[193:194]
	v_rcp_f64_e32 v[199:200], v[197:198]
	v_fma_f64 v[201:202], -v[197:198], v[199:200], 1.0
	v_fma_f64 v[199:200], v[199:200], v[201:202], v[199:200]
	v_fma_f64 v[201:202], -v[197:198], v[199:200], 1.0
	v_fma_f64 v[199:200], v[199:200], v[201:202], v[199:200]
	v_mul_f64 v[201:202], v[203:204], v[199:200]
	v_fma_f64 v[197:198], -v[197:198], v[201:202], v[203:204]
	v_div_fmas_f64 v[197:198], v[197:198], v[199:200], v[201:202]
	v_div_fixup_f64 v[197:198], v[197:198], v[195:196], v[193:194]
	v_fma_f64 v[193:194], v[193:194], v[197:198], v[195:196]
	v_div_scale_f64 v[195:196], null, v[193:194], v[193:194], 1.0
	v_rcp_f64_e32 v[199:200], v[195:196]
	v_fma_f64 v[201:202], -v[195:196], v[199:200], 1.0
	v_fma_f64 v[199:200], v[199:200], v[201:202], v[199:200]
	v_fma_f64 v[201:202], -v[195:196], v[199:200], 1.0
	v_fma_f64 v[199:200], v[199:200], v[201:202], v[199:200]
	v_div_scale_f64 v[201:202], vcc_lo, 1.0, v[193:194], 1.0
	v_mul_f64 v[203:204], v[201:202], v[199:200]
	v_fma_f64 v[195:196], -v[195:196], v[203:204], v[201:202]
	v_div_fmas_f64 v[195:196], v[195:196], v[199:200], v[203:204]
	v_div_fixup_f64 v[199:200], v[195:196], v[193:194], 1.0
                                        ; implicit-def: $vgpr193_vgpr194
	v_mul_f64 v[197:198], v[197:198], v[199:200]
	v_xor_b32_e32 v200, 0x80000000, v200
.LBB95_293:
	s_andn2_saveexec_b32 s1, s1
	s_cbranch_execz .LBB95_295
; %bb.294:
	v_div_scale_f64 v[197:198], null, v[193:194], v[193:194], v[195:196]
	v_div_scale_f64 v[203:204], vcc_lo, v[195:196], v[193:194], v[195:196]
	v_rcp_f64_e32 v[199:200], v[197:198]
	v_fma_f64 v[201:202], -v[197:198], v[199:200], 1.0
	v_fma_f64 v[199:200], v[199:200], v[201:202], v[199:200]
	v_fma_f64 v[201:202], -v[197:198], v[199:200], 1.0
	v_fma_f64 v[199:200], v[199:200], v[201:202], v[199:200]
	v_mul_f64 v[201:202], v[203:204], v[199:200]
	v_fma_f64 v[197:198], -v[197:198], v[201:202], v[203:204]
	v_div_fmas_f64 v[197:198], v[197:198], v[199:200], v[201:202]
	v_div_fixup_f64 v[199:200], v[197:198], v[193:194], v[195:196]
	v_fma_f64 v[193:194], v[195:196], v[199:200], v[193:194]
	v_div_scale_f64 v[195:196], null, v[193:194], v[193:194], 1.0
	v_rcp_f64_e32 v[197:198], v[195:196]
	v_fma_f64 v[201:202], -v[195:196], v[197:198], 1.0
	v_fma_f64 v[197:198], v[197:198], v[201:202], v[197:198]
	v_fma_f64 v[201:202], -v[195:196], v[197:198], 1.0
	v_fma_f64 v[197:198], v[197:198], v[201:202], v[197:198]
	v_div_scale_f64 v[201:202], vcc_lo, 1.0, v[193:194], 1.0
	v_mul_f64 v[203:204], v[201:202], v[197:198]
	v_fma_f64 v[195:196], -v[195:196], v[203:204], v[201:202]
	v_div_fmas_f64 v[195:196], v[195:196], v[197:198], v[203:204]
	v_div_fixup_f64 v[197:198], v[195:196], v[193:194], 1.0
	v_mul_f64 v[199:200], v[199:200], -v[197:198]
.LBB95_295:
	s_or_b32 exec_lo, exec_lo, s1
	ds_write2_b64 v255, v[197:198], v[199:200] offset1:1
.LBB95_296:
	s_or_b32 exec_lo, exec_lo, s2
	s_waitcnt lgkmcnt(0)
	s_barrier
	buffer_gl0_inv
	ds_read2_b64 v[193:196], v255 offset1:1
	s_mov_b32 s1, exec_lo
	s_waitcnt lgkmcnt(0)
	buffer_store_dword v193, off, s[16:19], 0 offset:720 ; 4-byte Folded Spill
	buffer_store_dword v194, off, s[16:19], 0 offset:724 ; 4-byte Folded Spill
	;; [unrolled: 1-line block ×4, first 2 shown]
	v_cmpx_lt_u32_e32 32, v0
	s_cbranch_execz .LBB95_298
; %bb.297:
	s_clause 0x3
	buffer_load_dword v195, off, s[16:19], 0 offset:720
	buffer_load_dword v196, off, s[16:19], 0 offset:724
	;; [unrolled: 1-line block ×4, first 2 shown]
	s_waitcnt vmcnt(2)
	v_mul_f64 v[193:194], v[195:196], v[63:64]
	s_waitcnt vmcnt(0)
	v_mul_f64 v[63:64], v[197:198], v[63:64]
	v_fma_f64 v[193:194], v[197:198], v[61:62], v[193:194]
	v_fma_f64 v[61:62], v[195:196], v[61:62], -v[63:64]
	ds_read2_b64 v[195:198], v253 offset0:66 offset1:67
	s_waitcnt lgkmcnt(0)
	v_mul_f64 v[63:64], v[197:198], v[193:194]
	v_fma_f64 v[63:64], v[195:196], v[61:62], -v[63:64]
	v_mul_f64 v[195:196], v[195:196], v[193:194]
	v_add_f64 v[57:58], v[57:58], -v[63:64]
	v_fma_f64 v[195:196], v[197:198], v[61:62], v[195:196]
	v_add_f64 v[59:60], v[59:60], -v[195:196]
	ds_read2_b64 v[195:198], v253 offset0:68 offset1:69
	s_waitcnt lgkmcnt(0)
	v_mul_f64 v[63:64], v[197:198], v[193:194]
	v_fma_f64 v[63:64], v[195:196], v[61:62], -v[63:64]
	v_mul_f64 v[195:196], v[195:196], v[193:194]
	v_add_f64 v[53:54], v[53:54], -v[63:64]
	v_fma_f64 v[195:196], v[197:198], v[61:62], v[195:196]
	v_add_f64 v[55:56], v[55:56], -v[195:196]
	;; [unrolled: 8-line block ×14, first 2 shown]
	ds_read2_b64 v[195:198], v253 offset0:94 offset1:95
	s_waitcnt lgkmcnt(0)
	v_mul_f64 v[63:64], v[197:198], v[193:194]
	v_fma_f64 v[63:64], v[195:196], v[61:62], -v[63:64]
	v_mul_f64 v[195:196], v[195:196], v[193:194]
	v_add_f64 v[1:2], v[1:2], -v[63:64]
	v_fma_f64 v[195:196], v[197:198], v[61:62], v[195:196]
	v_mov_b32_e32 v63, v193
	v_mov_b32_e32 v64, v194
	v_add_f64 v[3:4], v[3:4], -v[195:196]
.LBB95_298:
	s_or_b32 exec_lo, exec_lo, s1
	s_mov_b32 s2, exec_lo
	s_waitcnt_vscnt null, 0x0
	s_barrier
	buffer_gl0_inv
	v_cmpx_eq_u32_e32 33, v0
	s_cbranch_execz .LBB95_305
; %bb.299:
	ds_write2_b64 v255, v[57:58], v[59:60] offset1:1
	ds_write2_b64 v253, v[53:54], v[55:56] offset0:68 offset1:69
	ds_write2_b64 v253, v[49:50], v[51:52] offset0:70 offset1:71
	;; [unrolled: 1-line block ×14, first 2 shown]
	ds_read2_b64 v[193:196], v255 offset1:1
	s_waitcnt lgkmcnt(0)
	v_cmp_neq_f64_e32 vcc_lo, 0, v[193:194]
	v_cmp_neq_f64_e64 s1, 0, v[195:196]
	s_or_b32 s1, vcc_lo, s1
	s_and_b32 exec_lo, exec_lo, s1
	s_cbranch_execz .LBB95_305
; %bb.300:
	v_cmp_ngt_f64_e64 s1, |v[193:194]|, |v[195:196]|
                                        ; implicit-def: $vgpr197_vgpr198
	s_and_saveexec_b32 s3, s1
	s_xor_b32 s1, exec_lo, s3
                                        ; implicit-def: $vgpr199_vgpr200
	s_cbranch_execz .LBB95_302
; %bb.301:
	v_div_scale_f64 v[197:198], null, v[195:196], v[195:196], v[193:194]
	v_div_scale_f64 v[203:204], vcc_lo, v[193:194], v[195:196], v[193:194]
	v_rcp_f64_e32 v[199:200], v[197:198]
	v_fma_f64 v[201:202], -v[197:198], v[199:200], 1.0
	v_fma_f64 v[199:200], v[199:200], v[201:202], v[199:200]
	v_fma_f64 v[201:202], -v[197:198], v[199:200], 1.0
	v_fma_f64 v[199:200], v[199:200], v[201:202], v[199:200]
	v_mul_f64 v[201:202], v[203:204], v[199:200]
	v_fma_f64 v[197:198], -v[197:198], v[201:202], v[203:204]
	v_div_fmas_f64 v[197:198], v[197:198], v[199:200], v[201:202]
	v_div_fixup_f64 v[197:198], v[197:198], v[195:196], v[193:194]
	v_fma_f64 v[193:194], v[193:194], v[197:198], v[195:196]
	v_div_scale_f64 v[195:196], null, v[193:194], v[193:194], 1.0
	v_rcp_f64_e32 v[199:200], v[195:196]
	v_fma_f64 v[201:202], -v[195:196], v[199:200], 1.0
	v_fma_f64 v[199:200], v[199:200], v[201:202], v[199:200]
	v_fma_f64 v[201:202], -v[195:196], v[199:200], 1.0
	v_fma_f64 v[199:200], v[199:200], v[201:202], v[199:200]
	v_div_scale_f64 v[201:202], vcc_lo, 1.0, v[193:194], 1.0
	v_mul_f64 v[203:204], v[201:202], v[199:200]
	v_fma_f64 v[195:196], -v[195:196], v[203:204], v[201:202]
	v_div_fmas_f64 v[195:196], v[195:196], v[199:200], v[203:204]
	v_div_fixup_f64 v[199:200], v[195:196], v[193:194], 1.0
                                        ; implicit-def: $vgpr193_vgpr194
	v_mul_f64 v[197:198], v[197:198], v[199:200]
	v_xor_b32_e32 v200, 0x80000000, v200
.LBB95_302:
	s_andn2_saveexec_b32 s1, s1
	s_cbranch_execz .LBB95_304
; %bb.303:
	v_div_scale_f64 v[197:198], null, v[193:194], v[193:194], v[195:196]
	v_div_scale_f64 v[203:204], vcc_lo, v[195:196], v[193:194], v[195:196]
	v_rcp_f64_e32 v[199:200], v[197:198]
	v_fma_f64 v[201:202], -v[197:198], v[199:200], 1.0
	v_fma_f64 v[199:200], v[199:200], v[201:202], v[199:200]
	v_fma_f64 v[201:202], -v[197:198], v[199:200], 1.0
	v_fma_f64 v[199:200], v[199:200], v[201:202], v[199:200]
	v_mul_f64 v[201:202], v[203:204], v[199:200]
	v_fma_f64 v[197:198], -v[197:198], v[201:202], v[203:204]
	v_div_fmas_f64 v[197:198], v[197:198], v[199:200], v[201:202]
	v_div_fixup_f64 v[199:200], v[197:198], v[193:194], v[195:196]
	v_fma_f64 v[193:194], v[195:196], v[199:200], v[193:194]
	v_div_scale_f64 v[195:196], null, v[193:194], v[193:194], 1.0
	v_rcp_f64_e32 v[197:198], v[195:196]
	v_fma_f64 v[201:202], -v[195:196], v[197:198], 1.0
	v_fma_f64 v[197:198], v[197:198], v[201:202], v[197:198]
	v_fma_f64 v[201:202], -v[195:196], v[197:198], 1.0
	v_fma_f64 v[197:198], v[197:198], v[201:202], v[197:198]
	v_div_scale_f64 v[201:202], vcc_lo, 1.0, v[193:194], 1.0
	v_mul_f64 v[203:204], v[201:202], v[197:198]
	v_fma_f64 v[195:196], -v[195:196], v[203:204], v[201:202]
	v_div_fmas_f64 v[195:196], v[195:196], v[197:198], v[203:204]
	v_div_fixup_f64 v[197:198], v[195:196], v[193:194], 1.0
	v_mul_f64 v[199:200], v[199:200], -v[197:198]
.LBB95_304:
	s_or_b32 exec_lo, exec_lo, s1
	ds_write2_b64 v255, v[197:198], v[199:200] offset1:1
.LBB95_305:
	s_or_b32 exec_lo, exec_lo, s2
	s_waitcnt lgkmcnt(0)
	s_barrier
	buffer_gl0_inv
	ds_read2_b64 v[193:196], v255 offset1:1
	s_mov_b32 s1, exec_lo
	s_waitcnt lgkmcnt(0)
	buffer_store_dword v193, off, s[16:19], 0 offset:736 ; 4-byte Folded Spill
	buffer_store_dword v194, off, s[16:19], 0 offset:740 ; 4-byte Folded Spill
	;; [unrolled: 1-line block ×4, first 2 shown]
	v_cmpx_lt_u32_e32 33, v0
	s_cbranch_execz .LBB95_307
; %bb.306:
	s_clause 0x3
	buffer_load_dword v195, off, s[16:19], 0 offset:736
	buffer_load_dword v196, off, s[16:19], 0 offset:740
	buffer_load_dword v197, off, s[16:19], 0 offset:744
	buffer_load_dword v198, off, s[16:19], 0 offset:748
	s_waitcnt vmcnt(2)
	v_mul_f64 v[193:194], v[195:196], v[59:60]
	s_waitcnt vmcnt(0)
	v_mul_f64 v[59:60], v[197:198], v[59:60]
	v_fma_f64 v[193:194], v[197:198], v[57:58], v[193:194]
	v_fma_f64 v[57:58], v[195:196], v[57:58], -v[59:60]
	ds_read2_b64 v[195:198], v253 offset0:68 offset1:69
	s_waitcnt lgkmcnt(0)
	v_mul_f64 v[59:60], v[197:198], v[193:194]
	v_fma_f64 v[59:60], v[195:196], v[57:58], -v[59:60]
	v_mul_f64 v[195:196], v[195:196], v[193:194]
	v_add_f64 v[53:54], v[53:54], -v[59:60]
	v_fma_f64 v[195:196], v[197:198], v[57:58], v[195:196]
	v_add_f64 v[55:56], v[55:56], -v[195:196]
	ds_read2_b64 v[195:198], v253 offset0:70 offset1:71
	s_waitcnt lgkmcnt(0)
	v_mul_f64 v[59:60], v[197:198], v[193:194]
	v_fma_f64 v[59:60], v[195:196], v[57:58], -v[59:60]
	v_mul_f64 v[195:196], v[195:196], v[193:194]
	v_add_f64 v[49:50], v[49:50], -v[59:60]
	v_fma_f64 v[195:196], v[197:198], v[57:58], v[195:196]
	v_add_f64 v[51:52], v[51:52], -v[195:196]
	;; [unrolled: 8-line block ×13, first 2 shown]
	ds_read2_b64 v[195:198], v253 offset0:94 offset1:95
	s_waitcnt lgkmcnt(0)
	v_mul_f64 v[59:60], v[197:198], v[193:194]
	v_fma_f64 v[59:60], v[195:196], v[57:58], -v[59:60]
	v_mul_f64 v[195:196], v[195:196], v[193:194]
	v_add_f64 v[1:2], v[1:2], -v[59:60]
	v_fma_f64 v[195:196], v[197:198], v[57:58], v[195:196]
	v_mov_b32_e32 v59, v193
	v_mov_b32_e32 v60, v194
	v_add_f64 v[3:4], v[3:4], -v[195:196]
.LBB95_307:
	s_or_b32 exec_lo, exec_lo, s1
	s_mov_b32 s2, exec_lo
	s_waitcnt_vscnt null, 0x0
	s_barrier
	buffer_gl0_inv
	v_cmpx_eq_u32_e32 34, v0
	s_cbranch_execz .LBB95_314
; %bb.308:
	ds_write2_b64 v255, v[53:54], v[55:56] offset1:1
	ds_write2_b64 v253, v[49:50], v[51:52] offset0:70 offset1:71
	ds_write2_b64 v253, v[45:46], v[47:48] offset0:72 offset1:73
	;; [unrolled: 1-line block ×13, first 2 shown]
	ds_read2_b64 v[193:196], v255 offset1:1
	s_waitcnt lgkmcnt(0)
	v_cmp_neq_f64_e32 vcc_lo, 0, v[193:194]
	v_cmp_neq_f64_e64 s1, 0, v[195:196]
	s_or_b32 s1, vcc_lo, s1
	s_and_b32 exec_lo, exec_lo, s1
	s_cbranch_execz .LBB95_314
; %bb.309:
	v_cmp_ngt_f64_e64 s1, |v[193:194]|, |v[195:196]|
                                        ; implicit-def: $vgpr197_vgpr198
	s_and_saveexec_b32 s3, s1
	s_xor_b32 s1, exec_lo, s3
                                        ; implicit-def: $vgpr199_vgpr200
	s_cbranch_execz .LBB95_311
; %bb.310:
	v_div_scale_f64 v[197:198], null, v[195:196], v[195:196], v[193:194]
	v_div_scale_f64 v[203:204], vcc_lo, v[193:194], v[195:196], v[193:194]
	v_rcp_f64_e32 v[199:200], v[197:198]
	v_fma_f64 v[201:202], -v[197:198], v[199:200], 1.0
	v_fma_f64 v[199:200], v[199:200], v[201:202], v[199:200]
	v_fma_f64 v[201:202], -v[197:198], v[199:200], 1.0
	v_fma_f64 v[199:200], v[199:200], v[201:202], v[199:200]
	v_mul_f64 v[201:202], v[203:204], v[199:200]
	v_fma_f64 v[197:198], -v[197:198], v[201:202], v[203:204]
	v_div_fmas_f64 v[197:198], v[197:198], v[199:200], v[201:202]
	v_div_fixup_f64 v[197:198], v[197:198], v[195:196], v[193:194]
	v_fma_f64 v[193:194], v[193:194], v[197:198], v[195:196]
	v_div_scale_f64 v[195:196], null, v[193:194], v[193:194], 1.0
	v_rcp_f64_e32 v[199:200], v[195:196]
	v_fma_f64 v[201:202], -v[195:196], v[199:200], 1.0
	v_fma_f64 v[199:200], v[199:200], v[201:202], v[199:200]
	v_fma_f64 v[201:202], -v[195:196], v[199:200], 1.0
	v_fma_f64 v[199:200], v[199:200], v[201:202], v[199:200]
	v_div_scale_f64 v[201:202], vcc_lo, 1.0, v[193:194], 1.0
	v_mul_f64 v[203:204], v[201:202], v[199:200]
	v_fma_f64 v[195:196], -v[195:196], v[203:204], v[201:202]
	v_div_fmas_f64 v[195:196], v[195:196], v[199:200], v[203:204]
	v_div_fixup_f64 v[199:200], v[195:196], v[193:194], 1.0
                                        ; implicit-def: $vgpr193_vgpr194
	v_mul_f64 v[197:198], v[197:198], v[199:200]
	v_xor_b32_e32 v200, 0x80000000, v200
.LBB95_311:
	s_andn2_saveexec_b32 s1, s1
	s_cbranch_execz .LBB95_313
; %bb.312:
	v_div_scale_f64 v[197:198], null, v[193:194], v[193:194], v[195:196]
	v_div_scale_f64 v[203:204], vcc_lo, v[195:196], v[193:194], v[195:196]
	v_rcp_f64_e32 v[199:200], v[197:198]
	v_fma_f64 v[201:202], -v[197:198], v[199:200], 1.0
	v_fma_f64 v[199:200], v[199:200], v[201:202], v[199:200]
	v_fma_f64 v[201:202], -v[197:198], v[199:200], 1.0
	v_fma_f64 v[199:200], v[199:200], v[201:202], v[199:200]
	v_mul_f64 v[201:202], v[203:204], v[199:200]
	v_fma_f64 v[197:198], -v[197:198], v[201:202], v[203:204]
	v_div_fmas_f64 v[197:198], v[197:198], v[199:200], v[201:202]
	v_div_fixup_f64 v[199:200], v[197:198], v[193:194], v[195:196]
	v_fma_f64 v[193:194], v[195:196], v[199:200], v[193:194]
	v_div_scale_f64 v[195:196], null, v[193:194], v[193:194], 1.0
	v_rcp_f64_e32 v[197:198], v[195:196]
	v_fma_f64 v[201:202], -v[195:196], v[197:198], 1.0
	v_fma_f64 v[197:198], v[197:198], v[201:202], v[197:198]
	v_fma_f64 v[201:202], -v[195:196], v[197:198], 1.0
	v_fma_f64 v[197:198], v[197:198], v[201:202], v[197:198]
	v_div_scale_f64 v[201:202], vcc_lo, 1.0, v[193:194], 1.0
	v_mul_f64 v[203:204], v[201:202], v[197:198]
	v_fma_f64 v[195:196], -v[195:196], v[203:204], v[201:202]
	v_div_fmas_f64 v[195:196], v[195:196], v[197:198], v[203:204]
	v_div_fixup_f64 v[197:198], v[195:196], v[193:194], 1.0
	v_mul_f64 v[199:200], v[199:200], -v[197:198]
.LBB95_313:
	s_or_b32 exec_lo, exec_lo, s1
	ds_write2_b64 v255, v[197:198], v[199:200] offset1:1
.LBB95_314:
	s_or_b32 exec_lo, exec_lo, s2
	s_waitcnt lgkmcnt(0)
	s_barrier
	buffer_gl0_inv
	ds_read2_b64 v[193:196], v255 offset1:1
	s_mov_b32 s1, exec_lo
	s_waitcnt lgkmcnt(0)
	buffer_store_dword v193, off, s[16:19], 0 offset:752 ; 4-byte Folded Spill
	buffer_store_dword v194, off, s[16:19], 0 offset:756 ; 4-byte Folded Spill
	;; [unrolled: 1-line block ×4, first 2 shown]
	v_cmpx_lt_u32_e32 34, v0
	s_cbranch_execz .LBB95_316
; %bb.315:
	s_clause 0x3
	buffer_load_dword v195, off, s[16:19], 0 offset:752
	buffer_load_dword v196, off, s[16:19], 0 offset:756
	buffer_load_dword v197, off, s[16:19], 0 offset:760
	buffer_load_dword v198, off, s[16:19], 0 offset:764
	s_waitcnt vmcnt(2)
	v_mul_f64 v[193:194], v[195:196], v[55:56]
	s_waitcnt vmcnt(0)
	v_mul_f64 v[55:56], v[197:198], v[55:56]
	v_fma_f64 v[193:194], v[197:198], v[53:54], v[193:194]
	v_fma_f64 v[53:54], v[195:196], v[53:54], -v[55:56]
	ds_read2_b64 v[195:198], v253 offset0:70 offset1:71
	s_waitcnt lgkmcnt(0)
	v_mul_f64 v[55:56], v[197:198], v[193:194]
	v_fma_f64 v[55:56], v[195:196], v[53:54], -v[55:56]
	v_mul_f64 v[195:196], v[195:196], v[193:194]
	v_add_f64 v[49:50], v[49:50], -v[55:56]
	v_fma_f64 v[195:196], v[197:198], v[53:54], v[195:196]
	v_add_f64 v[51:52], v[51:52], -v[195:196]
	ds_read2_b64 v[195:198], v253 offset0:72 offset1:73
	s_waitcnt lgkmcnt(0)
	v_mul_f64 v[55:56], v[197:198], v[193:194]
	v_fma_f64 v[55:56], v[195:196], v[53:54], -v[55:56]
	v_mul_f64 v[195:196], v[195:196], v[193:194]
	v_add_f64 v[45:46], v[45:46], -v[55:56]
	v_fma_f64 v[195:196], v[197:198], v[53:54], v[195:196]
	v_add_f64 v[47:48], v[47:48], -v[195:196]
	;; [unrolled: 8-line block ×12, first 2 shown]
	ds_read2_b64 v[195:198], v253 offset0:94 offset1:95
	s_waitcnt lgkmcnt(0)
	v_mul_f64 v[55:56], v[197:198], v[193:194]
	v_fma_f64 v[55:56], v[195:196], v[53:54], -v[55:56]
	v_mul_f64 v[195:196], v[195:196], v[193:194]
	v_add_f64 v[1:2], v[1:2], -v[55:56]
	v_fma_f64 v[195:196], v[197:198], v[53:54], v[195:196]
	v_mov_b32_e32 v55, v193
	v_mov_b32_e32 v56, v194
	v_add_f64 v[3:4], v[3:4], -v[195:196]
.LBB95_316:
	s_or_b32 exec_lo, exec_lo, s1
	s_mov_b32 s2, exec_lo
	s_waitcnt_vscnt null, 0x0
	s_barrier
	buffer_gl0_inv
	v_cmpx_eq_u32_e32 35, v0
	s_cbranch_execz .LBB95_323
; %bb.317:
	ds_write2_b64 v255, v[49:50], v[51:52] offset1:1
	ds_write2_b64 v253, v[45:46], v[47:48] offset0:72 offset1:73
	ds_write2_b64 v253, v[41:42], v[43:44] offset0:74 offset1:75
	;; [unrolled: 1-line block ×12, first 2 shown]
	ds_read2_b64 v[193:196], v255 offset1:1
	s_waitcnt lgkmcnt(0)
	v_cmp_neq_f64_e32 vcc_lo, 0, v[193:194]
	v_cmp_neq_f64_e64 s1, 0, v[195:196]
	s_or_b32 s1, vcc_lo, s1
	s_and_b32 exec_lo, exec_lo, s1
	s_cbranch_execz .LBB95_323
; %bb.318:
	v_cmp_ngt_f64_e64 s1, |v[193:194]|, |v[195:196]|
                                        ; implicit-def: $vgpr197_vgpr198
	s_and_saveexec_b32 s3, s1
	s_xor_b32 s1, exec_lo, s3
                                        ; implicit-def: $vgpr199_vgpr200
	s_cbranch_execz .LBB95_320
; %bb.319:
	v_div_scale_f64 v[197:198], null, v[195:196], v[195:196], v[193:194]
	v_div_scale_f64 v[203:204], vcc_lo, v[193:194], v[195:196], v[193:194]
	v_rcp_f64_e32 v[199:200], v[197:198]
	v_fma_f64 v[201:202], -v[197:198], v[199:200], 1.0
	v_fma_f64 v[199:200], v[199:200], v[201:202], v[199:200]
	v_fma_f64 v[201:202], -v[197:198], v[199:200], 1.0
	v_fma_f64 v[199:200], v[199:200], v[201:202], v[199:200]
	v_mul_f64 v[201:202], v[203:204], v[199:200]
	v_fma_f64 v[197:198], -v[197:198], v[201:202], v[203:204]
	v_div_fmas_f64 v[197:198], v[197:198], v[199:200], v[201:202]
	v_div_fixup_f64 v[197:198], v[197:198], v[195:196], v[193:194]
	v_fma_f64 v[193:194], v[193:194], v[197:198], v[195:196]
	v_div_scale_f64 v[195:196], null, v[193:194], v[193:194], 1.0
	v_rcp_f64_e32 v[199:200], v[195:196]
	v_fma_f64 v[201:202], -v[195:196], v[199:200], 1.0
	v_fma_f64 v[199:200], v[199:200], v[201:202], v[199:200]
	v_fma_f64 v[201:202], -v[195:196], v[199:200], 1.0
	v_fma_f64 v[199:200], v[199:200], v[201:202], v[199:200]
	v_div_scale_f64 v[201:202], vcc_lo, 1.0, v[193:194], 1.0
	v_mul_f64 v[203:204], v[201:202], v[199:200]
	v_fma_f64 v[195:196], -v[195:196], v[203:204], v[201:202]
	v_div_fmas_f64 v[195:196], v[195:196], v[199:200], v[203:204]
	v_div_fixup_f64 v[199:200], v[195:196], v[193:194], 1.0
                                        ; implicit-def: $vgpr193_vgpr194
	v_mul_f64 v[197:198], v[197:198], v[199:200]
	v_xor_b32_e32 v200, 0x80000000, v200
.LBB95_320:
	s_andn2_saveexec_b32 s1, s1
	s_cbranch_execz .LBB95_322
; %bb.321:
	v_div_scale_f64 v[197:198], null, v[193:194], v[193:194], v[195:196]
	v_div_scale_f64 v[203:204], vcc_lo, v[195:196], v[193:194], v[195:196]
	v_rcp_f64_e32 v[199:200], v[197:198]
	v_fma_f64 v[201:202], -v[197:198], v[199:200], 1.0
	v_fma_f64 v[199:200], v[199:200], v[201:202], v[199:200]
	v_fma_f64 v[201:202], -v[197:198], v[199:200], 1.0
	v_fma_f64 v[199:200], v[199:200], v[201:202], v[199:200]
	v_mul_f64 v[201:202], v[203:204], v[199:200]
	v_fma_f64 v[197:198], -v[197:198], v[201:202], v[203:204]
	v_div_fmas_f64 v[197:198], v[197:198], v[199:200], v[201:202]
	v_div_fixup_f64 v[199:200], v[197:198], v[193:194], v[195:196]
	v_fma_f64 v[193:194], v[195:196], v[199:200], v[193:194]
	v_div_scale_f64 v[195:196], null, v[193:194], v[193:194], 1.0
	v_rcp_f64_e32 v[197:198], v[195:196]
	v_fma_f64 v[201:202], -v[195:196], v[197:198], 1.0
	v_fma_f64 v[197:198], v[197:198], v[201:202], v[197:198]
	v_fma_f64 v[201:202], -v[195:196], v[197:198], 1.0
	v_fma_f64 v[197:198], v[197:198], v[201:202], v[197:198]
	v_div_scale_f64 v[201:202], vcc_lo, 1.0, v[193:194], 1.0
	v_mul_f64 v[203:204], v[201:202], v[197:198]
	v_fma_f64 v[195:196], -v[195:196], v[203:204], v[201:202]
	v_div_fmas_f64 v[195:196], v[195:196], v[197:198], v[203:204]
	v_div_fixup_f64 v[197:198], v[195:196], v[193:194], 1.0
	v_mul_f64 v[199:200], v[199:200], -v[197:198]
.LBB95_322:
	s_or_b32 exec_lo, exec_lo, s1
	ds_write2_b64 v255, v[197:198], v[199:200] offset1:1
.LBB95_323:
	s_or_b32 exec_lo, exec_lo, s2
	s_waitcnt lgkmcnt(0)
	s_barrier
	buffer_gl0_inv
	ds_read2_b64 v[193:196], v255 offset1:1
	s_mov_b32 s1, exec_lo
	s_waitcnt lgkmcnt(0)
	buffer_store_dword v193, off, s[16:19], 0 offset:768 ; 4-byte Folded Spill
	buffer_store_dword v194, off, s[16:19], 0 offset:772 ; 4-byte Folded Spill
	;; [unrolled: 1-line block ×4, first 2 shown]
	v_cmpx_lt_u32_e32 35, v0
	s_cbranch_execz .LBB95_325
; %bb.324:
	s_clause 0x3
	buffer_load_dword v195, off, s[16:19], 0 offset:768
	buffer_load_dword v196, off, s[16:19], 0 offset:772
	;; [unrolled: 1-line block ×4, first 2 shown]
	s_waitcnt vmcnt(2)
	v_mul_f64 v[193:194], v[195:196], v[51:52]
	s_waitcnt vmcnt(0)
	v_mul_f64 v[51:52], v[197:198], v[51:52]
	v_fma_f64 v[193:194], v[197:198], v[49:50], v[193:194]
	v_fma_f64 v[49:50], v[195:196], v[49:50], -v[51:52]
	ds_read2_b64 v[195:198], v253 offset0:72 offset1:73
	s_waitcnt lgkmcnt(0)
	v_mul_f64 v[51:52], v[197:198], v[193:194]
	v_fma_f64 v[51:52], v[195:196], v[49:50], -v[51:52]
	v_mul_f64 v[195:196], v[195:196], v[193:194]
	v_add_f64 v[45:46], v[45:46], -v[51:52]
	v_fma_f64 v[195:196], v[197:198], v[49:50], v[195:196]
	v_add_f64 v[47:48], v[47:48], -v[195:196]
	ds_read2_b64 v[195:198], v253 offset0:74 offset1:75
	s_waitcnt lgkmcnt(0)
	v_mul_f64 v[51:52], v[197:198], v[193:194]
	v_fma_f64 v[51:52], v[195:196], v[49:50], -v[51:52]
	v_mul_f64 v[195:196], v[195:196], v[193:194]
	v_add_f64 v[41:42], v[41:42], -v[51:52]
	v_fma_f64 v[195:196], v[197:198], v[49:50], v[195:196]
	v_add_f64 v[43:44], v[43:44], -v[195:196]
	ds_read2_b64 v[195:198], v253 offset0:76 offset1:77
	s_waitcnt lgkmcnt(0)
	v_mul_f64 v[51:52], v[197:198], v[193:194]
	v_fma_f64 v[51:52], v[195:196], v[49:50], -v[51:52]
	v_mul_f64 v[195:196], v[195:196], v[193:194]
	v_add_f64 v[37:38], v[37:38], -v[51:52]
	v_fma_f64 v[195:196], v[197:198], v[49:50], v[195:196]
	v_add_f64 v[39:40], v[39:40], -v[195:196]
	ds_read2_b64 v[195:198], v253 offset0:78 offset1:79
	s_waitcnt lgkmcnt(0)
	v_mul_f64 v[51:52], v[197:198], v[193:194]
	v_fma_f64 v[51:52], v[195:196], v[49:50], -v[51:52]
	v_mul_f64 v[195:196], v[195:196], v[193:194]
	v_add_f64 v[33:34], v[33:34], -v[51:52]
	v_fma_f64 v[195:196], v[197:198], v[49:50], v[195:196]
	v_add_f64 v[35:36], v[35:36], -v[195:196]
	ds_read2_b64 v[195:198], v253 offset0:80 offset1:81
	s_waitcnt lgkmcnt(0)
	v_mul_f64 v[51:52], v[197:198], v[193:194]
	v_fma_f64 v[51:52], v[195:196], v[49:50], -v[51:52]
	v_mul_f64 v[195:196], v[195:196], v[193:194]
	v_add_f64 v[29:30], v[29:30], -v[51:52]
	v_fma_f64 v[195:196], v[197:198], v[49:50], v[195:196]
	v_add_f64 v[31:32], v[31:32], -v[195:196]
	ds_read2_b64 v[195:198], v253 offset0:82 offset1:83
	s_waitcnt lgkmcnt(0)
	v_mul_f64 v[51:52], v[197:198], v[193:194]
	v_fma_f64 v[51:52], v[195:196], v[49:50], -v[51:52]
	v_mul_f64 v[195:196], v[195:196], v[193:194]
	v_add_f64 v[25:26], v[25:26], -v[51:52]
	v_fma_f64 v[195:196], v[197:198], v[49:50], v[195:196]
	v_add_f64 v[27:28], v[27:28], -v[195:196]
	ds_read2_b64 v[195:198], v253 offset0:84 offset1:85
	s_waitcnt lgkmcnt(0)
	v_mul_f64 v[51:52], v[197:198], v[193:194]
	v_fma_f64 v[51:52], v[195:196], v[49:50], -v[51:52]
	v_mul_f64 v[195:196], v[195:196], v[193:194]
	v_add_f64 v[21:22], v[21:22], -v[51:52]
	v_fma_f64 v[195:196], v[197:198], v[49:50], v[195:196]
	v_add_f64 v[23:24], v[23:24], -v[195:196]
	ds_read2_b64 v[195:198], v253 offset0:86 offset1:87
	s_waitcnt lgkmcnt(0)
	v_mul_f64 v[51:52], v[197:198], v[193:194]
	v_fma_f64 v[51:52], v[195:196], v[49:50], -v[51:52]
	v_mul_f64 v[195:196], v[195:196], v[193:194]
	v_add_f64 v[17:18], v[17:18], -v[51:52]
	v_fma_f64 v[195:196], v[197:198], v[49:50], v[195:196]
	v_add_f64 v[19:20], v[19:20], -v[195:196]
	ds_read2_b64 v[195:198], v253 offset0:88 offset1:89
	s_waitcnt lgkmcnt(0)
	v_mul_f64 v[51:52], v[197:198], v[193:194]
	v_fma_f64 v[51:52], v[195:196], v[49:50], -v[51:52]
	v_mul_f64 v[195:196], v[195:196], v[193:194]
	v_add_f64 v[13:14], v[13:14], -v[51:52]
	v_fma_f64 v[195:196], v[197:198], v[49:50], v[195:196]
	v_add_f64 v[15:16], v[15:16], -v[195:196]
	ds_read2_b64 v[195:198], v253 offset0:90 offset1:91
	s_waitcnt lgkmcnt(0)
	v_mul_f64 v[51:52], v[197:198], v[193:194]
	v_fma_f64 v[51:52], v[195:196], v[49:50], -v[51:52]
	v_mul_f64 v[195:196], v[195:196], v[193:194]
	v_add_f64 v[9:10], v[9:10], -v[51:52]
	v_fma_f64 v[195:196], v[197:198], v[49:50], v[195:196]
	v_add_f64 v[11:12], v[11:12], -v[195:196]
	ds_read2_b64 v[195:198], v253 offset0:92 offset1:93
	s_waitcnt lgkmcnt(0)
	v_mul_f64 v[51:52], v[197:198], v[193:194]
	v_fma_f64 v[51:52], v[195:196], v[49:50], -v[51:52]
	v_mul_f64 v[195:196], v[195:196], v[193:194]
	v_add_f64 v[5:6], v[5:6], -v[51:52]
	v_fma_f64 v[195:196], v[197:198], v[49:50], v[195:196]
	v_add_f64 v[7:8], v[7:8], -v[195:196]
	ds_read2_b64 v[195:198], v253 offset0:94 offset1:95
	s_waitcnt lgkmcnt(0)
	v_mul_f64 v[51:52], v[197:198], v[193:194]
	v_fma_f64 v[51:52], v[195:196], v[49:50], -v[51:52]
	v_mul_f64 v[195:196], v[195:196], v[193:194]
	v_add_f64 v[1:2], v[1:2], -v[51:52]
	v_fma_f64 v[195:196], v[197:198], v[49:50], v[195:196]
	v_mov_b32_e32 v51, v193
	v_mov_b32_e32 v52, v194
	v_add_f64 v[3:4], v[3:4], -v[195:196]
.LBB95_325:
	s_or_b32 exec_lo, exec_lo, s1
	s_mov_b32 s2, exec_lo
	s_waitcnt_vscnt null, 0x0
	s_barrier
	buffer_gl0_inv
	v_cmpx_eq_u32_e32 36, v0
	s_cbranch_execz .LBB95_332
; %bb.326:
	ds_write2_b64 v255, v[45:46], v[47:48] offset1:1
	ds_write2_b64 v253, v[41:42], v[43:44] offset0:74 offset1:75
	ds_write2_b64 v253, v[37:38], v[39:40] offset0:76 offset1:77
	;; [unrolled: 1-line block ×11, first 2 shown]
	ds_read2_b64 v[193:196], v255 offset1:1
	s_waitcnt lgkmcnt(0)
	v_cmp_neq_f64_e32 vcc_lo, 0, v[193:194]
	v_cmp_neq_f64_e64 s1, 0, v[195:196]
	s_or_b32 s1, vcc_lo, s1
	s_and_b32 exec_lo, exec_lo, s1
	s_cbranch_execz .LBB95_332
; %bb.327:
	v_cmp_ngt_f64_e64 s1, |v[193:194]|, |v[195:196]|
                                        ; implicit-def: $vgpr197_vgpr198
	s_and_saveexec_b32 s3, s1
	s_xor_b32 s1, exec_lo, s3
                                        ; implicit-def: $vgpr199_vgpr200
	s_cbranch_execz .LBB95_329
; %bb.328:
	v_div_scale_f64 v[197:198], null, v[195:196], v[195:196], v[193:194]
	v_div_scale_f64 v[203:204], vcc_lo, v[193:194], v[195:196], v[193:194]
	v_rcp_f64_e32 v[199:200], v[197:198]
	v_fma_f64 v[201:202], -v[197:198], v[199:200], 1.0
	v_fma_f64 v[199:200], v[199:200], v[201:202], v[199:200]
	v_fma_f64 v[201:202], -v[197:198], v[199:200], 1.0
	v_fma_f64 v[199:200], v[199:200], v[201:202], v[199:200]
	v_mul_f64 v[201:202], v[203:204], v[199:200]
	v_fma_f64 v[197:198], -v[197:198], v[201:202], v[203:204]
	v_div_fmas_f64 v[197:198], v[197:198], v[199:200], v[201:202]
	v_div_fixup_f64 v[197:198], v[197:198], v[195:196], v[193:194]
	v_fma_f64 v[193:194], v[193:194], v[197:198], v[195:196]
	v_div_scale_f64 v[195:196], null, v[193:194], v[193:194], 1.0
	v_rcp_f64_e32 v[199:200], v[195:196]
	v_fma_f64 v[201:202], -v[195:196], v[199:200], 1.0
	v_fma_f64 v[199:200], v[199:200], v[201:202], v[199:200]
	v_fma_f64 v[201:202], -v[195:196], v[199:200], 1.0
	v_fma_f64 v[199:200], v[199:200], v[201:202], v[199:200]
	v_div_scale_f64 v[201:202], vcc_lo, 1.0, v[193:194], 1.0
	v_mul_f64 v[203:204], v[201:202], v[199:200]
	v_fma_f64 v[195:196], -v[195:196], v[203:204], v[201:202]
	v_div_fmas_f64 v[195:196], v[195:196], v[199:200], v[203:204]
	v_div_fixup_f64 v[199:200], v[195:196], v[193:194], 1.0
                                        ; implicit-def: $vgpr193_vgpr194
	v_mul_f64 v[197:198], v[197:198], v[199:200]
	v_xor_b32_e32 v200, 0x80000000, v200
.LBB95_329:
	s_andn2_saveexec_b32 s1, s1
	s_cbranch_execz .LBB95_331
; %bb.330:
	v_div_scale_f64 v[197:198], null, v[193:194], v[193:194], v[195:196]
	v_div_scale_f64 v[203:204], vcc_lo, v[195:196], v[193:194], v[195:196]
	v_rcp_f64_e32 v[199:200], v[197:198]
	v_fma_f64 v[201:202], -v[197:198], v[199:200], 1.0
	v_fma_f64 v[199:200], v[199:200], v[201:202], v[199:200]
	v_fma_f64 v[201:202], -v[197:198], v[199:200], 1.0
	v_fma_f64 v[199:200], v[199:200], v[201:202], v[199:200]
	v_mul_f64 v[201:202], v[203:204], v[199:200]
	v_fma_f64 v[197:198], -v[197:198], v[201:202], v[203:204]
	v_div_fmas_f64 v[197:198], v[197:198], v[199:200], v[201:202]
	v_div_fixup_f64 v[199:200], v[197:198], v[193:194], v[195:196]
	v_fma_f64 v[193:194], v[195:196], v[199:200], v[193:194]
	v_div_scale_f64 v[195:196], null, v[193:194], v[193:194], 1.0
	v_rcp_f64_e32 v[197:198], v[195:196]
	v_fma_f64 v[201:202], -v[195:196], v[197:198], 1.0
	v_fma_f64 v[197:198], v[197:198], v[201:202], v[197:198]
	v_fma_f64 v[201:202], -v[195:196], v[197:198], 1.0
	v_fma_f64 v[197:198], v[197:198], v[201:202], v[197:198]
	v_div_scale_f64 v[201:202], vcc_lo, 1.0, v[193:194], 1.0
	v_mul_f64 v[203:204], v[201:202], v[197:198]
	v_fma_f64 v[195:196], -v[195:196], v[203:204], v[201:202]
	v_div_fmas_f64 v[195:196], v[195:196], v[197:198], v[203:204]
	v_div_fixup_f64 v[197:198], v[195:196], v[193:194], 1.0
	v_mul_f64 v[199:200], v[199:200], -v[197:198]
.LBB95_331:
	s_or_b32 exec_lo, exec_lo, s1
	ds_write2_b64 v255, v[197:198], v[199:200] offset1:1
.LBB95_332:
	s_or_b32 exec_lo, exec_lo, s2
	s_waitcnt lgkmcnt(0)
	s_barrier
	buffer_gl0_inv
	ds_read2_b64 v[193:196], v255 offset1:1
	s_mov_b32 s1, exec_lo
	s_waitcnt lgkmcnt(0)
	buffer_store_dword v193, off, s[16:19], 0 offset:784 ; 4-byte Folded Spill
	buffer_store_dword v194, off, s[16:19], 0 offset:788 ; 4-byte Folded Spill
	;; [unrolled: 1-line block ×4, first 2 shown]
	v_cmpx_lt_u32_e32 36, v0
	s_cbranch_execz .LBB95_334
; %bb.333:
	s_clause 0x3
	buffer_load_dword v195, off, s[16:19], 0 offset:784
	buffer_load_dword v196, off, s[16:19], 0 offset:788
	buffer_load_dword v197, off, s[16:19], 0 offset:792
	buffer_load_dword v198, off, s[16:19], 0 offset:796
	s_waitcnt vmcnt(2)
	v_mul_f64 v[193:194], v[195:196], v[47:48]
	s_waitcnt vmcnt(0)
	v_mul_f64 v[47:48], v[197:198], v[47:48]
	v_fma_f64 v[193:194], v[197:198], v[45:46], v[193:194]
	v_fma_f64 v[45:46], v[195:196], v[45:46], -v[47:48]
	ds_read2_b64 v[195:198], v253 offset0:74 offset1:75
	s_waitcnt lgkmcnt(0)
	v_mul_f64 v[47:48], v[197:198], v[193:194]
	v_fma_f64 v[47:48], v[195:196], v[45:46], -v[47:48]
	v_mul_f64 v[195:196], v[195:196], v[193:194]
	v_add_f64 v[41:42], v[41:42], -v[47:48]
	v_fma_f64 v[195:196], v[197:198], v[45:46], v[195:196]
	v_add_f64 v[43:44], v[43:44], -v[195:196]
	ds_read2_b64 v[195:198], v253 offset0:76 offset1:77
	s_waitcnt lgkmcnt(0)
	v_mul_f64 v[47:48], v[197:198], v[193:194]
	v_fma_f64 v[47:48], v[195:196], v[45:46], -v[47:48]
	v_mul_f64 v[195:196], v[195:196], v[193:194]
	v_add_f64 v[37:38], v[37:38], -v[47:48]
	v_fma_f64 v[195:196], v[197:198], v[45:46], v[195:196]
	v_add_f64 v[39:40], v[39:40], -v[195:196]
	;; [unrolled: 8-line block ×10, first 2 shown]
	ds_read2_b64 v[195:198], v253 offset0:94 offset1:95
	s_waitcnt lgkmcnt(0)
	v_mul_f64 v[47:48], v[197:198], v[193:194]
	v_fma_f64 v[47:48], v[195:196], v[45:46], -v[47:48]
	v_mul_f64 v[195:196], v[195:196], v[193:194]
	v_add_f64 v[1:2], v[1:2], -v[47:48]
	v_fma_f64 v[195:196], v[197:198], v[45:46], v[195:196]
	v_mov_b32_e32 v47, v193
	v_mov_b32_e32 v48, v194
	v_add_f64 v[3:4], v[3:4], -v[195:196]
.LBB95_334:
	s_or_b32 exec_lo, exec_lo, s1
	s_mov_b32 s2, exec_lo
	s_waitcnt_vscnt null, 0x0
	s_barrier
	buffer_gl0_inv
	v_cmpx_eq_u32_e32 37, v0
	s_cbranch_execz .LBB95_341
; %bb.335:
	ds_write2_b64 v255, v[41:42], v[43:44] offset1:1
	ds_write2_b64 v253, v[37:38], v[39:40] offset0:76 offset1:77
	ds_write2_b64 v253, v[33:34], v[35:36] offset0:78 offset1:79
	;; [unrolled: 1-line block ×10, first 2 shown]
	ds_read2_b64 v[193:196], v255 offset1:1
	s_waitcnt lgkmcnt(0)
	v_cmp_neq_f64_e32 vcc_lo, 0, v[193:194]
	v_cmp_neq_f64_e64 s1, 0, v[195:196]
	s_or_b32 s1, vcc_lo, s1
	s_and_b32 exec_lo, exec_lo, s1
	s_cbranch_execz .LBB95_341
; %bb.336:
	v_cmp_ngt_f64_e64 s1, |v[193:194]|, |v[195:196]|
                                        ; implicit-def: $vgpr197_vgpr198
	s_and_saveexec_b32 s3, s1
	s_xor_b32 s1, exec_lo, s3
                                        ; implicit-def: $vgpr199_vgpr200
	s_cbranch_execz .LBB95_338
; %bb.337:
	v_div_scale_f64 v[197:198], null, v[195:196], v[195:196], v[193:194]
	v_div_scale_f64 v[203:204], vcc_lo, v[193:194], v[195:196], v[193:194]
	v_rcp_f64_e32 v[199:200], v[197:198]
	v_fma_f64 v[201:202], -v[197:198], v[199:200], 1.0
	v_fma_f64 v[199:200], v[199:200], v[201:202], v[199:200]
	v_fma_f64 v[201:202], -v[197:198], v[199:200], 1.0
	v_fma_f64 v[199:200], v[199:200], v[201:202], v[199:200]
	v_mul_f64 v[201:202], v[203:204], v[199:200]
	v_fma_f64 v[197:198], -v[197:198], v[201:202], v[203:204]
	v_div_fmas_f64 v[197:198], v[197:198], v[199:200], v[201:202]
	v_div_fixup_f64 v[197:198], v[197:198], v[195:196], v[193:194]
	v_fma_f64 v[193:194], v[193:194], v[197:198], v[195:196]
	v_div_scale_f64 v[195:196], null, v[193:194], v[193:194], 1.0
	v_rcp_f64_e32 v[199:200], v[195:196]
	v_fma_f64 v[201:202], -v[195:196], v[199:200], 1.0
	v_fma_f64 v[199:200], v[199:200], v[201:202], v[199:200]
	v_fma_f64 v[201:202], -v[195:196], v[199:200], 1.0
	v_fma_f64 v[199:200], v[199:200], v[201:202], v[199:200]
	v_div_scale_f64 v[201:202], vcc_lo, 1.0, v[193:194], 1.0
	v_mul_f64 v[203:204], v[201:202], v[199:200]
	v_fma_f64 v[195:196], -v[195:196], v[203:204], v[201:202]
	v_div_fmas_f64 v[195:196], v[195:196], v[199:200], v[203:204]
	v_div_fixup_f64 v[199:200], v[195:196], v[193:194], 1.0
                                        ; implicit-def: $vgpr193_vgpr194
	v_mul_f64 v[197:198], v[197:198], v[199:200]
	v_xor_b32_e32 v200, 0x80000000, v200
.LBB95_338:
	s_andn2_saveexec_b32 s1, s1
	s_cbranch_execz .LBB95_340
; %bb.339:
	v_div_scale_f64 v[197:198], null, v[193:194], v[193:194], v[195:196]
	v_div_scale_f64 v[203:204], vcc_lo, v[195:196], v[193:194], v[195:196]
	v_rcp_f64_e32 v[199:200], v[197:198]
	v_fma_f64 v[201:202], -v[197:198], v[199:200], 1.0
	v_fma_f64 v[199:200], v[199:200], v[201:202], v[199:200]
	v_fma_f64 v[201:202], -v[197:198], v[199:200], 1.0
	v_fma_f64 v[199:200], v[199:200], v[201:202], v[199:200]
	v_mul_f64 v[201:202], v[203:204], v[199:200]
	v_fma_f64 v[197:198], -v[197:198], v[201:202], v[203:204]
	v_div_fmas_f64 v[197:198], v[197:198], v[199:200], v[201:202]
	v_div_fixup_f64 v[199:200], v[197:198], v[193:194], v[195:196]
	v_fma_f64 v[193:194], v[195:196], v[199:200], v[193:194]
	v_div_scale_f64 v[195:196], null, v[193:194], v[193:194], 1.0
	v_rcp_f64_e32 v[197:198], v[195:196]
	v_fma_f64 v[201:202], -v[195:196], v[197:198], 1.0
	v_fma_f64 v[197:198], v[197:198], v[201:202], v[197:198]
	v_fma_f64 v[201:202], -v[195:196], v[197:198], 1.0
	v_fma_f64 v[197:198], v[197:198], v[201:202], v[197:198]
	v_div_scale_f64 v[201:202], vcc_lo, 1.0, v[193:194], 1.0
	v_mul_f64 v[203:204], v[201:202], v[197:198]
	v_fma_f64 v[195:196], -v[195:196], v[203:204], v[201:202]
	v_div_fmas_f64 v[195:196], v[195:196], v[197:198], v[203:204]
	v_div_fixup_f64 v[197:198], v[195:196], v[193:194], 1.0
	v_mul_f64 v[199:200], v[199:200], -v[197:198]
.LBB95_340:
	s_or_b32 exec_lo, exec_lo, s1
	ds_write2_b64 v255, v[197:198], v[199:200] offset1:1
.LBB95_341:
	s_or_b32 exec_lo, exec_lo, s2
	s_waitcnt lgkmcnt(0)
	s_barrier
	buffer_gl0_inv
	ds_read2_b64 v[193:196], v255 offset1:1
	s_mov_b32 s1, exec_lo
	s_waitcnt lgkmcnt(0)
	buffer_store_dword v193, off, s[16:19], 0 offset:800 ; 4-byte Folded Spill
	buffer_store_dword v194, off, s[16:19], 0 offset:804 ; 4-byte Folded Spill
	;; [unrolled: 1-line block ×4, first 2 shown]
	v_cmpx_lt_u32_e32 37, v0
	s_cbranch_execz .LBB95_343
; %bb.342:
	s_clause 0x3
	buffer_load_dword v199, off, s[16:19], 0 offset:800
	buffer_load_dword v200, off, s[16:19], 0 offset:804
	;; [unrolled: 1-line block ×4, first 2 shown]
	s_waitcnt vmcnt(2)
	v_mul_f64 v[193:194], v[199:200], v[43:44]
	s_waitcnt vmcnt(0)
	v_mul_f64 v[43:44], v[201:202], v[43:44]
	v_fma_f64 v[197:198], v[201:202], v[41:42], v[193:194]
	ds_read2_b64 v[193:196], v253 offset0:76 offset1:77
	v_fma_f64 v[41:42], v[199:200], v[41:42], -v[43:44]
	s_waitcnt lgkmcnt(0)
	v_mul_f64 v[43:44], v[195:196], v[197:198]
	v_fma_f64 v[43:44], v[193:194], v[41:42], -v[43:44]
	v_mul_f64 v[193:194], v[193:194], v[197:198]
	v_add_f64 v[37:38], v[37:38], -v[43:44]
	v_fma_f64 v[193:194], v[195:196], v[41:42], v[193:194]
	v_add_f64 v[39:40], v[39:40], -v[193:194]
	ds_read2_b64 v[193:196], v253 offset0:78 offset1:79
	s_waitcnt lgkmcnt(0)
	v_mul_f64 v[43:44], v[195:196], v[197:198]
	v_fma_f64 v[43:44], v[193:194], v[41:42], -v[43:44]
	v_mul_f64 v[193:194], v[193:194], v[197:198]
	v_add_f64 v[33:34], v[33:34], -v[43:44]
	v_fma_f64 v[193:194], v[195:196], v[41:42], v[193:194]
	v_add_f64 v[35:36], v[35:36], -v[193:194]
	ds_read2_b64 v[193:196], v253 offset0:80 offset1:81
	;; [unrolled: 8-line block ×9, first 2 shown]
	s_waitcnt lgkmcnt(0)
	v_mul_f64 v[43:44], v[195:196], v[197:198]
	v_fma_f64 v[43:44], v[193:194], v[41:42], -v[43:44]
	v_mul_f64 v[193:194], v[193:194], v[197:198]
	v_add_f64 v[1:2], v[1:2], -v[43:44]
	v_fma_f64 v[193:194], v[195:196], v[41:42], v[193:194]
	v_mov_b32_e32 v43, v197
	v_mov_b32_e32 v44, v198
	v_add_f64 v[3:4], v[3:4], -v[193:194]
.LBB95_343:
	s_or_b32 exec_lo, exec_lo, s1
	s_mov_b32 s2, exec_lo
	s_waitcnt_vscnt null, 0x0
	s_barrier
	buffer_gl0_inv
	v_cmpx_eq_u32_e32 38, v0
	s_cbranch_execz .LBB95_350
; %bb.344:
	ds_write2_b64 v255, v[37:38], v[39:40] offset1:1
	ds_write2_b64 v253, v[33:34], v[35:36] offset0:78 offset1:79
	ds_write2_b64 v253, v[29:30], v[31:32] offset0:80 offset1:81
	;; [unrolled: 1-line block ×9, first 2 shown]
	ds_read2_b64 v[193:196], v255 offset1:1
	s_waitcnt lgkmcnt(0)
	v_cmp_neq_f64_e32 vcc_lo, 0, v[193:194]
	v_cmp_neq_f64_e64 s1, 0, v[195:196]
	s_or_b32 s1, vcc_lo, s1
	s_and_b32 exec_lo, exec_lo, s1
	s_cbranch_execz .LBB95_350
; %bb.345:
	v_cmp_ngt_f64_e64 s1, |v[193:194]|, |v[195:196]|
                                        ; implicit-def: $vgpr197_vgpr198
	s_and_saveexec_b32 s3, s1
	s_xor_b32 s1, exec_lo, s3
                                        ; implicit-def: $vgpr199_vgpr200
	s_cbranch_execz .LBB95_347
; %bb.346:
	v_div_scale_f64 v[197:198], null, v[195:196], v[195:196], v[193:194]
	v_div_scale_f64 v[203:204], vcc_lo, v[193:194], v[195:196], v[193:194]
	v_rcp_f64_e32 v[199:200], v[197:198]
	v_fma_f64 v[201:202], -v[197:198], v[199:200], 1.0
	v_fma_f64 v[199:200], v[199:200], v[201:202], v[199:200]
	v_fma_f64 v[201:202], -v[197:198], v[199:200], 1.0
	v_fma_f64 v[199:200], v[199:200], v[201:202], v[199:200]
	v_mul_f64 v[201:202], v[203:204], v[199:200]
	v_fma_f64 v[197:198], -v[197:198], v[201:202], v[203:204]
	v_div_fmas_f64 v[197:198], v[197:198], v[199:200], v[201:202]
	v_div_fixup_f64 v[197:198], v[197:198], v[195:196], v[193:194]
	v_fma_f64 v[193:194], v[193:194], v[197:198], v[195:196]
	v_div_scale_f64 v[195:196], null, v[193:194], v[193:194], 1.0
	v_rcp_f64_e32 v[199:200], v[195:196]
	v_fma_f64 v[201:202], -v[195:196], v[199:200], 1.0
	v_fma_f64 v[199:200], v[199:200], v[201:202], v[199:200]
	v_fma_f64 v[201:202], -v[195:196], v[199:200], 1.0
	v_fma_f64 v[199:200], v[199:200], v[201:202], v[199:200]
	v_div_scale_f64 v[201:202], vcc_lo, 1.0, v[193:194], 1.0
	v_mul_f64 v[203:204], v[201:202], v[199:200]
	v_fma_f64 v[195:196], -v[195:196], v[203:204], v[201:202]
	v_div_fmas_f64 v[195:196], v[195:196], v[199:200], v[203:204]
	v_div_fixup_f64 v[199:200], v[195:196], v[193:194], 1.0
                                        ; implicit-def: $vgpr193_vgpr194
	v_mul_f64 v[197:198], v[197:198], v[199:200]
	v_xor_b32_e32 v200, 0x80000000, v200
.LBB95_347:
	s_andn2_saveexec_b32 s1, s1
	s_cbranch_execz .LBB95_349
; %bb.348:
	v_div_scale_f64 v[197:198], null, v[193:194], v[193:194], v[195:196]
	v_div_scale_f64 v[203:204], vcc_lo, v[195:196], v[193:194], v[195:196]
	v_rcp_f64_e32 v[199:200], v[197:198]
	v_fma_f64 v[201:202], -v[197:198], v[199:200], 1.0
	v_fma_f64 v[199:200], v[199:200], v[201:202], v[199:200]
	v_fma_f64 v[201:202], -v[197:198], v[199:200], 1.0
	v_fma_f64 v[199:200], v[199:200], v[201:202], v[199:200]
	v_mul_f64 v[201:202], v[203:204], v[199:200]
	v_fma_f64 v[197:198], -v[197:198], v[201:202], v[203:204]
	v_div_fmas_f64 v[197:198], v[197:198], v[199:200], v[201:202]
	v_div_fixup_f64 v[199:200], v[197:198], v[193:194], v[195:196]
	v_fma_f64 v[193:194], v[195:196], v[199:200], v[193:194]
	v_div_scale_f64 v[195:196], null, v[193:194], v[193:194], 1.0
	v_rcp_f64_e32 v[197:198], v[195:196]
	v_fma_f64 v[201:202], -v[195:196], v[197:198], 1.0
	v_fma_f64 v[197:198], v[197:198], v[201:202], v[197:198]
	v_fma_f64 v[201:202], -v[195:196], v[197:198], 1.0
	v_fma_f64 v[197:198], v[197:198], v[201:202], v[197:198]
	v_div_scale_f64 v[201:202], vcc_lo, 1.0, v[193:194], 1.0
	v_mul_f64 v[203:204], v[201:202], v[197:198]
	v_fma_f64 v[195:196], -v[195:196], v[203:204], v[201:202]
	v_div_fmas_f64 v[195:196], v[195:196], v[197:198], v[203:204]
	v_div_fixup_f64 v[197:198], v[195:196], v[193:194], 1.0
	v_mul_f64 v[199:200], v[199:200], -v[197:198]
.LBB95_349:
	s_or_b32 exec_lo, exec_lo, s1
	ds_write2_b64 v255, v[197:198], v[199:200] offset1:1
.LBB95_350:
	s_or_b32 exec_lo, exec_lo, s2
	s_waitcnt lgkmcnt(0)
	s_barrier
	buffer_gl0_inv
	ds_read2_b64 v[193:196], v255 offset1:1
	s_mov_b32 s1, exec_lo
	s_waitcnt lgkmcnt(0)
	buffer_store_dword v193, off, s[16:19], 0 offset:816 ; 4-byte Folded Spill
	buffer_store_dword v194, off, s[16:19], 0 offset:820 ; 4-byte Folded Spill
	;; [unrolled: 1-line block ×4, first 2 shown]
	v_cmpx_lt_u32_e32 38, v0
	s_cbranch_execz .LBB95_352
; %bb.351:
	s_clause 0x3
	buffer_load_dword v199, off, s[16:19], 0 offset:816
	buffer_load_dword v200, off, s[16:19], 0 offset:820
	;; [unrolled: 1-line block ×4, first 2 shown]
	s_waitcnt vmcnt(2)
	v_mul_f64 v[193:194], v[199:200], v[39:40]
	s_waitcnt vmcnt(0)
	v_mul_f64 v[39:40], v[201:202], v[39:40]
	v_fma_f64 v[197:198], v[201:202], v[37:38], v[193:194]
	ds_read2_b64 v[193:196], v253 offset0:78 offset1:79
	v_fma_f64 v[37:38], v[199:200], v[37:38], -v[39:40]
	s_waitcnt lgkmcnt(0)
	v_mul_f64 v[39:40], v[195:196], v[197:198]
	v_fma_f64 v[39:40], v[193:194], v[37:38], -v[39:40]
	v_mul_f64 v[193:194], v[193:194], v[197:198]
	v_add_f64 v[33:34], v[33:34], -v[39:40]
	v_fma_f64 v[193:194], v[195:196], v[37:38], v[193:194]
	v_add_f64 v[35:36], v[35:36], -v[193:194]
	ds_read2_b64 v[193:196], v253 offset0:80 offset1:81
	s_waitcnt lgkmcnt(0)
	v_mul_f64 v[39:40], v[195:196], v[197:198]
	v_fma_f64 v[39:40], v[193:194], v[37:38], -v[39:40]
	v_mul_f64 v[193:194], v[193:194], v[197:198]
	v_add_f64 v[29:30], v[29:30], -v[39:40]
	v_fma_f64 v[193:194], v[195:196], v[37:38], v[193:194]
	v_add_f64 v[31:32], v[31:32], -v[193:194]
	ds_read2_b64 v[193:196], v253 offset0:82 offset1:83
	;; [unrolled: 8-line block ×8, first 2 shown]
	s_waitcnt lgkmcnt(0)
	v_mul_f64 v[39:40], v[195:196], v[197:198]
	v_fma_f64 v[39:40], v[193:194], v[37:38], -v[39:40]
	v_mul_f64 v[193:194], v[193:194], v[197:198]
	v_add_f64 v[1:2], v[1:2], -v[39:40]
	v_fma_f64 v[193:194], v[195:196], v[37:38], v[193:194]
	v_mov_b32_e32 v39, v197
	v_mov_b32_e32 v40, v198
	v_add_f64 v[3:4], v[3:4], -v[193:194]
.LBB95_352:
	s_or_b32 exec_lo, exec_lo, s1
	s_mov_b32 s2, exec_lo
	s_waitcnt_vscnt null, 0x0
	s_barrier
	buffer_gl0_inv
	v_cmpx_eq_u32_e32 39, v0
	s_cbranch_execz .LBB95_359
; %bb.353:
	ds_write2_b64 v255, v[33:34], v[35:36] offset1:1
	ds_write2_b64 v253, v[29:30], v[31:32] offset0:80 offset1:81
	ds_write2_b64 v253, v[25:26], v[27:28] offset0:82 offset1:83
	;; [unrolled: 1-line block ×8, first 2 shown]
	ds_read2_b64 v[193:196], v255 offset1:1
	s_waitcnt lgkmcnt(0)
	v_cmp_neq_f64_e32 vcc_lo, 0, v[193:194]
	v_cmp_neq_f64_e64 s1, 0, v[195:196]
	s_or_b32 s1, vcc_lo, s1
	s_and_b32 exec_lo, exec_lo, s1
	s_cbranch_execz .LBB95_359
; %bb.354:
	v_cmp_ngt_f64_e64 s1, |v[193:194]|, |v[195:196]|
                                        ; implicit-def: $vgpr197_vgpr198
	s_and_saveexec_b32 s3, s1
	s_xor_b32 s1, exec_lo, s3
                                        ; implicit-def: $vgpr199_vgpr200
	s_cbranch_execz .LBB95_356
; %bb.355:
	v_div_scale_f64 v[197:198], null, v[195:196], v[195:196], v[193:194]
	v_div_scale_f64 v[203:204], vcc_lo, v[193:194], v[195:196], v[193:194]
	v_rcp_f64_e32 v[199:200], v[197:198]
	v_fma_f64 v[201:202], -v[197:198], v[199:200], 1.0
	v_fma_f64 v[199:200], v[199:200], v[201:202], v[199:200]
	v_fma_f64 v[201:202], -v[197:198], v[199:200], 1.0
	v_fma_f64 v[199:200], v[199:200], v[201:202], v[199:200]
	v_mul_f64 v[201:202], v[203:204], v[199:200]
	v_fma_f64 v[197:198], -v[197:198], v[201:202], v[203:204]
	v_div_fmas_f64 v[197:198], v[197:198], v[199:200], v[201:202]
	v_div_fixup_f64 v[197:198], v[197:198], v[195:196], v[193:194]
	v_fma_f64 v[193:194], v[193:194], v[197:198], v[195:196]
	v_div_scale_f64 v[195:196], null, v[193:194], v[193:194], 1.0
	v_rcp_f64_e32 v[199:200], v[195:196]
	v_fma_f64 v[201:202], -v[195:196], v[199:200], 1.0
	v_fma_f64 v[199:200], v[199:200], v[201:202], v[199:200]
	v_fma_f64 v[201:202], -v[195:196], v[199:200], 1.0
	v_fma_f64 v[199:200], v[199:200], v[201:202], v[199:200]
	v_div_scale_f64 v[201:202], vcc_lo, 1.0, v[193:194], 1.0
	v_mul_f64 v[203:204], v[201:202], v[199:200]
	v_fma_f64 v[195:196], -v[195:196], v[203:204], v[201:202]
	v_div_fmas_f64 v[195:196], v[195:196], v[199:200], v[203:204]
	v_div_fixup_f64 v[199:200], v[195:196], v[193:194], 1.0
                                        ; implicit-def: $vgpr193_vgpr194
	v_mul_f64 v[197:198], v[197:198], v[199:200]
	v_xor_b32_e32 v200, 0x80000000, v200
.LBB95_356:
	s_andn2_saveexec_b32 s1, s1
	s_cbranch_execz .LBB95_358
; %bb.357:
	v_div_scale_f64 v[197:198], null, v[193:194], v[193:194], v[195:196]
	v_div_scale_f64 v[203:204], vcc_lo, v[195:196], v[193:194], v[195:196]
	v_rcp_f64_e32 v[199:200], v[197:198]
	v_fma_f64 v[201:202], -v[197:198], v[199:200], 1.0
	v_fma_f64 v[199:200], v[199:200], v[201:202], v[199:200]
	v_fma_f64 v[201:202], -v[197:198], v[199:200], 1.0
	v_fma_f64 v[199:200], v[199:200], v[201:202], v[199:200]
	v_mul_f64 v[201:202], v[203:204], v[199:200]
	v_fma_f64 v[197:198], -v[197:198], v[201:202], v[203:204]
	v_div_fmas_f64 v[197:198], v[197:198], v[199:200], v[201:202]
	v_div_fixup_f64 v[199:200], v[197:198], v[193:194], v[195:196]
	v_fma_f64 v[193:194], v[195:196], v[199:200], v[193:194]
	v_div_scale_f64 v[195:196], null, v[193:194], v[193:194], 1.0
	v_rcp_f64_e32 v[197:198], v[195:196]
	v_fma_f64 v[201:202], -v[195:196], v[197:198], 1.0
	v_fma_f64 v[197:198], v[197:198], v[201:202], v[197:198]
	v_fma_f64 v[201:202], -v[195:196], v[197:198], 1.0
	v_fma_f64 v[197:198], v[197:198], v[201:202], v[197:198]
	v_div_scale_f64 v[201:202], vcc_lo, 1.0, v[193:194], 1.0
	v_mul_f64 v[203:204], v[201:202], v[197:198]
	v_fma_f64 v[195:196], -v[195:196], v[203:204], v[201:202]
	v_div_fmas_f64 v[195:196], v[195:196], v[197:198], v[203:204]
	v_div_fixup_f64 v[197:198], v[195:196], v[193:194], 1.0
	v_mul_f64 v[199:200], v[199:200], -v[197:198]
.LBB95_358:
	s_or_b32 exec_lo, exec_lo, s1
	ds_write2_b64 v255, v[197:198], v[199:200] offset1:1
.LBB95_359:
	s_or_b32 exec_lo, exec_lo, s2
	s_waitcnt lgkmcnt(0)
	s_barrier
	buffer_gl0_inv
	ds_read2_b64 v[193:196], v255 offset1:1
	s_mov_b32 s1, exec_lo
	s_waitcnt lgkmcnt(0)
	buffer_store_dword v193, off, s[16:19], 0 offset:832 ; 4-byte Folded Spill
	buffer_store_dword v194, off, s[16:19], 0 offset:836 ; 4-byte Folded Spill
	;; [unrolled: 1-line block ×4, first 2 shown]
	v_cmpx_lt_u32_e32 39, v0
	s_cbranch_execz .LBB95_361
; %bb.360:
	s_clause 0x3
	buffer_load_dword v199, off, s[16:19], 0 offset:832
	buffer_load_dword v200, off, s[16:19], 0 offset:836
	;; [unrolled: 1-line block ×4, first 2 shown]
	s_waitcnt vmcnt(2)
	v_mul_f64 v[193:194], v[199:200], v[35:36]
	s_waitcnt vmcnt(0)
	v_mul_f64 v[35:36], v[201:202], v[35:36]
	v_fma_f64 v[197:198], v[201:202], v[33:34], v[193:194]
	ds_read2_b64 v[193:196], v253 offset0:80 offset1:81
	v_fma_f64 v[33:34], v[199:200], v[33:34], -v[35:36]
	s_waitcnt lgkmcnt(0)
	v_mul_f64 v[35:36], v[195:196], v[197:198]
	v_fma_f64 v[35:36], v[193:194], v[33:34], -v[35:36]
	v_mul_f64 v[193:194], v[193:194], v[197:198]
	v_add_f64 v[29:30], v[29:30], -v[35:36]
	v_fma_f64 v[193:194], v[195:196], v[33:34], v[193:194]
	v_add_f64 v[31:32], v[31:32], -v[193:194]
	ds_read2_b64 v[193:196], v253 offset0:82 offset1:83
	s_waitcnt lgkmcnt(0)
	v_mul_f64 v[35:36], v[195:196], v[197:198]
	v_fma_f64 v[35:36], v[193:194], v[33:34], -v[35:36]
	v_mul_f64 v[193:194], v[193:194], v[197:198]
	v_add_f64 v[25:26], v[25:26], -v[35:36]
	v_fma_f64 v[193:194], v[195:196], v[33:34], v[193:194]
	v_add_f64 v[27:28], v[27:28], -v[193:194]
	ds_read2_b64 v[193:196], v253 offset0:84 offset1:85
	;; [unrolled: 8-line block ×7, first 2 shown]
	s_waitcnt lgkmcnt(0)
	v_mul_f64 v[35:36], v[195:196], v[197:198]
	v_fma_f64 v[35:36], v[193:194], v[33:34], -v[35:36]
	v_mul_f64 v[193:194], v[193:194], v[197:198]
	v_add_f64 v[1:2], v[1:2], -v[35:36]
	v_fma_f64 v[193:194], v[195:196], v[33:34], v[193:194]
	v_mov_b32_e32 v35, v197
	v_mov_b32_e32 v36, v198
	v_add_f64 v[3:4], v[3:4], -v[193:194]
.LBB95_361:
	s_or_b32 exec_lo, exec_lo, s1
	s_mov_b32 s2, exec_lo
	s_waitcnt_vscnt null, 0x0
	s_barrier
	buffer_gl0_inv
	v_cmpx_eq_u32_e32 40, v0
	s_cbranch_execz .LBB95_368
; %bb.362:
	ds_write2_b64 v255, v[29:30], v[31:32] offset1:1
	ds_write2_b64 v253, v[25:26], v[27:28] offset0:82 offset1:83
	ds_write2_b64 v253, v[21:22], v[23:24] offset0:84 offset1:85
	;; [unrolled: 1-line block ×7, first 2 shown]
	ds_read2_b64 v[193:196], v255 offset1:1
	s_waitcnt lgkmcnt(0)
	v_cmp_neq_f64_e32 vcc_lo, 0, v[193:194]
	v_cmp_neq_f64_e64 s1, 0, v[195:196]
	s_or_b32 s1, vcc_lo, s1
	s_and_b32 exec_lo, exec_lo, s1
	s_cbranch_execz .LBB95_368
; %bb.363:
	v_cmp_ngt_f64_e64 s1, |v[193:194]|, |v[195:196]|
                                        ; implicit-def: $vgpr197_vgpr198
	s_and_saveexec_b32 s3, s1
	s_xor_b32 s1, exec_lo, s3
                                        ; implicit-def: $vgpr199_vgpr200
	s_cbranch_execz .LBB95_365
; %bb.364:
	v_div_scale_f64 v[197:198], null, v[195:196], v[195:196], v[193:194]
	v_div_scale_f64 v[203:204], vcc_lo, v[193:194], v[195:196], v[193:194]
	v_rcp_f64_e32 v[199:200], v[197:198]
	v_fma_f64 v[201:202], -v[197:198], v[199:200], 1.0
	v_fma_f64 v[199:200], v[199:200], v[201:202], v[199:200]
	v_fma_f64 v[201:202], -v[197:198], v[199:200], 1.0
	v_fma_f64 v[199:200], v[199:200], v[201:202], v[199:200]
	v_mul_f64 v[201:202], v[203:204], v[199:200]
	v_fma_f64 v[197:198], -v[197:198], v[201:202], v[203:204]
	v_div_fmas_f64 v[197:198], v[197:198], v[199:200], v[201:202]
	v_div_fixup_f64 v[197:198], v[197:198], v[195:196], v[193:194]
	v_fma_f64 v[193:194], v[193:194], v[197:198], v[195:196]
	v_div_scale_f64 v[195:196], null, v[193:194], v[193:194], 1.0
	v_rcp_f64_e32 v[199:200], v[195:196]
	v_fma_f64 v[201:202], -v[195:196], v[199:200], 1.0
	v_fma_f64 v[199:200], v[199:200], v[201:202], v[199:200]
	v_fma_f64 v[201:202], -v[195:196], v[199:200], 1.0
	v_fma_f64 v[199:200], v[199:200], v[201:202], v[199:200]
	v_div_scale_f64 v[201:202], vcc_lo, 1.0, v[193:194], 1.0
	v_mul_f64 v[203:204], v[201:202], v[199:200]
	v_fma_f64 v[195:196], -v[195:196], v[203:204], v[201:202]
	v_div_fmas_f64 v[195:196], v[195:196], v[199:200], v[203:204]
	v_div_fixup_f64 v[199:200], v[195:196], v[193:194], 1.0
                                        ; implicit-def: $vgpr193_vgpr194
	v_mul_f64 v[197:198], v[197:198], v[199:200]
	v_xor_b32_e32 v200, 0x80000000, v200
.LBB95_365:
	s_andn2_saveexec_b32 s1, s1
	s_cbranch_execz .LBB95_367
; %bb.366:
	v_div_scale_f64 v[197:198], null, v[193:194], v[193:194], v[195:196]
	v_div_scale_f64 v[203:204], vcc_lo, v[195:196], v[193:194], v[195:196]
	v_rcp_f64_e32 v[199:200], v[197:198]
	v_fma_f64 v[201:202], -v[197:198], v[199:200], 1.0
	v_fma_f64 v[199:200], v[199:200], v[201:202], v[199:200]
	v_fma_f64 v[201:202], -v[197:198], v[199:200], 1.0
	v_fma_f64 v[199:200], v[199:200], v[201:202], v[199:200]
	v_mul_f64 v[201:202], v[203:204], v[199:200]
	v_fma_f64 v[197:198], -v[197:198], v[201:202], v[203:204]
	v_div_fmas_f64 v[197:198], v[197:198], v[199:200], v[201:202]
	v_div_fixup_f64 v[199:200], v[197:198], v[193:194], v[195:196]
	v_fma_f64 v[193:194], v[195:196], v[199:200], v[193:194]
	v_div_scale_f64 v[195:196], null, v[193:194], v[193:194], 1.0
	v_rcp_f64_e32 v[197:198], v[195:196]
	v_fma_f64 v[201:202], -v[195:196], v[197:198], 1.0
	v_fma_f64 v[197:198], v[197:198], v[201:202], v[197:198]
	v_fma_f64 v[201:202], -v[195:196], v[197:198], 1.0
	v_fma_f64 v[197:198], v[197:198], v[201:202], v[197:198]
	v_div_scale_f64 v[201:202], vcc_lo, 1.0, v[193:194], 1.0
	v_mul_f64 v[203:204], v[201:202], v[197:198]
	v_fma_f64 v[195:196], -v[195:196], v[203:204], v[201:202]
	v_div_fmas_f64 v[195:196], v[195:196], v[197:198], v[203:204]
	v_div_fixup_f64 v[197:198], v[195:196], v[193:194], 1.0
	v_mul_f64 v[199:200], v[199:200], -v[197:198]
.LBB95_367:
	s_or_b32 exec_lo, exec_lo, s1
	ds_write2_b64 v255, v[197:198], v[199:200] offset1:1
.LBB95_368:
	s_or_b32 exec_lo, exec_lo, s2
	s_waitcnt lgkmcnt(0)
	s_barrier
	buffer_gl0_inv
	ds_read2_b64 v[193:196], v255 offset1:1
	s_mov_b32 s1, exec_lo
	s_waitcnt lgkmcnt(0)
	buffer_store_dword v193, off, s[16:19], 0 offset:848 ; 4-byte Folded Spill
	buffer_store_dword v194, off, s[16:19], 0 offset:852 ; 4-byte Folded Spill
	;; [unrolled: 1-line block ×4, first 2 shown]
	v_cmpx_lt_u32_e32 40, v0
	s_cbranch_execz .LBB95_370
; %bb.369:
	s_clause 0x3
	buffer_load_dword v199, off, s[16:19], 0 offset:848
	buffer_load_dword v200, off, s[16:19], 0 offset:852
	;; [unrolled: 1-line block ×4, first 2 shown]
	s_waitcnt vmcnt(2)
	v_mul_f64 v[193:194], v[199:200], v[31:32]
	s_waitcnt vmcnt(0)
	v_mul_f64 v[31:32], v[201:202], v[31:32]
	v_fma_f64 v[197:198], v[201:202], v[29:30], v[193:194]
	ds_read2_b64 v[193:196], v253 offset0:82 offset1:83
	v_fma_f64 v[29:30], v[199:200], v[29:30], -v[31:32]
	s_waitcnt lgkmcnt(0)
	v_mul_f64 v[31:32], v[195:196], v[197:198]
	v_fma_f64 v[31:32], v[193:194], v[29:30], -v[31:32]
	v_mul_f64 v[193:194], v[193:194], v[197:198]
	v_add_f64 v[25:26], v[25:26], -v[31:32]
	v_fma_f64 v[193:194], v[195:196], v[29:30], v[193:194]
	v_add_f64 v[27:28], v[27:28], -v[193:194]
	ds_read2_b64 v[193:196], v253 offset0:84 offset1:85
	s_waitcnt lgkmcnt(0)
	v_mul_f64 v[31:32], v[195:196], v[197:198]
	v_fma_f64 v[31:32], v[193:194], v[29:30], -v[31:32]
	v_mul_f64 v[193:194], v[193:194], v[197:198]
	v_add_f64 v[21:22], v[21:22], -v[31:32]
	v_fma_f64 v[193:194], v[195:196], v[29:30], v[193:194]
	v_add_f64 v[23:24], v[23:24], -v[193:194]
	ds_read2_b64 v[193:196], v253 offset0:86 offset1:87
	;; [unrolled: 8-line block ×6, first 2 shown]
	s_waitcnt lgkmcnt(0)
	v_mul_f64 v[31:32], v[195:196], v[197:198]
	v_fma_f64 v[31:32], v[193:194], v[29:30], -v[31:32]
	v_mul_f64 v[193:194], v[193:194], v[197:198]
	v_add_f64 v[1:2], v[1:2], -v[31:32]
	v_fma_f64 v[193:194], v[195:196], v[29:30], v[193:194]
	v_mov_b32_e32 v31, v197
	v_mov_b32_e32 v32, v198
	v_add_f64 v[3:4], v[3:4], -v[193:194]
.LBB95_370:
	s_or_b32 exec_lo, exec_lo, s1
	s_mov_b32 s2, exec_lo
	s_waitcnt_vscnt null, 0x0
	s_barrier
	buffer_gl0_inv
	v_cmpx_eq_u32_e32 41, v0
	s_cbranch_execz .LBB95_377
; %bb.371:
	ds_write2_b64 v255, v[25:26], v[27:28] offset1:1
	ds_write2_b64 v253, v[21:22], v[23:24] offset0:84 offset1:85
	ds_write2_b64 v253, v[17:18], v[19:20] offset0:86 offset1:87
	;; [unrolled: 1-line block ×6, first 2 shown]
	ds_read2_b64 v[193:196], v255 offset1:1
	s_waitcnt lgkmcnt(0)
	v_cmp_neq_f64_e32 vcc_lo, 0, v[193:194]
	v_cmp_neq_f64_e64 s1, 0, v[195:196]
	s_or_b32 s1, vcc_lo, s1
	s_and_b32 exec_lo, exec_lo, s1
	s_cbranch_execz .LBB95_377
; %bb.372:
	v_cmp_ngt_f64_e64 s1, |v[193:194]|, |v[195:196]|
                                        ; implicit-def: $vgpr197_vgpr198
	s_and_saveexec_b32 s3, s1
	s_xor_b32 s1, exec_lo, s3
                                        ; implicit-def: $vgpr199_vgpr200
	s_cbranch_execz .LBB95_374
; %bb.373:
	v_div_scale_f64 v[197:198], null, v[195:196], v[195:196], v[193:194]
	v_div_scale_f64 v[203:204], vcc_lo, v[193:194], v[195:196], v[193:194]
	v_rcp_f64_e32 v[199:200], v[197:198]
	v_fma_f64 v[201:202], -v[197:198], v[199:200], 1.0
	v_fma_f64 v[199:200], v[199:200], v[201:202], v[199:200]
	v_fma_f64 v[201:202], -v[197:198], v[199:200], 1.0
	v_fma_f64 v[199:200], v[199:200], v[201:202], v[199:200]
	v_mul_f64 v[201:202], v[203:204], v[199:200]
	v_fma_f64 v[197:198], -v[197:198], v[201:202], v[203:204]
	v_div_fmas_f64 v[197:198], v[197:198], v[199:200], v[201:202]
	v_div_fixup_f64 v[197:198], v[197:198], v[195:196], v[193:194]
	v_fma_f64 v[193:194], v[193:194], v[197:198], v[195:196]
	v_div_scale_f64 v[195:196], null, v[193:194], v[193:194], 1.0
	v_rcp_f64_e32 v[199:200], v[195:196]
	v_fma_f64 v[201:202], -v[195:196], v[199:200], 1.0
	v_fma_f64 v[199:200], v[199:200], v[201:202], v[199:200]
	v_fma_f64 v[201:202], -v[195:196], v[199:200], 1.0
	v_fma_f64 v[199:200], v[199:200], v[201:202], v[199:200]
	v_div_scale_f64 v[201:202], vcc_lo, 1.0, v[193:194], 1.0
	v_mul_f64 v[203:204], v[201:202], v[199:200]
	v_fma_f64 v[195:196], -v[195:196], v[203:204], v[201:202]
	v_div_fmas_f64 v[195:196], v[195:196], v[199:200], v[203:204]
	v_div_fixup_f64 v[199:200], v[195:196], v[193:194], 1.0
                                        ; implicit-def: $vgpr193_vgpr194
	v_mul_f64 v[197:198], v[197:198], v[199:200]
	v_xor_b32_e32 v200, 0x80000000, v200
.LBB95_374:
	s_andn2_saveexec_b32 s1, s1
	s_cbranch_execz .LBB95_376
; %bb.375:
	v_div_scale_f64 v[197:198], null, v[193:194], v[193:194], v[195:196]
	v_div_scale_f64 v[203:204], vcc_lo, v[195:196], v[193:194], v[195:196]
	v_rcp_f64_e32 v[199:200], v[197:198]
	v_fma_f64 v[201:202], -v[197:198], v[199:200], 1.0
	v_fma_f64 v[199:200], v[199:200], v[201:202], v[199:200]
	v_fma_f64 v[201:202], -v[197:198], v[199:200], 1.0
	v_fma_f64 v[199:200], v[199:200], v[201:202], v[199:200]
	v_mul_f64 v[201:202], v[203:204], v[199:200]
	v_fma_f64 v[197:198], -v[197:198], v[201:202], v[203:204]
	v_div_fmas_f64 v[197:198], v[197:198], v[199:200], v[201:202]
	v_div_fixup_f64 v[199:200], v[197:198], v[193:194], v[195:196]
	v_fma_f64 v[193:194], v[195:196], v[199:200], v[193:194]
	v_div_scale_f64 v[195:196], null, v[193:194], v[193:194], 1.0
	v_rcp_f64_e32 v[197:198], v[195:196]
	v_fma_f64 v[201:202], -v[195:196], v[197:198], 1.0
	v_fma_f64 v[197:198], v[197:198], v[201:202], v[197:198]
	v_fma_f64 v[201:202], -v[195:196], v[197:198], 1.0
	v_fma_f64 v[197:198], v[197:198], v[201:202], v[197:198]
	v_div_scale_f64 v[201:202], vcc_lo, 1.0, v[193:194], 1.0
	v_mul_f64 v[203:204], v[201:202], v[197:198]
	v_fma_f64 v[195:196], -v[195:196], v[203:204], v[201:202]
	v_div_fmas_f64 v[195:196], v[195:196], v[197:198], v[203:204]
	v_div_fixup_f64 v[197:198], v[195:196], v[193:194], 1.0
	v_mul_f64 v[199:200], v[199:200], -v[197:198]
.LBB95_376:
	s_or_b32 exec_lo, exec_lo, s1
	ds_write2_b64 v255, v[197:198], v[199:200] offset1:1
.LBB95_377:
	s_or_b32 exec_lo, exec_lo, s2
	s_waitcnt lgkmcnt(0)
	s_barrier
	buffer_gl0_inv
	ds_read2_b64 v[193:196], v255 offset1:1
	s_mov_b32 s1, exec_lo
	s_waitcnt lgkmcnt(0)
	buffer_store_dword v193, off, s[16:19], 0 offset:864 ; 4-byte Folded Spill
	buffer_store_dword v194, off, s[16:19], 0 offset:868 ; 4-byte Folded Spill
	;; [unrolled: 1-line block ×4, first 2 shown]
	v_cmpx_lt_u32_e32 41, v0
	s_cbranch_execz .LBB95_379
; %bb.378:
	s_clause 0x3
	buffer_load_dword v199, off, s[16:19], 0 offset:864
	buffer_load_dword v200, off, s[16:19], 0 offset:868
	;; [unrolled: 1-line block ×4, first 2 shown]
	s_waitcnt vmcnt(2)
	v_mul_f64 v[193:194], v[199:200], v[27:28]
	s_waitcnt vmcnt(0)
	v_mul_f64 v[27:28], v[201:202], v[27:28]
	v_fma_f64 v[197:198], v[201:202], v[25:26], v[193:194]
	ds_read2_b64 v[193:196], v253 offset0:84 offset1:85
	v_fma_f64 v[25:26], v[199:200], v[25:26], -v[27:28]
	s_waitcnt lgkmcnt(0)
	v_mul_f64 v[27:28], v[195:196], v[197:198]
	v_fma_f64 v[27:28], v[193:194], v[25:26], -v[27:28]
	v_mul_f64 v[193:194], v[193:194], v[197:198]
	v_add_f64 v[21:22], v[21:22], -v[27:28]
	v_fma_f64 v[193:194], v[195:196], v[25:26], v[193:194]
	v_add_f64 v[23:24], v[23:24], -v[193:194]
	ds_read2_b64 v[193:196], v253 offset0:86 offset1:87
	s_waitcnt lgkmcnt(0)
	v_mul_f64 v[27:28], v[195:196], v[197:198]
	v_fma_f64 v[27:28], v[193:194], v[25:26], -v[27:28]
	v_mul_f64 v[193:194], v[193:194], v[197:198]
	v_add_f64 v[17:18], v[17:18], -v[27:28]
	v_fma_f64 v[193:194], v[195:196], v[25:26], v[193:194]
	v_add_f64 v[19:20], v[19:20], -v[193:194]
	ds_read2_b64 v[193:196], v253 offset0:88 offset1:89
	s_waitcnt lgkmcnt(0)
	v_mul_f64 v[27:28], v[195:196], v[197:198]
	v_fma_f64 v[27:28], v[193:194], v[25:26], -v[27:28]
	v_mul_f64 v[193:194], v[193:194], v[197:198]
	v_add_f64 v[13:14], v[13:14], -v[27:28]
	v_fma_f64 v[193:194], v[195:196], v[25:26], v[193:194]
	v_add_f64 v[15:16], v[15:16], -v[193:194]
	ds_read2_b64 v[193:196], v253 offset0:90 offset1:91
	s_waitcnt lgkmcnt(0)
	v_mul_f64 v[27:28], v[195:196], v[197:198]
	v_fma_f64 v[27:28], v[193:194], v[25:26], -v[27:28]
	v_mul_f64 v[193:194], v[193:194], v[197:198]
	v_add_f64 v[9:10], v[9:10], -v[27:28]
	v_fma_f64 v[193:194], v[195:196], v[25:26], v[193:194]
	v_add_f64 v[11:12], v[11:12], -v[193:194]
	ds_read2_b64 v[193:196], v253 offset0:92 offset1:93
	s_waitcnt lgkmcnt(0)
	v_mul_f64 v[27:28], v[195:196], v[197:198]
	v_fma_f64 v[27:28], v[193:194], v[25:26], -v[27:28]
	v_mul_f64 v[193:194], v[193:194], v[197:198]
	v_add_f64 v[5:6], v[5:6], -v[27:28]
	v_fma_f64 v[193:194], v[195:196], v[25:26], v[193:194]
	v_add_f64 v[7:8], v[7:8], -v[193:194]
	ds_read2_b64 v[193:196], v253 offset0:94 offset1:95
	s_waitcnt lgkmcnt(0)
	v_mul_f64 v[27:28], v[195:196], v[197:198]
	v_fma_f64 v[27:28], v[193:194], v[25:26], -v[27:28]
	v_mul_f64 v[193:194], v[193:194], v[197:198]
	v_add_f64 v[1:2], v[1:2], -v[27:28]
	v_fma_f64 v[193:194], v[195:196], v[25:26], v[193:194]
	v_mov_b32_e32 v27, v197
	v_mov_b32_e32 v28, v198
	v_add_f64 v[3:4], v[3:4], -v[193:194]
.LBB95_379:
	s_or_b32 exec_lo, exec_lo, s1
	s_mov_b32 s2, exec_lo
	s_waitcnt_vscnt null, 0x0
	s_barrier
	buffer_gl0_inv
	v_cmpx_eq_u32_e32 42, v0
	s_cbranch_execz .LBB95_386
; %bb.380:
	ds_write2_b64 v255, v[21:22], v[23:24] offset1:1
	ds_write2_b64 v253, v[17:18], v[19:20] offset0:86 offset1:87
	ds_write2_b64 v253, v[13:14], v[15:16] offset0:88 offset1:89
	;; [unrolled: 1-line block ×5, first 2 shown]
	ds_read2_b64 v[193:196], v255 offset1:1
	s_waitcnt lgkmcnt(0)
	v_cmp_neq_f64_e32 vcc_lo, 0, v[193:194]
	v_cmp_neq_f64_e64 s1, 0, v[195:196]
	s_or_b32 s1, vcc_lo, s1
	s_and_b32 exec_lo, exec_lo, s1
	s_cbranch_execz .LBB95_386
; %bb.381:
	v_cmp_ngt_f64_e64 s1, |v[193:194]|, |v[195:196]|
                                        ; implicit-def: $vgpr197_vgpr198
	s_and_saveexec_b32 s3, s1
	s_xor_b32 s1, exec_lo, s3
                                        ; implicit-def: $vgpr199_vgpr200
	s_cbranch_execz .LBB95_383
; %bb.382:
	v_div_scale_f64 v[197:198], null, v[195:196], v[195:196], v[193:194]
	v_div_scale_f64 v[203:204], vcc_lo, v[193:194], v[195:196], v[193:194]
	v_rcp_f64_e32 v[199:200], v[197:198]
	v_fma_f64 v[201:202], -v[197:198], v[199:200], 1.0
	v_fma_f64 v[199:200], v[199:200], v[201:202], v[199:200]
	v_fma_f64 v[201:202], -v[197:198], v[199:200], 1.0
	v_fma_f64 v[199:200], v[199:200], v[201:202], v[199:200]
	v_mul_f64 v[201:202], v[203:204], v[199:200]
	v_fma_f64 v[197:198], -v[197:198], v[201:202], v[203:204]
	v_div_fmas_f64 v[197:198], v[197:198], v[199:200], v[201:202]
	v_div_fixup_f64 v[197:198], v[197:198], v[195:196], v[193:194]
	v_fma_f64 v[193:194], v[193:194], v[197:198], v[195:196]
	v_div_scale_f64 v[195:196], null, v[193:194], v[193:194], 1.0
	v_rcp_f64_e32 v[199:200], v[195:196]
	v_fma_f64 v[201:202], -v[195:196], v[199:200], 1.0
	v_fma_f64 v[199:200], v[199:200], v[201:202], v[199:200]
	v_fma_f64 v[201:202], -v[195:196], v[199:200], 1.0
	v_fma_f64 v[199:200], v[199:200], v[201:202], v[199:200]
	v_div_scale_f64 v[201:202], vcc_lo, 1.0, v[193:194], 1.0
	v_mul_f64 v[203:204], v[201:202], v[199:200]
	v_fma_f64 v[195:196], -v[195:196], v[203:204], v[201:202]
	v_div_fmas_f64 v[195:196], v[195:196], v[199:200], v[203:204]
	v_div_fixup_f64 v[199:200], v[195:196], v[193:194], 1.0
                                        ; implicit-def: $vgpr193_vgpr194
	v_mul_f64 v[197:198], v[197:198], v[199:200]
	v_xor_b32_e32 v200, 0x80000000, v200
.LBB95_383:
	s_andn2_saveexec_b32 s1, s1
	s_cbranch_execz .LBB95_385
; %bb.384:
	v_div_scale_f64 v[197:198], null, v[193:194], v[193:194], v[195:196]
	v_div_scale_f64 v[203:204], vcc_lo, v[195:196], v[193:194], v[195:196]
	v_rcp_f64_e32 v[199:200], v[197:198]
	v_fma_f64 v[201:202], -v[197:198], v[199:200], 1.0
	v_fma_f64 v[199:200], v[199:200], v[201:202], v[199:200]
	v_fma_f64 v[201:202], -v[197:198], v[199:200], 1.0
	v_fma_f64 v[199:200], v[199:200], v[201:202], v[199:200]
	v_mul_f64 v[201:202], v[203:204], v[199:200]
	v_fma_f64 v[197:198], -v[197:198], v[201:202], v[203:204]
	v_div_fmas_f64 v[197:198], v[197:198], v[199:200], v[201:202]
	v_div_fixup_f64 v[199:200], v[197:198], v[193:194], v[195:196]
	v_fma_f64 v[193:194], v[195:196], v[199:200], v[193:194]
	v_div_scale_f64 v[195:196], null, v[193:194], v[193:194], 1.0
	v_rcp_f64_e32 v[197:198], v[195:196]
	v_fma_f64 v[201:202], -v[195:196], v[197:198], 1.0
	v_fma_f64 v[197:198], v[197:198], v[201:202], v[197:198]
	v_fma_f64 v[201:202], -v[195:196], v[197:198], 1.0
	v_fma_f64 v[197:198], v[197:198], v[201:202], v[197:198]
	v_div_scale_f64 v[201:202], vcc_lo, 1.0, v[193:194], 1.0
	v_mul_f64 v[203:204], v[201:202], v[197:198]
	v_fma_f64 v[195:196], -v[195:196], v[203:204], v[201:202]
	v_div_fmas_f64 v[195:196], v[195:196], v[197:198], v[203:204]
	v_div_fixup_f64 v[197:198], v[195:196], v[193:194], 1.0
	v_mul_f64 v[199:200], v[199:200], -v[197:198]
.LBB95_385:
	s_or_b32 exec_lo, exec_lo, s1
	ds_write2_b64 v255, v[197:198], v[199:200] offset1:1
.LBB95_386:
	s_or_b32 exec_lo, exec_lo, s2
	s_waitcnt lgkmcnt(0)
	s_barrier
	buffer_gl0_inv
	ds_read2_b64 v[193:196], v255 offset1:1
	s_mov_b32 s1, exec_lo
	s_waitcnt lgkmcnt(0)
	buffer_store_dword v193, off, s[16:19], 0 offset:880 ; 4-byte Folded Spill
	buffer_store_dword v194, off, s[16:19], 0 offset:884 ; 4-byte Folded Spill
	;; [unrolled: 1-line block ×4, first 2 shown]
	v_cmpx_lt_u32_e32 42, v0
	s_cbranch_execz .LBB95_388
; %bb.387:
	s_clause 0x3
	buffer_load_dword v199, off, s[16:19], 0 offset:880
	buffer_load_dword v200, off, s[16:19], 0 offset:884
	;; [unrolled: 1-line block ×4, first 2 shown]
	s_waitcnt vmcnt(2)
	v_mul_f64 v[193:194], v[199:200], v[23:24]
	s_waitcnt vmcnt(0)
	v_mul_f64 v[23:24], v[201:202], v[23:24]
	v_fma_f64 v[197:198], v[201:202], v[21:22], v[193:194]
	ds_read2_b64 v[193:196], v253 offset0:86 offset1:87
	v_fma_f64 v[21:22], v[199:200], v[21:22], -v[23:24]
	s_waitcnt lgkmcnt(0)
	v_mul_f64 v[23:24], v[195:196], v[197:198]
	v_fma_f64 v[23:24], v[193:194], v[21:22], -v[23:24]
	v_mul_f64 v[193:194], v[193:194], v[197:198]
	v_add_f64 v[17:18], v[17:18], -v[23:24]
	v_fma_f64 v[193:194], v[195:196], v[21:22], v[193:194]
	v_add_f64 v[19:20], v[19:20], -v[193:194]
	ds_read2_b64 v[193:196], v253 offset0:88 offset1:89
	s_waitcnt lgkmcnt(0)
	v_mul_f64 v[23:24], v[195:196], v[197:198]
	v_fma_f64 v[23:24], v[193:194], v[21:22], -v[23:24]
	v_mul_f64 v[193:194], v[193:194], v[197:198]
	v_add_f64 v[13:14], v[13:14], -v[23:24]
	v_fma_f64 v[193:194], v[195:196], v[21:22], v[193:194]
	v_add_f64 v[15:16], v[15:16], -v[193:194]
	ds_read2_b64 v[193:196], v253 offset0:90 offset1:91
	;; [unrolled: 8-line block ×4, first 2 shown]
	s_waitcnt lgkmcnt(0)
	v_mul_f64 v[23:24], v[195:196], v[197:198]
	v_fma_f64 v[23:24], v[193:194], v[21:22], -v[23:24]
	v_mul_f64 v[193:194], v[193:194], v[197:198]
	v_add_f64 v[1:2], v[1:2], -v[23:24]
	v_fma_f64 v[193:194], v[195:196], v[21:22], v[193:194]
	v_mov_b32_e32 v23, v197
	v_mov_b32_e32 v24, v198
	v_add_f64 v[3:4], v[3:4], -v[193:194]
.LBB95_388:
	s_or_b32 exec_lo, exec_lo, s1
	s_mov_b32 s2, exec_lo
	s_waitcnt_vscnt null, 0x0
	s_barrier
	buffer_gl0_inv
	v_cmpx_eq_u32_e32 43, v0
	s_cbranch_execz .LBB95_395
; %bb.389:
	ds_write2_b64 v255, v[17:18], v[19:20] offset1:1
	ds_write2_b64 v253, v[13:14], v[15:16] offset0:88 offset1:89
	ds_write2_b64 v253, v[9:10], v[11:12] offset0:90 offset1:91
	;; [unrolled: 1-line block ×4, first 2 shown]
	ds_read2_b64 v[193:196], v255 offset1:1
	s_waitcnt lgkmcnt(0)
	v_cmp_neq_f64_e32 vcc_lo, 0, v[193:194]
	v_cmp_neq_f64_e64 s1, 0, v[195:196]
	s_or_b32 s1, vcc_lo, s1
	s_and_b32 exec_lo, exec_lo, s1
	s_cbranch_execz .LBB95_395
; %bb.390:
	v_cmp_ngt_f64_e64 s1, |v[193:194]|, |v[195:196]|
                                        ; implicit-def: $vgpr197_vgpr198
	s_and_saveexec_b32 s3, s1
	s_xor_b32 s1, exec_lo, s3
                                        ; implicit-def: $vgpr199_vgpr200
	s_cbranch_execz .LBB95_392
; %bb.391:
	v_div_scale_f64 v[197:198], null, v[195:196], v[195:196], v[193:194]
	v_div_scale_f64 v[203:204], vcc_lo, v[193:194], v[195:196], v[193:194]
	v_rcp_f64_e32 v[199:200], v[197:198]
	v_fma_f64 v[201:202], -v[197:198], v[199:200], 1.0
	v_fma_f64 v[199:200], v[199:200], v[201:202], v[199:200]
	v_fma_f64 v[201:202], -v[197:198], v[199:200], 1.0
	v_fma_f64 v[199:200], v[199:200], v[201:202], v[199:200]
	v_mul_f64 v[201:202], v[203:204], v[199:200]
	v_fma_f64 v[197:198], -v[197:198], v[201:202], v[203:204]
	v_div_fmas_f64 v[197:198], v[197:198], v[199:200], v[201:202]
	v_div_fixup_f64 v[197:198], v[197:198], v[195:196], v[193:194]
	v_fma_f64 v[193:194], v[193:194], v[197:198], v[195:196]
	v_div_scale_f64 v[195:196], null, v[193:194], v[193:194], 1.0
	v_rcp_f64_e32 v[199:200], v[195:196]
	v_fma_f64 v[201:202], -v[195:196], v[199:200], 1.0
	v_fma_f64 v[199:200], v[199:200], v[201:202], v[199:200]
	v_fma_f64 v[201:202], -v[195:196], v[199:200], 1.0
	v_fma_f64 v[199:200], v[199:200], v[201:202], v[199:200]
	v_div_scale_f64 v[201:202], vcc_lo, 1.0, v[193:194], 1.0
	v_mul_f64 v[203:204], v[201:202], v[199:200]
	v_fma_f64 v[195:196], -v[195:196], v[203:204], v[201:202]
	v_div_fmas_f64 v[195:196], v[195:196], v[199:200], v[203:204]
	v_div_fixup_f64 v[199:200], v[195:196], v[193:194], 1.0
                                        ; implicit-def: $vgpr193_vgpr194
	v_mul_f64 v[197:198], v[197:198], v[199:200]
	v_xor_b32_e32 v200, 0x80000000, v200
.LBB95_392:
	s_andn2_saveexec_b32 s1, s1
	s_cbranch_execz .LBB95_394
; %bb.393:
	v_div_scale_f64 v[197:198], null, v[193:194], v[193:194], v[195:196]
	v_div_scale_f64 v[203:204], vcc_lo, v[195:196], v[193:194], v[195:196]
	v_rcp_f64_e32 v[199:200], v[197:198]
	v_fma_f64 v[201:202], -v[197:198], v[199:200], 1.0
	v_fma_f64 v[199:200], v[199:200], v[201:202], v[199:200]
	v_fma_f64 v[201:202], -v[197:198], v[199:200], 1.0
	v_fma_f64 v[199:200], v[199:200], v[201:202], v[199:200]
	v_mul_f64 v[201:202], v[203:204], v[199:200]
	v_fma_f64 v[197:198], -v[197:198], v[201:202], v[203:204]
	v_div_fmas_f64 v[197:198], v[197:198], v[199:200], v[201:202]
	v_div_fixup_f64 v[199:200], v[197:198], v[193:194], v[195:196]
	v_fma_f64 v[193:194], v[195:196], v[199:200], v[193:194]
	v_div_scale_f64 v[195:196], null, v[193:194], v[193:194], 1.0
	v_rcp_f64_e32 v[197:198], v[195:196]
	v_fma_f64 v[201:202], -v[195:196], v[197:198], 1.0
	v_fma_f64 v[197:198], v[197:198], v[201:202], v[197:198]
	v_fma_f64 v[201:202], -v[195:196], v[197:198], 1.0
	v_fma_f64 v[197:198], v[197:198], v[201:202], v[197:198]
	v_div_scale_f64 v[201:202], vcc_lo, 1.0, v[193:194], 1.0
	v_mul_f64 v[203:204], v[201:202], v[197:198]
	v_fma_f64 v[195:196], -v[195:196], v[203:204], v[201:202]
	v_div_fmas_f64 v[195:196], v[195:196], v[197:198], v[203:204]
	v_div_fixup_f64 v[197:198], v[195:196], v[193:194], 1.0
	v_mul_f64 v[199:200], v[199:200], -v[197:198]
.LBB95_394:
	s_or_b32 exec_lo, exec_lo, s1
	ds_write2_b64 v255, v[197:198], v[199:200] offset1:1
.LBB95_395:
	s_or_b32 exec_lo, exec_lo, s2
	s_waitcnt lgkmcnt(0)
	s_barrier
	buffer_gl0_inv
	ds_read2_b64 v[193:196], v255 offset1:1
	s_mov_b32 s1, exec_lo
	s_waitcnt lgkmcnt(0)
	buffer_store_dword v193, off, s[16:19], 0 offset:896 ; 4-byte Folded Spill
	buffer_store_dword v194, off, s[16:19], 0 offset:900 ; 4-byte Folded Spill
	;; [unrolled: 1-line block ×4, first 2 shown]
	v_cmpx_lt_u32_e32 43, v0
	s_cbranch_execz .LBB95_397
; %bb.396:
	s_clause 0x3
	buffer_load_dword v199, off, s[16:19], 0 offset:896
	buffer_load_dword v200, off, s[16:19], 0 offset:900
	;; [unrolled: 1-line block ×4, first 2 shown]
	s_waitcnt vmcnt(2)
	v_mul_f64 v[193:194], v[199:200], v[19:20]
	s_waitcnt vmcnt(0)
	v_mul_f64 v[19:20], v[201:202], v[19:20]
	v_fma_f64 v[197:198], v[201:202], v[17:18], v[193:194]
	ds_read2_b64 v[193:196], v253 offset0:88 offset1:89
	v_fma_f64 v[17:18], v[199:200], v[17:18], -v[19:20]
	s_waitcnt lgkmcnt(0)
	v_mul_f64 v[19:20], v[195:196], v[197:198]
	v_fma_f64 v[19:20], v[193:194], v[17:18], -v[19:20]
	v_mul_f64 v[193:194], v[193:194], v[197:198]
	v_add_f64 v[13:14], v[13:14], -v[19:20]
	v_fma_f64 v[193:194], v[195:196], v[17:18], v[193:194]
	v_add_f64 v[15:16], v[15:16], -v[193:194]
	ds_read2_b64 v[193:196], v253 offset0:90 offset1:91
	s_waitcnt lgkmcnt(0)
	v_mul_f64 v[19:20], v[195:196], v[197:198]
	v_fma_f64 v[19:20], v[193:194], v[17:18], -v[19:20]
	v_mul_f64 v[193:194], v[193:194], v[197:198]
	v_add_f64 v[9:10], v[9:10], -v[19:20]
	v_fma_f64 v[193:194], v[195:196], v[17:18], v[193:194]
	v_add_f64 v[11:12], v[11:12], -v[193:194]
	ds_read2_b64 v[193:196], v253 offset0:92 offset1:93
	s_waitcnt lgkmcnt(0)
	v_mul_f64 v[19:20], v[195:196], v[197:198]
	v_fma_f64 v[19:20], v[193:194], v[17:18], -v[19:20]
	v_mul_f64 v[193:194], v[193:194], v[197:198]
	v_add_f64 v[5:6], v[5:6], -v[19:20]
	v_fma_f64 v[193:194], v[195:196], v[17:18], v[193:194]
	v_add_f64 v[7:8], v[7:8], -v[193:194]
	ds_read2_b64 v[193:196], v253 offset0:94 offset1:95
	s_waitcnt lgkmcnt(0)
	v_mul_f64 v[19:20], v[195:196], v[197:198]
	v_fma_f64 v[19:20], v[193:194], v[17:18], -v[19:20]
	v_mul_f64 v[193:194], v[193:194], v[197:198]
	v_add_f64 v[1:2], v[1:2], -v[19:20]
	v_fma_f64 v[193:194], v[195:196], v[17:18], v[193:194]
	v_mov_b32_e32 v19, v197
	v_mov_b32_e32 v20, v198
	v_add_f64 v[3:4], v[3:4], -v[193:194]
.LBB95_397:
	s_or_b32 exec_lo, exec_lo, s1
	s_mov_b32 s2, exec_lo
	s_waitcnt_vscnt null, 0x0
	s_barrier
	buffer_gl0_inv
	v_cmpx_eq_u32_e32 44, v0
	s_cbranch_execz .LBB95_404
; %bb.398:
	ds_write2_b64 v255, v[13:14], v[15:16] offset1:1
	ds_write2_b64 v253, v[9:10], v[11:12] offset0:90 offset1:91
	ds_write2_b64 v253, v[5:6], v[7:8] offset0:92 offset1:93
	;; [unrolled: 1-line block ×3, first 2 shown]
	ds_read2_b64 v[193:196], v255 offset1:1
	s_waitcnt lgkmcnt(0)
	v_cmp_neq_f64_e32 vcc_lo, 0, v[193:194]
	v_cmp_neq_f64_e64 s1, 0, v[195:196]
	s_or_b32 s1, vcc_lo, s1
	s_and_b32 exec_lo, exec_lo, s1
	s_cbranch_execz .LBB95_404
; %bb.399:
	v_cmp_ngt_f64_e64 s1, |v[193:194]|, |v[195:196]|
                                        ; implicit-def: $vgpr197_vgpr198
	s_and_saveexec_b32 s3, s1
	s_xor_b32 s1, exec_lo, s3
                                        ; implicit-def: $vgpr199_vgpr200
	s_cbranch_execz .LBB95_401
; %bb.400:
	v_div_scale_f64 v[197:198], null, v[195:196], v[195:196], v[193:194]
	v_div_scale_f64 v[203:204], vcc_lo, v[193:194], v[195:196], v[193:194]
	v_rcp_f64_e32 v[199:200], v[197:198]
	v_fma_f64 v[201:202], -v[197:198], v[199:200], 1.0
	v_fma_f64 v[199:200], v[199:200], v[201:202], v[199:200]
	v_fma_f64 v[201:202], -v[197:198], v[199:200], 1.0
	v_fma_f64 v[199:200], v[199:200], v[201:202], v[199:200]
	v_mul_f64 v[201:202], v[203:204], v[199:200]
	v_fma_f64 v[197:198], -v[197:198], v[201:202], v[203:204]
	v_div_fmas_f64 v[197:198], v[197:198], v[199:200], v[201:202]
	v_div_fixup_f64 v[197:198], v[197:198], v[195:196], v[193:194]
	v_fma_f64 v[193:194], v[193:194], v[197:198], v[195:196]
	v_div_scale_f64 v[195:196], null, v[193:194], v[193:194], 1.0
	v_rcp_f64_e32 v[199:200], v[195:196]
	v_fma_f64 v[201:202], -v[195:196], v[199:200], 1.0
	v_fma_f64 v[199:200], v[199:200], v[201:202], v[199:200]
	v_fma_f64 v[201:202], -v[195:196], v[199:200], 1.0
	v_fma_f64 v[199:200], v[199:200], v[201:202], v[199:200]
	v_div_scale_f64 v[201:202], vcc_lo, 1.0, v[193:194], 1.0
	v_mul_f64 v[203:204], v[201:202], v[199:200]
	v_fma_f64 v[195:196], -v[195:196], v[203:204], v[201:202]
	v_div_fmas_f64 v[195:196], v[195:196], v[199:200], v[203:204]
	v_div_fixup_f64 v[199:200], v[195:196], v[193:194], 1.0
                                        ; implicit-def: $vgpr193_vgpr194
	v_mul_f64 v[197:198], v[197:198], v[199:200]
	v_xor_b32_e32 v200, 0x80000000, v200
.LBB95_401:
	s_andn2_saveexec_b32 s1, s1
	s_cbranch_execz .LBB95_403
; %bb.402:
	v_div_scale_f64 v[197:198], null, v[193:194], v[193:194], v[195:196]
	v_div_scale_f64 v[203:204], vcc_lo, v[195:196], v[193:194], v[195:196]
	v_rcp_f64_e32 v[199:200], v[197:198]
	v_fma_f64 v[201:202], -v[197:198], v[199:200], 1.0
	v_fma_f64 v[199:200], v[199:200], v[201:202], v[199:200]
	v_fma_f64 v[201:202], -v[197:198], v[199:200], 1.0
	v_fma_f64 v[199:200], v[199:200], v[201:202], v[199:200]
	v_mul_f64 v[201:202], v[203:204], v[199:200]
	v_fma_f64 v[197:198], -v[197:198], v[201:202], v[203:204]
	v_div_fmas_f64 v[197:198], v[197:198], v[199:200], v[201:202]
	v_div_fixup_f64 v[199:200], v[197:198], v[193:194], v[195:196]
	v_fma_f64 v[193:194], v[195:196], v[199:200], v[193:194]
	v_div_scale_f64 v[195:196], null, v[193:194], v[193:194], 1.0
	v_rcp_f64_e32 v[197:198], v[195:196]
	v_fma_f64 v[201:202], -v[195:196], v[197:198], 1.0
	v_fma_f64 v[197:198], v[197:198], v[201:202], v[197:198]
	v_fma_f64 v[201:202], -v[195:196], v[197:198], 1.0
	v_fma_f64 v[197:198], v[197:198], v[201:202], v[197:198]
	v_div_scale_f64 v[201:202], vcc_lo, 1.0, v[193:194], 1.0
	v_mul_f64 v[203:204], v[201:202], v[197:198]
	v_fma_f64 v[195:196], -v[195:196], v[203:204], v[201:202]
	v_div_fmas_f64 v[195:196], v[195:196], v[197:198], v[203:204]
	v_div_fixup_f64 v[197:198], v[195:196], v[193:194], 1.0
	v_mul_f64 v[199:200], v[199:200], -v[197:198]
.LBB95_403:
	s_or_b32 exec_lo, exec_lo, s1
	ds_write2_b64 v255, v[197:198], v[199:200] offset1:1
.LBB95_404:
	s_or_b32 exec_lo, exec_lo, s2
	s_waitcnt lgkmcnt(0)
	s_barrier
	buffer_gl0_inv
	ds_read2_b64 v[193:196], v255 offset1:1
	s_mov_b32 s1, exec_lo
	s_waitcnt lgkmcnt(0)
	buffer_store_dword v193, off, s[16:19], 0 offset:912 ; 4-byte Folded Spill
	buffer_store_dword v194, off, s[16:19], 0 offset:916 ; 4-byte Folded Spill
	;; [unrolled: 1-line block ×4, first 2 shown]
	v_cmpx_lt_u32_e32 44, v0
	s_cbranch_execz .LBB95_406
; %bb.405:
	s_clause 0x3
	buffer_load_dword v199, off, s[16:19], 0 offset:912
	buffer_load_dword v200, off, s[16:19], 0 offset:916
	;; [unrolled: 1-line block ×4, first 2 shown]
	s_waitcnt vmcnt(2)
	v_mul_f64 v[193:194], v[199:200], v[15:16]
	s_waitcnt vmcnt(0)
	v_mul_f64 v[15:16], v[201:202], v[15:16]
	v_fma_f64 v[197:198], v[201:202], v[13:14], v[193:194]
	ds_read2_b64 v[193:196], v253 offset0:90 offset1:91
	v_fma_f64 v[13:14], v[199:200], v[13:14], -v[15:16]
	s_waitcnt lgkmcnt(0)
	v_mul_f64 v[15:16], v[195:196], v[197:198]
	v_fma_f64 v[15:16], v[193:194], v[13:14], -v[15:16]
	v_mul_f64 v[193:194], v[193:194], v[197:198]
	v_add_f64 v[9:10], v[9:10], -v[15:16]
	v_fma_f64 v[193:194], v[195:196], v[13:14], v[193:194]
	v_add_f64 v[11:12], v[11:12], -v[193:194]
	ds_read2_b64 v[193:196], v253 offset0:92 offset1:93
	s_waitcnt lgkmcnt(0)
	v_mul_f64 v[15:16], v[195:196], v[197:198]
	v_fma_f64 v[15:16], v[193:194], v[13:14], -v[15:16]
	v_mul_f64 v[193:194], v[193:194], v[197:198]
	v_add_f64 v[5:6], v[5:6], -v[15:16]
	v_fma_f64 v[193:194], v[195:196], v[13:14], v[193:194]
	v_add_f64 v[7:8], v[7:8], -v[193:194]
	ds_read2_b64 v[193:196], v253 offset0:94 offset1:95
	s_waitcnt lgkmcnt(0)
	v_mul_f64 v[15:16], v[195:196], v[197:198]
	v_fma_f64 v[15:16], v[193:194], v[13:14], -v[15:16]
	v_mul_f64 v[193:194], v[193:194], v[197:198]
	v_add_f64 v[1:2], v[1:2], -v[15:16]
	v_fma_f64 v[193:194], v[195:196], v[13:14], v[193:194]
	v_mov_b32_e32 v15, v197
	v_mov_b32_e32 v16, v198
	v_add_f64 v[3:4], v[3:4], -v[193:194]
.LBB95_406:
	s_or_b32 exec_lo, exec_lo, s1
	s_mov_b32 s2, exec_lo
	s_waitcnt_vscnt null, 0x0
	s_barrier
	buffer_gl0_inv
	v_cmpx_eq_u32_e32 45, v0
	s_cbranch_execz .LBB95_413
; %bb.407:
	ds_write2_b64 v255, v[9:10], v[11:12] offset1:1
	ds_write2_b64 v253, v[5:6], v[7:8] offset0:92 offset1:93
	ds_write2_b64 v253, v[1:2], v[3:4] offset0:94 offset1:95
	ds_read2_b64 v[193:196], v255 offset1:1
	s_waitcnt lgkmcnt(0)
	v_cmp_neq_f64_e32 vcc_lo, 0, v[193:194]
	v_cmp_neq_f64_e64 s1, 0, v[195:196]
	s_or_b32 s1, vcc_lo, s1
	s_and_b32 exec_lo, exec_lo, s1
	s_cbranch_execz .LBB95_413
; %bb.408:
	v_cmp_ngt_f64_e64 s1, |v[193:194]|, |v[195:196]|
                                        ; implicit-def: $vgpr197_vgpr198
	s_and_saveexec_b32 s3, s1
	s_xor_b32 s1, exec_lo, s3
                                        ; implicit-def: $vgpr199_vgpr200
	s_cbranch_execz .LBB95_410
; %bb.409:
	v_div_scale_f64 v[197:198], null, v[195:196], v[195:196], v[193:194]
	v_div_scale_f64 v[203:204], vcc_lo, v[193:194], v[195:196], v[193:194]
	v_rcp_f64_e32 v[199:200], v[197:198]
	v_fma_f64 v[201:202], -v[197:198], v[199:200], 1.0
	v_fma_f64 v[199:200], v[199:200], v[201:202], v[199:200]
	v_fma_f64 v[201:202], -v[197:198], v[199:200], 1.0
	v_fma_f64 v[199:200], v[199:200], v[201:202], v[199:200]
	v_mul_f64 v[201:202], v[203:204], v[199:200]
	v_fma_f64 v[197:198], -v[197:198], v[201:202], v[203:204]
	v_div_fmas_f64 v[197:198], v[197:198], v[199:200], v[201:202]
	v_div_fixup_f64 v[197:198], v[197:198], v[195:196], v[193:194]
	v_fma_f64 v[193:194], v[193:194], v[197:198], v[195:196]
	v_div_scale_f64 v[195:196], null, v[193:194], v[193:194], 1.0
	v_rcp_f64_e32 v[199:200], v[195:196]
	v_fma_f64 v[201:202], -v[195:196], v[199:200], 1.0
	v_fma_f64 v[199:200], v[199:200], v[201:202], v[199:200]
	v_fma_f64 v[201:202], -v[195:196], v[199:200], 1.0
	v_fma_f64 v[199:200], v[199:200], v[201:202], v[199:200]
	v_div_scale_f64 v[201:202], vcc_lo, 1.0, v[193:194], 1.0
	v_mul_f64 v[203:204], v[201:202], v[199:200]
	v_fma_f64 v[195:196], -v[195:196], v[203:204], v[201:202]
	v_div_fmas_f64 v[195:196], v[195:196], v[199:200], v[203:204]
	v_div_fixup_f64 v[199:200], v[195:196], v[193:194], 1.0
                                        ; implicit-def: $vgpr193_vgpr194
	v_mul_f64 v[197:198], v[197:198], v[199:200]
	v_xor_b32_e32 v200, 0x80000000, v200
.LBB95_410:
	s_andn2_saveexec_b32 s1, s1
	s_cbranch_execz .LBB95_412
; %bb.411:
	v_div_scale_f64 v[197:198], null, v[193:194], v[193:194], v[195:196]
	v_div_scale_f64 v[203:204], vcc_lo, v[195:196], v[193:194], v[195:196]
	v_rcp_f64_e32 v[199:200], v[197:198]
	v_fma_f64 v[201:202], -v[197:198], v[199:200], 1.0
	v_fma_f64 v[199:200], v[199:200], v[201:202], v[199:200]
	v_fma_f64 v[201:202], -v[197:198], v[199:200], 1.0
	v_fma_f64 v[199:200], v[199:200], v[201:202], v[199:200]
	v_mul_f64 v[201:202], v[203:204], v[199:200]
	v_fma_f64 v[197:198], -v[197:198], v[201:202], v[203:204]
	v_div_fmas_f64 v[197:198], v[197:198], v[199:200], v[201:202]
	v_div_fixup_f64 v[199:200], v[197:198], v[193:194], v[195:196]
	v_fma_f64 v[193:194], v[195:196], v[199:200], v[193:194]
	v_div_scale_f64 v[195:196], null, v[193:194], v[193:194], 1.0
	v_rcp_f64_e32 v[197:198], v[195:196]
	v_fma_f64 v[201:202], -v[195:196], v[197:198], 1.0
	v_fma_f64 v[197:198], v[197:198], v[201:202], v[197:198]
	v_fma_f64 v[201:202], -v[195:196], v[197:198], 1.0
	v_fma_f64 v[197:198], v[197:198], v[201:202], v[197:198]
	v_div_scale_f64 v[201:202], vcc_lo, 1.0, v[193:194], 1.0
	v_mul_f64 v[203:204], v[201:202], v[197:198]
	v_fma_f64 v[195:196], -v[195:196], v[203:204], v[201:202]
	v_div_fmas_f64 v[195:196], v[195:196], v[197:198], v[203:204]
	v_div_fixup_f64 v[197:198], v[195:196], v[193:194], 1.0
	v_mul_f64 v[199:200], v[199:200], -v[197:198]
.LBB95_412:
	s_or_b32 exec_lo, exec_lo, s1
	ds_write2_b64 v255, v[197:198], v[199:200] offset1:1
.LBB95_413:
	s_or_b32 exec_lo, exec_lo, s2
	s_waitcnt lgkmcnt(0)
	s_barrier
	buffer_gl0_inv
	ds_read2_b64 v[193:196], v255 offset1:1
	s_mov_b32 s1, exec_lo
	v_cmpx_lt_u32_e32 45, v0
	s_cbranch_execz .LBB95_415
; %bb.414:
	s_waitcnt lgkmcnt(0)
	v_mul_f64 v[197:198], v[193:194], v[11:12]
	v_mul_f64 v[11:12], v[195:196], v[11:12]
	v_fma_f64 v[201:202], v[195:196], v[9:10], v[197:198]
	ds_read2_b64 v[197:200], v253 offset0:92 offset1:93
	v_fma_f64 v[9:10], v[193:194], v[9:10], -v[11:12]
	s_waitcnt lgkmcnt(0)
	v_mul_f64 v[11:12], v[199:200], v[201:202]
	v_fma_f64 v[11:12], v[197:198], v[9:10], -v[11:12]
	v_mul_f64 v[197:198], v[197:198], v[201:202]
	v_add_f64 v[5:6], v[5:6], -v[11:12]
	v_fma_f64 v[197:198], v[199:200], v[9:10], v[197:198]
	v_add_f64 v[7:8], v[7:8], -v[197:198]
	ds_read2_b64 v[197:200], v253 offset0:94 offset1:95
	s_waitcnt lgkmcnt(0)
	v_mul_f64 v[11:12], v[199:200], v[201:202]
	v_fma_f64 v[11:12], v[197:198], v[9:10], -v[11:12]
	v_mul_f64 v[197:198], v[197:198], v[201:202]
	v_add_f64 v[1:2], v[1:2], -v[11:12]
	v_fma_f64 v[197:198], v[199:200], v[9:10], v[197:198]
	v_mov_b32_e32 v11, v201
	v_mov_b32_e32 v12, v202
	v_add_f64 v[3:4], v[3:4], -v[197:198]
.LBB95_415:
	s_or_b32 exec_lo, exec_lo, s1
	s_mov_b32 s2, exec_lo
	s_waitcnt lgkmcnt(0)
	s_barrier
	buffer_gl0_inv
	v_cmpx_eq_u32_e32 46, v0
	s_cbranch_execz .LBB95_422
; %bb.416:
	ds_write2_b64 v255, v[5:6], v[7:8] offset1:1
	ds_write2_b64 v253, v[1:2], v[3:4] offset0:94 offset1:95
	ds_read2_b64 v[197:200], v255 offset1:1
	s_waitcnt lgkmcnt(0)
	v_cmp_neq_f64_e32 vcc_lo, 0, v[197:198]
	v_cmp_neq_f64_e64 s1, 0, v[199:200]
	s_or_b32 s1, vcc_lo, s1
	s_and_b32 exec_lo, exec_lo, s1
	s_cbranch_execz .LBB95_422
; %bb.417:
	v_cmp_ngt_f64_e64 s1, |v[197:198]|, |v[199:200]|
                                        ; implicit-def: $vgpr201_vgpr202
	s_and_saveexec_b32 s3, s1
	s_xor_b32 s1, exec_lo, s3
                                        ; implicit-def: $vgpr203_vgpr204
	s_cbranch_execz .LBB95_419
; %bb.418:
	v_div_scale_f64 v[201:202], null, v[199:200], v[199:200], v[197:198]
	v_div_scale_f64 v[207:208], vcc_lo, v[197:198], v[199:200], v[197:198]
	v_rcp_f64_e32 v[203:204], v[201:202]
	v_fma_f64 v[205:206], -v[201:202], v[203:204], 1.0
	v_fma_f64 v[203:204], v[203:204], v[205:206], v[203:204]
	v_fma_f64 v[205:206], -v[201:202], v[203:204], 1.0
	v_fma_f64 v[203:204], v[203:204], v[205:206], v[203:204]
	v_mul_f64 v[205:206], v[207:208], v[203:204]
	v_fma_f64 v[201:202], -v[201:202], v[205:206], v[207:208]
	v_div_fmas_f64 v[201:202], v[201:202], v[203:204], v[205:206]
	v_div_fixup_f64 v[201:202], v[201:202], v[199:200], v[197:198]
	v_fma_f64 v[197:198], v[197:198], v[201:202], v[199:200]
	v_div_scale_f64 v[199:200], null, v[197:198], v[197:198], 1.0
	v_rcp_f64_e32 v[203:204], v[199:200]
	v_fma_f64 v[205:206], -v[199:200], v[203:204], 1.0
	v_fma_f64 v[203:204], v[203:204], v[205:206], v[203:204]
	v_fma_f64 v[205:206], -v[199:200], v[203:204], 1.0
	v_fma_f64 v[203:204], v[203:204], v[205:206], v[203:204]
	v_div_scale_f64 v[205:206], vcc_lo, 1.0, v[197:198], 1.0
	v_mul_f64 v[207:208], v[205:206], v[203:204]
	v_fma_f64 v[199:200], -v[199:200], v[207:208], v[205:206]
	v_div_fmas_f64 v[199:200], v[199:200], v[203:204], v[207:208]
	v_div_fixup_f64 v[203:204], v[199:200], v[197:198], 1.0
                                        ; implicit-def: $vgpr197_vgpr198
	v_mul_f64 v[201:202], v[201:202], v[203:204]
	v_xor_b32_e32 v204, 0x80000000, v204
.LBB95_419:
	s_andn2_saveexec_b32 s1, s1
	s_cbranch_execz .LBB95_421
; %bb.420:
	v_div_scale_f64 v[201:202], null, v[197:198], v[197:198], v[199:200]
	v_div_scale_f64 v[207:208], vcc_lo, v[199:200], v[197:198], v[199:200]
	v_rcp_f64_e32 v[203:204], v[201:202]
	v_fma_f64 v[205:206], -v[201:202], v[203:204], 1.0
	v_fma_f64 v[203:204], v[203:204], v[205:206], v[203:204]
	v_fma_f64 v[205:206], -v[201:202], v[203:204], 1.0
	v_fma_f64 v[203:204], v[203:204], v[205:206], v[203:204]
	v_mul_f64 v[205:206], v[207:208], v[203:204]
	v_fma_f64 v[201:202], -v[201:202], v[205:206], v[207:208]
	v_div_fmas_f64 v[201:202], v[201:202], v[203:204], v[205:206]
	v_div_fixup_f64 v[203:204], v[201:202], v[197:198], v[199:200]
	v_fma_f64 v[197:198], v[199:200], v[203:204], v[197:198]
	v_div_scale_f64 v[199:200], null, v[197:198], v[197:198], 1.0
	v_rcp_f64_e32 v[201:202], v[199:200]
	v_fma_f64 v[205:206], -v[199:200], v[201:202], 1.0
	v_fma_f64 v[201:202], v[201:202], v[205:206], v[201:202]
	v_fma_f64 v[205:206], -v[199:200], v[201:202], 1.0
	v_fma_f64 v[201:202], v[201:202], v[205:206], v[201:202]
	v_div_scale_f64 v[205:206], vcc_lo, 1.0, v[197:198], 1.0
	v_mul_f64 v[207:208], v[205:206], v[201:202]
	v_fma_f64 v[199:200], -v[199:200], v[207:208], v[205:206]
	v_div_fmas_f64 v[199:200], v[199:200], v[201:202], v[207:208]
	v_div_fixup_f64 v[201:202], v[199:200], v[197:198], 1.0
	v_mul_f64 v[203:204], v[203:204], -v[201:202]
.LBB95_421:
	s_or_b32 exec_lo, exec_lo, s1
	ds_write2_b64 v255, v[201:202], v[203:204] offset1:1
.LBB95_422:
	s_or_b32 exec_lo, exec_lo, s2
	s_waitcnt lgkmcnt(0)
	s_barrier
	buffer_gl0_inv
	ds_read2_b64 v[197:200], v255 offset1:1
	s_mov_b32 s1, exec_lo
	v_cmpx_lt_u32_e32 46, v0
	s_cbranch_execz .LBB95_424
; %bb.423:
	s_waitcnt lgkmcnt(0)
	v_mul_f64 v[201:202], v[197:198], v[7:8]
	v_mul_f64 v[7:8], v[199:200], v[7:8]
	v_fma_f64 v[205:206], v[199:200], v[5:6], v[201:202]
	ds_read2_b64 v[201:204], v253 offset0:94 offset1:95
	v_fma_f64 v[5:6], v[197:198], v[5:6], -v[7:8]
	s_waitcnt lgkmcnt(0)
	v_mul_f64 v[7:8], v[203:204], v[205:206]
	v_fma_f64 v[7:8], v[201:202], v[5:6], -v[7:8]
	v_mul_f64 v[201:202], v[201:202], v[205:206]
	v_add_f64 v[1:2], v[1:2], -v[7:8]
	v_fma_f64 v[201:202], v[203:204], v[5:6], v[201:202]
	v_mov_b32_e32 v7, v205
	v_mov_b32_e32 v8, v206
	v_add_f64 v[3:4], v[3:4], -v[201:202]
.LBB95_424:
	s_or_b32 exec_lo, exec_lo, s1
	s_mov_b32 s2, exec_lo
	s_waitcnt lgkmcnt(0)
	s_barrier
	buffer_gl0_inv
	v_cmpx_eq_u32_e32 47, v0
	s_cbranch_execz .LBB95_431
; %bb.425:
	v_cmp_neq_f64_e32 vcc_lo, 0, v[1:2]
	v_cmp_neq_f64_e64 s1, 0, v[3:4]
	ds_write2_b64 v255, v[1:2], v[3:4] offset1:1
	s_or_b32 s1, vcc_lo, s1
	s_and_b32 exec_lo, exec_lo, s1
	s_cbranch_execz .LBB95_431
; %bb.426:
	v_cmp_ngt_f64_e64 s1, |v[1:2]|, |v[3:4]|
                                        ; implicit-def: $vgpr201_vgpr202
	s_mov_b32 s3, exec_lo
	s_and_b32 s4, s3, s1
                                        ; implicit-def: $vgpr203_vgpr204
	buffer_store_dword v193, off, s[16:19], 0 offset:952 ; 4-byte Folded Spill
	buffer_store_dword v194, off, s[16:19], 0 offset:956 ; 4-byte Folded Spill
	;; [unrolled: 1-line block ×4, first 2 shown]
	s_xor_b32 s1, s4, s3
	s_mov_b32 exec_lo, s4
	s_cbranch_execz .LBB95_428
; %bb.427:
	v_div_scale_f64 v[201:202], null, v[3:4], v[3:4], v[1:2]
	v_div_scale_f64 v[207:208], vcc_lo, v[1:2], v[3:4], v[1:2]
	v_mov_b32_e32 v224, v104
	v_mov_b32_e32 v223, v103
	;; [unrolled: 1-line block ×18, first 2 shown]
	v_rcp_f64_e32 v[203:204], v[201:202]
	v_mov_b32_e32 v147, v151
	v_mov_b32_e32 v148, v152
	;; [unrolled: 1-line block ×23, first 2 shown]
	v_fma_f64 v[205:206], -v[201:202], v[203:204], 1.0
	v_mov_b32_e32 v170, v190
	v_mov_b32_e32 v171, v191
	;; [unrolled: 1-line block ×19, first 2 shown]
	v_fma_f64 v[203:204], v[203:204], v[205:206], v[203:204]
	v_mov_b32_e32 v185, v187
	v_mov_b32_e32 v186, v188
	v_mov_b32_e32 v187, v189
	v_mov_b32_e32 v188, v190
	v_fma_f64 v[205:206], -v[201:202], v[203:204], 1.0
	v_fma_f64 v[203:204], v[203:204], v[205:206], v[203:204]
	v_mul_f64 v[205:206], v[207:208], v[203:204]
	v_fma_f64 v[201:202], -v[201:202], v[205:206], v[207:208]
	v_div_fmas_f64 v[201:202], v[201:202], v[203:204], v[205:206]
	v_div_fixup_f64 v[201:202], v[201:202], v[3:4], v[1:2]
	v_fma_f64 v[203:204], v[1:2], v[201:202], v[3:4]
	v_mov_b32_e32 v1, v245
	v_mov_b32_e32 v2, v246
	v_mov_b32_e32 v3, v247
	v_mov_b32_e32 v4, v248
	v_mov_b32_e32 v248, v8
	v_mov_b32_e32 v247, v7
	v_mov_b32_e32 v246, v6
	v_mov_b32_e32 v245, v5
	v_mov_b32_e32 v5, v9
	v_mov_b32_e32 v6, v10
	v_mov_b32_e32 v7, v11
	v_mov_b32_e32 v8, v12
	v_mov_b32_e32 v9, v13
	v_mov_b32_e32 v10, v14
	v_mov_b32_e32 v11, v15
	v_mov_b32_e32 v12, v16
	v_mov_b32_e32 v13, v17
	v_mov_b32_e32 v14, v18
	v_mov_b32_e32 v15, v19
	v_mov_b32_e32 v16, v20
	v_mov_b32_e32 v17, v21
	v_div_scale_f64 v[205:206], null, v[203:204], v[203:204], 1.0
	v_mov_b32_e32 v18, v22
	v_mov_b32_e32 v19, v23
	;; [unrolled: 1-line block ×20, first 2 shown]
	v_rcp_f64_e32 v[207:208], v[205:206]
	v_mov_b32_e32 v38, v42
	v_mov_b32_e32 v39, v43
	;; [unrolled: 1-line block ×23, first 2 shown]
	v_fma_f64 v[253:254], -v[205:206], v[207:208], 1.0
	v_mov_b32_e32 v244, v64
	v_mov_b32_e32 v243, v63
	;; [unrolled: 1-line block ×21, first 2 shown]
	v_fma_f64 v[207:208], v[207:208], v[253:254], v[207:208]
	v_mov_b32_e32 v78, v82
	v_mov_b32_e32 v79, v83
	;; [unrolled: 1-line block ×21, first 2 shown]
	v_fma_f64 v[253:254], -v[205:206], v[207:208], 1.0
	v_mov_b32_e32 v99, v239
	v_mov_b32_e32 v100, v240
	;; [unrolled: 1-line block ×21, first 2 shown]
	v_fma_f64 v[207:208], v[207:208], v[253:254], v[207:208]
	v_div_scale_f64 v[253:254], vcc_lo, 1.0, v[203:204], 1.0
	v_mov_b32_e32 v120, v124
	v_mov_b32_e32 v121, v125
	;; [unrolled: 1-line block ×45, first 2 shown]
	v_mul_f64 v[209:210], v[253:254], v[207:208]
	v_fma_f64 v[205:206], -v[205:206], v[209:210], v[253:254]
	v_div_fmas_f64 v[205:206], v[205:206], v[207:208], v[209:210]
	v_mov_b32_e32 v212, v184
	v_mov_b32_e32 v211, v183
	;; [unrolled: 1-line block ×184, first 2 shown]
	s_clause 0x3
	buffer_load_dword v193, off, s[16:19], 0 offset:952
	buffer_load_dword v194, off, s[16:19], 0 offset:956
	;; [unrolled: 1-line block ×4, first 2 shown]
	v_div_fixup_f64 v[203:204], v[205:206], v[203:204], 1.0
	v_mov_b32_e32 v192, v172
	v_mov_b32_e32 v191, v171
	;; [unrolled: 1-line block ×21, first 2 shown]
	v_mul_f64 v[201:202], v[201:202], v[203:204]
	v_mov_b32_e32 v155, v151
	v_mov_b32_e32 v154, v150
	;; [unrolled: 1-line block ×23, first 2 shown]
	v_xor_b32_e32 v204, 0x80000000, v204
.LBB95_428:
	s_andn2_saveexec_b32 s1, s1
	s_cbranch_execz .LBB95_430
; %bb.429:
	v_div_scale_f64 v[201:202], null, v[1:2], v[1:2], v[3:4]
	v_div_scale_f64 v[207:208], vcc_lo, v[3:4], v[1:2], v[3:4]
	v_mov_b32_e32 v224, v200
	v_mov_b32_e32 v223, v199
	v_mov_b32_e32 v222, v198
	v_mov_b32_e32 v221, v197
	s_waitcnt vmcnt(0)
	v_mov_b32_e32 v198, v104
	v_mov_b32_e32 v197, v103
	;; [unrolled: 1-line block ×14, first 2 shown]
	v_rcp_f64_e32 v[203:204], v[201:202]
	v_mov_b32_e32 v143, v147
	v_mov_b32_e32 v144, v148
	;; [unrolled: 1-line block ×23, first 2 shown]
	v_fma_f64 v[205:206], -v[201:202], v[203:204], 1.0
	v_mov_b32_e32 v166, v170
	v_mov_b32_e32 v167, v171
	;; [unrolled: 1-line block ×21, first 2 shown]
	v_fma_f64 v[203:204], v[203:204], v[205:206], v[203:204]
	v_mov_b32_e32 v188, v186
	v_mov_b32_e32 v187, v185
	v_mov_b32_e32 v185, v187
	v_mov_b32_e32 v186, v188
	v_mov_b32_e32 v187, v189
	v_mov_b32_e32 v188, v190
	v_fma_f64 v[205:206], -v[201:202], v[203:204], 1.0
	v_fma_f64 v[203:204], v[203:204], v[205:206], v[203:204]
	v_mul_f64 v[205:206], v[207:208], v[203:204]
	v_fma_f64 v[201:202], -v[201:202], v[205:206], v[207:208]
	v_div_fmas_f64 v[201:202], v[201:202], v[203:204], v[205:206]
	v_div_fixup_f64 v[203:204], v[201:202], v[1:2], v[3:4]
	v_fma_f64 v[201:202], v[3:4], v[203:204], v[1:2]
	v_mov_b32_e32 v1, v245
	v_mov_b32_e32 v2, v246
	;; [unrolled: 1-line block ×21, first 2 shown]
	v_div_scale_f64 v[205:206], null, v[201:202], v[201:202], 1.0
	v_mov_b32_e32 v18, v22
	v_mov_b32_e32 v19, v23
	;; [unrolled: 1-line block ×52, first 2 shown]
	v_rcp_f64_e32 v[207:208], v[205:206]
	v_mov_b32_e32 v66, v70
	v_mov_b32_e32 v67, v71
	;; [unrolled: 1-line block ×99, first 2 shown]
	v_fma_f64 v[209:210], -v[205:206], v[207:208], 1.0
	v_fma_f64 v[207:208], v[207:208], v[209:210], v[207:208]
	v_fma_f64 v[209:210], -v[205:206], v[207:208], 1.0
	v_fma_f64 v[207:208], v[207:208], v[209:210], v[207:208]
	v_div_scale_f64 v[209:210], vcc_lo, 1.0, v[201:202], 1.0
	v_mul_f64 v[211:212], v[209:210], v[207:208]
	v_fma_f64 v[205:206], -v[205:206], v[211:212], v[209:210]
	v_div_fmas_f64 v[205:206], v[205:206], v[207:208], v[211:212]
	v_mov_b32_e32 v212, v184
	v_mov_b32_e32 v211, v183
	;; [unrolled: 1-line block ×228, first 2 shown]
	s_clause 0x3
	buffer_load_dword v193, off, s[16:19], 0 offset:952
	buffer_load_dword v194, off, s[16:19], 0 offset:956
	buffer_load_dword v195, off, s[16:19], 0 offset:960
	buffer_load_dword v196, off, s[16:19], 0 offset:964
	v_div_fixup_f64 v[201:202], v[205:206], v[201:202], 1.0
	v_mov_b32_e32 v197, v221
	v_mov_b32_e32 v198, v222
	;; [unrolled: 1-line block ×4, first 2 shown]
	v_mul_f64 v[203:204], v[203:204], -v[201:202]
.LBB95_430:
	s_or_b32 exec_lo, exec_lo, s1
	ds_write2_b64 v255, v[201:202], v[203:204] offset1:1
.LBB95_431:
	s_or_b32 exec_lo, exec_lo, s2
	s_waitcnt vmcnt(0) lgkmcnt(0)
	s_waitcnt_vscnt null, 0x0
	s_barrier
	buffer_gl0_inv
	ds_read2_b64 v[201:204], v255 offset1:1
	s_mov_b32 s1, exec_lo
	v_cmpx_lt_u32_e32 47, v0
	s_cbranch_execz .LBB95_433
; %bb.432:
	s_waitcnt lgkmcnt(0)
	v_mul_f64 v[205:206], v[203:204], v[3:4]
	v_mul_f64 v[3:4], v[201:202], v[3:4]
	v_fma_f64 v[205:206], v[201:202], v[1:2], -v[205:206]
	v_fma_f64 v[3:4], v[203:204], v[1:2], v[3:4]
	v_mov_b32_e32 v1, v205
	v_mov_b32_e32 v2, v206
.LBB95_433:
	s_or_b32 exec_lo, exec_lo, s1
	s_waitcnt lgkmcnt(0)
	s_barrier
	buffer_gl0_inv
	s_and_saveexec_b32 s7, s0
	s_cbranch_execz .LBB95_436
; %bb.434:
	buffer_store_dword v197, off, s[16:19], 0 offset:968 ; 4-byte Folded Spill
	buffer_store_dword v198, off, s[16:19], 0 offset:972 ; 4-byte Folded Spill
	;; [unrolled: 1-line block ×4, first 2 shown]
	v_mov_b32_e32 v197, v217
	v_mov_b32_e32 v208, v188
	v_mov_b32_e32 v198, v218
	v_mov_b32_e32 v199, v219
	v_mov_b32_e32 v200, v220
	s_clause 0x7
	buffer_load_dword v217, off, s[16:19], 0 offset:496
	buffer_load_dword v218, off, s[16:19], 0 offset:500
	;; [unrolled: 1-line block ×8, first 2 shown]
	v_mov_b32_e32 v207, v187
	v_mov_b32_e32 v206, v186
	;; [unrolled: 1-line block ×3, first 2 shown]
	s_clause 0x3
	buffer_load_dword v185, off, s[16:19], 0 offset:472
	buffer_load_dword v186, off, s[16:19], 0 offset:476
	;; [unrolled: 1-line block ×4, first 2 shown]
	buffer_store_dword v193, off, s[16:19], 0 offset:952 ; 4-byte Folded Spill
	buffer_store_dword v194, off, s[16:19], 0 offset:956 ; 4-byte Folded Spill
	;; [unrolled: 1-line block ×8, first 2 shown]
	v_mov_b32_e32 v101, v233
	v_mov_b32_e32 v102, v234
	;; [unrolled: 1-line block ×88, first 2 shown]
	s_clause 0x7
	buffer_load_dword v209, off, s[16:19], 0 offset:328
	buffer_load_dword v210, off, s[16:19], 0 offset:332
	buffer_load_dword v211, off, s[16:19], 0 offset:336
	buffer_load_dword v212, off, s[16:19], 0 offset:340
	buffer_load_dword v177, off, s[16:19], 0 offset:376
	buffer_load_dword v178, off, s[16:19], 0 offset:380
	buffer_load_dword v179, off, s[16:19], 0 offset:384
	buffer_load_dword v180, off, s[16:19], 0 offset:388
	v_cmp_neq_f64_e64 s1, 0, v[181:182]
	v_cmp_neq_f64_e64 s2, 0, v[183:184]
	v_mov_b32_e32 v181, v213
	v_mov_b32_e32 v182, v214
	v_mov_b32_e32 v183, v215
	v_mov_b32_e32 v184, v216
	s_or_b32 s1, s1, s2
	v_cmp_eq_f64_e64 s2, 0, v[175:176]
	s_waitcnt vmcnt(6)
	v_cmp_eq_f64_e32 vcc_lo, 0, v[209:210]
	s_waitcnt vmcnt(2)
	v_cmp_eq_f64_e64 s3, 0, v[177:178]
	v_cmp_eq_f64_e64 s0, 0, v[211:212]
	s_waitcnt vmcnt(0)
	v_cmp_eq_f64_e64 s4, 0, v[179:180]
	s_clause 0x3
	buffer_load_dword v177, off, s[16:19], 0 offset:392
	buffer_load_dword v178, off, s[16:19], 0 offset:396
	;; [unrolled: 1-line block ×4, first 2 shown]
	s_and_b32 s0, vcc_lo, s0
	s_and_b32 s3, s3, s4
	v_cndmask_b32_e64 v0, 0, 1, s0
	s_or_b32 s0, s1, s0
	v_cmp_eq_f64_e64 s1, 0, v[173:174]
	v_cmp_eq_f64_e64 s4, 0, v[219:220]
	v_mov_b32_e32 v173, v229
	v_cndmask_b32_e64 v0, 2, v0, s0
	v_mov_b32_e32 v174, v230
	v_mov_b32_e32 v175, v231
	;; [unrolled: 1-line block ×3, first 2 shown]
	v_cmp_eq_u32_e64 s0, 0, v0
	s_and_b32 s0, s3, s0
	v_cmp_eq_f64_e64 s3, 0, v[217:218]
	v_cndmask_b32_e64 v0, v0, 3, s0
	v_cmp_eq_u32_e64 s0, 0, v0
	s_and_b32 s1, s1, s2
	v_cmp_eq_f64_e64 s2, 0, v[187:188]
	s_and_b32 s3, s3, s4
	v_cmp_eq_f64_e64 s4, 0, v[207:208]
	s_waitcnt vmcnt(2)
	v_cmp_eq_f64_e64 s5, 0, v[177:178]
	s_waitcnt vmcnt(0)
	v_cmp_eq_f64_e32 vcc_lo, 0, v[179:180]
	s_and_b32 s5, s5, vcc_lo
	s_and_b32 s0, s5, s0
	v_cmp_eq_f64_e64 s5, 0, v[223:224]
	v_cndmask_b32_e64 v0, v0, 4, s0
	v_cmp_eq_f64_e64 s0, 0, v[221:222]
	v_cmp_eq_u32_e32 vcc_lo, 0, v0
	s_and_b32 s1, s1, vcc_lo
	v_cndmask_b32_e64 v0, v0, 5, s1
	v_cmp_eq_f64_e64 s1, 0, v[185:186]
	v_cmp_eq_u32_e32 vcc_lo, 0, v0
	s_and_b32 s3, s3, vcc_lo
	s_and_b32 s0, s0, s5
	v_cndmask_b32_e64 v0, v0, 6, s3
	v_cmp_eq_f64_e64 s3, 0, v[205:206]
	v_cmp_eq_f64_e64 s5, 0, v[191:192]
	v_cmp_eq_u32_e32 vcc_lo, 0, v0
	s_and_b32 s0, s0, vcc_lo
	s_and_b32 s1, s1, s2
	v_cndmask_b32_e64 v0, v0, 7, s0
	v_cmp_eq_f64_e64 s0, 0, v[189:190]
	;; [unrolled: 6-line block ×4, first 2 shown]
	v_cmp_eq_f64_e64 s5, 0, v[139:140]
	v_mov_b32_e32 v168, v164
	v_mov_b32_e32 v167, v163
	v_cmp_eq_u32_e32 vcc_lo, 0, v0
	v_mov_b32_e32 v166, v162
	v_mov_b32_e32 v165, v161
	;; [unrolled: 1-line block ×4, first 2 shown]
	s_and_b32 s0, s0, vcc_lo
	s_and_b32 s1, s1, s2
	v_cndmask_b32_e64 v0, v0, 10, s0
	v_cmp_eq_f64_e64 s2, 0, v[103:104]
	v_cmp_eq_f64_e64 s0, 0, v[137:138]
	v_mov_b32_e32 v162, v158
	v_mov_b32_e32 v161, v157
	v_cmp_eq_u32_e32 vcc_lo, 0, v0
	v_mov_b32_e32 v160, v156
	v_mov_b32_e32 v159, v155
	;; [unrolled: 1-line block ×4, first 2 shown]
	s_and_b32 s1, s1, vcc_lo
	s_and_b32 s3, s3, s4
	v_cndmask_b32_e64 v0, v0, 11, s1
	v_cmp_eq_f64_e64 s1, 0, v[101:102]
	s_clause 0x3
	buffer_load_dword v101, off, s[16:19], 0 offset:512
	buffer_load_dword v102, off, s[16:19], 0 offset:516
	;; [unrolled: 1-line block ×4, first 2 shown]
	v_cmp_eq_f64_e64 s4, 0, v[59:60]
	v_mov_b32_e32 v156, v152
	v_cmp_eq_u32_e32 vcc_lo, 0, v0
	v_mov_b32_e32 v155, v151
	v_mov_b32_e32 v154, v150
	v_mov_b32_e32 v153, v149
	v_mov_b32_e32 v152, v148
	s_and_b32 s3, s3, vcc_lo
	v_mov_b32_e32 v151, v147
	v_cndmask_b32_e64 v0, v0, 12, s3
	s_and_b32 s0, s0, s5
	v_cmp_eq_f64_e64 s5, 0, v[3:4]
	v_cmp_eq_f64_e64 s3, 0, v[57:58]
	v_mov_b32_e32 v150, v146
	v_cmp_eq_u32_e32 vcc_lo, 0, v0
	v_mov_b32_e32 v149, v145
	v_mov_b32_e32 v148, v144
	;; [unrolled: 1-line block ×4, first 2 shown]
	s_and_b32 s0, s0, vcc_lo
	s_and_b32 s1, s1, s2
	v_cndmask_b32_e64 v0, v0, 13, s0
	v_cmp_eq_f64_e64 s0, 0, v[1:2]
	v_cmp_eq_f64_e64 s2, 0, v[251:252]
	v_mov_b32_e32 v146, v142
	v_mov_b32_e32 v145, v141
	v_cmp_eq_u32_e32 vcc_lo, 0, v0
	v_mov_b32_e32 v141, v233
	v_mov_b32_e32 v139, v135
	;; [unrolled: 1-line block ×4, first 2 shown]
	s_and_b32 s1, s1, vcc_lo
	v_mov_b32_e32 v133, v241
	v_cndmask_b32_e64 v0, v0, 14, s1
	s_and_b32 s3, s3, s4
	v_cmp_eq_f64_e64 s1, 0, v[249:250]
	v_cmp_eq_f64_e64 s4, 0, v[199:200]
	v_mov_b32_e32 v57, v245
	v_cmp_eq_u32_e32 vcc_lo, 0, v0
	v_mov_b32_e32 v1, v193
	v_mov_b32_e32 v142, v234
	;; [unrolled: 1-line block ×4, first 2 shown]
	s_and_b32 s3, s3, vcc_lo
	s_and_b32 s0, s0, s5
	v_cndmask_b32_e64 v0, v0, 15, s3
	v_cmp_eq_f64_e64 s3, 0, v[197:198]
	v_mov_b32_e32 v134, v242
	v_mov_b32_e32 v135, v243
	;; [unrolled: 1-line block ×3, first 2 shown]
	v_cmp_eq_u32_e32 vcc_lo, 0, v0
	v_mov_b32_e32 v58, v246
	v_mov_b32_e32 v59, v247
	v_mov_b32_e32 v60, v248
	v_mov_b32_e32 v2, v194
	s_and_b32 s0, s0, vcc_lo
	v_mov_b32_e32 v3, v195
	v_cndmask_b32_e64 v0, v0, 16, s0
	s_and_b32 s0, s1, s2
	v_mov_b32_e32 v4, v196
	v_cmp_eq_u32_e32 vcc_lo, 0, v0
	s_and_b32 s0, s0, vcc_lo
	s_and_b32 s2, s3, s4
	v_cndmask_b32_e64 v0, v0, 17, s0
	v_cmp_eq_u32_e64 s1, 0, v0
	s_and_b32 s1, s2, s1
	v_cndmask_b32_e64 v0, v0, 18, s1
	v_cmp_eq_u32_e64 s3, 0, v0
	s_waitcnt vmcnt(2)
	v_cmp_eq_f64_e64 s5, 0, v[101:102]
	s_waitcnt vmcnt(0)
	v_cmp_eq_f64_e64 s6, 0, v[103:104]
	s_clause 0x5
	buffer_load_dword v101, off, s[16:19], 0 offset:528
	buffer_load_dword v102, off, s[16:19], 0 offset:532
	;; [unrolled: 1-line block ×6, first 2 shown]
	s_and_b32 s5, s5, s6
	s_and_b32 s3, s5, s3
	v_cndmask_b32_e64 v0, v0, 19, s3
	v_cmp_eq_u32_e64 s3, 0, v0
	s_waitcnt vmcnt(4)
	v_cmp_eq_f64_e32 vcc_lo, 0, v[101:102]
	s_waitcnt vmcnt(2)
	v_cmp_eq_f64_e64 s0, 0, v[103:104]
	s_clause 0x3
	buffer_load_dword v101, off, s[16:19], 0 offset:544
	buffer_load_dword v102, off, s[16:19], 0 offset:548
	;; [unrolled: 1-line block ×4, first 2 shown]
	s_waitcnt vmcnt(4)
	v_lshlrev_b64 v[205:206], 2, v[185:186]
	v_add_co_u32 v253, s4, s10, v205
	v_add_co_ci_u32_e64 v254, null, s11, v206, s4
	global_load_dword v205, v[253:254], off
	s_and_b32 s0, vcc_lo, s0
	s_and_b32 s0, s0, s3
	v_cndmask_b32_e64 v0, v0, 20, s0
	v_cmp_eq_u32_e32 vcc_lo, 0, v0
	s_waitcnt vmcnt(3)
	v_cmp_eq_f64_e64 s1, 0, v[101:102]
	s_waitcnt vmcnt(1)
	v_cmp_eq_f64_e64 s2, 0, v[103:104]
	s_clause 0x3
	buffer_load_dword v101, off, s[16:19], 0 offset:560
	buffer_load_dword v102, off, s[16:19], 0 offset:564
	buffer_load_dword v103, off, s[16:19], 0 offset:568
	buffer_load_dword v104, off, s[16:19], 0 offset:572
	s_and_b32 s1, s1, s2
	s_and_b32 s1, s1, vcc_lo
	v_cndmask_b32_e64 v0, v0, 21, s1
	v_cmp_eq_u32_e32 vcc_lo, 0, v0
	s_waitcnt vmcnt(2)
	v_cmp_eq_f64_e64 s4, 0, v[101:102]
	s_waitcnt vmcnt(0)
	v_cmp_eq_f64_e64 s5, 0, v[103:104]
	s_clause 0x3
	buffer_load_dword v101, off, s[16:19], 0 offset:576
	buffer_load_dword v102, off, s[16:19], 0 offset:580
	buffer_load_dword v103, off, s[16:19], 0 offset:584
	buffer_load_dword v104, off, s[16:19], 0 offset:588
	s_and_b32 s4, s4, s5
	s_and_b32 s4, s4, vcc_lo
	;; [unrolled: 13-line block ×24, first 2 shown]
	v_cndmask_b32_e64 v0, v0, 44, s0
	v_cmp_eq_u32_e32 vcc_lo, 0, v0
	s_waitcnt vmcnt(2)
	v_cmp_eq_f64_e64 s1, 0, v[101:102]
	s_waitcnt vmcnt(0)
	v_cmp_eq_f64_e64 s2, 0, v[103:104]
	s_clause 0x3
	buffer_load_dword v101, off, s[16:19], 0 offset:952
	buffer_load_dword v102, off, s[16:19], 0 offset:956
	;; [unrolled: 1-line block ×4, first 2 shown]
	s_and_b32 s1, s1, s2
	v_cmp_eq_f64_e64 s2, 0, v[203:204]
	s_and_b32 s1, s1, vcc_lo
	v_cndmask_b32_e64 v0, v0, 45, s1
	v_cmp_eq_f64_e64 s1, 0, v[201:202]
	v_cmp_eq_u32_e32 vcc_lo, 0, v0
	s_waitcnt vmcnt(2)
	v_cmp_eq_f64_e64 s4, 0, v[101:102]
	s_waitcnt vmcnt(0)
	v_cmp_eq_f64_e64 s5, 0, v[103:104]
	s_clause 0x3
	buffer_load_dword v101, off, s[16:19], 0 offset:968
	buffer_load_dword v102, off, s[16:19], 0 offset:972
	;; [unrolled: 1-line block ×4, first 2 shown]
	s_and_b32 s4, s4, s5
	s_and_b32 s4, s4, vcc_lo
	v_cndmask_b32_e64 v0, v0, 46, s4
	v_cmp_eq_u32_e32 vcc_lo, 0, v0
	s_waitcnt vmcnt(2)
	v_cmp_eq_f64_e64 s0, 0, v[101:102]
	s_waitcnt vmcnt(0)
	v_cmp_eq_f64_e64 s3, 0, v[103:104]
	s_and_b32 s0, s0, s3
	s_and_b32 s0, s0, vcc_lo
	v_cndmask_b32_e64 v0, v0, 47, s0
	s_and_b32 s0, s1, s2
	v_cmp_eq_u32_e32 vcc_lo, 0, v0
	s_and_b32 s0, s0, vcc_lo
	v_cmp_eq_u32_e32 vcc_lo, 0, v205
	v_cndmask_b32_e64 v0, v0, 48, s0
	v_cmp_ne_u32_e64 s0, 0, v0
	s_and_b32 s0, vcc_lo, s0
	s_and_b32 exec_lo, exec_lo, s0
	s_cbranch_execz .LBB95_436
; %bb.435:
	v_add_nc_u32_e32 v0, s13, v0
	global_store_dword v[253:254], v0, off
.LBB95_436:
	s_or_b32 exec_lo, exec_lo, s7
	s_clause 0x5
	buffer_load_dword v185, off, s[16:19], 0 offset:312
	buffer_load_dword v186, off, s[16:19], 0 offset:316
	;; [unrolled: 1-line block ×6, first 2 shown]
	s_waitcnt vmcnt(0)
	global_store_dwordx4 v[185:186], v[193:196], off
	s_clause 0x5
	buffer_load_dword v185, off, s[16:19], 0 offset:320
	buffer_load_dword v186, off, s[16:19], 0 offset:324
	buffer_load_dword v193, off, s[16:19], 0 offset:16
	buffer_load_dword v194, off, s[16:19], 0 offset:20
	buffer_load_dword v195, off, s[16:19], 0 offset:24
	buffer_load_dword v196, off, s[16:19], 0 offset:28
	s_waitcnt vmcnt(0)
	global_store_dwordx4 v[185:186], v[193:196], off
	s_clause 0x1
	buffer_load_dword v177, off, s[16:19], 0 offset:368
	buffer_load_dword v178, off, s[16:19], 0 offset:372
	s_waitcnt vmcnt(0)
	global_store_dwordx4 v[177:178], v[181:184], off
	s_clause 0x5
	buffer_load_dword v181, off, s[16:19], 0 offset:352
	buffer_load_dword v182, off, s[16:19], 0 offset:356
	buffer_load_dword v177, off, s[16:19], 0
	buffer_load_dword v178, off, s[16:19], 0 offset:4
	buffer_load_dword v179, off, s[16:19], 0 offset:8
	;; [unrolled: 1-line block ×3, first 2 shown]
	s_waitcnt vmcnt(0)
	global_store_dwordx4 v[181:182], v[177:180], off
	s_clause 0x1
	buffer_load_dword v177, off, s[16:19], 0 offset:344
	buffer_load_dword v178, off, s[16:19], 0 offset:348
	s_waitcnt vmcnt(0)
	global_store_dwordx4 v[177:178], v[173:176], off
	s_clause 0x1
	buffer_load_dword v173, off, s[16:19], 0 offset:360
	buffer_load_dword v174, off, s[16:19], 0 offset:364
	s_waitcnt vmcnt(0)
	global_store_dwordx4 v[173:174], v[225:228], off
	s_clause 0x1
	buffer_load_dword v169, off, s[16:19], 0 offset:416
	buffer_load_dword v170, off, s[16:19], 0 offset:420
	s_waitcnt vmcnt(0)
	global_store_dwordx4 v[169:170], v[165:168], off
	s_clause 0x1
	buffer_load_dword v165, off, s[16:19], 0 offset:408
	buffer_load_dword v166, off, s[16:19], 0 offset:412
	s_waitcnt vmcnt(0)
	global_store_dwordx4 v[165:166], v[161:164], off
	s_clause 0x1
	buffer_load_dword v161, off, s[16:19], 0 offset:432
	buffer_load_dword v162, off, s[16:19], 0 offset:436
	s_waitcnt vmcnt(0)
	global_store_dwordx4 v[161:162], v[157:160], off
	s_clause 0x1
	buffer_load_dword v157, off, s[16:19], 0 offset:424
	buffer_load_dword v158, off, s[16:19], 0 offset:428
	s_waitcnt vmcnt(0)
	global_store_dwordx4 v[157:158], v[153:156], off
	s_clause 0x1
	buffer_load_dword v153, off, s[16:19], 0 offset:448
	buffer_load_dword v154, off, s[16:19], 0 offset:452
	s_waitcnt vmcnt(0)
	global_store_dwordx4 v[153:154], v[149:152], off
	s_clause 0x1
	buffer_load_dword v149, off, s[16:19], 0 offset:440
	buffer_load_dword v150, off, s[16:19], 0 offset:444
	s_waitcnt vmcnt(0)
	global_store_dwordx4 v[149:150], v[145:148], off
	s_clause 0x1
	buffer_load_dword v145, off, s[16:19], 0 offset:48
	buffer_load_dword v146, off, s[16:19], 0 offset:52
	s_waitcnt vmcnt(0)
	global_store_dwordx4 v[145:146], v[141:144], off
	s_clause 0x1
	buffer_load_dword v141, off, s[16:19], 0 offset:464
	buffer_load_dword v142, off, s[16:19], 0 offset:468
	s_waitcnt vmcnt(0)
	global_store_dwordx4 v[141:142], v[137:140], off
	s_clause 0x1
	buffer_load_dword v137, off, s[16:19], 0 offset:488
	buffer_load_dword v138, off, s[16:19], 0 offset:492
	s_waitcnt vmcnt(0)
	global_store_dwordx4 v[137:138], v[133:136], off
	s_clause 0x1
	buffer_load_dword v133, off, s[16:19], 0 offset:456
	buffer_load_dword v134, off, s[16:19], 0 offset:460
	s_waitcnt vmcnt(0)
	global_store_dwordx4 v[133:134], v[129:132], off
	s_clause 0x1
	buffer_load_dword v129, off, s[16:19], 0 offset:56
	buffer_load_dword v130, off, s[16:19], 0 offset:60
	s_waitcnt vmcnt(0)
	global_store_dwordx4 v[129:130], v[125:128], off
	s_clause 0x1
	buffer_load_dword v125, off, s[16:19], 0 offset:64
	buffer_load_dword v126, off, s[16:19], 0 offset:68
	s_waitcnt vmcnt(0)
	global_store_dwordx4 v[125:126], v[121:124], off
	s_clause 0x1
	buffer_load_dword v121, off, s[16:19], 0 offset:72
	buffer_load_dword v122, off, s[16:19], 0 offset:76
	s_waitcnt vmcnt(0)
	global_store_dwordx4 v[121:122], v[117:120], off
	s_clause 0x1
	buffer_load_dword v117, off, s[16:19], 0 offset:80
	buffer_load_dword v118, off, s[16:19], 0 offset:84
	s_waitcnt vmcnt(0)
	global_store_dwordx4 v[117:118], v[113:116], off
	s_clause 0x1
	buffer_load_dword v113, off, s[16:19], 0 offset:88
	buffer_load_dword v114, off, s[16:19], 0 offset:92
	s_waitcnt vmcnt(0)
	global_store_dwordx4 v[113:114], v[109:112], off
	s_clause 0x1
	buffer_load_dword v109, off, s[16:19], 0 offset:96
	buffer_load_dword v110, off, s[16:19], 0 offset:100
	s_waitcnt vmcnt(0)
	global_store_dwordx4 v[109:110], v[105:108], off
	s_clause 0x1
	buffer_load_dword v105, off, s[16:19], 0 offset:104
	buffer_load_dword v106, off, s[16:19], 0 offset:108
	s_waitcnt vmcnt(0)
	global_store_dwordx4 v[105:106], v[237:240], off
	s_clause 0x1
	buffer_load_dword v101, off, s[16:19], 0 offset:112
	buffer_load_dword v102, off, s[16:19], 0 offset:116
	s_waitcnt vmcnt(0)
	global_store_dwordx4 v[101:102], v[97:100], off
	s_clause 0x1
	buffer_load_dword v97, off, s[16:19], 0 offset:120
	buffer_load_dword v98, off, s[16:19], 0 offset:124
	s_waitcnt vmcnt(0)
	global_store_dwordx4 v[97:98], v[93:96], off
	s_clause 0x1
	buffer_load_dword v93, off, s[16:19], 0 offset:128
	buffer_load_dword v94, off, s[16:19], 0 offset:132
	s_waitcnt vmcnt(0)
	global_store_dwordx4 v[93:94], v[89:92], off
	s_clause 0x1
	buffer_load_dword v89, off, s[16:19], 0 offset:136
	buffer_load_dword v90, off, s[16:19], 0 offset:140
	s_waitcnt vmcnt(0)
	global_store_dwordx4 v[89:90], v[85:88], off
	s_clause 0x1
	buffer_load_dword v85, off, s[16:19], 0 offset:144
	buffer_load_dword v86, off, s[16:19], 0 offset:148
	s_waitcnt vmcnt(0)
	global_store_dwordx4 v[85:86], v[81:84], off
	s_clause 0x1
	buffer_load_dword v81, off, s[16:19], 0 offset:152
	buffer_load_dword v82, off, s[16:19], 0 offset:156
	s_waitcnt vmcnt(0)
	global_store_dwordx4 v[81:82], v[77:80], off
	s_clause 0x1
	buffer_load_dword v77, off, s[16:19], 0 offset:160
	buffer_load_dword v78, off, s[16:19], 0 offset:164
	s_waitcnt vmcnt(0)
	global_store_dwordx4 v[77:78], v[73:76], off
	s_clause 0x1
	buffer_load_dword v73, off, s[16:19], 0 offset:168
	buffer_load_dword v74, off, s[16:19], 0 offset:172
	s_waitcnt vmcnt(0)
	global_store_dwordx4 v[73:74], v[69:72], off
	s_clause 0x1
	buffer_load_dword v69, off, s[16:19], 0 offset:176
	buffer_load_dword v70, off, s[16:19], 0 offset:180
	s_waitcnt vmcnt(0)
	global_store_dwordx4 v[69:70], v[65:68], off
	s_clause 0x1
	buffer_load_dword v65, off, s[16:19], 0 offset:184
	buffer_load_dword v66, off, s[16:19], 0 offset:188
	s_waitcnt vmcnt(0)
	global_store_dwordx4 v[65:66], v[61:64], off
	s_clause 0x1
	buffer_load_dword v61, off, s[16:19], 0 offset:192
	buffer_load_dword v62, off, s[16:19], 0 offset:196
	s_waitcnt vmcnt(0)
	global_store_dwordx4 v[61:62], v[57:60], off
	s_clause 0x1
	buffer_load_dword v57, off, s[16:19], 0 offset:200
	buffer_load_dword v58, off, s[16:19], 0 offset:204
	s_waitcnt vmcnt(0)
	global_store_dwordx4 v[57:58], v[53:56], off
	s_clause 0x1
	buffer_load_dword v53, off, s[16:19], 0 offset:208
	buffer_load_dword v54, off, s[16:19], 0 offset:212
	s_waitcnt vmcnt(0)
	global_store_dwordx4 v[53:54], v[49:52], off
	s_clause 0x1
	buffer_load_dword v49, off, s[16:19], 0 offset:216
	buffer_load_dword v50, off, s[16:19], 0 offset:220
	s_waitcnt vmcnt(0)
	global_store_dwordx4 v[49:50], v[45:48], off
	s_clause 0x1
	buffer_load_dword v45, off, s[16:19], 0 offset:224
	buffer_load_dword v46, off, s[16:19], 0 offset:228
	s_waitcnt vmcnt(0)
	global_store_dwordx4 v[45:46], v[41:44], off
	s_clause 0x1
	buffer_load_dword v41, off, s[16:19], 0 offset:232
	buffer_load_dword v42, off, s[16:19], 0 offset:236
	s_waitcnt vmcnt(0)
	global_store_dwordx4 v[41:42], v[37:40], off
	s_clause 0x1
	buffer_load_dword v37, off, s[16:19], 0 offset:240
	buffer_load_dword v38, off, s[16:19], 0 offset:244
	s_waitcnt vmcnt(0)
	global_store_dwordx4 v[37:38], v[33:36], off
	s_clause 0x1
	buffer_load_dword v33, off, s[16:19], 0 offset:248
	buffer_load_dword v34, off, s[16:19], 0 offset:252
	s_waitcnt vmcnt(0)
	global_store_dwordx4 v[33:34], v[29:32], off
	s_clause 0x1
	buffer_load_dword v29, off, s[16:19], 0 offset:256
	buffer_load_dword v30, off, s[16:19], 0 offset:260
	s_waitcnt vmcnt(0)
	global_store_dwordx4 v[29:30], v[25:28], off
	s_clause 0x1
	buffer_load_dword v25, off, s[16:19], 0 offset:264
	buffer_load_dword v26, off, s[16:19], 0 offset:268
	s_waitcnt vmcnt(0)
	global_store_dwordx4 v[25:26], v[21:24], off
	s_clause 0x1
	buffer_load_dword v21, off, s[16:19], 0 offset:272
	buffer_load_dword v22, off, s[16:19], 0 offset:276
	s_waitcnt vmcnt(0)
	global_store_dwordx4 v[21:22], v[17:20], off
	s_clause 0x1
	buffer_load_dword v17, off, s[16:19], 0 offset:304
	buffer_load_dword v18, off, s[16:19], 0 offset:308
	s_waitcnt vmcnt(0)
	global_store_dwordx4 v[17:18], v[13:16], off
	s_clause 0x1
	buffer_load_dword v13, off, s[16:19], 0 offset:280
	buffer_load_dword v14, off, s[16:19], 0 offset:284
	s_waitcnt vmcnt(0)
	global_store_dwordx4 v[13:14], v[9:12], off
	s_clause 0x1
	buffer_load_dword v9, off, s[16:19], 0 offset:288
	buffer_load_dword v10, off, s[16:19], 0 offset:292
	s_waitcnt vmcnt(0)
	global_store_dwordx4 v[9:10], v[5:8], off
	s_clause 0x1
	buffer_load_dword v5, off, s[16:19], 0 offset:296
	buffer_load_dword v6, off, s[16:19], 0 offset:300
	s_waitcnt vmcnt(0)
	global_store_dwordx4 v[5:6], v[1:4], off
.LBB95_437:
	s_endpgm
	.section	.rodata,"a",@progbits
	.p2align	6, 0x0
	.amdhsa_kernel _ZN9rocsolver6v33100L23getf2_npvt_small_kernelILi48E19rocblas_complex_numIdEiiPS3_EEvT1_T3_lS5_lPT2_S5_S5_
		.amdhsa_group_segment_fixed_size 0
		.amdhsa_private_segment_fixed_size 1004
		.amdhsa_kernarg_size 312
		.amdhsa_user_sgpr_count 6
		.amdhsa_user_sgpr_private_segment_buffer 1
		.amdhsa_user_sgpr_dispatch_ptr 0
		.amdhsa_user_sgpr_queue_ptr 0
		.amdhsa_user_sgpr_kernarg_segment_ptr 1
		.amdhsa_user_sgpr_dispatch_id 0
		.amdhsa_user_sgpr_flat_scratch_init 0
		.amdhsa_user_sgpr_private_segment_size 0
		.amdhsa_wavefront_size32 1
		.amdhsa_uses_dynamic_stack 0
		.amdhsa_system_sgpr_private_segment_wavefront_offset 1
		.amdhsa_system_sgpr_workgroup_id_x 1
		.amdhsa_system_sgpr_workgroup_id_y 1
		.amdhsa_system_sgpr_workgroup_id_z 0
		.amdhsa_system_sgpr_workgroup_info 0
		.amdhsa_system_vgpr_workitem_id 1
		.amdhsa_next_free_vgpr 256
		.amdhsa_next_free_sgpr 20
		.amdhsa_reserve_vcc 1
		.amdhsa_reserve_flat_scratch 0
		.amdhsa_float_round_mode_32 0
		.amdhsa_float_round_mode_16_64 0
		.amdhsa_float_denorm_mode_32 3
		.amdhsa_float_denorm_mode_16_64 3
		.amdhsa_dx10_clamp 1
		.amdhsa_ieee_mode 1
		.amdhsa_fp16_overflow 0
		.amdhsa_workgroup_processor_mode 1
		.amdhsa_memory_ordered 1
		.amdhsa_forward_progress 1
		.amdhsa_shared_vgpr_count 0
		.amdhsa_exception_fp_ieee_invalid_op 0
		.amdhsa_exception_fp_denorm_src 0
		.amdhsa_exception_fp_ieee_div_zero 0
		.amdhsa_exception_fp_ieee_overflow 0
		.amdhsa_exception_fp_ieee_underflow 0
		.amdhsa_exception_fp_ieee_inexact 0
		.amdhsa_exception_int_div_zero 0
	.end_amdhsa_kernel
	.section	.text._ZN9rocsolver6v33100L23getf2_npvt_small_kernelILi48E19rocblas_complex_numIdEiiPS3_EEvT1_T3_lS5_lPT2_S5_S5_,"axG",@progbits,_ZN9rocsolver6v33100L23getf2_npvt_small_kernelILi48E19rocblas_complex_numIdEiiPS3_EEvT1_T3_lS5_lPT2_S5_S5_,comdat
.Lfunc_end95:
	.size	_ZN9rocsolver6v33100L23getf2_npvt_small_kernelILi48E19rocblas_complex_numIdEiiPS3_EEvT1_T3_lS5_lPT2_S5_S5_, .Lfunc_end95-_ZN9rocsolver6v33100L23getf2_npvt_small_kernelILi48E19rocblas_complex_numIdEiiPS3_EEvT1_T3_lS5_lPT2_S5_S5_
                                        ; -- End function
	.set _ZN9rocsolver6v33100L23getf2_npvt_small_kernelILi48E19rocblas_complex_numIdEiiPS3_EEvT1_T3_lS5_lPT2_S5_S5_.num_vgpr, 256
	.set _ZN9rocsolver6v33100L23getf2_npvt_small_kernelILi48E19rocblas_complex_numIdEiiPS3_EEvT1_T3_lS5_lPT2_S5_S5_.num_agpr, 0
	.set _ZN9rocsolver6v33100L23getf2_npvt_small_kernelILi48E19rocblas_complex_numIdEiiPS3_EEvT1_T3_lS5_lPT2_S5_S5_.numbered_sgpr, 20
	.set _ZN9rocsolver6v33100L23getf2_npvt_small_kernelILi48E19rocblas_complex_numIdEiiPS3_EEvT1_T3_lS5_lPT2_S5_S5_.num_named_barrier, 0
	.set _ZN9rocsolver6v33100L23getf2_npvt_small_kernelILi48E19rocblas_complex_numIdEiiPS3_EEvT1_T3_lS5_lPT2_S5_S5_.private_seg_size, 1004
	.set _ZN9rocsolver6v33100L23getf2_npvt_small_kernelILi48E19rocblas_complex_numIdEiiPS3_EEvT1_T3_lS5_lPT2_S5_S5_.uses_vcc, 1
	.set _ZN9rocsolver6v33100L23getf2_npvt_small_kernelILi48E19rocblas_complex_numIdEiiPS3_EEvT1_T3_lS5_lPT2_S5_S5_.uses_flat_scratch, 0
	.set _ZN9rocsolver6v33100L23getf2_npvt_small_kernelILi48E19rocblas_complex_numIdEiiPS3_EEvT1_T3_lS5_lPT2_S5_S5_.has_dyn_sized_stack, 0
	.set _ZN9rocsolver6v33100L23getf2_npvt_small_kernelILi48E19rocblas_complex_numIdEiiPS3_EEvT1_T3_lS5_lPT2_S5_S5_.has_recursion, 0
	.set _ZN9rocsolver6v33100L23getf2_npvt_small_kernelILi48E19rocblas_complex_numIdEiiPS3_EEvT1_T3_lS5_lPT2_S5_S5_.has_indirect_call, 0
	.section	.AMDGPU.csdata,"",@progbits
; Kernel info:
; codeLenInByte = 120028
; TotalNumSgprs: 22
; NumVgprs: 256
; ScratchSize: 1004
; MemoryBound: 1
; FloatMode: 240
; IeeeMode: 1
; LDSByteSize: 0 bytes/workgroup (compile time only)
; SGPRBlocks: 0
; VGPRBlocks: 31
; NumSGPRsForWavesPerEU: 22
; NumVGPRsForWavesPerEU: 256
; Occupancy: 4
; WaveLimiterHint : 0
; COMPUTE_PGM_RSRC2:SCRATCH_EN: 1
; COMPUTE_PGM_RSRC2:USER_SGPR: 6
; COMPUTE_PGM_RSRC2:TRAP_HANDLER: 0
; COMPUTE_PGM_RSRC2:TGID_X_EN: 1
; COMPUTE_PGM_RSRC2:TGID_Y_EN: 1
; COMPUTE_PGM_RSRC2:TGID_Z_EN: 0
; COMPUTE_PGM_RSRC2:TIDIG_COMP_CNT: 1
	.section	.text._ZN9rocsolver6v33100L18getf2_small_kernelILi49E19rocblas_complex_numIdEiiPS3_EEvT1_T3_lS5_lPS5_llPT2_S5_S5_S7_l,"axG",@progbits,_ZN9rocsolver6v33100L18getf2_small_kernelILi49E19rocblas_complex_numIdEiiPS3_EEvT1_T3_lS5_lPS5_llPT2_S5_S5_S7_l,comdat
	.globl	_ZN9rocsolver6v33100L18getf2_small_kernelILi49E19rocblas_complex_numIdEiiPS3_EEvT1_T3_lS5_lPS5_llPT2_S5_S5_S7_l ; -- Begin function _ZN9rocsolver6v33100L18getf2_small_kernelILi49E19rocblas_complex_numIdEiiPS3_EEvT1_T3_lS5_lPS5_llPT2_S5_S5_S7_l
	.p2align	8
	.type	_ZN9rocsolver6v33100L18getf2_small_kernelILi49E19rocblas_complex_numIdEiiPS3_EEvT1_T3_lS5_lPS5_llPT2_S5_S5_S7_l,@function
_ZN9rocsolver6v33100L18getf2_small_kernelILi49E19rocblas_complex_numIdEiiPS3_EEvT1_T3_lS5_lPS5_llPT2_S5_S5_S7_l: ; @_ZN9rocsolver6v33100L18getf2_small_kernelILi49E19rocblas_complex_numIdEiiPS3_EEvT1_T3_lS5_lPS5_llPT2_S5_S5_S7_l
; %bb.0:
	s_clause 0x1
	s_load_dword s0, s[4:5], 0x6c
	s_load_dwordx2 s[16:17], s[4:5], 0x48
	s_waitcnt lgkmcnt(0)
	s_lshr_b32 s0, s0, 16
	v_mad_u64_u32 v[202:203], null, s7, s0, v[1:2]
	s_mov_b32 s0, exec_lo
	v_cmpx_gt_i32_e64 s16, v202
	s_cbranch_execnz .LBB96_1
; %bb.1033:
	s_getpc_b64 s[18:19]
.Lpost_getpc1:
	s_add_u32 s18, s18, (.LBB96_1032-.Lpost_getpc1)&4294967295
	s_addc_u32 s19, s19, (.LBB96_1032-.Lpost_getpc1)>>32
	s_setpc_b64 s[18:19]
.LBB96_1:
	s_load_dwordx4 s[0:3], s[4:5], 0x50
	v_mov_b32_e32 v204, 0
	v_ashrrev_i32_e32 v203, 31, v202
	v_mov_b32_e32 v205, 0
	s_waitcnt lgkmcnt(0)
	s_cmp_eq_u64 s[0:1], 0
	s_cselect_b32 s16, -1, 0
	s_and_b32 vcc_lo, exec_lo, s16
	s_cbranch_vccnz .LBB96_3
; %bb.2:
	v_mul_lo_u32 v4, s3, v202
	v_mul_lo_u32 v5, s2, v203
	v_mad_u64_u32 v[2:3], null, s2, v202, 0
	v_add3_u32 v3, v3, v5, v4
	v_lshlrev_b64 v[2:3], 2, v[2:3]
	v_add_co_u32 v204, vcc_lo, s0, v2
	v_add_co_ci_u32_e64 v205, null, s1, v3, vcc_lo
.LBB96_3:
	s_clause 0x2
	s_load_dwordx8 s[8:15], s[4:5], 0x20
	s_load_dword s6, s[4:5], 0x18
	s_load_dwordx4 s[0:3], s[4:5], 0x8
	v_lshlrev_b32_e32 v208, 4, v0
	s_waitcnt lgkmcnt(0)
	v_mul_lo_u32 v3, s9, v202
	v_mul_lo_u32 v7, s8, v203
	v_mad_u64_u32 v[4:5], null, s8, v202, 0
	v_add3_u32 v2, s6, s6, v0
	s_lshl_b64 s[8:9], s[2:3], 4
	s_ashr_i32 s7, s6, 31
	s_lshl_b64 s[2:3], s[6:7], 4
	v_add_nc_u32_e32 v6, s6, v2
	v_add3_u32 v5, v5, v7, v3
	v_ashrrev_i32_e32 v3, 31, v2
	v_add_nc_u32_e32 v8, s6, v6
	v_lshlrev_b64 v[4:5], 4, v[4:5]
	v_ashrrev_i32_e32 v7, 31, v6
	v_lshlrev_b64 v[2:3], 4, v[2:3]
	v_ashrrev_i32_e32 v9, 31, v8
	v_add_nc_u32_e32 v10, s6, v8
	v_add_co_u32 v12, vcc_lo, s0, v4
	v_add_co_ci_u32_e64 v13, null, s1, v5, vcc_lo
	v_lshlrev_b64 v[4:5], 4, v[8:9]
	v_add_nc_u32_e32 v8, s6, v10
	v_add_co_u32 v209, vcc_lo, v12, s8
	v_ashrrev_i32_e32 v11, 31, v10
	v_add_co_ci_u32_e64 v210, null, s9, v13, vcc_lo
	v_add_nc_u32_e32 v12, s6, v8
	v_lshlrev_b64 v[6:7], 4, v[6:7]
	v_add_co_u32 v14, vcc_lo, v209, v208
	v_ashrrev_i32_e32 v9, 31, v8
	v_add_nc_u32_e32 v16, s6, v12
	v_lshlrev_b64 v[10:11], 4, v[10:11]
	v_add_co_ci_u32_e64 v15, null, 0, v210, vcc_lo
	v_add_co_u32 v2, vcc_lo, v209, v2
	v_ashrrev_i32_e32 v13, 31, v12
	v_add_co_ci_u32_e64 v3, null, v210, v3, vcc_lo
	v_add_co_u32 v6, vcc_lo, v209, v6
	v_add_nc_u32_e32 v18, s6, v16
	v_add_co_ci_u32_e64 v7, null, v210, v7, vcc_lo
	v_lshlrev_b64 v[8:9], 4, v[8:9]
	v_add_co_u32 v4, vcc_lo, v209, v4
	v_add_co_ci_u32_e64 v5, null, v210, v5, vcc_lo
	v_add_co_u32 v10, vcc_lo, v209, v10
	v_lshlrev_b64 v[12:13], 4, v[12:13]
	v_add_co_ci_u32_e64 v11, null, v210, v11, vcc_lo
	v_ashrrev_i32_e32 v17, 31, v16
	v_add_co_u32 v20, vcc_lo, v14, s2
	s_clause 0x1
	global_load_dwordx4 v[166:169], v[2:3], off
	global_load_dwordx4 v[162:165], v[6:7], off
	v_add_nc_u32_e32 v6, s6, v18
	v_add_co_ci_u32_e64 v21, null, s3, v15, vcc_lo
	v_add_co_u32 v2, vcc_lo, v209, v8
	v_ashrrev_i32_e32 v19, 31, v18
	v_add_co_ci_u32_e64 v3, null, v210, v9, vcc_lo
	v_add_co_u32 v8, vcc_lo, v209, v12
	s_clause 0x1
	global_load_dwordx4 v[154:157], v[4:5], off
	global_load_dwordx4 v[150:153], v[10:11], off
	v_lshlrev_b64 v[4:5], 4, v[16:17]
	v_ashrrev_i32_e32 v7, 31, v6
	v_add_nc_u32_e32 v12, s6, v6
	v_add_co_ci_u32_e64 v9, null, v210, v13, vcc_lo
	v_lshlrev_b64 v[10:11], 4, v[18:19]
	s_clause 0x3
	global_load_dwordx4 v[194:197], v[14:15], off
	global_load_dwordx4 v[190:193], v[20:21], off
	global_load_dwordx4 v[158:161], v[2:3], off
	global_load_dwordx4 v[134:137], v[8:9], off
	v_lshlrev_b64 v[2:3], 4, v[6:7]
	v_ashrrev_i32_e32 v13, 31, v12
	v_add_nc_u32_e32 v6, s6, v12
	v_add_co_u32 v4, vcc_lo, v209, v4
	v_add_co_ci_u32_e64 v5, null, v210, v5, vcc_lo
	v_add_co_u32 v8, vcc_lo, v209, v10
	v_add_co_ci_u32_e64 v9, null, v210, v11, vcc_lo
	v_lshlrev_b64 v[10:11], 4, v[12:13]
	v_ashrrev_i32_e32 v7, 31, v6
	v_add_nc_u32_e32 v12, s6, v6
	s_clause 0x1
	global_load_dwordx4 v[138:141], v[4:5], off
	global_load_dwordx4 v[110:113], v[8:9], off
	v_add_co_u32 v2, vcc_lo, v209, v2
	v_lshlrev_b64 v[4:5], 4, v[6:7]
	v_ashrrev_i32_e32 v13, 31, v12
	v_add_nc_u32_e32 v6, s6, v12
	v_add_co_ci_u32_e64 v3, null, v210, v3, vcc_lo
	v_add_co_u32 v8, vcc_lo, v209, v10
	v_add_co_ci_u32_e64 v9, null, v210, v11, vcc_lo
	v_lshlrev_b64 v[10:11], 4, v[12:13]
	v_ashrrev_i32_e32 v7, 31, v6
	v_add_nc_u32_e32 v12, s6, v6
	s_clause 0x1
	global_load_dwordx4 v[118:121], v[2:3], off
	global_load_dwordx4 v[114:117], v[8:9], off
	v_add_co_u32 v4, vcc_lo, v209, v4
	v_lshlrev_b64 v[2:3], 4, v[6:7]
	v_ashrrev_i32_e32 v13, 31, v12
	v_add_nc_u32_e32 v6, s6, v12
	v_add_co_ci_u32_e64 v5, null, v210, v5, vcc_lo
	v_add_co_u32 v8, vcc_lo, v209, v10
	v_add_co_ci_u32_e64 v9, null, v210, v11, vcc_lo
	v_lshlrev_b64 v[10:11], 4, v[12:13]
	v_add_nc_u32_e32 v12, s6, v6
	v_ashrrev_i32_e32 v7, 31, v6
	v_add_co_u32 v2, vcc_lo, v209, v2
	v_add_co_ci_u32_e64 v3, null, v210, v3, vcc_lo
	v_add_nc_u32_e32 v14, s6, v12
	v_ashrrev_i32_e32 v13, 31, v12
	v_lshlrev_b64 v[6:7], 4, v[6:7]
	v_add_co_u32 v10, vcc_lo, v209, v10
	v_add_nc_u32_e32 v16, s6, v14
	v_ashrrev_i32_e32 v15, 31, v14
	v_lshlrev_b64 v[12:13], 4, v[12:13]
	v_add_co_ci_u32_e64 v11, null, v210, v11, vcc_lo
	v_add_nc_u32_e32 v18, s6, v16
	v_ashrrev_i32_e32 v17, 31, v16
	v_lshlrev_b64 v[14:15], 4, v[14:15]
	v_add_co_u32 v6, vcc_lo, v209, v6
	v_add_nc_u32_e32 v20, s6, v18
	v_ashrrev_i32_e32 v19, 31, v18
	v_lshlrev_b64 v[16:17], 4, v[16:17]
	v_add_co_ci_u32_e64 v7, null, v210, v7, vcc_lo
	v_add_nc_u32_e32 v22, s6, v20
	v_ashrrev_i32_e32 v21, 31, v20
	v_add_co_u32 v12, vcc_lo, v209, v12
	v_lshlrev_b64 v[18:19], 4, v[18:19]
	v_add_nc_u32_e32 v24, s6, v22
	v_ashrrev_i32_e32 v23, 31, v22
	v_add_co_ci_u32_e64 v13, null, v210, v13, vcc_lo
	v_add_co_u32 v14, vcc_lo, v209, v14
	v_add_nc_u32_e32 v26, s6, v24
	v_ashrrev_i32_e32 v25, 31, v24
	v_lshlrev_b64 v[20:21], 4, v[20:21]
	v_add_co_ci_u32_e64 v15, null, v210, v15, vcc_lo
	v_add_nc_u32_e32 v28, s6, v26
	v_ashrrev_i32_e32 v27, 31, v26
	v_add_co_u32 v16, vcc_lo, v209, v16
	v_lshlrev_b64 v[22:23], 4, v[22:23]
	v_add_nc_u32_e32 v30, s6, v28
	v_ashrrev_i32_e32 v29, 31, v28
	v_add_co_ci_u32_e64 v17, null, v210, v17, vcc_lo
	v_add_co_u32 v18, vcc_lo, v209, v18
	v_add_nc_u32_e32 v32, s6, v30
	v_lshlrev_b64 v[24:25], 4, v[24:25]
	v_ashrrev_i32_e32 v31, 31, v30
	v_add_co_ci_u32_e64 v19, null, v210, v19, vcc_lo
	v_add_nc_u32_e32 v34, s6, v32
	v_add_co_u32 v20, vcc_lo, v209, v20
	v_lshlrev_b64 v[26:27], 4, v[26:27]
	v_ashrrev_i32_e32 v33, 31, v32
	v_add_nc_u32_e32 v36, s6, v34
	v_add_co_ci_u32_e64 v21, null, v210, v21, vcc_lo
	v_add_co_u32 v22, vcc_lo, v209, v22
	v_add_nc_u32_e32 v38, s6, v36
	v_lshlrev_b64 v[28:29], 4, v[28:29]
	v_ashrrev_i32_e32 v35, 31, v34
	v_add_co_ci_u32_e64 v23, null, v210, v23, vcc_lo
	v_add_nc_u32_e32 v40, s6, v38
	v_add_co_u32 v24, vcc_lo, v209, v24
	v_lshlrev_b64 v[30:31], 4, v[30:31]
	v_ashrrev_i32_e32 v37, 31, v36
	v_add_nc_u32_e32 v42, s6, v40
	;; [unrolled: 11-line block ×3, first 2 shown]
	v_add_co_ci_u32_e64 v29, null, v210, v29, vcc_lo
	v_add_co_u32 v30, vcc_lo, v209, v30
	v_add_nc_u32_e32 v50, s6, v48
	v_lshlrev_b64 v[36:37], 4, v[36:37]
	v_ashrrev_i32_e32 v43, 31, v42
	v_add_co_ci_u32_e64 v31, null, v210, v31, vcc_lo
	v_add_co_u32 v32, vcc_lo, v209, v32
	v_lshlrev_b64 v[38:39], 4, v[38:39]
	v_ashrrev_i32_e32 v45, 31, v44
	v_add_co_ci_u32_e64 v33, null, v210, v33, vcc_lo
	v_add_co_u32 v34, vcc_lo, v209, v34
	v_lshlrev_b64 v[40:41], 4, v[40:41]
	v_add_nc_u32_e32 v52, s6, v50
	v_ashrrev_i32_e32 v47, 31, v46
	v_add_co_ci_u32_e64 v35, null, v210, v35, vcc_lo
	v_add_co_u32 v36, vcc_lo, v209, v36
	v_lshlrev_b64 v[42:43], 4, v[42:43]
	v_ashrrev_i32_e32 v49, 31, v48
	v_add_co_ci_u32_e64 v37, null, v210, v37, vcc_lo
	v_add_co_u32 v38, vcc_lo, v209, v38
	v_lshlrev_b64 v[44:45], 4, v[44:45]
	v_ashrrev_i32_e32 v51, 31, v50
	v_add_nc_u32_e32 v54, s6, v52
	v_add_co_ci_u32_e64 v39, null, v210, v39, vcc_lo
	v_add_co_u32 v40, vcc_lo, v209, v40
	v_lshlrev_b64 v[46:47], 4, v[46:47]
	v_ashrrev_i32_e32 v53, 31, v52
	v_add_co_ci_u32_e64 v41, null, v210, v41, vcc_lo
	v_add_co_u32 v42, vcc_lo, v209, v42
	v_lshlrev_b64 v[48:49], 4, v[48:49]
	v_add_co_ci_u32_e64 v43, null, v210, v43, vcc_lo
	v_add_co_u32 v44, vcc_lo, v209, v44
	v_lshlrev_b64 v[50:51], 4, v[50:51]
	v_add_nc_u32_e32 v56, s6, v54
	v_add_co_ci_u32_e64 v45, null, v210, v45, vcc_lo
	v_add_co_u32 v46, vcc_lo, v209, v46
	v_lshlrev_b64 v[52:53], 4, v[52:53]
	v_ashrrev_i32_e32 v55, 31, v54
	v_add_co_ci_u32_e64 v47, null, v210, v47, vcc_lo
	v_add_co_u32 v48, vcc_lo, v209, v48
	v_ashrrev_i32_e32 v57, 31, v56
	v_add_nc_u32_e32 v58, s6, v56
	v_add_co_ci_u32_e64 v49, null, v210, v49, vcc_lo
	v_add_co_u32 v50, vcc_lo, v209, v50
	v_lshlrev_b64 v[54:55], 4, v[54:55]
	v_add_co_ci_u32_e64 v51, null, v210, v51, vcc_lo
	v_add_co_u32 v198, vcc_lo, v209, v52
	v_add_co_ci_u32_e64 v199, null, v210, v53, vcc_lo
	v_lshlrev_b64 v[52:53], 4, v[56:57]
	v_ashrrev_i32_e32 v59, 31, v58
	v_add_nc_u32_e32 v56, s6, v58
	v_add_co_u32 v200, vcc_lo, v209, v54
	v_add_co_ci_u32_e64 v201, null, v210, v55, vcc_lo
	v_lshlrev_b64 v[54:55], 4, v[58:59]
	v_ashrrev_i32_e32 v57, 31, v56
	v_add_nc_u32_e32 v58, s6, v56
	;; [unrolled: 5-line block ×7, first 2 shown]
	v_add_co_u32 v219, vcc_lo, v209, v54
	v_add_co_ci_u32_e64 v220, null, v210, v55, vcc_lo
	v_lshlrev_b64 v[54:55], 4, v[58:59]
	v_add_nc_u32_e32 v58, s6, v56
	v_ashrrev_i32_e32 v57, 31, v56
	v_add_co_u32 v221, vcc_lo, v209, v52
	v_add_co_ci_u32_e64 v222, null, v210, v53, vcc_lo
	v_ashrrev_i32_e32 v59, 31, v58
	v_lshlrev_b64 v[52:53], 4, v[56:57]
	v_add_co_u32 v223, vcc_lo, v209, v54
	v_add_co_ci_u32_e64 v224, null, v210, v55, vcc_lo
	v_lshlrev_b64 v[54:55], 4, v[58:59]
	v_add_co_u32 v225, vcc_lo, v209, v52
	v_add_co_ci_u32_e64 v226, null, v210, v53, vcc_lo
	s_load_dword s1, s[4:5], 0x0
	v_add_co_u32 v227, vcc_lo, v209, v54
	v_add_co_ci_u32_e64 v228, null, v210, v55, vcc_lo
	s_clause 0x24
	global_load_dwordx4 v[186:189], v[4:5], off
	global_load_dwordx4 v[182:185], v[8:9], off
	;; [unrolled: 1-line block ×37, first 2 shown]
	s_load_dwordx2 s[4:5], s[4:5], 0x40
	s_waitcnt lgkmcnt(0)
	s_max_i32 s0, s1, 49
	s_cmp_lt_i32 s1, 2
	v_mul_lo_u32 v206, s0, v1
	v_lshl_add_u32 v1, v206, 4, 0
	v_add_nc_u32_e32 v198, v1, v208
	v_lshlrev_b32_e32 v208, 4, v206
	v_mov_b32_e32 v206, 0
	s_waitcnt vmcnt(44)
	ds_write2_b64 v198, v[194:195], v[196:197] offset1:1
	s_waitcnt vmcnt(0) lgkmcnt(0)
	s_barrier
	buffer_gl0_inv
	ds_read2_b64 v[198:201], v1 offset1:1
	s_cbranch_scc1 .LBB96_6
; %bb.4:
	v_add3_u32 v207, v208, 0, 16
	v_mov_b32_e32 v206, 0
	s_mov_b32 s7, 1
	s_inst_prefetch 0x1
	.p2align	6
.LBB96_5:                               ; =>This Inner Loop Header: Depth=1
	s_waitcnt lgkmcnt(0)
	v_cmp_gt_f64_e32 vcc_lo, 0, v[200:201]
	v_cmp_gt_f64_e64 s0, 0, v[198:199]
	ds_read2_b64 v[211:214], v207 offset1:1
	v_xor_b32_e32 v216, 0x80000000, v199
	v_xor_b32_e32 v218, 0x80000000, v201
	v_mov_b32_e32 v215, v198
	v_mov_b32_e32 v217, v200
	v_add_nc_u32_e32 v207, 16, v207
	s_waitcnt lgkmcnt(0)
	v_xor_b32_e32 v220, 0x80000000, v214
	v_cndmask_b32_e64 v216, v199, v216, s0
	v_cndmask_b32_e32 v218, v201, v218, vcc_lo
	v_cmp_gt_f64_e32 vcc_lo, 0, v[213:214]
	v_cmp_gt_f64_e64 s0, 0, v[211:212]
	v_mov_b32_e32 v219, v213
	v_add_f64 v[215:216], v[215:216], v[217:218]
	v_xor_b32_e32 v218, 0x80000000, v212
	v_mov_b32_e32 v217, v211
	v_cndmask_b32_e32 v220, v214, v220, vcc_lo
	v_cndmask_b32_e64 v218, v212, v218, s0
	v_add_f64 v[217:218], v[217:218], v[219:220]
	v_cmp_lt_f64_e32 vcc_lo, v[215:216], v[217:218]
	v_cndmask_b32_e32 v199, v199, v212, vcc_lo
	v_cndmask_b32_e32 v198, v198, v211, vcc_lo
	;; [unrolled: 1-line block ×4, first 2 shown]
	v_cndmask_b32_e64 v206, v206, s7, vcc_lo
	s_add_i32 s7, s7, 1
	s_cmp_eq_u32 s1, s7
	s_cbranch_scc0 .LBB96_5
.LBB96_6:
	s_inst_prefetch 0x2
	s_waitcnt lgkmcnt(0)
	v_cmp_neq_f64_e32 vcc_lo, 0, v[198:199]
	v_cmp_neq_f64_e64 s0, 0, v[200:201]
	v_mov_b32_e32 v211, 1
	v_mov_b32_e32 v213, 1
	s_or_b32 s7, vcc_lo, s0
	s_and_saveexec_b32 s0, s7
	s_cbranch_execz .LBB96_12
; %bb.7:
	v_cmp_ngt_f64_e64 s7, |v[198:199]|, |v[200:201]|
	s_and_saveexec_b32 s8, s7
	s_xor_b32 s7, exec_lo, s8
	s_cbranch_execz .LBB96_9
; %bb.8:
	v_div_scale_f64 v[211:212], null, v[200:201], v[200:201], v[198:199]
	v_div_scale_f64 v[217:218], vcc_lo, v[198:199], v[200:201], v[198:199]
	v_rcp_f64_e32 v[213:214], v[211:212]
	v_fma_f64 v[215:216], -v[211:212], v[213:214], 1.0
	v_fma_f64 v[213:214], v[213:214], v[215:216], v[213:214]
	v_fma_f64 v[215:216], -v[211:212], v[213:214], 1.0
	v_fma_f64 v[213:214], v[213:214], v[215:216], v[213:214]
	v_mul_f64 v[215:216], v[217:218], v[213:214]
	v_fma_f64 v[211:212], -v[211:212], v[215:216], v[217:218]
	v_div_fmas_f64 v[211:212], v[211:212], v[213:214], v[215:216]
	v_div_fixup_f64 v[211:212], v[211:212], v[200:201], v[198:199]
	v_fma_f64 v[198:199], v[198:199], v[211:212], v[200:201]
	v_div_scale_f64 v[200:201], null, v[198:199], v[198:199], 1.0
	v_rcp_f64_e32 v[213:214], v[200:201]
	v_fma_f64 v[215:216], -v[200:201], v[213:214], 1.0
	v_fma_f64 v[213:214], v[213:214], v[215:216], v[213:214]
	v_fma_f64 v[215:216], -v[200:201], v[213:214], 1.0
	v_fma_f64 v[213:214], v[213:214], v[215:216], v[213:214]
	v_div_scale_f64 v[215:216], vcc_lo, 1.0, v[198:199], 1.0
	v_mul_f64 v[217:218], v[215:216], v[213:214]
	v_fma_f64 v[200:201], -v[200:201], v[217:218], v[215:216]
	v_div_fmas_f64 v[200:201], v[200:201], v[213:214], v[217:218]
	v_div_fixup_f64 v[200:201], v[200:201], v[198:199], 1.0
	v_mul_f64 v[198:199], v[211:212], v[200:201]
	v_xor_b32_e32 v201, 0x80000000, v201
.LBB96_9:
	s_andn2_saveexec_b32 s7, s7
	s_cbranch_execz .LBB96_11
; %bb.10:
	v_div_scale_f64 v[211:212], null, v[198:199], v[198:199], v[200:201]
	v_div_scale_f64 v[217:218], vcc_lo, v[200:201], v[198:199], v[200:201]
	v_rcp_f64_e32 v[213:214], v[211:212]
	v_fma_f64 v[215:216], -v[211:212], v[213:214], 1.0
	v_fma_f64 v[213:214], v[213:214], v[215:216], v[213:214]
	v_fma_f64 v[215:216], -v[211:212], v[213:214], 1.0
	v_fma_f64 v[213:214], v[213:214], v[215:216], v[213:214]
	v_mul_f64 v[215:216], v[217:218], v[213:214]
	v_fma_f64 v[211:212], -v[211:212], v[215:216], v[217:218]
	v_div_fmas_f64 v[211:212], v[211:212], v[213:214], v[215:216]
	v_div_fixup_f64 v[211:212], v[211:212], v[198:199], v[200:201]
	v_fma_f64 v[198:199], v[200:201], v[211:212], v[198:199]
	v_div_scale_f64 v[200:201], null, v[198:199], v[198:199], 1.0
	v_rcp_f64_e32 v[213:214], v[200:201]
	v_fma_f64 v[215:216], -v[200:201], v[213:214], 1.0
	v_fma_f64 v[213:214], v[213:214], v[215:216], v[213:214]
	v_fma_f64 v[215:216], -v[200:201], v[213:214], 1.0
	v_fma_f64 v[213:214], v[213:214], v[215:216], v[213:214]
	v_div_scale_f64 v[215:216], vcc_lo, 1.0, v[198:199], 1.0
	v_mul_f64 v[217:218], v[215:216], v[213:214]
	v_fma_f64 v[200:201], -v[200:201], v[217:218], v[215:216]
	v_div_fmas_f64 v[200:201], v[200:201], v[213:214], v[217:218]
	v_div_fixup_f64 v[198:199], v[200:201], v[198:199], 1.0
	v_mul_f64 v[200:201], v[211:212], -v[198:199]
.LBB96_11:
	s_or_b32 exec_lo, exec_lo, s7
	v_mov_b32_e32 v213, 0
	v_mov_b32_e32 v211, 2
.LBB96_12:
	s_or_b32 exec_lo, exec_lo, s0
	s_mov_b32 s0, exec_lo
	v_cmpx_ne_u32_e64 v0, v206
	s_xor_b32 s0, exec_lo, s0
	s_cbranch_execz .LBB96_18
; %bb.13:
	s_mov_b32 s7, exec_lo
	v_cmpx_eq_u32_e32 0, v0
	s_cbranch_execz .LBB96_17
; %bb.14:
	v_cmp_ne_u32_e32 vcc_lo, 0, v206
	s_xor_b32 s8, s16, -1
	s_and_b32 s9, s8, vcc_lo
	s_and_saveexec_b32 s8, s9
	s_cbranch_execz .LBB96_16
; %bb.15:
	v_ashrrev_i32_e32 v207, 31, v206
	v_lshlrev_b64 v[214:215], 2, v[206:207]
	v_add_co_u32 v214, vcc_lo, v204, v214
	v_add_co_ci_u32_e64 v215, null, v205, v215, vcc_lo
	s_clause 0x1
	global_load_dword v0, v[214:215], off
	global_load_dword v207, v[204:205], off
	s_waitcnt vmcnt(1)
	global_store_dword v[204:205], v0, off
	s_waitcnt vmcnt(0)
	global_store_dword v[214:215], v207, off
.LBB96_16:
	s_or_b32 exec_lo, exec_lo, s8
	v_mov_b32_e32 v0, v206
.LBB96_17:
	s_or_b32 exec_lo, exec_lo, s7
.LBB96_18:
	s_or_saveexec_b32 s0, s0
	v_mov_b32_e32 v212, v0
	s_xor_b32 exec_lo, exec_lo, s0
	s_cbranch_execz .LBB96_20
; %bb.19:
	v_mov_b32_e32 v212, 0
	ds_write2_b64 v1, v[190:191], v[192:193] offset0:2 offset1:3
	ds_write2_b64 v1, v[166:167], v[168:169] offset0:4 offset1:5
	;; [unrolled: 1-line block ×48, first 2 shown]
.LBB96_20:
	s_or_b32 exec_lo, exec_lo, s0
	s_mov_b32 s0, exec_lo
	s_waitcnt lgkmcnt(0)
	s_waitcnt_vscnt null, 0x0
	s_barrier
	buffer_gl0_inv
	v_cmpx_lt_i32_e32 0, v212
	s_cbranch_execz .LBB96_22
; %bb.21:
	v_mul_f64 v[206:207], v[200:201], v[196:197]
	v_mul_f64 v[196:197], v[198:199], v[196:197]
	v_fma_f64 v[206:207], v[198:199], v[194:195], -v[206:207]
	v_fma_f64 v[196:197], v[200:201], v[194:195], v[196:197]
	ds_read2_b64 v[198:201], v1 offset0:2 offset1:3
	s_waitcnt lgkmcnt(0)
	v_mul_f64 v[194:195], v[200:201], v[196:197]
	v_fma_f64 v[194:195], v[198:199], v[206:207], -v[194:195]
	v_mul_f64 v[198:199], v[198:199], v[196:197]
	v_add_f64 v[190:191], v[190:191], -v[194:195]
	v_fma_f64 v[198:199], v[200:201], v[206:207], v[198:199]
	v_add_f64 v[192:193], v[192:193], -v[198:199]
	ds_read2_b64 v[198:201], v1 offset0:4 offset1:5
	s_waitcnt lgkmcnt(0)
	v_mul_f64 v[194:195], v[200:201], v[196:197]
	v_fma_f64 v[194:195], v[198:199], v[206:207], -v[194:195]
	v_mul_f64 v[198:199], v[198:199], v[196:197]
	v_add_f64 v[166:167], v[166:167], -v[194:195]
	v_fma_f64 v[198:199], v[200:201], v[206:207], v[198:199]
	v_add_f64 v[168:169], v[168:169], -v[198:199]
	;; [unrolled: 8-line block ×47, first 2 shown]
	ds_read2_b64 v[198:201], v1 offset0:96 offset1:97
	s_waitcnt lgkmcnt(0)
	v_mul_f64 v[194:195], v[200:201], v[196:197]
	v_fma_f64 v[194:195], v[198:199], v[206:207], -v[194:195]
	v_mul_f64 v[198:199], v[198:199], v[196:197]
	v_add_f64 v[2:3], v[2:3], -v[194:195]
	v_fma_f64 v[198:199], v[200:201], v[206:207], v[198:199]
	v_mov_b32_e32 v194, v206
	v_mov_b32_e32 v195, v207
	v_add_f64 v[4:5], v[4:5], -v[198:199]
.LBB96_22:
	s_or_b32 exec_lo, exec_lo, s0
	v_lshl_add_u32 v198, v212, 4, v1
	s_barrier
	buffer_gl0_inv
	v_mov_b32_e32 v206, 1
	ds_write2_b64 v198, v[190:191], v[192:193] offset1:1
	s_waitcnt lgkmcnt(0)
	s_barrier
	buffer_gl0_inv
	ds_read2_b64 v[198:201], v1 offset0:2 offset1:3
	s_cmp_lt_i32 s1, 3
	s_cbranch_scc1 .LBB96_25
; %bb.23:
	v_add3_u32 v207, v208, 0, 32
	v_mov_b32_e32 v206, 1
	s_mov_b32 s7, 2
	s_inst_prefetch 0x1
	.p2align	6
.LBB96_24:                              ; =>This Inner Loop Header: Depth=1
	s_waitcnt lgkmcnt(0)
	v_cmp_gt_f64_e32 vcc_lo, 0, v[200:201]
	v_cmp_gt_f64_e64 s0, 0, v[198:199]
	ds_read2_b64 v[214:217], v207 offset1:1
	v_xor_b32_e32 v219, 0x80000000, v199
	v_xor_b32_e32 v221, 0x80000000, v201
	v_mov_b32_e32 v218, v198
	v_mov_b32_e32 v220, v200
	v_add_nc_u32_e32 v207, 16, v207
	s_waitcnt lgkmcnt(0)
	v_xor_b32_e32 v223, 0x80000000, v217
	v_cndmask_b32_e64 v219, v199, v219, s0
	v_cndmask_b32_e32 v221, v201, v221, vcc_lo
	v_cmp_gt_f64_e32 vcc_lo, 0, v[216:217]
	v_cmp_gt_f64_e64 s0, 0, v[214:215]
	v_mov_b32_e32 v222, v216
	v_add_f64 v[218:219], v[218:219], v[220:221]
	v_xor_b32_e32 v221, 0x80000000, v215
	v_mov_b32_e32 v220, v214
	v_cndmask_b32_e32 v223, v217, v223, vcc_lo
	v_cndmask_b32_e64 v221, v215, v221, s0
	v_add_f64 v[220:221], v[220:221], v[222:223]
	v_cmp_lt_f64_e32 vcc_lo, v[218:219], v[220:221]
	v_cndmask_b32_e32 v199, v199, v215, vcc_lo
	v_cndmask_b32_e32 v198, v198, v214, vcc_lo
	;; [unrolled: 1-line block ×4, first 2 shown]
	v_cndmask_b32_e64 v206, v206, s7, vcc_lo
	s_add_i32 s7, s7, 1
	s_cmp_lg_u32 s1, s7
	s_cbranch_scc1 .LBB96_24
.LBB96_25:
	s_inst_prefetch 0x2
	s_waitcnt lgkmcnt(0)
	v_cmp_neq_f64_e32 vcc_lo, 0, v[198:199]
	v_cmp_neq_f64_e64 s0, 0, v[200:201]
	s_or_b32 s7, vcc_lo, s0
	s_and_saveexec_b32 s0, s7
	s_cbranch_execz .LBB96_31
; %bb.26:
	v_cmp_ngt_f64_e64 s7, |v[198:199]|, |v[200:201]|
	s_and_saveexec_b32 s8, s7
	s_xor_b32 s7, exec_lo, s8
	s_cbranch_execz .LBB96_28
; %bb.27:
	v_div_scale_f64 v[214:215], null, v[200:201], v[200:201], v[198:199]
	v_div_scale_f64 v[220:221], vcc_lo, v[198:199], v[200:201], v[198:199]
	v_rcp_f64_e32 v[216:217], v[214:215]
	v_fma_f64 v[218:219], -v[214:215], v[216:217], 1.0
	v_fma_f64 v[216:217], v[216:217], v[218:219], v[216:217]
	v_fma_f64 v[218:219], -v[214:215], v[216:217], 1.0
	v_fma_f64 v[216:217], v[216:217], v[218:219], v[216:217]
	v_mul_f64 v[218:219], v[220:221], v[216:217]
	v_fma_f64 v[214:215], -v[214:215], v[218:219], v[220:221]
	v_div_fmas_f64 v[214:215], v[214:215], v[216:217], v[218:219]
	v_div_fixup_f64 v[214:215], v[214:215], v[200:201], v[198:199]
	v_fma_f64 v[198:199], v[198:199], v[214:215], v[200:201]
	v_div_scale_f64 v[200:201], null, v[198:199], v[198:199], 1.0
	v_rcp_f64_e32 v[216:217], v[200:201]
	v_fma_f64 v[218:219], -v[200:201], v[216:217], 1.0
	v_fma_f64 v[216:217], v[216:217], v[218:219], v[216:217]
	v_fma_f64 v[218:219], -v[200:201], v[216:217], 1.0
	v_fma_f64 v[216:217], v[216:217], v[218:219], v[216:217]
	v_div_scale_f64 v[218:219], vcc_lo, 1.0, v[198:199], 1.0
	v_mul_f64 v[220:221], v[218:219], v[216:217]
	v_fma_f64 v[200:201], -v[200:201], v[220:221], v[218:219]
	v_div_fmas_f64 v[200:201], v[200:201], v[216:217], v[220:221]
	v_div_fixup_f64 v[200:201], v[200:201], v[198:199], 1.0
	v_mul_f64 v[198:199], v[214:215], v[200:201]
	v_xor_b32_e32 v201, 0x80000000, v201
.LBB96_28:
	s_andn2_saveexec_b32 s7, s7
	s_cbranch_execz .LBB96_30
; %bb.29:
	v_div_scale_f64 v[214:215], null, v[198:199], v[198:199], v[200:201]
	v_div_scale_f64 v[220:221], vcc_lo, v[200:201], v[198:199], v[200:201]
	v_rcp_f64_e32 v[216:217], v[214:215]
	v_fma_f64 v[218:219], -v[214:215], v[216:217], 1.0
	v_fma_f64 v[216:217], v[216:217], v[218:219], v[216:217]
	v_fma_f64 v[218:219], -v[214:215], v[216:217], 1.0
	v_fma_f64 v[216:217], v[216:217], v[218:219], v[216:217]
	v_mul_f64 v[218:219], v[220:221], v[216:217]
	v_fma_f64 v[214:215], -v[214:215], v[218:219], v[220:221]
	v_div_fmas_f64 v[214:215], v[214:215], v[216:217], v[218:219]
	v_div_fixup_f64 v[214:215], v[214:215], v[198:199], v[200:201]
	v_fma_f64 v[198:199], v[200:201], v[214:215], v[198:199]
	v_div_scale_f64 v[200:201], null, v[198:199], v[198:199], 1.0
	v_rcp_f64_e32 v[216:217], v[200:201]
	v_fma_f64 v[218:219], -v[200:201], v[216:217], 1.0
	v_fma_f64 v[216:217], v[216:217], v[218:219], v[216:217]
	v_fma_f64 v[218:219], -v[200:201], v[216:217], 1.0
	v_fma_f64 v[216:217], v[216:217], v[218:219], v[216:217]
	v_div_scale_f64 v[218:219], vcc_lo, 1.0, v[198:199], 1.0
	v_mul_f64 v[220:221], v[218:219], v[216:217]
	v_fma_f64 v[200:201], -v[200:201], v[220:221], v[218:219]
	v_div_fmas_f64 v[200:201], v[200:201], v[216:217], v[220:221]
	v_div_fixup_f64 v[198:199], v[200:201], v[198:199], 1.0
	v_mul_f64 v[200:201], v[214:215], -v[198:199]
.LBB96_30:
	s_or_b32 exec_lo, exec_lo, s7
	v_mov_b32_e32 v211, v213
.LBB96_31:
	s_or_b32 exec_lo, exec_lo, s0
	s_mov_b32 s0, exec_lo
	v_cmpx_ne_u32_e64 v212, v206
	s_xor_b32 s0, exec_lo, s0
	s_cbranch_execz .LBB96_37
; %bb.32:
	s_mov_b32 s7, exec_lo
	v_cmpx_eq_u32_e32 1, v212
	s_cbranch_execz .LBB96_36
; %bb.33:
	v_cmp_ne_u32_e32 vcc_lo, 1, v206
	s_xor_b32 s8, s16, -1
	s_and_b32 s9, s8, vcc_lo
	s_and_saveexec_b32 s8, s9
	s_cbranch_execz .LBB96_35
; %bb.34:
	v_ashrrev_i32_e32 v207, 31, v206
	v_lshlrev_b64 v[212:213], 2, v[206:207]
	v_add_co_u32 v212, vcc_lo, v204, v212
	v_add_co_ci_u32_e64 v213, null, v205, v213, vcc_lo
	s_clause 0x1
	global_load_dword v0, v[212:213], off
	global_load_dword v207, v[204:205], off offset:4
	s_waitcnt vmcnt(1)
	global_store_dword v[204:205], v0, off offset:4
	s_waitcnt vmcnt(0)
	global_store_dword v[212:213], v207, off
.LBB96_35:
	s_or_b32 exec_lo, exec_lo, s8
	v_mov_b32_e32 v212, v206
	v_mov_b32_e32 v0, v206
.LBB96_36:
	s_or_b32 exec_lo, exec_lo, s7
.LBB96_37:
	s_andn2_saveexec_b32 s0, s0
	s_cbranch_execz .LBB96_39
; %bb.38:
	v_mov_b32_e32 v212, 1
	ds_write2_b64 v1, v[166:167], v[168:169] offset0:4 offset1:5
	ds_write2_b64 v1, v[162:163], v[164:165] offset0:6 offset1:7
	;; [unrolled: 1-line block ×47, first 2 shown]
.LBB96_39:
	s_or_b32 exec_lo, exec_lo, s0
	s_mov_b32 s0, exec_lo
	s_waitcnt lgkmcnt(0)
	s_waitcnt_vscnt null, 0x0
	s_barrier
	buffer_gl0_inv
	v_cmpx_lt_i32_e32 1, v212
	s_cbranch_execz .LBB96_41
; %bb.40:
	v_mul_f64 v[206:207], v[200:201], v[192:193]
	v_mul_f64 v[192:193], v[198:199], v[192:193]
	v_fma_f64 v[206:207], v[198:199], v[190:191], -v[206:207]
	v_fma_f64 v[192:193], v[200:201], v[190:191], v[192:193]
	ds_read2_b64 v[198:201], v1 offset0:4 offset1:5
	s_waitcnt lgkmcnt(0)
	v_mul_f64 v[190:191], v[200:201], v[192:193]
	v_fma_f64 v[190:191], v[198:199], v[206:207], -v[190:191]
	v_mul_f64 v[198:199], v[198:199], v[192:193]
	v_add_f64 v[166:167], v[166:167], -v[190:191]
	v_fma_f64 v[198:199], v[200:201], v[206:207], v[198:199]
	v_add_f64 v[168:169], v[168:169], -v[198:199]
	ds_read2_b64 v[198:201], v1 offset0:6 offset1:7
	s_waitcnt lgkmcnt(0)
	v_mul_f64 v[190:191], v[200:201], v[192:193]
	v_fma_f64 v[190:191], v[198:199], v[206:207], -v[190:191]
	v_mul_f64 v[198:199], v[198:199], v[192:193]
	v_add_f64 v[162:163], v[162:163], -v[190:191]
	v_fma_f64 v[198:199], v[200:201], v[206:207], v[198:199]
	v_add_f64 v[164:165], v[164:165], -v[198:199]
	;; [unrolled: 8-line block ×46, first 2 shown]
	ds_read2_b64 v[198:201], v1 offset0:96 offset1:97
	s_waitcnt lgkmcnt(0)
	v_mul_f64 v[190:191], v[200:201], v[192:193]
	v_fma_f64 v[190:191], v[198:199], v[206:207], -v[190:191]
	v_mul_f64 v[198:199], v[198:199], v[192:193]
	v_add_f64 v[2:3], v[2:3], -v[190:191]
	v_fma_f64 v[198:199], v[200:201], v[206:207], v[198:199]
	v_mov_b32_e32 v190, v206
	v_mov_b32_e32 v191, v207
	v_add_f64 v[4:5], v[4:5], -v[198:199]
.LBB96_41:
	s_or_b32 exec_lo, exec_lo, s0
	v_lshl_add_u32 v198, v212, 4, v1
	s_barrier
	buffer_gl0_inv
	v_mov_b32_e32 v206, 2
	ds_write2_b64 v198, v[166:167], v[168:169] offset1:1
	s_waitcnt lgkmcnt(0)
	s_barrier
	buffer_gl0_inv
	ds_read2_b64 v[198:201], v1 offset0:4 offset1:5
	s_cmp_lt_i32 s1, 4
	s_cbranch_scc1 .LBB96_44
; %bb.42:
	v_add3_u32 v207, v208, 0, 48
	v_mov_b32_e32 v206, 2
	s_mov_b32 s7, 3
	s_inst_prefetch 0x1
	.p2align	6
.LBB96_43:                              ; =>This Inner Loop Header: Depth=1
	s_waitcnt lgkmcnt(0)
	v_cmp_gt_f64_e32 vcc_lo, 0, v[200:201]
	v_cmp_gt_f64_e64 s0, 0, v[198:199]
	ds_read2_b64 v[213:216], v207 offset1:1
	v_xor_b32_e32 v218, 0x80000000, v199
	v_xor_b32_e32 v220, 0x80000000, v201
	v_mov_b32_e32 v217, v198
	v_mov_b32_e32 v219, v200
	v_add_nc_u32_e32 v207, 16, v207
	s_waitcnt lgkmcnt(0)
	v_xor_b32_e32 v222, 0x80000000, v216
	v_cndmask_b32_e64 v218, v199, v218, s0
	v_cndmask_b32_e32 v220, v201, v220, vcc_lo
	v_cmp_gt_f64_e32 vcc_lo, 0, v[215:216]
	v_cmp_gt_f64_e64 s0, 0, v[213:214]
	v_mov_b32_e32 v221, v215
	v_add_f64 v[217:218], v[217:218], v[219:220]
	v_xor_b32_e32 v220, 0x80000000, v214
	v_mov_b32_e32 v219, v213
	v_cndmask_b32_e32 v222, v216, v222, vcc_lo
	v_cndmask_b32_e64 v220, v214, v220, s0
	v_add_f64 v[219:220], v[219:220], v[221:222]
	v_cmp_lt_f64_e32 vcc_lo, v[217:218], v[219:220]
	v_cndmask_b32_e32 v199, v199, v214, vcc_lo
	v_cndmask_b32_e32 v198, v198, v213, vcc_lo
	;; [unrolled: 1-line block ×4, first 2 shown]
	v_cndmask_b32_e64 v206, v206, s7, vcc_lo
	s_add_i32 s7, s7, 1
	s_cmp_lg_u32 s1, s7
	s_cbranch_scc1 .LBB96_43
.LBB96_44:
	s_inst_prefetch 0x2
	s_waitcnt lgkmcnt(0)
	v_cmp_eq_f64_e32 vcc_lo, 0, v[198:199]
	v_cmp_eq_f64_e64 s0, 0, v[200:201]
	s_and_b32 s0, vcc_lo, s0
	s_and_saveexec_b32 s7, s0
	s_xor_b32 s0, exec_lo, s7
; %bb.45:
	v_cmp_ne_u32_e32 vcc_lo, 0, v211
	v_cndmask_b32_e32 v211, 3, v211, vcc_lo
; %bb.46:
	s_andn2_saveexec_b32 s0, s0
	s_cbranch_execz .LBB96_52
; %bb.47:
	v_cmp_ngt_f64_e64 s7, |v[198:199]|, |v[200:201]|
	s_and_saveexec_b32 s8, s7
	s_xor_b32 s7, exec_lo, s8
	s_cbranch_execz .LBB96_49
; %bb.48:
	v_div_scale_f64 v[213:214], null, v[200:201], v[200:201], v[198:199]
	v_div_scale_f64 v[219:220], vcc_lo, v[198:199], v[200:201], v[198:199]
	v_rcp_f64_e32 v[215:216], v[213:214]
	v_fma_f64 v[217:218], -v[213:214], v[215:216], 1.0
	v_fma_f64 v[215:216], v[215:216], v[217:218], v[215:216]
	v_fma_f64 v[217:218], -v[213:214], v[215:216], 1.0
	v_fma_f64 v[215:216], v[215:216], v[217:218], v[215:216]
	v_mul_f64 v[217:218], v[219:220], v[215:216]
	v_fma_f64 v[213:214], -v[213:214], v[217:218], v[219:220]
	v_div_fmas_f64 v[213:214], v[213:214], v[215:216], v[217:218]
	v_div_fixup_f64 v[213:214], v[213:214], v[200:201], v[198:199]
	v_fma_f64 v[198:199], v[198:199], v[213:214], v[200:201]
	v_div_scale_f64 v[200:201], null, v[198:199], v[198:199], 1.0
	v_rcp_f64_e32 v[215:216], v[200:201]
	v_fma_f64 v[217:218], -v[200:201], v[215:216], 1.0
	v_fma_f64 v[215:216], v[215:216], v[217:218], v[215:216]
	v_fma_f64 v[217:218], -v[200:201], v[215:216], 1.0
	v_fma_f64 v[215:216], v[215:216], v[217:218], v[215:216]
	v_div_scale_f64 v[217:218], vcc_lo, 1.0, v[198:199], 1.0
	v_mul_f64 v[219:220], v[217:218], v[215:216]
	v_fma_f64 v[200:201], -v[200:201], v[219:220], v[217:218]
	v_div_fmas_f64 v[200:201], v[200:201], v[215:216], v[219:220]
	v_div_fixup_f64 v[200:201], v[200:201], v[198:199], 1.0
	v_mul_f64 v[198:199], v[213:214], v[200:201]
	v_xor_b32_e32 v201, 0x80000000, v201
.LBB96_49:
	s_andn2_saveexec_b32 s7, s7
	s_cbranch_execz .LBB96_51
; %bb.50:
	v_div_scale_f64 v[213:214], null, v[198:199], v[198:199], v[200:201]
	v_div_scale_f64 v[219:220], vcc_lo, v[200:201], v[198:199], v[200:201]
	v_rcp_f64_e32 v[215:216], v[213:214]
	v_fma_f64 v[217:218], -v[213:214], v[215:216], 1.0
	v_fma_f64 v[215:216], v[215:216], v[217:218], v[215:216]
	v_fma_f64 v[217:218], -v[213:214], v[215:216], 1.0
	v_fma_f64 v[215:216], v[215:216], v[217:218], v[215:216]
	v_mul_f64 v[217:218], v[219:220], v[215:216]
	v_fma_f64 v[213:214], -v[213:214], v[217:218], v[219:220]
	v_div_fmas_f64 v[213:214], v[213:214], v[215:216], v[217:218]
	v_div_fixup_f64 v[213:214], v[213:214], v[198:199], v[200:201]
	v_fma_f64 v[198:199], v[200:201], v[213:214], v[198:199]
	v_div_scale_f64 v[200:201], null, v[198:199], v[198:199], 1.0
	v_rcp_f64_e32 v[215:216], v[200:201]
	v_fma_f64 v[217:218], -v[200:201], v[215:216], 1.0
	v_fma_f64 v[215:216], v[215:216], v[217:218], v[215:216]
	v_fma_f64 v[217:218], -v[200:201], v[215:216], 1.0
	v_fma_f64 v[215:216], v[215:216], v[217:218], v[215:216]
	v_div_scale_f64 v[217:218], vcc_lo, 1.0, v[198:199], 1.0
	v_mul_f64 v[219:220], v[217:218], v[215:216]
	v_fma_f64 v[200:201], -v[200:201], v[219:220], v[217:218]
	v_div_fmas_f64 v[200:201], v[200:201], v[215:216], v[219:220]
	v_div_fixup_f64 v[198:199], v[200:201], v[198:199], 1.0
	v_mul_f64 v[200:201], v[213:214], -v[198:199]
.LBB96_51:
	s_or_b32 exec_lo, exec_lo, s7
.LBB96_52:
	s_or_b32 exec_lo, exec_lo, s0
	s_mov_b32 s0, exec_lo
	v_cmpx_ne_u32_e64 v212, v206
	s_xor_b32 s0, exec_lo, s0
	s_cbranch_execz .LBB96_58
; %bb.53:
	s_mov_b32 s7, exec_lo
	v_cmpx_eq_u32_e32 2, v212
	s_cbranch_execz .LBB96_57
; %bb.54:
	v_cmp_ne_u32_e32 vcc_lo, 2, v206
	s_xor_b32 s8, s16, -1
	s_and_b32 s9, s8, vcc_lo
	s_and_saveexec_b32 s8, s9
	s_cbranch_execz .LBB96_56
; %bb.55:
	v_ashrrev_i32_e32 v207, 31, v206
	v_lshlrev_b64 v[212:213], 2, v[206:207]
	v_add_co_u32 v212, vcc_lo, v204, v212
	v_add_co_ci_u32_e64 v213, null, v205, v213, vcc_lo
	s_clause 0x1
	global_load_dword v0, v[212:213], off
	global_load_dword v207, v[204:205], off offset:8
	s_waitcnt vmcnt(1)
	global_store_dword v[204:205], v0, off offset:8
	s_waitcnt vmcnt(0)
	global_store_dword v[212:213], v207, off
.LBB96_56:
	s_or_b32 exec_lo, exec_lo, s8
	v_mov_b32_e32 v212, v206
	v_mov_b32_e32 v0, v206
.LBB96_57:
	s_or_b32 exec_lo, exec_lo, s7
.LBB96_58:
	s_andn2_saveexec_b32 s0, s0
	s_cbranch_execz .LBB96_60
; %bb.59:
	v_mov_b32_e32 v212, 2
	ds_write2_b64 v1, v[162:163], v[164:165] offset0:6 offset1:7
	ds_write2_b64 v1, v[154:155], v[156:157] offset0:8 offset1:9
	;; [unrolled: 1-line block ×46, first 2 shown]
.LBB96_60:
	s_or_b32 exec_lo, exec_lo, s0
	s_mov_b32 s0, exec_lo
	s_waitcnt lgkmcnt(0)
	s_waitcnt_vscnt null, 0x0
	s_barrier
	buffer_gl0_inv
	v_cmpx_lt_i32_e32 2, v212
	s_cbranch_execz .LBB96_62
; %bb.61:
	v_mul_f64 v[206:207], v[200:201], v[168:169]
	v_mul_f64 v[168:169], v[198:199], v[168:169]
	v_fma_f64 v[206:207], v[198:199], v[166:167], -v[206:207]
	v_fma_f64 v[168:169], v[200:201], v[166:167], v[168:169]
	ds_read2_b64 v[198:201], v1 offset0:6 offset1:7
	s_waitcnt lgkmcnt(0)
	v_mul_f64 v[166:167], v[200:201], v[168:169]
	v_fma_f64 v[166:167], v[198:199], v[206:207], -v[166:167]
	v_mul_f64 v[198:199], v[198:199], v[168:169]
	v_add_f64 v[162:163], v[162:163], -v[166:167]
	v_fma_f64 v[198:199], v[200:201], v[206:207], v[198:199]
	v_add_f64 v[164:165], v[164:165], -v[198:199]
	ds_read2_b64 v[198:201], v1 offset0:8 offset1:9
	s_waitcnt lgkmcnt(0)
	v_mul_f64 v[166:167], v[200:201], v[168:169]
	v_fma_f64 v[166:167], v[198:199], v[206:207], -v[166:167]
	v_mul_f64 v[198:199], v[198:199], v[168:169]
	v_add_f64 v[154:155], v[154:155], -v[166:167]
	v_fma_f64 v[198:199], v[200:201], v[206:207], v[198:199]
	v_add_f64 v[156:157], v[156:157], -v[198:199]
	;; [unrolled: 8-line block ×45, first 2 shown]
	ds_read2_b64 v[198:201], v1 offset0:96 offset1:97
	s_waitcnt lgkmcnt(0)
	v_mul_f64 v[166:167], v[200:201], v[168:169]
	v_fma_f64 v[166:167], v[198:199], v[206:207], -v[166:167]
	v_mul_f64 v[198:199], v[198:199], v[168:169]
	v_add_f64 v[2:3], v[2:3], -v[166:167]
	v_fma_f64 v[198:199], v[200:201], v[206:207], v[198:199]
	v_mov_b32_e32 v166, v206
	v_mov_b32_e32 v167, v207
	v_add_f64 v[4:5], v[4:5], -v[198:199]
.LBB96_62:
	s_or_b32 exec_lo, exec_lo, s0
	v_lshl_add_u32 v198, v212, 4, v1
	s_barrier
	buffer_gl0_inv
	v_mov_b32_e32 v206, 3
	ds_write2_b64 v198, v[162:163], v[164:165] offset1:1
	s_waitcnt lgkmcnt(0)
	s_barrier
	buffer_gl0_inv
	ds_read2_b64 v[198:201], v1 offset0:6 offset1:7
	s_cmp_lt_i32 s1, 5
	s_mov_b32 s7, 4
	s_cbranch_scc1 .LBB96_65
; %bb.63:
	v_add3_u32 v207, v208, 0, 64
	v_mov_b32_e32 v206, 3
	s_inst_prefetch 0x1
	.p2align	6
.LBB96_64:                              ; =>This Inner Loop Header: Depth=1
	s_waitcnt lgkmcnt(0)
	v_cmp_gt_f64_e32 vcc_lo, 0, v[200:201]
	v_cmp_gt_f64_e64 s0, 0, v[198:199]
	ds_read2_b64 v[213:216], v207 offset1:1
	v_xor_b32_e32 v218, 0x80000000, v199
	v_xor_b32_e32 v220, 0x80000000, v201
	v_mov_b32_e32 v217, v198
	v_mov_b32_e32 v219, v200
	v_add_nc_u32_e32 v207, 16, v207
	s_waitcnt lgkmcnt(0)
	v_xor_b32_e32 v222, 0x80000000, v216
	v_cndmask_b32_e64 v218, v199, v218, s0
	v_cndmask_b32_e32 v220, v201, v220, vcc_lo
	v_cmp_gt_f64_e32 vcc_lo, 0, v[215:216]
	v_cmp_gt_f64_e64 s0, 0, v[213:214]
	v_mov_b32_e32 v221, v215
	v_add_f64 v[217:218], v[217:218], v[219:220]
	v_xor_b32_e32 v220, 0x80000000, v214
	v_mov_b32_e32 v219, v213
	v_cndmask_b32_e32 v222, v216, v222, vcc_lo
	v_cndmask_b32_e64 v220, v214, v220, s0
	v_add_f64 v[219:220], v[219:220], v[221:222]
	v_cmp_lt_f64_e32 vcc_lo, v[217:218], v[219:220]
	v_cndmask_b32_e32 v199, v199, v214, vcc_lo
	v_cndmask_b32_e32 v198, v198, v213, vcc_lo
	;; [unrolled: 1-line block ×4, first 2 shown]
	v_cndmask_b32_e64 v206, v206, s7, vcc_lo
	s_add_i32 s7, s7, 1
	s_cmp_lg_u32 s1, s7
	s_cbranch_scc1 .LBB96_64
.LBB96_65:
	s_inst_prefetch 0x2
	s_waitcnt lgkmcnt(0)
	v_cmp_eq_f64_e32 vcc_lo, 0, v[198:199]
	v_cmp_eq_f64_e64 s0, 0, v[200:201]
	s_and_b32 s0, vcc_lo, s0
	s_and_saveexec_b32 s7, s0
	s_xor_b32 s0, exec_lo, s7
; %bb.66:
	v_cmp_ne_u32_e32 vcc_lo, 0, v211
	v_cndmask_b32_e32 v211, 4, v211, vcc_lo
; %bb.67:
	s_andn2_saveexec_b32 s0, s0
	s_cbranch_execz .LBB96_73
; %bb.68:
	v_cmp_ngt_f64_e64 s7, |v[198:199]|, |v[200:201]|
	s_and_saveexec_b32 s8, s7
	s_xor_b32 s7, exec_lo, s8
	s_cbranch_execz .LBB96_70
; %bb.69:
	v_div_scale_f64 v[213:214], null, v[200:201], v[200:201], v[198:199]
	v_div_scale_f64 v[219:220], vcc_lo, v[198:199], v[200:201], v[198:199]
	v_rcp_f64_e32 v[215:216], v[213:214]
	v_fma_f64 v[217:218], -v[213:214], v[215:216], 1.0
	v_fma_f64 v[215:216], v[215:216], v[217:218], v[215:216]
	v_fma_f64 v[217:218], -v[213:214], v[215:216], 1.0
	v_fma_f64 v[215:216], v[215:216], v[217:218], v[215:216]
	v_mul_f64 v[217:218], v[219:220], v[215:216]
	v_fma_f64 v[213:214], -v[213:214], v[217:218], v[219:220]
	v_div_fmas_f64 v[213:214], v[213:214], v[215:216], v[217:218]
	v_div_fixup_f64 v[213:214], v[213:214], v[200:201], v[198:199]
	v_fma_f64 v[198:199], v[198:199], v[213:214], v[200:201]
	v_div_scale_f64 v[200:201], null, v[198:199], v[198:199], 1.0
	v_rcp_f64_e32 v[215:216], v[200:201]
	v_fma_f64 v[217:218], -v[200:201], v[215:216], 1.0
	v_fma_f64 v[215:216], v[215:216], v[217:218], v[215:216]
	v_fma_f64 v[217:218], -v[200:201], v[215:216], 1.0
	v_fma_f64 v[215:216], v[215:216], v[217:218], v[215:216]
	v_div_scale_f64 v[217:218], vcc_lo, 1.0, v[198:199], 1.0
	v_mul_f64 v[219:220], v[217:218], v[215:216]
	v_fma_f64 v[200:201], -v[200:201], v[219:220], v[217:218]
	v_div_fmas_f64 v[200:201], v[200:201], v[215:216], v[219:220]
	v_div_fixup_f64 v[200:201], v[200:201], v[198:199], 1.0
	v_mul_f64 v[198:199], v[213:214], v[200:201]
	v_xor_b32_e32 v201, 0x80000000, v201
.LBB96_70:
	s_andn2_saveexec_b32 s7, s7
	s_cbranch_execz .LBB96_72
; %bb.71:
	v_div_scale_f64 v[213:214], null, v[198:199], v[198:199], v[200:201]
	v_div_scale_f64 v[219:220], vcc_lo, v[200:201], v[198:199], v[200:201]
	v_rcp_f64_e32 v[215:216], v[213:214]
	v_fma_f64 v[217:218], -v[213:214], v[215:216], 1.0
	v_fma_f64 v[215:216], v[215:216], v[217:218], v[215:216]
	v_fma_f64 v[217:218], -v[213:214], v[215:216], 1.0
	v_fma_f64 v[215:216], v[215:216], v[217:218], v[215:216]
	v_mul_f64 v[217:218], v[219:220], v[215:216]
	v_fma_f64 v[213:214], -v[213:214], v[217:218], v[219:220]
	v_div_fmas_f64 v[213:214], v[213:214], v[215:216], v[217:218]
	v_div_fixup_f64 v[213:214], v[213:214], v[198:199], v[200:201]
	v_fma_f64 v[198:199], v[200:201], v[213:214], v[198:199]
	v_div_scale_f64 v[200:201], null, v[198:199], v[198:199], 1.0
	v_rcp_f64_e32 v[215:216], v[200:201]
	v_fma_f64 v[217:218], -v[200:201], v[215:216], 1.0
	v_fma_f64 v[215:216], v[215:216], v[217:218], v[215:216]
	v_fma_f64 v[217:218], -v[200:201], v[215:216], 1.0
	v_fma_f64 v[215:216], v[215:216], v[217:218], v[215:216]
	v_div_scale_f64 v[217:218], vcc_lo, 1.0, v[198:199], 1.0
	v_mul_f64 v[219:220], v[217:218], v[215:216]
	v_fma_f64 v[200:201], -v[200:201], v[219:220], v[217:218]
	v_div_fmas_f64 v[200:201], v[200:201], v[215:216], v[219:220]
	v_div_fixup_f64 v[198:199], v[200:201], v[198:199], 1.0
	v_mul_f64 v[200:201], v[213:214], -v[198:199]
.LBB96_72:
	s_or_b32 exec_lo, exec_lo, s7
.LBB96_73:
	s_or_b32 exec_lo, exec_lo, s0
	s_mov_b32 s0, exec_lo
	v_cmpx_ne_u32_e64 v212, v206
	s_xor_b32 s0, exec_lo, s0
	s_cbranch_execz .LBB96_79
; %bb.74:
	s_mov_b32 s7, exec_lo
	v_cmpx_eq_u32_e32 3, v212
	s_cbranch_execz .LBB96_78
; %bb.75:
	v_cmp_ne_u32_e32 vcc_lo, 3, v206
	s_xor_b32 s8, s16, -1
	s_and_b32 s9, s8, vcc_lo
	s_and_saveexec_b32 s8, s9
	s_cbranch_execz .LBB96_77
; %bb.76:
	v_ashrrev_i32_e32 v207, 31, v206
	v_lshlrev_b64 v[212:213], 2, v[206:207]
	v_add_co_u32 v212, vcc_lo, v204, v212
	v_add_co_ci_u32_e64 v213, null, v205, v213, vcc_lo
	s_clause 0x1
	global_load_dword v0, v[212:213], off
	global_load_dword v207, v[204:205], off offset:12
	s_waitcnt vmcnt(1)
	global_store_dword v[204:205], v0, off offset:12
	s_waitcnt vmcnt(0)
	global_store_dword v[212:213], v207, off
.LBB96_77:
	s_or_b32 exec_lo, exec_lo, s8
	v_mov_b32_e32 v212, v206
	v_mov_b32_e32 v0, v206
.LBB96_78:
	s_or_b32 exec_lo, exec_lo, s7
.LBB96_79:
	s_andn2_saveexec_b32 s0, s0
	s_cbranch_execz .LBB96_81
; %bb.80:
	v_mov_b32_e32 v212, 3
	ds_write2_b64 v1, v[154:155], v[156:157] offset0:8 offset1:9
	ds_write2_b64 v1, v[150:151], v[152:153] offset0:10 offset1:11
	;; [unrolled: 1-line block ×45, first 2 shown]
.LBB96_81:
	s_or_b32 exec_lo, exec_lo, s0
	s_mov_b32 s0, exec_lo
	s_waitcnt lgkmcnt(0)
	s_waitcnt_vscnt null, 0x0
	s_barrier
	buffer_gl0_inv
	v_cmpx_lt_i32_e32 3, v212
	s_cbranch_execz .LBB96_83
; %bb.82:
	v_mul_f64 v[206:207], v[200:201], v[164:165]
	v_mul_f64 v[164:165], v[198:199], v[164:165]
	v_fma_f64 v[206:207], v[198:199], v[162:163], -v[206:207]
	v_fma_f64 v[164:165], v[200:201], v[162:163], v[164:165]
	ds_read2_b64 v[198:201], v1 offset0:8 offset1:9
	s_waitcnt lgkmcnt(0)
	v_mul_f64 v[162:163], v[200:201], v[164:165]
	v_fma_f64 v[162:163], v[198:199], v[206:207], -v[162:163]
	v_mul_f64 v[198:199], v[198:199], v[164:165]
	v_add_f64 v[154:155], v[154:155], -v[162:163]
	v_fma_f64 v[198:199], v[200:201], v[206:207], v[198:199]
	v_add_f64 v[156:157], v[156:157], -v[198:199]
	ds_read2_b64 v[198:201], v1 offset0:10 offset1:11
	s_waitcnt lgkmcnt(0)
	v_mul_f64 v[162:163], v[200:201], v[164:165]
	v_fma_f64 v[162:163], v[198:199], v[206:207], -v[162:163]
	v_mul_f64 v[198:199], v[198:199], v[164:165]
	v_add_f64 v[150:151], v[150:151], -v[162:163]
	v_fma_f64 v[198:199], v[200:201], v[206:207], v[198:199]
	v_add_f64 v[152:153], v[152:153], -v[198:199]
	;; [unrolled: 8-line block ×44, first 2 shown]
	ds_read2_b64 v[198:201], v1 offset0:96 offset1:97
	s_waitcnt lgkmcnt(0)
	v_mul_f64 v[162:163], v[200:201], v[164:165]
	v_fma_f64 v[162:163], v[198:199], v[206:207], -v[162:163]
	v_mul_f64 v[198:199], v[198:199], v[164:165]
	v_add_f64 v[2:3], v[2:3], -v[162:163]
	v_fma_f64 v[198:199], v[200:201], v[206:207], v[198:199]
	v_mov_b32_e32 v162, v206
	v_mov_b32_e32 v163, v207
	v_add_f64 v[4:5], v[4:5], -v[198:199]
.LBB96_83:
	s_or_b32 exec_lo, exec_lo, s0
	v_lshl_add_u32 v198, v212, 4, v1
	s_barrier
	buffer_gl0_inv
	v_mov_b32_e32 v206, 4
	ds_write2_b64 v198, v[154:155], v[156:157] offset1:1
	s_waitcnt lgkmcnt(0)
	s_barrier
	buffer_gl0_inv
	ds_read2_b64 v[198:201], v1 offset0:8 offset1:9
	s_cmp_lt_i32 s1, 6
	s_cbranch_scc1 .LBB96_86
; %bb.84:
	v_mov_b32_e32 v206, 4
	v_add3_u32 v207, v208, 0, 0x50
	s_mov_b32 s7, 5
	s_inst_prefetch 0x1
	.p2align	6
.LBB96_85:                              ; =>This Inner Loop Header: Depth=1
	s_waitcnt lgkmcnt(0)
	v_cmp_gt_f64_e32 vcc_lo, 0, v[200:201]
	v_cmp_gt_f64_e64 s0, 0, v[198:199]
	ds_read2_b64 v[213:216], v207 offset1:1
	v_xor_b32_e32 v218, 0x80000000, v199
	v_xor_b32_e32 v220, 0x80000000, v201
	v_mov_b32_e32 v217, v198
	v_mov_b32_e32 v219, v200
	v_add_nc_u32_e32 v207, 16, v207
	s_waitcnt lgkmcnt(0)
	v_xor_b32_e32 v222, 0x80000000, v216
	v_cndmask_b32_e64 v218, v199, v218, s0
	v_cndmask_b32_e32 v220, v201, v220, vcc_lo
	v_cmp_gt_f64_e32 vcc_lo, 0, v[215:216]
	v_cmp_gt_f64_e64 s0, 0, v[213:214]
	v_mov_b32_e32 v221, v215
	v_add_f64 v[217:218], v[217:218], v[219:220]
	v_xor_b32_e32 v220, 0x80000000, v214
	v_mov_b32_e32 v219, v213
	v_cndmask_b32_e32 v222, v216, v222, vcc_lo
	v_cndmask_b32_e64 v220, v214, v220, s0
	v_add_f64 v[219:220], v[219:220], v[221:222]
	v_cmp_lt_f64_e32 vcc_lo, v[217:218], v[219:220]
	v_cndmask_b32_e32 v199, v199, v214, vcc_lo
	v_cndmask_b32_e32 v198, v198, v213, vcc_lo
	;; [unrolled: 1-line block ×4, first 2 shown]
	v_cndmask_b32_e64 v206, v206, s7, vcc_lo
	s_add_i32 s7, s7, 1
	s_cmp_lg_u32 s1, s7
	s_cbranch_scc1 .LBB96_85
.LBB96_86:
	s_inst_prefetch 0x2
	s_waitcnt lgkmcnt(0)
	v_cmp_eq_f64_e32 vcc_lo, 0, v[198:199]
	v_cmp_eq_f64_e64 s0, 0, v[200:201]
	s_and_b32 s0, vcc_lo, s0
	s_and_saveexec_b32 s7, s0
	s_xor_b32 s0, exec_lo, s7
; %bb.87:
	v_cmp_ne_u32_e32 vcc_lo, 0, v211
	v_cndmask_b32_e32 v211, 5, v211, vcc_lo
; %bb.88:
	s_andn2_saveexec_b32 s0, s0
	s_cbranch_execz .LBB96_94
; %bb.89:
	v_cmp_ngt_f64_e64 s7, |v[198:199]|, |v[200:201]|
	s_and_saveexec_b32 s8, s7
	s_xor_b32 s7, exec_lo, s8
	s_cbranch_execz .LBB96_91
; %bb.90:
	v_div_scale_f64 v[213:214], null, v[200:201], v[200:201], v[198:199]
	v_div_scale_f64 v[219:220], vcc_lo, v[198:199], v[200:201], v[198:199]
	v_rcp_f64_e32 v[215:216], v[213:214]
	v_fma_f64 v[217:218], -v[213:214], v[215:216], 1.0
	v_fma_f64 v[215:216], v[215:216], v[217:218], v[215:216]
	v_fma_f64 v[217:218], -v[213:214], v[215:216], 1.0
	v_fma_f64 v[215:216], v[215:216], v[217:218], v[215:216]
	v_mul_f64 v[217:218], v[219:220], v[215:216]
	v_fma_f64 v[213:214], -v[213:214], v[217:218], v[219:220]
	v_div_fmas_f64 v[213:214], v[213:214], v[215:216], v[217:218]
	v_div_fixup_f64 v[213:214], v[213:214], v[200:201], v[198:199]
	v_fma_f64 v[198:199], v[198:199], v[213:214], v[200:201]
	v_div_scale_f64 v[200:201], null, v[198:199], v[198:199], 1.0
	v_rcp_f64_e32 v[215:216], v[200:201]
	v_fma_f64 v[217:218], -v[200:201], v[215:216], 1.0
	v_fma_f64 v[215:216], v[215:216], v[217:218], v[215:216]
	v_fma_f64 v[217:218], -v[200:201], v[215:216], 1.0
	v_fma_f64 v[215:216], v[215:216], v[217:218], v[215:216]
	v_div_scale_f64 v[217:218], vcc_lo, 1.0, v[198:199], 1.0
	v_mul_f64 v[219:220], v[217:218], v[215:216]
	v_fma_f64 v[200:201], -v[200:201], v[219:220], v[217:218]
	v_div_fmas_f64 v[200:201], v[200:201], v[215:216], v[219:220]
	v_div_fixup_f64 v[200:201], v[200:201], v[198:199], 1.0
	v_mul_f64 v[198:199], v[213:214], v[200:201]
	v_xor_b32_e32 v201, 0x80000000, v201
.LBB96_91:
	s_andn2_saveexec_b32 s7, s7
	s_cbranch_execz .LBB96_93
; %bb.92:
	v_div_scale_f64 v[213:214], null, v[198:199], v[198:199], v[200:201]
	v_div_scale_f64 v[219:220], vcc_lo, v[200:201], v[198:199], v[200:201]
	v_rcp_f64_e32 v[215:216], v[213:214]
	v_fma_f64 v[217:218], -v[213:214], v[215:216], 1.0
	v_fma_f64 v[215:216], v[215:216], v[217:218], v[215:216]
	v_fma_f64 v[217:218], -v[213:214], v[215:216], 1.0
	v_fma_f64 v[215:216], v[215:216], v[217:218], v[215:216]
	v_mul_f64 v[217:218], v[219:220], v[215:216]
	v_fma_f64 v[213:214], -v[213:214], v[217:218], v[219:220]
	v_div_fmas_f64 v[213:214], v[213:214], v[215:216], v[217:218]
	v_div_fixup_f64 v[213:214], v[213:214], v[198:199], v[200:201]
	v_fma_f64 v[198:199], v[200:201], v[213:214], v[198:199]
	v_div_scale_f64 v[200:201], null, v[198:199], v[198:199], 1.0
	v_rcp_f64_e32 v[215:216], v[200:201]
	v_fma_f64 v[217:218], -v[200:201], v[215:216], 1.0
	v_fma_f64 v[215:216], v[215:216], v[217:218], v[215:216]
	v_fma_f64 v[217:218], -v[200:201], v[215:216], 1.0
	v_fma_f64 v[215:216], v[215:216], v[217:218], v[215:216]
	v_div_scale_f64 v[217:218], vcc_lo, 1.0, v[198:199], 1.0
	v_mul_f64 v[219:220], v[217:218], v[215:216]
	v_fma_f64 v[200:201], -v[200:201], v[219:220], v[217:218]
	v_div_fmas_f64 v[200:201], v[200:201], v[215:216], v[219:220]
	v_div_fixup_f64 v[198:199], v[200:201], v[198:199], 1.0
	v_mul_f64 v[200:201], v[213:214], -v[198:199]
.LBB96_93:
	s_or_b32 exec_lo, exec_lo, s7
.LBB96_94:
	s_or_b32 exec_lo, exec_lo, s0
	s_mov_b32 s0, exec_lo
	v_cmpx_ne_u32_e64 v212, v206
	s_xor_b32 s0, exec_lo, s0
	s_cbranch_execz .LBB96_100
; %bb.95:
	s_mov_b32 s7, exec_lo
	v_cmpx_eq_u32_e32 4, v212
	s_cbranch_execz .LBB96_99
; %bb.96:
	v_cmp_ne_u32_e32 vcc_lo, 4, v206
	s_xor_b32 s8, s16, -1
	s_and_b32 s9, s8, vcc_lo
	s_and_saveexec_b32 s8, s9
	s_cbranch_execz .LBB96_98
; %bb.97:
	v_ashrrev_i32_e32 v207, 31, v206
	v_lshlrev_b64 v[212:213], 2, v[206:207]
	v_add_co_u32 v212, vcc_lo, v204, v212
	v_add_co_ci_u32_e64 v213, null, v205, v213, vcc_lo
	s_clause 0x1
	global_load_dword v0, v[212:213], off
	global_load_dword v207, v[204:205], off offset:16
	s_waitcnt vmcnt(1)
	global_store_dword v[204:205], v0, off offset:16
	s_waitcnt vmcnt(0)
	global_store_dword v[212:213], v207, off
.LBB96_98:
	s_or_b32 exec_lo, exec_lo, s8
	v_mov_b32_e32 v212, v206
	v_mov_b32_e32 v0, v206
.LBB96_99:
	s_or_b32 exec_lo, exec_lo, s7
.LBB96_100:
	s_andn2_saveexec_b32 s0, s0
	s_cbranch_execz .LBB96_102
; %bb.101:
	v_mov_b32_e32 v212, 4
	ds_write2_b64 v1, v[150:151], v[152:153] offset0:10 offset1:11
	ds_write2_b64 v1, v[158:159], v[160:161] offset0:12 offset1:13
	;; [unrolled: 1-line block ×44, first 2 shown]
.LBB96_102:
	s_or_b32 exec_lo, exec_lo, s0
	s_mov_b32 s0, exec_lo
	s_waitcnt lgkmcnt(0)
	s_waitcnt_vscnt null, 0x0
	s_barrier
	buffer_gl0_inv
	v_cmpx_lt_i32_e32 4, v212
	s_cbranch_execz .LBB96_104
; %bb.103:
	v_mul_f64 v[206:207], v[200:201], v[156:157]
	v_mul_f64 v[156:157], v[198:199], v[156:157]
	v_fma_f64 v[206:207], v[198:199], v[154:155], -v[206:207]
	v_fma_f64 v[156:157], v[200:201], v[154:155], v[156:157]
	ds_read2_b64 v[198:201], v1 offset0:10 offset1:11
	s_waitcnt lgkmcnt(0)
	v_mul_f64 v[154:155], v[200:201], v[156:157]
	v_fma_f64 v[154:155], v[198:199], v[206:207], -v[154:155]
	v_mul_f64 v[198:199], v[198:199], v[156:157]
	v_add_f64 v[150:151], v[150:151], -v[154:155]
	v_fma_f64 v[198:199], v[200:201], v[206:207], v[198:199]
	v_add_f64 v[152:153], v[152:153], -v[198:199]
	ds_read2_b64 v[198:201], v1 offset0:12 offset1:13
	s_waitcnt lgkmcnt(0)
	v_mul_f64 v[154:155], v[200:201], v[156:157]
	v_fma_f64 v[154:155], v[198:199], v[206:207], -v[154:155]
	v_mul_f64 v[198:199], v[198:199], v[156:157]
	v_add_f64 v[158:159], v[158:159], -v[154:155]
	v_fma_f64 v[198:199], v[200:201], v[206:207], v[198:199]
	v_add_f64 v[160:161], v[160:161], -v[198:199]
	;; [unrolled: 8-line block ×43, first 2 shown]
	ds_read2_b64 v[198:201], v1 offset0:96 offset1:97
	s_waitcnt lgkmcnt(0)
	v_mul_f64 v[154:155], v[200:201], v[156:157]
	v_fma_f64 v[154:155], v[198:199], v[206:207], -v[154:155]
	v_mul_f64 v[198:199], v[198:199], v[156:157]
	v_add_f64 v[2:3], v[2:3], -v[154:155]
	v_fma_f64 v[198:199], v[200:201], v[206:207], v[198:199]
	v_mov_b32_e32 v154, v206
	v_mov_b32_e32 v155, v207
	v_add_f64 v[4:5], v[4:5], -v[198:199]
.LBB96_104:
	s_or_b32 exec_lo, exec_lo, s0
	v_lshl_add_u32 v198, v212, 4, v1
	s_barrier
	buffer_gl0_inv
	v_mov_b32_e32 v206, 5
	ds_write2_b64 v198, v[150:151], v[152:153] offset1:1
	s_waitcnt lgkmcnt(0)
	s_barrier
	buffer_gl0_inv
	ds_read2_b64 v[198:201], v1 offset0:10 offset1:11
	s_cmp_lt_i32 s1, 7
	s_cbranch_scc1 .LBB96_107
; %bb.105:
	v_add3_u32 v207, v208, 0, 0x60
	v_mov_b32_e32 v206, 5
	s_mov_b32 s7, 6
	s_inst_prefetch 0x1
	.p2align	6
.LBB96_106:                             ; =>This Inner Loop Header: Depth=1
	s_waitcnt lgkmcnt(0)
	v_cmp_gt_f64_e32 vcc_lo, 0, v[200:201]
	v_cmp_gt_f64_e64 s0, 0, v[198:199]
	ds_read2_b64 v[213:216], v207 offset1:1
	v_xor_b32_e32 v218, 0x80000000, v199
	v_xor_b32_e32 v220, 0x80000000, v201
	v_mov_b32_e32 v217, v198
	v_mov_b32_e32 v219, v200
	v_add_nc_u32_e32 v207, 16, v207
	s_waitcnt lgkmcnt(0)
	v_xor_b32_e32 v222, 0x80000000, v216
	v_cndmask_b32_e64 v218, v199, v218, s0
	v_cndmask_b32_e32 v220, v201, v220, vcc_lo
	v_cmp_gt_f64_e32 vcc_lo, 0, v[215:216]
	v_cmp_gt_f64_e64 s0, 0, v[213:214]
	v_mov_b32_e32 v221, v215
	v_add_f64 v[217:218], v[217:218], v[219:220]
	v_xor_b32_e32 v220, 0x80000000, v214
	v_mov_b32_e32 v219, v213
	v_cndmask_b32_e32 v222, v216, v222, vcc_lo
	v_cndmask_b32_e64 v220, v214, v220, s0
	v_add_f64 v[219:220], v[219:220], v[221:222]
	v_cmp_lt_f64_e32 vcc_lo, v[217:218], v[219:220]
	v_cndmask_b32_e32 v199, v199, v214, vcc_lo
	v_cndmask_b32_e32 v198, v198, v213, vcc_lo
	;; [unrolled: 1-line block ×4, first 2 shown]
	v_cndmask_b32_e64 v206, v206, s7, vcc_lo
	s_add_i32 s7, s7, 1
	s_cmp_lg_u32 s1, s7
	s_cbranch_scc1 .LBB96_106
.LBB96_107:
	s_inst_prefetch 0x2
	s_waitcnt lgkmcnt(0)
	v_cmp_eq_f64_e32 vcc_lo, 0, v[198:199]
	v_cmp_eq_f64_e64 s0, 0, v[200:201]
	s_and_b32 s0, vcc_lo, s0
	s_and_saveexec_b32 s7, s0
	s_xor_b32 s0, exec_lo, s7
; %bb.108:
	v_cmp_ne_u32_e32 vcc_lo, 0, v211
	v_cndmask_b32_e32 v211, 6, v211, vcc_lo
; %bb.109:
	s_andn2_saveexec_b32 s0, s0
	s_cbranch_execz .LBB96_115
; %bb.110:
	v_cmp_ngt_f64_e64 s7, |v[198:199]|, |v[200:201]|
	s_and_saveexec_b32 s8, s7
	s_xor_b32 s7, exec_lo, s8
	s_cbranch_execz .LBB96_112
; %bb.111:
	v_div_scale_f64 v[213:214], null, v[200:201], v[200:201], v[198:199]
	v_div_scale_f64 v[219:220], vcc_lo, v[198:199], v[200:201], v[198:199]
	v_rcp_f64_e32 v[215:216], v[213:214]
	v_fma_f64 v[217:218], -v[213:214], v[215:216], 1.0
	v_fma_f64 v[215:216], v[215:216], v[217:218], v[215:216]
	v_fma_f64 v[217:218], -v[213:214], v[215:216], 1.0
	v_fma_f64 v[215:216], v[215:216], v[217:218], v[215:216]
	v_mul_f64 v[217:218], v[219:220], v[215:216]
	v_fma_f64 v[213:214], -v[213:214], v[217:218], v[219:220]
	v_div_fmas_f64 v[213:214], v[213:214], v[215:216], v[217:218]
	v_div_fixup_f64 v[213:214], v[213:214], v[200:201], v[198:199]
	v_fma_f64 v[198:199], v[198:199], v[213:214], v[200:201]
	v_div_scale_f64 v[200:201], null, v[198:199], v[198:199], 1.0
	v_rcp_f64_e32 v[215:216], v[200:201]
	v_fma_f64 v[217:218], -v[200:201], v[215:216], 1.0
	v_fma_f64 v[215:216], v[215:216], v[217:218], v[215:216]
	v_fma_f64 v[217:218], -v[200:201], v[215:216], 1.0
	v_fma_f64 v[215:216], v[215:216], v[217:218], v[215:216]
	v_div_scale_f64 v[217:218], vcc_lo, 1.0, v[198:199], 1.0
	v_mul_f64 v[219:220], v[217:218], v[215:216]
	v_fma_f64 v[200:201], -v[200:201], v[219:220], v[217:218]
	v_div_fmas_f64 v[200:201], v[200:201], v[215:216], v[219:220]
	v_div_fixup_f64 v[200:201], v[200:201], v[198:199], 1.0
	v_mul_f64 v[198:199], v[213:214], v[200:201]
	v_xor_b32_e32 v201, 0x80000000, v201
.LBB96_112:
	s_andn2_saveexec_b32 s7, s7
	s_cbranch_execz .LBB96_114
; %bb.113:
	v_div_scale_f64 v[213:214], null, v[198:199], v[198:199], v[200:201]
	v_div_scale_f64 v[219:220], vcc_lo, v[200:201], v[198:199], v[200:201]
	v_rcp_f64_e32 v[215:216], v[213:214]
	v_fma_f64 v[217:218], -v[213:214], v[215:216], 1.0
	v_fma_f64 v[215:216], v[215:216], v[217:218], v[215:216]
	v_fma_f64 v[217:218], -v[213:214], v[215:216], 1.0
	v_fma_f64 v[215:216], v[215:216], v[217:218], v[215:216]
	v_mul_f64 v[217:218], v[219:220], v[215:216]
	v_fma_f64 v[213:214], -v[213:214], v[217:218], v[219:220]
	v_div_fmas_f64 v[213:214], v[213:214], v[215:216], v[217:218]
	v_div_fixup_f64 v[213:214], v[213:214], v[198:199], v[200:201]
	v_fma_f64 v[198:199], v[200:201], v[213:214], v[198:199]
	v_div_scale_f64 v[200:201], null, v[198:199], v[198:199], 1.0
	v_rcp_f64_e32 v[215:216], v[200:201]
	v_fma_f64 v[217:218], -v[200:201], v[215:216], 1.0
	v_fma_f64 v[215:216], v[215:216], v[217:218], v[215:216]
	v_fma_f64 v[217:218], -v[200:201], v[215:216], 1.0
	v_fma_f64 v[215:216], v[215:216], v[217:218], v[215:216]
	v_div_scale_f64 v[217:218], vcc_lo, 1.0, v[198:199], 1.0
	v_mul_f64 v[219:220], v[217:218], v[215:216]
	v_fma_f64 v[200:201], -v[200:201], v[219:220], v[217:218]
	v_div_fmas_f64 v[200:201], v[200:201], v[215:216], v[219:220]
	v_div_fixup_f64 v[198:199], v[200:201], v[198:199], 1.0
	v_mul_f64 v[200:201], v[213:214], -v[198:199]
.LBB96_114:
	s_or_b32 exec_lo, exec_lo, s7
.LBB96_115:
	s_or_b32 exec_lo, exec_lo, s0
	s_mov_b32 s0, exec_lo
	v_cmpx_ne_u32_e64 v212, v206
	s_xor_b32 s0, exec_lo, s0
	s_cbranch_execz .LBB96_121
; %bb.116:
	s_mov_b32 s7, exec_lo
	v_cmpx_eq_u32_e32 5, v212
	s_cbranch_execz .LBB96_120
; %bb.117:
	v_cmp_ne_u32_e32 vcc_lo, 5, v206
	s_xor_b32 s8, s16, -1
	s_and_b32 s9, s8, vcc_lo
	s_and_saveexec_b32 s8, s9
	s_cbranch_execz .LBB96_119
; %bb.118:
	v_ashrrev_i32_e32 v207, 31, v206
	v_lshlrev_b64 v[212:213], 2, v[206:207]
	v_add_co_u32 v212, vcc_lo, v204, v212
	v_add_co_ci_u32_e64 v213, null, v205, v213, vcc_lo
	s_clause 0x1
	global_load_dword v0, v[212:213], off
	global_load_dword v207, v[204:205], off offset:20
	s_waitcnt vmcnt(1)
	global_store_dword v[204:205], v0, off offset:20
	s_waitcnt vmcnt(0)
	global_store_dword v[212:213], v207, off
.LBB96_119:
	s_or_b32 exec_lo, exec_lo, s8
	v_mov_b32_e32 v212, v206
	v_mov_b32_e32 v0, v206
.LBB96_120:
	s_or_b32 exec_lo, exec_lo, s7
.LBB96_121:
	s_andn2_saveexec_b32 s0, s0
	s_cbranch_execz .LBB96_123
; %bb.122:
	v_mov_b32_e32 v212, 5
	ds_write2_b64 v1, v[158:159], v[160:161] offset0:12 offset1:13
	ds_write2_b64 v1, v[134:135], v[136:137] offset0:14 offset1:15
	;; [unrolled: 1-line block ×43, first 2 shown]
.LBB96_123:
	s_or_b32 exec_lo, exec_lo, s0
	s_mov_b32 s0, exec_lo
	s_waitcnt lgkmcnt(0)
	s_waitcnt_vscnt null, 0x0
	s_barrier
	buffer_gl0_inv
	v_cmpx_lt_i32_e32 5, v212
	s_cbranch_execz .LBB96_125
; %bb.124:
	v_mul_f64 v[206:207], v[200:201], v[152:153]
	v_mul_f64 v[152:153], v[198:199], v[152:153]
	v_fma_f64 v[206:207], v[198:199], v[150:151], -v[206:207]
	v_fma_f64 v[152:153], v[200:201], v[150:151], v[152:153]
	ds_read2_b64 v[198:201], v1 offset0:12 offset1:13
	s_waitcnt lgkmcnt(0)
	v_mul_f64 v[150:151], v[200:201], v[152:153]
	v_fma_f64 v[150:151], v[198:199], v[206:207], -v[150:151]
	v_mul_f64 v[198:199], v[198:199], v[152:153]
	v_add_f64 v[158:159], v[158:159], -v[150:151]
	v_fma_f64 v[198:199], v[200:201], v[206:207], v[198:199]
	v_add_f64 v[160:161], v[160:161], -v[198:199]
	ds_read2_b64 v[198:201], v1 offset0:14 offset1:15
	s_waitcnt lgkmcnt(0)
	v_mul_f64 v[150:151], v[200:201], v[152:153]
	v_fma_f64 v[150:151], v[198:199], v[206:207], -v[150:151]
	v_mul_f64 v[198:199], v[198:199], v[152:153]
	v_add_f64 v[134:135], v[134:135], -v[150:151]
	v_fma_f64 v[198:199], v[200:201], v[206:207], v[198:199]
	v_add_f64 v[136:137], v[136:137], -v[198:199]
	;; [unrolled: 8-line block ×42, first 2 shown]
	ds_read2_b64 v[198:201], v1 offset0:96 offset1:97
	s_waitcnt lgkmcnt(0)
	v_mul_f64 v[150:151], v[200:201], v[152:153]
	v_fma_f64 v[150:151], v[198:199], v[206:207], -v[150:151]
	v_mul_f64 v[198:199], v[198:199], v[152:153]
	v_add_f64 v[2:3], v[2:3], -v[150:151]
	v_fma_f64 v[198:199], v[200:201], v[206:207], v[198:199]
	v_mov_b32_e32 v150, v206
	v_mov_b32_e32 v151, v207
	v_add_f64 v[4:5], v[4:5], -v[198:199]
.LBB96_125:
	s_or_b32 exec_lo, exec_lo, s0
	v_lshl_add_u32 v198, v212, 4, v1
	s_barrier
	buffer_gl0_inv
	v_mov_b32_e32 v206, 6
	ds_write2_b64 v198, v[158:159], v[160:161] offset1:1
	s_waitcnt lgkmcnt(0)
	s_barrier
	buffer_gl0_inv
	ds_read2_b64 v[198:201], v1 offset0:12 offset1:13
	s_cmp_lt_i32 s1, 8
	s_cbranch_scc1 .LBB96_128
; %bb.126:
	v_add3_u32 v207, v208, 0, 0x70
	v_mov_b32_e32 v206, 6
	s_mov_b32 s7, 7
	s_inst_prefetch 0x1
	.p2align	6
.LBB96_127:                             ; =>This Inner Loop Header: Depth=1
	s_waitcnt lgkmcnt(0)
	v_cmp_gt_f64_e32 vcc_lo, 0, v[200:201]
	v_cmp_gt_f64_e64 s0, 0, v[198:199]
	ds_read2_b64 v[213:216], v207 offset1:1
	v_xor_b32_e32 v218, 0x80000000, v199
	v_xor_b32_e32 v220, 0x80000000, v201
	v_mov_b32_e32 v217, v198
	v_mov_b32_e32 v219, v200
	v_add_nc_u32_e32 v207, 16, v207
	s_waitcnt lgkmcnt(0)
	v_xor_b32_e32 v222, 0x80000000, v216
	v_cndmask_b32_e64 v218, v199, v218, s0
	v_cndmask_b32_e32 v220, v201, v220, vcc_lo
	v_cmp_gt_f64_e32 vcc_lo, 0, v[215:216]
	v_cmp_gt_f64_e64 s0, 0, v[213:214]
	v_mov_b32_e32 v221, v215
	v_add_f64 v[217:218], v[217:218], v[219:220]
	v_xor_b32_e32 v220, 0x80000000, v214
	v_mov_b32_e32 v219, v213
	v_cndmask_b32_e32 v222, v216, v222, vcc_lo
	v_cndmask_b32_e64 v220, v214, v220, s0
	v_add_f64 v[219:220], v[219:220], v[221:222]
	v_cmp_lt_f64_e32 vcc_lo, v[217:218], v[219:220]
	v_cndmask_b32_e32 v199, v199, v214, vcc_lo
	v_cndmask_b32_e32 v198, v198, v213, vcc_lo
	;; [unrolled: 1-line block ×4, first 2 shown]
	v_cndmask_b32_e64 v206, v206, s7, vcc_lo
	s_add_i32 s7, s7, 1
	s_cmp_lg_u32 s1, s7
	s_cbranch_scc1 .LBB96_127
.LBB96_128:
	s_inst_prefetch 0x2
	s_waitcnt lgkmcnt(0)
	v_cmp_eq_f64_e32 vcc_lo, 0, v[198:199]
	v_cmp_eq_f64_e64 s0, 0, v[200:201]
	s_and_b32 s0, vcc_lo, s0
	s_and_saveexec_b32 s7, s0
	s_xor_b32 s0, exec_lo, s7
; %bb.129:
	v_cmp_ne_u32_e32 vcc_lo, 0, v211
	v_cndmask_b32_e32 v211, 7, v211, vcc_lo
; %bb.130:
	s_andn2_saveexec_b32 s0, s0
	s_cbranch_execz .LBB96_136
; %bb.131:
	v_cmp_ngt_f64_e64 s7, |v[198:199]|, |v[200:201]|
	s_and_saveexec_b32 s8, s7
	s_xor_b32 s7, exec_lo, s8
	s_cbranch_execz .LBB96_133
; %bb.132:
	v_div_scale_f64 v[213:214], null, v[200:201], v[200:201], v[198:199]
	v_div_scale_f64 v[219:220], vcc_lo, v[198:199], v[200:201], v[198:199]
	v_rcp_f64_e32 v[215:216], v[213:214]
	v_fma_f64 v[217:218], -v[213:214], v[215:216], 1.0
	v_fma_f64 v[215:216], v[215:216], v[217:218], v[215:216]
	v_fma_f64 v[217:218], -v[213:214], v[215:216], 1.0
	v_fma_f64 v[215:216], v[215:216], v[217:218], v[215:216]
	v_mul_f64 v[217:218], v[219:220], v[215:216]
	v_fma_f64 v[213:214], -v[213:214], v[217:218], v[219:220]
	v_div_fmas_f64 v[213:214], v[213:214], v[215:216], v[217:218]
	v_div_fixup_f64 v[213:214], v[213:214], v[200:201], v[198:199]
	v_fma_f64 v[198:199], v[198:199], v[213:214], v[200:201]
	v_div_scale_f64 v[200:201], null, v[198:199], v[198:199], 1.0
	v_rcp_f64_e32 v[215:216], v[200:201]
	v_fma_f64 v[217:218], -v[200:201], v[215:216], 1.0
	v_fma_f64 v[215:216], v[215:216], v[217:218], v[215:216]
	v_fma_f64 v[217:218], -v[200:201], v[215:216], 1.0
	v_fma_f64 v[215:216], v[215:216], v[217:218], v[215:216]
	v_div_scale_f64 v[217:218], vcc_lo, 1.0, v[198:199], 1.0
	v_mul_f64 v[219:220], v[217:218], v[215:216]
	v_fma_f64 v[200:201], -v[200:201], v[219:220], v[217:218]
	v_div_fmas_f64 v[200:201], v[200:201], v[215:216], v[219:220]
	v_div_fixup_f64 v[200:201], v[200:201], v[198:199], 1.0
	v_mul_f64 v[198:199], v[213:214], v[200:201]
	v_xor_b32_e32 v201, 0x80000000, v201
.LBB96_133:
	s_andn2_saveexec_b32 s7, s7
	s_cbranch_execz .LBB96_135
; %bb.134:
	v_div_scale_f64 v[213:214], null, v[198:199], v[198:199], v[200:201]
	v_div_scale_f64 v[219:220], vcc_lo, v[200:201], v[198:199], v[200:201]
	v_rcp_f64_e32 v[215:216], v[213:214]
	v_fma_f64 v[217:218], -v[213:214], v[215:216], 1.0
	v_fma_f64 v[215:216], v[215:216], v[217:218], v[215:216]
	v_fma_f64 v[217:218], -v[213:214], v[215:216], 1.0
	v_fma_f64 v[215:216], v[215:216], v[217:218], v[215:216]
	v_mul_f64 v[217:218], v[219:220], v[215:216]
	v_fma_f64 v[213:214], -v[213:214], v[217:218], v[219:220]
	v_div_fmas_f64 v[213:214], v[213:214], v[215:216], v[217:218]
	v_div_fixup_f64 v[213:214], v[213:214], v[198:199], v[200:201]
	v_fma_f64 v[198:199], v[200:201], v[213:214], v[198:199]
	v_div_scale_f64 v[200:201], null, v[198:199], v[198:199], 1.0
	v_rcp_f64_e32 v[215:216], v[200:201]
	v_fma_f64 v[217:218], -v[200:201], v[215:216], 1.0
	v_fma_f64 v[215:216], v[215:216], v[217:218], v[215:216]
	v_fma_f64 v[217:218], -v[200:201], v[215:216], 1.0
	v_fma_f64 v[215:216], v[215:216], v[217:218], v[215:216]
	v_div_scale_f64 v[217:218], vcc_lo, 1.0, v[198:199], 1.0
	v_mul_f64 v[219:220], v[217:218], v[215:216]
	v_fma_f64 v[200:201], -v[200:201], v[219:220], v[217:218]
	v_div_fmas_f64 v[200:201], v[200:201], v[215:216], v[219:220]
	v_div_fixup_f64 v[198:199], v[200:201], v[198:199], 1.0
	v_mul_f64 v[200:201], v[213:214], -v[198:199]
.LBB96_135:
	s_or_b32 exec_lo, exec_lo, s7
.LBB96_136:
	s_or_b32 exec_lo, exec_lo, s0
	s_mov_b32 s0, exec_lo
	v_cmpx_ne_u32_e64 v212, v206
	s_xor_b32 s0, exec_lo, s0
	s_cbranch_execz .LBB96_142
; %bb.137:
	s_mov_b32 s7, exec_lo
	v_cmpx_eq_u32_e32 6, v212
	s_cbranch_execz .LBB96_141
; %bb.138:
	v_cmp_ne_u32_e32 vcc_lo, 6, v206
	s_xor_b32 s8, s16, -1
	s_and_b32 s9, s8, vcc_lo
	s_and_saveexec_b32 s8, s9
	s_cbranch_execz .LBB96_140
; %bb.139:
	v_ashrrev_i32_e32 v207, 31, v206
	v_lshlrev_b64 v[212:213], 2, v[206:207]
	v_add_co_u32 v212, vcc_lo, v204, v212
	v_add_co_ci_u32_e64 v213, null, v205, v213, vcc_lo
	s_clause 0x1
	global_load_dword v0, v[212:213], off
	global_load_dword v207, v[204:205], off offset:24
	s_waitcnt vmcnt(1)
	global_store_dword v[204:205], v0, off offset:24
	s_waitcnt vmcnt(0)
	global_store_dword v[212:213], v207, off
.LBB96_140:
	s_or_b32 exec_lo, exec_lo, s8
	v_mov_b32_e32 v212, v206
	v_mov_b32_e32 v0, v206
.LBB96_141:
	s_or_b32 exec_lo, exec_lo, s7
.LBB96_142:
	s_andn2_saveexec_b32 s0, s0
	s_cbranch_execz .LBB96_144
; %bb.143:
	v_mov_b32_e32 v212, 6
	ds_write2_b64 v1, v[134:135], v[136:137] offset0:14 offset1:15
	ds_write2_b64 v1, v[138:139], v[140:141] offset0:16 offset1:17
	;; [unrolled: 1-line block ×42, first 2 shown]
.LBB96_144:
	s_or_b32 exec_lo, exec_lo, s0
	s_mov_b32 s0, exec_lo
	s_waitcnt lgkmcnt(0)
	s_waitcnt_vscnt null, 0x0
	s_barrier
	buffer_gl0_inv
	v_cmpx_lt_i32_e32 6, v212
	s_cbranch_execz .LBB96_146
; %bb.145:
	v_mul_f64 v[206:207], v[200:201], v[160:161]
	v_mul_f64 v[160:161], v[198:199], v[160:161]
	v_fma_f64 v[206:207], v[198:199], v[158:159], -v[206:207]
	v_fma_f64 v[160:161], v[200:201], v[158:159], v[160:161]
	ds_read2_b64 v[198:201], v1 offset0:14 offset1:15
	s_waitcnt lgkmcnt(0)
	v_mul_f64 v[158:159], v[200:201], v[160:161]
	v_fma_f64 v[158:159], v[198:199], v[206:207], -v[158:159]
	v_mul_f64 v[198:199], v[198:199], v[160:161]
	v_add_f64 v[134:135], v[134:135], -v[158:159]
	v_fma_f64 v[198:199], v[200:201], v[206:207], v[198:199]
	v_add_f64 v[136:137], v[136:137], -v[198:199]
	ds_read2_b64 v[198:201], v1 offset0:16 offset1:17
	s_waitcnt lgkmcnt(0)
	v_mul_f64 v[158:159], v[200:201], v[160:161]
	v_fma_f64 v[158:159], v[198:199], v[206:207], -v[158:159]
	v_mul_f64 v[198:199], v[198:199], v[160:161]
	v_add_f64 v[138:139], v[138:139], -v[158:159]
	v_fma_f64 v[198:199], v[200:201], v[206:207], v[198:199]
	v_add_f64 v[140:141], v[140:141], -v[198:199]
	;; [unrolled: 8-line block ×41, first 2 shown]
	ds_read2_b64 v[198:201], v1 offset0:96 offset1:97
	s_waitcnt lgkmcnt(0)
	v_mul_f64 v[158:159], v[200:201], v[160:161]
	v_fma_f64 v[158:159], v[198:199], v[206:207], -v[158:159]
	v_mul_f64 v[198:199], v[198:199], v[160:161]
	v_add_f64 v[2:3], v[2:3], -v[158:159]
	v_fma_f64 v[198:199], v[200:201], v[206:207], v[198:199]
	v_mov_b32_e32 v158, v206
	v_mov_b32_e32 v159, v207
	v_add_f64 v[4:5], v[4:5], -v[198:199]
.LBB96_146:
	s_or_b32 exec_lo, exec_lo, s0
	v_lshl_add_u32 v198, v212, 4, v1
	s_barrier
	buffer_gl0_inv
	v_mov_b32_e32 v206, 7
	ds_write2_b64 v198, v[134:135], v[136:137] offset1:1
	s_waitcnt lgkmcnt(0)
	s_barrier
	buffer_gl0_inv
	ds_read2_b64 v[198:201], v1 offset0:14 offset1:15
	s_cmp_lt_i32 s1, 9
	s_cbranch_scc1 .LBB96_149
; %bb.147:
	v_add3_u32 v207, v208, 0, 0x80
	v_mov_b32_e32 v206, 7
	s_mov_b32 s7, 8
	s_inst_prefetch 0x1
	.p2align	6
.LBB96_148:                             ; =>This Inner Loop Header: Depth=1
	s_waitcnt lgkmcnt(0)
	v_cmp_gt_f64_e32 vcc_lo, 0, v[200:201]
	v_cmp_gt_f64_e64 s0, 0, v[198:199]
	ds_read2_b64 v[213:216], v207 offset1:1
	v_xor_b32_e32 v218, 0x80000000, v199
	v_xor_b32_e32 v220, 0x80000000, v201
	v_mov_b32_e32 v217, v198
	v_mov_b32_e32 v219, v200
	v_add_nc_u32_e32 v207, 16, v207
	s_waitcnt lgkmcnt(0)
	v_xor_b32_e32 v222, 0x80000000, v216
	v_cndmask_b32_e64 v218, v199, v218, s0
	v_cndmask_b32_e32 v220, v201, v220, vcc_lo
	v_cmp_gt_f64_e32 vcc_lo, 0, v[215:216]
	v_cmp_gt_f64_e64 s0, 0, v[213:214]
	v_mov_b32_e32 v221, v215
	v_add_f64 v[217:218], v[217:218], v[219:220]
	v_xor_b32_e32 v220, 0x80000000, v214
	v_mov_b32_e32 v219, v213
	v_cndmask_b32_e32 v222, v216, v222, vcc_lo
	v_cndmask_b32_e64 v220, v214, v220, s0
	v_add_f64 v[219:220], v[219:220], v[221:222]
	v_cmp_lt_f64_e32 vcc_lo, v[217:218], v[219:220]
	v_cndmask_b32_e32 v199, v199, v214, vcc_lo
	v_cndmask_b32_e32 v198, v198, v213, vcc_lo
	;; [unrolled: 1-line block ×4, first 2 shown]
	v_cndmask_b32_e64 v206, v206, s7, vcc_lo
	s_add_i32 s7, s7, 1
	s_cmp_lg_u32 s1, s7
	s_cbranch_scc1 .LBB96_148
.LBB96_149:
	s_inst_prefetch 0x2
	s_waitcnt lgkmcnt(0)
	v_cmp_eq_f64_e32 vcc_lo, 0, v[198:199]
	v_cmp_eq_f64_e64 s0, 0, v[200:201]
	s_and_b32 s0, vcc_lo, s0
	s_and_saveexec_b32 s7, s0
	s_xor_b32 s0, exec_lo, s7
; %bb.150:
	v_cmp_ne_u32_e32 vcc_lo, 0, v211
	v_cndmask_b32_e32 v211, 8, v211, vcc_lo
; %bb.151:
	s_andn2_saveexec_b32 s0, s0
	s_cbranch_execz .LBB96_157
; %bb.152:
	v_cmp_ngt_f64_e64 s7, |v[198:199]|, |v[200:201]|
	s_and_saveexec_b32 s8, s7
	s_xor_b32 s7, exec_lo, s8
	s_cbranch_execz .LBB96_154
; %bb.153:
	v_div_scale_f64 v[213:214], null, v[200:201], v[200:201], v[198:199]
	v_div_scale_f64 v[219:220], vcc_lo, v[198:199], v[200:201], v[198:199]
	v_rcp_f64_e32 v[215:216], v[213:214]
	v_fma_f64 v[217:218], -v[213:214], v[215:216], 1.0
	v_fma_f64 v[215:216], v[215:216], v[217:218], v[215:216]
	v_fma_f64 v[217:218], -v[213:214], v[215:216], 1.0
	v_fma_f64 v[215:216], v[215:216], v[217:218], v[215:216]
	v_mul_f64 v[217:218], v[219:220], v[215:216]
	v_fma_f64 v[213:214], -v[213:214], v[217:218], v[219:220]
	v_div_fmas_f64 v[213:214], v[213:214], v[215:216], v[217:218]
	v_div_fixup_f64 v[213:214], v[213:214], v[200:201], v[198:199]
	v_fma_f64 v[198:199], v[198:199], v[213:214], v[200:201]
	v_div_scale_f64 v[200:201], null, v[198:199], v[198:199], 1.0
	v_rcp_f64_e32 v[215:216], v[200:201]
	v_fma_f64 v[217:218], -v[200:201], v[215:216], 1.0
	v_fma_f64 v[215:216], v[215:216], v[217:218], v[215:216]
	v_fma_f64 v[217:218], -v[200:201], v[215:216], 1.0
	v_fma_f64 v[215:216], v[215:216], v[217:218], v[215:216]
	v_div_scale_f64 v[217:218], vcc_lo, 1.0, v[198:199], 1.0
	v_mul_f64 v[219:220], v[217:218], v[215:216]
	v_fma_f64 v[200:201], -v[200:201], v[219:220], v[217:218]
	v_div_fmas_f64 v[200:201], v[200:201], v[215:216], v[219:220]
	v_div_fixup_f64 v[200:201], v[200:201], v[198:199], 1.0
	v_mul_f64 v[198:199], v[213:214], v[200:201]
	v_xor_b32_e32 v201, 0x80000000, v201
.LBB96_154:
	s_andn2_saveexec_b32 s7, s7
	s_cbranch_execz .LBB96_156
; %bb.155:
	v_div_scale_f64 v[213:214], null, v[198:199], v[198:199], v[200:201]
	v_div_scale_f64 v[219:220], vcc_lo, v[200:201], v[198:199], v[200:201]
	v_rcp_f64_e32 v[215:216], v[213:214]
	v_fma_f64 v[217:218], -v[213:214], v[215:216], 1.0
	v_fma_f64 v[215:216], v[215:216], v[217:218], v[215:216]
	v_fma_f64 v[217:218], -v[213:214], v[215:216], 1.0
	v_fma_f64 v[215:216], v[215:216], v[217:218], v[215:216]
	v_mul_f64 v[217:218], v[219:220], v[215:216]
	v_fma_f64 v[213:214], -v[213:214], v[217:218], v[219:220]
	v_div_fmas_f64 v[213:214], v[213:214], v[215:216], v[217:218]
	v_div_fixup_f64 v[213:214], v[213:214], v[198:199], v[200:201]
	v_fma_f64 v[198:199], v[200:201], v[213:214], v[198:199]
	v_div_scale_f64 v[200:201], null, v[198:199], v[198:199], 1.0
	v_rcp_f64_e32 v[215:216], v[200:201]
	v_fma_f64 v[217:218], -v[200:201], v[215:216], 1.0
	v_fma_f64 v[215:216], v[215:216], v[217:218], v[215:216]
	v_fma_f64 v[217:218], -v[200:201], v[215:216], 1.0
	v_fma_f64 v[215:216], v[215:216], v[217:218], v[215:216]
	v_div_scale_f64 v[217:218], vcc_lo, 1.0, v[198:199], 1.0
	v_mul_f64 v[219:220], v[217:218], v[215:216]
	v_fma_f64 v[200:201], -v[200:201], v[219:220], v[217:218]
	v_div_fmas_f64 v[200:201], v[200:201], v[215:216], v[219:220]
	v_div_fixup_f64 v[198:199], v[200:201], v[198:199], 1.0
	v_mul_f64 v[200:201], v[213:214], -v[198:199]
.LBB96_156:
	s_or_b32 exec_lo, exec_lo, s7
.LBB96_157:
	s_or_b32 exec_lo, exec_lo, s0
	s_mov_b32 s0, exec_lo
	v_cmpx_ne_u32_e64 v212, v206
	s_xor_b32 s0, exec_lo, s0
	s_cbranch_execz .LBB96_163
; %bb.158:
	s_mov_b32 s7, exec_lo
	v_cmpx_eq_u32_e32 7, v212
	s_cbranch_execz .LBB96_162
; %bb.159:
	v_cmp_ne_u32_e32 vcc_lo, 7, v206
	s_xor_b32 s8, s16, -1
	s_and_b32 s9, s8, vcc_lo
	s_and_saveexec_b32 s8, s9
	s_cbranch_execz .LBB96_161
; %bb.160:
	v_ashrrev_i32_e32 v207, 31, v206
	v_lshlrev_b64 v[212:213], 2, v[206:207]
	v_add_co_u32 v212, vcc_lo, v204, v212
	v_add_co_ci_u32_e64 v213, null, v205, v213, vcc_lo
	s_clause 0x1
	global_load_dword v0, v[212:213], off
	global_load_dword v207, v[204:205], off offset:28
	s_waitcnt vmcnt(1)
	global_store_dword v[204:205], v0, off offset:28
	s_waitcnt vmcnt(0)
	global_store_dword v[212:213], v207, off
.LBB96_161:
	s_or_b32 exec_lo, exec_lo, s8
	v_mov_b32_e32 v212, v206
	v_mov_b32_e32 v0, v206
.LBB96_162:
	s_or_b32 exec_lo, exec_lo, s7
.LBB96_163:
	s_andn2_saveexec_b32 s0, s0
	s_cbranch_execz .LBB96_165
; %bb.164:
	v_mov_b32_e32 v212, 7
	ds_write2_b64 v1, v[138:139], v[140:141] offset0:16 offset1:17
	ds_write2_b64 v1, v[110:111], v[112:113] offset0:18 offset1:19
	;; [unrolled: 1-line block ×41, first 2 shown]
.LBB96_165:
	s_or_b32 exec_lo, exec_lo, s0
	s_mov_b32 s0, exec_lo
	s_waitcnt lgkmcnt(0)
	s_waitcnt_vscnt null, 0x0
	s_barrier
	buffer_gl0_inv
	v_cmpx_lt_i32_e32 7, v212
	s_cbranch_execz .LBB96_167
; %bb.166:
	v_mul_f64 v[206:207], v[200:201], v[136:137]
	v_mul_f64 v[136:137], v[198:199], v[136:137]
	v_fma_f64 v[206:207], v[198:199], v[134:135], -v[206:207]
	v_fma_f64 v[136:137], v[200:201], v[134:135], v[136:137]
	ds_read2_b64 v[198:201], v1 offset0:16 offset1:17
	s_waitcnt lgkmcnt(0)
	v_mul_f64 v[134:135], v[200:201], v[136:137]
	v_fma_f64 v[134:135], v[198:199], v[206:207], -v[134:135]
	v_mul_f64 v[198:199], v[198:199], v[136:137]
	v_add_f64 v[138:139], v[138:139], -v[134:135]
	v_fma_f64 v[198:199], v[200:201], v[206:207], v[198:199]
	v_add_f64 v[140:141], v[140:141], -v[198:199]
	ds_read2_b64 v[198:201], v1 offset0:18 offset1:19
	s_waitcnt lgkmcnt(0)
	v_mul_f64 v[134:135], v[200:201], v[136:137]
	v_fma_f64 v[134:135], v[198:199], v[206:207], -v[134:135]
	v_mul_f64 v[198:199], v[198:199], v[136:137]
	v_add_f64 v[110:111], v[110:111], -v[134:135]
	v_fma_f64 v[198:199], v[200:201], v[206:207], v[198:199]
	v_add_f64 v[112:113], v[112:113], -v[198:199]
	;; [unrolled: 8-line block ×40, first 2 shown]
	ds_read2_b64 v[198:201], v1 offset0:96 offset1:97
	s_waitcnt lgkmcnt(0)
	v_mul_f64 v[134:135], v[200:201], v[136:137]
	v_fma_f64 v[134:135], v[198:199], v[206:207], -v[134:135]
	v_mul_f64 v[198:199], v[198:199], v[136:137]
	v_add_f64 v[2:3], v[2:3], -v[134:135]
	v_fma_f64 v[198:199], v[200:201], v[206:207], v[198:199]
	v_mov_b32_e32 v134, v206
	v_mov_b32_e32 v135, v207
	v_add_f64 v[4:5], v[4:5], -v[198:199]
.LBB96_167:
	s_or_b32 exec_lo, exec_lo, s0
	v_lshl_add_u32 v198, v212, 4, v1
	s_barrier
	buffer_gl0_inv
	v_mov_b32_e32 v206, 8
	ds_write2_b64 v198, v[138:139], v[140:141] offset1:1
	s_waitcnt lgkmcnt(0)
	s_barrier
	buffer_gl0_inv
	ds_read2_b64 v[198:201], v1 offset0:16 offset1:17
	s_cmp_lt_i32 s1, 10
	s_cbranch_scc1 .LBB96_170
; %bb.168:
	v_add3_u32 v207, v208, 0, 0x90
	v_mov_b32_e32 v206, 8
	s_mov_b32 s7, 9
	s_inst_prefetch 0x1
	.p2align	6
.LBB96_169:                             ; =>This Inner Loop Header: Depth=1
	s_waitcnt lgkmcnt(0)
	v_cmp_gt_f64_e32 vcc_lo, 0, v[200:201]
	v_cmp_gt_f64_e64 s0, 0, v[198:199]
	ds_read2_b64 v[213:216], v207 offset1:1
	v_xor_b32_e32 v218, 0x80000000, v199
	v_xor_b32_e32 v220, 0x80000000, v201
	v_mov_b32_e32 v217, v198
	v_mov_b32_e32 v219, v200
	v_add_nc_u32_e32 v207, 16, v207
	s_waitcnt lgkmcnt(0)
	v_xor_b32_e32 v222, 0x80000000, v216
	v_cndmask_b32_e64 v218, v199, v218, s0
	v_cndmask_b32_e32 v220, v201, v220, vcc_lo
	v_cmp_gt_f64_e32 vcc_lo, 0, v[215:216]
	v_cmp_gt_f64_e64 s0, 0, v[213:214]
	v_mov_b32_e32 v221, v215
	v_add_f64 v[217:218], v[217:218], v[219:220]
	v_xor_b32_e32 v220, 0x80000000, v214
	v_mov_b32_e32 v219, v213
	v_cndmask_b32_e32 v222, v216, v222, vcc_lo
	v_cndmask_b32_e64 v220, v214, v220, s0
	v_add_f64 v[219:220], v[219:220], v[221:222]
	v_cmp_lt_f64_e32 vcc_lo, v[217:218], v[219:220]
	v_cndmask_b32_e32 v199, v199, v214, vcc_lo
	v_cndmask_b32_e32 v198, v198, v213, vcc_lo
	;; [unrolled: 1-line block ×4, first 2 shown]
	v_cndmask_b32_e64 v206, v206, s7, vcc_lo
	s_add_i32 s7, s7, 1
	s_cmp_lg_u32 s1, s7
	s_cbranch_scc1 .LBB96_169
.LBB96_170:
	s_inst_prefetch 0x2
	s_waitcnt lgkmcnt(0)
	v_cmp_eq_f64_e32 vcc_lo, 0, v[198:199]
	v_cmp_eq_f64_e64 s0, 0, v[200:201]
	s_and_b32 s0, vcc_lo, s0
	s_and_saveexec_b32 s7, s0
	s_xor_b32 s0, exec_lo, s7
; %bb.171:
	v_cmp_ne_u32_e32 vcc_lo, 0, v211
	v_cndmask_b32_e32 v211, 9, v211, vcc_lo
; %bb.172:
	s_andn2_saveexec_b32 s0, s0
	s_cbranch_execz .LBB96_178
; %bb.173:
	v_cmp_ngt_f64_e64 s7, |v[198:199]|, |v[200:201]|
	s_and_saveexec_b32 s8, s7
	s_xor_b32 s7, exec_lo, s8
	s_cbranch_execz .LBB96_175
; %bb.174:
	v_div_scale_f64 v[213:214], null, v[200:201], v[200:201], v[198:199]
	v_div_scale_f64 v[219:220], vcc_lo, v[198:199], v[200:201], v[198:199]
	v_rcp_f64_e32 v[215:216], v[213:214]
	v_fma_f64 v[217:218], -v[213:214], v[215:216], 1.0
	v_fma_f64 v[215:216], v[215:216], v[217:218], v[215:216]
	v_fma_f64 v[217:218], -v[213:214], v[215:216], 1.0
	v_fma_f64 v[215:216], v[215:216], v[217:218], v[215:216]
	v_mul_f64 v[217:218], v[219:220], v[215:216]
	v_fma_f64 v[213:214], -v[213:214], v[217:218], v[219:220]
	v_div_fmas_f64 v[213:214], v[213:214], v[215:216], v[217:218]
	v_div_fixup_f64 v[213:214], v[213:214], v[200:201], v[198:199]
	v_fma_f64 v[198:199], v[198:199], v[213:214], v[200:201]
	v_div_scale_f64 v[200:201], null, v[198:199], v[198:199], 1.0
	v_rcp_f64_e32 v[215:216], v[200:201]
	v_fma_f64 v[217:218], -v[200:201], v[215:216], 1.0
	v_fma_f64 v[215:216], v[215:216], v[217:218], v[215:216]
	v_fma_f64 v[217:218], -v[200:201], v[215:216], 1.0
	v_fma_f64 v[215:216], v[215:216], v[217:218], v[215:216]
	v_div_scale_f64 v[217:218], vcc_lo, 1.0, v[198:199], 1.0
	v_mul_f64 v[219:220], v[217:218], v[215:216]
	v_fma_f64 v[200:201], -v[200:201], v[219:220], v[217:218]
	v_div_fmas_f64 v[200:201], v[200:201], v[215:216], v[219:220]
	v_div_fixup_f64 v[200:201], v[200:201], v[198:199], 1.0
	v_mul_f64 v[198:199], v[213:214], v[200:201]
	v_xor_b32_e32 v201, 0x80000000, v201
.LBB96_175:
	s_andn2_saveexec_b32 s7, s7
	s_cbranch_execz .LBB96_177
; %bb.176:
	v_div_scale_f64 v[213:214], null, v[198:199], v[198:199], v[200:201]
	v_div_scale_f64 v[219:220], vcc_lo, v[200:201], v[198:199], v[200:201]
	v_rcp_f64_e32 v[215:216], v[213:214]
	v_fma_f64 v[217:218], -v[213:214], v[215:216], 1.0
	v_fma_f64 v[215:216], v[215:216], v[217:218], v[215:216]
	v_fma_f64 v[217:218], -v[213:214], v[215:216], 1.0
	v_fma_f64 v[215:216], v[215:216], v[217:218], v[215:216]
	v_mul_f64 v[217:218], v[219:220], v[215:216]
	v_fma_f64 v[213:214], -v[213:214], v[217:218], v[219:220]
	v_div_fmas_f64 v[213:214], v[213:214], v[215:216], v[217:218]
	v_div_fixup_f64 v[213:214], v[213:214], v[198:199], v[200:201]
	v_fma_f64 v[198:199], v[200:201], v[213:214], v[198:199]
	v_div_scale_f64 v[200:201], null, v[198:199], v[198:199], 1.0
	v_rcp_f64_e32 v[215:216], v[200:201]
	v_fma_f64 v[217:218], -v[200:201], v[215:216], 1.0
	v_fma_f64 v[215:216], v[215:216], v[217:218], v[215:216]
	v_fma_f64 v[217:218], -v[200:201], v[215:216], 1.0
	v_fma_f64 v[215:216], v[215:216], v[217:218], v[215:216]
	v_div_scale_f64 v[217:218], vcc_lo, 1.0, v[198:199], 1.0
	v_mul_f64 v[219:220], v[217:218], v[215:216]
	v_fma_f64 v[200:201], -v[200:201], v[219:220], v[217:218]
	v_div_fmas_f64 v[200:201], v[200:201], v[215:216], v[219:220]
	v_div_fixup_f64 v[198:199], v[200:201], v[198:199], 1.0
	v_mul_f64 v[200:201], v[213:214], -v[198:199]
.LBB96_177:
	s_or_b32 exec_lo, exec_lo, s7
.LBB96_178:
	s_or_b32 exec_lo, exec_lo, s0
	s_mov_b32 s0, exec_lo
	v_cmpx_ne_u32_e64 v212, v206
	s_xor_b32 s0, exec_lo, s0
	s_cbranch_execz .LBB96_184
; %bb.179:
	s_mov_b32 s7, exec_lo
	v_cmpx_eq_u32_e32 8, v212
	s_cbranch_execz .LBB96_183
; %bb.180:
	v_cmp_ne_u32_e32 vcc_lo, 8, v206
	s_xor_b32 s8, s16, -1
	s_and_b32 s9, s8, vcc_lo
	s_and_saveexec_b32 s8, s9
	s_cbranch_execz .LBB96_182
; %bb.181:
	v_ashrrev_i32_e32 v207, 31, v206
	v_lshlrev_b64 v[212:213], 2, v[206:207]
	v_add_co_u32 v212, vcc_lo, v204, v212
	v_add_co_ci_u32_e64 v213, null, v205, v213, vcc_lo
	s_clause 0x1
	global_load_dword v0, v[212:213], off
	global_load_dword v207, v[204:205], off offset:32
	s_waitcnt vmcnt(1)
	global_store_dword v[204:205], v0, off offset:32
	s_waitcnt vmcnt(0)
	global_store_dword v[212:213], v207, off
.LBB96_182:
	s_or_b32 exec_lo, exec_lo, s8
	v_mov_b32_e32 v212, v206
	v_mov_b32_e32 v0, v206
.LBB96_183:
	s_or_b32 exec_lo, exec_lo, s7
.LBB96_184:
	s_andn2_saveexec_b32 s0, s0
	s_cbranch_execz .LBB96_186
; %bb.185:
	v_mov_b32_e32 v212, 8
	ds_write2_b64 v1, v[110:111], v[112:113] offset0:18 offset1:19
	ds_write2_b64 v1, v[118:119], v[120:121] offset0:20 offset1:21
	;; [unrolled: 1-line block ×40, first 2 shown]
.LBB96_186:
	s_or_b32 exec_lo, exec_lo, s0
	s_mov_b32 s0, exec_lo
	s_waitcnt lgkmcnt(0)
	s_waitcnt_vscnt null, 0x0
	s_barrier
	buffer_gl0_inv
	v_cmpx_lt_i32_e32 8, v212
	s_cbranch_execz .LBB96_188
; %bb.187:
	v_mul_f64 v[206:207], v[200:201], v[140:141]
	v_mul_f64 v[140:141], v[198:199], v[140:141]
	v_fma_f64 v[206:207], v[198:199], v[138:139], -v[206:207]
	v_fma_f64 v[140:141], v[200:201], v[138:139], v[140:141]
	ds_read2_b64 v[198:201], v1 offset0:18 offset1:19
	s_waitcnt lgkmcnt(0)
	v_mul_f64 v[138:139], v[200:201], v[140:141]
	v_fma_f64 v[138:139], v[198:199], v[206:207], -v[138:139]
	v_mul_f64 v[198:199], v[198:199], v[140:141]
	v_add_f64 v[110:111], v[110:111], -v[138:139]
	v_fma_f64 v[198:199], v[200:201], v[206:207], v[198:199]
	v_add_f64 v[112:113], v[112:113], -v[198:199]
	ds_read2_b64 v[198:201], v1 offset0:20 offset1:21
	s_waitcnt lgkmcnt(0)
	v_mul_f64 v[138:139], v[200:201], v[140:141]
	v_fma_f64 v[138:139], v[198:199], v[206:207], -v[138:139]
	v_mul_f64 v[198:199], v[198:199], v[140:141]
	v_add_f64 v[118:119], v[118:119], -v[138:139]
	v_fma_f64 v[198:199], v[200:201], v[206:207], v[198:199]
	v_add_f64 v[120:121], v[120:121], -v[198:199]
	;; [unrolled: 8-line block ×39, first 2 shown]
	ds_read2_b64 v[198:201], v1 offset0:96 offset1:97
	s_waitcnt lgkmcnt(0)
	v_mul_f64 v[138:139], v[200:201], v[140:141]
	v_fma_f64 v[138:139], v[198:199], v[206:207], -v[138:139]
	v_mul_f64 v[198:199], v[198:199], v[140:141]
	v_add_f64 v[2:3], v[2:3], -v[138:139]
	v_fma_f64 v[198:199], v[200:201], v[206:207], v[198:199]
	v_mov_b32_e32 v138, v206
	v_mov_b32_e32 v139, v207
	v_add_f64 v[4:5], v[4:5], -v[198:199]
.LBB96_188:
	s_or_b32 exec_lo, exec_lo, s0
	v_lshl_add_u32 v198, v212, 4, v1
	s_barrier
	buffer_gl0_inv
	v_mov_b32_e32 v206, 9
	ds_write2_b64 v198, v[110:111], v[112:113] offset1:1
	s_waitcnt lgkmcnt(0)
	s_barrier
	buffer_gl0_inv
	ds_read2_b64 v[198:201], v1 offset0:18 offset1:19
	s_cmp_lt_i32 s1, 11
	s_cbranch_scc1 .LBB96_191
; %bb.189:
	v_add3_u32 v207, v208, 0, 0xa0
	v_mov_b32_e32 v206, 9
	s_mov_b32 s7, 10
	s_inst_prefetch 0x1
	.p2align	6
.LBB96_190:                             ; =>This Inner Loop Header: Depth=1
	s_waitcnt lgkmcnt(0)
	v_cmp_gt_f64_e32 vcc_lo, 0, v[200:201]
	v_cmp_gt_f64_e64 s0, 0, v[198:199]
	ds_read2_b64 v[213:216], v207 offset1:1
	v_xor_b32_e32 v218, 0x80000000, v199
	v_xor_b32_e32 v220, 0x80000000, v201
	v_mov_b32_e32 v217, v198
	v_mov_b32_e32 v219, v200
	v_add_nc_u32_e32 v207, 16, v207
	s_waitcnt lgkmcnt(0)
	v_xor_b32_e32 v222, 0x80000000, v216
	v_cndmask_b32_e64 v218, v199, v218, s0
	v_cndmask_b32_e32 v220, v201, v220, vcc_lo
	v_cmp_gt_f64_e32 vcc_lo, 0, v[215:216]
	v_cmp_gt_f64_e64 s0, 0, v[213:214]
	v_mov_b32_e32 v221, v215
	v_add_f64 v[217:218], v[217:218], v[219:220]
	v_xor_b32_e32 v220, 0x80000000, v214
	v_mov_b32_e32 v219, v213
	v_cndmask_b32_e32 v222, v216, v222, vcc_lo
	v_cndmask_b32_e64 v220, v214, v220, s0
	v_add_f64 v[219:220], v[219:220], v[221:222]
	v_cmp_lt_f64_e32 vcc_lo, v[217:218], v[219:220]
	v_cndmask_b32_e32 v199, v199, v214, vcc_lo
	v_cndmask_b32_e32 v198, v198, v213, vcc_lo
	;; [unrolled: 1-line block ×4, first 2 shown]
	v_cndmask_b32_e64 v206, v206, s7, vcc_lo
	s_add_i32 s7, s7, 1
	s_cmp_lg_u32 s1, s7
	s_cbranch_scc1 .LBB96_190
.LBB96_191:
	s_inst_prefetch 0x2
	s_waitcnt lgkmcnt(0)
	v_cmp_eq_f64_e32 vcc_lo, 0, v[198:199]
	v_cmp_eq_f64_e64 s0, 0, v[200:201]
	s_and_b32 s0, vcc_lo, s0
	s_and_saveexec_b32 s7, s0
	s_xor_b32 s0, exec_lo, s7
; %bb.192:
	v_cmp_ne_u32_e32 vcc_lo, 0, v211
	v_cndmask_b32_e32 v211, 10, v211, vcc_lo
; %bb.193:
	s_andn2_saveexec_b32 s0, s0
	s_cbranch_execz .LBB96_199
; %bb.194:
	v_cmp_ngt_f64_e64 s7, |v[198:199]|, |v[200:201]|
	s_and_saveexec_b32 s8, s7
	s_xor_b32 s7, exec_lo, s8
	s_cbranch_execz .LBB96_196
; %bb.195:
	v_div_scale_f64 v[213:214], null, v[200:201], v[200:201], v[198:199]
	v_div_scale_f64 v[219:220], vcc_lo, v[198:199], v[200:201], v[198:199]
	v_rcp_f64_e32 v[215:216], v[213:214]
	v_fma_f64 v[217:218], -v[213:214], v[215:216], 1.0
	v_fma_f64 v[215:216], v[215:216], v[217:218], v[215:216]
	v_fma_f64 v[217:218], -v[213:214], v[215:216], 1.0
	v_fma_f64 v[215:216], v[215:216], v[217:218], v[215:216]
	v_mul_f64 v[217:218], v[219:220], v[215:216]
	v_fma_f64 v[213:214], -v[213:214], v[217:218], v[219:220]
	v_div_fmas_f64 v[213:214], v[213:214], v[215:216], v[217:218]
	v_div_fixup_f64 v[213:214], v[213:214], v[200:201], v[198:199]
	v_fma_f64 v[198:199], v[198:199], v[213:214], v[200:201]
	v_div_scale_f64 v[200:201], null, v[198:199], v[198:199], 1.0
	v_rcp_f64_e32 v[215:216], v[200:201]
	v_fma_f64 v[217:218], -v[200:201], v[215:216], 1.0
	v_fma_f64 v[215:216], v[215:216], v[217:218], v[215:216]
	v_fma_f64 v[217:218], -v[200:201], v[215:216], 1.0
	v_fma_f64 v[215:216], v[215:216], v[217:218], v[215:216]
	v_div_scale_f64 v[217:218], vcc_lo, 1.0, v[198:199], 1.0
	v_mul_f64 v[219:220], v[217:218], v[215:216]
	v_fma_f64 v[200:201], -v[200:201], v[219:220], v[217:218]
	v_div_fmas_f64 v[200:201], v[200:201], v[215:216], v[219:220]
	v_div_fixup_f64 v[200:201], v[200:201], v[198:199], 1.0
	v_mul_f64 v[198:199], v[213:214], v[200:201]
	v_xor_b32_e32 v201, 0x80000000, v201
.LBB96_196:
	s_andn2_saveexec_b32 s7, s7
	s_cbranch_execz .LBB96_198
; %bb.197:
	v_div_scale_f64 v[213:214], null, v[198:199], v[198:199], v[200:201]
	v_div_scale_f64 v[219:220], vcc_lo, v[200:201], v[198:199], v[200:201]
	v_rcp_f64_e32 v[215:216], v[213:214]
	v_fma_f64 v[217:218], -v[213:214], v[215:216], 1.0
	v_fma_f64 v[215:216], v[215:216], v[217:218], v[215:216]
	v_fma_f64 v[217:218], -v[213:214], v[215:216], 1.0
	v_fma_f64 v[215:216], v[215:216], v[217:218], v[215:216]
	v_mul_f64 v[217:218], v[219:220], v[215:216]
	v_fma_f64 v[213:214], -v[213:214], v[217:218], v[219:220]
	v_div_fmas_f64 v[213:214], v[213:214], v[215:216], v[217:218]
	v_div_fixup_f64 v[213:214], v[213:214], v[198:199], v[200:201]
	v_fma_f64 v[198:199], v[200:201], v[213:214], v[198:199]
	v_div_scale_f64 v[200:201], null, v[198:199], v[198:199], 1.0
	v_rcp_f64_e32 v[215:216], v[200:201]
	v_fma_f64 v[217:218], -v[200:201], v[215:216], 1.0
	v_fma_f64 v[215:216], v[215:216], v[217:218], v[215:216]
	v_fma_f64 v[217:218], -v[200:201], v[215:216], 1.0
	v_fma_f64 v[215:216], v[215:216], v[217:218], v[215:216]
	v_div_scale_f64 v[217:218], vcc_lo, 1.0, v[198:199], 1.0
	v_mul_f64 v[219:220], v[217:218], v[215:216]
	v_fma_f64 v[200:201], -v[200:201], v[219:220], v[217:218]
	v_div_fmas_f64 v[200:201], v[200:201], v[215:216], v[219:220]
	v_div_fixup_f64 v[198:199], v[200:201], v[198:199], 1.0
	v_mul_f64 v[200:201], v[213:214], -v[198:199]
.LBB96_198:
	s_or_b32 exec_lo, exec_lo, s7
.LBB96_199:
	s_or_b32 exec_lo, exec_lo, s0
	s_mov_b32 s0, exec_lo
	v_cmpx_ne_u32_e64 v212, v206
	s_xor_b32 s0, exec_lo, s0
	s_cbranch_execz .LBB96_205
; %bb.200:
	s_mov_b32 s7, exec_lo
	v_cmpx_eq_u32_e32 9, v212
	s_cbranch_execz .LBB96_204
; %bb.201:
	v_cmp_ne_u32_e32 vcc_lo, 9, v206
	s_xor_b32 s8, s16, -1
	s_and_b32 s9, s8, vcc_lo
	s_and_saveexec_b32 s8, s9
	s_cbranch_execz .LBB96_203
; %bb.202:
	v_ashrrev_i32_e32 v207, 31, v206
	v_lshlrev_b64 v[212:213], 2, v[206:207]
	v_add_co_u32 v212, vcc_lo, v204, v212
	v_add_co_ci_u32_e64 v213, null, v205, v213, vcc_lo
	s_clause 0x1
	global_load_dword v0, v[212:213], off
	global_load_dword v207, v[204:205], off offset:36
	s_waitcnt vmcnt(1)
	global_store_dword v[204:205], v0, off offset:36
	s_waitcnt vmcnt(0)
	global_store_dword v[212:213], v207, off
.LBB96_203:
	s_or_b32 exec_lo, exec_lo, s8
	v_mov_b32_e32 v212, v206
	v_mov_b32_e32 v0, v206
.LBB96_204:
	s_or_b32 exec_lo, exec_lo, s7
.LBB96_205:
	s_andn2_saveexec_b32 s0, s0
	s_cbranch_execz .LBB96_207
; %bb.206:
	v_mov_b32_e32 v212, 9
	ds_write2_b64 v1, v[118:119], v[120:121] offset0:20 offset1:21
	ds_write2_b64 v1, v[114:115], v[116:117] offset0:22 offset1:23
	;; [unrolled: 1-line block ×39, first 2 shown]
.LBB96_207:
	s_or_b32 exec_lo, exec_lo, s0
	s_mov_b32 s0, exec_lo
	s_waitcnt lgkmcnt(0)
	s_waitcnt_vscnt null, 0x0
	s_barrier
	buffer_gl0_inv
	v_cmpx_lt_i32_e32 9, v212
	s_cbranch_execz .LBB96_209
; %bb.208:
	v_mul_f64 v[206:207], v[200:201], v[112:113]
	v_mul_f64 v[112:113], v[198:199], v[112:113]
	v_fma_f64 v[206:207], v[198:199], v[110:111], -v[206:207]
	v_fma_f64 v[112:113], v[200:201], v[110:111], v[112:113]
	ds_read2_b64 v[198:201], v1 offset0:20 offset1:21
	s_waitcnt lgkmcnt(0)
	v_mul_f64 v[110:111], v[200:201], v[112:113]
	v_fma_f64 v[110:111], v[198:199], v[206:207], -v[110:111]
	v_mul_f64 v[198:199], v[198:199], v[112:113]
	v_add_f64 v[118:119], v[118:119], -v[110:111]
	v_fma_f64 v[198:199], v[200:201], v[206:207], v[198:199]
	v_add_f64 v[120:121], v[120:121], -v[198:199]
	ds_read2_b64 v[198:201], v1 offset0:22 offset1:23
	s_waitcnt lgkmcnt(0)
	v_mul_f64 v[110:111], v[200:201], v[112:113]
	v_fma_f64 v[110:111], v[198:199], v[206:207], -v[110:111]
	v_mul_f64 v[198:199], v[198:199], v[112:113]
	v_add_f64 v[114:115], v[114:115], -v[110:111]
	v_fma_f64 v[198:199], v[200:201], v[206:207], v[198:199]
	v_add_f64 v[116:117], v[116:117], -v[198:199]
	ds_read2_b64 v[198:201], v1 offset0:24 offset1:25
	s_waitcnt lgkmcnt(0)
	v_mul_f64 v[110:111], v[200:201], v[112:113]
	v_fma_f64 v[110:111], v[198:199], v[206:207], -v[110:111]
	v_mul_f64 v[198:199], v[198:199], v[112:113]
	v_add_f64 v[186:187], v[186:187], -v[110:111]
	v_fma_f64 v[198:199], v[200:201], v[206:207], v[198:199]
	v_add_f64 v[188:189], v[188:189], -v[198:199]
	ds_read2_b64 v[198:201], v1 offset0:26 offset1:27
	s_waitcnt lgkmcnt(0)
	v_mul_f64 v[110:111], v[200:201], v[112:113]
	v_fma_f64 v[110:111], v[198:199], v[206:207], -v[110:111]
	v_mul_f64 v[198:199], v[198:199], v[112:113]
	v_add_f64 v[182:183], v[182:183], -v[110:111]
	v_fma_f64 v[198:199], v[200:201], v[206:207], v[198:199]
	v_add_f64 v[184:185], v[184:185], -v[198:199]
	ds_read2_b64 v[198:201], v1 offset0:28 offset1:29
	s_waitcnt lgkmcnt(0)
	v_mul_f64 v[110:111], v[200:201], v[112:113]
	v_fma_f64 v[110:111], v[198:199], v[206:207], -v[110:111]
	v_mul_f64 v[198:199], v[198:199], v[112:113]
	v_add_f64 v[178:179], v[178:179], -v[110:111]
	v_fma_f64 v[198:199], v[200:201], v[206:207], v[198:199]
	v_add_f64 v[180:181], v[180:181], -v[198:199]
	ds_read2_b64 v[198:201], v1 offset0:30 offset1:31
	s_waitcnt lgkmcnt(0)
	v_mul_f64 v[110:111], v[200:201], v[112:113]
	v_fma_f64 v[110:111], v[198:199], v[206:207], -v[110:111]
	v_mul_f64 v[198:199], v[198:199], v[112:113]
	v_add_f64 v[174:175], v[174:175], -v[110:111]
	v_fma_f64 v[198:199], v[200:201], v[206:207], v[198:199]
	v_add_f64 v[176:177], v[176:177], -v[198:199]
	ds_read2_b64 v[198:201], v1 offset0:32 offset1:33
	s_waitcnt lgkmcnt(0)
	v_mul_f64 v[110:111], v[200:201], v[112:113]
	v_fma_f64 v[110:111], v[198:199], v[206:207], -v[110:111]
	v_mul_f64 v[198:199], v[198:199], v[112:113]
	v_add_f64 v[170:171], v[170:171], -v[110:111]
	v_fma_f64 v[198:199], v[200:201], v[206:207], v[198:199]
	v_add_f64 v[172:173], v[172:173], -v[198:199]
	ds_read2_b64 v[198:201], v1 offset0:34 offset1:35
	s_waitcnt lgkmcnt(0)
	v_mul_f64 v[110:111], v[200:201], v[112:113]
	v_fma_f64 v[110:111], v[198:199], v[206:207], -v[110:111]
	v_mul_f64 v[198:199], v[198:199], v[112:113]
	v_add_f64 v[146:147], v[146:147], -v[110:111]
	v_fma_f64 v[198:199], v[200:201], v[206:207], v[198:199]
	v_add_f64 v[148:149], v[148:149], -v[198:199]
	ds_read2_b64 v[198:201], v1 offset0:36 offset1:37
	s_waitcnt lgkmcnt(0)
	v_mul_f64 v[110:111], v[200:201], v[112:113]
	v_fma_f64 v[110:111], v[198:199], v[206:207], -v[110:111]
	v_mul_f64 v[198:199], v[198:199], v[112:113]
	v_add_f64 v[142:143], v[142:143], -v[110:111]
	v_fma_f64 v[198:199], v[200:201], v[206:207], v[198:199]
	v_add_f64 v[144:145], v[144:145], -v[198:199]
	ds_read2_b64 v[198:201], v1 offset0:38 offset1:39
	s_waitcnt lgkmcnt(0)
	v_mul_f64 v[110:111], v[200:201], v[112:113]
	v_fma_f64 v[110:111], v[198:199], v[206:207], -v[110:111]
	v_mul_f64 v[198:199], v[198:199], v[112:113]
	v_add_f64 v[130:131], v[130:131], -v[110:111]
	v_fma_f64 v[198:199], v[200:201], v[206:207], v[198:199]
	v_add_f64 v[132:133], v[132:133], -v[198:199]
	ds_read2_b64 v[198:201], v1 offset0:40 offset1:41
	s_waitcnt lgkmcnt(0)
	v_mul_f64 v[110:111], v[200:201], v[112:113]
	v_fma_f64 v[110:111], v[198:199], v[206:207], -v[110:111]
	v_mul_f64 v[198:199], v[198:199], v[112:113]
	v_add_f64 v[126:127], v[126:127], -v[110:111]
	v_fma_f64 v[198:199], v[200:201], v[206:207], v[198:199]
	v_add_f64 v[128:129], v[128:129], -v[198:199]
	ds_read2_b64 v[198:201], v1 offset0:42 offset1:43
	s_waitcnt lgkmcnt(0)
	v_mul_f64 v[110:111], v[200:201], v[112:113]
	v_fma_f64 v[110:111], v[198:199], v[206:207], -v[110:111]
	v_mul_f64 v[198:199], v[198:199], v[112:113]
	v_add_f64 v[122:123], v[122:123], -v[110:111]
	v_fma_f64 v[198:199], v[200:201], v[206:207], v[198:199]
	v_add_f64 v[124:125], v[124:125], -v[198:199]
	ds_read2_b64 v[198:201], v1 offset0:44 offset1:45
	s_waitcnt lgkmcnt(0)
	v_mul_f64 v[110:111], v[200:201], v[112:113]
	v_fma_f64 v[110:111], v[198:199], v[206:207], -v[110:111]
	v_mul_f64 v[198:199], v[198:199], v[112:113]
	v_add_f64 v[106:107], v[106:107], -v[110:111]
	v_fma_f64 v[198:199], v[200:201], v[206:207], v[198:199]
	v_add_f64 v[108:109], v[108:109], -v[198:199]
	ds_read2_b64 v[198:201], v1 offset0:46 offset1:47
	s_waitcnt lgkmcnt(0)
	v_mul_f64 v[110:111], v[200:201], v[112:113]
	v_fma_f64 v[110:111], v[198:199], v[206:207], -v[110:111]
	v_mul_f64 v[198:199], v[198:199], v[112:113]
	v_add_f64 v[102:103], v[102:103], -v[110:111]
	v_fma_f64 v[198:199], v[200:201], v[206:207], v[198:199]
	v_add_f64 v[104:105], v[104:105], -v[198:199]
	ds_read2_b64 v[198:201], v1 offset0:48 offset1:49
	s_waitcnt lgkmcnt(0)
	v_mul_f64 v[110:111], v[200:201], v[112:113]
	v_fma_f64 v[110:111], v[198:199], v[206:207], -v[110:111]
	v_mul_f64 v[198:199], v[198:199], v[112:113]
	v_add_f64 v[98:99], v[98:99], -v[110:111]
	v_fma_f64 v[198:199], v[200:201], v[206:207], v[198:199]
	v_add_f64 v[100:101], v[100:101], -v[198:199]
	ds_read2_b64 v[198:201], v1 offset0:50 offset1:51
	s_waitcnt lgkmcnt(0)
	v_mul_f64 v[110:111], v[200:201], v[112:113]
	v_fma_f64 v[110:111], v[198:199], v[206:207], -v[110:111]
	v_mul_f64 v[198:199], v[198:199], v[112:113]
	v_add_f64 v[94:95], v[94:95], -v[110:111]
	v_fma_f64 v[198:199], v[200:201], v[206:207], v[198:199]
	v_add_f64 v[96:97], v[96:97], -v[198:199]
	ds_read2_b64 v[198:201], v1 offset0:52 offset1:53
	s_waitcnt lgkmcnt(0)
	v_mul_f64 v[110:111], v[200:201], v[112:113]
	v_fma_f64 v[110:111], v[198:199], v[206:207], -v[110:111]
	v_mul_f64 v[198:199], v[198:199], v[112:113]
	v_add_f64 v[90:91], v[90:91], -v[110:111]
	v_fma_f64 v[198:199], v[200:201], v[206:207], v[198:199]
	v_add_f64 v[92:93], v[92:93], -v[198:199]
	ds_read2_b64 v[198:201], v1 offset0:54 offset1:55
	s_waitcnt lgkmcnt(0)
	v_mul_f64 v[110:111], v[200:201], v[112:113]
	v_fma_f64 v[110:111], v[198:199], v[206:207], -v[110:111]
	v_mul_f64 v[198:199], v[198:199], v[112:113]
	v_add_f64 v[86:87], v[86:87], -v[110:111]
	v_fma_f64 v[198:199], v[200:201], v[206:207], v[198:199]
	v_add_f64 v[88:89], v[88:89], -v[198:199]
	ds_read2_b64 v[198:201], v1 offset0:56 offset1:57
	s_waitcnt lgkmcnt(0)
	v_mul_f64 v[110:111], v[200:201], v[112:113]
	v_fma_f64 v[110:111], v[198:199], v[206:207], -v[110:111]
	v_mul_f64 v[198:199], v[198:199], v[112:113]
	v_add_f64 v[82:83], v[82:83], -v[110:111]
	v_fma_f64 v[198:199], v[200:201], v[206:207], v[198:199]
	v_add_f64 v[84:85], v[84:85], -v[198:199]
	ds_read2_b64 v[198:201], v1 offset0:58 offset1:59
	s_waitcnt lgkmcnt(0)
	v_mul_f64 v[110:111], v[200:201], v[112:113]
	v_fma_f64 v[110:111], v[198:199], v[206:207], -v[110:111]
	v_mul_f64 v[198:199], v[198:199], v[112:113]
	v_add_f64 v[78:79], v[78:79], -v[110:111]
	v_fma_f64 v[198:199], v[200:201], v[206:207], v[198:199]
	v_add_f64 v[80:81], v[80:81], -v[198:199]
	ds_read2_b64 v[198:201], v1 offset0:60 offset1:61
	s_waitcnt lgkmcnt(0)
	v_mul_f64 v[110:111], v[200:201], v[112:113]
	v_fma_f64 v[110:111], v[198:199], v[206:207], -v[110:111]
	v_mul_f64 v[198:199], v[198:199], v[112:113]
	v_add_f64 v[74:75], v[74:75], -v[110:111]
	v_fma_f64 v[198:199], v[200:201], v[206:207], v[198:199]
	v_add_f64 v[76:77], v[76:77], -v[198:199]
	ds_read2_b64 v[198:201], v1 offset0:62 offset1:63
	s_waitcnt lgkmcnt(0)
	v_mul_f64 v[110:111], v[200:201], v[112:113]
	v_fma_f64 v[110:111], v[198:199], v[206:207], -v[110:111]
	v_mul_f64 v[198:199], v[198:199], v[112:113]
	v_add_f64 v[70:71], v[70:71], -v[110:111]
	v_fma_f64 v[198:199], v[200:201], v[206:207], v[198:199]
	v_add_f64 v[72:73], v[72:73], -v[198:199]
	ds_read2_b64 v[198:201], v1 offset0:64 offset1:65
	s_waitcnt lgkmcnt(0)
	v_mul_f64 v[110:111], v[200:201], v[112:113]
	v_fma_f64 v[110:111], v[198:199], v[206:207], -v[110:111]
	v_mul_f64 v[198:199], v[198:199], v[112:113]
	v_add_f64 v[66:67], v[66:67], -v[110:111]
	v_fma_f64 v[198:199], v[200:201], v[206:207], v[198:199]
	v_add_f64 v[68:69], v[68:69], -v[198:199]
	ds_read2_b64 v[198:201], v1 offset0:66 offset1:67
	s_waitcnt lgkmcnt(0)
	v_mul_f64 v[110:111], v[200:201], v[112:113]
	v_fma_f64 v[110:111], v[198:199], v[206:207], -v[110:111]
	v_mul_f64 v[198:199], v[198:199], v[112:113]
	v_add_f64 v[62:63], v[62:63], -v[110:111]
	v_fma_f64 v[198:199], v[200:201], v[206:207], v[198:199]
	v_add_f64 v[64:65], v[64:65], -v[198:199]
	ds_read2_b64 v[198:201], v1 offset0:68 offset1:69
	s_waitcnt lgkmcnt(0)
	v_mul_f64 v[110:111], v[200:201], v[112:113]
	v_fma_f64 v[110:111], v[198:199], v[206:207], -v[110:111]
	v_mul_f64 v[198:199], v[198:199], v[112:113]
	v_add_f64 v[58:59], v[58:59], -v[110:111]
	v_fma_f64 v[198:199], v[200:201], v[206:207], v[198:199]
	v_add_f64 v[60:61], v[60:61], -v[198:199]
	ds_read2_b64 v[198:201], v1 offset0:70 offset1:71
	s_waitcnt lgkmcnt(0)
	v_mul_f64 v[110:111], v[200:201], v[112:113]
	v_fma_f64 v[110:111], v[198:199], v[206:207], -v[110:111]
	v_mul_f64 v[198:199], v[198:199], v[112:113]
	v_add_f64 v[54:55], v[54:55], -v[110:111]
	v_fma_f64 v[198:199], v[200:201], v[206:207], v[198:199]
	v_add_f64 v[56:57], v[56:57], -v[198:199]
	ds_read2_b64 v[198:201], v1 offset0:72 offset1:73
	s_waitcnt lgkmcnt(0)
	v_mul_f64 v[110:111], v[200:201], v[112:113]
	v_fma_f64 v[110:111], v[198:199], v[206:207], -v[110:111]
	v_mul_f64 v[198:199], v[198:199], v[112:113]
	v_add_f64 v[50:51], v[50:51], -v[110:111]
	v_fma_f64 v[198:199], v[200:201], v[206:207], v[198:199]
	v_add_f64 v[52:53], v[52:53], -v[198:199]
	ds_read2_b64 v[198:201], v1 offset0:74 offset1:75
	s_waitcnt lgkmcnt(0)
	v_mul_f64 v[110:111], v[200:201], v[112:113]
	v_fma_f64 v[110:111], v[198:199], v[206:207], -v[110:111]
	v_mul_f64 v[198:199], v[198:199], v[112:113]
	v_add_f64 v[46:47], v[46:47], -v[110:111]
	v_fma_f64 v[198:199], v[200:201], v[206:207], v[198:199]
	v_add_f64 v[48:49], v[48:49], -v[198:199]
	ds_read2_b64 v[198:201], v1 offset0:76 offset1:77
	s_waitcnt lgkmcnt(0)
	v_mul_f64 v[110:111], v[200:201], v[112:113]
	v_fma_f64 v[110:111], v[198:199], v[206:207], -v[110:111]
	v_mul_f64 v[198:199], v[198:199], v[112:113]
	v_add_f64 v[42:43], v[42:43], -v[110:111]
	v_fma_f64 v[198:199], v[200:201], v[206:207], v[198:199]
	v_add_f64 v[44:45], v[44:45], -v[198:199]
	ds_read2_b64 v[198:201], v1 offset0:78 offset1:79
	s_waitcnt lgkmcnt(0)
	v_mul_f64 v[110:111], v[200:201], v[112:113]
	v_fma_f64 v[110:111], v[198:199], v[206:207], -v[110:111]
	v_mul_f64 v[198:199], v[198:199], v[112:113]
	v_add_f64 v[38:39], v[38:39], -v[110:111]
	v_fma_f64 v[198:199], v[200:201], v[206:207], v[198:199]
	v_add_f64 v[40:41], v[40:41], -v[198:199]
	ds_read2_b64 v[198:201], v1 offset0:80 offset1:81
	s_waitcnt lgkmcnt(0)
	v_mul_f64 v[110:111], v[200:201], v[112:113]
	v_fma_f64 v[110:111], v[198:199], v[206:207], -v[110:111]
	v_mul_f64 v[198:199], v[198:199], v[112:113]
	v_add_f64 v[34:35], v[34:35], -v[110:111]
	v_fma_f64 v[198:199], v[200:201], v[206:207], v[198:199]
	v_add_f64 v[36:37], v[36:37], -v[198:199]
	ds_read2_b64 v[198:201], v1 offset0:82 offset1:83
	s_waitcnt lgkmcnt(0)
	v_mul_f64 v[110:111], v[200:201], v[112:113]
	v_fma_f64 v[110:111], v[198:199], v[206:207], -v[110:111]
	v_mul_f64 v[198:199], v[198:199], v[112:113]
	v_add_f64 v[30:31], v[30:31], -v[110:111]
	v_fma_f64 v[198:199], v[200:201], v[206:207], v[198:199]
	v_add_f64 v[32:33], v[32:33], -v[198:199]
	ds_read2_b64 v[198:201], v1 offset0:84 offset1:85
	s_waitcnt lgkmcnt(0)
	v_mul_f64 v[110:111], v[200:201], v[112:113]
	v_fma_f64 v[110:111], v[198:199], v[206:207], -v[110:111]
	v_mul_f64 v[198:199], v[198:199], v[112:113]
	v_add_f64 v[26:27], v[26:27], -v[110:111]
	v_fma_f64 v[198:199], v[200:201], v[206:207], v[198:199]
	v_add_f64 v[28:29], v[28:29], -v[198:199]
	ds_read2_b64 v[198:201], v1 offset0:86 offset1:87
	s_waitcnt lgkmcnt(0)
	v_mul_f64 v[110:111], v[200:201], v[112:113]
	v_fma_f64 v[110:111], v[198:199], v[206:207], -v[110:111]
	v_mul_f64 v[198:199], v[198:199], v[112:113]
	v_add_f64 v[22:23], v[22:23], -v[110:111]
	v_fma_f64 v[198:199], v[200:201], v[206:207], v[198:199]
	v_add_f64 v[24:25], v[24:25], -v[198:199]
	ds_read2_b64 v[198:201], v1 offset0:88 offset1:89
	s_waitcnt lgkmcnt(0)
	v_mul_f64 v[110:111], v[200:201], v[112:113]
	v_fma_f64 v[110:111], v[198:199], v[206:207], -v[110:111]
	v_mul_f64 v[198:199], v[198:199], v[112:113]
	v_add_f64 v[18:19], v[18:19], -v[110:111]
	v_fma_f64 v[198:199], v[200:201], v[206:207], v[198:199]
	v_add_f64 v[20:21], v[20:21], -v[198:199]
	ds_read2_b64 v[198:201], v1 offset0:90 offset1:91
	s_waitcnt lgkmcnt(0)
	v_mul_f64 v[110:111], v[200:201], v[112:113]
	v_fma_f64 v[110:111], v[198:199], v[206:207], -v[110:111]
	v_mul_f64 v[198:199], v[198:199], v[112:113]
	v_add_f64 v[14:15], v[14:15], -v[110:111]
	v_fma_f64 v[198:199], v[200:201], v[206:207], v[198:199]
	v_add_f64 v[16:17], v[16:17], -v[198:199]
	ds_read2_b64 v[198:201], v1 offset0:92 offset1:93
	s_waitcnt lgkmcnt(0)
	v_mul_f64 v[110:111], v[200:201], v[112:113]
	v_fma_f64 v[110:111], v[198:199], v[206:207], -v[110:111]
	v_mul_f64 v[198:199], v[198:199], v[112:113]
	v_add_f64 v[10:11], v[10:11], -v[110:111]
	v_fma_f64 v[198:199], v[200:201], v[206:207], v[198:199]
	v_add_f64 v[12:13], v[12:13], -v[198:199]
	ds_read2_b64 v[198:201], v1 offset0:94 offset1:95
	s_waitcnt lgkmcnt(0)
	v_mul_f64 v[110:111], v[200:201], v[112:113]
	v_fma_f64 v[110:111], v[198:199], v[206:207], -v[110:111]
	v_mul_f64 v[198:199], v[198:199], v[112:113]
	v_add_f64 v[6:7], v[6:7], -v[110:111]
	v_fma_f64 v[198:199], v[200:201], v[206:207], v[198:199]
	v_add_f64 v[8:9], v[8:9], -v[198:199]
	ds_read2_b64 v[198:201], v1 offset0:96 offset1:97
	s_waitcnt lgkmcnt(0)
	v_mul_f64 v[110:111], v[200:201], v[112:113]
	v_fma_f64 v[110:111], v[198:199], v[206:207], -v[110:111]
	v_mul_f64 v[198:199], v[198:199], v[112:113]
	v_add_f64 v[2:3], v[2:3], -v[110:111]
	v_fma_f64 v[198:199], v[200:201], v[206:207], v[198:199]
	v_mov_b32_e32 v110, v206
	v_mov_b32_e32 v111, v207
	v_add_f64 v[4:5], v[4:5], -v[198:199]
.LBB96_209:
	s_or_b32 exec_lo, exec_lo, s0
	v_lshl_add_u32 v198, v212, 4, v1
	s_barrier
	buffer_gl0_inv
	v_mov_b32_e32 v206, 10
	ds_write2_b64 v198, v[118:119], v[120:121] offset1:1
	s_waitcnt lgkmcnt(0)
	s_barrier
	buffer_gl0_inv
	ds_read2_b64 v[198:201], v1 offset0:20 offset1:21
	s_cmp_lt_i32 s1, 12
	s_cbranch_scc1 .LBB96_212
; %bb.210:
	v_add3_u32 v207, v208, 0, 0xb0
	v_mov_b32_e32 v206, 10
	s_mov_b32 s7, 11
	s_inst_prefetch 0x1
	.p2align	6
.LBB96_211:                             ; =>This Inner Loop Header: Depth=1
	s_waitcnt lgkmcnt(0)
	v_cmp_gt_f64_e32 vcc_lo, 0, v[200:201]
	v_cmp_gt_f64_e64 s0, 0, v[198:199]
	ds_read2_b64 v[213:216], v207 offset1:1
	v_xor_b32_e32 v218, 0x80000000, v199
	v_xor_b32_e32 v220, 0x80000000, v201
	v_mov_b32_e32 v217, v198
	v_mov_b32_e32 v219, v200
	v_add_nc_u32_e32 v207, 16, v207
	s_waitcnt lgkmcnt(0)
	v_xor_b32_e32 v222, 0x80000000, v216
	v_cndmask_b32_e64 v218, v199, v218, s0
	v_cndmask_b32_e32 v220, v201, v220, vcc_lo
	v_cmp_gt_f64_e32 vcc_lo, 0, v[215:216]
	v_cmp_gt_f64_e64 s0, 0, v[213:214]
	v_mov_b32_e32 v221, v215
	v_add_f64 v[217:218], v[217:218], v[219:220]
	v_xor_b32_e32 v220, 0x80000000, v214
	v_mov_b32_e32 v219, v213
	v_cndmask_b32_e32 v222, v216, v222, vcc_lo
	v_cndmask_b32_e64 v220, v214, v220, s0
	v_add_f64 v[219:220], v[219:220], v[221:222]
	v_cmp_lt_f64_e32 vcc_lo, v[217:218], v[219:220]
	v_cndmask_b32_e32 v199, v199, v214, vcc_lo
	v_cndmask_b32_e32 v198, v198, v213, vcc_lo
	;; [unrolled: 1-line block ×4, first 2 shown]
	v_cndmask_b32_e64 v206, v206, s7, vcc_lo
	s_add_i32 s7, s7, 1
	s_cmp_lg_u32 s1, s7
	s_cbranch_scc1 .LBB96_211
.LBB96_212:
	s_inst_prefetch 0x2
	s_waitcnt lgkmcnt(0)
	v_cmp_eq_f64_e32 vcc_lo, 0, v[198:199]
	v_cmp_eq_f64_e64 s0, 0, v[200:201]
	s_and_b32 s0, vcc_lo, s0
	s_and_saveexec_b32 s7, s0
	s_xor_b32 s0, exec_lo, s7
; %bb.213:
	v_cmp_ne_u32_e32 vcc_lo, 0, v211
	v_cndmask_b32_e32 v211, 11, v211, vcc_lo
; %bb.214:
	s_andn2_saveexec_b32 s0, s0
	s_cbranch_execz .LBB96_220
; %bb.215:
	v_cmp_ngt_f64_e64 s7, |v[198:199]|, |v[200:201]|
	s_and_saveexec_b32 s8, s7
	s_xor_b32 s7, exec_lo, s8
	s_cbranch_execz .LBB96_217
; %bb.216:
	v_div_scale_f64 v[213:214], null, v[200:201], v[200:201], v[198:199]
	v_div_scale_f64 v[219:220], vcc_lo, v[198:199], v[200:201], v[198:199]
	v_rcp_f64_e32 v[215:216], v[213:214]
	v_fma_f64 v[217:218], -v[213:214], v[215:216], 1.0
	v_fma_f64 v[215:216], v[215:216], v[217:218], v[215:216]
	v_fma_f64 v[217:218], -v[213:214], v[215:216], 1.0
	v_fma_f64 v[215:216], v[215:216], v[217:218], v[215:216]
	v_mul_f64 v[217:218], v[219:220], v[215:216]
	v_fma_f64 v[213:214], -v[213:214], v[217:218], v[219:220]
	v_div_fmas_f64 v[213:214], v[213:214], v[215:216], v[217:218]
	v_div_fixup_f64 v[213:214], v[213:214], v[200:201], v[198:199]
	v_fma_f64 v[198:199], v[198:199], v[213:214], v[200:201]
	v_div_scale_f64 v[200:201], null, v[198:199], v[198:199], 1.0
	v_rcp_f64_e32 v[215:216], v[200:201]
	v_fma_f64 v[217:218], -v[200:201], v[215:216], 1.0
	v_fma_f64 v[215:216], v[215:216], v[217:218], v[215:216]
	v_fma_f64 v[217:218], -v[200:201], v[215:216], 1.0
	v_fma_f64 v[215:216], v[215:216], v[217:218], v[215:216]
	v_div_scale_f64 v[217:218], vcc_lo, 1.0, v[198:199], 1.0
	v_mul_f64 v[219:220], v[217:218], v[215:216]
	v_fma_f64 v[200:201], -v[200:201], v[219:220], v[217:218]
	v_div_fmas_f64 v[200:201], v[200:201], v[215:216], v[219:220]
	v_div_fixup_f64 v[200:201], v[200:201], v[198:199], 1.0
	v_mul_f64 v[198:199], v[213:214], v[200:201]
	v_xor_b32_e32 v201, 0x80000000, v201
.LBB96_217:
	s_andn2_saveexec_b32 s7, s7
	s_cbranch_execz .LBB96_219
; %bb.218:
	v_div_scale_f64 v[213:214], null, v[198:199], v[198:199], v[200:201]
	v_div_scale_f64 v[219:220], vcc_lo, v[200:201], v[198:199], v[200:201]
	v_rcp_f64_e32 v[215:216], v[213:214]
	v_fma_f64 v[217:218], -v[213:214], v[215:216], 1.0
	v_fma_f64 v[215:216], v[215:216], v[217:218], v[215:216]
	v_fma_f64 v[217:218], -v[213:214], v[215:216], 1.0
	v_fma_f64 v[215:216], v[215:216], v[217:218], v[215:216]
	v_mul_f64 v[217:218], v[219:220], v[215:216]
	v_fma_f64 v[213:214], -v[213:214], v[217:218], v[219:220]
	v_div_fmas_f64 v[213:214], v[213:214], v[215:216], v[217:218]
	v_div_fixup_f64 v[213:214], v[213:214], v[198:199], v[200:201]
	v_fma_f64 v[198:199], v[200:201], v[213:214], v[198:199]
	v_div_scale_f64 v[200:201], null, v[198:199], v[198:199], 1.0
	v_rcp_f64_e32 v[215:216], v[200:201]
	v_fma_f64 v[217:218], -v[200:201], v[215:216], 1.0
	v_fma_f64 v[215:216], v[215:216], v[217:218], v[215:216]
	v_fma_f64 v[217:218], -v[200:201], v[215:216], 1.0
	v_fma_f64 v[215:216], v[215:216], v[217:218], v[215:216]
	v_div_scale_f64 v[217:218], vcc_lo, 1.0, v[198:199], 1.0
	v_mul_f64 v[219:220], v[217:218], v[215:216]
	v_fma_f64 v[200:201], -v[200:201], v[219:220], v[217:218]
	v_div_fmas_f64 v[200:201], v[200:201], v[215:216], v[219:220]
	v_div_fixup_f64 v[198:199], v[200:201], v[198:199], 1.0
	v_mul_f64 v[200:201], v[213:214], -v[198:199]
.LBB96_219:
	s_or_b32 exec_lo, exec_lo, s7
.LBB96_220:
	s_or_b32 exec_lo, exec_lo, s0
	s_mov_b32 s0, exec_lo
	v_cmpx_ne_u32_e64 v212, v206
	s_xor_b32 s0, exec_lo, s0
	s_cbranch_execz .LBB96_226
; %bb.221:
	s_mov_b32 s7, exec_lo
	v_cmpx_eq_u32_e32 10, v212
	s_cbranch_execz .LBB96_225
; %bb.222:
	v_cmp_ne_u32_e32 vcc_lo, 10, v206
	s_xor_b32 s8, s16, -1
	s_and_b32 s9, s8, vcc_lo
	s_and_saveexec_b32 s8, s9
	s_cbranch_execz .LBB96_224
; %bb.223:
	v_ashrrev_i32_e32 v207, 31, v206
	v_lshlrev_b64 v[212:213], 2, v[206:207]
	v_add_co_u32 v212, vcc_lo, v204, v212
	v_add_co_ci_u32_e64 v213, null, v205, v213, vcc_lo
	s_clause 0x1
	global_load_dword v0, v[212:213], off
	global_load_dword v207, v[204:205], off offset:40
	s_waitcnt vmcnt(1)
	global_store_dword v[204:205], v0, off offset:40
	s_waitcnt vmcnt(0)
	global_store_dword v[212:213], v207, off
.LBB96_224:
	s_or_b32 exec_lo, exec_lo, s8
	v_mov_b32_e32 v212, v206
	v_mov_b32_e32 v0, v206
.LBB96_225:
	s_or_b32 exec_lo, exec_lo, s7
.LBB96_226:
	s_andn2_saveexec_b32 s0, s0
	s_cbranch_execz .LBB96_228
; %bb.227:
	v_mov_b32_e32 v212, 10
	ds_write2_b64 v1, v[114:115], v[116:117] offset0:22 offset1:23
	ds_write2_b64 v1, v[186:187], v[188:189] offset0:24 offset1:25
	;; [unrolled: 1-line block ×38, first 2 shown]
.LBB96_228:
	s_or_b32 exec_lo, exec_lo, s0
	s_mov_b32 s0, exec_lo
	s_waitcnt lgkmcnt(0)
	s_waitcnt_vscnt null, 0x0
	s_barrier
	buffer_gl0_inv
	v_cmpx_lt_i32_e32 10, v212
	s_cbranch_execz .LBB96_230
; %bb.229:
	v_mul_f64 v[206:207], v[200:201], v[120:121]
	v_mul_f64 v[120:121], v[198:199], v[120:121]
	v_fma_f64 v[206:207], v[198:199], v[118:119], -v[206:207]
	v_fma_f64 v[120:121], v[200:201], v[118:119], v[120:121]
	ds_read2_b64 v[198:201], v1 offset0:22 offset1:23
	s_waitcnt lgkmcnt(0)
	v_mul_f64 v[118:119], v[200:201], v[120:121]
	v_fma_f64 v[118:119], v[198:199], v[206:207], -v[118:119]
	v_mul_f64 v[198:199], v[198:199], v[120:121]
	v_add_f64 v[114:115], v[114:115], -v[118:119]
	v_fma_f64 v[198:199], v[200:201], v[206:207], v[198:199]
	v_add_f64 v[116:117], v[116:117], -v[198:199]
	ds_read2_b64 v[198:201], v1 offset0:24 offset1:25
	s_waitcnt lgkmcnt(0)
	v_mul_f64 v[118:119], v[200:201], v[120:121]
	v_fma_f64 v[118:119], v[198:199], v[206:207], -v[118:119]
	v_mul_f64 v[198:199], v[198:199], v[120:121]
	v_add_f64 v[186:187], v[186:187], -v[118:119]
	v_fma_f64 v[198:199], v[200:201], v[206:207], v[198:199]
	v_add_f64 v[188:189], v[188:189], -v[198:199]
	;; [unrolled: 8-line block ×37, first 2 shown]
	ds_read2_b64 v[198:201], v1 offset0:96 offset1:97
	s_waitcnt lgkmcnt(0)
	v_mul_f64 v[118:119], v[200:201], v[120:121]
	v_fma_f64 v[118:119], v[198:199], v[206:207], -v[118:119]
	v_mul_f64 v[198:199], v[198:199], v[120:121]
	v_add_f64 v[2:3], v[2:3], -v[118:119]
	v_fma_f64 v[198:199], v[200:201], v[206:207], v[198:199]
	v_mov_b32_e32 v118, v206
	v_mov_b32_e32 v119, v207
	v_add_f64 v[4:5], v[4:5], -v[198:199]
.LBB96_230:
	s_or_b32 exec_lo, exec_lo, s0
	v_lshl_add_u32 v198, v212, 4, v1
	s_barrier
	buffer_gl0_inv
	v_mov_b32_e32 v206, 11
	ds_write2_b64 v198, v[114:115], v[116:117] offset1:1
	s_waitcnt lgkmcnt(0)
	s_barrier
	buffer_gl0_inv
	ds_read2_b64 v[198:201], v1 offset0:22 offset1:23
	s_cmp_lt_i32 s1, 13
	s_cbranch_scc1 .LBB96_233
; %bb.231:
	v_add3_u32 v207, v208, 0, 0xc0
	v_mov_b32_e32 v206, 11
	s_mov_b32 s7, 12
	s_inst_prefetch 0x1
	.p2align	6
.LBB96_232:                             ; =>This Inner Loop Header: Depth=1
	s_waitcnt lgkmcnt(0)
	v_cmp_gt_f64_e32 vcc_lo, 0, v[200:201]
	v_cmp_gt_f64_e64 s0, 0, v[198:199]
	ds_read2_b64 v[213:216], v207 offset1:1
	v_xor_b32_e32 v218, 0x80000000, v199
	v_xor_b32_e32 v220, 0x80000000, v201
	v_mov_b32_e32 v217, v198
	v_mov_b32_e32 v219, v200
	v_add_nc_u32_e32 v207, 16, v207
	s_waitcnt lgkmcnt(0)
	v_xor_b32_e32 v222, 0x80000000, v216
	v_cndmask_b32_e64 v218, v199, v218, s0
	v_cndmask_b32_e32 v220, v201, v220, vcc_lo
	v_cmp_gt_f64_e32 vcc_lo, 0, v[215:216]
	v_cmp_gt_f64_e64 s0, 0, v[213:214]
	v_mov_b32_e32 v221, v215
	v_add_f64 v[217:218], v[217:218], v[219:220]
	v_xor_b32_e32 v220, 0x80000000, v214
	v_mov_b32_e32 v219, v213
	v_cndmask_b32_e32 v222, v216, v222, vcc_lo
	v_cndmask_b32_e64 v220, v214, v220, s0
	v_add_f64 v[219:220], v[219:220], v[221:222]
	v_cmp_lt_f64_e32 vcc_lo, v[217:218], v[219:220]
	v_cndmask_b32_e32 v199, v199, v214, vcc_lo
	v_cndmask_b32_e32 v198, v198, v213, vcc_lo
	;; [unrolled: 1-line block ×4, first 2 shown]
	v_cndmask_b32_e64 v206, v206, s7, vcc_lo
	s_add_i32 s7, s7, 1
	s_cmp_lg_u32 s1, s7
	s_cbranch_scc1 .LBB96_232
.LBB96_233:
	s_inst_prefetch 0x2
	s_waitcnt lgkmcnt(0)
	v_cmp_eq_f64_e32 vcc_lo, 0, v[198:199]
	v_cmp_eq_f64_e64 s0, 0, v[200:201]
	s_and_b32 s0, vcc_lo, s0
	s_and_saveexec_b32 s7, s0
	s_xor_b32 s0, exec_lo, s7
; %bb.234:
	v_cmp_ne_u32_e32 vcc_lo, 0, v211
	v_cndmask_b32_e32 v211, 12, v211, vcc_lo
; %bb.235:
	s_andn2_saveexec_b32 s0, s0
	s_cbranch_execz .LBB96_241
; %bb.236:
	v_cmp_ngt_f64_e64 s7, |v[198:199]|, |v[200:201]|
	s_and_saveexec_b32 s8, s7
	s_xor_b32 s7, exec_lo, s8
	s_cbranch_execz .LBB96_238
; %bb.237:
	v_div_scale_f64 v[213:214], null, v[200:201], v[200:201], v[198:199]
	v_div_scale_f64 v[219:220], vcc_lo, v[198:199], v[200:201], v[198:199]
	v_rcp_f64_e32 v[215:216], v[213:214]
	v_fma_f64 v[217:218], -v[213:214], v[215:216], 1.0
	v_fma_f64 v[215:216], v[215:216], v[217:218], v[215:216]
	v_fma_f64 v[217:218], -v[213:214], v[215:216], 1.0
	v_fma_f64 v[215:216], v[215:216], v[217:218], v[215:216]
	v_mul_f64 v[217:218], v[219:220], v[215:216]
	v_fma_f64 v[213:214], -v[213:214], v[217:218], v[219:220]
	v_div_fmas_f64 v[213:214], v[213:214], v[215:216], v[217:218]
	v_div_fixup_f64 v[213:214], v[213:214], v[200:201], v[198:199]
	v_fma_f64 v[198:199], v[198:199], v[213:214], v[200:201]
	v_div_scale_f64 v[200:201], null, v[198:199], v[198:199], 1.0
	v_rcp_f64_e32 v[215:216], v[200:201]
	v_fma_f64 v[217:218], -v[200:201], v[215:216], 1.0
	v_fma_f64 v[215:216], v[215:216], v[217:218], v[215:216]
	v_fma_f64 v[217:218], -v[200:201], v[215:216], 1.0
	v_fma_f64 v[215:216], v[215:216], v[217:218], v[215:216]
	v_div_scale_f64 v[217:218], vcc_lo, 1.0, v[198:199], 1.0
	v_mul_f64 v[219:220], v[217:218], v[215:216]
	v_fma_f64 v[200:201], -v[200:201], v[219:220], v[217:218]
	v_div_fmas_f64 v[200:201], v[200:201], v[215:216], v[219:220]
	v_div_fixup_f64 v[200:201], v[200:201], v[198:199], 1.0
	v_mul_f64 v[198:199], v[213:214], v[200:201]
	v_xor_b32_e32 v201, 0x80000000, v201
.LBB96_238:
	s_andn2_saveexec_b32 s7, s7
	s_cbranch_execz .LBB96_240
; %bb.239:
	v_div_scale_f64 v[213:214], null, v[198:199], v[198:199], v[200:201]
	v_div_scale_f64 v[219:220], vcc_lo, v[200:201], v[198:199], v[200:201]
	v_rcp_f64_e32 v[215:216], v[213:214]
	v_fma_f64 v[217:218], -v[213:214], v[215:216], 1.0
	v_fma_f64 v[215:216], v[215:216], v[217:218], v[215:216]
	v_fma_f64 v[217:218], -v[213:214], v[215:216], 1.0
	v_fma_f64 v[215:216], v[215:216], v[217:218], v[215:216]
	v_mul_f64 v[217:218], v[219:220], v[215:216]
	v_fma_f64 v[213:214], -v[213:214], v[217:218], v[219:220]
	v_div_fmas_f64 v[213:214], v[213:214], v[215:216], v[217:218]
	v_div_fixup_f64 v[213:214], v[213:214], v[198:199], v[200:201]
	v_fma_f64 v[198:199], v[200:201], v[213:214], v[198:199]
	v_div_scale_f64 v[200:201], null, v[198:199], v[198:199], 1.0
	v_rcp_f64_e32 v[215:216], v[200:201]
	v_fma_f64 v[217:218], -v[200:201], v[215:216], 1.0
	v_fma_f64 v[215:216], v[215:216], v[217:218], v[215:216]
	v_fma_f64 v[217:218], -v[200:201], v[215:216], 1.0
	v_fma_f64 v[215:216], v[215:216], v[217:218], v[215:216]
	v_div_scale_f64 v[217:218], vcc_lo, 1.0, v[198:199], 1.0
	v_mul_f64 v[219:220], v[217:218], v[215:216]
	v_fma_f64 v[200:201], -v[200:201], v[219:220], v[217:218]
	v_div_fmas_f64 v[200:201], v[200:201], v[215:216], v[219:220]
	v_div_fixup_f64 v[198:199], v[200:201], v[198:199], 1.0
	v_mul_f64 v[200:201], v[213:214], -v[198:199]
.LBB96_240:
	s_or_b32 exec_lo, exec_lo, s7
.LBB96_241:
	s_or_b32 exec_lo, exec_lo, s0
	s_mov_b32 s0, exec_lo
	v_cmpx_ne_u32_e64 v212, v206
	s_xor_b32 s0, exec_lo, s0
	s_cbranch_execz .LBB96_247
; %bb.242:
	s_mov_b32 s7, exec_lo
	v_cmpx_eq_u32_e32 11, v212
	s_cbranch_execz .LBB96_246
; %bb.243:
	v_cmp_ne_u32_e32 vcc_lo, 11, v206
	s_xor_b32 s8, s16, -1
	s_and_b32 s9, s8, vcc_lo
	s_and_saveexec_b32 s8, s9
	s_cbranch_execz .LBB96_245
; %bb.244:
	v_ashrrev_i32_e32 v207, 31, v206
	v_lshlrev_b64 v[212:213], 2, v[206:207]
	v_add_co_u32 v212, vcc_lo, v204, v212
	v_add_co_ci_u32_e64 v213, null, v205, v213, vcc_lo
	s_clause 0x1
	global_load_dword v0, v[212:213], off
	global_load_dword v207, v[204:205], off offset:44
	s_waitcnt vmcnt(1)
	global_store_dword v[204:205], v0, off offset:44
	s_waitcnt vmcnt(0)
	global_store_dword v[212:213], v207, off
.LBB96_245:
	s_or_b32 exec_lo, exec_lo, s8
	v_mov_b32_e32 v212, v206
	v_mov_b32_e32 v0, v206
.LBB96_246:
	s_or_b32 exec_lo, exec_lo, s7
.LBB96_247:
	s_andn2_saveexec_b32 s0, s0
	s_cbranch_execz .LBB96_249
; %bb.248:
	v_mov_b32_e32 v212, 11
	ds_write2_b64 v1, v[186:187], v[188:189] offset0:24 offset1:25
	ds_write2_b64 v1, v[182:183], v[184:185] offset0:26 offset1:27
	;; [unrolled: 1-line block ×37, first 2 shown]
.LBB96_249:
	s_or_b32 exec_lo, exec_lo, s0
	s_mov_b32 s0, exec_lo
	s_waitcnt lgkmcnt(0)
	s_waitcnt_vscnt null, 0x0
	s_barrier
	buffer_gl0_inv
	v_cmpx_lt_i32_e32 11, v212
	s_cbranch_execz .LBB96_251
; %bb.250:
	v_mul_f64 v[206:207], v[200:201], v[116:117]
	v_mul_f64 v[116:117], v[198:199], v[116:117]
	v_fma_f64 v[206:207], v[198:199], v[114:115], -v[206:207]
	v_fma_f64 v[116:117], v[200:201], v[114:115], v[116:117]
	ds_read2_b64 v[198:201], v1 offset0:24 offset1:25
	s_waitcnt lgkmcnt(0)
	v_mul_f64 v[114:115], v[200:201], v[116:117]
	v_fma_f64 v[114:115], v[198:199], v[206:207], -v[114:115]
	v_mul_f64 v[198:199], v[198:199], v[116:117]
	v_add_f64 v[186:187], v[186:187], -v[114:115]
	v_fma_f64 v[198:199], v[200:201], v[206:207], v[198:199]
	v_add_f64 v[188:189], v[188:189], -v[198:199]
	ds_read2_b64 v[198:201], v1 offset0:26 offset1:27
	s_waitcnt lgkmcnt(0)
	v_mul_f64 v[114:115], v[200:201], v[116:117]
	v_fma_f64 v[114:115], v[198:199], v[206:207], -v[114:115]
	v_mul_f64 v[198:199], v[198:199], v[116:117]
	v_add_f64 v[182:183], v[182:183], -v[114:115]
	v_fma_f64 v[198:199], v[200:201], v[206:207], v[198:199]
	v_add_f64 v[184:185], v[184:185], -v[198:199]
	;; [unrolled: 8-line block ×36, first 2 shown]
	ds_read2_b64 v[198:201], v1 offset0:96 offset1:97
	s_waitcnt lgkmcnt(0)
	v_mul_f64 v[114:115], v[200:201], v[116:117]
	v_fma_f64 v[114:115], v[198:199], v[206:207], -v[114:115]
	v_mul_f64 v[198:199], v[198:199], v[116:117]
	v_add_f64 v[2:3], v[2:3], -v[114:115]
	v_fma_f64 v[198:199], v[200:201], v[206:207], v[198:199]
	v_mov_b32_e32 v114, v206
	v_mov_b32_e32 v115, v207
	v_add_f64 v[4:5], v[4:5], -v[198:199]
.LBB96_251:
	s_or_b32 exec_lo, exec_lo, s0
	v_lshl_add_u32 v198, v212, 4, v1
	s_barrier
	buffer_gl0_inv
	v_mov_b32_e32 v206, 12
	ds_write2_b64 v198, v[186:187], v[188:189] offset1:1
	s_waitcnt lgkmcnt(0)
	s_barrier
	buffer_gl0_inv
	ds_read2_b64 v[198:201], v1 offset0:24 offset1:25
	s_cmp_lt_i32 s1, 14
	s_cbranch_scc1 .LBB96_254
; %bb.252:
	v_add3_u32 v207, v208, 0, 0xd0
	v_mov_b32_e32 v206, 12
	s_mov_b32 s7, 13
	s_inst_prefetch 0x1
	.p2align	6
.LBB96_253:                             ; =>This Inner Loop Header: Depth=1
	s_waitcnt lgkmcnt(0)
	v_cmp_gt_f64_e32 vcc_lo, 0, v[200:201]
	v_cmp_gt_f64_e64 s0, 0, v[198:199]
	ds_read2_b64 v[213:216], v207 offset1:1
	v_xor_b32_e32 v218, 0x80000000, v199
	v_xor_b32_e32 v220, 0x80000000, v201
	v_mov_b32_e32 v217, v198
	v_mov_b32_e32 v219, v200
	v_add_nc_u32_e32 v207, 16, v207
	s_waitcnt lgkmcnt(0)
	v_xor_b32_e32 v222, 0x80000000, v216
	v_cndmask_b32_e64 v218, v199, v218, s0
	v_cndmask_b32_e32 v220, v201, v220, vcc_lo
	v_cmp_gt_f64_e32 vcc_lo, 0, v[215:216]
	v_cmp_gt_f64_e64 s0, 0, v[213:214]
	v_mov_b32_e32 v221, v215
	v_add_f64 v[217:218], v[217:218], v[219:220]
	v_xor_b32_e32 v220, 0x80000000, v214
	v_mov_b32_e32 v219, v213
	v_cndmask_b32_e32 v222, v216, v222, vcc_lo
	v_cndmask_b32_e64 v220, v214, v220, s0
	v_add_f64 v[219:220], v[219:220], v[221:222]
	v_cmp_lt_f64_e32 vcc_lo, v[217:218], v[219:220]
	v_cndmask_b32_e32 v199, v199, v214, vcc_lo
	v_cndmask_b32_e32 v198, v198, v213, vcc_lo
	v_cndmask_b32_e32 v201, v201, v216, vcc_lo
	v_cndmask_b32_e32 v200, v200, v215, vcc_lo
	v_cndmask_b32_e64 v206, v206, s7, vcc_lo
	s_add_i32 s7, s7, 1
	s_cmp_lg_u32 s1, s7
	s_cbranch_scc1 .LBB96_253
.LBB96_254:
	s_inst_prefetch 0x2
	s_waitcnt lgkmcnt(0)
	v_cmp_eq_f64_e32 vcc_lo, 0, v[198:199]
	v_cmp_eq_f64_e64 s0, 0, v[200:201]
	s_and_b32 s0, vcc_lo, s0
	s_and_saveexec_b32 s7, s0
	s_xor_b32 s0, exec_lo, s7
; %bb.255:
	v_cmp_ne_u32_e32 vcc_lo, 0, v211
	v_cndmask_b32_e32 v211, 13, v211, vcc_lo
; %bb.256:
	s_andn2_saveexec_b32 s0, s0
	s_cbranch_execz .LBB96_262
; %bb.257:
	v_cmp_ngt_f64_e64 s7, |v[198:199]|, |v[200:201]|
	s_and_saveexec_b32 s8, s7
	s_xor_b32 s7, exec_lo, s8
	s_cbranch_execz .LBB96_259
; %bb.258:
	v_div_scale_f64 v[213:214], null, v[200:201], v[200:201], v[198:199]
	v_div_scale_f64 v[219:220], vcc_lo, v[198:199], v[200:201], v[198:199]
	v_rcp_f64_e32 v[215:216], v[213:214]
	v_fma_f64 v[217:218], -v[213:214], v[215:216], 1.0
	v_fma_f64 v[215:216], v[215:216], v[217:218], v[215:216]
	v_fma_f64 v[217:218], -v[213:214], v[215:216], 1.0
	v_fma_f64 v[215:216], v[215:216], v[217:218], v[215:216]
	v_mul_f64 v[217:218], v[219:220], v[215:216]
	v_fma_f64 v[213:214], -v[213:214], v[217:218], v[219:220]
	v_div_fmas_f64 v[213:214], v[213:214], v[215:216], v[217:218]
	v_div_fixup_f64 v[213:214], v[213:214], v[200:201], v[198:199]
	v_fma_f64 v[198:199], v[198:199], v[213:214], v[200:201]
	v_div_scale_f64 v[200:201], null, v[198:199], v[198:199], 1.0
	v_rcp_f64_e32 v[215:216], v[200:201]
	v_fma_f64 v[217:218], -v[200:201], v[215:216], 1.0
	v_fma_f64 v[215:216], v[215:216], v[217:218], v[215:216]
	v_fma_f64 v[217:218], -v[200:201], v[215:216], 1.0
	v_fma_f64 v[215:216], v[215:216], v[217:218], v[215:216]
	v_div_scale_f64 v[217:218], vcc_lo, 1.0, v[198:199], 1.0
	v_mul_f64 v[219:220], v[217:218], v[215:216]
	v_fma_f64 v[200:201], -v[200:201], v[219:220], v[217:218]
	v_div_fmas_f64 v[200:201], v[200:201], v[215:216], v[219:220]
	v_div_fixup_f64 v[200:201], v[200:201], v[198:199], 1.0
	v_mul_f64 v[198:199], v[213:214], v[200:201]
	v_xor_b32_e32 v201, 0x80000000, v201
.LBB96_259:
	s_andn2_saveexec_b32 s7, s7
	s_cbranch_execz .LBB96_261
; %bb.260:
	v_div_scale_f64 v[213:214], null, v[198:199], v[198:199], v[200:201]
	v_div_scale_f64 v[219:220], vcc_lo, v[200:201], v[198:199], v[200:201]
	v_rcp_f64_e32 v[215:216], v[213:214]
	v_fma_f64 v[217:218], -v[213:214], v[215:216], 1.0
	v_fma_f64 v[215:216], v[215:216], v[217:218], v[215:216]
	v_fma_f64 v[217:218], -v[213:214], v[215:216], 1.0
	v_fma_f64 v[215:216], v[215:216], v[217:218], v[215:216]
	v_mul_f64 v[217:218], v[219:220], v[215:216]
	v_fma_f64 v[213:214], -v[213:214], v[217:218], v[219:220]
	v_div_fmas_f64 v[213:214], v[213:214], v[215:216], v[217:218]
	v_div_fixup_f64 v[213:214], v[213:214], v[198:199], v[200:201]
	v_fma_f64 v[198:199], v[200:201], v[213:214], v[198:199]
	v_div_scale_f64 v[200:201], null, v[198:199], v[198:199], 1.0
	v_rcp_f64_e32 v[215:216], v[200:201]
	v_fma_f64 v[217:218], -v[200:201], v[215:216], 1.0
	v_fma_f64 v[215:216], v[215:216], v[217:218], v[215:216]
	v_fma_f64 v[217:218], -v[200:201], v[215:216], 1.0
	v_fma_f64 v[215:216], v[215:216], v[217:218], v[215:216]
	v_div_scale_f64 v[217:218], vcc_lo, 1.0, v[198:199], 1.0
	v_mul_f64 v[219:220], v[217:218], v[215:216]
	v_fma_f64 v[200:201], -v[200:201], v[219:220], v[217:218]
	v_div_fmas_f64 v[200:201], v[200:201], v[215:216], v[219:220]
	v_div_fixup_f64 v[198:199], v[200:201], v[198:199], 1.0
	v_mul_f64 v[200:201], v[213:214], -v[198:199]
.LBB96_261:
	s_or_b32 exec_lo, exec_lo, s7
.LBB96_262:
	s_or_b32 exec_lo, exec_lo, s0
	s_mov_b32 s0, exec_lo
	v_cmpx_ne_u32_e64 v212, v206
	s_xor_b32 s0, exec_lo, s0
	s_cbranch_execz .LBB96_268
; %bb.263:
	s_mov_b32 s7, exec_lo
	v_cmpx_eq_u32_e32 12, v212
	s_cbranch_execz .LBB96_267
; %bb.264:
	v_cmp_ne_u32_e32 vcc_lo, 12, v206
	s_xor_b32 s8, s16, -1
	s_and_b32 s9, s8, vcc_lo
	s_and_saveexec_b32 s8, s9
	s_cbranch_execz .LBB96_266
; %bb.265:
	v_ashrrev_i32_e32 v207, 31, v206
	v_lshlrev_b64 v[212:213], 2, v[206:207]
	v_add_co_u32 v212, vcc_lo, v204, v212
	v_add_co_ci_u32_e64 v213, null, v205, v213, vcc_lo
	s_clause 0x1
	global_load_dword v0, v[212:213], off
	global_load_dword v207, v[204:205], off offset:48
	s_waitcnt vmcnt(1)
	global_store_dword v[204:205], v0, off offset:48
	s_waitcnt vmcnt(0)
	global_store_dword v[212:213], v207, off
.LBB96_266:
	s_or_b32 exec_lo, exec_lo, s8
	v_mov_b32_e32 v212, v206
	v_mov_b32_e32 v0, v206
.LBB96_267:
	s_or_b32 exec_lo, exec_lo, s7
.LBB96_268:
	s_andn2_saveexec_b32 s0, s0
	s_cbranch_execz .LBB96_270
; %bb.269:
	v_mov_b32_e32 v212, 12
	ds_write2_b64 v1, v[182:183], v[184:185] offset0:26 offset1:27
	ds_write2_b64 v1, v[178:179], v[180:181] offset0:28 offset1:29
	;; [unrolled: 1-line block ×36, first 2 shown]
.LBB96_270:
	s_or_b32 exec_lo, exec_lo, s0
	s_mov_b32 s0, exec_lo
	s_waitcnt lgkmcnt(0)
	s_waitcnt_vscnt null, 0x0
	s_barrier
	buffer_gl0_inv
	v_cmpx_lt_i32_e32 12, v212
	s_cbranch_execz .LBB96_272
; %bb.271:
	v_mul_f64 v[206:207], v[200:201], v[188:189]
	v_mul_f64 v[188:189], v[198:199], v[188:189]
	v_fma_f64 v[206:207], v[198:199], v[186:187], -v[206:207]
	v_fma_f64 v[188:189], v[200:201], v[186:187], v[188:189]
	ds_read2_b64 v[198:201], v1 offset0:26 offset1:27
	s_waitcnt lgkmcnt(0)
	v_mul_f64 v[186:187], v[200:201], v[188:189]
	v_fma_f64 v[186:187], v[198:199], v[206:207], -v[186:187]
	v_mul_f64 v[198:199], v[198:199], v[188:189]
	v_add_f64 v[182:183], v[182:183], -v[186:187]
	v_fma_f64 v[198:199], v[200:201], v[206:207], v[198:199]
	v_add_f64 v[184:185], v[184:185], -v[198:199]
	ds_read2_b64 v[198:201], v1 offset0:28 offset1:29
	s_waitcnt lgkmcnt(0)
	v_mul_f64 v[186:187], v[200:201], v[188:189]
	v_fma_f64 v[186:187], v[198:199], v[206:207], -v[186:187]
	v_mul_f64 v[198:199], v[198:199], v[188:189]
	v_add_f64 v[178:179], v[178:179], -v[186:187]
	v_fma_f64 v[198:199], v[200:201], v[206:207], v[198:199]
	v_add_f64 v[180:181], v[180:181], -v[198:199]
	;; [unrolled: 8-line block ×35, first 2 shown]
	ds_read2_b64 v[198:201], v1 offset0:96 offset1:97
	s_waitcnt lgkmcnt(0)
	v_mul_f64 v[186:187], v[200:201], v[188:189]
	v_fma_f64 v[186:187], v[198:199], v[206:207], -v[186:187]
	v_mul_f64 v[198:199], v[198:199], v[188:189]
	v_add_f64 v[2:3], v[2:3], -v[186:187]
	v_fma_f64 v[198:199], v[200:201], v[206:207], v[198:199]
	v_mov_b32_e32 v186, v206
	v_mov_b32_e32 v187, v207
	v_add_f64 v[4:5], v[4:5], -v[198:199]
.LBB96_272:
	s_or_b32 exec_lo, exec_lo, s0
	v_lshl_add_u32 v198, v212, 4, v1
	s_barrier
	buffer_gl0_inv
	v_mov_b32_e32 v206, 13
	ds_write2_b64 v198, v[182:183], v[184:185] offset1:1
	s_waitcnt lgkmcnt(0)
	s_barrier
	buffer_gl0_inv
	ds_read2_b64 v[198:201], v1 offset0:26 offset1:27
	s_cmp_lt_i32 s1, 15
	s_cbranch_scc1 .LBB96_275
; %bb.273:
	v_add3_u32 v207, v208, 0, 0xe0
	v_mov_b32_e32 v206, 13
	s_mov_b32 s7, 14
	s_inst_prefetch 0x1
	.p2align	6
.LBB96_274:                             ; =>This Inner Loop Header: Depth=1
	s_waitcnt lgkmcnt(0)
	v_cmp_gt_f64_e32 vcc_lo, 0, v[200:201]
	v_cmp_gt_f64_e64 s0, 0, v[198:199]
	ds_read2_b64 v[213:216], v207 offset1:1
	v_xor_b32_e32 v218, 0x80000000, v199
	v_xor_b32_e32 v220, 0x80000000, v201
	v_mov_b32_e32 v217, v198
	v_mov_b32_e32 v219, v200
	v_add_nc_u32_e32 v207, 16, v207
	s_waitcnt lgkmcnt(0)
	v_xor_b32_e32 v222, 0x80000000, v216
	v_cndmask_b32_e64 v218, v199, v218, s0
	v_cndmask_b32_e32 v220, v201, v220, vcc_lo
	v_cmp_gt_f64_e32 vcc_lo, 0, v[215:216]
	v_cmp_gt_f64_e64 s0, 0, v[213:214]
	v_mov_b32_e32 v221, v215
	v_add_f64 v[217:218], v[217:218], v[219:220]
	v_xor_b32_e32 v220, 0x80000000, v214
	v_mov_b32_e32 v219, v213
	v_cndmask_b32_e32 v222, v216, v222, vcc_lo
	v_cndmask_b32_e64 v220, v214, v220, s0
	v_add_f64 v[219:220], v[219:220], v[221:222]
	v_cmp_lt_f64_e32 vcc_lo, v[217:218], v[219:220]
	v_cndmask_b32_e32 v199, v199, v214, vcc_lo
	v_cndmask_b32_e32 v198, v198, v213, vcc_lo
	;; [unrolled: 1-line block ×4, first 2 shown]
	v_cndmask_b32_e64 v206, v206, s7, vcc_lo
	s_add_i32 s7, s7, 1
	s_cmp_lg_u32 s1, s7
	s_cbranch_scc1 .LBB96_274
.LBB96_275:
	s_inst_prefetch 0x2
	s_waitcnt lgkmcnt(0)
	v_cmp_eq_f64_e32 vcc_lo, 0, v[198:199]
	v_cmp_eq_f64_e64 s0, 0, v[200:201]
	s_and_b32 s0, vcc_lo, s0
	s_and_saveexec_b32 s7, s0
	s_xor_b32 s0, exec_lo, s7
; %bb.276:
	v_cmp_ne_u32_e32 vcc_lo, 0, v211
	v_cndmask_b32_e32 v211, 14, v211, vcc_lo
; %bb.277:
	s_andn2_saveexec_b32 s0, s0
	s_cbranch_execz .LBB96_283
; %bb.278:
	v_cmp_ngt_f64_e64 s7, |v[198:199]|, |v[200:201]|
	s_and_saveexec_b32 s8, s7
	s_xor_b32 s7, exec_lo, s8
	s_cbranch_execz .LBB96_280
; %bb.279:
	v_div_scale_f64 v[213:214], null, v[200:201], v[200:201], v[198:199]
	v_div_scale_f64 v[219:220], vcc_lo, v[198:199], v[200:201], v[198:199]
	v_rcp_f64_e32 v[215:216], v[213:214]
	v_fma_f64 v[217:218], -v[213:214], v[215:216], 1.0
	v_fma_f64 v[215:216], v[215:216], v[217:218], v[215:216]
	v_fma_f64 v[217:218], -v[213:214], v[215:216], 1.0
	v_fma_f64 v[215:216], v[215:216], v[217:218], v[215:216]
	v_mul_f64 v[217:218], v[219:220], v[215:216]
	v_fma_f64 v[213:214], -v[213:214], v[217:218], v[219:220]
	v_div_fmas_f64 v[213:214], v[213:214], v[215:216], v[217:218]
	v_div_fixup_f64 v[213:214], v[213:214], v[200:201], v[198:199]
	v_fma_f64 v[198:199], v[198:199], v[213:214], v[200:201]
	v_div_scale_f64 v[200:201], null, v[198:199], v[198:199], 1.0
	v_rcp_f64_e32 v[215:216], v[200:201]
	v_fma_f64 v[217:218], -v[200:201], v[215:216], 1.0
	v_fma_f64 v[215:216], v[215:216], v[217:218], v[215:216]
	v_fma_f64 v[217:218], -v[200:201], v[215:216], 1.0
	v_fma_f64 v[215:216], v[215:216], v[217:218], v[215:216]
	v_div_scale_f64 v[217:218], vcc_lo, 1.0, v[198:199], 1.0
	v_mul_f64 v[219:220], v[217:218], v[215:216]
	v_fma_f64 v[200:201], -v[200:201], v[219:220], v[217:218]
	v_div_fmas_f64 v[200:201], v[200:201], v[215:216], v[219:220]
	v_div_fixup_f64 v[200:201], v[200:201], v[198:199], 1.0
	v_mul_f64 v[198:199], v[213:214], v[200:201]
	v_xor_b32_e32 v201, 0x80000000, v201
.LBB96_280:
	s_andn2_saveexec_b32 s7, s7
	s_cbranch_execz .LBB96_282
; %bb.281:
	v_div_scale_f64 v[213:214], null, v[198:199], v[198:199], v[200:201]
	v_div_scale_f64 v[219:220], vcc_lo, v[200:201], v[198:199], v[200:201]
	v_rcp_f64_e32 v[215:216], v[213:214]
	v_fma_f64 v[217:218], -v[213:214], v[215:216], 1.0
	v_fma_f64 v[215:216], v[215:216], v[217:218], v[215:216]
	v_fma_f64 v[217:218], -v[213:214], v[215:216], 1.0
	v_fma_f64 v[215:216], v[215:216], v[217:218], v[215:216]
	v_mul_f64 v[217:218], v[219:220], v[215:216]
	v_fma_f64 v[213:214], -v[213:214], v[217:218], v[219:220]
	v_div_fmas_f64 v[213:214], v[213:214], v[215:216], v[217:218]
	v_div_fixup_f64 v[213:214], v[213:214], v[198:199], v[200:201]
	v_fma_f64 v[198:199], v[200:201], v[213:214], v[198:199]
	v_div_scale_f64 v[200:201], null, v[198:199], v[198:199], 1.0
	v_rcp_f64_e32 v[215:216], v[200:201]
	v_fma_f64 v[217:218], -v[200:201], v[215:216], 1.0
	v_fma_f64 v[215:216], v[215:216], v[217:218], v[215:216]
	v_fma_f64 v[217:218], -v[200:201], v[215:216], 1.0
	v_fma_f64 v[215:216], v[215:216], v[217:218], v[215:216]
	v_div_scale_f64 v[217:218], vcc_lo, 1.0, v[198:199], 1.0
	v_mul_f64 v[219:220], v[217:218], v[215:216]
	v_fma_f64 v[200:201], -v[200:201], v[219:220], v[217:218]
	v_div_fmas_f64 v[200:201], v[200:201], v[215:216], v[219:220]
	v_div_fixup_f64 v[198:199], v[200:201], v[198:199], 1.0
	v_mul_f64 v[200:201], v[213:214], -v[198:199]
.LBB96_282:
	s_or_b32 exec_lo, exec_lo, s7
.LBB96_283:
	s_or_b32 exec_lo, exec_lo, s0
	s_mov_b32 s0, exec_lo
	v_cmpx_ne_u32_e64 v212, v206
	s_xor_b32 s0, exec_lo, s0
	s_cbranch_execz .LBB96_289
; %bb.284:
	s_mov_b32 s7, exec_lo
	v_cmpx_eq_u32_e32 13, v212
	s_cbranch_execz .LBB96_288
; %bb.285:
	v_cmp_ne_u32_e32 vcc_lo, 13, v206
	s_xor_b32 s8, s16, -1
	s_and_b32 s9, s8, vcc_lo
	s_and_saveexec_b32 s8, s9
	s_cbranch_execz .LBB96_287
; %bb.286:
	v_ashrrev_i32_e32 v207, 31, v206
	v_lshlrev_b64 v[212:213], 2, v[206:207]
	v_add_co_u32 v212, vcc_lo, v204, v212
	v_add_co_ci_u32_e64 v213, null, v205, v213, vcc_lo
	s_clause 0x1
	global_load_dword v0, v[212:213], off
	global_load_dword v207, v[204:205], off offset:52
	s_waitcnt vmcnt(1)
	global_store_dword v[204:205], v0, off offset:52
	s_waitcnt vmcnt(0)
	global_store_dword v[212:213], v207, off
.LBB96_287:
	s_or_b32 exec_lo, exec_lo, s8
	v_mov_b32_e32 v212, v206
	v_mov_b32_e32 v0, v206
.LBB96_288:
	s_or_b32 exec_lo, exec_lo, s7
.LBB96_289:
	s_andn2_saveexec_b32 s0, s0
	s_cbranch_execz .LBB96_291
; %bb.290:
	v_mov_b32_e32 v212, 13
	ds_write2_b64 v1, v[178:179], v[180:181] offset0:28 offset1:29
	ds_write2_b64 v1, v[174:175], v[176:177] offset0:30 offset1:31
	;; [unrolled: 1-line block ×35, first 2 shown]
.LBB96_291:
	s_or_b32 exec_lo, exec_lo, s0
	s_mov_b32 s0, exec_lo
	s_waitcnt lgkmcnt(0)
	s_waitcnt_vscnt null, 0x0
	s_barrier
	buffer_gl0_inv
	v_cmpx_lt_i32_e32 13, v212
	s_cbranch_execz .LBB96_293
; %bb.292:
	v_mul_f64 v[206:207], v[200:201], v[184:185]
	v_mul_f64 v[184:185], v[198:199], v[184:185]
	v_fma_f64 v[206:207], v[198:199], v[182:183], -v[206:207]
	v_fma_f64 v[184:185], v[200:201], v[182:183], v[184:185]
	ds_read2_b64 v[198:201], v1 offset0:28 offset1:29
	s_waitcnt lgkmcnt(0)
	v_mul_f64 v[182:183], v[200:201], v[184:185]
	v_fma_f64 v[182:183], v[198:199], v[206:207], -v[182:183]
	v_mul_f64 v[198:199], v[198:199], v[184:185]
	v_add_f64 v[178:179], v[178:179], -v[182:183]
	v_fma_f64 v[198:199], v[200:201], v[206:207], v[198:199]
	v_add_f64 v[180:181], v[180:181], -v[198:199]
	ds_read2_b64 v[198:201], v1 offset0:30 offset1:31
	s_waitcnt lgkmcnt(0)
	v_mul_f64 v[182:183], v[200:201], v[184:185]
	v_fma_f64 v[182:183], v[198:199], v[206:207], -v[182:183]
	v_mul_f64 v[198:199], v[198:199], v[184:185]
	v_add_f64 v[174:175], v[174:175], -v[182:183]
	v_fma_f64 v[198:199], v[200:201], v[206:207], v[198:199]
	v_add_f64 v[176:177], v[176:177], -v[198:199]
	;; [unrolled: 8-line block ×34, first 2 shown]
	ds_read2_b64 v[198:201], v1 offset0:96 offset1:97
	s_waitcnt lgkmcnt(0)
	v_mul_f64 v[182:183], v[200:201], v[184:185]
	v_fma_f64 v[182:183], v[198:199], v[206:207], -v[182:183]
	v_mul_f64 v[198:199], v[198:199], v[184:185]
	v_add_f64 v[2:3], v[2:3], -v[182:183]
	v_fma_f64 v[198:199], v[200:201], v[206:207], v[198:199]
	v_mov_b32_e32 v182, v206
	v_mov_b32_e32 v183, v207
	v_add_f64 v[4:5], v[4:5], -v[198:199]
.LBB96_293:
	s_or_b32 exec_lo, exec_lo, s0
	v_lshl_add_u32 v198, v212, 4, v1
	s_barrier
	buffer_gl0_inv
	v_mov_b32_e32 v206, 14
	ds_write2_b64 v198, v[178:179], v[180:181] offset1:1
	s_waitcnt lgkmcnt(0)
	s_barrier
	buffer_gl0_inv
	ds_read2_b64 v[198:201], v1 offset0:28 offset1:29
	s_cmp_lt_i32 s1, 16
	s_cbranch_scc1 .LBB96_296
; %bb.294:
	v_add3_u32 v207, v208, 0, 0xf0
	v_mov_b32_e32 v206, 14
	s_mov_b32 s7, 15
	s_inst_prefetch 0x1
	.p2align	6
.LBB96_295:                             ; =>This Inner Loop Header: Depth=1
	s_waitcnt lgkmcnt(0)
	v_cmp_gt_f64_e32 vcc_lo, 0, v[200:201]
	v_cmp_gt_f64_e64 s0, 0, v[198:199]
	ds_read2_b64 v[213:216], v207 offset1:1
	v_xor_b32_e32 v218, 0x80000000, v199
	v_xor_b32_e32 v220, 0x80000000, v201
	v_mov_b32_e32 v217, v198
	v_mov_b32_e32 v219, v200
	v_add_nc_u32_e32 v207, 16, v207
	s_waitcnt lgkmcnt(0)
	v_xor_b32_e32 v222, 0x80000000, v216
	v_cndmask_b32_e64 v218, v199, v218, s0
	v_cndmask_b32_e32 v220, v201, v220, vcc_lo
	v_cmp_gt_f64_e32 vcc_lo, 0, v[215:216]
	v_cmp_gt_f64_e64 s0, 0, v[213:214]
	v_mov_b32_e32 v221, v215
	v_add_f64 v[217:218], v[217:218], v[219:220]
	v_xor_b32_e32 v220, 0x80000000, v214
	v_mov_b32_e32 v219, v213
	v_cndmask_b32_e32 v222, v216, v222, vcc_lo
	v_cndmask_b32_e64 v220, v214, v220, s0
	v_add_f64 v[219:220], v[219:220], v[221:222]
	v_cmp_lt_f64_e32 vcc_lo, v[217:218], v[219:220]
	v_cndmask_b32_e32 v199, v199, v214, vcc_lo
	v_cndmask_b32_e32 v198, v198, v213, vcc_lo
	;; [unrolled: 1-line block ×4, first 2 shown]
	v_cndmask_b32_e64 v206, v206, s7, vcc_lo
	s_add_i32 s7, s7, 1
	s_cmp_lg_u32 s1, s7
	s_cbranch_scc1 .LBB96_295
.LBB96_296:
	s_inst_prefetch 0x2
	s_waitcnt lgkmcnt(0)
	v_cmp_eq_f64_e32 vcc_lo, 0, v[198:199]
	v_cmp_eq_f64_e64 s0, 0, v[200:201]
	s_and_b32 s0, vcc_lo, s0
	s_and_saveexec_b32 s7, s0
	s_xor_b32 s0, exec_lo, s7
; %bb.297:
	v_cmp_ne_u32_e32 vcc_lo, 0, v211
	v_cndmask_b32_e32 v211, 15, v211, vcc_lo
; %bb.298:
	s_andn2_saveexec_b32 s0, s0
	s_cbranch_execz .LBB96_304
; %bb.299:
	v_cmp_ngt_f64_e64 s7, |v[198:199]|, |v[200:201]|
	s_and_saveexec_b32 s8, s7
	s_xor_b32 s7, exec_lo, s8
	s_cbranch_execz .LBB96_301
; %bb.300:
	v_div_scale_f64 v[213:214], null, v[200:201], v[200:201], v[198:199]
	v_div_scale_f64 v[219:220], vcc_lo, v[198:199], v[200:201], v[198:199]
	v_rcp_f64_e32 v[215:216], v[213:214]
	v_fma_f64 v[217:218], -v[213:214], v[215:216], 1.0
	v_fma_f64 v[215:216], v[215:216], v[217:218], v[215:216]
	v_fma_f64 v[217:218], -v[213:214], v[215:216], 1.0
	v_fma_f64 v[215:216], v[215:216], v[217:218], v[215:216]
	v_mul_f64 v[217:218], v[219:220], v[215:216]
	v_fma_f64 v[213:214], -v[213:214], v[217:218], v[219:220]
	v_div_fmas_f64 v[213:214], v[213:214], v[215:216], v[217:218]
	v_div_fixup_f64 v[213:214], v[213:214], v[200:201], v[198:199]
	v_fma_f64 v[198:199], v[198:199], v[213:214], v[200:201]
	v_div_scale_f64 v[200:201], null, v[198:199], v[198:199], 1.0
	v_rcp_f64_e32 v[215:216], v[200:201]
	v_fma_f64 v[217:218], -v[200:201], v[215:216], 1.0
	v_fma_f64 v[215:216], v[215:216], v[217:218], v[215:216]
	v_fma_f64 v[217:218], -v[200:201], v[215:216], 1.0
	v_fma_f64 v[215:216], v[215:216], v[217:218], v[215:216]
	v_div_scale_f64 v[217:218], vcc_lo, 1.0, v[198:199], 1.0
	v_mul_f64 v[219:220], v[217:218], v[215:216]
	v_fma_f64 v[200:201], -v[200:201], v[219:220], v[217:218]
	v_div_fmas_f64 v[200:201], v[200:201], v[215:216], v[219:220]
	v_div_fixup_f64 v[200:201], v[200:201], v[198:199], 1.0
	v_mul_f64 v[198:199], v[213:214], v[200:201]
	v_xor_b32_e32 v201, 0x80000000, v201
.LBB96_301:
	s_andn2_saveexec_b32 s7, s7
	s_cbranch_execz .LBB96_303
; %bb.302:
	v_div_scale_f64 v[213:214], null, v[198:199], v[198:199], v[200:201]
	v_div_scale_f64 v[219:220], vcc_lo, v[200:201], v[198:199], v[200:201]
	v_rcp_f64_e32 v[215:216], v[213:214]
	v_fma_f64 v[217:218], -v[213:214], v[215:216], 1.0
	v_fma_f64 v[215:216], v[215:216], v[217:218], v[215:216]
	v_fma_f64 v[217:218], -v[213:214], v[215:216], 1.0
	v_fma_f64 v[215:216], v[215:216], v[217:218], v[215:216]
	v_mul_f64 v[217:218], v[219:220], v[215:216]
	v_fma_f64 v[213:214], -v[213:214], v[217:218], v[219:220]
	v_div_fmas_f64 v[213:214], v[213:214], v[215:216], v[217:218]
	v_div_fixup_f64 v[213:214], v[213:214], v[198:199], v[200:201]
	v_fma_f64 v[198:199], v[200:201], v[213:214], v[198:199]
	v_div_scale_f64 v[200:201], null, v[198:199], v[198:199], 1.0
	v_rcp_f64_e32 v[215:216], v[200:201]
	v_fma_f64 v[217:218], -v[200:201], v[215:216], 1.0
	v_fma_f64 v[215:216], v[215:216], v[217:218], v[215:216]
	v_fma_f64 v[217:218], -v[200:201], v[215:216], 1.0
	v_fma_f64 v[215:216], v[215:216], v[217:218], v[215:216]
	v_div_scale_f64 v[217:218], vcc_lo, 1.0, v[198:199], 1.0
	v_mul_f64 v[219:220], v[217:218], v[215:216]
	v_fma_f64 v[200:201], -v[200:201], v[219:220], v[217:218]
	v_div_fmas_f64 v[200:201], v[200:201], v[215:216], v[219:220]
	v_div_fixup_f64 v[198:199], v[200:201], v[198:199], 1.0
	v_mul_f64 v[200:201], v[213:214], -v[198:199]
.LBB96_303:
	s_or_b32 exec_lo, exec_lo, s7
.LBB96_304:
	s_or_b32 exec_lo, exec_lo, s0
	s_mov_b32 s0, exec_lo
	v_cmpx_ne_u32_e64 v212, v206
	s_xor_b32 s0, exec_lo, s0
	s_cbranch_execz .LBB96_310
; %bb.305:
	s_mov_b32 s7, exec_lo
	v_cmpx_eq_u32_e32 14, v212
	s_cbranch_execz .LBB96_309
; %bb.306:
	v_cmp_ne_u32_e32 vcc_lo, 14, v206
	s_xor_b32 s8, s16, -1
	s_and_b32 s9, s8, vcc_lo
	s_and_saveexec_b32 s8, s9
	s_cbranch_execz .LBB96_308
; %bb.307:
	v_ashrrev_i32_e32 v207, 31, v206
	v_lshlrev_b64 v[212:213], 2, v[206:207]
	v_add_co_u32 v212, vcc_lo, v204, v212
	v_add_co_ci_u32_e64 v213, null, v205, v213, vcc_lo
	s_clause 0x1
	global_load_dword v0, v[212:213], off
	global_load_dword v207, v[204:205], off offset:56
	s_waitcnt vmcnt(1)
	global_store_dword v[204:205], v0, off offset:56
	s_waitcnt vmcnt(0)
	global_store_dword v[212:213], v207, off
.LBB96_308:
	s_or_b32 exec_lo, exec_lo, s8
	v_mov_b32_e32 v212, v206
	v_mov_b32_e32 v0, v206
.LBB96_309:
	s_or_b32 exec_lo, exec_lo, s7
.LBB96_310:
	s_andn2_saveexec_b32 s0, s0
	s_cbranch_execz .LBB96_312
; %bb.311:
	v_mov_b32_e32 v212, 14
	ds_write2_b64 v1, v[174:175], v[176:177] offset0:30 offset1:31
	ds_write2_b64 v1, v[170:171], v[172:173] offset0:32 offset1:33
	;; [unrolled: 1-line block ×34, first 2 shown]
.LBB96_312:
	s_or_b32 exec_lo, exec_lo, s0
	s_mov_b32 s0, exec_lo
	s_waitcnt lgkmcnt(0)
	s_waitcnt_vscnt null, 0x0
	s_barrier
	buffer_gl0_inv
	v_cmpx_lt_i32_e32 14, v212
	s_cbranch_execz .LBB96_314
; %bb.313:
	v_mul_f64 v[206:207], v[200:201], v[180:181]
	v_mul_f64 v[180:181], v[198:199], v[180:181]
	v_fma_f64 v[206:207], v[198:199], v[178:179], -v[206:207]
	v_fma_f64 v[180:181], v[200:201], v[178:179], v[180:181]
	ds_read2_b64 v[198:201], v1 offset0:30 offset1:31
	s_waitcnt lgkmcnt(0)
	v_mul_f64 v[178:179], v[200:201], v[180:181]
	v_fma_f64 v[178:179], v[198:199], v[206:207], -v[178:179]
	v_mul_f64 v[198:199], v[198:199], v[180:181]
	v_add_f64 v[174:175], v[174:175], -v[178:179]
	v_fma_f64 v[198:199], v[200:201], v[206:207], v[198:199]
	v_add_f64 v[176:177], v[176:177], -v[198:199]
	ds_read2_b64 v[198:201], v1 offset0:32 offset1:33
	s_waitcnt lgkmcnt(0)
	v_mul_f64 v[178:179], v[200:201], v[180:181]
	v_fma_f64 v[178:179], v[198:199], v[206:207], -v[178:179]
	v_mul_f64 v[198:199], v[198:199], v[180:181]
	v_add_f64 v[170:171], v[170:171], -v[178:179]
	v_fma_f64 v[198:199], v[200:201], v[206:207], v[198:199]
	v_add_f64 v[172:173], v[172:173], -v[198:199]
	;; [unrolled: 8-line block ×33, first 2 shown]
	ds_read2_b64 v[198:201], v1 offset0:96 offset1:97
	s_waitcnt lgkmcnt(0)
	v_mul_f64 v[178:179], v[200:201], v[180:181]
	v_fma_f64 v[178:179], v[198:199], v[206:207], -v[178:179]
	v_mul_f64 v[198:199], v[198:199], v[180:181]
	v_add_f64 v[2:3], v[2:3], -v[178:179]
	v_fma_f64 v[198:199], v[200:201], v[206:207], v[198:199]
	v_mov_b32_e32 v178, v206
	v_mov_b32_e32 v179, v207
	v_add_f64 v[4:5], v[4:5], -v[198:199]
.LBB96_314:
	s_or_b32 exec_lo, exec_lo, s0
	v_lshl_add_u32 v198, v212, 4, v1
	s_barrier
	buffer_gl0_inv
	v_mov_b32_e32 v206, 15
	ds_write2_b64 v198, v[174:175], v[176:177] offset1:1
	s_waitcnt lgkmcnt(0)
	s_barrier
	buffer_gl0_inv
	ds_read2_b64 v[198:201], v1 offset0:30 offset1:31
	s_cmp_lt_i32 s1, 17
	s_cbranch_scc1 .LBB96_317
; %bb.315:
	v_add3_u32 v207, v208, 0, 0x100
	v_mov_b32_e32 v206, 15
	s_mov_b32 s7, 16
	s_inst_prefetch 0x1
	.p2align	6
.LBB96_316:                             ; =>This Inner Loop Header: Depth=1
	s_waitcnt lgkmcnt(0)
	v_cmp_gt_f64_e32 vcc_lo, 0, v[200:201]
	v_cmp_gt_f64_e64 s0, 0, v[198:199]
	ds_read2_b64 v[213:216], v207 offset1:1
	v_xor_b32_e32 v218, 0x80000000, v199
	v_xor_b32_e32 v220, 0x80000000, v201
	v_mov_b32_e32 v217, v198
	v_mov_b32_e32 v219, v200
	v_add_nc_u32_e32 v207, 16, v207
	s_waitcnt lgkmcnt(0)
	v_xor_b32_e32 v222, 0x80000000, v216
	v_cndmask_b32_e64 v218, v199, v218, s0
	v_cndmask_b32_e32 v220, v201, v220, vcc_lo
	v_cmp_gt_f64_e32 vcc_lo, 0, v[215:216]
	v_cmp_gt_f64_e64 s0, 0, v[213:214]
	v_mov_b32_e32 v221, v215
	v_add_f64 v[217:218], v[217:218], v[219:220]
	v_xor_b32_e32 v220, 0x80000000, v214
	v_mov_b32_e32 v219, v213
	v_cndmask_b32_e32 v222, v216, v222, vcc_lo
	v_cndmask_b32_e64 v220, v214, v220, s0
	v_add_f64 v[219:220], v[219:220], v[221:222]
	v_cmp_lt_f64_e32 vcc_lo, v[217:218], v[219:220]
	v_cndmask_b32_e32 v199, v199, v214, vcc_lo
	v_cndmask_b32_e32 v198, v198, v213, vcc_lo
	;; [unrolled: 1-line block ×4, first 2 shown]
	v_cndmask_b32_e64 v206, v206, s7, vcc_lo
	s_add_i32 s7, s7, 1
	s_cmp_lg_u32 s1, s7
	s_cbranch_scc1 .LBB96_316
.LBB96_317:
	s_inst_prefetch 0x2
	s_waitcnt lgkmcnt(0)
	v_cmp_eq_f64_e32 vcc_lo, 0, v[198:199]
	v_cmp_eq_f64_e64 s0, 0, v[200:201]
	s_and_b32 s0, vcc_lo, s0
	s_and_saveexec_b32 s7, s0
	s_xor_b32 s0, exec_lo, s7
; %bb.318:
	v_cmp_ne_u32_e32 vcc_lo, 0, v211
	v_cndmask_b32_e32 v211, 16, v211, vcc_lo
; %bb.319:
	s_andn2_saveexec_b32 s0, s0
	s_cbranch_execz .LBB96_325
; %bb.320:
	v_cmp_ngt_f64_e64 s7, |v[198:199]|, |v[200:201]|
	s_and_saveexec_b32 s8, s7
	s_xor_b32 s7, exec_lo, s8
	s_cbranch_execz .LBB96_322
; %bb.321:
	v_div_scale_f64 v[213:214], null, v[200:201], v[200:201], v[198:199]
	v_div_scale_f64 v[219:220], vcc_lo, v[198:199], v[200:201], v[198:199]
	v_rcp_f64_e32 v[215:216], v[213:214]
	v_fma_f64 v[217:218], -v[213:214], v[215:216], 1.0
	v_fma_f64 v[215:216], v[215:216], v[217:218], v[215:216]
	v_fma_f64 v[217:218], -v[213:214], v[215:216], 1.0
	v_fma_f64 v[215:216], v[215:216], v[217:218], v[215:216]
	v_mul_f64 v[217:218], v[219:220], v[215:216]
	v_fma_f64 v[213:214], -v[213:214], v[217:218], v[219:220]
	v_div_fmas_f64 v[213:214], v[213:214], v[215:216], v[217:218]
	v_div_fixup_f64 v[213:214], v[213:214], v[200:201], v[198:199]
	v_fma_f64 v[198:199], v[198:199], v[213:214], v[200:201]
	v_div_scale_f64 v[200:201], null, v[198:199], v[198:199], 1.0
	v_rcp_f64_e32 v[215:216], v[200:201]
	v_fma_f64 v[217:218], -v[200:201], v[215:216], 1.0
	v_fma_f64 v[215:216], v[215:216], v[217:218], v[215:216]
	v_fma_f64 v[217:218], -v[200:201], v[215:216], 1.0
	v_fma_f64 v[215:216], v[215:216], v[217:218], v[215:216]
	v_div_scale_f64 v[217:218], vcc_lo, 1.0, v[198:199], 1.0
	v_mul_f64 v[219:220], v[217:218], v[215:216]
	v_fma_f64 v[200:201], -v[200:201], v[219:220], v[217:218]
	v_div_fmas_f64 v[200:201], v[200:201], v[215:216], v[219:220]
	v_div_fixup_f64 v[200:201], v[200:201], v[198:199], 1.0
	v_mul_f64 v[198:199], v[213:214], v[200:201]
	v_xor_b32_e32 v201, 0x80000000, v201
.LBB96_322:
	s_andn2_saveexec_b32 s7, s7
	s_cbranch_execz .LBB96_324
; %bb.323:
	v_div_scale_f64 v[213:214], null, v[198:199], v[198:199], v[200:201]
	v_div_scale_f64 v[219:220], vcc_lo, v[200:201], v[198:199], v[200:201]
	v_rcp_f64_e32 v[215:216], v[213:214]
	v_fma_f64 v[217:218], -v[213:214], v[215:216], 1.0
	v_fma_f64 v[215:216], v[215:216], v[217:218], v[215:216]
	v_fma_f64 v[217:218], -v[213:214], v[215:216], 1.0
	v_fma_f64 v[215:216], v[215:216], v[217:218], v[215:216]
	v_mul_f64 v[217:218], v[219:220], v[215:216]
	v_fma_f64 v[213:214], -v[213:214], v[217:218], v[219:220]
	v_div_fmas_f64 v[213:214], v[213:214], v[215:216], v[217:218]
	v_div_fixup_f64 v[213:214], v[213:214], v[198:199], v[200:201]
	v_fma_f64 v[198:199], v[200:201], v[213:214], v[198:199]
	v_div_scale_f64 v[200:201], null, v[198:199], v[198:199], 1.0
	v_rcp_f64_e32 v[215:216], v[200:201]
	v_fma_f64 v[217:218], -v[200:201], v[215:216], 1.0
	v_fma_f64 v[215:216], v[215:216], v[217:218], v[215:216]
	v_fma_f64 v[217:218], -v[200:201], v[215:216], 1.0
	v_fma_f64 v[215:216], v[215:216], v[217:218], v[215:216]
	v_div_scale_f64 v[217:218], vcc_lo, 1.0, v[198:199], 1.0
	v_mul_f64 v[219:220], v[217:218], v[215:216]
	v_fma_f64 v[200:201], -v[200:201], v[219:220], v[217:218]
	v_div_fmas_f64 v[200:201], v[200:201], v[215:216], v[219:220]
	v_div_fixup_f64 v[198:199], v[200:201], v[198:199], 1.0
	v_mul_f64 v[200:201], v[213:214], -v[198:199]
.LBB96_324:
	s_or_b32 exec_lo, exec_lo, s7
.LBB96_325:
	s_or_b32 exec_lo, exec_lo, s0
	s_mov_b32 s0, exec_lo
	v_cmpx_ne_u32_e64 v212, v206
	s_xor_b32 s0, exec_lo, s0
	s_cbranch_execz .LBB96_331
; %bb.326:
	s_mov_b32 s7, exec_lo
	v_cmpx_eq_u32_e32 15, v212
	s_cbranch_execz .LBB96_330
; %bb.327:
	v_cmp_ne_u32_e32 vcc_lo, 15, v206
	s_xor_b32 s8, s16, -1
	s_and_b32 s9, s8, vcc_lo
	s_and_saveexec_b32 s8, s9
	s_cbranch_execz .LBB96_329
; %bb.328:
	v_ashrrev_i32_e32 v207, 31, v206
	v_lshlrev_b64 v[212:213], 2, v[206:207]
	v_add_co_u32 v212, vcc_lo, v204, v212
	v_add_co_ci_u32_e64 v213, null, v205, v213, vcc_lo
	s_clause 0x1
	global_load_dword v0, v[212:213], off
	global_load_dword v207, v[204:205], off offset:60
	s_waitcnt vmcnt(1)
	global_store_dword v[204:205], v0, off offset:60
	s_waitcnt vmcnt(0)
	global_store_dword v[212:213], v207, off
.LBB96_329:
	s_or_b32 exec_lo, exec_lo, s8
	v_mov_b32_e32 v212, v206
	v_mov_b32_e32 v0, v206
.LBB96_330:
	s_or_b32 exec_lo, exec_lo, s7
.LBB96_331:
	s_andn2_saveexec_b32 s0, s0
	s_cbranch_execz .LBB96_333
; %bb.332:
	v_mov_b32_e32 v212, 15
	ds_write2_b64 v1, v[170:171], v[172:173] offset0:32 offset1:33
	ds_write2_b64 v1, v[146:147], v[148:149] offset0:34 offset1:35
	ds_write2_b64 v1, v[142:143], v[144:145] offset0:36 offset1:37
	ds_write2_b64 v1, v[130:131], v[132:133] offset0:38 offset1:39
	ds_write2_b64 v1, v[126:127], v[128:129] offset0:40 offset1:41
	ds_write2_b64 v1, v[122:123], v[124:125] offset0:42 offset1:43
	ds_write2_b64 v1, v[106:107], v[108:109] offset0:44 offset1:45
	ds_write2_b64 v1, v[102:103], v[104:105] offset0:46 offset1:47
	ds_write2_b64 v1, v[98:99], v[100:101] offset0:48 offset1:49
	ds_write2_b64 v1, v[94:95], v[96:97] offset0:50 offset1:51
	ds_write2_b64 v1, v[90:91], v[92:93] offset0:52 offset1:53
	ds_write2_b64 v1, v[86:87], v[88:89] offset0:54 offset1:55
	ds_write2_b64 v1, v[82:83], v[84:85] offset0:56 offset1:57
	ds_write2_b64 v1, v[78:79], v[80:81] offset0:58 offset1:59
	ds_write2_b64 v1, v[74:75], v[76:77] offset0:60 offset1:61
	ds_write2_b64 v1, v[70:71], v[72:73] offset0:62 offset1:63
	ds_write2_b64 v1, v[66:67], v[68:69] offset0:64 offset1:65
	ds_write2_b64 v1, v[62:63], v[64:65] offset0:66 offset1:67
	ds_write2_b64 v1, v[58:59], v[60:61] offset0:68 offset1:69
	ds_write2_b64 v1, v[54:55], v[56:57] offset0:70 offset1:71
	ds_write2_b64 v1, v[50:51], v[52:53] offset0:72 offset1:73
	ds_write2_b64 v1, v[46:47], v[48:49] offset0:74 offset1:75
	ds_write2_b64 v1, v[42:43], v[44:45] offset0:76 offset1:77
	ds_write2_b64 v1, v[38:39], v[40:41] offset0:78 offset1:79
	ds_write2_b64 v1, v[34:35], v[36:37] offset0:80 offset1:81
	ds_write2_b64 v1, v[30:31], v[32:33] offset0:82 offset1:83
	ds_write2_b64 v1, v[26:27], v[28:29] offset0:84 offset1:85
	ds_write2_b64 v1, v[22:23], v[24:25] offset0:86 offset1:87
	ds_write2_b64 v1, v[18:19], v[20:21] offset0:88 offset1:89
	ds_write2_b64 v1, v[14:15], v[16:17] offset0:90 offset1:91
	ds_write2_b64 v1, v[10:11], v[12:13] offset0:92 offset1:93
	ds_write2_b64 v1, v[6:7], v[8:9] offset0:94 offset1:95
	ds_write2_b64 v1, v[2:3], v[4:5] offset0:96 offset1:97
.LBB96_333:
	s_or_b32 exec_lo, exec_lo, s0
	s_mov_b32 s0, exec_lo
	s_waitcnt lgkmcnt(0)
	s_waitcnt_vscnt null, 0x0
	s_barrier
	buffer_gl0_inv
	v_cmpx_lt_i32_e32 15, v212
	s_cbranch_execz .LBB96_335
; %bb.334:
	v_mul_f64 v[206:207], v[200:201], v[176:177]
	v_mul_f64 v[176:177], v[198:199], v[176:177]
	v_fma_f64 v[206:207], v[198:199], v[174:175], -v[206:207]
	v_fma_f64 v[176:177], v[200:201], v[174:175], v[176:177]
	ds_read2_b64 v[198:201], v1 offset0:32 offset1:33
	s_waitcnt lgkmcnt(0)
	v_mul_f64 v[174:175], v[200:201], v[176:177]
	v_fma_f64 v[174:175], v[198:199], v[206:207], -v[174:175]
	v_mul_f64 v[198:199], v[198:199], v[176:177]
	v_add_f64 v[170:171], v[170:171], -v[174:175]
	v_fma_f64 v[198:199], v[200:201], v[206:207], v[198:199]
	v_add_f64 v[172:173], v[172:173], -v[198:199]
	ds_read2_b64 v[198:201], v1 offset0:34 offset1:35
	s_waitcnt lgkmcnt(0)
	v_mul_f64 v[174:175], v[200:201], v[176:177]
	v_fma_f64 v[174:175], v[198:199], v[206:207], -v[174:175]
	v_mul_f64 v[198:199], v[198:199], v[176:177]
	v_add_f64 v[146:147], v[146:147], -v[174:175]
	v_fma_f64 v[198:199], v[200:201], v[206:207], v[198:199]
	v_add_f64 v[148:149], v[148:149], -v[198:199]
	;; [unrolled: 8-line block ×32, first 2 shown]
	ds_read2_b64 v[198:201], v1 offset0:96 offset1:97
	s_waitcnt lgkmcnt(0)
	v_mul_f64 v[174:175], v[200:201], v[176:177]
	v_fma_f64 v[174:175], v[198:199], v[206:207], -v[174:175]
	v_mul_f64 v[198:199], v[198:199], v[176:177]
	v_add_f64 v[2:3], v[2:3], -v[174:175]
	v_fma_f64 v[198:199], v[200:201], v[206:207], v[198:199]
	v_mov_b32_e32 v174, v206
	v_mov_b32_e32 v175, v207
	v_add_f64 v[4:5], v[4:5], -v[198:199]
.LBB96_335:
	s_or_b32 exec_lo, exec_lo, s0
	v_lshl_add_u32 v198, v212, 4, v1
	s_barrier
	buffer_gl0_inv
	v_mov_b32_e32 v206, 16
	ds_write2_b64 v198, v[170:171], v[172:173] offset1:1
	s_waitcnt lgkmcnt(0)
	s_barrier
	buffer_gl0_inv
	ds_read2_b64 v[198:201], v1 offset0:32 offset1:33
	s_cmp_lt_i32 s1, 18
	s_cbranch_scc1 .LBB96_338
; %bb.336:
	v_add3_u32 v207, v208, 0, 0x110
	v_mov_b32_e32 v206, 16
	s_mov_b32 s7, 17
	s_inst_prefetch 0x1
	.p2align	6
.LBB96_337:                             ; =>This Inner Loop Header: Depth=1
	s_waitcnt lgkmcnt(0)
	v_cmp_gt_f64_e32 vcc_lo, 0, v[200:201]
	v_cmp_gt_f64_e64 s0, 0, v[198:199]
	ds_read2_b64 v[213:216], v207 offset1:1
	v_xor_b32_e32 v218, 0x80000000, v199
	v_xor_b32_e32 v220, 0x80000000, v201
	v_mov_b32_e32 v217, v198
	v_mov_b32_e32 v219, v200
	v_add_nc_u32_e32 v207, 16, v207
	s_waitcnt lgkmcnt(0)
	v_xor_b32_e32 v222, 0x80000000, v216
	v_cndmask_b32_e64 v218, v199, v218, s0
	v_cndmask_b32_e32 v220, v201, v220, vcc_lo
	v_cmp_gt_f64_e32 vcc_lo, 0, v[215:216]
	v_cmp_gt_f64_e64 s0, 0, v[213:214]
	v_mov_b32_e32 v221, v215
	v_add_f64 v[217:218], v[217:218], v[219:220]
	v_xor_b32_e32 v220, 0x80000000, v214
	v_mov_b32_e32 v219, v213
	v_cndmask_b32_e32 v222, v216, v222, vcc_lo
	v_cndmask_b32_e64 v220, v214, v220, s0
	v_add_f64 v[219:220], v[219:220], v[221:222]
	v_cmp_lt_f64_e32 vcc_lo, v[217:218], v[219:220]
	v_cndmask_b32_e32 v199, v199, v214, vcc_lo
	v_cndmask_b32_e32 v198, v198, v213, vcc_lo
	;; [unrolled: 1-line block ×4, first 2 shown]
	v_cndmask_b32_e64 v206, v206, s7, vcc_lo
	s_add_i32 s7, s7, 1
	s_cmp_lg_u32 s1, s7
	s_cbranch_scc1 .LBB96_337
.LBB96_338:
	s_inst_prefetch 0x2
	s_waitcnt lgkmcnt(0)
	v_cmp_eq_f64_e32 vcc_lo, 0, v[198:199]
	v_cmp_eq_f64_e64 s0, 0, v[200:201]
	s_and_b32 s0, vcc_lo, s0
	s_and_saveexec_b32 s7, s0
	s_xor_b32 s0, exec_lo, s7
; %bb.339:
	v_cmp_ne_u32_e32 vcc_lo, 0, v211
	v_cndmask_b32_e32 v211, 17, v211, vcc_lo
; %bb.340:
	s_andn2_saveexec_b32 s0, s0
	s_cbranch_execz .LBB96_346
; %bb.341:
	v_cmp_ngt_f64_e64 s7, |v[198:199]|, |v[200:201]|
	s_and_saveexec_b32 s8, s7
	s_xor_b32 s7, exec_lo, s8
	s_cbranch_execz .LBB96_343
; %bb.342:
	v_div_scale_f64 v[213:214], null, v[200:201], v[200:201], v[198:199]
	v_div_scale_f64 v[219:220], vcc_lo, v[198:199], v[200:201], v[198:199]
	v_rcp_f64_e32 v[215:216], v[213:214]
	v_fma_f64 v[217:218], -v[213:214], v[215:216], 1.0
	v_fma_f64 v[215:216], v[215:216], v[217:218], v[215:216]
	v_fma_f64 v[217:218], -v[213:214], v[215:216], 1.0
	v_fma_f64 v[215:216], v[215:216], v[217:218], v[215:216]
	v_mul_f64 v[217:218], v[219:220], v[215:216]
	v_fma_f64 v[213:214], -v[213:214], v[217:218], v[219:220]
	v_div_fmas_f64 v[213:214], v[213:214], v[215:216], v[217:218]
	v_div_fixup_f64 v[213:214], v[213:214], v[200:201], v[198:199]
	v_fma_f64 v[198:199], v[198:199], v[213:214], v[200:201]
	v_div_scale_f64 v[200:201], null, v[198:199], v[198:199], 1.0
	v_rcp_f64_e32 v[215:216], v[200:201]
	v_fma_f64 v[217:218], -v[200:201], v[215:216], 1.0
	v_fma_f64 v[215:216], v[215:216], v[217:218], v[215:216]
	v_fma_f64 v[217:218], -v[200:201], v[215:216], 1.0
	v_fma_f64 v[215:216], v[215:216], v[217:218], v[215:216]
	v_div_scale_f64 v[217:218], vcc_lo, 1.0, v[198:199], 1.0
	v_mul_f64 v[219:220], v[217:218], v[215:216]
	v_fma_f64 v[200:201], -v[200:201], v[219:220], v[217:218]
	v_div_fmas_f64 v[200:201], v[200:201], v[215:216], v[219:220]
	v_div_fixup_f64 v[200:201], v[200:201], v[198:199], 1.0
	v_mul_f64 v[198:199], v[213:214], v[200:201]
	v_xor_b32_e32 v201, 0x80000000, v201
.LBB96_343:
	s_andn2_saveexec_b32 s7, s7
	s_cbranch_execz .LBB96_345
; %bb.344:
	v_div_scale_f64 v[213:214], null, v[198:199], v[198:199], v[200:201]
	v_div_scale_f64 v[219:220], vcc_lo, v[200:201], v[198:199], v[200:201]
	v_rcp_f64_e32 v[215:216], v[213:214]
	v_fma_f64 v[217:218], -v[213:214], v[215:216], 1.0
	v_fma_f64 v[215:216], v[215:216], v[217:218], v[215:216]
	v_fma_f64 v[217:218], -v[213:214], v[215:216], 1.0
	v_fma_f64 v[215:216], v[215:216], v[217:218], v[215:216]
	v_mul_f64 v[217:218], v[219:220], v[215:216]
	v_fma_f64 v[213:214], -v[213:214], v[217:218], v[219:220]
	v_div_fmas_f64 v[213:214], v[213:214], v[215:216], v[217:218]
	v_div_fixup_f64 v[213:214], v[213:214], v[198:199], v[200:201]
	v_fma_f64 v[198:199], v[200:201], v[213:214], v[198:199]
	v_div_scale_f64 v[200:201], null, v[198:199], v[198:199], 1.0
	v_rcp_f64_e32 v[215:216], v[200:201]
	v_fma_f64 v[217:218], -v[200:201], v[215:216], 1.0
	v_fma_f64 v[215:216], v[215:216], v[217:218], v[215:216]
	v_fma_f64 v[217:218], -v[200:201], v[215:216], 1.0
	v_fma_f64 v[215:216], v[215:216], v[217:218], v[215:216]
	v_div_scale_f64 v[217:218], vcc_lo, 1.0, v[198:199], 1.0
	v_mul_f64 v[219:220], v[217:218], v[215:216]
	v_fma_f64 v[200:201], -v[200:201], v[219:220], v[217:218]
	v_div_fmas_f64 v[200:201], v[200:201], v[215:216], v[219:220]
	v_div_fixup_f64 v[198:199], v[200:201], v[198:199], 1.0
	v_mul_f64 v[200:201], v[213:214], -v[198:199]
.LBB96_345:
	s_or_b32 exec_lo, exec_lo, s7
.LBB96_346:
	s_or_b32 exec_lo, exec_lo, s0
	s_mov_b32 s0, exec_lo
	v_cmpx_ne_u32_e64 v212, v206
	s_xor_b32 s0, exec_lo, s0
	s_cbranch_execz .LBB96_352
; %bb.347:
	s_mov_b32 s7, exec_lo
	v_cmpx_eq_u32_e32 16, v212
	s_cbranch_execz .LBB96_351
; %bb.348:
	v_cmp_ne_u32_e32 vcc_lo, 16, v206
	s_xor_b32 s8, s16, -1
	s_and_b32 s9, s8, vcc_lo
	s_and_saveexec_b32 s8, s9
	s_cbranch_execz .LBB96_350
; %bb.349:
	v_ashrrev_i32_e32 v207, 31, v206
	v_lshlrev_b64 v[212:213], 2, v[206:207]
	v_add_co_u32 v212, vcc_lo, v204, v212
	v_add_co_ci_u32_e64 v213, null, v205, v213, vcc_lo
	s_clause 0x1
	global_load_dword v0, v[212:213], off
	global_load_dword v207, v[204:205], off offset:64
	s_waitcnt vmcnt(1)
	global_store_dword v[204:205], v0, off offset:64
	s_waitcnt vmcnt(0)
	global_store_dword v[212:213], v207, off
.LBB96_350:
	s_or_b32 exec_lo, exec_lo, s8
	v_mov_b32_e32 v212, v206
	v_mov_b32_e32 v0, v206
.LBB96_351:
	s_or_b32 exec_lo, exec_lo, s7
.LBB96_352:
	s_andn2_saveexec_b32 s0, s0
	s_cbranch_execz .LBB96_354
; %bb.353:
	v_mov_b32_e32 v212, 16
	ds_write2_b64 v1, v[146:147], v[148:149] offset0:34 offset1:35
	ds_write2_b64 v1, v[142:143], v[144:145] offset0:36 offset1:37
	;; [unrolled: 1-line block ×32, first 2 shown]
.LBB96_354:
	s_or_b32 exec_lo, exec_lo, s0
	s_mov_b32 s0, exec_lo
	s_waitcnt lgkmcnt(0)
	s_waitcnt_vscnt null, 0x0
	s_barrier
	buffer_gl0_inv
	v_cmpx_lt_i32_e32 16, v212
	s_cbranch_execz .LBB96_356
; %bb.355:
	v_mul_f64 v[206:207], v[200:201], v[172:173]
	v_mul_f64 v[172:173], v[198:199], v[172:173]
	v_fma_f64 v[206:207], v[198:199], v[170:171], -v[206:207]
	v_fma_f64 v[172:173], v[200:201], v[170:171], v[172:173]
	ds_read2_b64 v[198:201], v1 offset0:34 offset1:35
	s_waitcnt lgkmcnt(0)
	v_mul_f64 v[170:171], v[200:201], v[172:173]
	v_fma_f64 v[170:171], v[198:199], v[206:207], -v[170:171]
	v_mul_f64 v[198:199], v[198:199], v[172:173]
	v_add_f64 v[146:147], v[146:147], -v[170:171]
	v_fma_f64 v[198:199], v[200:201], v[206:207], v[198:199]
	v_add_f64 v[148:149], v[148:149], -v[198:199]
	ds_read2_b64 v[198:201], v1 offset0:36 offset1:37
	s_waitcnt lgkmcnt(0)
	v_mul_f64 v[170:171], v[200:201], v[172:173]
	v_fma_f64 v[170:171], v[198:199], v[206:207], -v[170:171]
	v_mul_f64 v[198:199], v[198:199], v[172:173]
	v_add_f64 v[142:143], v[142:143], -v[170:171]
	v_fma_f64 v[198:199], v[200:201], v[206:207], v[198:199]
	v_add_f64 v[144:145], v[144:145], -v[198:199]
	;; [unrolled: 8-line block ×31, first 2 shown]
	ds_read2_b64 v[198:201], v1 offset0:96 offset1:97
	s_waitcnt lgkmcnt(0)
	v_mul_f64 v[170:171], v[200:201], v[172:173]
	v_fma_f64 v[170:171], v[198:199], v[206:207], -v[170:171]
	v_mul_f64 v[198:199], v[198:199], v[172:173]
	v_add_f64 v[2:3], v[2:3], -v[170:171]
	v_fma_f64 v[198:199], v[200:201], v[206:207], v[198:199]
	v_mov_b32_e32 v170, v206
	v_mov_b32_e32 v171, v207
	v_add_f64 v[4:5], v[4:5], -v[198:199]
.LBB96_356:
	s_or_b32 exec_lo, exec_lo, s0
	v_lshl_add_u32 v198, v212, 4, v1
	s_barrier
	buffer_gl0_inv
	v_mov_b32_e32 v206, 17
	ds_write2_b64 v198, v[146:147], v[148:149] offset1:1
	s_waitcnt lgkmcnt(0)
	s_barrier
	buffer_gl0_inv
	ds_read2_b64 v[198:201], v1 offset0:34 offset1:35
	s_cmp_lt_i32 s1, 19
	s_cbranch_scc1 .LBB96_359
; %bb.357:
	v_add3_u32 v207, v208, 0, 0x120
	v_mov_b32_e32 v206, 17
	s_mov_b32 s7, 18
	s_inst_prefetch 0x1
	.p2align	6
.LBB96_358:                             ; =>This Inner Loop Header: Depth=1
	s_waitcnt lgkmcnt(0)
	v_cmp_gt_f64_e32 vcc_lo, 0, v[200:201]
	v_cmp_gt_f64_e64 s0, 0, v[198:199]
	ds_read2_b64 v[213:216], v207 offset1:1
	v_xor_b32_e32 v218, 0x80000000, v199
	v_xor_b32_e32 v220, 0x80000000, v201
	v_mov_b32_e32 v217, v198
	v_mov_b32_e32 v219, v200
	v_add_nc_u32_e32 v207, 16, v207
	s_waitcnt lgkmcnt(0)
	v_xor_b32_e32 v222, 0x80000000, v216
	v_cndmask_b32_e64 v218, v199, v218, s0
	v_cndmask_b32_e32 v220, v201, v220, vcc_lo
	v_cmp_gt_f64_e32 vcc_lo, 0, v[215:216]
	v_cmp_gt_f64_e64 s0, 0, v[213:214]
	v_mov_b32_e32 v221, v215
	v_add_f64 v[217:218], v[217:218], v[219:220]
	v_xor_b32_e32 v220, 0x80000000, v214
	v_mov_b32_e32 v219, v213
	v_cndmask_b32_e32 v222, v216, v222, vcc_lo
	v_cndmask_b32_e64 v220, v214, v220, s0
	v_add_f64 v[219:220], v[219:220], v[221:222]
	v_cmp_lt_f64_e32 vcc_lo, v[217:218], v[219:220]
	v_cndmask_b32_e32 v199, v199, v214, vcc_lo
	v_cndmask_b32_e32 v198, v198, v213, vcc_lo
	;; [unrolled: 1-line block ×4, first 2 shown]
	v_cndmask_b32_e64 v206, v206, s7, vcc_lo
	s_add_i32 s7, s7, 1
	s_cmp_lg_u32 s1, s7
	s_cbranch_scc1 .LBB96_358
.LBB96_359:
	s_inst_prefetch 0x2
	s_waitcnt lgkmcnt(0)
	v_cmp_eq_f64_e32 vcc_lo, 0, v[198:199]
	v_cmp_eq_f64_e64 s0, 0, v[200:201]
	s_and_b32 s0, vcc_lo, s0
	s_and_saveexec_b32 s7, s0
	s_xor_b32 s0, exec_lo, s7
; %bb.360:
	v_cmp_ne_u32_e32 vcc_lo, 0, v211
	v_cndmask_b32_e32 v211, 18, v211, vcc_lo
; %bb.361:
	s_andn2_saveexec_b32 s0, s0
	s_cbranch_execz .LBB96_367
; %bb.362:
	v_cmp_ngt_f64_e64 s7, |v[198:199]|, |v[200:201]|
	s_and_saveexec_b32 s8, s7
	s_xor_b32 s7, exec_lo, s8
	s_cbranch_execz .LBB96_364
; %bb.363:
	v_div_scale_f64 v[213:214], null, v[200:201], v[200:201], v[198:199]
	v_div_scale_f64 v[219:220], vcc_lo, v[198:199], v[200:201], v[198:199]
	v_rcp_f64_e32 v[215:216], v[213:214]
	v_fma_f64 v[217:218], -v[213:214], v[215:216], 1.0
	v_fma_f64 v[215:216], v[215:216], v[217:218], v[215:216]
	v_fma_f64 v[217:218], -v[213:214], v[215:216], 1.0
	v_fma_f64 v[215:216], v[215:216], v[217:218], v[215:216]
	v_mul_f64 v[217:218], v[219:220], v[215:216]
	v_fma_f64 v[213:214], -v[213:214], v[217:218], v[219:220]
	v_div_fmas_f64 v[213:214], v[213:214], v[215:216], v[217:218]
	v_div_fixup_f64 v[213:214], v[213:214], v[200:201], v[198:199]
	v_fma_f64 v[198:199], v[198:199], v[213:214], v[200:201]
	v_div_scale_f64 v[200:201], null, v[198:199], v[198:199], 1.0
	v_rcp_f64_e32 v[215:216], v[200:201]
	v_fma_f64 v[217:218], -v[200:201], v[215:216], 1.0
	v_fma_f64 v[215:216], v[215:216], v[217:218], v[215:216]
	v_fma_f64 v[217:218], -v[200:201], v[215:216], 1.0
	v_fma_f64 v[215:216], v[215:216], v[217:218], v[215:216]
	v_div_scale_f64 v[217:218], vcc_lo, 1.0, v[198:199], 1.0
	v_mul_f64 v[219:220], v[217:218], v[215:216]
	v_fma_f64 v[200:201], -v[200:201], v[219:220], v[217:218]
	v_div_fmas_f64 v[200:201], v[200:201], v[215:216], v[219:220]
	v_div_fixup_f64 v[200:201], v[200:201], v[198:199], 1.0
	v_mul_f64 v[198:199], v[213:214], v[200:201]
	v_xor_b32_e32 v201, 0x80000000, v201
.LBB96_364:
	s_andn2_saveexec_b32 s7, s7
	s_cbranch_execz .LBB96_366
; %bb.365:
	v_div_scale_f64 v[213:214], null, v[198:199], v[198:199], v[200:201]
	v_div_scale_f64 v[219:220], vcc_lo, v[200:201], v[198:199], v[200:201]
	v_rcp_f64_e32 v[215:216], v[213:214]
	v_fma_f64 v[217:218], -v[213:214], v[215:216], 1.0
	v_fma_f64 v[215:216], v[215:216], v[217:218], v[215:216]
	v_fma_f64 v[217:218], -v[213:214], v[215:216], 1.0
	v_fma_f64 v[215:216], v[215:216], v[217:218], v[215:216]
	v_mul_f64 v[217:218], v[219:220], v[215:216]
	v_fma_f64 v[213:214], -v[213:214], v[217:218], v[219:220]
	v_div_fmas_f64 v[213:214], v[213:214], v[215:216], v[217:218]
	v_div_fixup_f64 v[213:214], v[213:214], v[198:199], v[200:201]
	v_fma_f64 v[198:199], v[200:201], v[213:214], v[198:199]
	v_div_scale_f64 v[200:201], null, v[198:199], v[198:199], 1.0
	v_rcp_f64_e32 v[215:216], v[200:201]
	v_fma_f64 v[217:218], -v[200:201], v[215:216], 1.0
	v_fma_f64 v[215:216], v[215:216], v[217:218], v[215:216]
	v_fma_f64 v[217:218], -v[200:201], v[215:216], 1.0
	v_fma_f64 v[215:216], v[215:216], v[217:218], v[215:216]
	v_div_scale_f64 v[217:218], vcc_lo, 1.0, v[198:199], 1.0
	v_mul_f64 v[219:220], v[217:218], v[215:216]
	v_fma_f64 v[200:201], -v[200:201], v[219:220], v[217:218]
	v_div_fmas_f64 v[200:201], v[200:201], v[215:216], v[219:220]
	v_div_fixup_f64 v[198:199], v[200:201], v[198:199], 1.0
	v_mul_f64 v[200:201], v[213:214], -v[198:199]
.LBB96_366:
	s_or_b32 exec_lo, exec_lo, s7
.LBB96_367:
	s_or_b32 exec_lo, exec_lo, s0
	s_mov_b32 s0, exec_lo
	v_cmpx_ne_u32_e64 v212, v206
	s_xor_b32 s0, exec_lo, s0
	s_cbranch_execz .LBB96_373
; %bb.368:
	s_mov_b32 s7, exec_lo
	v_cmpx_eq_u32_e32 17, v212
	s_cbranch_execz .LBB96_372
; %bb.369:
	v_cmp_ne_u32_e32 vcc_lo, 17, v206
	s_xor_b32 s8, s16, -1
	s_and_b32 s9, s8, vcc_lo
	s_and_saveexec_b32 s8, s9
	s_cbranch_execz .LBB96_371
; %bb.370:
	v_ashrrev_i32_e32 v207, 31, v206
	v_lshlrev_b64 v[212:213], 2, v[206:207]
	v_add_co_u32 v212, vcc_lo, v204, v212
	v_add_co_ci_u32_e64 v213, null, v205, v213, vcc_lo
	s_clause 0x1
	global_load_dword v0, v[212:213], off
	global_load_dword v207, v[204:205], off offset:68
	s_waitcnt vmcnt(1)
	global_store_dword v[204:205], v0, off offset:68
	s_waitcnt vmcnt(0)
	global_store_dword v[212:213], v207, off
.LBB96_371:
	s_or_b32 exec_lo, exec_lo, s8
	v_mov_b32_e32 v212, v206
	v_mov_b32_e32 v0, v206
.LBB96_372:
	s_or_b32 exec_lo, exec_lo, s7
.LBB96_373:
	s_andn2_saveexec_b32 s0, s0
	s_cbranch_execz .LBB96_375
; %bb.374:
	v_mov_b32_e32 v212, 17
	ds_write2_b64 v1, v[142:143], v[144:145] offset0:36 offset1:37
	ds_write2_b64 v1, v[130:131], v[132:133] offset0:38 offset1:39
	;; [unrolled: 1-line block ×31, first 2 shown]
.LBB96_375:
	s_or_b32 exec_lo, exec_lo, s0
	s_mov_b32 s0, exec_lo
	s_waitcnt lgkmcnt(0)
	s_waitcnt_vscnt null, 0x0
	s_barrier
	buffer_gl0_inv
	v_cmpx_lt_i32_e32 17, v212
	s_cbranch_execz .LBB96_377
; %bb.376:
	v_mul_f64 v[206:207], v[200:201], v[148:149]
	v_mul_f64 v[148:149], v[198:199], v[148:149]
	v_fma_f64 v[206:207], v[198:199], v[146:147], -v[206:207]
	v_fma_f64 v[148:149], v[200:201], v[146:147], v[148:149]
	ds_read2_b64 v[198:201], v1 offset0:36 offset1:37
	s_waitcnt lgkmcnt(0)
	v_mul_f64 v[146:147], v[200:201], v[148:149]
	v_fma_f64 v[146:147], v[198:199], v[206:207], -v[146:147]
	v_mul_f64 v[198:199], v[198:199], v[148:149]
	v_add_f64 v[142:143], v[142:143], -v[146:147]
	v_fma_f64 v[198:199], v[200:201], v[206:207], v[198:199]
	v_add_f64 v[144:145], v[144:145], -v[198:199]
	ds_read2_b64 v[198:201], v1 offset0:38 offset1:39
	s_waitcnt lgkmcnt(0)
	v_mul_f64 v[146:147], v[200:201], v[148:149]
	v_fma_f64 v[146:147], v[198:199], v[206:207], -v[146:147]
	v_mul_f64 v[198:199], v[198:199], v[148:149]
	v_add_f64 v[130:131], v[130:131], -v[146:147]
	v_fma_f64 v[198:199], v[200:201], v[206:207], v[198:199]
	v_add_f64 v[132:133], v[132:133], -v[198:199]
	;; [unrolled: 8-line block ×30, first 2 shown]
	ds_read2_b64 v[198:201], v1 offset0:96 offset1:97
	s_waitcnt lgkmcnt(0)
	v_mul_f64 v[146:147], v[200:201], v[148:149]
	v_fma_f64 v[146:147], v[198:199], v[206:207], -v[146:147]
	v_mul_f64 v[198:199], v[198:199], v[148:149]
	v_add_f64 v[2:3], v[2:3], -v[146:147]
	v_fma_f64 v[198:199], v[200:201], v[206:207], v[198:199]
	v_mov_b32_e32 v146, v206
	v_mov_b32_e32 v147, v207
	v_add_f64 v[4:5], v[4:5], -v[198:199]
.LBB96_377:
	s_or_b32 exec_lo, exec_lo, s0
	v_lshl_add_u32 v198, v212, 4, v1
	s_barrier
	buffer_gl0_inv
	v_mov_b32_e32 v206, 18
	ds_write2_b64 v198, v[142:143], v[144:145] offset1:1
	s_waitcnt lgkmcnt(0)
	s_barrier
	buffer_gl0_inv
	ds_read2_b64 v[198:201], v1 offset0:36 offset1:37
	s_cmp_lt_i32 s1, 20
	s_cbranch_scc1 .LBB96_380
; %bb.378:
	v_add3_u32 v207, v208, 0, 0x130
	v_mov_b32_e32 v206, 18
	s_mov_b32 s7, 19
	s_inst_prefetch 0x1
	.p2align	6
.LBB96_379:                             ; =>This Inner Loop Header: Depth=1
	s_waitcnt lgkmcnt(0)
	v_cmp_gt_f64_e32 vcc_lo, 0, v[200:201]
	v_cmp_gt_f64_e64 s0, 0, v[198:199]
	ds_read2_b64 v[213:216], v207 offset1:1
	v_xor_b32_e32 v218, 0x80000000, v199
	v_xor_b32_e32 v220, 0x80000000, v201
	v_mov_b32_e32 v217, v198
	v_mov_b32_e32 v219, v200
	v_add_nc_u32_e32 v207, 16, v207
	s_waitcnt lgkmcnt(0)
	v_xor_b32_e32 v222, 0x80000000, v216
	v_cndmask_b32_e64 v218, v199, v218, s0
	v_cndmask_b32_e32 v220, v201, v220, vcc_lo
	v_cmp_gt_f64_e32 vcc_lo, 0, v[215:216]
	v_cmp_gt_f64_e64 s0, 0, v[213:214]
	v_mov_b32_e32 v221, v215
	v_add_f64 v[217:218], v[217:218], v[219:220]
	v_xor_b32_e32 v220, 0x80000000, v214
	v_mov_b32_e32 v219, v213
	v_cndmask_b32_e32 v222, v216, v222, vcc_lo
	v_cndmask_b32_e64 v220, v214, v220, s0
	v_add_f64 v[219:220], v[219:220], v[221:222]
	v_cmp_lt_f64_e32 vcc_lo, v[217:218], v[219:220]
	v_cndmask_b32_e32 v199, v199, v214, vcc_lo
	v_cndmask_b32_e32 v198, v198, v213, vcc_lo
	;; [unrolled: 1-line block ×4, first 2 shown]
	v_cndmask_b32_e64 v206, v206, s7, vcc_lo
	s_add_i32 s7, s7, 1
	s_cmp_lg_u32 s1, s7
	s_cbranch_scc1 .LBB96_379
.LBB96_380:
	s_inst_prefetch 0x2
	s_waitcnt lgkmcnt(0)
	v_cmp_eq_f64_e32 vcc_lo, 0, v[198:199]
	v_cmp_eq_f64_e64 s0, 0, v[200:201]
	s_and_b32 s0, vcc_lo, s0
	s_and_saveexec_b32 s7, s0
	s_xor_b32 s0, exec_lo, s7
; %bb.381:
	v_cmp_ne_u32_e32 vcc_lo, 0, v211
	v_cndmask_b32_e32 v211, 19, v211, vcc_lo
; %bb.382:
	s_andn2_saveexec_b32 s0, s0
	s_cbranch_execz .LBB96_388
; %bb.383:
	v_cmp_ngt_f64_e64 s7, |v[198:199]|, |v[200:201]|
	s_and_saveexec_b32 s8, s7
	s_xor_b32 s7, exec_lo, s8
	s_cbranch_execz .LBB96_385
; %bb.384:
	v_div_scale_f64 v[213:214], null, v[200:201], v[200:201], v[198:199]
	v_div_scale_f64 v[219:220], vcc_lo, v[198:199], v[200:201], v[198:199]
	v_rcp_f64_e32 v[215:216], v[213:214]
	v_fma_f64 v[217:218], -v[213:214], v[215:216], 1.0
	v_fma_f64 v[215:216], v[215:216], v[217:218], v[215:216]
	v_fma_f64 v[217:218], -v[213:214], v[215:216], 1.0
	v_fma_f64 v[215:216], v[215:216], v[217:218], v[215:216]
	v_mul_f64 v[217:218], v[219:220], v[215:216]
	v_fma_f64 v[213:214], -v[213:214], v[217:218], v[219:220]
	v_div_fmas_f64 v[213:214], v[213:214], v[215:216], v[217:218]
	v_div_fixup_f64 v[213:214], v[213:214], v[200:201], v[198:199]
	v_fma_f64 v[198:199], v[198:199], v[213:214], v[200:201]
	v_div_scale_f64 v[200:201], null, v[198:199], v[198:199], 1.0
	v_rcp_f64_e32 v[215:216], v[200:201]
	v_fma_f64 v[217:218], -v[200:201], v[215:216], 1.0
	v_fma_f64 v[215:216], v[215:216], v[217:218], v[215:216]
	v_fma_f64 v[217:218], -v[200:201], v[215:216], 1.0
	v_fma_f64 v[215:216], v[215:216], v[217:218], v[215:216]
	v_div_scale_f64 v[217:218], vcc_lo, 1.0, v[198:199], 1.0
	v_mul_f64 v[219:220], v[217:218], v[215:216]
	v_fma_f64 v[200:201], -v[200:201], v[219:220], v[217:218]
	v_div_fmas_f64 v[200:201], v[200:201], v[215:216], v[219:220]
	v_div_fixup_f64 v[200:201], v[200:201], v[198:199], 1.0
	v_mul_f64 v[198:199], v[213:214], v[200:201]
	v_xor_b32_e32 v201, 0x80000000, v201
.LBB96_385:
	s_andn2_saveexec_b32 s7, s7
	s_cbranch_execz .LBB96_387
; %bb.386:
	v_div_scale_f64 v[213:214], null, v[198:199], v[198:199], v[200:201]
	v_div_scale_f64 v[219:220], vcc_lo, v[200:201], v[198:199], v[200:201]
	v_rcp_f64_e32 v[215:216], v[213:214]
	v_fma_f64 v[217:218], -v[213:214], v[215:216], 1.0
	v_fma_f64 v[215:216], v[215:216], v[217:218], v[215:216]
	v_fma_f64 v[217:218], -v[213:214], v[215:216], 1.0
	v_fma_f64 v[215:216], v[215:216], v[217:218], v[215:216]
	v_mul_f64 v[217:218], v[219:220], v[215:216]
	v_fma_f64 v[213:214], -v[213:214], v[217:218], v[219:220]
	v_div_fmas_f64 v[213:214], v[213:214], v[215:216], v[217:218]
	v_div_fixup_f64 v[213:214], v[213:214], v[198:199], v[200:201]
	v_fma_f64 v[198:199], v[200:201], v[213:214], v[198:199]
	v_div_scale_f64 v[200:201], null, v[198:199], v[198:199], 1.0
	v_rcp_f64_e32 v[215:216], v[200:201]
	v_fma_f64 v[217:218], -v[200:201], v[215:216], 1.0
	v_fma_f64 v[215:216], v[215:216], v[217:218], v[215:216]
	v_fma_f64 v[217:218], -v[200:201], v[215:216], 1.0
	v_fma_f64 v[215:216], v[215:216], v[217:218], v[215:216]
	v_div_scale_f64 v[217:218], vcc_lo, 1.0, v[198:199], 1.0
	v_mul_f64 v[219:220], v[217:218], v[215:216]
	v_fma_f64 v[200:201], -v[200:201], v[219:220], v[217:218]
	v_div_fmas_f64 v[200:201], v[200:201], v[215:216], v[219:220]
	v_div_fixup_f64 v[198:199], v[200:201], v[198:199], 1.0
	v_mul_f64 v[200:201], v[213:214], -v[198:199]
.LBB96_387:
	s_or_b32 exec_lo, exec_lo, s7
.LBB96_388:
	s_or_b32 exec_lo, exec_lo, s0
	s_mov_b32 s0, exec_lo
	v_cmpx_ne_u32_e64 v212, v206
	s_xor_b32 s0, exec_lo, s0
	s_cbranch_execz .LBB96_394
; %bb.389:
	s_mov_b32 s7, exec_lo
	v_cmpx_eq_u32_e32 18, v212
	s_cbranch_execz .LBB96_393
; %bb.390:
	v_cmp_ne_u32_e32 vcc_lo, 18, v206
	s_xor_b32 s8, s16, -1
	s_and_b32 s9, s8, vcc_lo
	s_and_saveexec_b32 s8, s9
	s_cbranch_execz .LBB96_392
; %bb.391:
	v_ashrrev_i32_e32 v207, 31, v206
	v_lshlrev_b64 v[212:213], 2, v[206:207]
	v_add_co_u32 v212, vcc_lo, v204, v212
	v_add_co_ci_u32_e64 v213, null, v205, v213, vcc_lo
	s_clause 0x1
	global_load_dword v0, v[212:213], off
	global_load_dword v207, v[204:205], off offset:72
	s_waitcnt vmcnt(1)
	global_store_dword v[204:205], v0, off offset:72
	s_waitcnt vmcnt(0)
	global_store_dword v[212:213], v207, off
.LBB96_392:
	s_or_b32 exec_lo, exec_lo, s8
	v_mov_b32_e32 v212, v206
	v_mov_b32_e32 v0, v206
.LBB96_393:
	s_or_b32 exec_lo, exec_lo, s7
.LBB96_394:
	s_andn2_saveexec_b32 s0, s0
	s_cbranch_execz .LBB96_396
; %bb.395:
	v_mov_b32_e32 v212, 18
	ds_write2_b64 v1, v[130:131], v[132:133] offset0:38 offset1:39
	ds_write2_b64 v1, v[126:127], v[128:129] offset0:40 offset1:41
	;; [unrolled: 1-line block ×30, first 2 shown]
.LBB96_396:
	s_or_b32 exec_lo, exec_lo, s0
	s_mov_b32 s0, exec_lo
	s_waitcnt lgkmcnt(0)
	s_waitcnt_vscnt null, 0x0
	s_barrier
	buffer_gl0_inv
	v_cmpx_lt_i32_e32 18, v212
	s_cbranch_execz .LBB96_398
; %bb.397:
	v_mul_f64 v[206:207], v[200:201], v[144:145]
	v_mul_f64 v[144:145], v[198:199], v[144:145]
	v_fma_f64 v[206:207], v[198:199], v[142:143], -v[206:207]
	v_fma_f64 v[144:145], v[200:201], v[142:143], v[144:145]
	ds_read2_b64 v[198:201], v1 offset0:38 offset1:39
	s_waitcnt lgkmcnt(0)
	v_mul_f64 v[142:143], v[200:201], v[144:145]
	v_fma_f64 v[142:143], v[198:199], v[206:207], -v[142:143]
	v_mul_f64 v[198:199], v[198:199], v[144:145]
	v_add_f64 v[130:131], v[130:131], -v[142:143]
	v_fma_f64 v[198:199], v[200:201], v[206:207], v[198:199]
	v_add_f64 v[132:133], v[132:133], -v[198:199]
	ds_read2_b64 v[198:201], v1 offset0:40 offset1:41
	s_waitcnt lgkmcnt(0)
	v_mul_f64 v[142:143], v[200:201], v[144:145]
	v_fma_f64 v[142:143], v[198:199], v[206:207], -v[142:143]
	v_mul_f64 v[198:199], v[198:199], v[144:145]
	v_add_f64 v[126:127], v[126:127], -v[142:143]
	v_fma_f64 v[198:199], v[200:201], v[206:207], v[198:199]
	v_add_f64 v[128:129], v[128:129], -v[198:199]
	;; [unrolled: 8-line block ×29, first 2 shown]
	ds_read2_b64 v[198:201], v1 offset0:96 offset1:97
	s_waitcnt lgkmcnt(0)
	v_mul_f64 v[142:143], v[200:201], v[144:145]
	v_fma_f64 v[142:143], v[198:199], v[206:207], -v[142:143]
	v_mul_f64 v[198:199], v[198:199], v[144:145]
	v_add_f64 v[2:3], v[2:3], -v[142:143]
	v_fma_f64 v[198:199], v[200:201], v[206:207], v[198:199]
	v_mov_b32_e32 v142, v206
	v_mov_b32_e32 v143, v207
	v_add_f64 v[4:5], v[4:5], -v[198:199]
.LBB96_398:
	s_or_b32 exec_lo, exec_lo, s0
	v_lshl_add_u32 v198, v212, 4, v1
	s_barrier
	buffer_gl0_inv
	v_mov_b32_e32 v206, 19
	ds_write2_b64 v198, v[130:131], v[132:133] offset1:1
	s_waitcnt lgkmcnt(0)
	s_barrier
	buffer_gl0_inv
	ds_read2_b64 v[198:201], v1 offset0:38 offset1:39
	s_cmp_lt_i32 s1, 21
	s_cbranch_scc1 .LBB96_401
; %bb.399:
	v_add3_u32 v207, v208, 0, 0x140
	v_mov_b32_e32 v206, 19
	s_mov_b32 s7, 20
	s_inst_prefetch 0x1
	.p2align	6
.LBB96_400:                             ; =>This Inner Loop Header: Depth=1
	s_waitcnt lgkmcnt(0)
	v_cmp_gt_f64_e32 vcc_lo, 0, v[200:201]
	v_cmp_gt_f64_e64 s0, 0, v[198:199]
	ds_read2_b64 v[213:216], v207 offset1:1
	v_xor_b32_e32 v218, 0x80000000, v199
	v_xor_b32_e32 v220, 0x80000000, v201
	v_mov_b32_e32 v217, v198
	v_mov_b32_e32 v219, v200
	v_add_nc_u32_e32 v207, 16, v207
	s_waitcnt lgkmcnt(0)
	v_xor_b32_e32 v222, 0x80000000, v216
	v_cndmask_b32_e64 v218, v199, v218, s0
	v_cndmask_b32_e32 v220, v201, v220, vcc_lo
	v_cmp_gt_f64_e32 vcc_lo, 0, v[215:216]
	v_cmp_gt_f64_e64 s0, 0, v[213:214]
	v_mov_b32_e32 v221, v215
	v_add_f64 v[217:218], v[217:218], v[219:220]
	v_xor_b32_e32 v220, 0x80000000, v214
	v_mov_b32_e32 v219, v213
	v_cndmask_b32_e32 v222, v216, v222, vcc_lo
	v_cndmask_b32_e64 v220, v214, v220, s0
	v_add_f64 v[219:220], v[219:220], v[221:222]
	v_cmp_lt_f64_e32 vcc_lo, v[217:218], v[219:220]
	v_cndmask_b32_e32 v199, v199, v214, vcc_lo
	v_cndmask_b32_e32 v198, v198, v213, vcc_lo
	;; [unrolled: 1-line block ×4, first 2 shown]
	v_cndmask_b32_e64 v206, v206, s7, vcc_lo
	s_add_i32 s7, s7, 1
	s_cmp_lg_u32 s1, s7
	s_cbranch_scc1 .LBB96_400
.LBB96_401:
	s_inst_prefetch 0x2
	s_waitcnt lgkmcnt(0)
	v_cmp_eq_f64_e32 vcc_lo, 0, v[198:199]
	v_cmp_eq_f64_e64 s0, 0, v[200:201]
	s_and_b32 s0, vcc_lo, s0
	s_and_saveexec_b32 s7, s0
	s_xor_b32 s0, exec_lo, s7
; %bb.402:
	v_cmp_ne_u32_e32 vcc_lo, 0, v211
	v_cndmask_b32_e32 v211, 20, v211, vcc_lo
; %bb.403:
	s_andn2_saveexec_b32 s0, s0
	s_cbranch_execz .LBB96_409
; %bb.404:
	v_cmp_ngt_f64_e64 s7, |v[198:199]|, |v[200:201]|
	s_and_saveexec_b32 s8, s7
	s_xor_b32 s7, exec_lo, s8
	s_cbranch_execz .LBB96_406
; %bb.405:
	v_div_scale_f64 v[213:214], null, v[200:201], v[200:201], v[198:199]
	v_div_scale_f64 v[219:220], vcc_lo, v[198:199], v[200:201], v[198:199]
	v_rcp_f64_e32 v[215:216], v[213:214]
	v_fma_f64 v[217:218], -v[213:214], v[215:216], 1.0
	v_fma_f64 v[215:216], v[215:216], v[217:218], v[215:216]
	v_fma_f64 v[217:218], -v[213:214], v[215:216], 1.0
	v_fma_f64 v[215:216], v[215:216], v[217:218], v[215:216]
	v_mul_f64 v[217:218], v[219:220], v[215:216]
	v_fma_f64 v[213:214], -v[213:214], v[217:218], v[219:220]
	v_div_fmas_f64 v[213:214], v[213:214], v[215:216], v[217:218]
	v_div_fixup_f64 v[213:214], v[213:214], v[200:201], v[198:199]
	v_fma_f64 v[198:199], v[198:199], v[213:214], v[200:201]
	v_div_scale_f64 v[200:201], null, v[198:199], v[198:199], 1.0
	v_rcp_f64_e32 v[215:216], v[200:201]
	v_fma_f64 v[217:218], -v[200:201], v[215:216], 1.0
	v_fma_f64 v[215:216], v[215:216], v[217:218], v[215:216]
	v_fma_f64 v[217:218], -v[200:201], v[215:216], 1.0
	v_fma_f64 v[215:216], v[215:216], v[217:218], v[215:216]
	v_div_scale_f64 v[217:218], vcc_lo, 1.0, v[198:199], 1.0
	v_mul_f64 v[219:220], v[217:218], v[215:216]
	v_fma_f64 v[200:201], -v[200:201], v[219:220], v[217:218]
	v_div_fmas_f64 v[200:201], v[200:201], v[215:216], v[219:220]
	v_div_fixup_f64 v[200:201], v[200:201], v[198:199], 1.0
	v_mul_f64 v[198:199], v[213:214], v[200:201]
	v_xor_b32_e32 v201, 0x80000000, v201
.LBB96_406:
	s_andn2_saveexec_b32 s7, s7
	s_cbranch_execz .LBB96_408
; %bb.407:
	v_div_scale_f64 v[213:214], null, v[198:199], v[198:199], v[200:201]
	v_div_scale_f64 v[219:220], vcc_lo, v[200:201], v[198:199], v[200:201]
	v_rcp_f64_e32 v[215:216], v[213:214]
	v_fma_f64 v[217:218], -v[213:214], v[215:216], 1.0
	v_fma_f64 v[215:216], v[215:216], v[217:218], v[215:216]
	v_fma_f64 v[217:218], -v[213:214], v[215:216], 1.0
	v_fma_f64 v[215:216], v[215:216], v[217:218], v[215:216]
	v_mul_f64 v[217:218], v[219:220], v[215:216]
	v_fma_f64 v[213:214], -v[213:214], v[217:218], v[219:220]
	v_div_fmas_f64 v[213:214], v[213:214], v[215:216], v[217:218]
	v_div_fixup_f64 v[213:214], v[213:214], v[198:199], v[200:201]
	v_fma_f64 v[198:199], v[200:201], v[213:214], v[198:199]
	v_div_scale_f64 v[200:201], null, v[198:199], v[198:199], 1.0
	v_rcp_f64_e32 v[215:216], v[200:201]
	v_fma_f64 v[217:218], -v[200:201], v[215:216], 1.0
	v_fma_f64 v[215:216], v[215:216], v[217:218], v[215:216]
	v_fma_f64 v[217:218], -v[200:201], v[215:216], 1.0
	v_fma_f64 v[215:216], v[215:216], v[217:218], v[215:216]
	v_div_scale_f64 v[217:218], vcc_lo, 1.0, v[198:199], 1.0
	v_mul_f64 v[219:220], v[217:218], v[215:216]
	v_fma_f64 v[200:201], -v[200:201], v[219:220], v[217:218]
	v_div_fmas_f64 v[200:201], v[200:201], v[215:216], v[219:220]
	v_div_fixup_f64 v[198:199], v[200:201], v[198:199], 1.0
	v_mul_f64 v[200:201], v[213:214], -v[198:199]
.LBB96_408:
	s_or_b32 exec_lo, exec_lo, s7
.LBB96_409:
	s_or_b32 exec_lo, exec_lo, s0
	s_mov_b32 s0, exec_lo
	v_cmpx_ne_u32_e64 v212, v206
	s_xor_b32 s0, exec_lo, s0
	s_cbranch_execz .LBB96_415
; %bb.410:
	s_mov_b32 s7, exec_lo
	v_cmpx_eq_u32_e32 19, v212
	s_cbranch_execz .LBB96_414
; %bb.411:
	v_cmp_ne_u32_e32 vcc_lo, 19, v206
	s_xor_b32 s8, s16, -1
	s_and_b32 s9, s8, vcc_lo
	s_and_saveexec_b32 s8, s9
	s_cbranch_execz .LBB96_413
; %bb.412:
	v_ashrrev_i32_e32 v207, 31, v206
	v_lshlrev_b64 v[212:213], 2, v[206:207]
	v_add_co_u32 v212, vcc_lo, v204, v212
	v_add_co_ci_u32_e64 v213, null, v205, v213, vcc_lo
	s_clause 0x1
	global_load_dword v0, v[212:213], off
	global_load_dword v207, v[204:205], off offset:76
	s_waitcnt vmcnt(1)
	global_store_dword v[204:205], v0, off offset:76
	s_waitcnt vmcnt(0)
	global_store_dword v[212:213], v207, off
.LBB96_413:
	s_or_b32 exec_lo, exec_lo, s8
	v_mov_b32_e32 v212, v206
	v_mov_b32_e32 v0, v206
.LBB96_414:
	s_or_b32 exec_lo, exec_lo, s7
.LBB96_415:
	s_andn2_saveexec_b32 s0, s0
	s_cbranch_execz .LBB96_417
; %bb.416:
	v_mov_b32_e32 v212, 19
	ds_write2_b64 v1, v[126:127], v[128:129] offset0:40 offset1:41
	ds_write2_b64 v1, v[122:123], v[124:125] offset0:42 offset1:43
	ds_write2_b64 v1, v[106:107], v[108:109] offset0:44 offset1:45
	ds_write2_b64 v1, v[102:103], v[104:105] offset0:46 offset1:47
	ds_write2_b64 v1, v[98:99], v[100:101] offset0:48 offset1:49
	ds_write2_b64 v1, v[94:95], v[96:97] offset0:50 offset1:51
	ds_write2_b64 v1, v[90:91], v[92:93] offset0:52 offset1:53
	ds_write2_b64 v1, v[86:87], v[88:89] offset0:54 offset1:55
	ds_write2_b64 v1, v[82:83], v[84:85] offset0:56 offset1:57
	ds_write2_b64 v1, v[78:79], v[80:81] offset0:58 offset1:59
	ds_write2_b64 v1, v[74:75], v[76:77] offset0:60 offset1:61
	ds_write2_b64 v1, v[70:71], v[72:73] offset0:62 offset1:63
	ds_write2_b64 v1, v[66:67], v[68:69] offset0:64 offset1:65
	ds_write2_b64 v1, v[62:63], v[64:65] offset0:66 offset1:67
	ds_write2_b64 v1, v[58:59], v[60:61] offset0:68 offset1:69
	ds_write2_b64 v1, v[54:55], v[56:57] offset0:70 offset1:71
	ds_write2_b64 v1, v[50:51], v[52:53] offset0:72 offset1:73
	ds_write2_b64 v1, v[46:47], v[48:49] offset0:74 offset1:75
	ds_write2_b64 v1, v[42:43], v[44:45] offset0:76 offset1:77
	ds_write2_b64 v1, v[38:39], v[40:41] offset0:78 offset1:79
	ds_write2_b64 v1, v[34:35], v[36:37] offset0:80 offset1:81
	ds_write2_b64 v1, v[30:31], v[32:33] offset0:82 offset1:83
	ds_write2_b64 v1, v[26:27], v[28:29] offset0:84 offset1:85
	ds_write2_b64 v1, v[22:23], v[24:25] offset0:86 offset1:87
	ds_write2_b64 v1, v[18:19], v[20:21] offset0:88 offset1:89
	ds_write2_b64 v1, v[14:15], v[16:17] offset0:90 offset1:91
	ds_write2_b64 v1, v[10:11], v[12:13] offset0:92 offset1:93
	ds_write2_b64 v1, v[6:7], v[8:9] offset0:94 offset1:95
	ds_write2_b64 v1, v[2:3], v[4:5] offset0:96 offset1:97
.LBB96_417:
	s_or_b32 exec_lo, exec_lo, s0
	s_mov_b32 s0, exec_lo
	s_waitcnt lgkmcnt(0)
	s_waitcnt_vscnt null, 0x0
	s_barrier
	buffer_gl0_inv
	v_cmpx_lt_i32_e32 19, v212
	s_cbranch_execz .LBB96_419
; %bb.418:
	v_mul_f64 v[206:207], v[200:201], v[132:133]
	v_mul_f64 v[132:133], v[198:199], v[132:133]
	v_fma_f64 v[206:207], v[198:199], v[130:131], -v[206:207]
	v_fma_f64 v[132:133], v[200:201], v[130:131], v[132:133]
	ds_read2_b64 v[198:201], v1 offset0:40 offset1:41
	s_waitcnt lgkmcnt(0)
	v_mul_f64 v[130:131], v[200:201], v[132:133]
	v_fma_f64 v[130:131], v[198:199], v[206:207], -v[130:131]
	v_mul_f64 v[198:199], v[198:199], v[132:133]
	v_add_f64 v[126:127], v[126:127], -v[130:131]
	v_fma_f64 v[198:199], v[200:201], v[206:207], v[198:199]
	v_add_f64 v[128:129], v[128:129], -v[198:199]
	ds_read2_b64 v[198:201], v1 offset0:42 offset1:43
	s_waitcnt lgkmcnt(0)
	v_mul_f64 v[130:131], v[200:201], v[132:133]
	v_fma_f64 v[130:131], v[198:199], v[206:207], -v[130:131]
	v_mul_f64 v[198:199], v[198:199], v[132:133]
	v_add_f64 v[122:123], v[122:123], -v[130:131]
	v_fma_f64 v[198:199], v[200:201], v[206:207], v[198:199]
	v_add_f64 v[124:125], v[124:125], -v[198:199]
	;; [unrolled: 8-line block ×28, first 2 shown]
	ds_read2_b64 v[198:201], v1 offset0:96 offset1:97
	s_waitcnt lgkmcnt(0)
	v_mul_f64 v[130:131], v[200:201], v[132:133]
	v_fma_f64 v[130:131], v[198:199], v[206:207], -v[130:131]
	v_mul_f64 v[198:199], v[198:199], v[132:133]
	v_add_f64 v[2:3], v[2:3], -v[130:131]
	v_fma_f64 v[198:199], v[200:201], v[206:207], v[198:199]
	v_mov_b32_e32 v130, v206
	v_mov_b32_e32 v131, v207
	v_add_f64 v[4:5], v[4:5], -v[198:199]
.LBB96_419:
	s_or_b32 exec_lo, exec_lo, s0
	v_lshl_add_u32 v198, v212, 4, v1
	s_barrier
	buffer_gl0_inv
	v_mov_b32_e32 v206, 20
	ds_write2_b64 v198, v[126:127], v[128:129] offset1:1
	s_waitcnt lgkmcnt(0)
	s_barrier
	buffer_gl0_inv
	ds_read2_b64 v[198:201], v1 offset0:40 offset1:41
	s_cmp_lt_i32 s1, 22
	s_cbranch_scc1 .LBB96_422
; %bb.420:
	v_add3_u32 v207, v208, 0, 0x150
	v_mov_b32_e32 v206, 20
	s_mov_b32 s7, 21
	s_inst_prefetch 0x1
	.p2align	6
.LBB96_421:                             ; =>This Inner Loop Header: Depth=1
	s_waitcnt lgkmcnt(0)
	v_cmp_gt_f64_e32 vcc_lo, 0, v[200:201]
	v_cmp_gt_f64_e64 s0, 0, v[198:199]
	ds_read2_b64 v[213:216], v207 offset1:1
	v_xor_b32_e32 v218, 0x80000000, v199
	v_xor_b32_e32 v220, 0x80000000, v201
	v_mov_b32_e32 v217, v198
	v_mov_b32_e32 v219, v200
	v_add_nc_u32_e32 v207, 16, v207
	s_waitcnt lgkmcnt(0)
	v_xor_b32_e32 v222, 0x80000000, v216
	v_cndmask_b32_e64 v218, v199, v218, s0
	v_cndmask_b32_e32 v220, v201, v220, vcc_lo
	v_cmp_gt_f64_e32 vcc_lo, 0, v[215:216]
	v_cmp_gt_f64_e64 s0, 0, v[213:214]
	v_mov_b32_e32 v221, v215
	v_add_f64 v[217:218], v[217:218], v[219:220]
	v_xor_b32_e32 v220, 0x80000000, v214
	v_mov_b32_e32 v219, v213
	v_cndmask_b32_e32 v222, v216, v222, vcc_lo
	v_cndmask_b32_e64 v220, v214, v220, s0
	v_add_f64 v[219:220], v[219:220], v[221:222]
	v_cmp_lt_f64_e32 vcc_lo, v[217:218], v[219:220]
	v_cndmask_b32_e32 v199, v199, v214, vcc_lo
	v_cndmask_b32_e32 v198, v198, v213, vcc_lo
	;; [unrolled: 1-line block ×4, first 2 shown]
	v_cndmask_b32_e64 v206, v206, s7, vcc_lo
	s_add_i32 s7, s7, 1
	s_cmp_lg_u32 s1, s7
	s_cbranch_scc1 .LBB96_421
.LBB96_422:
	s_inst_prefetch 0x2
	s_waitcnt lgkmcnt(0)
	v_cmp_eq_f64_e32 vcc_lo, 0, v[198:199]
	v_cmp_eq_f64_e64 s0, 0, v[200:201]
	s_and_b32 s0, vcc_lo, s0
	s_and_saveexec_b32 s7, s0
	s_xor_b32 s0, exec_lo, s7
; %bb.423:
	v_cmp_ne_u32_e32 vcc_lo, 0, v211
	v_cndmask_b32_e32 v211, 21, v211, vcc_lo
; %bb.424:
	s_andn2_saveexec_b32 s0, s0
	s_cbranch_execz .LBB96_430
; %bb.425:
	v_cmp_ngt_f64_e64 s7, |v[198:199]|, |v[200:201]|
	s_and_saveexec_b32 s8, s7
	s_xor_b32 s7, exec_lo, s8
	s_cbranch_execz .LBB96_427
; %bb.426:
	v_div_scale_f64 v[213:214], null, v[200:201], v[200:201], v[198:199]
	v_div_scale_f64 v[219:220], vcc_lo, v[198:199], v[200:201], v[198:199]
	v_rcp_f64_e32 v[215:216], v[213:214]
	v_fma_f64 v[217:218], -v[213:214], v[215:216], 1.0
	v_fma_f64 v[215:216], v[215:216], v[217:218], v[215:216]
	v_fma_f64 v[217:218], -v[213:214], v[215:216], 1.0
	v_fma_f64 v[215:216], v[215:216], v[217:218], v[215:216]
	v_mul_f64 v[217:218], v[219:220], v[215:216]
	v_fma_f64 v[213:214], -v[213:214], v[217:218], v[219:220]
	v_div_fmas_f64 v[213:214], v[213:214], v[215:216], v[217:218]
	v_div_fixup_f64 v[213:214], v[213:214], v[200:201], v[198:199]
	v_fma_f64 v[198:199], v[198:199], v[213:214], v[200:201]
	v_div_scale_f64 v[200:201], null, v[198:199], v[198:199], 1.0
	v_rcp_f64_e32 v[215:216], v[200:201]
	v_fma_f64 v[217:218], -v[200:201], v[215:216], 1.0
	v_fma_f64 v[215:216], v[215:216], v[217:218], v[215:216]
	v_fma_f64 v[217:218], -v[200:201], v[215:216], 1.0
	v_fma_f64 v[215:216], v[215:216], v[217:218], v[215:216]
	v_div_scale_f64 v[217:218], vcc_lo, 1.0, v[198:199], 1.0
	v_mul_f64 v[219:220], v[217:218], v[215:216]
	v_fma_f64 v[200:201], -v[200:201], v[219:220], v[217:218]
	v_div_fmas_f64 v[200:201], v[200:201], v[215:216], v[219:220]
	v_div_fixup_f64 v[200:201], v[200:201], v[198:199], 1.0
	v_mul_f64 v[198:199], v[213:214], v[200:201]
	v_xor_b32_e32 v201, 0x80000000, v201
.LBB96_427:
	s_andn2_saveexec_b32 s7, s7
	s_cbranch_execz .LBB96_429
; %bb.428:
	v_div_scale_f64 v[213:214], null, v[198:199], v[198:199], v[200:201]
	v_div_scale_f64 v[219:220], vcc_lo, v[200:201], v[198:199], v[200:201]
	v_rcp_f64_e32 v[215:216], v[213:214]
	v_fma_f64 v[217:218], -v[213:214], v[215:216], 1.0
	v_fma_f64 v[215:216], v[215:216], v[217:218], v[215:216]
	v_fma_f64 v[217:218], -v[213:214], v[215:216], 1.0
	v_fma_f64 v[215:216], v[215:216], v[217:218], v[215:216]
	v_mul_f64 v[217:218], v[219:220], v[215:216]
	v_fma_f64 v[213:214], -v[213:214], v[217:218], v[219:220]
	v_div_fmas_f64 v[213:214], v[213:214], v[215:216], v[217:218]
	v_div_fixup_f64 v[213:214], v[213:214], v[198:199], v[200:201]
	v_fma_f64 v[198:199], v[200:201], v[213:214], v[198:199]
	v_div_scale_f64 v[200:201], null, v[198:199], v[198:199], 1.0
	v_rcp_f64_e32 v[215:216], v[200:201]
	v_fma_f64 v[217:218], -v[200:201], v[215:216], 1.0
	v_fma_f64 v[215:216], v[215:216], v[217:218], v[215:216]
	v_fma_f64 v[217:218], -v[200:201], v[215:216], 1.0
	v_fma_f64 v[215:216], v[215:216], v[217:218], v[215:216]
	v_div_scale_f64 v[217:218], vcc_lo, 1.0, v[198:199], 1.0
	v_mul_f64 v[219:220], v[217:218], v[215:216]
	v_fma_f64 v[200:201], -v[200:201], v[219:220], v[217:218]
	v_div_fmas_f64 v[200:201], v[200:201], v[215:216], v[219:220]
	v_div_fixup_f64 v[198:199], v[200:201], v[198:199], 1.0
	v_mul_f64 v[200:201], v[213:214], -v[198:199]
.LBB96_429:
	s_or_b32 exec_lo, exec_lo, s7
.LBB96_430:
	s_or_b32 exec_lo, exec_lo, s0
	s_mov_b32 s0, exec_lo
	v_cmpx_ne_u32_e64 v212, v206
	s_xor_b32 s0, exec_lo, s0
	s_cbranch_execz .LBB96_436
; %bb.431:
	s_mov_b32 s7, exec_lo
	v_cmpx_eq_u32_e32 20, v212
	s_cbranch_execz .LBB96_435
; %bb.432:
	v_cmp_ne_u32_e32 vcc_lo, 20, v206
	s_xor_b32 s8, s16, -1
	s_and_b32 s9, s8, vcc_lo
	s_and_saveexec_b32 s8, s9
	s_cbranch_execz .LBB96_434
; %bb.433:
	v_ashrrev_i32_e32 v207, 31, v206
	v_lshlrev_b64 v[212:213], 2, v[206:207]
	v_add_co_u32 v212, vcc_lo, v204, v212
	v_add_co_ci_u32_e64 v213, null, v205, v213, vcc_lo
	s_clause 0x1
	global_load_dword v0, v[212:213], off
	global_load_dword v207, v[204:205], off offset:80
	s_waitcnt vmcnt(1)
	global_store_dword v[204:205], v0, off offset:80
	s_waitcnt vmcnt(0)
	global_store_dword v[212:213], v207, off
.LBB96_434:
	s_or_b32 exec_lo, exec_lo, s8
	v_mov_b32_e32 v212, v206
	v_mov_b32_e32 v0, v206
.LBB96_435:
	s_or_b32 exec_lo, exec_lo, s7
.LBB96_436:
	s_andn2_saveexec_b32 s0, s0
	s_cbranch_execz .LBB96_438
; %bb.437:
	v_mov_b32_e32 v212, 20
	ds_write2_b64 v1, v[122:123], v[124:125] offset0:42 offset1:43
	ds_write2_b64 v1, v[106:107], v[108:109] offset0:44 offset1:45
	;; [unrolled: 1-line block ×28, first 2 shown]
.LBB96_438:
	s_or_b32 exec_lo, exec_lo, s0
	s_mov_b32 s0, exec_lo
	s_waitcnt lgkmcnt(0)
	s_waitcnt_vscnt null, 0x0
	s_barrier
	buffer_gl0_inv
	v_cmpx_lt_i32_e32 20, v212
	s_cbranch_execz .LBB96_440
; %bb.439:
	v_mul_f64 v[206:207], v[200:201], v[128:129]
	v_mul_f64 v[128:129], v[198:199], v[128:129]
	v_fma_f64 v[206:207], v[198:199], v[126:127], -v[206:207]
	v_fma_f64 v[128:129], v[200:201], v[126:127], v[128:129]
	ds_read2_b64 v[198:201], v1 offset0:42 offset1:43
	s_waitcnt lgkmcnt(0)
	v_mul_f64 v[126:127], v[200:201], v[128:129]
	v_fma_f64 v[126:127], v[198:199], v[206:207], -v[126:127]
	v_mul_f64 v[198:199], v[198:199], v[128:129]
	v_add_f64 v[122:123], v[122:123], -v[126:127]
	v_fma_f64 v[198:199], v[200:201], v[206:207], v[198:199]
	v_add_f64 v[124:125], v[124:125], -v[198:199]
	ds_read2_b64 v[198:201], v1 offset0:44 offset1:45
	s_waitcnt lgkmcnt(0)
	v_mul_f64 v[126:127], v[200:201], v[128:129]
	v_fma_f64 v[126:127], v[198:199], v[206:207], -v[126:127]
	v_mul_f64 v[198:199], v[198:199], v[128:129]
	v_add_f64 v[106:107], v[106:107], -v[126:127]
	v_fma_f64 v[198:199], v[200:201], v[206:207], v[198:199]
	v_add_f64 v[108:109], v[108:109], -v[198:199]
	;; [unrolled: 8-line block ×27, first 2 shown]
	ds_read2_b64 v[198:201], v1 offset0:96 offset1:97
	s_waitcnt lgkmcnt(0)
	v_mul_f64 v[126:127], v[200:201], v[128:129]
	v_fma_f64 v[126:127], v[198:199], v[206:207], -v[126:127]
	v_mul_f64 v[198:199], v[198:199], v[128:129]
	v_add_f64 v[2:3], v[2:3], -v[126:127]
	v_fma_f64 v[198:199], v[200:201], v[206:207], v[198:199]
	v_mov_b32_e32 v126, v206
	v_mov_b32_e32 v127, v207
	v_add_f64 v[4:5], v[4:5], -v[198:199]
.LBB96_440:
	s_or_b32 exec_lo, exec_lo, s0
	v_lshl_add_u32 v198, v212, 4, v1
	s_barrier
	buffer_gl0_inv
	v_mov_b32_e32 v206, 21
	ds_write2_b64 v198, v[122:123], v[124:125] offset1:1
	s_waitcnt lgkmcnt(0)
	s_barrier
	buffer_gl0_inv
	ds_read2_b64 v[198:201], v1 offset0:42 offset1:43
	s_cmp_lt_i32 s1, 23
	s_cbranch_scc1 .LBB96_443
; %bb.441:
	v_add3_u32 v207, v208, 0, 0x160
	v_mov_b32_e32 v206, 21
	s_mov_b32 s7, 22
	s_inst_prefetch 0x1
	.p2align	6
.LBB96_442:                             ; =>This Inner Loop Header: Depth=1
	s_waitcnt lgkmcnt(0)
	v_cmp_gt_f64_e32 vcc_lo, 0, v[200:201]
	v_cmp_gt_f64_e64 s0, 0, v[198:199]
	ds_read2_b64 v[213:216], v207 offset1:1
	v_xor_b32_e32 v218, 0x80000000, v199
	v_xor_b32_e32 v220, 0x80000000, v201
	v_mov_b32_e32 v217, v198
	v_mov_b32_e32 v219, v200
	v_add_nc_u32_e32 v207, 16, v207
	s_waitcnt lgkmcnt(0)
	v_xor_b32_e32 v222, 0x80000000, v216
	v_cndmask_b32_e64 v218, v199, v218, s0
	v_cndmask_b32_e32 v220, v201, v220, vcc_lo
	v_cmp_gt_f64_e32 vcc_lo, 0, v[215:216]
	v_cmp_gt_f64_e64 s0, 0, v[213:214]
	v_mov_b32_e32 v221, v215
	v_add_f64 v[217:218], v[217:218], v[219:220]
	v_xor_b32_e32 v220, 0x80000000, v214
	v_mov_b32_e32 v219, v213
	v_cndmask_b32_e32 v222, v216, v222, vcc_lo
	v_cndmask_b32_e64 v220, v214, v220, s0
	v_add_f64 v[219:220], v[219:220], v[221:222]
	v_cmp_lt_f64_e32 vcc_lo, v[217:218], v[219:220]
	v_cndmask_b32_e32 v199, v199, v214, vcc_lo
	v_cndmask_b32_e32 v198, v198, v213, vcc_lo
	;; [unrolled: 1-line block ×4, first 2 shown]
	v_cndmask_b32_e64 v206, v206, s7, vcc_lo
	s_add_i32 s7, s7, 1
	s_cmp_lg_u32 s1, s7
	s_cbranch_scc1 .LBB96_442
.LBB96_443:
	s_inst_prefetch 0x2
	s_waitcnt lgkmcnt(0)
	v_cmp_eq_f64_e32 vcc_lo, 0, v[198:199]
	v_cmp_eq_f64_e64 s0, 0, v[200:201]
	s_and_b32 s0, vcc_lo, s0
	s_and_saveexec_b32 s7, s0
	s_xor_b32 s0, exec_lo, s7
; %bb.444:
	v_cmp_ne_u32_e32 vcc_lo, 0, v211
	v_cndmask_b32_e32 v211, 22, v211, vcc_lo
; %bb.445:
	s_andn2_saveexec_b32 s0, s0
	s_cbranch_execz .LBB96_451
; %bb.446:
	v_cmp_ngt_f64_e64 s7, |v[198:199]|, |v[200:201]|
	s_and_saveexec_b32 s8, s7
	s_xor_b32 s7, exec_lo, s8
	s_cbranch_execz .LBB96_448
; %bb.447:
	v_div_scale_f64 v[213:214], null, v[200:201], v[200:201], v[198:199]
	v_div_scale_f64 v[219:220], vcc_lo, v[198:199], v[200:201], v[198:199]
	v_rcp_f64_e32 v[215:216], v[213:214]
	v_fma_f64 v[217:218], -v[213:214], v[215:216], 1.0
	v_fma_f64 v[215:216], v[215:216], v[217:218], v[215:216]
	v_fma_f64 v[217:218], -v[213:214], v[215:216], 1.0
	v_fma_f64 v[215:216], v[215:216], v[217:218], v[215:216]
	v_mul_f64 v[217:218], v[219:220], v[215:216]
	v_fma_f64 v[213:214], -v[213:214], v[217:218], v[219:220]
	v_div_fmas_f64 v[213:214], v[213:214], v[215:216], v[217:218]
	v_div_fixup_f64 v[213:214], v[213:214], v[200:201], v[198:199]
	v_fma_f64 v[198:199], v[198:199], v[213:214], v[200:201]
	v_div_scale_f64 v[200:201], null, v[198:199], v[198:199], 1.0
	v_rcp_f64_e32 v[215:216], v[200:201]
	v_fma_f64 v[217:218], -v[200:201], v[215:216], 1.0
	v_fma_f64 v[215:216], v[215:216], v[217:218], v[215:216]
	v_fma_f64 v[217:218], -v[200:201], v[215:216], 1.0
	v_fma_f64 v[215:216], v[215:216], v[217:218], v[215:216]
	v_div_scale_f64 v[217:218], vcc_lo, 1.0, v[198:199], 1.0
	v_mul_f64 v[219:220], v[217:218], v[215:216]
	v_fma_f64 v[200:201], -v[200:201], v[219:220], v[217:218]
	v_div_fmas_f64 v[200:201], v[200:201], v[215:216], v[219:220]
	v_div_fixup_f64 v[200:201], v[200:201], v[198:199], 1.0
	v_mul_f64 v[198:199], v[213:214], v[200:201]
	v_xor_b32_e32 v201, 0x80000000, v201
.LBB96_448:
	s_andn2_saveexec_b32 s7, s7
	s_cbranch_execz .LBB96_450
; %bb.449:
	v_div_scale_f64 v[213:214], null, v[198:199], v[198:199], v[200:201]
	v_div_scale_f64 v[219:220], vcc_lo, v[200:201], v[198:199], v[200:201]
	v_rcp_f64_e32 v[215:216], v[213:214]
	v_fma_f64 v[217:218], -v[213:214], v[215:216], 1.0
	v_fma_f64 v[215:216], v[215:216], v[217:218], v[215:216]
	v_fma_f64 v[217:218], -v[213:214], v[215:216], 1.0
	v_fma_f64 v[215:216], v[215:216], v[217:218], v[215:216]
	v_mul_f64 v[217:218], v[219:220], v[215:216]
	v_fma_f64 v[213:214], -v[213:214], v[217:218], v[219:220]
	v_div_fmas_f64 v[213:214], v[213:214], v[215:216], v[217:218]
	v_div_fixup_f64 v[213:214], v[213:214], v[198:199], v[200:201]
	v_fma_f64 v[198:199], v[200:201], v[213:214], v[198:199]
	v_div_scale_f64 v[200:201], null, v[198:199], v[198:199], 1.0
	v_rcp_f64_e32 v[215:216], v[200:201]
	v_fma_f64 v[217:218], -v[200:201], v[215:216], 1.0
	v_fma_f64 v[215:216], v[215:216], v[217:218], v[215:216]
	v_fma_f64 v[217:218], -v[200:201], v[215:216], 1.0
	v_fma_f64 v[215:216], v[215:216], v[217:218], v[215:216]
	v_div_scale_f64 v[217:218], vcc_lo, 1.0, v[198:199], 1.0
	v_mul_f64 v[219:220], v[217:218], v[215:216]
	v_fma_f64 v[200:201], -v[200:201], v[219:220], v[217:218]
	v_div_fmas_f64 v[200:201], v[200:201], v[215:216], v[219:220]
	v_div_fixup_f64 v[198:199], v[200:201], v[198:199], 1.0
	v_mul_f64 v[200:201], v[213:214], -v[198:199]
.LBB96_450:
	s_or_b32 exec_lo, exec_lo, s7
.LBB96_451:
	s_or_b32 exec_lo, exec_lo, s0
	s_mov_b32 s0, exec_lo
	v_cmpx_ne_u32_e64 v212, v206
	s_xor_b32 s0, exec_lo, s0
	s_cbranch_execz .LBB96_457
; %bb.452:
	s_mov_b32 s7, exec_lo
	v_cmpx_eq_u32_e32 21, v212
	s_cbranch_execz .LBB96_456
; %bb.453:
	v_cmp_ne_u32_e32 vcc_lo, 21, v206
	s_xor_b32 s8, s16, -1
	s_and_b32 s9, s8, vcc_lo
	s_and_saveexec_b32 s8, s9
	s_cbranch_execz .LBB96_455
; %bb.454:
	v_ashrrev_i32_e32 v207, 31, v206
	v_lshlrev_b64 v[212:213], 2, v[206:207]
	v_add_co_u32 v212, vcc_lo, v204, v212
	v_add_co_ci_u32_e64 v213, null, v205, v213, vcc_lo
	s_clause 0x1
	global_load_dword v0, v[212:213], off
	global_load_dword v207, v[204:205], off offset:84
	s_waitcnt vmcnt(1)
	global_store_dword v[204:205], v0, off offset:84
	s_waitcnt vmcnt(0)
	global_store_dword v[212:213], v207, off
.LBB96_455:
	s_or_b32 exec_lo, exec_lo, s8
	v_mov_b32_e32 v212, v206
	v_mov_b32_e32 v0, v206
.LBB96_456:
	s_or_b32 exec_lo, exec_lo, s7
.LBB96_457:
	s_andn2_saveexec_b32 s0, s0
	s_cbranch_execz .LBB96_459
; %bb.458:
	v_mov_b32_e32 v212, 21
	ds_write2_b64 v1, v[106:107], v[108:109] offset0:44 offset1:45
	ds_write2_b64 v1, v[102:103], v[104:105] offset0:46 offset1:47
	ds_write2_b64 v1, v[98:99], v[100:101] offset0:48 offset1:49
	ds_write2_b64 v1, v[94:95], v[96:97] offset0:50 offset1:51
	ds_write2_b64 v1, v[90:91], v[92:93] offset0:52 offset1:53
	ds_write2_b64 v1, v[86:87], v[88:89] offset0:54 offset1:55
	ds_write2_b64 v1, v[82:83], v[84:85] offset0:56 offset1:57
	ds_write2_b64 v1, v[78:79], v[80:81] offset0:58 offset1:59
	ds_write2_b64 v1, v[74:75], v[76:77] offset0:60 offset1:61
	ds_write2_b64 v1, v[70:71], v[72:73] offset0:62 offset1:63
	ds_write2_b64 v1, v[66:67], v[68:69] offset0:64 offset1:65
	ds_write2_b64 v1, v[62:63], v[64:65] offset0:66 offset1:67
	ds_write2_b64 v1, v[58:59], v[60:61] offset0:68 offset1:69
	ds_write2_b64 v1, v[54:55], v[56:57] offset0:70 offset1:71
	ds_write2_b64 v1, v[50:51], v[52:53] offset0:72 offset1:73
	ds_write2_b64 v1, v[46:47], v[48:49] offset0:74 offset1:75
	ds_write2_b64 v1, v[42:43], v[44:45] offset0:76 offset1:77
	ds_write2_b64 v1, v[38:39], v[40:41] offset0:78 offset1:79
	ds_write2_b64 v1, v[34:35], v[36:37] offset0:80 offset1:81
	ds_write2_b64 v1, v[30:31], v[32:33] offset0:82 offset1:83
	ds_write2_b64 v1, v[26:27], v[28:29] offset0:84 offset1:85
	ds_write2_b64 v1, v[22:23], v[24:25] offset0:86 offset1:87
	ds_write2_b64 v1, v[18:19], v[20:21] offset0:88 offset1:89
	ds_write2_b64 v1, v[14:15], v[16:17] offset0:90 offset1:91
	ds_write2_b64 v1, v[10:11], v[12:13] offset0:92 offset1:93
	ds_write2_b64 v1, v[6:7], v[8:9] offset0:94 offset1:95
	ds_write2_b64 v1, v[2:3], v[4:5] offset0:96 offset1:97
.LBB96_459:
	s_or_b32 exec_lo, exec_lo, s0
	s_mov_b32 s0, exec_lo
	s_waitcnt lgkmcnt(0)
	s_waitcnt_vscnt null, 0x0
	s_barrier
	buffer_gl0_inv
	v_cmpx_lt_i32_e32 21, v212
	s_cbranch_execz .LBB96_461
; %bb.460:
	v_mul_f64 v[206:207], v[200:201], v[124:125]
	v_mul_f64 v[124:125], v[198:199], v[124:125]
	v_fma_f64 v[206:207], v[198:199], v[122:123], -v[206:207]
	v_fma_f64 v[124:125], v[200:201], v[122:123], v[124:125]
	ds_read2_b64 v[198:201], v1 offset0:44 offset1:45
	s_waitcnt lgkmcnt(0)
	v_mul_f64 v[122:123], v[200:201], v[124:125]
	v_fma_f64 v[122:123], v[198:199], v[206:207], -v[122:123]
	v_mul_f64 v[198:199], v[198:199], v[124:125]
	v_add_f64 v[106:107], v[106:107], -v[122:123]
	v_fma_f64 v[198:199], v[200:201], v[206:207], v[198:199]
	v_add_f64 v[108:109], v[108:109], -v[198:199]
	ds_read2_b64 v[198:201], v1 offset0:46 offset1:47
	s_waitcnt lgkmcnt(0)
	v_mul_f64 v[122:123], v[200:201], v[124:125]
	v_fma_f64 v[122:123], v[198:199], v[206:207], -v[122:123]
	v_mul_f64 v[198:199], v[198:199], v[124:125]
	v_add_f64 v[102:103], v[102:103], -v[122:123]
	v_fma_f64 v[198:199], v[200:201], v[206:207], v[198:199]
	v_add_f64 v[104:105], v[104:105], -v[198:199]
	;; [unrolled: 8-line block ×26, first 2 shown]
	ds_read2_b64 v[198:201], v1 offset0:96 offset1:97
	s_waitcnt lgkmcnt(0)
	v_mul_f64 v[122:123], v[200:201], v[124:125]
	v_fma_f64 v[122:123], v[198:199], v[206:207], -v[122:123]
	v_mul_f64 v[198:199], v[198:199], v[124:125]
	v_add_f64 v[2:3], v[2:3], -v[122:123]
	v_fma_f64 v[198:199], v[200:201], v[206:207], v[198:199]
	v_mov_b32_e32 v122, v206
	v_mov_b32_e32 v123, v207
	v_add_f64 v[4:5], v[4:5], -v[198:199]
.LBB96_461:
	s_or_b32 exec_lo, exec_lo, s0
	v_lshl_add_u32 v198, v212, 4, v1
	s_barrier
	buffer_gl0_inv
	v_mov_b32_e32 v206, 22
	ds_write2_b64 v198, v[106:107], v[108:109] offset1:1
	s_waitcnt lgkmcnt(0)
	s_barrier
	buffer_gl0_inv
	ds_read2_b64 v[198:201], v1 offset0:44 offset1:45
	s_cmp_lt_i32 s1, 24
	s_cbranch_scc1 .LBB96_464
; %bb.462:
	v_add3_u32 v207, v208, 0, 0x170
	v_mov_b32_e32 v206, 22
	s_mov_b32 s7, 23
	s_inst_prefetch 0x1
	.p2align	6
.LBB96_463:                             ; =>This Inner Loop Header: Depth=1
	s_waitcnt lgkmcnt(0)
	v_cmp_gt_f64_e32 vcc_lo, 0, v[200:201]
	v_cmp_gt_f64_e64 s0, 0, v[198:199]
	ds_read2_b64 v[213:216], v207 offset1:1
	v_xor_b32_e32 v218, 0x80000000, v199
	v_xor_b32_e32 v220, 0x80000000, v201
	v_mov_b32_e32 v217, v198
	v_mov_b32_e32 v219, v200
	v_add_nc_u32_e32 v207, 16, v207
	s_waitcnt lgkmcnt(0)
	v_xor_b32_e32 v222, 0x80000000, v216
	v_cndmask_b32_e64 v218, v199, v218, s0
	v_cndmask_b32_e32 v220, v201, v220, vcc_lo
	v_cmp_gt_f64_e32 vcc_lo, 0, v[215:216]
	v_cmp_gt_f64_e64 s0, 0, v[213:214]
	v_mov_b32_e32 v221, v215
	v_add_f64 v[217:218], v[217:218], v[219:220]
	v_xor_b32_e32 v220, 0x80000000, v214
	v_mov_b32_e32 v219, v213
	v_cndmask_b32_e32 v222, v216, v222, vcc_lo
	v_cndmask_b32_e64 v220, v214, v220, s0
	v_add_f64 v[219:220], v[219:220], v[221:222]
	v_cmp_lt_f64_e32 vcc_lo, v[217:218], v[219:220]
	v_cndmask_b32_e32 v199, v199, v214, vcc_lo
	v_cndmask_b32_e32 v198, v198, v213, vcc_lo
	;; [unrolled: 1-line block ×4, first 2 shown]
	v_cndmask_b32_e64 v206, v206, s7, vcc_lo
	s_add_i32 s7, s7, 1
	s_cmp_lg_u32 s1, s7
	s_cbranch_scc1 .LBB96_463
.LBB96_464:
	s_inst_prefetch 0x2
	s_waitcnt lgkmcnt(0)
	v_cmp_eq_f64_e32 vcc_lo, 0, v[198:199]
	v_cmp_eq_f64_e64 s0, 0, v[200:201]
	s_and_b32 s0, vcc_lo, s0
	s_and_saveexec_b32 s7, s0
	s_xor_b32 s0, exec_lo, s7
; %bb.465:
	v_cmp_ne_u32_e32 vcc_lo, 0, v211
	v_cndmask_b32_e32 v211, 23, v211, vcc_lo
; %bb.466:
	s_andn2_saveexec_b32 s0, s0
	s_cbranch_execz .LBB96_472
; %bb.467:
	v_cmp_ngt_f64_e64 s7, |v[198:199]|, |v[200:201]|
	s_and_saveexec_b32 s8, s7
	s_xor_b32 s7, exec_lo, s8
	s_cbranch_execz .LBB96_469
; %bb.468:
	v_div_scale_f64 v[213:214], null, v[200:201], v[200:201], v[198:199]
	v_div_scale_f64 v[219:220], vcc_lo, v[198:199], v[200:201], v[198:199]
	v_rcp_f64_e32 v[215:216], v[213:214]
	v_fma_f64 v[217:218], -v[213:214], v[215:216], 1.0
	v_fma_f64 v[215:216], v[215:216], v[217:218], v[215:216]
	v_fma_f64 v[217:218], -v[213:214], v[215:216], 1.0
	v_fma_f64 v[215:216], v[215:216], v[217:218], v[215:216]
	v_mul_f64 v[217:218], v[219:220], v[215:216]
	v_fma_f64 v[213:214], -v[213:214], v[217:218], v[219:220]
	v_div_fmas_f64 v[213:214], v[213:214], v[215:216], v[217:218]
	v_div_fixup_f64 v[213:214], v[213:214], v[200:201], v[198:199]
	v_fma_f64 v[198:199], v[198:199], v[213:214], v[200:201]
	v_div_scale_f64 v[200:201], null, v[198:199], v[198:199], 1.0
	v_rcp_f64_e32 v[215:216], v[200:201]
	v_fma_f64 v[217:218], -v[200:201], v[215:216], 1.0
	v_fma_f64 v[215:216], v[215:216], v[217:218], v[215:216]
	v_fma_f64 v[217:218], -v[200:201], v[215:216], 1.0
	v_fma_f64 v[215:216], v[215:216], v[217:218], v[215:216]
	v_div_scale_f64 v[217:218], vcc_lo, 1.0, v[198:199], 1.0
	v_mul_f64 v[219:220], v[217:218], v[215:216]
	v_fma_f64 v[200:201], -v[200:201], v[219:220], v[217:218]
	v_div_fmas_f64 v[200:201], v[200:201], v[215:216], v[219:220]
	v_div_fixup_f64 v[200:201], v[200:201], v[198:199], 1.0
	v_mul_f64 v[198:199], v[213:214], v[200:201]
	v_xor_b32_e32 v201, 0x80000000, v201
.LBB96_469:
	s_andn2_saveexec_b32 s7, s7
	s_cbranch_execz .LBB96_471
; %bb.470:
	v_div_scale_f64 v[213:214], null, v[198:199], v[198:199], v[200:201]
	v_div_scale_f64 v[219:220], vcc_lo, v[200:201], v[198:199], v[200:201]
	v_rcp_f64_e32 v[215:216], v[213:214]
	v_fma_f64 v[217:218], -v[213:214], v[215:216], 1.0
	v_fma_f64 v[215:216], v[215:216], v[217:218], v[215:216]
	v_fma_f64 v[217:218], -v[213:214], v[215:216], 1.0
	v_fma_f64 v[215:216], v[215:216], v[217:218], v[215:216]
	v_mul_f64 v[217:218], v[219:220], v[215:216]
	v_fma_f64 v[213:214], -v[213:214], v[217:218], v[219:220]
	v_div_fmas_f64 v[213:214], v[213:214], v[215:216], v[217:218]
	v_div_fixup_f64 v[213:214], v[213:214], v[198:199], v[200:201]
	v_fma_f64 v[198:199], v[200:201], v[213:214], v[198:199]
	v_div_scale_f64 v[200:201], null, v[198:199], v[198:199], 1.0
	v_rcp_f64_e32 v[215:216], v[200:201]
	v_fma_f64 v[217:218], -v[200:201], v[215:216], 1.0
	v_fma_f64 v[215:216], v[215:216], v[217:218], v[215:216]
	v_fma_f64 v[217:218], -v[200:201], v[215:216], 1.0
	v_fma_f64 v[215:216], v[215:216], v[217:218], v[215:216]
	v_div_scale_f64 v[217:218], vcc_lo, 1.0, v[198:199], 1.0
	v_mul_f64 v[219:220], v[217:218], v[215:216]
	v_fma_f64 v[200:201], -v[200:201], v[219:220], v[217:218]
	v_div_fmas_f64 v[200:201], v[200:201], v[215:216], v[219:220]
	v_div_fixup_f64 v[198:199], v[200:201], v[198:199], 1.0
	v_mul_f64 v[200:201], v[213:214], -v[198:199]
.LBB96_471:
	s_or_b32 exec_lo, exec_lo, s7
.LBB96_472:
	s_or_b32 exec_lo, exec_lo, s0
	s_mov_b32 s0, exec_lo
	v_cmpx_ne_u32_e64 v212, v206
	s_xor_b32 s0, exec_lo, s0
	s_cbranch_execz .LBB96_478
; %bb.473:
	s_mov_b32 s7, exec_lo
	v_cmpx_eq_u32_e32 22, v212
	s_cbranch_execz .LBB96_477
; %bb.474:
	v_cmp_ne_u32_e32 vcc_lo, 22, v206
	s_xor_b32 s8, s16, -1
	s_and_b32 s9, s8, vcc_lo
	s_and_saveexec_b32 s8, s9
	s_cbranch_execz .LBB96_476
; %bb.475:
	v_ashrrev_i32_e32 v207, 31, v206
	v_lshlrev_b64 v[212:213], 2, v[206:207]
	v_add_co_u32 v212, vcc_lo, v204, v212
	v_add_co_ci_u32_e64 v213, null, v205, v213, vcc_lo
	s_clause 0x1
	global_load_dword v0, v[212:213], off
	global_load_dword v207, v[204:205], off offset:88
	s_waitcnt vmcnt(1)
	global_store_dword v[204:205], v0, off offset:88
	s_waitcnt vmcnt(0)
	global_store_dword v[212:213], v207, off
.LBB96_476:
	s_or_b32 exec_lo, exec_lo, s8
	v_mov_b32_e32 v212, v206
	v_mov_b32_e32 v0, v206
.LBB96_477:
	s_or_b32 exec_lo, exec_lo, s7
.LBB96_478:
	s_andn2_saveexec_b32 s0, s0
	s_cbranch_execz .LBB96_480
; %bb.479:
	v_mov_b32_e32 v212, 22
	ds_write2_b64 v1, v[102:103], v[104:105] offset0:46 offset1:47
	ds_write2_b64 v1, v[98:99], v[100:101] offset0:48 offset1:49
	;; [unrolled: 1-line block ×26, first 2 shown]
.LBB96_480:
	s_or_b32 exec_lo, exec_lo, s0
	s_mov_b32 s0, exec_lo
	s_waitcnt lgkmcnt(0)
	s_waitcnt_vscnt null, 0x0
	s_barrier
	buffer_gl0_inv
	v_cmpx_lt_i32_e32 22, v212
	s_cbranch_execz .LBB96_482
; %bb.481:
	v_mul_f64 v[206:207], v[200:201], v[108:109]
	v_mul_f64 v[108:109], v[198:199], v[108:109]
	v_fma_f64 v[206:207], v[198:199], v[106:107], -v[206:207]
	v_fma_f64 v[108:109], v[200:201], v[106:107], v[108:109]
	ds_read2_b64 v[198:201], v1 offset0:46 offset1:47
	s_waitcnt lgkmcnt(0)
	v_mul_f64 v[106:107], v[200:201], v[108:109]
	v_fma_f64 v[106:107], v[198:199], v[206:207], -v[106:107]
	v_mul_f64 v[198:199], v[198:199], v[108:109]
	v_add_f64 v[102:103], v[102:103], -v[106:107]
	v_fma_f64 v[198:199], v[200:201], v[206:207], v[198:199]
	v_add_f64 v[104:105], v[104:105], -v[198:199]
	ds_read2_b64 v[198:201], v1 offset0:48 offset1:49
	s_waitcnt lgkmcnt(0)
	v_mul_f64 v[106:107], v[200:201], v[108:109]
	v_fma_f64 v[106:107], v[198:199], v[206:207], -v[106:107]
	v_mul_f64 v[198:199], v[198:199], v[108:109]
	v_add_f64 v[98:99], v[98:99], -v[106:107]
	v_fma_f64 v[198:199], v[200:201], v[206:207], v[198:199]
	v_add_f64 v[100:101], v[100:101], -v[198:199]
	;; [unrolled: 8-line block ×25, first 2 shown]
	ds_read2_b64 v[198:201], v1 offset0:96 offset1:97
	s_waitcnt lgkmcnt(0)
	v_mul_f64 v[106:107], v[200:201], v[108:109]
	v_fma_f64 v[106:107], v[198:199], v[206:207], -v[106:107]
	v_mul_f64 v[198:199], v[198:199], v[108:109]
	v_add_f64 v[2:3], v[2:3], -v[106:107]
	v_fma_f64 v[198:199], v[200:201], v[206:207], v[198:199]
	v_mov_b32_e32 v106, v206
	v_mov_b32_e32 v107, v207
	v_add_f64 v[4:5], v[4:5], -v[198:199]
.LBB96_482:
	s_or_b32 exec_lo, exec_lo, s0
	v_lshl_add_u32 v198, v212, 4, v1
	s_barrier
	buffer_gl0_inv
	v_mov_b32_e32 v206, 23
	ds_write2_b64 v198, v[102:103], v[104:105] offset1:1
	s_waitcnt lgkmcnt(0)
	s_barrier
	buffer_gl0_inv
	ds_read2_b64 v[198:201], v1 offset0:46 offset1:47
	s_cmp_lt_i32 s1, 25
	s_cbranch_scc1 .LBB96_485
; %bb.483:
	v_add3_u32 v207, v208, 0, 0x180
	v_mov_b32_e32 v206, 23
	s_mov_b32 s7, 24
	s_inst_prefetch 0x1
	.p2align	6
.LBB96_484:                             ; =>This Inner Loop Header: Depth=1
	s_waitcnt lgkmcnt(0)
	v_cmp_gt_f64_e32 vcc_lo, 0, v[200:201]
	v_cmp_gt_f64_e64 s0, 0, v[198:199]
	ds_read2_b64 v[213:216], v207 offset1:1
	v_xor_b32_e32 v218, 0x80000000, v199
	v_xor_b32_e32 v220, 0x80000000, v201
	v_mov_b32_e32 v217, v198
	v_mov_b32_e32 v219, v200
	v_add_nc_u32_e32 v207, 16, v207
	s_waitcnt lgkmcnt(0)
	v_xor_b32_e32 v222, 0x80000000, v216
	v_cndmask_b32_e64 v218, v199, v218, s0
	v_cndmask_b32_e32 v220, v201, v220, vcc_lo
	v_cmp_gt_f64_e32 vcc_lo, 0, v[215:216]
	v_cmp_gt_f64_e64 s0, 0, v[213:214]
	v_mov_b32_e32 v221, v215
	v_add_f64 v[217:218], v[217:218], v[219:220]
	v_xor_b32_e32 v220, 0x80000000, v214
	v_mov_b32_e32 v219, v213
	v_cndmask_b32_e32 v222, v216, v222, vcc_lo
	v_cndmask_b32_e64 v220, v214, v220, s0
	v_add_f64 v[219:220], v[219:220], v[221:222]
	v_cmp_lt_f64_e32 vcc_lo, v[217:218], v[219:220]
	v_cndmask_b32_e32 v199, v199, v214, vcc_lo
	v_cndmask_b32_e32 v198, v198, v213, vcc_lo
	;; [unrolled: 1-line block ×4, first 2 shown]
	v_cndmask_b32_e64 v206, v206, s7, vcc_lo
	s_add_i32 s7, s7, 1
	s_cmp_lg_u32 s1, s7
	s_cbranch_scc1 .LBB96_484
.LBB96_485:
	s_inst_prefetch 0x2
	s_waitcnt lgkmcnt(0)
	v_cmp_eq_f64_e32 vcc_lo, 0, v[198:199]
	v_cmp_eq_f64_e64 s0, 0, v[200:201]
	s_and_b32 s0, vcc_lo, s0
	s_and_saveexec_b32 s7, s0
	s_xor_b32 s0, exec_lo, s7
; %bb.486:
	v_cmp_ne_u32_e32 vcc_lo, 0, v211
	v_cndmask_b32_e32 v211, 24, v211, vcc_lo
; %bb.487:
	s_andn2_saveexec_b32 s0, s0
	s_cbranch_execz .LBB96_493
; %bb.488:
	v_cmp_ngt_f64_e64 s7, |v[198:199]|, |v[200:201]|
	s_and_saveexec_b32 s8, s7
	s_xor_b32 s7, exec_lo, s8
	s_cbranch_execz .LBB96_490
; %bb.489:
	v_div_scale_f64 v[213:214], null, v[200:201], v[200:201], v[198:199]
	v_div_scale_f64 v[219:220], vcc_lo, v[198:199], v[200:201], v[198:199]
	v_rcp_f64_e32 v[215:216], v[213:214]
	v_fma_f64 v[217:218], -v[213:214], v[215:216], 1.0
	v_fma_f64 v[215:216], v[215:216], v[217:218], v[215:216]
	v_fma_f64 v[217:218], -v[213:214], v[215:216], 1.0
	v_fma_f64 v[215:216], v[215:216], v[217:218], v[215:216]
	v_mul_f64 v[217:218], v[219:220], v[215:216]
	v_fma_f64 v[213:214], -v[213:214], v[217:218], v[219:220]
	v_div_fmas_f64 v[213:214], v[213:214], v[215:216], v[217:218]
	v_div_fixup_f64 v[213:214], v[213:214], v[200:201], v[198:199]
	v_fma_f64 v[198:199], v[198:199], v[213:214], v[200:201]
	v_div_scale_f64 v[200:201], null, v[198:199], v[198:199], 1.0
	v_rcp_f64_e32 v[215:216], v[200:201]
	v_fma_f64 v[217:218], -v[200:201], v[215:216], 1.0
	v_fma_f64 v[215:216], v[215:216], v[217:218], v[215:216]
	v_fma_f64 v[217:218], -v[200:201], v[215:216], 1.0
	v_fma_f64 v[215:216], v[215:216], v[217:218], v[215:216]
	v_div_scale_f64 v[217:218], vcc_lo, 1.0, v[198:199], 1.0
	v_mul_f64 v[219:220], v[217:218], v[215:216]
	v_fma_f64 v[200:201], -v[200:201], v[219:220], v[217:218]
	v_div_fmas_f64 v[200:201], v[200:201], v[215:216], v[219:220]
	v_div_fixup_f64 v[200:201], v[200:201], v[198:199], 1.0
	v_mul_f64 v[198:199], v[213:214], v[200:201]
	v_xor_b32_e32 v201, 0x80000000, v201
.LBB96_490:
	s_andn2_saveexec_b32 s7, s7
	s_cbranch_execz .LBB96_492
; %bb.491:
	v_div_scale_f64 v[213:214], null, v[198:199], v[198:199], v[200:201]
	v_div_scale_f64 v[219:220], vcc_lo, v[200:201], v[198:199], v[200:201]
	v_rcp_f64_e32 v[215:216], v[213:214]
	v_fma_f64 v[217:218], -v[213:214], v[215:216], 1.0
	v_fma_f64 v[215:216], v[215:216], v[217:218], v[215:216]
	v_fma_f64 v[217:218], -v[213:214], v[215:216], 1.0
	v_fma_f64 v[215:216], v[215:216], v[217:218], v[215:216]
	v_mul_f64 v[217:218], v[219:220], v[215:216]
	v_fma_f64 v[213:214], -v[213:214], v[217:218], v[219:220]
	v_div_fmas_f64 v[213:214], v[213:214], v[215:216], v[217:218]
	v_div_fixup_f64 v[213:214], v[213:214], v[198:199], v[200:201]
	v_fma_f64 v[198:199], v[200:201], v[213:214], v[198:199]
	v_div_scale_f64 v[200:201], null, v[198:199], v[198:199], 1.0
	v_rcp_f64_e32 v[215:216], v[200:201]
	v_fma_f64 v[217:218], -v[200:201], v[215:216], 1.0
	v_fma_f64 v[215:216], v[215:216], v[217:218], v[215:216]
	v_fma_f64 v[217:218], -v[200:201], v[215:216], 1.0
	v_fma_f64 v[215:216], v[215:216], v[217:218], v[215:216]
	v_div_scale_f64 v[217:218], vcc_lo, 1.0, v[198:199], 1.0
	v_mul_f64 v[219:220], v[217:218], v[215:216]
	v_fma_f64 v[200:201], -v[200:201], v[219:220], v[217:218]
	v_div_fmas_f64 v[200:201], v[200:201], v[215:216], v[219:220]
	v_div_fixup_f64 v[198:199], v[200:201], v[198:199], 1.0
	v_mul_f64 v[200:201], v[213:214], -v[198:199]
.LBB96_492:
	s_or_b32 exec_lo, exec_lo, s7
.LBB96_493:
	s_or_b32 exec_lo, exec_lo, s0
	s_mov_b32 s0, exec_lo
	v_cmpx_ne_u32_e64 v212, v206
	s_xor_b32 s0, exec_lo, s0
	s_cbranch_execz .LBB96_499
; %bb.494:
	s_mov_b32 s7, exec_lo
	v_cmpx_eq_u32_e32 23, v212
	s_cbranch_execz .LBB96_498
; %bb.495:
	v_cmp_ne_u32_e32 vcc_lo, 23, v206
	s_xor_b32 s8, s16, -1
	s_and_b32 s9, s8, vcc_lo
	s_and_saveexec_b32 s8, s9
	s_cbranch_execz .LBB96_497
; %bb.496:
	v_ashrrev_i32_e32 v207, 31, v206
	v_lshlrev_b64 v[212:213], 2, v[206:207]
	v_add_co_u32 v212, vcc_lo, v204, v212
	v_add_co_ci_u32_e64 v213, null, v205, v213, vcc_lo
	s_clause 0x1
	global_load_dword v0, v[212:213], off
	global_load_dword v207, v[204:205], off offset:92
	s_waitcnt vmcnt(1)
	global_store_dword v[204:205], v0, off offset:92
	s_waitcnt vmcnt(0)
	global_store_dword v[212:213], v207, off
.LBB96_497:
	s_or_b32 exec_lo, exec_lo, s8
	v_mov_b32_e32 v212, v206
	v_mov_b32_e32 v0, v206
.LBB96_498:
	s_or_b32 exec_lo, exec_lo, s7
.LBB96_499:
	s_andn2_saveexec_b32 s0, s0
	s_cbranch_execz .LBB96_501
; %bb.500:
	v_mov_b32_e32 v212, 23
	ds_write2_b64 v1, v[98:99], v[100:101] offset0:48 offset1:49
	ds_write2_b64 v1, v[94:95], v[96:97] offset0:50 offset1:51
	;; [unrolled: 1-line block ×25, first 2 shown]
.LBB96_501:
	s_or_b32 exec_lo, exec_lo, s0
	s_mov_b32 s0, exec_lo
	s_waitcnt lgkmcnt(0)
	s_waitcnt_vscnt null, 0x0
	s_barrier
	buffer_gl0_inv
	v_cmpx_lt_i32_e32 23, v212
	s_cbranch_execz .LBB96_503
; %bb.502:
	v_mul_f64 v[206:207], v[200:201], v[104:105]
	v_mul_f64 v[104:105], v[198:199], v[104:105]
	v_fma_f64 v[206:207], v[198:199], v[102:103], -v[206:207]
	v_fma_f64 v[104:105], v[200:201], v[102:103], v[104:105]
	ds_read2_b64 v[198:201], v1 offset0:48 offset1:49
	s_waitcnt lgkmcnt(0)
	v_mul_f64 v[102:103], v[200:201], v[104:105]
	v_fma_f64 v[102:103], v[198:199], v[206:207], -v[102:103]
	v_mul_f64 v[198:199], v[198:199], v[104:105]
	v_add_f64 v[98:99], v[98:99], -v[102:103]
	v_fma_f64 v[198:199], v[200:201], v[206:207], v[198:199]
	v_add_f64 v[100:101], v[100:101], -v[198:199]
	ds_read2_b64 v[198:201], v1 offset0:50 offset1:51
	s_waitcnt lgkmcnt(0)
	v_mul_f64 v[102:103], v[200:201], v[104:105]
	v_fma_f64 v[102:103], v[198:199], v[206:207], -v[102:103]
	v_mul_f64 v[198:199], v[198:199], v[104:105]
	v_add_f64 v[94:95], v[94:95], -v[102:103]
	v_fma_f64 v[198:199], v[200:201], v[206:207], v[198:199]
	v_add_f64 v[96:97], v[96:97], -v[198:199]
	;; [unrolled: 8-line block ×24, first 2 shown]
	ds_read2_b64 v[198:201], v1 offset0:96 offset1:97
	s_waitcnt lgkmcnt(0)
	v_mul_f64 v[102:103], v[200:201], v[104:105]
	v_fma_f64 v[102:103], v[198:199], v[206:207], -v[102:103]
	v_mul_f64 v[198:199], v[198:199], v[104:105]
	v_add_f64 v[2:3], v[2:3], -v[102:103]
	v_fma_f64 v[198:199], v[200:201], v[206:207], v[198:199]
	v_mov_b32_e32 v102, v206
	v_mov_b32_e32 v103, v207
	v_add_f64 v[4:5], v[4:5], -v[198:199]
.LBB96_503:
	s_or_b32 exec_lo, exec_lo, s0
	v_lshl_add_u32 v198, v212, 4, v1
	s_barrier
	buffer_gl0_inv
	v_mov_b32_e32 v206, 24
	ds_write2_b64 v198, v[98:99], v[100:101] offset1:1
	s_waitcnt lgkmcnt(0)
	s_barrier
	buffer_gl0_inv
	ds_read2_b64 v[198:201], v1 offset0:48 offset1:49
	s_cmp_lt_i32 s1, 26
	s_cbranch_scc1 .LBB96_506
; %bb.504:
	v_add3_u32 v207, v208, 0, 0x190
	v_mov_b32_e32 v206, 24
	s_mov_b32 s7, 25
	s_inst_prefetch 0x1
	.p2align	6
.LBB96_505:                             ; =>This Inner Loop Header: Depth=1
	s_waitcnt lgkmcnt(0)
	v_cmp_gt_f64_e32 vcc_lo, 0, v[200:201]
	v_cmp_gt_f64_e64 s0, 0, v[198:199]
	ds_read2_b64 v[213:216], v207 offset1:1
	v_xor_b32_e32 v218, 0x80000000, v199
	v_xor_b32_e32 v220, 0x80000000, v201
	v_mov_b32_e32 v217, v198
	v_mov_b32_e32 v219, v200
	v_add_nc_u32_e32 v207, 16, v207
	s_waitcnt lgkmcnt(0)
	v_xor_b32_e32 v222, 0x80000000, v216
	v_cndmask_b32_e64 v218, v199, v218, s0
	v_cndmask_b32_e32 v220, v201, v220, vcc_lo
	v_cmp_gt_f64_e32 vcc_lo, 0, v[215:216]
	v_cmp_gt_f64_e64 s0, 0, v[213:214]
	v_mov_b32_e32 v221, v215
	v_add_f64 v[217:218], v[217:218], v[219:220]
	v_xor_b32_e32 v220, 0x80000000, v214
	v_mov_b32_e32 v219, v213
	v_cndmask_b32_e32 v222, v216, v222, vcc_lo
	v_cndmask_b32_e64 v220, v214, v220, s0
	v_add_f64 v[219:220], v[219:220], v[221:222]
	v_cmp_lt_f64_e32 vcc_lo, v[217:218], v[219:220]
	v_cndmask_b32_e32 v199, v199, v214, vcc_lo
	v_cndmask_b32_e32 v198, v198, v213, vcc_lo
	;; [unrolled: 1-line block ×4, first 2 shown]
	v_cndmask_b32_e64 v206, v206, s7, vcc_lo
	s_add_i32 s7, s7, 1
	s_cmp_lg_u32 s1, s7
	s_cbranch_scc1 .LBB96_505
.LBB96_506:
	s_inst_prefetch 0x2
	s_waitcnt lgkmcnt(0)
	v_cmp_eq_f64_e32 vcc_lo, 0, v[198:199]
	v_cmp_eq_f64_e64 s0, 0, v[200:201]
	s_and_b32 s0, vcc_lo, s0
	s_and_saveexec_b32 s7, s0
	s_xor_b32 s0, exec_lo, s7
; %bb.507:
	v_cmp_ne_u32_e32 vcc_lo, 0, v211
	v_cndmask_b32_e32 v211, 25, v211, vcc_lo
; %bb.508:
	s_andn2_saveexec_b32 s0, s0
	s_cbranch_execz .LBB96_514
; %bb.509:
	v_cmp_ngt_f64_e64 s7, |v[198:199]|, |v[200:201]|
	s_and_saveexec_b32 s8, s7
	s_xor_b32 s7, exec_lo, s8
	s_cbranch_execz .LBB96_511
; %bb.510:
	v_div_scale_f64 v[213:214], null, v[200:201], v[200:201], v[198:199]
	v_div_scale_f64 v[219:220], vcc_lo, v[198:199], v[200:201], v[198:199]
	v_rcp_f64_e32 v[215:216], v[213:214]
	v_fma_f64 v[217:218], -v[213:214], v[215:216], 1.0
	v_fma_f64 v[215:216], v[215:216], v[217:218], v[215:216]
	v_fma_f64 v[217:218], -v[213:214], v[215:216], 1.0
	v_fma_f64 v[215:216], v[215:216], v[217:218], v[215:216]
	v_mul_f64 v[217:218], v[219:220], v[215:216]
	v_fma_f64 v[213:214], -v[213:214], v[217:218], v[219:220]
	v_div_fmas_f64 v[213:214], v[213:214], v[215:216], v[217:218]
	v_div_fixup_f64 v[213:214], v[213:214], v[200:201], v[198:199]
	v_fma_f64 v[198:199], v[198:199], v[213:214], v[200:201]
	v_div_scale_f64 v[200:201], null, v[198:199], v[198:199], 1.0
	v_rcp_f64_e32 v[215:216], v[200:201]
	v_fma_f64 v[217:218], -v[200:201], v[215:216], 1.0
	v_fma_f64 v[215:216], v[215:216], v[217:218], v[215:216]
	v_fma_f64 v[217:218], -v[200:201], v[215:216], 1.0
	v_fma_f64 v[215:216], v[215:216], v[217:218], v[215:216]
	v_div_scale_f64 v[217:218], vcc_lo, 1.0, v[198:199], 1.0
	v_mul_f64 v[219:220], v[217:218], v[215:216]
	v_fma_f64 v[200:201], -v[200:201], v[219:220], v[217:218]
	v_div_fmas_f64 v[200:201], v[200:201], v[215:216], v[219:220]
	v_div_fixup_f64 v[200:201], v[200:201], v[198:199], 1.0
	v_mul_f64 v[198:199], v[213:214], v[200:201]
	v_xor_b32_e32 v201, 0x80000000, v201
.LBB96_511:
	s_andn2_saveexec_b32 s7, s7
	s_cbranch_execz .LBB96_513
; %bb.512:
	v_div_scale_f64 v[213:214], null, v[198:199], v[198:199], v[200:201]
	v_div_scale_f64 v[219:220], vcc_lo, v[200:201], v[198:199], v[200:201]
	v_rcp_f64_e32 v[215:216], v[213:214]
	v_fma_f64 v[217:218], -v[213:214], v[215:216], 1.0
	v_fma_f64 v[215:216], v[215:216], v[217:218], v[215:216]
	v_fma_f64 v[217:218], -v[213:214], v[215:216], 1.0
	v_fma_f64 v[215:216], v[215:216], v[217:218], v[215:216]
	v_mul_f64 v[217:218], v[219:220], v[215:216]
	v_fma_f64 v[213:214], -v[213:214], v[217:218], v[219:220]
	v_div_fmas_f64 v[213:214], v[213:214], v[215:216], v[217:218]
	v_div_fixup_f64 v[213:214], v[213:214], v[198:199], v[200:201]
	v_fma_f64 v[198:199], v[200:201], v[213:214], v[198:199]
	v_div_scale_f64 v[200:201], null, v[198:199], v[198:199], 1.0
	v_rcp_f64_e32 v[215:216], v[200:201]
	v_fma_f64 v[217:218], -v[200:201], v[215:216], 1.0
	v_fma_f64 v[215:216], v[215:216], v[217:218], v[215:216]
	v_fma_f64 v[217:218], -v[200:201], v[215:216], 1.0
	v_fma_f64 v[215:216], v[215:216], v[217:218], v[215:216]
	v_div_scale_f64 v[217:218], vcc_lo, 1.0, v[198:199], 1.0
	v_mul_f64 v[219:220], v[217:218], v[215:216]
	v_fma_f64 v[200:201], -v[200:201], v[219:220], v[217:218]
	v_div_fmas_f64 v[200:201], v[200:201], v[215:216], v[219:220]
	v_div_fixup_f64 v[198:199], v[200:201], v[198:199], 1.0
	v_mul_f64 v[200:201], v[213:214], -v[198:199]
.LBB96_513:
	s_or_b32 exec_lo, exec_lo, s7
.LBB96_514:
	s_or_b32 exec_lo, exec_lo, s0
	s_mov_b32 s0, exec_lo
	v_cmpx_ne_u32_e64 v212, v206
	s_xor_b32 s0, exec_lo, s0
	s_cbranch_execz .LBB96_520
; %bb.515:
	s_mov_b32 s7, exec_lo
	v_cmpx_eq_u32_e32 24, v212
	s_cbranch_execz .LBB96_519
; %bb.516:
	v_cmp_ne_u32_e32 vcc_lo, 24, v206
	s_xor_b32 s8, s16, -1
	s_and_b32 s9, s8, vcc_lo
	s_and_saveexec_b32 s8, s9
	s_cbranch_execz .LBB96_518
; %bb.517:
	v_ashrrev_i32_e32 v207, 31, v206
	v_lshlrev_b64 v[212:213], 2, v[206:207]
	v_add_co_u32 v212, vcc_lo, v204, v212
	v_add_co_ci_u32_e64 v213, null, v205, v213, vcc_lo
	s_clause 0x1
	global_load_dword v0, v[212:213], off
	global_load_dword v207, v[204:205], off offset:96
	s_waitcnt vmcnt(1)
	global_store_dword v[204:205], v0, off offset:96
	s_waitcnt vmcnt(0)
	global_store_dword v[212:213], v207, off
.LBB96_518:
	s_or_b32 exec_lo, exec_lo, s8
	v_mov_b32_e32 v212, v206
	v_mov_b32_e32 v0, v206
.LBB96_519:
	s_or_b32 exec_lo, exec_lo, s7
.LBB96_520:
	s_andn2_saveexec_b32 s0, s0
	s_cbranch_execz .LBB96_522
; %bb.521:
	v_mov_b32_e32 v212, 24
	ds_write2_b64 v1, v[94:95], v[96:97] offset0:50 offset1:51
	ds_write2_b64 v1, v[90:91], v[92:93] offset0:52 offset1:53
	;; [unrolled: 1-line block ×24, first 2 shown]
.LBB96_522:
	s_or_b32 exec_lo, exec_lo, s0
	s_mov_b32 s0, exec_lo
	s_waitcnt lgkmcnt(0)
	s_waitcnt_vscnt null, 0x0
	s_barrier
	buffer_gl0_inv
	v_cmpx_lt_i32_e32 24, v212
	s_cbranch_execz .LBB96_524
; %bb.523:
	v_mul_f64 v[206:207], v[200:201], v[100:101]
	v_mul_f64 v[100:101], v[198:199], v[100:101]
	v_fma_f64 v[206:207], v[198:199], v[98:99], -v[206:207]
	v_fma_f64 v[100:101], v[200:201], v[98:99], v[100:101]
	ds_read2_b64 v[198:201], v1 offset0:50 offset1:51
	s_waitcnt lgkmcnt(0)
	v_mul_f64 v[98:99], v[200:201], v[100:101]
	v_fma_f64 v[98:99], v[198:199], v[206:207], -v[98:99]
	v_mul_f64 v[198:199], v[198:199], v[100:101]
	v_add_f64 v[94:95], v[94:95], -v[98:99]
	v_fma_f64 v[198:199], v[200:201], v[206:207], v[198:199]
	v_add_f64 v[96:97], v[96:97], -v[198:199]
	ds_read2_b64 v[198:201], v1 offset0:52 offset1:53
	s_waitcnt lgkmcnt(0)
	v_mul_f64 v[98:99], v[200:201], v[100:101]
	v_fma_f64 v[98:99], v[198:199], v[206:207], -v[98:99]
	v_mul_f64 v[198:199], v[198:199], v[100:101]
	v_add_f64 v[90:91], v[90:91], -v[98:99]
	v_fma_f64 v[198:199], v[200:201], v[206:207], v[198:199]
	v_add_f64 v[92:93], v[92:93], -v[198:199]
	;; [unrolled: 8-line block ×23, first 2 shown]
	ds_read2_b64 v[198:201], v1 offset0:96 offset1:97
	s_waitcnt lgkmcnt(0)
	v_mul_f64 v[98:99], v[200:201], v[100:101]
	v_fma_f64 v[98:99], v[198:199], v[206:207], -v[98:99]
	v_mul_f64 v[198:199], v[198:199], v[100:101]
	v_add_f64 v[2:3], v[2:3], -v[98:99]
	v_fma_f64 v[198:199], v[200:201], v[206:207], v[198:199]
	v_mov_b32_e32 v98, v206
	v_mov_b32_e32 v99, v207
	v_add_f64 v[4:5], v[4:5], -v[198:199]
.LBB96_524:
	s_or_b32 exec_lo, exec_lo, s0
	v_lshl_add_u32 v198, v212, 4, v1
	s_barrier
	buffer_gl0_inv
	v_mov_b32_e32 v206, 25
	ds_write2_b64 v198, v[94:95], v[96:97] offset1:1
	s_waitcnt lgkmcnt(0)
	s_barrier
	buffer_gl0_inv
	ds_read2_b64 v[198:201], v1 offset0:50 offset1:51
	s_cmp_lt_i32 s1, 27
	s_cbranch_scc1 .LBB96_527
; %bb.525:
	v_add3_u32 v207, v208, 0, 0x1a0
	v_mov_b32_e32 v206, 25
	s_mov_b32 s7, 26
	s_inst_prefetch 0x1
	.p2align	6
.LBB96_526:                             ; =>This Inner Loop Header: Depth=1
	s_waitcnt lgkmcnt(0)
	v_cmp_gt_f64_e32 vcc_lo, 0, v[200:201]
	v_cmp_gt_f64_e64 s0, 0, v[198:199]
	ds_read2_b64 v[213:216], v207 offset1:1
	v_xor_b32_e32 v218, 0x80000000, v199
	v_xor_b32_e32 v220, 0x80000000, v201
	v_mov_b32_e32 v217, v198
	v_mov_b32_e32 v219, v200
	v_add_nc_u32_e32 v207, 16, v207
	s_waitcnt lgkmcnt(0)
	v_xor_b32_e32 v222, 0x80000000, v216
	v_cndmask_b32_e64 v218, v199, v218, s0
	v_cndmask_b32_e32 v220, v201, v220, vcc_lo
	v_cmp_gt_f64_e32 vcc_lo, 0, v[215:216]
	v_cmp_gt_f64_e64 s0, 0, v[213:214]
	v_mov_b32_e32 v221, v215
	v_add_f64 v[217:218], v[217:218], v[219:220]
	v_xor_b32_e32 v220, 0x80000000, v214
	v_mov_b32_e32 v219, v213
	v_cndmask_b32_e32 v222, v216, v222, vcc_lo
	v_cndmask_b32_e64 v220, v214, v220, s0
	v_add_f64 v[219:220], v[219:220], v[221:222]
	v_cmp_lt_f64_e32 vcc_lo, v[217:218], v[219:220]
	v_cndmask_b32_e32 v199, v199, v214, vcc_lo
	v_cndmask_b32_e32 v198, v198, v213, vcc_lo
	;; [unrolled: 1-line block ×4, first 2 shown]
	v_cndmask_b32_e64 v206, v206, s7, vcc_lo
	s_add_i32 s7, s7, 1
	s_cmp_lg_u32 s1, s7
	s_cbranch_scc1 .LBB96_526
.LBB96_527:
	s_inst_prefetch 0x2
	s_waitcnt lgkmcnt(0)
	v_cmp_eq_f64_e32 vcc_lo, 0, v[198:199]
	v_cmp_eq_f64_e64 s0, 0, v[200:201]
	s_and_b32 s0, vcc_lo, s0
	s_and_saveexec_b32 s7, s0
	s_xor_b32 s0, exec_lo, s7
; %bb.528:
	v_cmp_ne_u32_e32 vcc_lo, 0, v211
	v_cndmask_b32_e32 v211, 26, v211, vcc_lo
; %bb.529:
	s_andn2_saveexec_b32 s0, s0
	s_cbranch_execz .LBB96_535
; %bb.530:
	v_cmp_ngt_f64_e64 s7, |v[198:199]|, |v[200:201]|
	s_and_saveexec_b32 s8, s7
	s_xor_b32 s7, exec_lo, s8
	s_cbranch_execz .LBB96_532
; %bb.531:
	v_div_scale_f64 v[213:214], null, v[200:201], v[200:201], v[198:199]
	v_div_scale_f64 v[219:220], vcc_lo, v[198:199], v[200:201], v[198:199]
	v_rcp_f64_e32 v[215:216], v[213:214]
	v_fma_f64 v[217:218], -v[213:214], v[215:216], 1.0
	v_fma_f64 v[215:216], v[215:216], v[217:218], v[215:216]
	v_fma_f64 v[217:218], -v[213:214], v[215:216], 1.0
	v_fma_f64 v[215:216], v[215:216], v[217:218], v[215:216]
	v_mul_f64 v[217:218], v[219:220], v[215:216]
	v_fma_f64 v[213:214], -v[213:214], v[217:218], v[219:220]
	v_div_fmas_f64 v[213:214], v[213:214], v[215:216], v[217:218]
	v_div_fixup_f64 v[213:214], v[213:214], v[200:201], v[198:199]
	v_fma_f64 v[198:199], v[198:199], v[213:214], v[200:201]
	v_div_scale_f64 v[200:201], null, v[198:199], v[198:199], 1.0
	v_rcp_f64_e32 v[215:216], v[200:201]
	v_fma_f64 v[217:218], -v[200:201], v[215:216], 1.0
	v_fma_f64 v[215:216], v[215:216], v[217:218], v[215:216]
	v_fma_f64 v[217:218], -v[200:201], v[215:216], 1.0
	v_fma_f64 v[215:216], v[215:216], v[217:218], v[215:216]
	v_div_scale_f64 v[217:218], vcc_lo, 1.0, v[198:199], 1.0
	v_mul_f64 v[219:220], v[217:218], v[215:216]
	v_fma_f64 v[200:201], -v[200:201], v[219:220], v[217:218]
	v_div_fmas_f64 v[200:201], v[200:201], v[215:216], v[219:220]
	v_div_fixup_f64 v[200:201], v[200:201], v[198:199], 1.0
	v_mul_f64 v[198:199], v[213:214], v[200:201]
	v_xor_b32_e32 v201, 0x80000000, v201
.LBB96_532:
	s_andn2_saveexec_b32 s7, s7
	s_cbranch_execz .LBB96_534
; %bb.533:
	v_div_scale_f64 v[213:214], null, v[198:199], v[198:199], v[200:201]
	v_div_scale_f64 v[219:220], vcc_lo, v[200:201], v[198:199], v[200:201]
	v_rcp_f64_e32 v[215:216], v[213:214]
	v_fma_f64 v[217:218], -v[213:214], v[215:216], 1.0
	v_fma_f64 v[215:216], v[215:216], v[217:218], v[215:216]
	v_fma_f64 v[217:218], -v[213:214], v[215:216], 1.0
	v_fma_f64 v[215:216], v[215:216], v[217:218], v[215:216]
	v_mul_f64 v[217:218], v[219:220], v[215:216]
	v_fma_f64 v[213:214], -v[213:214], v[217:218], v[219:220]
	v_div_fmas_f64 v[213:214], v[213:214], v[215:216], v[217:218]
	v_div_fixup_f64 v[213:214], v[213:214], v[198:199], v[200:201]
	v_fma_f64 v[198:199], v[200:201], v[213:214], v[198:199]
	v_div_scale_f64 v[200:201], null, v[198:199], v[198:199], 1.0
	v_rcp_f64_e32 v[215:216], v[200:201]
	v_fma_f64 v[217:218], -v[200:201], v[215:216], 1.0
	v_fma_f64 v[215:216], v[215:216], v[217:218], v[215:216]
	v_fma_f64 v[217:218], -v[200:201], v[215:216], 1.0
	v_fma_f64 v[215:216], v[215:216], v[217:218], v[215:216]
	v_div_scale_f64 v[217:218], vcc_lo, 1.0, v[198:199], 1.0
	v_mul_f64 v[219:220], v[217:218], v[215:216]
	v_fma_f64 v[200:201], -v[200:201], v[219:220], v[217:218]
	v_div_fmas_f64 v[200:201], v[200:201], v[215:216], v[219:220]
	v_div_fixup_f64 v[198:199], v[200:201], v[198:199], 1.0
	v_mul_f64 v[200:201], v[213:214], -v[198:199]
.LBB96_534:
	s_or_b32 exec_lo, exec_lo, s7
.LBB96_535:
	s_or_b32 exec_lo, exec_lo, s0
	s_mov_b32 s0, exec_lo
	v_cmpx_ne_u32_e64 v212, v206
	s_xor_b32 s0, exec_lo, s0
	s_cbranch_execz .LBB96_541
; %bb.536:
	s_mov_b32 s7, exec_lo
	v_cmpx_eq_u32_e32 25, v212
	s_cbranch_execz .LBB96_540
; %bb.537:
	v_cmp_ne_u32_e32 vcc_lo, 25, v206
	s_xor_b32 s8, s16, -1
	s_and_b32 s9, s8, vcc_lo
	s_and_saveexec_b32 s8, s9
	s_cbranch_execz .LBB96_539
; %bb.538:
	v_ashrrev_i32_e32 v207, 31, v206
	v_lshlrev_b64 v[212:213], 2, v[206:207]
	v_add_co_u32 v212, vcc_lo, v204, v212
	v_add_co_ci_u32_e64 v213, null, v205, v213, vcc_lo
	s_clause 0x1
	global_load_dword v0, v[212:213], off
	global_load_dword v207, v[204:205], off offset:100
	s_waitcnt vmcnt(1)
	global_store_dword v[204:205], v0, off offset:100
	s_waitcnt vmcnt(0)
	global_store_dword v[212:213], v207, off
.LBB96_539:
	s_or_b32 exec_lo, exec_lo, s8
	v_mov_b32_e32 v212, v206
	v_mov_b32_e32 v0, v206
.LBB96_540:
	s_or_b32 exec_lo, exec_lo, s7
.LBB96_541:
	s_andn2_saveexec_b32 s0, s0
	s_cbranch_execz .LBB96_543
; %bb.542:
	v_mov_b32_e32 v212, 25
	ds_write2_b64 v1, v[90:91], v[92:93] offset0:52 offset1:53
	ds_write2_b64 v1, v[86:87], v[88:89] offset0:54 offset1:55
	;; [unrolled: 1-line block ×23, first 2 shown]
.LBB96_543:
	s_or_b32 exec_lo, exec_lo, s0
	s_mov_b32 s0, exec_lo
	s_waitcnt lgkmcnt(0)
	s_waitcnt_vscnt null, 0x0
	s_barrier
	buffer_gl0_inv
	v_cmpx_lt_i32_e32 25, v212
	s_cbranch_execz .LBB96_545
; %bb.544:
	v_mul_f64 v[206:207], v[200:201], v[96:97]
	v_mul_f64 v[96:97], v[198:199], v[96:97]
	v_fma_f64 v[206:207], v[198:199], v[94:95], -v[206:207]
	v_fma_f64 v[96:97], v[200:201], v[94:95], v[96:97]
	ds_read2_b64 v[198:201], v1 offset0:52 offset1:53
	s_waitcnt lgkmcnt(0)
	v_mul_f64 v[94:95], v[200:201], v[96:97]
	v_fma_f64 v[94:95], v[198:199], v[206:207], -v[94:95]
	v_mul_f64 v[198:199], v[198:199], v[96:97]
	v_add_f64 v[90:91], v[90:91], -v[94:95]
	v_fma_f64 v[198:199], v[200:201], v[206:207], v[198:199]
	v_add_f64 v[92:93], v[92:93], -v[198:199]
	ds_read2_b64 v[198:201], v1 offset0:54 offset1:55
	s_waitcnt lgkmcnt(0)
	v_mul_f64 v[94:95], v[200:201], v[96:97]
	v_fma_f64 v[94:95], v[198:199], v[206:207], -v[94:95]
	v_mul_f64 v[198:199], v[198:199], v[96:97]
	v_add_f64 v[86:87], v[86:87], -v[94:95]
	v_fma_f64 v[198:199], v[200:201], v[206:207], v[198:199]
	v_add_f64 v[88:89], v[88:89], -v[198:199]
	;; [unrolled: 8-line block ×22, first 2 shown]
	ds_read2_b64 v[198:201], v1 offset0:96 offset1:97
	s_waitcnt lgkmcnt(0)
	v_mul_f64 v[94:95], v[200:201], v[96:97]
	v_fma_f64 v[94:95], v[198:199], v[206:207], -v[94:95]
	v_mul_f64 v[198:199], v[198:199], v[96:97]
	v_add_f64 v[2:3], v[2:3], -v[94:95]
	v_fma_f64 v[198:199], v[200:201], v[206:207], v[198:199]
	v_mov_b32_e32 v94, v206
	v_mov_b32_e32 v95, v207
	v_add_f64 v[4:5], v[4:5], -v[198:199]
.LBB96_545:
	s_or_b32 exec_lo, exec_lo, s0
	v_lshl_add_u32 v198, v212, 4, v1
	s_barrier
	buffer_gl0_inv
	v_mov_b32_e32 v206, 26
	ds_write2_b64 v198, v[90:91], v[92:93] offset1:1
	s_waitcnt lgkmcnt(0)
	s_barrier
	buffer_gl0_inv
	ds_read2_b64 v[198:201], v1 offset0:52 offset1:53
	s_cmp_lt_i32 s1, 28
	s_cbranch_scc1 .LBB96_548
; %bb.546:
	v_add3_u32 v207, v208, 0, 0x1b0
	v_mov_b32_e32 v206, 26
	s_mov_b32 s7, 27
	s_inst_prefetch 0x1
	.p2align	6
.LBB96_547:                             ; =>This Inner Loop Header: Depth=1
	s_waitcnt lgkmcnt(0)
	v_cmp_gt_f64_e32 vcc_lo, 0, v[200:201]
	v_cmp_gt_f64_e64 s0, 0, v[198:199]
	ds_read2_b64 v[213:216], v207 offset1:1
	v_xor_b32_e32 v218, 0x80000000, v199
	v_xor_b32_e32 v220, 0x80000000, v201
	v_mov_b32_e32 v217, v198
	v_mov_b32_e32 v219, v200
	v_add_nc_u32_e32 v207, 16, v207
	s_waitcnt lgkmcnt(0)
	v_xor_b32_e32 v222, 0x80000000, v216
	v_cndmask_b32_e64 v218, v199, v218, s0
	v_cndmask_b32_e32 v220, v201, v220, vcc_lo
	v_cmp_gt_f64_e32 vcc_lo, 0, v[215:216]
	v_cmp_gt_f64_e64 s0, 0, v[213:214]
	v_mov_b32_e32 v221, v215
	v_add_f64 v[217:218], v[217:218], v[219:220]
	v_xor_b32_e32 v220, 0x80000000, v214
	v_mov_b32_e32 v219, v213
	v_cndmask_b32_e32 v222, v216, v222, vcc_lo
	v_cndmask_b32_e64 v220, v214, v220, s0
	v_add_f64 v[219:220], v[219:220], v[221:222]
	v_cmp_lt_f64_e32 vcc_lo, v[217:218], v[219:220]
	v_cndmask_b32_e32 v199, v199, v214, vcc_lo
	v_cndmask_b32_e32 v198, v198, v213, vcc_lo
	;; [unrolled: 1-line block ×4, first 2 shown]
	v_cndmask_b32_e64 v206, v206, s7, vcc_lo
	s_add_i32 s7, s7, 1
	s_cmp_lg_u32 s1, s7
	s_cbranch_scc1 .LBB96_547
.LBB96_548:
	s_inst_prefetch 0x2
	s_waitcnt lgkmcnt(0)
	v_cmp_eq_f64_e32 vcc_lo, 0, v[198:199]
	v_cmp_eq_f64_e64 s0, 0, v[200:201]
	s_and_b32 s0, vcc_lo, s0
	s_and_saveexec_b32 s7, s0
	s_xor_b32 s0, exec_lo, s7
; %bb.549:
	v_cmp_ne_u32_e32 vcc_lo, 0, v211
	v_cndmask_b32_e32 v211, 27, v211, vcc_lo
; %bb.550:
	s_andn2_saveexec_b32 s0, s0
	s_cbranch_execz .LBB96_556
; %bb.551:
	v_cmp_ngt_f64_e64 s7, |v[198:199]|, |v[200:201]|
	s_and_saveexec_b32 s8, s7
	s_xor_b32 s7, exec_lo, s8
	s_cbranch_execz .LBB96_553
; %bb.552:
	v_div_scale_f64 v[213:214], null, v[200:201], v[200:201], v[198:199]
	v_div_scale_f64 v[219:220], vcc_lo, v[198:199], v[200:201], v[198:199]
	v_rcp_f64_e32 v[215:216], v[213:214]
	v_fma_f64 v[217:218], -v[213:214], v[215:216], 1.0
	v_fma_f64 v[215:216], v[215:216], v[217:218], v[215:216]
	v_fma_f64 v[217:218], -v[213:214], v[215:216], 1.0
	v_fma_f64 v[215:216], v[215:216], v[217:218], v[215:216]
	v_mul_f64 v[217:218], v[219:220], v[215:216]
	v_fma_f64 v[213:214], -v[213:214], v[217:218], v[219:220]
	v_div_fmas_f64 v[213:214], v[213:214], v[215:216], v[217:218]
	v_div_fixup_f64 v[213:214], v[213:214], v[200:201], v[198:199]
	v_fma_f64 v[198:199], v[198:199], v[213:214], v[200:201]
	v_div_scale_f64 v[200:201], null, v[198:199], v[198:199], 1.0
	v_rcp_f64_e32 v[215:216], v[200:201]
	v_fma_f64 v[217:218], -v[200:201], v[215:216], 1.0
	v_fma_f64 v[215:216], v[215:216], v[217:218], v[215:216]
	v_fma_f64 v[217:218], -v[200:201], v[215:216], 1.0
	v_fma_f64 v[215:216], v[215:216], v[217:218], v[215:216]
	v_div_scale_f64 v[217:218], vcc_lo, 1.0, v[198:199], 1.0
	v_mul_f64 v[219:220], v[217:218], v[215:216]
	v_fma_f64 v[200:201], -v[200:201], v[219:220], v[217:218]
	v_div_fmas_f64 v[200:201], v[200:201], v[215:216], v[219:220]
	v_div_fixup_f64 v[200:201], v[200:201], v[198:199], 1.0
	v_mul_f64 v[198:199], v[213:214], v[200:201]
	v_xor_b32_e32 v201, 0x80000000, v201
.LBB96_553:
	s_andn2_saveexec_b32 s7, s7
	s_cbranch_execz .LBB96_555
; %bb.554:
	v_div_scale_f64 v[213:214], null, v[198:199], v[198:199], v[200:201]
	v_div_scale_f64 v[219:220], vcc_lo, v[200:201], v[198:199], v[200:201]
	v_rcp_f64_e32 v[215:216], v[213:214]
	v_fma_f64 v[217:218], -v[213:214], v[215:216], 1.0
	v_fma_f64 v[215:216], v[215:216], v[217:218], v[215:216]
	v_fma_f64 v[217:218], -v[213:214], v[215:216], 1.0
	v_fma_f64 v[215:216], v[215:216], v[217:218], v[215:216]
	v_mul_f64 v[217:218], v[219:220], v[215:216]
	v_fma_f64 v[213:214], -v[213:214], v[217:218], v[219:220]
	v_div_fmas_f64 v[213:214], v[213:214], v[215:216], v[217:218]
	v_div_fixup_f64 v[213:214], v[213:214], v[198:199], v[200:201]
	v_fma_f64 v[198:199], v[200:201], v[213:214], v[198:199]
	v_div_scale_f64 v[200:201], null, v[198:199], v[198:199], 1.0
	v_rcp_f64_e32 v[215:216], v[200:201]
	v_fma_f64 v[217:218], -v[200:201], v[215:216], 1.0
	v_fma_f64 v[215:216], v[215:216], v[217:218], v[215:216]
	v_fma_f64 v[217:218], -v[200:201], v[215:216], 1.0
	v_fma_f64 v[215:216], v[215:216], v[217:218], v[215:216]
	v_div_scale_f64 v[217:218], vcc_lo, 1.0, v[198:199], 1.0
	v_mul_f64 v[219:220], v[217:218], v[215:216]
	v_fma_f64 v[200:201], -v[200:201], v[219:220], v[217:218]
	v_div_fmas_f64 v[200:201], v[200:201], v[215:216], v[219:220]
	v_div_fixup_f64 v[198:199], v[200:201], v[198:199], 1.0
	v_mul_f64 v[200:201], v[213:214], -v[198:199]
.LBB96_555:
	s_or_b32 exec_lo, exec_lo, s7
.LBB96_556:
	s_or_b32 exec_lo, exec_lo, s0
	s_mov_b32 s0, exec_lo
	v_cmpx_ne_u32_e64 v212, v206
	s_xor_b32 s0, exec_lo, s0
	s_cbranch_execz .LBB96_562
; %bb.557:
	s_mov_b32 s7, exec_lo
	v_cmpx_eq_u32_e32 26, v212
	s_cbranch_execz .LBB96_561
; %bb.558:
	v_cmp_ne_u32_e32 vcc_lo, 26, v206
	s_xor_b32 s8, s16, -1
	s_and_b32 s9, s8, vcc_lo
	s_and_saveexec_b32 s8, s9
	s_cbranch_execz .LBB96_560
; %bb.559:
	v_ashrrev_i32_e32 v207, 31, v206
	v_lshlrev_b64 v[212:213], 2, v[206:207]
	v_add_co_u32 v212, vcc_lo, v204, v212
	v_add_co_ci_u32_e64 v213, null, v205, v213, vcc_lo
	s_clause 0x1
	global_load_dword v0, v[212:213], off
	global_load_dword v207, v[204:205], off offset:104
	s_waitcnt vmcnt(1)
	global_store_dword v[204:205], v0, off offset:104
	s_waitcnt vmcnt(0)
	global_store_dword v[212:213], v207, off
.LBB96_560:
	s_or_b32 exec_lo, exec_lo, s8
	v_mov_b32_e32 v212, v206
	v_mov_b32_e32 v0, v206
.LBB96_561:
	s_or_b32 exec_lo, exec_lo, s7
.LBB96_562:
	s_andn2_saveexec_b32 s0, s0
	s_cbranch_execz .LBB96_564
; %bb.563:
	v_mov_b32_e32 v212, 26
	ds_write2_b64 v1, v[86:87], v[88:89] offset0:54 offset1:55
	ds_write2_b64 v1, v[82:83], v[84:85] offset0:56 offset1:57
	;; [unrolled: 1-line block ×22, first 2 shown]
.LBB96_564:
	s_or_b32 exec_lo, exec_lo, s0
	s_mov_b32 s0, exec_lo
	s_waitcnt lgkmcnt(0)
	s_waitcnt_vscnt null, 0x0
	s_barrier
	buffer_gl0_inv
	v_cmpx_lt_i32_e32 26, v212
	s_cbranch_execz .LBB96_566
; %bb.565:
	v_mul_f64 v[206:207], v[200:201], v[92:93]
	v_mul_f64 v[92:93], v[198:199], v[92:93]
	v_fma_f64 v[206:207], v[198:199], v[90:91], -v[206:207]
	v_fma_f64 v[92:93], v[200:201], v[90:91], v[92:93]
	ds_read2_b64 v[198:201], v1 offset0:54 offset1:55
	s_waitcnt lgkmcnt(0)
	v_mul_f64 v[90:91], v[200:201], v[92:93]
	v_fma_f64 v[90:91], v[198:199], v[206:207], -v[90:91]
	v_mul_f64 v[198:199], v[198:199], v[92:93]
	v_add_f64 v[86:87], v[86:87], -v[90:91]
	v_fma_f64 v[198:199], v[200:201], v[206:207], v[198:199]
	v_add_f64 v[88:89], v[88:89], -v[198:199]
	ds_read2_b64 v[198:201], v1 offset0:56 offset1:57
	s_waitcnt lgkmcnt(0)
	v_mul_f64 v[90:91], v[200:201], v[92:93]
	v_fma_f64 v[90:91], v[198:199], v[206:207], -v[90:91]
	v_mul_f64 v[198:199], v[198:199], v[92:93]
	v_add_f64 v[82:83], v[82:83], -v[90:91]
	v_fma_f64 v[198:199], v[200:201], v[206:207], v[198:199]
	v_add_f64 v[84:85], v[84:85], -v[198:199]
	;; [unrolled: 8-line block ×21, first 2 shown]
	ds_read2_b64 v[198:201], v1 offset0:96 offset1:97
	s_waitcnt lgkmcnt(0)
	v_mul_f64 v[90:91], v[200:201], v[92:93]
	v_fma_f64 v[90:91], v[198:199], v[206:207], -v[90:91]
	v_mul_f64 v[198:199], v[198:199], v[92:93]
	v_add_f64 v[2:3], v[2:3], -v[90:91]
	v_fma_f64 v[198:199], v[200:201], v[206:207], v[198:199]
	v_mov_b32_e32 v90, v206
	v_mov_b32_e32 v91, v207
	v_add_f64 v[4:5], v[4:5], -v[198:199]
.LBB96_566:
	s_or_b32 exec_lo, exec_lo, s0
	v_lshl_add_u32 v198, v212, 4, v1
	s_barrier
	buffer_gl0_inv
	v_mov_b32_e32 v206, 27
	ds_write2_b64 v198, v[86:87], v[88:89] offset1:1
	s_waitcnt lgkmcnt(0)
	s_barrier
	buffer_gl0_inv
	ds_read2_b64 v[198:201], v1 offset0:54 offset1:55
	s_cmp_lt_i32 s1, 29
	s_cbranch_scc1 .LBB96_569
; %bb.567:
	v_add3_u32 v207, v208, 0, 0x1c0
	v_mov_b32_e32 v206, 27
	s_mov_b32 s7, 28
	s_inst_prefetch 0x1
	.p2align	6
.LBB96_568:                             ; =>This Inner Loop Header: Depth=1
	s_waitcnt lgkmcnt(0)
	v_cmp_gt_f64_e32 vcc_lo, 0, v[200:201]
	v_cmp_gt_f64_e64 s0, 0, v[198:199]
	ds_read2_b64 v[213:216], v207 offset1:1
	v_xor_b32_e32 v218, 0x80000000, v199
	v_xor_b32_e32 v220, 0x80000000, v201
	v_mov_b32_e32 v217, v198
	v_mov_b32_e32 v219, v200
	v_add_nc_u32_e32 v207, 16, v207
	s_waitcnt lgkmcnt(0)
	v_xor_b32_e32 v222, 0x80000000, v216
	v_cndmask_b32_e64 v218, v199, v218, s0
	v_cndmask_b32_e32 v220, v201, v220, vcc_lo
	v_cmp_gt_f64_e32 vcc_lo, 0, v[215:216]
	v_cmp_gt_f64_e64 s0, 0, v[213:214]
	v_mov_b32_e32 v221, v215
	v_add_f64 v[217:218], v[217:218], v[219:220]
	v_xor_b32_e32 v220, 0x80000000, v214
	v_mov_b32_e32 v219, v213
	v_cndmask_b32_e32 v222, v216, v222, vcc_lo
	v_cndmask_b32_e64 v220, v214, v220, s0
	v_add_f64 v[219:220], v[219:220], v[221:222]
	v_cmp_lt_f64_e32 vcc_lo, v[217:218], v[219:220]
	v_cndmask_b32_e32 v199, v199, v214, vcc_lo
	v_cndmask_b32_e32 v198, v198, v213, vcc_lo
	;; [unrolled: 1-line block ×4, first 2 shown]
	v_cndmask_b32_e64 v206, v206, s7, vcc_lo
	s_add_i32 s7, s7, 1
	s_cmp_lg_u32 s1, s7
	s_cbranch_scc1 .LBB96_568
.LBB96_569:
	s_inst_prefetch 0x2
	s_waitcnt lgkmcnt(0)
	v_cmp_eq_f64_e32 vcc_lo, 0, v[198:199]
	v_cmp_eq_f64_e64 s0, 0, v[200:201]
	s_and_b32 s0, vcc_lo, s0
	s_and_saveexec_b32 s7, s0
	s_xor_b32 s0, exec_lo, s7
; %bb.570:
	v_cmp_ne_u32_e32 vcc_lo, 0, v211
	v_cndmask_b32_e32 v211, 28, v211, vcc_lo
; %bb.571:
	s_andn2_saveexec_b32 s0, s0
	s_cbranch_execz .LBB96_577
; %bb.572:
	v_cmp_ngt_f64_e64 s7, |v[198:199]|, |v[200:201]|
	s_and_saveexec_b32 s8, s7
	s_xor_b32 s7, exec_lo, s8
	s_cbranch_execz .LBB96_574
; %bb.573:
	v_div_scale_f64 v[213:214], null, v[200:201], v[200:201], v[198:199]
	v_div_scale_f64 v[219:220], vcc_lo, v[198:199], v[200:201], v[198:199]
	v_rcp_f64_e32 v[215:216], v[213:214]
	v_fma_f64 v[217:218], -v[213:214], v[215:216], 1.0
	v_fma_f64 v[215:216], v[215:216], v[217:218], v[215:216]
	v_fma_f64 v[217:218], -v[213:214], v[215:216], 1.0
	v_fma_f64 v[215:216], v[215:216], v[217:218], v[215:216]
	v_mul_f64 v[217:218], v[219:220], v[215:216]
	v_fma_f64 v[213:214], -v[213:214], v[217:218], v[219:220]
	v_div_fmas_f64 v[213:214], v[213:214], v[215:216], v[217:218]
	v_div_fixup_f64 v[213:214], v[213:214], v[200:201], v[198:199]
	v_fma_f64 v[198:199], v[198:199], v[213:214], v[200:201]
	v_div_scale_f64 v[200:201], null, v[198:199], v[198:199], 1.0
	v_rcp_f64_e32 v[215:216], v[200:201]
	v_fma_f64 v[217:218], -v[200:201], v[215:216], 1.0
	v_fma_f64 v[215:216], v[215:216], v[217:218], v[215:216]
	v_fma_f64 v[217:218], -v[200:201], v[215:216], 1.0
	v_fma_f64 v[215:216], v[215:216], v[217:218], v[215:216]
	v_div_scale_f64 v[217:218], vcc_lo, 1.0, v[198:199], 1.0
	v_mul_f64 v[219:220], v[217:218], v[215:216]
	v_fma_f64 v[200:201], -v[200:201], v[219:220], v[217:218]
	v_div_fmas_f64 v[200:201], v[200:201], v[215:216], v[219:220]
	v_div_fixup_f64 v[200:201], v[200:201], v[198:199], 1.0
	v_mul_f64 v[198:199], v[213:214], v[200:201]
	v_xor_b32_e32 v201, 0x80000000, v201
.LBB96_574:
	s_andn2_saveexec_b32 s7, s7
	s_cbranch_execz .LBB96_576
; %bb.575:
	v_div_scale_f64 v[213:214], null, v[198:199], v[198:199], v[200:201]
	v_div_scale_f64 v[219:220], vcc_lo, v[200:201], v[198:199], v[200:201]
	v_rcp_f64_e32 v[215:216], v[213:214]
	v_fma_f64 v[217:218], -v[213:214], v[215:216], 1.0
	v_fma_f64 v[215:216], v[215:216], v[217:218], v[215:216]
	v_fma_f64 v[217:218], -v[213:214], v[215:216], 1.0
	v_fma_f64 v[215:216], v[215:216], v[217:218], v[215:216]
	v_mul_f64 v[217:218], v[219:220], v[215:216]
	v_fma_f64 v[213:214], -v[213:214], v[217:218], v[219:220]
	v_div_fmas_f64 v[213:214], v[213:214], v[215:216], v[217:218]
	v_div_fixup_f64 v[213:214], v[213:214], v[198:199], v[200:201]
	v_fma_f64 v[198:199], v[200:201], v[213:214], v[198:199]
	v_div_scale_f64 v[200:201], null, v[198:199], v[198:199], 1.0
	v_rcp_f64_e32 v[215:216], v[200:201]
	v_fma_f64 v[217:218], -v[200:201], v[215:216], 1.0
	v_fma_f64 v[215:216], v[215:216], v[217:218], v[215:216]
	v_fma_f64 v[217:218], -v[200:201], v[215:216], 1.0
	v_fma_f64 v[215:216], v[215:216], v[217:218], v[215:216]
	v_div_scale_f64 v[217:218], vcc_lo, 1.0, v[198:199], 1.0
	v_mul_f64 v[219:220], v[217:218], v[215:216]
	v_fma_f64 v[200:201], -v[200:201], v[219:220], v[217:218]
	v_div_fmas_f64 v[200:201], v[200:201], v[215:216], v[219:220]
	v_div_fixup_f64 v[198:199], v[200:201], v[198:199], 1.0
	v_mul_f64 v[200:201], v[213:214], -v[198:199]
.LBB96_576:
	s_or_b32 exec_lo, exec_lo, s7
.LBB96_577:
	s_or_b32 exec_lo, exec_lo, s0
	s_mov_b32 s0, exec_lo
	v_cmpx_ne_u32_e64 v212, v206
	s_xor_b32 s0, exec_lo, s0
	s_cbranch_execz .LBB96_583
; %bb.578:
	s_mov_b32 s7, exec_lo
	v_cmpx_eq_u32_e32 27, v212
	s_cbranch_execz .LBB96_582
; %bb.579:
	v_cmp_ne_u32_e32 vcc_lo, 27, v206
	s_xor_b32 s8, s16, -1
	s_and_b32 s9, s8, vcc_lo
	s_and_saveexec_b32 s8, s9
	s_cbranch_execz .LBB96_581
; %bb.580:
	v_ashrrev_i32_e32 v207, 31, v206
	v_lshlrev_b64 v[212:213], 2, v[206:207]
	v_add_co_u32 v212, vcc_lo, v204, v212
	v_add_co_ci_u32_e64 v213, null, v205, v213, vcc_lo
	s_clause 0x1
	global_load_dword v0, v[212:213], off
	global_load_dword v207, v[204:205], off offset:108
	s_waitcnt vmcnt(1)
	global_store_dword v[204:205], v0, off offset:108
	s_waitcnt vmcnt(0)
	global_store_dword v[212:213], v207, off
.LBB96_581:
	s_or_b32 exec_lo, exec_lo, s8
	v_mov_b32_e32 v212, v206
	v_mov_b32_e32 v0, v206
.LBB96_582:
	s_or_b32 exec_lo, exec_lo, s7
.LBB96_583:
	s_andn2_saveexec_b32 s0, s0
	s_cbranch_execz .LBB96_585
; %bb.584:
	v_mov_b32_e32 v212, 27
	ds_write2_b64 v1, v[82:83], v[84:85] offset0:56 offset1:57
	ds_write2_b64 v1, v[78:79], v[80:81] offset0:58 offset1:59
	;; [unrolled: 1-line block ×21, first 2 shown]
.LBB96_585:
	s_or_b32 exec_lo, exec_lo, s0
	s_mov_b32 s0, exec_lo
	s_waitcnt lgkmcnt(0)
	s_waitcnt_vscnt null, 0x0
	s_barrier
	buffer_gl0_inv
	v_cmpx_lt_i32_e32 27, v212
	s_cbranch_execz .LBB96_587
; %bb.586:
	v_mul_f64 v[206:207], v[200:201], v[88:89]
	v_mul_f64 v[88:89], v[198:199], v[88:89]
	v_fma_f64 v[206:207], v[198:199], v[86:87], -v[206:207]
	v_fma_f64 v[88:89], v[200:201], v[86:87], v[88:89]
	ds_read2_b64 v[198:201], v1 offset0:56 offset1:57
	s_waitcnt lgkmcnt(0)
	v_mul_f64 v[86:87], v[200:201], v[88:89]
	v_fma_f64 v[86:87], v[198:199], v[206:207], -v[86:87]
	v_mul_f64 v[198:199], v[198:199], v[88:89]
	v_add_f64 v[82:83], v[82:83], -v[86:87]
	v_fma_f64 v[198:199], v[200:201], v[206:207], v[198:199]
	v_add_f64 v[84:85], v[84:85], -v[198:199]
	ds_read2_b64 v[198:201], v1 offset0:58 offset1:59
	s_waitcnt lgkmcnt(0)
	v_mul_f64 v[86:87], v[200:201], v[88:89]
	v_fma_f64 v[86:87], v[198:199], v[206:207], -v[86:87]
	v_mul_f64 v[198:199], v[198:199], v[88:89]
	v_add_f64 v[78:79], v[78:79], -v[86:87]
	v_fma_f64 v[198:199], v[200:201], v[206:207], v[198:199]
	v_add_f64 v[80:81], v[80:81], -v[198:199]
	;; [unrolled: 8-line block ×20, first 2 shown]
	ds_read2_b64 v[198:201], v1 offset0:96 offset1:97
	s_waitcnt lgkmcnt(0)
	v_mul_f64 v[86:87], v[200:201], v[88:89]
	v_fma_f64 v[86:87], v[198:199], v[206:207], -v[86:87]
	v_mul_f64 v[198:199], v[198:199], v[88:89]
	v_add_f64 v[2:3], v[2:3], -v[86:87]
	v_fma_f64 v[198:199], v[200:201], v[206:207], v[198:199]
	v_mov_b32_e32 v86, v206
	v_mov_b32_e32 v87, v207
	v_add_f64 v[4:5], v[4:5], -v[198:199]
.LBB96_587:
	s_or_b32 exec_lo, exec_lo, s0
	v_lshl_add_u32 v198, v212, 4, v1
	s_barrier
	buffer_gl0_inv
	v_mov_b32_e32 v206, 28
	ds_write2_b64 v198, v[82:83], v[84:85] offset1:1
	s_waitcnt lgkmcnt(0)
	s_barrier
	buffer_gl0_inv
	ds_read2_b64 v[198:201], v1 offset0:56 offset1:57
	s_cmp_lt_i32 s1, 30
	s_cbranch_scc1 .LBB96_590
; %bb.588:
	v_add3_u32 v207, v208, 0, 0x1d0
	v_mov_b32_e32 v206, 28
	s_mov_b32 s7, 29
	s_inst_prefetch 0x1
	.p2align	6
.LBB96_589:                             ; =>This Inner Loop Header: Depth=1
	s_waitcnt lgkmcnt(0)
	v_cmp_gt_f64_e32 vcc_lo, 0, v[200:201]
	v_cmp_gt_f64_e64 s0, 0, v[198:199]
	ds_read2_b64 v[213:216], v207 offset1:1
	v_xor_b32_e32 v218, 0x80000000, v199
	v_xor_b32_e32 v220, 0x80000000, v201
	v_mov_b32_e32 v217, v198
	v_mov_b32_e32 v219, v200
	v_add_nc_u32_e32 v207, 16, v207
	s_waitcnt lgkmcnt(0)
	v_xor_b32_e32 v222, 0x80000000, v216
	v_cndmask_b32_e64 v218, v199, v218, s0
	v_cndmask_b32_e32 v220, v201, v220, vcc_lo
	v_cmp_gt_f64_e32 vcc_lo, 0, v[215:216]
	v_cmp_gt_f64_e64 s0, 0, v[213:214]
	v_mov_b32_e32 v221, v215
	v_add_f64 v[217:218], v[217:218], v[219:220]
	v_xor_b32_e32 v220, 0x80000000, v214
	v_mov_b32_e32 v219, v213
	v_cndmask_b32_e32 v222, v216, v222, vcc_lo
	v_cndmask_b32_e64 v220, v214, v220, s0
	v_add_f64 v[219:220], v[219:220], v[221:222]
	v_cmp_lt_f64_e32 vcc_lo, v[217:218], v[219:220]
	v_cndmask_b32_e32 v199, v199, v214, vcc_lo
	v_cndmask_b32_e32 v198, v198, v213, vcc_lo
	;; [unrolled: 1-line block ×4, first 2 shown]
	v_cndmask_b32_e64 v206, v206, s7, vcc_lo
	s_add_i32 s7, s7, 1
	s_cmp_lg_u32 s1, s7
	s_cbranch_scc1 .LBB96_589
.LBB96_590:
	s_inst_prefetch 0x2
	s_waitcnt lgkmcnt(0)
	v_cmp_eq_f64_e32 vcc_lo, 0, v[198:199]
	v_cmp_eq_f64_e64 s0, 0, v[200:201]
	s_and_b32 s0, vcc_lo, s0
	s_and_saveexec_b32 s7, s0
	s_xor_b32 s0, exec_lo, s7
; %bb.591:
	v_cmp_ne_u32_e32 vcc_lo, 0, v211
	v_cndmask_b32_e32 v211, 29, v211, vcc_lo
; %bb.592:
	s_andn2_saveexec_b32 s0, s0
	s_cbranch_execz .LBB96_598
; %bb.593:
	v_cmp_ngt_f64_e64 s7, |v[198:199]|, |v[200:201]|
	s_and_saveexec_b32 s8, s7
	s_xor_b32 s7, exec_lo, s8
	s_cbranch_execz .LBB96_595
; %bb.594:
	v_div_scale_f64 v[213:214], null, v[200:201], v[200:201], v[198:199]
	v_div_scale_f64 v[219:220], vcc_lo, v[198:199], v[200:201], v[198:199]
	v_rcp_f64_e32 v[215:216], v[213:214]
	v_fma_f64 v[217:218], -v[213:214], v[215:216], 1.0
	v_fma_f64 v[215:216], v[215:216], v[217:218], v[215:216]
	v_fma_f64 v[217:218], -v[213:214], v[215:216], 1.0
	v_fma_f64 v[215:216], v[215:216], v[217:218], v[215:216]
	v_mul_f64 v[217:218], v[219:220], v[215:216]
	v_fma_f64 v[213:214], -v[213:214], v[217:218], v[219:220]
	v_div_fmas_f64 v[213:214], v[213:214], v[215:216], v[217:218]
	v_div_fixup_f64 v[213:214], v[213:214], v[200:201], v[198:199]
	v_fma_f64 v[198:199], v[198:199], v[213:214], v[200:201]
	v_div_scale_f64 v[200:201], null, v[198:199], v[198:199], 1.0
	v_rcp_f64_e32 v[215:216], v[200:201]
	v_fma_f64 v[217:218], -v[200:201], v[215:216], 1.0
	v_fma_f64 v[215:216], v[215:216], v[217:218], v[215:216]
	v_fma_f64 v[217:218], -v[200:201], v[215:216], 1.0
	v_fma_f64 v[215:216], v[215:216], v[217:218], v[215:216]
	v_div_scale_f64 v[217:218], vcc_lo, 1.0, v[198:199], 1.0
	v_mul_f64 v[219:220], v[217:218], v[215:216]
	v_fma_f64 v[200:201], -v[200:201], v[219:220], v[217:218]
	v_div_fmas_f64 v[200:201], v[200:201], v[215:216], v[219:220]
	v_div_fixup_f64 v[200:201], v[200:201], v[198:199], 1.0
	v_mul_f64 v[198:199], v[213:214], v[200:201]
	v_xor_b32_e32 v201, 0x80000000, v201
.LBB96_595:
	s_andn2_saveexec_b32 s7, s7
	s_cbranch_execz .LBB96_597
; %bb.596:
	v_div_scale_f64 v[213:214], null, v[198:199], v[198:199], v[200:201]
	v_div_scale_f64 v[219:220], vcc_lo, v[200:201], v[198:199], v[200:201]
	v_rcp_f64_e32 v[215:216], v[213:214]
	v_fma_f64 v[217:218], -v[213:214], v[215:216], 1.0
	v_fma_f64 v[215:216], v[215:216], v[217:218], v[215:216]
	v_fma_f64 v[217:218], -v[213:214], v[215:216], 1.0
	v_fma_f64 v[215:216], v[215:216], v[217:218], v[215:216]
	v_mul_f64 v[217:218], v[219:220], v[215:216]
	v_fma_f64 v[213:214], -v[213:214], v[217:218], v[219:220]
	v_div_fmas_f64 v[213:214], v[213:214], v[215:216], v[217:218]
	v_div_fixup_f64 v[213:214], v[213:214], v[198:199], v[200:201]
	v_fma_f64 v[198:199], v[200:201], v[213:214], v[198:199]
	v_div_scale_f64 v[200:201], null, v[198:199], v[198:199], 1.0
	v_rcp_f64_e32 v[215:216], v[200:201]
	v_fma_f64 v[217:218], -v[200:201], v[215:216], 1.0
	v_fma_f64 v[215:216], v[215:216], v[217:218], v[215:216]
	v_fma_f64 v[217:218], -v[200:201], v[215:216], 1.0
	v_fma_f64 v[215:216], v[215:216], v[217:218], v[215:216]
	v_div_scale_f64 v[217:218], vcc_lo, 1.0, v[198:199], 1.0
	v_mul_f64 v[219:220], v[217:218], v[215:216]
	v_fma_f64 v[200:201], -v[200:201], v[219:220], v[217:218]
	v_div_fmas_f64 v[200:201], v[200:201], v[215:216], v[219:220]
	v_div_fixup_f64 v[198:199], v[200:201], v[198:199], 1.0
	v_mul_f64 v[200:201], v[213:214], -v[198:199]
.LBB96_597:
	s_or_b32 exec_lo, exec_lo, s7
.LBB96_598:
	s_or_b32 exec_lo, exec_lo, s0
	s_mov_b32 s0, exec_lo
	v_cmpx_ne_u32_e64 v212, v206
	s_xor_b32 s0, exec_lo, s0
	s_cbranch_execz .LBB96_604
; %bb.599:
	s_mov_b32 s7, exec_lo
	v_cmpx_eq_u32_e32 28, v212
	s_cbranch_execz .LBB96_603
; %bb.600:
	v_cmp_ne_u32_e32 vcc_lo, 28, v206
	s_xor_b32 s8, s16, -1
	s_and_b32 s9, s8, vcc_lo
	s_and_saveexec_b32 s8, s9
	s_cbranch_execz .LBB96_602
; %bb.601:
	v_ashrrev_i32_e32 v207, 31, v206
	v_lshlrev_b64 v[212:213], 2, v[206:207]
	v_add_co_u32 v212, vcc_lo, v204, v212
	v_add_co_ci_u32_e64 v213, null, v205, v213, vcc_lo
	s_clause 0x1
	global_load_dword v0, v[212:213], off
	global_load_dword v207, v[204:205], off offset:112
	s_waitcnt vmcnt(1)
	global_store_dword v[204:205], v0, off offset:112
	s_waitcnt vmcnt(0)
	global_store_dword v[212:213], v207, off
.LBB96_602:
	s_or_b32 exec_lo, exec_lo, s8
	v_mov_b32_e32 v212, v206
	v_mov_b32_e32 v0, v206
.LBB96_603:
	s_or_b32 exec_lo, exec_lo, s7
.LBB96_604:
	s_andn2_saveexec_b32 s0, s0
	s_cbranch_execz .LBB96_606
; %bb.605:
	v_mov_b32_e32 v212, 28
	ds_write2_b64 v1, v[78:79], v[80:81] offset0:58 offset1:59
	ds_write2_b64 v1, v[74:75], v[76:77] offset0:60 offset1:61
	;; [unrolled: 1-line block ×20, first 2 shown]
.LBB96_606:
	s_or_b32 exec_lo, exec_lo, s0
	s_mov_b32 s0, exec_lo
	s_waitcnt lgkmcnt(0)
	s_waitcnt_vscnt null, 0x0
	s_barrier
	buffer_gl0_inv
	v_cmpx_lt_i32_e32 28, v212
	s_cbranch_execz .LBB96_608
; %bb.607:
	v_mul_f64 v[206:207], v[200:201], v[84:85]
	v_mul_f64 v[84:85], v[198:199], v[84:85]
	v_fma_f64 v[206:207], v[198:199], v[82:83], -v[206:207]
	v_fma_f64 v[84:85], v[200:201], v[82:83], v[84:85]
	ds_read2_b64 v[198:201], v1 offset0:58 offset1:59
	s_waitcnt lgkmcnt(0)
	v_mul_f64 v[82:83], v[200:201], v[84:85]
	v_fma_f64 v[82:83], v[198:199], v[206:207], -v[82:83]
	v_mul_f64 v[198:199], v[198:199], v[84:85]
	v_add_f64 v[78:79], v[78:79], -v[82:83]
	v_fma_f64 v[198:199], v[200:201], v[206:207], v[198:199]
	v_add_f64 v[80:81], v[80:81], -v[198:199]
	ds_read2_b64 v[198:201], v1 offset0:60 offset1:61
	s_waitcnt lgkmcnt(0)
	v_mul_f64 v[82:83], v[200:201], v[84:85]
	v_fma_f64 v[82:83], v[198:199], v[206:207], -v[82:83]
	v_mul_f64 v[198:199], v[198:199], v[84:85]
	v_add_f64 v[74:75], v[74:75], -v[82:83]
	v_fma_f64 v[198:199], v[200:201], v[206:207], v[198:199]
	v_add_f64 v[76:77], v[76:77], -v[198:199]
	;; [unrolled: 8-line block ×19, first 2 shown]
	ds_read2_b64 v[198:201], v1 offset0:96 offset1:97
	s_waitcnt lgkmcnt(0)
	v_mul_f64 v[82:83], v[200:201], v[84:85]
	v_fma_f64 v[82:83], v[198:199], v[206:207], -v[82:83]
	v_mul_f64 v[198:199], v[198:199], v[84:85]
	v_add_f64 v[2:3], v[2:3], -v[82:83]
	v_fma_f64 v[198:199], v[200:201], v[206:207], v[198:199]
	v_mov_b32_e32 v82, v206
	v_mov_b32_e32 v83, v207
	v_add_f64 v[4:5], v[4:5], -v[198:199]
.LBB96_608:
	s_or_b32 exec_lo, exec_lo, s0
	v_lshl_add_u32 v198, v212, 4, v1
	s_barrier
	buffer_gl0_inv
	v_mov_b32_e32 v206, 29
	ds_write2_b64 v198, v[78:79], v[80:81] offset1:1
	s_waitcnt lgkmcnt(0)
	s_barrier
	buffer_gl0_inv
	ds_read2_b64 v[198:201], v1 offset0:58 offset1:59
	s_cmp_lt_i32 s1, 31
	s_cbranch_scc1 .LBB96_611
; %bb.609:
	v_add3_u32 v207, v208, 0, 0x1e0
	v_mov_b32_e32 v206, 29
	s_mov_b32 s7, 30
	s_inst_prefetch 0x1
	.p2align	6
.LBB96_610:                             ; =>This Inner Loop Header: Depth=1
	s_waitcnt lgkmcnt(0)
	v_cmp_gt_f64_e32 vcc_lo, 0, v[200:201]
	v_cmp_gt_f64_e64 s0, 0, v[198:199]
	ds_read2_b64 v[213:216], v207 offset1:1
	v_xor_b32_e32 v218, 0x80000000, v199
	v_xor_b32_e32 v220, 0x80000000, v201
	v_mov_b32_e32 v217, v198
	v_mov_b32_e32 v219, v200
	v_add_nc_u32_e32 v207, 16, v207
	s_waitcnt lgkmcnt(0)
	v_xor_b32_e32 v222, 0x80000000, v216
	v_cndmask_b32_e64 v218, v199, v218, s0
	v_cndmask_b32_e32 v220, v201, v220, vcc_lo
	v_cmp_gt_f64_e32 vcc_lo, 0, v[215:216]
	v_cmp_gt_f64_e64 s0, 0, v[213:214]
	v_mov_b32_e32 v221, v215
	v_add_f64 v[217:218], v[217:218], v[219:220]
	v_xor_b32_e32 v220, 0x80000000, v214
	v_mov_b32_e32 v219, v213
	v_cndmask_b32_e32 v222, v216, v222, vcc_lo
	v_cndmask_b32_e64 v220, v214, v220, s0
	v_add_f64 v[219:220], v[219:220], v[221:222]
	v_cmp_lt_f64_e32 vcc_lo, v[217:218], v[219:220]
	v_cndmask_b32_e32 v199, v199, v214, vcc_lo
	v_cndmask_b32_e32 v198, v198, v213, vcc_lo
	;; [unrolled: 1-line block ×4, first 2 shown]
	v_cndmask_b32_e64 v206, v206, s7, vcc_lo
	s_add_i32 s7, s7, 1
	s_cmp_lg_u32 s1, s7
	s_cbranch_scc1 .LBB96_610
.LBB96_611:
	s_inst_prefetch 0x2
	s_waitcnt lgkmcnt(0)
	v_cmp_eq_f64_e32 vcc_lo, 0, v[198:199]
	v_cmp_eq_f64_e64 s0, 0, v[200:201]
	s_and_b32 s0, vcc_lo, s0
	s_and_saveexec_b32 s7, s0
	s_xor_b32 s0, exec_lo, s7
; %bb.612:
	v_cmp_ne_u32_e32 vcc_lo, 0, v211
	v_cndmask_b32_e32 v211, 30, v211, vcc_lo
; %bb.613:
	s_andn2_saveexec_b32 s0, s0
	s_cbranch_execz .LBB96_619
; %bb.614:
	v_cmp_ngt_f64_e64 s7, |v[198:199]|, |v[200:201]|
	s_and_saveexec_b32 s8, s7
	s_xor_b32 s7, exec_lo, s8
	s_cbranch_execz .LBB96_616
; %bb.615:
	v_div_scale_f64 v[213:214], null, v[200:201], v[200:201], v[198:199]
	v_div_scale_f64 v[219:220], vcc_lo, v[198:199], v[200:201], v[198:199]
	v_rcp_f64_e32 v[215:216], v[213:214]
	v_fma_f64 v[217:218], -v[213:214], v[215:216], 1.0
	v_fma_f64 v[215:216], v[215:216], v[217:218], v[215:216]
	v_fma_f64 v[217:218], -v[213:214], v[215:216], 1.0
	v_fma_f64 v[215:216], v[215:216], v[217:218], v[215:216]
	v_mul_f64 v[217:218], v[219:220], v[215:216]
	v_fma_f64 v[213:214], -v[213:214], v[217:218], v[219:220]
	v_div_fmas_f64 v[213:214], v[213:214], v[215:216], v[217:218]
	v_div_fixup_f64 v[213:214], v[213:214], v[200:201], v[198:199]
	v_fma_f64 v[198:199], v[198:199], v[213:214], v[200:201]
	v_div_scale_f64 v[200:201], null, v[198:199], v[198:199], 1.0
	v_rcp_f64_e32 v[215:216], v[200:201]
	v_fma_f64 v[217:218], -v[200:201], v[215:216], 1.0
	v_fma_f64 v[215:216], v[215:216], v[217:218], v[215:216]
	v_fma_f64 v[217:218], -v[200:201], v[215:216], 1.0
	v_fma_f64 v[215:216], v[215:216], v[217:218], v[215:216]
	v_div_scale_f64 v[217:218], vcc_lo, 1.0, v[198:199], 1.0
	v_mul_f64 v[219:220], v[217:218], v[215:216]
	v_fma_f64 v[200:201], -v[200:201], v[219:220], v[217:218]
	v_div_fmas_f64 v[200:201], v[200:201], v[215:216], v[219:220]
	v_div_fixup_f64 v[200:201], v[200:201], v[198:199], 1.0
	v_mul_f64 v[198:199], v[213:214], v[200:201]
	v_xor_b32_e32 v201, 0x80000000, v201
.LBB96_616:
	s_andn2_saveexec_b32 s7, s7
	s_cbranch_execz .LBB96_618
; %bb.617:
	v_div_scale_f64 v[213:214], null, v[198:199], v[198:199], v[200:201]
	v_div_scale_f64 v[219:220], vcc_lo, v[200:201], v[198:199], v[200:201]
	v_rcp_f64_e32 v[215:216], v[213:214]
	v_fma_f64 v[217:218], -v[213:214], v[215:216], 1.0
	v_fma_f64 v[215:216], v[215:216], v[217:218], v[215:216]
	v_fma_f64 v[217:218], -v[213:214], v[215:216], 1.0
	v_fma_f64 v[215:216], v[215:216], v[217:218], v[215:216]
	v_mul_f64 v[217:218], v[219:220], v[215:216]
	v_fma_f64 v[213:214], -v[213:214], v[217:218], v[219:220]
	v_div_fmas_f64 v[213:214], v[213:214], v[215:216], v[217:218]
	v_div_fixup_f64 v[213:214], v[213:214], v[198:199], v[200:201]
	v_fma_f64 v[198:199], v[200:201], v[213:214], v[198:199]
	v_div_scale_f64 v[200:201], null, v[198:199], v[198:199], 1.0
	v_rcp_f64_e32 v[215:216], v[200:201]
	v_fma_f64 v[217:218], -v[200:201], v[215:216], 1.0
	v_fma_f64 v[215:216], v[215:216], v[217:218], v[215:216]
	v_fma_f64 v[217:218], -v[200:201], v[215:216], 1.0
	v_fma_f64 v[215:216], v[215:216], v[217:218], v[215:216]
	v_div_scale_f64 v[217:218], vcc_lo, 1.0, v[198:199], 1.0
	v_mul_f64 v[219:220], v[217:218], v[215:216]
	v_fma_f64 v[200:201], -v[200:201], v[219:220], v[217:218]
	v_div_fmas_f64 v[200:201], v[200:201], v[215:216], v[219:220]
	v_div_fixup_f64 v[198:199], v[200:201], v[198:199], 1.0
	v_mul_f64 v[200:201], v[213:214], -v[198:199]
.LBB96_618:
	s_or_b32 exec_lo, exec_lo, s7
.LBB96_619:
	s_or_b32 exec_lo, exec_lo, s0
	s_mov_b32 s0, exec_lo
	v_cmpx_ne_u32_e64 v212, v206
	s_xor_b32 s0, exec_lo, s0
	s_cbranch_execz .LBB96_625
; %bb.620:
	s_mov_b32 s7, exec_lo
	v_cmpx_eq_u32_e32 29, v212
	s_cbranch_execz .LBB96_624
; %bb.621:
	v_cmp_ne_u32_e32 vcc_lo, 29, v206
	s_xor_b32 s8, s16, -1
	s_and_b32 s9, s8, vcc_lo
	s_and_saveexec_b32 s8, s9
	s_cbranch_execz .LBB96_623
; %bb.622:
	v_ashrrev_i32_e32 v207, 31, v206
	v_lshlrev_b64 v[212:213], 2, v[206:207]
	v_add_co_u32 v212, vcc_lo, v204, v212
	v_add_co_ci_u32_e64 v213, null, v205, v213, vcc_lo
	s_clause 0x1
	global_load_dword v0, v[212:213], off
	global_load_dword v207, v[204:205], off offset:116
	s_waitcnt vmcnt(1)
	global_store_dword v[204:205], v0, off offset:116
	s_waitcnt vmcnt(0)
	global_store_dword v[212:213], v207, off
.LBB96_623:
	s_or_b32 exec_lo, exec_lo, s8
	v_mov_b32_e32 v212, v206
	v_mov_b32_e32 v0, v206
.LBB96_624:
	s_or_b32 exec_lo, exec_lo, s7
.LBB96_625:
	s_andn2_saveexec_b32 s0, s0
	s_cbranch_execz .LBB96_627
; %bb.626:
	v_mov_b32_e32 v212, 29
	ds_write2_b64 v1, v[74:75], v[76:77] offset0:60 offset1:61
	ds_write2_b64 v1, v[70:71], v[72:73] offset0:62 offset1:63
	;; [unrolled: 1-line block ×19, first 2 shown]
.LBB96_627:
	s_or_b32 exec_lo, exec_lo, s0
	s_mov_b32 s0, exec_lo
	s_waitcnt lgkmcnt(0)
	s_waitcnt_vscnt null, 0x0
	s_barrier
	buffer_gl0_inv
	v_cmpx_lt_i32_e32 29, v212
	s_cbranch_execz .LBB96_629
; %bb.628:
	v_mul_f64 v[206:207], v[200:201], v[80:81]
	v_mul_f64 v[80:81], v[198:199], v[80:81]
	v_fma_f64 v[206:207], v[198:199], v[78:79], -v[206:207]
	v_fma_f64 v[80:81], v[200:201], v[78:79], v[80:81]
	ds_read2_b64 v[198:201], v1 offset0:60 offset1:61
	s_waitcnt lgkmcnt(0)
	v_mul_f64 v[78:79], v[200:201], v[80:81]
	v_fma_f64 v[78:79], v[198:199], v[206:207], -v[78:79]
	v_mul_f64 v[198:199], v[198:199], v[80:81]
	v_add_f64 v[74:75], v[74:75], -v[78:79]
	v_fma_f64 v[198:199], v[200:201], v[206:207], v[198:199]
	v_add_f64 v[76:77], v[76:77], -v[198:199]
	ds_read2_b64 v[198:201], v1 offset0:62 offset1:63
	s_waitcnt lgkmcnt(0)
	v_mul_f64 v[78:79], v[200:201], v[80:81]
	v_fma_f64 v[78:79], v[198:199], v[206:207], -v[78:79]
	v_mul_f64 v[198:199], v[198:199], v[80:81]
	v_add_f64 v[70:71], v[70:71], -v[78:79]
	v_fma_f64 v[198:199], v[200:201], v[206:207], v[198:199]
	v_add_f64 v[72:73], v[72:73], -v[198:199]
	;; [unrolled: 8-line block ×18, first 2 shown]
	ds_read2_b64 v[198:201], v1 offset0:96 offset1:97
	s_waitcnt lgkmcnt(0)
	v_mul_f64 v[78:79], v[200:201], v[80:81]
	v_fma_f64 v[78:79], v[198:199], v[206:207], -v[78:79]
	v_mul_f64 v[198:199], v[198:199], v[80:81]
	v_add_f64 v[2:3], v[2:3], -v[78:79]
	v_fma_f64 v[198:199], v[200:201], v[206:207], v[198:199]
	v_mov_b32_e32 v78, v206
	v_mov_b32_e32 v79, v207
	v_add_f64 v[4:5], v[4:5], -v[198:199]
.LBB96_629:
	s_or_b32 exec_lo, exec_lo, s0
	v_lshl_add_u32 v198, v212, 4, v1
	s_barrier
	buffer_gl0_inv
	v_mov_b32_e32 v206, 30
	ds_write2_b64 v198, v[74:75], v[76:77] offset1:1
	s_waitcnt lgkmcnt(0)
	s_barrier
	buffer_gl0_inv
	ds_read2_b64 v[198:201], v1 offset0:60 offset1:61
	s_cmp_lt_i32 s1, 32
	s_cbranch_scc1 .LBB96_632
; %bb.630:
	v_add3_u32 v207, v208, 0, 0x1f0
	v_mov_b32_e32 v206, 30
	s_mov_b32 s7, 31
	s_inst_prefetch 0x1
	.p2align	6
.LBB96_631:                             ; =>This Inner Loop Header: Depth=1
	s_waitcnt lgkmcnt(0)
	v_cmp_gt_f64_e32 vcc_lo, 0, v[200:201]
	v_cmp_gt_f64_e64 s0, 0, v[198:199]
	ds_read2_b64 v[213:216], v207 offset1:1
	v_xor_b32_e32 v218, 0x80000000, v199
	v_xor_b32_e32 v220, 0x80000000, v201
	v_mov_b32_e32 v217, v198
	v_mov_b32_e32 v219, v200
	v_add_nc_u32_e32 v207, 16, v207
	s_waitcnt lgkmcnt(0)
	v_xor_b32_e32 v222, 0x80000000, v216
	v_cndmask_b32_e64 v218, v199, v218, s0
	v_cndmask_b32_e32 v220, v201, v220, vcc_lo
	v_cmp_gt_f64_e32 vcc_lo, 0, v[215:216]
	v_cmp_gt_f64_e64 s0, 0, v[213:214]
	v_mov_b32_e32 v221, v215
	v_add_f64 v[217:218], v[217:218], v[219:220]
	v_xor_b32_e32 v220, 0x80000000, v214
	v_mov_b32_e32 v219, v213
	v_cndmask_b32_e32 v222, v216, v222, vcc_lo
	v_cndmask_b32_e64 v220, v214, v220, s0
	v_add_f64 v[219:220], v[219:220], v[221:222]
	v_cmp_lt_f64_e32 vcc_lo, v[217:218], v[219:220]
	v_cndmask_b32_e32 v199, v199, v214, vcc_lo
	v_cndmask_b32_e32 v198, v198, v213, vcc_lo
	;; [unrolled: 1-line block ×4, first 2 shown]
	v_cndmask_b32_e64 v206, v206, s7, vcc_lo
	s_add_i32 s7, s7, 1
	s_cmp_lg_u32 s1, s7
	s_cbranch_scc1 .LBB96_631
.LBB96_632:
	s_inst_prefetch 0x2
	s_waitcnt lgkmcnt(0)
	v_cmp_eq_f64_e32 vcc_lo, 0, v[198:199]
	v_cmp_eq_f64_e64 s0, 0, v[200:201]
	s_and_b32 s0, vcc_lo, s0
	s_and_saveexec_b32 s7, s0
	s_xor_b32 s0, exec_lo, s7
; %bb.633:
	v_cmp_ne_u32_e32 vcc_lo, 0, v211
	v_cndmask_b32_e32 v211, 31, v211, vcc_lo
; %bb.634:
	s_andn2_saveexec_b32 s0, s0
	s_cbranch_execz .LBB96_640
; %bb.635:
	v_cmp_ngt_f64_e64 s7, |v[198:199]|, |v[200:201]|
	s_and_saveexec_b32 s8, s7
	s_xor_b32 s7, exec_lo, s8
	s_cbranch_execz .LBB96_637
; %bb.636:
	v_div_scale_f64 v[213:214], null, v[200:201], v[200:201], v[198:199]
	v_div_scale_f64 v[219:220], vcc_lo, v[198:199], v[200:201], v[198:199]
	v_rcp_f64_e32 v[215:216], v[213:214]
	v_fma_f64 v[217:218], -v[213:214], v[215:216], 1.0
	v_fma_f64 v[215:216], v[215:216], v[217:218], v[215:216]
	v_fma_f64 v[217:218], -v[213:214], v[215:216], 1.0
	v_fma_f64 v[215:216], v[215:216], v[217:218], v[215:216]
	v_mul_f64 v[217:218], v[219:220], v[215:216]
	v_fma_f64 v[213:214], -v[213:214], v[217:218], v[219:220]
	v_div_fmas_f64 v[213:214], v[213:214], v[215:216], v[217:218]
	v_div_fixup_f64 v[213:214], v[213:214], v[200:201], v[198:199]
	v_fma_f64 v[198:199], v[198:199], v[213:214], v[200:201]
	v_div_scale_f64 v[200:201], null, v[198:199], v[198:199], 1.0
	v_rcp_f64_e32 v[215:216], v[200:201]
	v_fma_f64 v[217:218], -v[200:201], v[215:216], 1.0
	v_fma_f64 v[215:216], v[215:216], v[217:218], v[215:216]
	v_fma_f64 v[217:218], -v[200:201], v[215:216], 1.0
	v_fma_f64 v[215:216], v[215:216], v[217:218], v[215:216]
	v_div_scale_f64 v[217:218], vcc_lo, 1.0, v[198:199], 1.0
	v_mul_f64 v[219:220], v[217:218], v[215:216]
	v_fma_f64 v[200:201], -v[200:201], v[219:220], v[217:218]
	v_div_fmas_f64 v[200:201], v[200:201], v[215:216], v[219:220]
	v_div_fixup_f64 v[200:201], v[200:201], v[198:199], 1.0
	v_mul_f64 v[198:199], v[213:214], v[200:201]
	v_xor_b32_e32 v201, 0x80000000, v201
.LBB96_637:
	s_andn2_saveexec_b32 s7, s7
	s_cbranch_execz .LBB96_639
; %bb.638:
	v_div_scale_f64 v[213:214], null, v[198:199], v[198:199], v[200:201]
	v_div_scale_f64 v[219:220], vcc_lo, v[200:201], v[198:199], v[200:201]
	v_rcp_f64_e32 v[215:216], v[213:214]
	v_fma_f64 v[217:218], -v[213:214], v[215:216], 1.0
	v_fma_f64 v[215:216], v[215:216], v[217:218], v[215:216]
	v_fma_f64 v[217:218], -v[213:214], v[215:216], 1.0
	v_fma_f64 v[215:216], v[215:216], v[217:218], v[215:216]
	v_mul_f64 v[217:218], v[219:220], v[215:216]
	v_fma_f64 v[213:214], -v[213:214], v[217:218], v[219:220]
	v_div_fmas_f64 v[213:214], v[213:214], v[215:216], v[217:218]
	v_div_fixup_f64 v[213:214], v[213:214], v[198:199], v[200:201]
	v_fma_f64 v[198:199], v[200:201], v[213:214], v[198:199]
	v_div_scale_f64 v[200:201], null, v[198:199], v[198:199], 1.0
	v_rcp_f64_e32 v[215:216], v[200:201]
	v_fma_f64 v[217:218], -v[200:201], v[215:216], 1.0
	v_fma_f64 v[215:216], v[215:216], v[217:218], v[215:216]
	v_fma_f64 v[217:218], -v[200:201], v[215:216], 1.0
	v_fma_f64 v[215:216], v[215:216], v[217:218], v[215:216]
	v_div_scale_f64 v[217:218], vcc_lo, 1.0, v[198:199], 1.0
	v_mul_f64 v[219:220], v[217:218], v[215:216]
	v_fma_f64 v[200:201], -v[200:201], v[219:220], v[217:218]
	v_div_fmas_f64 v[200:201], v[200:201], v[215:216], v[219:220]
	v_div_fixup_f64 v[198:199], v[200:201], v[198:199], 1.0
	v_mul_f64 v[200:201], v[213:214], -v[198:199]
.LBB96_639:
	s_or_b32 exec_lo, exec_lo, s7
.LBB96_640:
	s_or_b32 exec_lo, exec_lo, s0
	s_mov_b32 s0, exec_lo
	v_cmpx_ne_u32_e64 v212, v206
	s_xor_b32 s0, exec_lo, s0
	s_cbranch_execz .LBB96_646
; %bb.641:
	s_mov_b32 s7, exec_lo
	v_cmpx_eq_u32_e32 30, v212
	s_cbranch_execz .LBB96_645
; %bb.642:
	v_cmp_ne_u32_e32 vcc_lo, 30, v206
	s_xor_b32 s8, s16, -1
	s_and_b32 s9, s8, vcc_lo
	s_and_saveexec_b32 s8, s9
	s_cbranch_execz .LBB96_644
; %bb.643:
	v_ashrrev_i32_e32 v207, 31, v206
	v_lshlrev_b64 v[212:213], 2, v[206:207]
	v_add_co_u32 v212, vcc_lo, v204, v212
	v_add_co_ci_u32_e64 v213, null, v205, v213, vcc_lo
	s_clause 0x1
	global_load_dword v0, v[212:213], off
	global_load_dword v207, v[204:205], off offset:120
	s_waitcnt vmcnt(1)
	global_store_dword v[204:205], v0, off offset:120
	s_waitcnt vmcnt(0)
	global_store_dword v[212:213], v207, off
.LBB96_644:
	s_or_b32 exec_lo, exec_lo, s8
	v_mov_b32_e32 v212, v206
	v_mov_b32_e32 v0, v206
.LBB96_645:
	s_or_b32 exec_lo, exec_lo, s7
.LBB96_646:
	s_andn2_saveexec_b32 s0, s0
	s_cbranch_execz .LBB96_648
; %bb.647:
	v_mov_b32_e32 v212, 30
	ds_write2_b64 v1, v[70:71], v[72:73] offset0:62 offset1:63
	ds_write2_b64 v1, v[66:67], v[68:69] offset0:64 offset1:65
	;; [unrolled: 1-line block ×18, first 2 shown]
.LBB96_648:
	s_or_b32 exec_lo, exec_lo, s0
	s_mov_b32 s0, exec_lo
	s_waitcnt lgkmcnt(0)
	s_waitcnt_vscnt null, 0x0
	s_barrier
	buffer_gl0_inv
	v_cmpx_lt_i32_e32 30, v212
	s_cbranch_execz .LBB96_650
; %bb.649:
	v_mul_f64 v[206:207], v[200:201], v[76:77]
	v_mul_f64 v[76:77], v[198:199], v[76:77]
	v_fma_f64 v[206:207], v[198:199], v[74:75], -v[206:207]
	v_fma_f64 v[76:77], v[200:201], v[74:75], v[76:77]
	ds_read2_b64 v[198:201], v1 offset0:62 offset1:63
	s_waitcnt lgkmcnt(0)
	v_mul_f64 v[74:75], v[200:201], v[76:77]
	v_fma_f64 v[74:75], v[198:199], v[206:207], -v[74:75]
	v_mul_f64 v[198:199], v[198:199], v[76:77]
	v_add_f64 v[70:71], v[70:71], -v[74:75]
	v_fma_f64 v[198:199], v[200:201], v[206:207], v[198:199]
	v_add_f64 v[72:73], v[72:73], -v[198:199]
	ds_read2_b64 v[198:201], v1 offset0:64 offset1:65
	s_waitcnt lgkmcnt(0)
	v_mul_f64 v[74:75], v[200:201], v[76:77]
	v_fma_f64 v[74:75], v[198:199], v[206:207], -v[74:75]
	v_mul_f64 v[198:199], v[198:199], v[76:77]
	v_add_f64 v[66:67], v[66:67], -v[74:75]
	v_fma_f64 v[198:199], v[200:201], v[206:207], v[198:199]
	v_add_f64 v[68:69], v[68:69], -v[198:199]
	;; [unrolled: 8-line block ×17, first 2 shown]
	ds_read2_b64 v[198:201], v1 offset0:96 offset1:97
	s_waitcnt lgkmcnt(0)
	v_mul_f64 v[74:75], v[200:201], v[76:77]
	v_fma_f64 v[74:75], v[198:199], v[206:207], -v[74:75]
	v_mul_f64 v[198:199], v[198:199], v[76:77]
	v_add_f64 v[2:3], v[2:3], -v[74:75]
	v_fma_f64 v[198:199], v[200:201], v[206:207], v[198:199]
	v_mov_b32_e32 v74, v206
	v_mov_b32_e32 v75, v207
	v_add_f64 v[4:5], v[4:5], -v[198:199]
.LBB96_650:
	s_or_b32 exec_lo, exec_lo, s0
	v_lshl_add_u32 v198, v212, 4, v1
	s_barrier
	buffer_gl0_inv
	v_mov_b32_e32 v206, 31
	ds_write2_b64 v198, v[70:71], v[72:73] offset1:1
	s_waitcnt lgkmcnt(0)
	s_barrier
	buffer_gl0_inv
	ds_read2_b64 v[198:201], v1 offset0:62 offset1:63
	s_cmp_lt_i32 s1, 33
	s_cbranch_scc1 .LBB96_653
; %bb.651:
	v_add3_u32 v207, v208, 0, 0x200
	v_mov_b32_e32 v206, 31
	s_mov_b32 s7, 32
	s_inst_prefetch 0x1
	.p2align	6
.LBB96_652:                             ; =>This Inner Loop Header: Depth=1
	s_waitcnt lgkmcnt(0)
	v_cmp_gt_f64_e32 vcc_lo, 0, v[200:201]
	v_cmp_gt_f64_e64 s0, 0, v[198:199]
	ds_read2_b64 v[213:216], v207 offset1:1
	v_xor_b32_e32 v218, 0x80000000, v199
	v_xor_b32_e32 v220, 0x80000000, v201
	v_mov_b32_e32 v217, v198
	v_mov_b32_e32 v219, v200
	v_add_nc_u32_e32 v207, 16, v207
	s_waitcnt lgkmcnt(0)
	v_xor_b32_e32 v222, 0x80000000, v216
	v_cndmask_b32_e64 v218, v199, v218, s0
	v_cndmask_b32_e32 v220, v201, v220, vcc_lo
	v_cmp_gt_f64_e32 vcc_lo, 0, v[215:216]
	v_cmp_gt_f64_e64 s0, 0, v[213:214]
	v_mov_b32_e32 v221, v215
	v_add_f64 v[217:218], v[217:218], v[219:220]
	v_xor_b32_e32 v220, 0x80000000, v214
	v_mov_b32_e32 v219, v213
	v_cndmask_b32_e32 v222, v216, v222, vcc_lo
	v_cndmask_b32_e64 v220, v214, v220, s0
	v_add_f64 v[219:220], v[219:220], v[221:222]
	v_cmp_lt_f64_e32 vcc_lo, v[217:218], v[219:220]
	v_cndmask_b32_e32 v199, v199, v214, vcc_lo
	v_cndmask_b32_e32 v198, v198, v213, vcc_lo
	;; [unrolled: 1-line block ×4, first 2 shown]
	v_cndmask_b32_e64 v206, v206, s7, vcc_lo
	s_add_i32 s7, s7, 1
	s_cmp_lg_u32 s1, s7
	s_cbranch_scc1 .LBB96_652
.LBB96_653:
	s_inst_prefetch 0x2
	s_waitcnt lgkmcnt(0)
	v_cmp_eq_f64_e32 vcc_lo, 0, v[198:199]
	v_cmp_eq_f64_e64 s0, 0, v[200:201]
	s_and_b32 s0, vcc_lo, s0
	s_and_saveexec_b32 s7, s0
	s_xor_b32 s0, exec_lo, s7
; %bb.654:
	v_cmp_ne_u32_e32 vcc_lo, 0, v211
	v_cndmask_b32_e32 v211, 32, v211, vcc_lo
; %bb.655:
	s_andn2_saveexec_b32 s0, s0
	s_cbranch_execz .LBB96_661
; %bb.656:
	v_cmp_ngt_f64_e64 s7, |v[198:199]|, |v[200:201]|
	s_and_saveexec_b32 s8, s7
	s_xor_b32 s7, exec_lo, s8
	s_cbranch_execz .LBB96_658
; %bb.657:
	v_div_scale_f64 v[213:214], null, v[200:201], v[200:201], v[198:199]
	v_div_scale_f64 v[219:220], vcc_lo, v[198:199], v[200:201], v[198:199]
	v_rcp_f64_e32 v[215:216], v[213:214]
	v_fma_f64 v[217:218], -v[213:214], v[215:216], 1.0
	v_fma_f64 v[215:216], v[215:216], v[217:218], v[215:216]
	v_fma_f64 v[217:218], -v[213:214], v[215:216], 1.0
	v_fma_f64 v[215:216], v[215:216], v[217:218], v[215:216]
	v_mul_f64 v[217:218], v[219:220], v[215:216]
	v_fma_f64 v[213:214], -v[213:214], v[217:218], v[219:220]
	v_div_fmas_f64 v[213:214], v[213:214], v[215:216], v[217:218]
	v_div_fixup_f64 v[213:214], v[213:214], v[200:201], v[198:199]
	v_fma_f64 v[198:199], v[198:199], v[213:214], v[200:201]
	v_div_scale_f64 v[200:201], null, v[198:199], v[198:199], 1.0
	v_rcp_f64_e32 v[215:216], v[200:201]
	v_fma_f64 v[217:218], -v[200:201], v[215:216], 1.0
	v_fma_f64 v[215:216], v[215:216], v[217:218], v[215:216]
	v_fma_f64 v[217:218], -v[200:201], v[215:216], 1.0
	v_fma_f64 v[215:216], v[215:216], v[217:218], v[215:216]
	v_div_scale_f64 v[217:218], vcc_lo, 1.0, v[198:199], 1.0
	v_mul_f64 v[219:220], v[217:218], v[215:216]
	v_fma_f64 v[200:201], -v[200:201], v[219:220], v[217:218]
	v_div_fmas_f64 v[200:201], v[200:201], v[215:216], v[219:220]
	v_div_fixup_f64 v[200:201], v[200:201], v[198:199], 1.0
	v_mul_f64 v[198:199], v[213:214], v[200:201]
	v_xor_b32_e32 v201, 0x80000000, v201
.LBB96_658:
	s_andn2_saveexec_b32 s7, s7
	s_cbranch_execz .LBB96_660
; %bb.659:
	v_div_scale_f64 v[213:214], null, v[198:199], v[198:199], v[200:201]
	v_div_scale_f64 v[219:220], vcc_lo, v[200:201], v[198:199], v[200:201]
	v_rcp_f64_e32 v[215:216], v[213:214]
	v_fma_f64 v[217:218], -v[213:214], v[215:216], 1.0
	v_fma_f64 v[215:216], v[215:216], v[217:218], v[215:216]
	v_fma_f64 v[217:218], -v[213:214], v[215:216], 1.0
	v_fma_f64 v[215:216], v[215:216], v[217:218], v[215:216]
	v_mul_f64 v[217:218], v[219:220], v[215:216]
	v_fma_f64 v[213:214], -v[213:214], v[217:218], v[219:220]
	v_div_fmas_f64 v[213:214], v[213:214], v[215:216], v[217:218]
	v_div_fixup_f64 v[213:214], v[213:214], v[198:199], v[200:201]
	v_fma_f64 v[198:199], v[200:201], v[213:214], v[198:199]
	v_div_scale_f64 v[200:201], null, v[198:199], v[198:199], 1.0
	v_rcp_f64_e32 v[215:216], v[200:201]
	v_fma_f64 v[217:218], -v[200:201], v[215:216], 1.0
	v_fma_f64 v[215:216], v[215:216], v[217:218], v[215:216]
	v_fma_f64 v[217:218], -v[200:201], v[215:216], 1.0
	v_fma_f64 v[215:216], v[215:216], v[217:218], v[215:216]
	v_div_scale_f64 v[217:218], vcc_lo, 1.0, v[198:199], 1.0
	v_mul_f64 v[219:220], v[217:218], v[215:216]
	v_fma_f64 v[200:201], -v[200:201], v[219:220], v[217:218]
	v_div_fmas_f64 v[200:201], v[200:201], v[215:216], v[219:220]
	v_div_fixup_f64 v[198:199], v[200:201], v[198:199], 1.0
	v_mul_f64 v[200:201], v[213:214], -v[198:199]
.LBB96_660:
	s_or_b32 exec_lo, exec_lo, s7
.LBB96_661:
	s_or_b32 exec_lo, exec_lo, s0
	s_mov_b32 s0, exec_lo
	v_cmpx_ne_u32_e64 v212, v206
	s_xor_b32 s0, exec_lo, s0
	s_cbranch_execz .LBB96_667
; %bb.662:
	s_mov_b32 s7, exec_lo
	v_cmpx_eq_u32_e32 31, v212
	s_cbranch_execz .LBB96_666
; %bb.663:
	v_cmp_ne_u32_e32 vcc_lo, 31, v206
	s_xor_b32 s8, s16, -1
	s_and_b32 s9, s8, vcc_lo
	s_and_saveexec_b32 s8, s9
	s_cbranch_execz .LBB96_665
; %bb.664:
	v_ashrrev_i32_e32 v207, 31, v206
	v_lshlrev_b64 v[212:213], 2, v[206:207]
	v_add_co_u32 v212, vcc_lo, v204, v212
	v_add_co_ci_u32_e64 v213, null, v205, v213, vcc_lo
	s_clause 0x1
	global_load_dword v0, v[212:213], off
	global_load_dword v207, v[204:205], off offset:124
	s_waitcnt vmcnt(1)
	global_store_dword v[204:205], v0, off offset:124
	s_waitcnt vmcnt(0)
	global_store_dword v[212:213], v207, off
.LBB96_665:
	s_or_b32 exec_lo, exec_lo, s8
	v_mov_b32_e32 v212, v206
	v_mov_b32_e32 v0, v206
.LBB96_666:
	s_or_b32 exec_lo, exec_lo, s7
.LBB96_667:
	s_andn2_saveexec_b32 s0, s0
	s_cbranch_execz .LBB96_669
; %bb.668:
	v_mov_b32_e32 v212, 31
	ds_write2_b64 v1, v[66:67], v[68:69] offset0:64 offset1:65
	ds_write2_b64 v1, v[62:63], v[64:65] offset0:66 offset1:67
	;; [unrolled: 1-line block ×17, first 2 shown]
.LBB96_669:
	s_or_b32 exec_lo, exec_lo, s0
	s_mov_b32 s0, exec_lo
	s_waitcnt lgkmcnt(0)
	s_waitcnt_vscnt null, 0x0
	s_barrier
	buffer_gl0_inv
	v_cmpx_lt_i32_e32 31, v212
	s_cbranch_execz .LBB96_671
; %bb.670:
	v_mul_f64 v[206:207], v[200:201], v[72:73]
	v_mul_f64 v[72:73], v[198:199], v[72:73]
	v_fma_f64 v[206:207], v[198:199], v[70:71], -v[206:207]
	v_fma_f64 v[72:73], v[200:201], v[70:71], v[72:73]
	ds_read2_b64 v[198:201], v1 offset0:64 offset1:65
	s_waitcnt lgkmcnt(0)
	v_mul_f64 v[70:71], v[200:201], v[72:73]
	v_fma_f64 v[70:71], v[198:199], v[206:207], -v[70:71]
	v_mul_f64 v[198:199], v[198:199], v[72:73]
	v_add_f64 v[66:67], v[66:67], -v[70:71]
	v_fma_f64 v[198:199], v[200:201], v[206:207], v[198:199]
	v_add_f64 v[68:69], v[68:69], -v[198:199]
	ds_read2_b64 v[198:201], v1 offset0:66 offset1:67
	s_waitcnt lgkmcnt(0)
	v_mul_f64 v[70:71], v[200:201], v[72:73]
	v_fma_f64 v[70:71], v[198:199], v[206:207], -v[70:71]
	v_mul_f64 v[198:199], v[198:199], v[72:73]
	v_add_f64 v[62:63], v[62:63], -v[70:71]
	v_fma_f64 v[198:199], v[200:201], v[206:207], v[198:199]
	v_add_f64 v[64:65], v[64:65], -v[198:199]
	;; [unrolled: 8-line block ×16, first 2 shown]
	ds_read2_b64 v[198:201], v1 offset0:96 offset1:97
	s_waitcnt lgkmcnt(0)
	v_mul_f64 v[70:71], v[200:201], v[72:73]
	v_fma_f64 v[70:71], v[198:199], v[206:207], -v[70:71]
	v_mul_f64 v[198:199], v[198:199], v[72:73]
	v_add_f64 v[2:3], v[2:3], -v[70:71]
	v_fma_f64 v[198:199], v[200:201], v[206:207], v[198:199]
	v_mov_b32_e32 v70, v206
	v_mov_b32_e32 v71, v207
	v_add_f64 v[4:5], v[4:5], -v[198:199]
.LBB96_671:
	s_or_b32 exec_lo, exec_lo, s0
	v_lshl_add_u32 v198, v212, 4, v1
	s_barrier
	buffer_gl0_inv
	v_mov_b32_e32 v206, 32
	ds_write2_b64 v198, v[66:67], v[68:69] offset1:1
	s_waitcnt lgkmcnt(0)
	s_barrier
	buffer_gl0_inv
	ds_read2_b64 v[198:201], v1 offset0:64 offset1:65
	s_cmp_lt_i32 s1, 34
	s_cbranch_scc1 .LBB96_674
; %bb.672:
	v_add3_u32 v207, v208, 0, 0x210
	v_mov_b32_e32 v206, 32
	s_mov_b32 s7, 33
	s_inst_prefetch 0x1
	.p2align	6
.LBB96_673:                             ; =>This Inner Loop Header: Depth=1
	s_waitcnt lgkmcnt(0)
	v_cmp_gt_f64_e32 vcc_lo, 0, v[200:201]
	v_cmp_gt_f64_e64 s0, 0, v[198:199]
	ds_read2_b64 v[213:216], v207 offset1:1
	v_xor_b32_e32 v218, 0x80000000, v199
	v_xor_b32_e32 v220, 0x80000000, v201
	v_mov_b32_e32 v217, v198
	v_mov_b32_e32 v219, v200
	v_add_nc_u32_e32 v207, 16, v207
	s_waitcnt lgkmcnt(0)
	v_xor_b32_e32 v222, 0x80000000, v216
	v_cndmask_b32_e64 v218, v199, v218, s0
	v_cndmask_b32_e32 v220, v201, v220, vcc_lo
	v_cmp_gt_f64_e32 vcc_lo, 0, v[215:216]
	v_cmp_gt_f64_e64 s0, 0, v[213:214]
	v_mov_b32_e32 v221, v215
	v_add_f64 v[217:218], v[217:218], v[219:220]
	v_xor_b32_e32 v220, 0x80000000, v214
	v_mov_b32_e32 v219, v213
	v_cndmask_b32_e32 v222, v216, v222, vcc_lo
	v_cndmask_b32_e64 v220, v214, v220, s0
	v_add_f64 v[219:220], v[219:220], v[221:222]
	v_cmp_lt_f64_e32 vcc_lo, v[217:218], v[219:220]
	v_cndmask_b32_e32 v199, v199, v214, vcc_lo
	v_cndmask_b32_e32 v198, v198, v213, vcc_lo
	;; [unrolled: 1-line block ×4, first 2 shown]
	v_cndmask_b32_e64 v206, v206, s7, vcc_lo
	s_add_i32 s7, s7, 1
	s_cmp_lg_u32 s1, s7
	s_cbranch_scc1 .LBB96_673
.LBB96_674:
	s_inst_prefetch 0x2
	s_waitcnt lgkmcnt(0)
	v_cmp_eq_f64_e32 vcc_lo, 0, v[198:199]
	v_cmp_eq_f64_e64 s0, 0, v[200:201]
	s_and_b32 s0, vcc_lo, s0
	s_and_saveexec_b32 s7, s0
	s_xor_b32 s0, exec_lo, s7
; %bb.675:
	v_cmp_ne_u32_e32 vcc_lo, 0, v211
	v_cndmask_b32_e32 v211, 33, v211, vcc_lo
; %bb.676:
	s_andn2_saveexec_b32 s0, s0
	s_cbranch_execz .LBB96_682
; %bb.677:
	v_cmp_ngt_f64_e64 s7, |v[198:199]|, |v[200:201]|
	s_and_saveexec_b32 s8, s7
	s_xor_b32 s7, exec_lo, s8
	s_cbranch_execz .LBB96_679
; %bb.678:
	v_div_scale_f64 v[213:214], null, v[200:201], v[200:201], v[198:199]
	v_div_scale_f64 v[219:220], vcc_lo, v[198:199], v[200:201], v[198:199]
	v_rcp_f64_e32 v[215:216], v[213:214]
	v_fma_f64 v[217:218], -v[213:214], v[215:216], 1.0
	v_fma_f64 v[215:216], v[215:216], v[217:218], v[215:216]
	v_fma_f64 v[217:218], -v[213:214], v[215:216], 1.0
	v_fma_f64 v[215:216], v[215:216], v[217:218], v[215:216]
	v_mul_f64 v[217:218], v[219:220], v[215:216]
	v_fma_f64 v[213:214], -v[213:214], v[217:218], v[219:220]
	v_div_fmas_f64 v[213:214], v[213:214], v[215:216], v[217:218]
	v_div_fixup_f64 v[213:214], v[213:214], v[200:201], v[198:199]
	v_fma_f64 v[198:199], v[198:199], v[213:214], v[200:201]
	v_div_scale_f64 v[200:201], null, v[198:199], v[198:199], 1.0
	v_rcp_f64_e32 v[215:216], v[200:201]
	v_fma_f64 v[217:218], -v[200:201], v[215:216], 1.0
	v_fma_f64 v[215:216], v[215:216], v[217:218], v[215:216]
	v_fma_f64 v[217:218], -v[200:201], v[215:216], 1.0
	v_fma_f64 v[215:216], v[215:216], v[217:218], v[215:216]
	v_div_scale_f64 v[217:218], vcc_lo, 1.0, v[198:199], 1.0
	v_mul_f64 v[219:220], v[217:218], v[215:216]
	v_fma_f64 v[200:201], -v[200:201], v[219:220], v[217:218]
	v_div_fmas_f64 v[200:201], v[200:201], v[215:216], v[219:220]
	v_div_fixup_f64 v[200:201], v[200:201], v[198:199], 1.0
	v_mul_f64 v[198:199], v[213:214], v[200:201]
	v_xor_b32_e32 v201, 0x80000000, v201
.LBB96_679:
	s_andn2_saveexec_b32 s7, s7
	s_cbranch_execz .LBB96_681
; %bb.680:
	v_div_scale_f64 v[213:214], null, v[198:199], v[198:199], v[200:201]
	v_div_scale_f64 v[219:220], vcc_lo, v[200:201], v[198:199], v[200:201]
	v_rcp_f64_e32 v[215:216], v[213:214]
	v_fma_f64 v[217:218], -v[213:214], v[215:216], 1.0
	v_fma_f64 v[215:216], v[215:216], v[217:218], v[215:216]
	v_fma_f64 v[217:218], -v[213:214], v[215:216], 1.0
	v_fma_f64 v[215:216], v[215:216], v[217:218], v[215:216]
	v_mul_f64 v[217:218], v[219:220], v[215:216]
	v_fma_f64 v[213:214], -v[213:214], v[217:218], v[219:220]
	v_div_fmas_f64 v[213:214], v[213:214], v[215:216], v[217:218]
	v_div_fixup_f64 v[213:214], v[213:214], v[198:199], v[200:201]
	v_fma_f64 v[198:199], v[200:201], v[213:214], v[198:199]
	v_div_scale_f64 v[200:201], null, v[198:199], v[198:199], 1.0
	v_rcp_f64_e32 v[215:216], v[200:201]
	v_fma_f64 v[217:218], -v[200:201], v[215:216], 1.0
	v_fma_f64 v[215:216], v[215:216], v[217:218], v[215:216]
	v_fma_f64 v[217:218], -v[200:201], v[215:216], 1.0
	v_fma_f64 v[215:216], v[215:216], v[217:218], v[215:216]
	v_div_scale_f64 v[217:218], vcc_lo, 1.0, v[198:199], 1.0
	v_mul_f64 v[219:220], v[217:218], v[215:216]
	v_fma_f64 v[200:201], -v[200:201], v[219:220], v[217:218]
	v_div_fmas_f64 v[200:201], v[200:201], v[215:216], v[219:220]
	v_div_fixup_f64 v[198:199], v[200:201], v[198:199], 1.0
	v_mul_f64 v[200:201], v[213:214], -v[198:199]
.LBB96_681:
	s_or_b32 exec_lo, exec_lo, s7
.LBB96_682:
	s_or_b32 exec_lo, exec_lo, s0
	s_mov_b32 s0, exec_lo
	v_cmpx_ne_u32_e64 v212, v206
	s_xor_b32 s0, exec_lo, s0
	s_cbranch_execz .LBB96_688
; %bb.683:
	s_mov_b32 s7, exec_lo
	v_cmpx_eq_u32_e32 32, v212
	s_cbranch_execz .LBB96_687
; %bb.684:
	v_cmp_ne_u32_e32 vcc_lo, 32, v206
	s_xor_b32 s8, s16, -1
	s_and_b32 s9, s8, vcc_lo
	s_and_saveexec_b32 s8, s9
	s_cbranch_execz .LBB96_686
; %bb.685:
	v_ashrrev_i32_e32 v207, 31, v206
	v_lshlrev_b64 v[212:213], 2, v[206:207]
	v_add_co_u32 v212, vcc_lo, v204, v212
	v_add_co_ci_u32_e64 v213, null, v205, v213, vcc_lo
	s_clause 0x1
	global_load_dword v0, v[212:213], off
	global_load_dword v207, v[204:205], off offset:128
	s_waitcnt vmcnt(1)
	global_store_dword v[204:205], v0, off offset:128
	s_waitcnt vmcnt(0)
	global_store_dword v[212:213], v207, off
.LBB96_686:
	s_or_b32 exec_lo, exec_lo, s8
	v_mov_b32_e32 v212, v206
	v_mov_b32_e32 v0, v206
.LBB96_687:
	s_or_b32 exec_lo, exec_lo, s7
.LBB96_688:
	s_andn2_saveexec_b32 s0, s0
	s_cbranch_execz .LBB96_690
; %bb.689:
	v_mov_b32_e32 v212, 32
	ds_write2_b64 v1, v[62:63], v[64:65] offset0:66 offset1:67
	ds_write2_b64 v1, v[58:59], v[60:61] offset0:68 offset1:69
	;; [unrolled: 1-line block ×16, first 2 shown]
.LBB96_690:
	s_or_b32 exec_lo, exec_lo, s0
	s_mov_b32 s0, exec_lo
	s_waitcnt lgkmcnt(0)
	s_waitcnt_vscnt null, 0x0
	s_barrier
	buffer_gl0_inv
	v_cmpx_lt_i32_e32 32, v212
	s_cbranch_execz .LBB96_692
; %bb.691:
	v_mul_f64 v[206:207], v[198:199], v[68:69]
	v_mul_f64 v[68:69], v[200:201], v[68:69]
	v_fma_f64 v[206:207], v[200:201], v[66:67], v[206:207]
	v_fma_f64 v[66:67], v[198:199], v[66:67], -v[68:69]
	ds_read2_b64 v[198:201], v1 offset0:66 offset1:67
	s_waitcnt lgkmcnt(0)
	v_mul_f64 v[68:69], v[200:201], v[206:207]
	v_fma_f64 v[68:69], v[198:199], v[66:67], -v[68:69]
	v_mul_f64 v[198:199], v[198:199], v[206:207]
	v_add_f64 v[62:63], v[62:63], -v[68:69]
	v_fma_f64 v[198:199], v[200:201], v[66:67], v[198:199]
	v_add_f64 v[64:65], v[64:65], -v[198:199]
	ds_read2_b64 v[198:201], v1 offset0:68 offset1:69
	s_waitcnt lgkmcnt(0)
	v_mul_f64 v[68:69], v[200:201], v[206:207]
	v_fma_f64 v[68:69], v[198:199], v[66:67], -v[68:69]
	v_mul_f64 v[198:199], v[198:199], v[206:207]
	v_add_f64 v[58:59], v[58:59], -v[68:69]
	v_fma_f64 v[198:199], v[200:201], v[66:67], v[198:199]
	v_add_f64 v[60:61], v[60:61], -v[198:199]
	;; [unrolled: 8-line block ×15, first 2 shown]
	ds_read2_b64 v[198:201], v1 offset0:96 offset1:97
	s_waitcnt lgkmcnt(0)
	v_mul_f64 v[68:69], v[200:201], v[206:207]
	v_fma_f64 v[68:69], v[198:199], v[66:67], -v[68:69]
	v_mul_f64 v[198:199], v[198:199], v[206:207]
	v_add_f64 v[2:3], v[2:3], -v[68:69]
	v_fma_f64 v[198:199], v[200:201], v[66:67], v[198:199]
	v_mov_b32_e32 v68, v206
	v_mov_b32_e32 v69, v207
	v_add_f64 v[4:5], v[4:5], -v[198:199]
.LBB96_692:
	s_or_b32 exec_lo, exec_lo, s0
	v_lshl_add_u32 v198, v212, 4, v1
	s_barrier
	buffer_gl0_inv
	v_mov_b32_e32 v206, 33
	ds_write2_b64 v198, v[62:63], v[64:65] offset1:1
	s_waitcnt lgkmcnt(0)
	s_barrier
	buffer_gl0_inv
	ds_read2_b64 v[198:201], v1 offset0:66 offset1:67
	s_cmp_lt_i32 s1, 35
	s_cbranch_scc1 .LBB96_695
; %bb.693:
	v_add3_u32 v207, v208, 0, 0x220
	v_mov_b32_e32 v206, 33
	s_mov_b32 s7, 34
	s_inst_prefetch 0x1
	.p2align	6
.LBB96_694:                             ; =>This Inner Loop Header: Depth=1
	s_waitcnt lgkmcnt(0)
	v_cmp_gt_f64_e32 vcc_lo, 0, v[200:201]
	v_cmp_gt_f64_e64 s0, 0, v[198:199]
	ds_read2_b64 v[213:216], v207 offset1:1
	v_xor_b32_e32 v218, 0x80000000, v199
	v_xor_b32_e32 v220, 0x80000000, v201
	v_mov_b32_e32 v217, v198
	v_mov_b32_e32 v219, v200
	v_add_nc_u32_e32 v207, 16, v207
	s_waitcnt lgkmcnt(0)
	v_xor_b32_e32 v222, 0x80000000, v216
	v_cndmask_b32_e64 v218, v199, v218, s0
	v_cndmask_b32_e32 v220, v201, v220, vcc_lo
	v_cmp_gt_f64_e32 vcc_lo, 0, v[215:216]
	v_cmp_gt_f64_e64 s0, 0, v[213:214]
	v_mov_b32_e32 v221, v215
	v_add_f64 v[217:218], v[217:218], v[219:220]
	v_xor_b32_e32 v220, 0x80000000, v214
	v_mov_b32_e32 v219, v213
	v_cndmask_b32_e32 v222, v216, v222, vcc_lo
	v_cndmask_b32_e64 v220, v214, v220, s0
	v_add_f64 v[219:220], v[219:220], v[221:222]
	v_cmp_lt_f64_e32 vcc_lo, v[217:218], v[219:220]
	v_cndmask_b32_e32 v199, v199, v214, vcc_lo
	v_cndmask_b32_e32 v198, v198, v213, vcc_lo
	;; [unrolled: 1-line block ×4, first 2 shown]
	v_cndmask_b32_e64 v206, v206, s7, vcc_lo
	s_add_i32 s7, s7, 1
	s_cmp_lg_u32 s1, s7
	s_cbranch_scc1 .LBB96_694
.LBB96_695:
	s_inst_prefetch 0x2
	s_waitcnt lgkmcnt(0)
	v_cmp_eq_f64_e32 vcc_lo, 0, v[198:199]
	v_cmp_eq_f64_e64 s0, 0, v[200:201]
	s_and_b32 s0, vcc_lo, s0
	s_and_saveexec_b32 s7, s0
	s_xor_b32 s0, exec_lo, s7
; %bb.696:
	v_cmp_ne_u32_e32 vcc_lo, 0, v211
	v_cndmask_b32_e32 v211, 34, v211, vcc_lo
; %bb.697:
	s_andn2_saveexec_b32 s0, s0
	s_cbranch_execz .LBB96_703
; %bb.698:
	v_cmp_ngt_f64_e64 s7, |v[198:199]|, |v[200:201]|
	s_and_saveexec_b32 s8, s7
	s_xor_b32 s7, exec_lo, s8
	s_cbranch_execz .LBB96_700
; %bb.699:
	v_div_scale_f64 v[213:214], null, v[200:201], v[200:201], v[198:199]
	v_div_scale_f64 v[219:220], vcc_lo, v[198:199], v[200:201], v[198:199]
	v_rcp_f64_e32 v[215:216], v[213:214]
	v_fma_f64 v[217:218], -v[213:214], v[215:216], 1.0
	v_fma_f64 v[215:216], v[215:216], v[217:218], v[215:216]
	v_fma_f64 v[217:218], -v[213:214], v[215:216], 1.0
	v_fma_f64 v[215:216], v[215:216], v[217:218], v[215:216]
	v_mul_f64 v[217:218], v[219:220], v[215:216]
	v_fma_f64 v[213:214], -v[213:214], v[217:218], v[219:220]
	v_div_fmas_f64 v[213:214], v[213:214], v[215:216], v[217:218]
	v_div_fixup_f64 v[213:214], v[213:214], v[200:201], v[198:199]
	v_fma_f64 v[198:199], v[198:199], v[213:214], v[200:201]
	v_div_scale_f64 v[200:201], null, v[198:199], v[198:199], 1.0
	v_rcp_f64_e32 v[215:216], v[200:201]
	v_fma_f64 v[217:218], -v[200:201], v[215:216], 1.0
	v_fma_f64 v[215:216], v[215:216], v[217:218], v[215:216]
	v_fma_f64 v[217:218], -v[200:201], v[215:216], 1.0
	v_fma_f64 v[215:216], v[215:216], v[217:218], v[215:216]
	v_div_scale_f64 v[217:218], vcc_lo, 1.0, v[198:199], 1.0
	v_mul_f64 v[219:220], v[217:218], v[215:216]
	v_fma_f64 v[200:201], -v[200:201], v[219:220], v[217:218]
	v_div_fmas_f64 v[200:201], v[200:201], v[215:216], v[219:220]
	v_div_fixup_f64 v[200:201], v[200:201], v[198:199], 1.0
	v_mul_f64 v[198:199], v[213:214], v[200:201]
	v_xor_b32_e32 v201, 0x80000000, v201
.LBB96_700:
	s_andn2_saveexec_b32 s7, s7
	s_cbranch_execz .LBB96_702
; %bb.701:
	v_div_scale_f64 v[213:214], null, v[198:199], v[198:199], v[200:201]
	v_div_scale_f64 v[219:220], vcc_lo, v[200:201], v[198:199], v[200:201]
	v_rcp_f64_e32 v[215:216], v[213:214]
	v_fma_f64 v[217:218], -v[213:214], v[215:216], 1.0
	v_fma_f64 v[215:216], v[215:216], v[217:218], v[215:216]
	v_fma_f64 v[217:218], -v[213:214], v[215:216], 1.0
	v_fma_f64 v[215:216], v[215:216], v[217:218], v[215:216]
	v_mul_f64 v[217:218], v[219:220], v[215:216]
	v_fma_f64 v[213:214], -v[213:214], v[217:218], v[219:220]
	v_div_fmas_f64 v[213:214], v[213:214], v[215:216], v[217:218]
	v_div_fixup_f64 v[213:214], v[213:214], v[198:199], v[200:201]
	v_fma_f64 v[198:199], v[200:201], v[213:214], v[198:199]
	v_div_scale_f64 v[200:201], null, v[198:199], v[198:199], 1.0
	v_rcp_f64_e32 v[215:216], v[200:201]
	v_fma_f64 v[217:218], -v[200:201], v[215:216], 1.0
	v_fma_f64 v[215:216], v[215:216], v[217:218], v[215:216]
	v_fma_f64 v[217:218], -v[200:201], v[215:216], 1.0
	v_fma_f64 v[215:216], v[215:216], v[217:218], v[215:216]
	v_div_scale_f64 v[217:218], vcc_lo, 1.0, v[198:199], 1.0
	v_mul_f64 v[219:220], v[217:218], v[215:216]
	v_fma_f64 v[200:201], -v[200:201], v[219:220], v[217:218]
	v_div_fmas_f64 v[200:201], v[200:201], v[215:216], v[219:220]
	v_div_fixup_f64 v[198:199], v[200:201], v[198:199], 1.0
	v_mul_f64 v[200:201], v[213:214], -v[198:199]
.LBB96_702:
	s_or_b32 exec_lo, exec_lo, s7
.LBB96_703:
	s_or_b32 exec_lo, exec_lo, s0
	s_mov_b32 s0, exec_lo
	v_cmpx_ne_u32_e64 v212, v206
	s_xor_b32 s0, exec_lo, s0
	s_cbranch_execz .LBB96_709
; %bb.704:
	s_mov_b32 s7, exec_lo
	v_cmpx_eq_u32_e32 33, v212
	s_cbranch_execz .LBB96_708
; %bb.705:
	v_cmp_ne_u32_e32 vcc_lo, 33, v206
	s_xor_b32 s8, s16, -1
	s_and_b32 s9, s8, vcc_lo
	s_and_saveexec_b32 s8, s9
	s_cbranch_execz .LBB96_707
; %bb.706:
	v_ashrrev_i32_e32 v207, 31, v206
	v_lshlrev_b64 v[212:213], 2, v[206:207]
	v_add_co_u32 v212, vcc_lo, v204, v212
	v_add_co_ci_u32_e64 v213, null, v205, v213, vcc_lo
	s_clause 0x1
	global_load_dword v0, v[212:213], off
	global_load_dword v207, v[204:205], off offset:132
	s_waitcnt vmcnt(1)
	global_store_dword v[204:205], v0, off offset:132
	s_waitcnt vmcnt(0)
	global_store_dword v[212:213], v207, off
.LBB96_707:
	s_or_b32 exec_lo, exec_lo, s8
	v_mov_b32_e32 v212, v206
	v_mov_b32_e32 v0, v206
.LBB96_708:
	s_or_b32 exec_lo, exec_lo, s7
.LBB96_709:
	s_andn2_saveexec_b32 s0, s0
	s_cbranch_execz .LBB96_711
; %bb.710:
	v_mov_b32_e32 v212, 33
	ds_write2_b64 v1, v[58:59], v[60:61] offset0:68 offset1:69
	ds_write2_b64 v1, v[54:55], v[56:57] offset0:70 offset1:71
	;; [unrolled: 1-line block ×15, first 2 shown]
.LBB96_711:
	s_or_b32 exec_lo, exec_lo, s0
	s_mov_b32 s0, exec_lo
	s_waitcnt lgkmcnt(0)
	s_waitcnt_vscnt null, 0x0
	s_barrier
	buffer_gl0_inv
	v_cmpx_lt_i32_e32 33, v212
	s_cbranch_execz .LBB96_713
; %bb.712:
	v_mul_f64 v[206:207], v[198:199], v[64:65]
	v_mul_f64 v[64:65], v[200:201], v[64:65]
	v_fma_f64 v[206:207], v[200:201], v[62:63], v[206:207]
	v_fma_f64 v[62:63], v[198:199], v[62:63], -v[64:65]
	ds_read2_b64 v[198:201], v1 offset0:68 offset1:69
	s_waitcnt lgkmcnt(0)
	v_mul_f64 v[64:65], v[200:201], v[206:207]
	v_fma_f64 v[64:65], v[198:199], v[62:63], -v[64:65]
	v_mul_f64 v[198:199], v[198:199], v[206:207]
	v_add_f64 v[58:59], v[58:59], -v[64:65]
	v_fma_f64 v[198:199], v[200:201], v[62:63], v[198:199]
	v_add_f64 v[60:61], v[60:61], -v[198:199]
	ds_read2_b64 v[198:201], v1 offset0:70 offset1:71
	s_waitcnt lgkmcnt(0)
	v_mul_f64 v[64:65], v[200:201], v[206:207]
	v_fma_f64 v[64:65], v[198:199], v[62:63], -v[64:65]
	v_mul_f64 v[198:199], v[198:199], v[206:207]
	v_add_f64 v[54:55], v[54:55], -v[64:65]
	v_fma_f64 v[198:199], v[200:201], v[62:63], v[198:199]
	v_add_f64 v[56:57], v[56:57], -v[198:199]
	;; [unrolled: 8-line block ×14, first 2 shown]
	ds_read2_b64 v[198:201], v1 offset0:96 offset1:97
	s_waitcnt lgkmcnt(0)
	v_mul_f64 v[64:65], v[200:201], v[206:207]
	v_fma_f64 v[64:65], v[198:199], v[62:63], -v[64:65]
	v_mul_f64 v[198:199], v[198:199], v[206:207]
	v_add_f64 v[2:3], v[2:3], -v[64:65]
	v_fma_f64 v[198:199], v[200:201], v[62:63], v[198:199]
	v_mov_b32_e32 v64, v206
	v_mov_b32_e32 v65, v207
	v_add_f64 v[4:5], v[4:5], -v[198:199]
.LBB96_713:
	s_or_b32 exec_lo, exec_lo, s0
	v_lshl_add_u32 v198, v212, 4, v1
	s_barrier
	buffer_gl0_inv
	v_mov_b32_e32 v206, 34
	ds_write2_b64 v198, v[58:59], v[60:61] offset1:1
	s_waitcnt lgkmcnt(0)
	s_barrier
	buffer_gl0_inv
	ds_read2_b64 v[198:201], v1 offset0:68 offset1:69
	s_cmp_lt_i32 s1, 36
	s_cbranch_scc1 .LBB96_716
; %bb.714:
	v_add3_u32 v207, v208, 0, 0x230
	v_mov_b32_e32 v206, 34
	s_mov_b32 s7, 35
	s_inst_prefetch 0x1
	.p2align	6
.LBB96_715:                             ; =>This Inner Loop Header: Depth=1
	s_waitcnt lgkmcnt(0)
	v_cmp_gt_f64_e32 vcc_lo, 0, v[200:201]
	v_cmp_gt_f64_e64 s0, 0, v[198:199]
	ds_read2_b64 v[213:216], v207 offset1:1
	v_xor_b32_e32 v218, 0x80000000, v199
	v_xor_b32_e32 v220, 0x80000000, v201
	v_mov_b32_e32 v217, v198
	v_mov_b32_e32 v219, v200
	v_add_nc_u32_e32 v207, 16, v207
	s_waitcnt lgkmcnt(0)
	v_xor_b32_e32 v222, 0x80000000, v216
	v_cndmask_b32_e64 v218, v199, v218, s0
	v_cndmask_b32_e32 v220, v201, v220, vcc_lo
	v_cmp_gt_f64_e32 vcc_lo, 0, v[215:216]
	v_cmp_gt_f64_e64 s0, 0, v[213:214]
	v_mov_b32_e32 v221, v215
	v_add_f64 v[217:218], v[217:218], v[219:220]
	v_xor_b32_e32 v220, 0x80000000, v214
	v_mov_b32_e32 v219, v213
	v_cndmask_b32_e32 v222, v216, v222, vcc_lo
	v_cndmask_b32_e64 v220, v214, v220, s0
	v_add_f64 v[219:220], v[219:220], v[221:222]
	v_cmp_lt_f64_e32 vcc_lo, v[217:218], v[219:220]
	v_cndmask_b32_e32 v199, v199, v214, vcc_lo
	v_cndmask_b32_e32 v198, v198, v213, vcc_lo
	;; [unrolled: 1-line block ×4, first 2 shown]
	v_cndmask_b32_e64 v206, v206, s7, vcc_lo
	s_add_i32 s7, s7, 1
	s_cmp_lg_u32 s1, s7
	s_cbranch_scc1 .LBB96_715
.LBB96_716:
	s_inst_prefetch 0x2
	s_waitcnt lgkmcnt(0)
	v_cmp_eq_f64_e32 vcc_lo, 0, v[198:199]
	v_cmp_eq_f64_e64 s0, 0, v[200:201]
	s_and_b32 s0, vcc_lo, s0
	s_and_saveexec_b32 s7, s0
	s_xor_b32 s0, exec_lo, s7
; %bb.717:
	v_cmp_ne_u32_e32 vcc_lo, 0, v211
	v_cndmask_b32_e32 v211, 35, v211, vcc_lo
; %bb.718:
	s_andn2_saveexec_b32 s0, s0
	s_cbranch_execz .LBB96_724
; %bb.719:
	v_cmp_ngt_f64_e64 s7, |v[198:199]|, |v[200:201]|
	s_and_saveexec_b32 s8, s7
	s_xor_b32 s7, exec_lo, s8
	s_cbranch_execz .LBB96_721
; %bb.720:
	v_div_scale_f64 v[213:214], null, v[200:201], v[200:201], v[198:199]
	v_div_scale_f64 v[219:220], vcc_lo, v[198:199], v[200:201], v[198:199]
	v_rcp_f64_e32 v[215:216], v[213:214]
	v_fma_f64 v[217:218], -v[213:214], v[215:216], 1.0
	v_fma_f64 v[215:216], v[215:216], v[217:218], v[215:216]
	v_fma_f64 v[217:218], -v[213:214], v[215:216], 1.0
	v_fma_f64 v[215:216], v[215:216], v[217:218], v[215:216]
	v_mul_f64 v[217:218], v[219:220], v[215:216]
	v_fma_f64 v[213:214], -v[213:214], v[217:218], v[219:220]
	v_div_fmas_f64 v[213:214], v[213:214], v[215:216], v[217:218]
	v_div_fixup_f64 v[213:214], v[213:214], v[200:201], v[198:199]
	v_fma_f64 v[198:199], v[198:199], v[213:214], v[200:201]
	v_div_scale_f64 v[200:201], null, v[198:199], v[198:199], 1.0
	v_rcp_f64_e32 v[215:216], v[200:201]
	v_fma_f64 v[217:218], -v[200:201], v[215:216], 1.0
	v_fma_f64 v[215:216], v[215:216], v[217:218], v[215:216]
	v_fma_f64 v[217:218], -v[200:201], v[215:216], 1.0
	v_fma_f64 v[215:216], v[215:216], v[217:218], v[215:216]
	v_div_scale_f64 v[217:218], vcc_lo, 1.0, v[198:199], 1.0
	v_mul_f64 v[219:220], v[217:218], v[215:216]
	v_fma_f64 v[200:201], -v[200:201], v[219:220], v[217:218]
	v_div_fmas_f64 v[200:201], v[200:201], v[215:216], v[219:220]
	v_div_fixup_f64 v[200:201], v[200:201], v[198:199], 1.0
	v_mul_f64 v[198:199], v[213:214], v[200:201]
	v_xor_b32_e32 v201, 0x80000000, v201
.LBB96_721:
	s_andn2_saveexec_b32 s7, s7
	s_cbranch_execz .LBB96_723
; %bb.722:
	v_div_scale_f64 v[213:214], null, v[198:199], v[198:199], v[200:201]
	v_div_scale_f64 v[219:220], vcc_lo, v[200:201], v[198:199], v[200:201]
	v_rcp_f64_e32 v[215:216], v[213:214]
	v_fma_f64 v[217:218], -v[213:214], v[215:216], 1.0
	v_fma_f64 v[215:216], v[215:216], v[217:218], v[215:216]
	v_fma_f64 v[217:218], -v[213:214], v[215:216], 1.0
	v_fma_f64 v[215:216], v[215:216], v[217:218], v[215:216]
	v_mul_f64 v[217:218], v[219:220], v[215:216]
	v_fma_f64 v[213:214], -v[213:214], v[217:218], v[219:220]
	v_div_fmas_f64 v[213:214], v[213:214], v[215:216], v[217:218]
	v_div_fixup_f64 v[213:214], v[213:214], v[198:199], v[200:201]
	v_fma_f64 v[198:199], v[200:201], v[213:214], v[198:199]
	v_div_scale_f64 v[200:201], null, v[198:199], v[198:199], 1.0
	v_rcp_f64_e32 v[215:216], v[200:201]
	v_fma_f64 v[217:218], -v[200:201], v[215:216], 1.0
	v_fma_f64 v[215:216], v[215:216], v[217:218], v[215:216]
	v_fma_f64 v[217:218], -v[200:201], v[215:216], 1.0
	v_fma_f64 v[215:216], v[215:216], v[217:218], v[215:216]
	v_div_scale_f64 v[217:218], vcc_lo, 1.0, v[198:199], 1.0
	v_mul_f64 v[219:220], v[217:218], v[215:216]
	v_fma_f64 v[200:201], -v[200:201], v[219:220], v[217:218]
	v_div_fmas_f64 v[200:201], v[200:201], v[215:216], v[219:220]
	v_div_fixup_f64 v[198:199], v[200:201], v[198:199], 1.0
	v_mul_f64 v[200:201], v[213:214], -v[198:199]
.LBB96_723:
	s_or_b32 exec_lo, exec_lo, s7
.LBB96_724:
	s_or_b32 exec_lo, exec_lo, s0
	s_mov_b32 s0, exec_lo
	v_cmpx_ne_u32_e64 v212, v206
	s_xor_b32 s0, exec_lo, s0
	s_cbranch_execz .LBB96_730
; %bb.725:
	s_mov_b32 s7, exec_lo
	v_cmpx_eq_u32_e32 34, v212
	s_cbranch_execz .LBB96_729
; %bb.726:
	v_cmp_ne_u32_e32 vcc_lo, 34, v206
	s_xor_b32 s8, s16, -1
	s_and_b32 s9, s8, vcc_lo
	s_and_saveexec_b32 s8, s9
	s_cbranch_execz .LBB96_728
; %bb.727:
	v_ashrrev_i32_e32 v207, 31, v206
	v_lshlrev_b64 v[212:213], 2, v[206:207]
	v_add_co_u32 v212, vcc_lo, v204, v212
	v_add_co_ci_u32_e64 v213, null, v205, v213, vcc_lo
	s_clause 0x1
	global_load_dword v0, v[212:213], off
	global_load_dword v207, v[204:205], off offset:136
	s_waitcnt vmcnt(1)
	global_store_dword v[204:205], v0, off offset:136
	s_waitcnt vmcnt(0)
	global_store_dword v[212:213], v207, off
.LBB96_728:
	s_or_b32 exec_lo, exec_lo, s8
	v_mov_b32_e32 v212, v206
	v_mov_b32_e32 v0, v206
.LBB96_729:
	s_or_b32 exec_lo, exec_lo, s7
.LBB96_730:
	s_andn2_saveexec_b32 s0, s0
	s_cbranch_execz .LBB96_732
; %bb.731:
	v_mov_b32_e32 v212, 34
	ds_write2_b64 v1, v[54:55], v[56:57] offset0:70 offset1:71
	ds_write2_b64 v1, v[50:51], v[52:53] offset0:72 offset1:73
	;; [unrolled: 1-line block ×14, first 2 shown]
.LBB96_732:
	s_or_b32 exec_lo, exec_lo, s0
	s_mov_b32 s0, exec_lo
	s_waitcnt lgkmcnt(0)
	s_waitcnt_vscnt null, 0x0
	s_barrier
	buffer_gl0_inv
	v_cmpx_lt_i32_e32 34, v212
	s_cbranch_execz .LBB96_734
; %bb.733:
	v_mul_f64 v[206:207], v[198:199], v[60:61]
	v_mul_f64 v[60:61], v[200:201], v[60:61]
	v_fma_f64 v[206:207], v[200:201], v[58:59], v[206:207]
	v_fma_f64 v[58:59], v[198:199], v[58:59], -v[60:61]
	ds_read2_b64 v[198:201], v1 offset0:70 offset1:71
	s_waitcnt lgkmcnt(0)
	v_mul_f64 v[60:61], v[200:201], v[206:207]
	v_fma_f64 v[60:61], v[198:199], v[58:59], -v[60:61]
	v_mul_f64 v[198:199], v[198:199], v[206:207]
	v_add_f64 v[54:55], v[54:55], -v[60:61]
	v_fma_f64 v[198:199], v[200:201], v[58:59], v[198:199]
	v_add_f64 v[56:57], v[56:57], -v[198:199]
	ds_read2_b64 v[198:201], v1 offset0:72 offset1:73
	s_waitcnt lgkmcnt(0)
	v_mul_f64 v[60:61], v[200:201], v[206:207]
	v_fma_f64 v[60:61], v[198:199], v[58:59], -v[60:61]
	v_mul_f64 v[198:199], v[198:199], v[206:207]
	v_add_f64 v[50:51], v[50:51], -v[60:61]
	v_fma_f64 v[198:199], v[200:201], v[58:59], v[198:199]
	v_add_f64 v[52:53], v[52:53], -v[198:199]
	ds_read2_b64 v[198:201], v1 offset0:74 offset1:75
	s_waitcnt lgkmcnt(0)
	v_mul_f64 v[60:61], v[200:201], v[206:207]
	v_fma_f64 v[60:61], v[198:199], v[58:59], -v[60:61]
	v_mul_f64 v[198:199], v[198:199], v[206:207]
	v_add_f64 v[46:47], v[46:47], -v[60:61]
	v_fma_f64 v[198:199], v[200:201], v[58:59], v[198:199]
	v_add_f64 v[48:49], v[48:49], -v[198:199]
	ds_read2_b64 v[198:201], v1 offset0:76 offset1:77
	s_waitcnt lgkmcnt(0)
	v_mul_f64 v[60:61], v[200:201], v[206:207]
	v_fma_f64 v[60:61], v[198:199], v[58:59], -v[60:61]
	v_mul_f64 v[198:199], v[198:199], v[206:207]
	v_add_f64 v[42:43], v[42:43], -v[60:61]
	v_fma_f64 v[198:199], v[200:201], v[58:59], v[198:199]
	v_add_f64 v[44:45], v[44:45], -v[198:199]
	ds_read2_b64 v[198:201], v1 offset0:78 offset1:79
	s_waitcnt lgkmcnt(0)
	v_mul_f64 v[60:61], v[200:201], v[206:207]
	v_fma_f64 v[60:61], v[198:199], v[58:59], -v[60:61]
	v_mul_f64 v[198:199], v[198:199], v[206:207]
	v_add_f64 v[38:39], v[38:39], -v[60:61]
	v_fma_f64 v[198:199], v[200:201], v[58:59], v[198:199]
	v_add_f64 v[40:41], v[40:41], -v[198:199]
	ds_read2_b64 v[198:201], v1 offset0:80 offset1:81
	s_waitcnt lgkmcnt(0)
	v_mul_f64 v[60:61], v[200:201], v[206:207]
	v_fma_f64 v[60:61], v[198:199], v[58:59], -v[60:61]
	v_mul_f64 v[198:199], v[198:199], v[206:207]
	v_add_f64 v[34:35], v[34:35], -v[60:61]
	v_fma_f64 v[198:199], v[200:201], v[58:59], v[198:199]
	v_add_f64 v[36:37], v[36:37], -v[198:199]
	ds_read2_b64 v[198:201], v1 offset0:82 offset1:83
	s_waitcnt lgkmcnt(0)
	v_mul_f64 v[60:61], v[200:201], v[206:207]
	v_fma_f64 v[60:61], v[198:199], v[58:59], -v[60:61]
	v_mul_f64 v[198:199], v[198:199], v[206:207]
	v_add_f64 v[30:31], v[30:31], -v[60:61]
	v_fma_f64 v[198:199], v[200:201], v[58:59], v[198:199]
	v_add_f64 v[32:33], v[32:33], -v[198:199]
	ds_read2_b64 v[198:201], v1 offset0:84 offset1:85
	s_waitcnt lgkmcnt(0)
	v_mul_f64 v[60:61], v[200:201], v[206:207]
	v_fma_f64 v[60:61], v[198:199], v[58:59], -v[60:61]
	v_mul_f64 v[198:199], v[198:199], v[206:207]
	v_add_f64 v[26:27], v[26:27], -v[60:61]
	v_fma_f64 v[198:199], v[200:201], v[58:59], v[198:199]
	v_add_f64 v[28:29], v[28:29], -v[198:199]
	ds_read2_b64 v[198:201], v1 offset0:86 offset1:87
	s_waitcnt lgkmcnt(0)
	v_mul_f64 v[60:61], v[200:201], v[206:207]
	v_fma_f64 v[60:61], v[198:199], v[58:59], -v[60:61]
	v_mul_f64 v[198:199], v[198:199], v[206:207]
	v_add_f64 v[22:23], v[22:23], -v[60:61]
	v_fma_f64 v[198:199], v[200:201], v[58:59], v[198:199]
	v_add_f64 v[24:25], v[24:25], -v[198:199]
	ds_read2_b64 v[198:201], v1 offset0:88 offset1:89
	s_waitcnt lgkmcnt(0)
	v_mul_f64 v[60:61], v[200:201], v[206:207]
	v_fma_f64 v[60:61], v[198:199], v[58:59], -v[60:61]
	v_mul_f64 v[198:199], v[198:199], v[206:207]
	v_add_f64 v[18:19], v[18:19], -v[60:61]
	v_fma_f64 v[198:199], v[200:201], v[58:59], v[198:199]
	v_add_f64 v[20:21], v[20:21], -v[198:199]
	ds_read2_b64 v[198:201], v1 offset0:90 offset1:91
	s_waitcnt lgkmcnt(0)
	v_mul_f64 v[60:61], v[200:201], v[206:207]
	v_fma_f64 v[60:61], v[198:199], v[58:59], -v[60:61]
	v_mul_f64 v[198:199], v[198:199], v[206:207]
	v_add_f64 v[14:15], v[14:15], -v[60:61]
	v_fma_f64 v[198:199], v[200:201], v[58:59], v[198:199]
	v_add_f64 v[16:17], v[16:17], -v[198:199]
	ds_read2_b64 v[198:201], v1 offset0:92 offset1:93
	s_waitcnt lgkmcnt(0)
	v_mul_f64 v[60:61], v[200:201], v[206:207]
	v_fma_f64 v[60:61], v[198:199], v[58:59], -v[60:61]
	v_mul_f64 v[198:199], v[198:199], v[206:207]
	v_add_f64 v[10:11], v[10:11], -v[60:61]
	v_fma_f64 v[198:199], v[200:201], v[58:59], v[198:199]
	v_add_f64 v[12:13], v[12:13], -v[198:199]
	ds_read2_b64 v[198:201], v1 offset0:94 offset1:95
	s_waitcnt lgkmcnt(0)
	v_mul_f64 v[60:61], v[200:201], v[206:207]
	v_fma_f64 v[60:61], v[198:199], v[58:59], -v[60:61]
	v_mul_f64 v[198:199], v[198:199], v[206:207]
	v_add_f64 v[6:7], v[6:7], -v[60:61]
	v_fma_f64 v[198:199], v[200:201], v[58:59], v[198:199]
	v_add_f64 v[8:9], v[8:9], -v[198:199]
	ds_read2_b64 v[198:201], v1 offset0:96 offset1:97
	s_waitcnt lgkmcnt(0)
	v_mul_f64 v[60:61], v[200:201], v[206:207]
	v_fma_f64 v[60:61], v[198:199], v[58:59], -v[60:61]
	v_mul_f64 v[198:199], v[198:199], v[206:207]
	v_add_f64 v[2:3], v[2:3], -v[60:61]
	v_fma_f64 v[198:199], v[200:201], v[58:59], v[198:199]
	v_mov_b32_e32 v60, v206
	v_mov_b32_e32 v61, v207
	v_add_f64 v[4:5], v[4:5], -v[198:199]
.LBB96_734:
	s_or_b32 exec_lo, exec_lo, s0
	v_lshl_add_u32 v198, v212, 4, v1
	s_barrier
	buffer_gl0_inv
	v_mov_b32_e32 v206, 35
	ds_write2_b64 v198, v[54:55], v[56:57] offset1:1
	s_waitcnt lgkmcnt(0)
	s_barrier
	buffer_gl0_inv
	ds_read2_b64 v[198:201], v1 offset0:70 offset1:71
	s_cmp_lt_i32 s1, 37
	s_cbranch_scc1 .LBB96_737
; %bb.735:
	v_add3_u32 v207, v208, 0, 0x240
	v_mov_b32_e32 v206, 35
	s_mov_b32 s7, 36
	s_inst_prefetch 0x1
	.p2align	6
.LBB96_736:                             ; =>This Inner Loop Header: Depth=1
	s_waitcnt lgkmcnt(0)
	v_cmp_gt_f64_e32 vcc_lo, 0, v[200:201]
	v_cmp_gt_f64_e64 s0, 0, v[198:199]
	ds_read2_b64 v[213:216], v207 offset1:1
	v_xor_b32_e32 v218, 0x80000000, v199
	v_xor_b32_e32 v220, 0x80000000, v201
	v_mov_b32_e32 v217, v198
	v_mov_b32_e32 v219, v200
	v_add_nc_u32_e32 v207, 16, v207
	s_waitcnt lgkmcnt(0)
	v_xor_b32_e32 v222, 0x80000000, v216
	v_cndmask_b32_e64 v218, v199, v218, s0
	v_cndmask_b32_e32 v220, v201, v220, vcc_lo
	v_cmp_gt_f64_e32 vcc_lo, 0, v[215:216]
	v_cmp_gt_f64_e64 s0, 0, v[213:214]
	v_mov_b32_e32 v221, v215
	v_add_f64 v[217:218], v[217:218], v[219:220]
	v_xor_b32_e32 v220, 0x80000000, v214
	v_mov_b32_e32 v219, v213
	v_cndmask_b32_e32 v222, v216, v222, vcc_lo
	v_cndmask_b32_e64 v220, v214, v220, s0
	v_add_f64 v[219:220], v[219:220], v[221:222]
	v_cmp_lt_f64_e32 vcc_lo, v[217:218], v[219:220]
	v_cndmask_b32_e32 v199, v199, v214, vcc_lo
	v_cndmask_b32_e32 v198, v198, v213, vcc_lo
	;; [unrolled: 1-line block ×4, first 2 shown]
	v_cndmask_b32_e64 v206, v206, s7, vcc_lo
	s_add_i32 s7, s7, 1
	s_cmp_lg_u32 s1, s7
	s_cbranch_scc1 .LBB96_736
.LBB96_737:
	s_inst_prefetch 0x2
	s_waitcnt lgkmcnt(0)
	v_cmp_eq_f64_e32 vcc_lo, 0, v[198:199]
	v_cmp_eq_f64_e64 s0, 0, v[200:201]
	s_and_b32 s0, vcc_lo, s0
	s_and_saveexec_b32 s7, s0
	s_xor_b32 s0, exec_lo, s7
; %bb.738:
	v_cmp_ne_u32_e32 vcc_lo, 0, v211
	v_cndmask_b32_e32 v211, 36, v211, vcc_lo
; %bb.739:
	s_andn2_saveexec_b32 s0, s0
	s_cbranch_execz .LBB96_745
; %bb.740:
	v_cmp_ngt_f64_e64 s7, |v[198:199]|, |v[200:201]|
	s_and_saveexec_b32 s8, s7
	s_xor_b32 s7, exec_lo, s8
	s_cbranch_execz .LBB96_742
; %bb.741:
	v_div_scale_f64 v[213:214], null, v[200:201], v[200:201], v[198:199]
	v_div_scale_f64 v[219:220], vcc_lo, v[198:199], v[200:201], v[198:199]
	v_rcp_f64_e32 v[215:216], v[213:214]
	v_fma_f64 v[217:218], -v[213:214], v[215:216], 1.0
	v_fma_f64 v[215:216], v[215:216], v[217:218], v[215:216]
	v_fma_f64 v[217:218], -v[213:214], v[215:216], 1.0
	v_fma_f64 v[215:216], v[215:216], v[217:218], v[215:216]
	v_mul_f64 v[217:218], v[219:220], v[215:216]
	v_fma_f64 v[213:214], -v[213:214], v[217:218], v[219:220]
	v_div_fmas_f64 v[213:214], v[213:214], v[215:216], v[217:218]
	v_div_fixup_f64 v[213:214], v[213:214], v[200:201], v[198:199]
	v_fma_f64 v[198:199], v[198:199], v[213:214], v[200:201]
	v_div_scale_f64 v[200:201], null, v[198:199], v[198:199], 1.0
	v_rcp_f64_e32 v[215:216], v[200:201]
	v_fma_f64 v[217:218], -v[200:201], v[215:216], 1.0
	v_fma_f64 v[215:216], v[215:216], v[217:218], v[215:216]
	v_fma_f64 v[217:218], -v[200:201], v[215:216], 1.0
	v_fma_f64 v[215:216], v[215:216], v[217:218], v[215:216]
	v_div_scale_f64 v[217:218], vcc_lo, 1.0, v[198:199], 1.0
	v_mul_f64 v[219:220], v[217:218], v[215:216]
	v_fma_f64 v[200:201], -v[200:201], v[219:220], v[217:218]
	v_div_fmas_f64 v[200:201], v[200:201], v[215:216], v[219:220]
	v_div_fixup_f64 v[200:201], v[200:201], v[198:199], 1.0
	v_mul_f64 v[198:199], v[213:214], v[200:201]
	v_xor_b32_e32 v201, 0x80000000, v201
.LBB96_742:
	s_andn2_saveexec_b32 s7, s7
	s_cbranch_execz .LBB96_744
; %bb.743:
	v_div_scale_f64 v[213:214], null, v[198:199], v[198:199], v[200:201]
	v_div_scale_f64 v[219:220], vcc_lo, v[200:201], v[198:199], v[200:201]
	v_rcp_f64_e32 v[215:216], v[213:214]
	v_fma_f64 v[217:218], -v[213:214], v[215:216], 1.0
	v_fma_f64 v[215:216], v[215:216], v[217:218], v[215:216]
	v_fma_f64 v[217:218], -v[213:214], v[215:216], 1.0
	v_fma_f64 v[215:216], v[215:216], v[217:218], v[215:216]
	v_mul_f64 v[217:218], v[219:220], v[215:216]
	v_fma_f64 v[213:214], -v[213:214], v[217:218], v[219:220]
	v_div_fmas_f64 v[213:214], v[213:214], v[215:216], v[217:218]
	v_div_fixup_f64 v[213:214], v[213:214], v[198:199], v[200:201]
	v_fma_f64 v[198:199], v[200:201], v[213:214], v[198:199]
	v_div_scale_f64 v[200:201], null, v[198:199], v[198:199], 1.0
	v_rcp_f64_e32 v[215:216], v[200:201]
	v_fma_f64 v[217:218], -v[200:201], v[215:216], 1.0
	v_fma_f64 v[215:216], v[215:216], v[217:218], v[215:216]
	v_fma_f64 v[217:218], -v[200:201], v[215:216], 1.0
	v_fma_f64 v[215:216], v[215:216], v[217:218], v[215:216]
	v_div_scale_f64 v[217:218], vcc_lo, 1.0, v[198:199], 1.0
	v_mul_f64 v[219:220], v[217:218], v[215:216]
	v_fma_f64 v[200:201], -v[200:201], v[219:220], v[217:218]
	v_div_fmas_f64 v[200:201], v[200:201], v[215:216], v[219:220]
	v_div_fixup_f64 v[198:199], v[200:201], v[198:199], 1.0
	v_mul_f64 v[200:201], v[213:214], -v[198:199]
.LBB96_744:
	s_or_b32 exec_lo, exec_lo, s7
.LBB96_745:
	s_or_b32 exec_lo, exec_lo, s0
	s_mov_b32 s0, exec_lo
	v_cmpx_ne_u32_e64 v212, v206
	s_xor_b32 s0, exec_lo, s0
	s_cbranch_execz .LBB96_751
; %bb.746:
	s_mov_b32 s7, exec_lo
	v_cmpx_eq_u32_e32 35, v212
	s_cbranch_execz .LBB96_750
; %bb.747:
	v_cmp_ne_u32_e32 vcc_lo, 35, v206
	s_xor_b32 s8, s16, -1
	s_and_b32 s9, s8, vcc_lo
	s_and_saveexec_b32 s8, s9
	s_cbranch_execz .LBB96_749
; %bb.748:
	v_ashrrev_i32_e32 v207, 31, v206
	v_lshlrev_b64 v[212:213], 2, v[206:207]
	v_add_co_u32 v212, vcc_lo, v204, v212
	v_add_co_ci_u32_e64 v213, null, v205, v213, vcc_lo
	s_clause 0x1
	global_load_dword v0, v[212:213], off
	global_load_dword v207, v[204:205], off offset:140
	s_waitcnt vmcnt(1)
	global_store_dword v[204:205], v0, off offset:140
	s_waitcnt vmcnt(0)
	global_store_dword v[212:213], v207, off
.LBB96_749:
	s_or_b32 exec_lo, exec_lo, s8
	v_mov_b32_e32 v212, v206
	v_mov_b32_e32 v0, v206
.LBB96_750:
	s_or_b32 exec_lo, exec_lo, s7
.LBB96_751:
	s_andn2_saveexec_b32 s0, s0
	s_cbranch_execz .LBB96_753
; %bb.752:
	v_mov_b32_e32 v212, 35
	ds_write2_b64 v1, v[50:51], v[52:53] offset0:72 offset1:73
	ds_write2_b64 v1, v[46:47], v[48:49] offset0:74 offset1:75
	;; [unrolled: 1-line block ×13, first 2 shown]
.LBB96_753:
	s_or_b32 exec_lo, exec_lo, s0
	s_mov_b32 s0, exec_lo
	s_waitcnt lgkmcnt(0)
	s_waitcnt_vscnt null, 0x0
	s_barrier
	buffer_gl0_inv
	v_cmpx_lt_i32_e32 35, v212
	s_cbranch_execz .LBB96_755
; %bb.754:
	v_mul_f64 v[206:207], v[198:199], v[56:57]
	v_mul_f64 v[56:57], v[200:201], v[56:57]
	v_fma_f64 v[206:207], v[200:201], v[54:55], v[206:207]
	v_fma_f64 v[54:55], v[198:199], v[54:55], -v[56:57]
	ds_read2_b64 v[198:201], v1 offset0:72 offset1:73
	s_waitcnt lgkmcnt(0)
	v_mul_f64 v[56:57], v[200:201], v[206:207]
	v_fma_f64 v[56:57], v[198:199], v[54:55], -v[56:57]
	v_mul_f64 v[198:199], v[198:199], v[206:207]
	v_add_f64 v[50:51], v[50:51], -v[56:57]
	v_fma_f64 v[198:199], v[200:201], v[54:55], v[198:199]
	v_add_f64 v[52:53], v[52:53], -v[198:199]
	ds_read2_b64 v[198:201], v1 offset0:74 offset1:75
	s_waitcnt lgkmcnt(0)
	v_mul_f64 v[56:57], v[200:201], v[206:207]
	v_fma_f64 v[56:57], v[198:199], v[54:55], -v[56:57]
	v_mul_f64 v[198:199], v[198:199], v[206:207]
	v_add_f64 v[46:47], v[46:47], -v[56:57]
	v_fma_f64 v[198:199], v[200:201], v[54:55], v[198:199]
	v_add_f64 v[48:49], v[48:49], -v[198:199]
	;; [unrolled: 8-line block ×12, first 2 shown]
	ds_read2_b64 v[198:201], v1 offset0:96 offset1:97
	s_waitcnt lgkmcnt(0)
	v_mul_f64 v[56:57], v[200:201], v[206:207]
	v_fma_f64 v[56:57], v[198:199], v[54:55], -v[56:57]
	v_mul_f64 v[198:199], v[198:199], v[206:207]
	v_add_f64 v[2:3], v[2:3], -v[56:57]
	v_fma_f64 v[198:199], v[200:201], v[54:55], v[198:199]
	v_mov_b32_e32 v56, v206
	v_mov_b32_e32 v57, v207
	v_add_f64 v[4:5], v[4:5], -v[198:199]
.LBB96_755:
	s_or_b32 exec_lo, exec_lo, s0
	v_lshl_add_u32 v198, v212, 4, v1
	s_barrier
	buffer_gl0_inv
	v_mov_b32_e32 v206, 36
	ds_write2_b64 v198, v[50:51], v[52:53] offset1:1
	s_waitcnt lgkmcnt(0)
	s_barrier
	buffer_gl0_inv
	ds_read2_b64 v[198:201], v1 offset0:72 offset1:73
	s_cmp_lt_i32 s1, 38
	s_cbranch_scc1 .LBB96_758
; %bb.756:
	v_add3_u32 v207, v208, 0, 0x250
	v_mov_b32_e32 v206, 36
	s_mov_b32 s7, 37
	s_inst_prefetch 0x1
	.p2align	6
.LBB96_757:                             ; =>This Inner Loop Header: Depth=1
	s_waitcnt lgkmcnt(0)
	v_cmp_gt_f64_e32 vcc_lo, 0, v[200:201]
	v_cmp_gt_f64_e64 s0, 0, v[198:199]
	ds_read2_b64 v[213:216], v207 offset1:1
	v_xor_b32_e32 v218, 0x80000000, v199
	v_xor_b32_e32 v220, 0x80000000, v201
	v_mov_b32_e32 v217, v198
	v_mov_b32_e32 v219, v200
	v_add_nc_u32_e32 v207, 16, v207
	s_waitcnt lgkmcnt(0)
	v_xor_b32_e32 v222, 0x80000000, v216
	v_cndmask_b32_e64 v218, v199, v218, s0
	v_cndmask_b32_e32 v220, v201, v220, vcc_lo
	v_cmp_gt_f64_e32 vcc_lo, 0, v[215:216]
	v_cmp_gt_f64_e64 s0, 0, v[213:214]
	v_mov_b32_e32 v221, v215
	v_add_f64 v[217:218], v[217:218], v[219:220]
	v_xor_b32_e32 v220, 0x80000000, v214
	v_mov_b32_e32 v219, v213
	v_cndmask_b32_e32 v222, v216, v222, vcc_lo
	v_cndmask_b32_e64 v220, v214, v220, s0
	v_add_f64 v[219:220], v[219:220], v[221:222]
	v_cmp_lt_f64_e32 vcc_lo, v[217:218], v[219:220]
	v_cndmask_b32_e32 v199, v199, v214, vcc_lo
	v_cndmask_b32_e32 v198, v198, v213, vcc_lo
	v_cndmask_b32_e32 v201, v201, v216, vcc_lo
	v_cndmask_b32_e32 v200, v200, v215, vcc_lo
	v_cndmask_b32_e64 v206, v206, s7, vcc_lo
	s_add_i32 s7, s7, 1
	s_cmp_lg_u32 s1, s7
	s_cbranch_scc1 .LBB96_757
.LBB96_758:
	s_inst_prefetch 0x2
	s_waitcnt lgkmcnt(0)
	v_cmp_eq_f64_e32 vcc_lo, 0, v[198:199]
	v_cmp_eq_f64_e64 s0, 0, v[200:201]
	s_and_b32 s0, vcc_lo, s0
	s_and_saveexec_b32 s7, s0
	s_xor_b32 s0, exec_lo, s7
; %bb.759:
	v_cmp_ne_u32_e32 vcc_lo, 0, v211
	v_cndmask_b32_e32 v211, 37, v211, vcc_lo
; %bb.760:
	s_andn2_saveexec_b32 s0, s0
	s_cbranch_execz .LBB96_766
; %bb.761:
	v_cmp_ngt_f64_e64 s7, |v[198:199]|, |v[200:201]|
	s_and_saveexec_b32 s8, s7
	s_xor_b32 s7, exec_lo, s8
	s_cbranch_execz .LBB96_763
; %bb.762:
	v_div_scale_f64 v[213:214], null, v[200:201], v[200:201], v[198:199]
	v_div_scale_f64 v[219:220], vcc_lo, v[198:199], v[200:201], v[198:199]
	v_rcp_f64_e32 v[215:216], v[213:214]
	v_fma_f64 v[217:218], -v[213:214], v[215:216], 1.0
	v_fma_f64 v[215:216], v[215:216], v[217:218], v[215:216]
	v_fma_f64 v[217:218], -v[213:214], v[215:216], 1.0
	v_fma_f64 v[215:216], v[215:216], v[217:218], v[215:216]
	v_mul_f64 v[217:218], v[219:220], v[215:216]
	v_fma_f64 v[213:214], -v[213:214], v[217:218], v[219:220]
	v_div_fmas_f64 v[213:214], v[213:214], v[215:216], v[217:218]
	v_div_fixup_f64 v[213:214], v[213:214], v[200:201], v[198:199]
	v_fma_f64 v[198:199], v[198:199], v[213:214], v[200:201]
	v_div_scale_f64 v[200:201], null, v[198:199], v[198:199], 1.0
	v_rcp_f64_e32 v[215:216], v[200:201]
	v_fma_f64 v[217:218], -v[200:201], v[215:216], 1.0
	v_fma_f64 v[215:216], v[215:216], v[217:218], v[215:216]
	v_fma_f64 v[217:218], -v[200:201], v[215:216], 1.0
	v_fma_f64 v[215:216], v[215:216], v[217:218], v[215:216]
	v_div_scale_f64 v[217:218], vcc_lo, 1.0, v[198:199], 1.0
	v_mul_f64 v[219:220], v[217:218], v[215:216]
	v_fma_f64 v[200:201], -v[200:201], v[219:220], v[217:218]
	v_div_fmas_f64 v[200:201], v[200:201], v[215:216], v[219:220]
	v_div_fixup_f64 v[200:201], v[200:201], v[198:199], 1.0
	v_mul_f64 v[198:199], v[213:214], v[200:201]
	v_xor_b32_e32 v201, 0x80000000, v201
.LBB96_763:
	s_andn2_saveexec_b32 s7, s7
	s_cbranch_execz .LBB96_765
; %bb.764:
	v_div_scale_f64 v[213:214], null, v[198:199], v[198:199], v[200:201]
	v_div_scale_f64 v[219:220], vcc_lo, v[200:201], v[198:199], v[200:201]
	v_rcp_f64_e32 v[215:216], v[213:214]
	v_fma_f64 v[217:218], -v[213:214], v[215:216], 1.0
	v_fma_f64 v[215:216], v[215:216], v[217:218], v[215:216]
	v_fma_f64 v[217:218], -v[213:214], v[215:216], 1.0
	v_fma_f64 v[215:216], v[215:216], v[217:218], v[215:216]
	v_mul_f64 v[217:218], v[219:220], v[215:216]
	v_fma_f64 v[213:214], -v[213:214], v[217:218], v[219:220]
	v_div_fmas_f64 v[213:214], v[213:214], v[215:216], v[217:218]
	v_div_fixup_f64 v[213:214], v[213:214], v[198:199], v[200:201]
	v_fma_f64 v[198:199], v[200:201], v[213:214], v[198:199]
	v_div_scale_f64 v[200:201], null, v[198:199], v[198:199], 1.0
	v_rcp_f64_e32 v[215:216], v[200:201]
	v_fma_f64 v[217:218], -v[200:201], v[215:216], 1.0
	v_fma_f64 v[215:216], v[215:216], v[217:218], v[215:216]
	v_fma_f64 v[217:218], -v[200:201], v[215:216], 1.0
	v_fma_f64 v[215:216], v[215:216], v[217:218], v[215:216]
	v_div_scale_f64 v[217:218], vcc_lo, 1.0, v[198:199], 1.0
	v_mul_f64 v[219:220], v[217:218], v[215:216]
	v_fma_f64 v[200:201], -v[200:201], v[219:220], v[217:218]
	v_div_fmas_f64 v[200:201], v[200:201], v[215:216], v[219:220]
	v_div_fixup_f64 v[198:199], v[200:201], v[198:199], 1.0
	v_mul_f64 v[200:201], v[213:214], -v[198:199]
.LBB96_765:
	s_or_b32 exec_lo, exec_lo, s7
.LBB96_766:
	s_or_b32 exec_lo, exec_lo, s0
	s_mov_b32 s0, exec_lo
	v_cmpx_ne_u32_e64 v212, v206
	s_xor_b32 s0, exec_lo, s0
	s_cbranch_execz .LBB96_772
; %bb.767:
	s_mov_b32 s7, exec_lo
	v_cmpx_eq_u32_e32 36, v212
	s_cbranch_execz .LBB96_771
; %bb.768:
	v_cmp_ne_u32_e32 vcc_lo, 36, v206
	s_xor_b32 s8, s16, -1
	s_and_b32 s9, s8, vcc_lo
	s_and_saveexec_b32 s8, s9
	s_cbranch_execz .LBB96_770
; %bb.769:
	v_ashrrev_i32_e32 v207, 31, v206
	v_lshlrev_b64 v[212:213], 2, v[206:207]
	v_add_co_u32 v212, vcc_lo, v204, v212
	v_add_co_ci_u32_e64 v213, null, v205, v213, vcc_lo
	s_clause 0x1
	global_load_dword v0, v[212:213], off
	global_load_dword v207, v[204:205], off offset:144
	s_waitcnt vmcnt(1)
	global_store_dword v[204:205], v0, off offset:144
	s_waitcnt vmcnt(0)
	global_store_dword v[212:213], v207, off
.LBB96_770:
	s_or_b32 exec_lo, exec_lo, s8
	v_mov_b32_e32 v212, v206
	v_mov_b32_e32 v0, v206
.LBB96_771:
	s_or_b32 exec_lo, exec_lo, s7
.LBB96_772:
	s_andn2_saveexec_b32 s0, s0
	s_cbranch_execz .LBB96_774
; %bb.773:
	v_mov_b32_e32 v212, 36
	ds_write2_b64 v1, v[46:47], v[48:49] offset0:74 offset1:75
	ds_write2_b64 v1, v[42:43], v[44:45] offset0:76 offset1:77
	;; [unrolled: 1-line block ×12, first 2 shown]
.LBB96_774:
	s_or_b32 exec_lo, exec_lo, s0
	s_mov_b32 s0, exec_lo
	s_waitcnt lgkmcnt(0)
	s_waitcnt_vscnt null, 0x0
	s_barrier
	buffer_gl0_inv
	v_cmpx_lt_i32_e32 36, v212
	s_cbranch_execz .LBB96_776
; %bb.775:
	v_mul_f64 v[206:207], v[198:199], v[52:53]
	v_mul_f64 v[52:53], v[200:201], v[52:53]
	v_fma_f64 v[206:207], v[200:201], v[50:51], v[206:207]
	v_fma_f64 v[50:51], v[198:199], v[50:51], -v[52:53]
	ds_read2_b64 v[198:201], v1 offset0:74 offset1:75
	s_waitcnt lgkmcnt(0)
	v_mul_f64 v[52:53], v[200:201], v[206:207]
	v_fma_f64 v[52:53], v[198:199], v[50:51], -v[52:53]
	v_mul_f64 v[198:199], v[198:199], v[206:207]
	v_add_f64 v[46:47], v[46:47], -v[52:53]
	v_fma_f64 v[198:199], v[200:201], v[50:51], v[198:199]
	v_add_f64 v[48:49], v[48:49], -v[198:199]
	ds_read2_b64 v[198:201], v1 offset0:76 offset1:77
	s_waitcnt lgkmcnt(0)
	v_mul_f64 v[52:53], v[200:201], v[206:207]
	v_fma_f64 v[52:53], v[198:199], v[50:51], -v[52:53]
	v_mul_f64 v[198:199], v[198:199], v[206:207]
	v_add_f64 v[42:43], v[42:43], -v[52:53]
	v_fma_f64 v[198:199], v[200:201], v[50:51], v[198:199]
	v_add_f64 v[44:45], v[44:45], -v[198:199]
	;; [unrolled: 8-line block ×11, first 2 shown]
	ds_read2_b64 v[198:201], v1 offset0:96 offset1:97
	s_waitcnt lgkmcnt(0)
	v_mul_f64 v[52:53], v[200:201], v[206:207]
	v_fma_f64 v[52:53], v[198:199], v[50:51], -v[52:53]
	v_mul_f64 v[198:199], v[198:199], v[206:207]
	v_add_f64 v[2:3], v[2:3], -v[52:53]
	v_fma_f64 v[198:199], v[200:201], v[50:51], v[198:199]
	v_mov_b32_e32 v52, v206
	v_mov_b32_e32 v53, v207
	v_add_f64 v[4:5], v[4:5], -v[198:199]
.LBB96_776:
	s_or_b32 exec_lo, exec_lo, s0
	v_lshl_add_u32 v198, v212, 4, v1
	s_barrier
	buffer_gl0_inv
	v_mov_b32_e32 v206, 37
	ds_write2_b64 v198, v[46:47], v[48:49] offset1:1
	s_waitcnt lgkmcnt(0)
	s_barrier
	buffer_gl0_inv
	ds_read2_b64 v[198:201], v1 offset0:74 offset1:75
	s_cmp_lt_i32 s1, 39
	s_cbranch_scc1 .LBB96_779
; %bb.777:
	v_add3_u32 v207, v208, 0, 0x260
	v_mov_b32_e32 v206, 37
	s_mov_b32 s7, 38
	s_inst_prefetch 0x1
	.p2align	6
.LBB96_778:                             ; =>This Inner Loop Header: Depth=1
	s_waitcnt lgkmcnt(0)
	v_cmp_gt_f64_e32 vcc_lo, 0, v[200:201]
	v_cmp_gt_f64_e64 s0, 0, v[198:199]
	ds_read2_b64 v[213:216], v207 offset1:1
	v_xor_b32_e32 v218, 0x80000000, v199
	v_xor_b32_e32 v220, 0x80000000, v201
	v_mov_b32_e32 v217, v198
	v_mov_b32_e32 v219, v200
	v_add_nc_u32_e32 v207, 16, v207
	s_waitcnt lgkmcnt(0)
	v_xor_b32_e32 v222, 0x80000000, v216
	v_cndmask_b32_e64 v218, v199, v218, s0
	v_cndmask_b32_e32 v220, v201, v220, vcc_lo
	v_cmp_gt_f64_e32 vcc_lo, 0, v[215:216]
	v_cmp_gt_f64_e64 s0, 0, v[213:214]
	v_mov_b32_e32 v221, v215
	v_add_f64 v[217:218], v[217:218], v[219:220]
	v_xor_b32_e32 v220, 0x80000000, v214
	v_mov_b32_e32 v219, v213
	v_cndmask_b32_e32 v222, v216, v222, vcc_lo
	v_cndmask_b32_e64 v220, v214, v220, s0
	v_add_f64 v[219:220], v[219:220], v[221:222]
	v_cmp_lt_f64_e32 vcc_lo, v[217:218], v[219:220]
	v_cndmask_b32_e32 v199, v199, v214, vcc_lo
	v_cndmask_b32_e32 v198, v198, v213, vcc_lo
	;; [unrolled: 1-line block ×4, first 2 shown]
	v_cndmask_b32_e64 v206, v206, s7, vcc_lo
	s_add_i32 s7, s7, 1
	s_cmp_lg_u32 s1, s7
	s_cbranch_scc1 .LBB96_778
.LBB96_779:
	s_inst_prefetch 0x2
	s_waitcnt lgkmcnt(0)
	v_cmp_eq_f64_e32 vcc_lo, 0, v[198:199]
	v_cmp_eq_f64_e64 s0, 0, v[200:201]
	s_and_b32 s0, vcc_lo, s0
	s_and_saveexec_b32 s7, s0
	s_xor_b32 s0, exec_lo, s7
; %bb.780:
	v_cmp_ne_u32_e32 vcc_lo, 0, v211
	v_cndmask_b32_e32 v211, 38, v211, vcc_lo
; %bb.781:
	s_andn2_saveexec_b32 s0, s0
	s_cbranch_execz .LBB96_787
; %bb.782:
	v_cmp_ngt_f64_e64 s7, |v[198:199]|, |v[200:201]|
	s_and_saveexec_b32 s8, s7
	s_xor_b32 s7, exec_lo, s8
	s_cbranch_execz .LBB96_784
; %bb.783:
	v_div_scale_f64 v[213:214], null, v[200:201], v[200:201], v[198:199]
	v_div_scale_f64 v[219:220], vcc_lo, v[198:199], v[200:201], v[198:199]
	v_rcp_f64_e32 v[215:216], v[213:214]
	v_fma_f64 v[217:218], -v[213:214], v[215:216], 1.0
	v_fma_f64 v[215:216], v[215:216], v[217:218], v[215:216]
	v_fma_f64 v[217:218], -v[213:214], v[215:216], 1.0
	v_fma_f64 v[215:216], v[215:216], v[217:218], v[215:216]
	v_mul_f64 v[217:218], v[219:220], v[215:216]
	v_fma_f64 v[213:214], -v[213:214], v[217:218], v[219:220]
	v_div_fmas_f64 v[213:214], v[213:214], v[215:216], v[217:218]
	v_div_fixup_f64 v[213:214], v[213:214], v[200:201], v[198:199]
	v_fma_f64 v[198:199], v[198:199], v[213:214], v[200:201]
	v_div_scale_f64 v[200:201], null, v[198:199], v[198:199], 1.0
	v_rcp_f64_e32 v[215:216], v[200:201]
	v_fma_f64 v[217:218], -v[200:201], v[215:216], 1.0
	v_fma_f64 v[215:216], v[215:216], v[217:218], v[215:216]
	v_fma_f64 v[217:218], -v[200:201], v[215:216], 1.0
	v_fma_f64 v[215:216], v[215:216], v[217:218], v[215:216]
	v_div_scale_f64 v[217:218], vcc_lo, 1.0, v[198:199], 1.0
	v_mul_f64 v[219:220], v[217:218], v[215:216]
	v_fma_f64 v[200:201], -v[200:201], v[219:220], v[217:218]
	v_div_fmas_f64 v[200:201], v[200:201], v[215:216], v[219:220]
	v_div_fixup_f64 v[200:201], v[200:201], v[198:199], 1.0
	v_mul_f64 v[198:199], v[213:214], v[200:201]
	v_xor_b32_e32 v201, 0x80000000, v201
.LBB96_784:
	s_andn2_saveexec_b32 s7, s7
	s_cbranch_execz .LBB96_786
; %bb.785:
	v_div_scale_f64 v[213:214], null, v[198:199], v[198:199], v[200:201]
	v_div_scale_f64 v[219:220], vcc_lo, v[200:201], v[198:199], v[200:201]
	v_rcp_f64_e32 v[215:216], v[213:214]
	v_fma_f64 v[217:218], -v[213:214], v[215:216], 1.0
	v_fma_f64 v[215:216], v[215:216], v[217:218], v[215:216]
	v_fma_f64 v[217:218], -v[213:214], v[215:216], 1.0
	v_fma_f64 v[215:216], v[215:216], v[217:218], v[215:216]
	v_mul_f64 v[217:218], v[219:220], v[215:216]
	v_fma_f64 v[213:214], -v[213:214], v[217:218], v[219:220]
	v_div_fmas_f64 v[213:214], v[213:214], v[215:216], v[217:218]
	v_div_fixup_f64 v[213:214], v[213:214], v[198:199], v[200:201]
	v_fma_f64 v[198:199], v[200:201], v[213:214], v[198:199]
	v_div_scale_f64 v[200:201], null, v[198:199], v[198:199], 1.0
	v_rcp_f64_e32 v[215:216], v[200:201]
	v_fma_f64 v[217:218], -v[200:201], v[215:216], 1.0
	v_fma_f64 v[215:216], v[215:216], v[217:218], v[215:216]
	v_fma_f64 v[217:218], -v[200:201], v[215:216], 1.0
	v_fma_f64 v[215:216], v[215:216], v[217:218], v[215:216]
	v_div_scale_f64 v[217:218], vcc_lo, 1.0, v[198:199], 1.0
	v_mul_f64 v[219:220], v[217:218], v[215:216]
	v_fma_f64 v[200:201], -v[200:201], v[219:220], v[217:218]
	v_div_fmas_f64 v[200:201], v[200:201], v[215:216], v[219:220]
	v_div_fixup_f64 v[198:199], v[200:201], v[198:199], 1.0
	v_mul_f64 v[200:201], v[213:214], -v[198:199]
.LBB96_786:
	s_or_b32 exec_lo, exec_lo, s7
.LBB96_787:
	s_or_b32 exec_lo, exec_lo, s0
	s_mov_b32 s0, exec_lo
	v_cmpx_ne_u32_e64 v212, v206
	s_xor_b32 s0, exec_lo, s0
	s_cbranch_execz .LBB96_793
; %bb.788:
	s_mov_b32 s7, exec_lo
	v_cmpx_eq_u32_e32 37, v212
	s_cbranch_execz .LBB96_792
; %bb.789:
	v_cmp_ne_u32_e32 vcc_lo, 37, v206
	s_xor_b32 s8, s16, -1
	s_and_b32 s9, s8, vcc_lo
	s_and_saveexec_b32 s8, s9
	s_cbranch_execz .LBB96_791
; %bb.790:
	v_ashrrev_i32_e32 v207, 31, v206
	v_lshlrev_b64 v[212:213], 2, v[206:207]
	v_add_co_u32 v212, vcc_lo, v204, v212
	v_add_co_ci_u32_e64 v213, null, v205, v213, vcc_lo
	s_clause 0x1
	global_load_dword v0, v[212:213], off
	global_load_dword v207, v[204:205], off offset:148
	s_waitcnt vmcnt(1)
	global_store_dword v[204:205], v0, off offset:148
	s_waitcnt vmcnt(0)
	global_store_dword v[212:213], v207, off
.LBB96_791:
	s_or_b32 exec_lo, exec_lo, s8
	v_mov_b32_e32 v212, v206
	v_mov_b32_e32 v0, v206
.LBB96_792:
	s_or_b32 exec_lo, exec_lo, s7
.LBB96_793:
	s_andn2_saveexec_b32 s0, s0
	s_cbranch_execz .LBB96_795
; %bb.794:
	v_mov_b32_e32 v212, 37
	ds_write2_b64 v1, v[42:43], v[44:45] offset0:76 offset1:77
	ds_write2_b64 v1, v[38:39], v[40:41] offset0:78 offset1:79
	;; [unrolled: 1-line block ×11, first 2 shown]
.LBB96_795:
	s_or_b32 exec_lo, exec_lo, s0
	s_mov_b32 s0, exec_lo
	s_waitcnt lgkmcnt(0)
	s_waitcnt_vscnt null, 0x0
	s_barrier
	buffer_gl0_inv
	v_cmpx_lt_i32_e32 37, v212
	s_cbranch_execz .LBB96_797
; %bb.796:
	v_mul_f64 v[206:207], v[198:199], v[48:49]
	v_mul_f64 v[48:49], v[200:201], v[48:49]
	v_fma_f64 v[206:207], v[200:201], v[46:47], v[206:207]
	v_fma_f64 v[46:47], v[198:199], v[46:47], -v[48:49]
	ds_read2_b64 v[198:201], v1 offset0:76 offset1:77
	s_waitcnt lgkmcnt(0)
	v_mul_f64 v[48:49], v[200:201], v[206:207]
	v_fma_f64 v[48:49], v[198:199], v[46:47], -v[48:49]
	v_mul_f64 v[198:199], v[198:199], v[206:207]
	v_add_f64 v[42:43], v[42:43], -v[48:49]
	v_fma_f64 v[198:199], v[200:201], v[46:47], v[198:199]
	v_add_f64 v[44:45], v[44:45], -v[198:199]
	ds_read2_b64 v[198:201], v1 offset0:78 offset1:79
	s_waitcnt lgkmcnt(0)
	v_mul_f64 v[48:49], v[200:201], v[206:207]
	v_fma_f64 v[48:49], v[198:199], v[46:47], -v[48:49]
	v_mul_f64 v[198:199], v[198:199], v[206:207]
	v_add_f64 v[38:39], v[38:39], -v[48:49]
	v_fma_f64 v[198:199], v[200:201], v[46:47], v[198:199]
	v_add_f64 v[40:41], v[40:41], -v[198:199]
	;; [unrolled: 8-line block ×10, first 2 shown]
	ds_read2_b64 v[198:201], v1 offset0:96 offset1:97
	s_waitcnt lgkmcnt(0)
	v_mul_f64 v[48:49], v[200:201], v[206:207]
	v_fma_f64 v[48:49], v[198:199], v[46:47], -v[48:49]
	v_mul_f64 v[198:199], v[198:199], v[206:207]
	v_add_f64 v[2:3], v[2:3], -v[48:49]
	v_fma_f64 v[198:199], v[200:201], v[46:47], v[198:199]
	v_mov_b32_e32 v48, v206
	v_mov_b32_e32 v49, v207
	v_add_f64 v[4:5], v[4:5], -v[198:199]
.LBB96_797:
	s_or_b32 exec_lo, exec_lo, s0
	v_lshl_add_u32 v198, v212, 4, v1
	s_barrier
	buffer_gl0_inv
	v_mov_b32_e32 v206, 38
	ds_write2_b64 v198, v[42:43], v[44:45] offset1:1
	s_waitcnt lgkmcnt(0)
	s_barrier
	buffer_gl0_inv
	ds_read2_b64 v[198:201], v1 offset0:76 offset1:77
	s_cmp_lt_i32 s1, 40
	s_cbranch_scc1 .LBB96_800
; %bb.798:
	v_add3_u32 v207, v208, 0, 0x270
	v_mov_b32_e32 v206, 38
	s_mov_b32 s7, 39
	s_inst_prefetch 0x1
	.p2align	6
.LBB96_799:                             ; =>This Inner Loop Header: Depth=1
	s_waitcnt lgkmcnt(0)
	v_cmp_gt_f64_e32 vcc_lo, 0, v[200:201]
	v_cmp_gt_f64_e64 s0, 0, v[198:199]
	ds_read2_b64 v[213:216], v207 offset1:1
	v_xor_b32_e32 v218, 0x80000000, v199
	v_xor_b32_e32 v220, 0x80000000, v201
	v_mov_b32_e32 v217, v198
	v_mov_b32_e32 v219, v200
	v_add_nc_u32_e32 v207, 16, v207
	s_waitcnt lgkmcnt(0)
	v_xor_b32_e32 v222, 0x80000000, v216
	v_cndmask_b32_e64 v218, v199, v218, s0
	v_cndmask_b32_e32 v220, v201, v220, vcc_lo
	v_cmp_gt_f64_e32 vcc_lo, 0, v[215:216]
	v_cmp_gt_f64_e64 s0, 0, v[213:214]
	v_mov_b32_e32 v221, v215
	v_add_f64 v[217:218], v[217:218], v[219:220]
	v_xor_b32_e32 v220, 0x80000000, v214
	v_mov_b32_e32 v219, v213
	v_cndmask_b32_e32 v222, v216, v222, vcc_lo
	v_cndmask_b32_e64 v220, v214, v220, s0
	v_add_f64 v[219:220], v[219:220], v[221:222]
	v_cmp_lt_f64_e32 vcc_lo, v[217:218], v[219:220]
	v_cndmask_b32_e32 v199, v199, v214, vcc_lo
	v_cndmask_b32_e32 v198, v198, v213, vcc_lo
	;; [unrolled: 1-line block ×4, first 2 shown]
	v_cndmask_b32_e64 v206, v206, s7, vcc_lo
	s_add_i32 s7, s7, 1
	s_cmp_lg_u32 s1, s7
	s_cbranch_scc1 .LBB96_799
.LBB96_800:
	s_inst_prefetch 0x2
	s_waitcnt lgkmcnt(0)
	v_cmp_eq_f64_e32 vcc_lo, 0, v[198:199]
	v_cmp_eq_f64_e64 s0, 0, v[200:201]
	s_and_b32 s0, vcc_lo, s0
	s_and_saveexec_b32 s7, s0
	s_xor_b32 s0, exec_lo, s7
; %bb.801:
	v_cmp_ne_u32_e32 vcc_lo, 0, v211
	v_cndmask_b32_e32 v211, 39, v211, vcc_lo
; %bb.802:
	s_andn2_saveexec_b32 s0, s0
	s_cbranch_execz .LBB96_808
; %bb.803:
	v_cmp_ngt_f64_e64 s7, |v[198:199]|, |v[200:201]|
	s_and_saveexec_b32 s8, s7
	s_xor_b32 s7, exec_lo, s8
	s_cbranch_execz .LBB96_805
; %bb.804:
	v_div_scale_f64 v[213:214], null, v[200:201], v[200:201], v[198:199]
	v_div_scale_f64 v[219:220], vcc_lo, v[198:199], v[200:201], v[198:199]
	v_rcp_f64_e32 v[215:216], v[213:214]
	v_fma_f64 v[217:218], -v[213:214], v[215:216], 1.0
	v_fma_f64 v[215:216], v[215:216], v[217:218], v[215:216]
	v_fma_f64 v[217:218], -v[213:214], v[215:216], 1.0
	v_fma_f64 v[215:216], v[215:216], v[217:218], v[215:216]
	v_mul_f64 v[217:218], v[219:220], v[215:216]
	v_fma_f64 v[213:214], -v[213:214], v[217:218], v[219:220]
	v_div_fmas_f64 v[213:214], v[213:214], v[215:216], v[217:218]
	v_div_fixup_f64 v[213:214], v[213:214], v[200:201], v[198:199]
	v_fma_f64 v[198:199], v[198:199], v[213:214], v[200:201]
	v_div_scale_f64 v[200:201], null, v[198:199], v[198:199], 1.0
	v_rcp_f64_e32 v[215:216], v[200:201]
	v_fma_f64 v[217:218], -v[200:201], v[215:216], 1.0
	v_fma_f64 v[215:216], v[215:216], v[217:218], v[215:216]
	v_fma_f64 v[217:218], -v[200:201], v[215:216], 1.0
	v_fma_f64 v[215:216], v[215:216], v[217:218], v[215:216]
	v_div_scale_f64 v[217:218], vcc_lo, 1.0, v[198:199], 1.0
	v_mul_f64 v[219:220], v[217:218], v[215:216]
	v_fma_f64 v[200:201], -v[200:201], v[219:220], v[217:218]
	v_div_fmas_f64 v[200:201], v[200:201], v[215:216], v[219:220]
	v_div_fixup_f64 v[200:201], v[200:201], v[198:199], 1.0
	v_mul_f64 v[198:199], v[213:214], v[200:201]
	v_xor_b32_e32 v201, 0x80000000, v201
.LBB96_805:
	s_andn2_saveexec_b32 s7, s7
	s_cbranch_execz .LBB96_807
; %bb.806:
	v_div_scale_f64 v[213:214], null, v[198:199], v[198:199], v[200:201]
	v_div_scale_f64 v[219:220], vcc_lo, v[200:201], v[198:199], v[200:201]
	v_rcp_f64_e32 v[215:216], v[213:214]
	v_fma_f64 v[217:218], -v[213:214], v[215:216], 1.0
	v_fma_f64 v[215:216], v[215:216], v[217:218], v[215:216]
	v_fma_f64 v[217:218], -v[213:214], v[215:216], 1.0
	v_fma_f64 v[215:216], v[215:216], v[217:218], v[215:216]
	v_mul_f64 v[217:218], v[219:220], v[215:216]
	v_fma_f64 v[213:214], -v[213:214], v[217:218], v[219:220]
	v_div_fmas_f64 v[213:214], v[213:214], v[215:216], v[217:218]
	v_div_fixup_f64 v[213:214], v[213:214], v[198:199], v[200:201]
	v_fma_f64 v[198:199], v[200:201], v[213:214], v[198:199]
	v_div_scale_f64 v[200:201], null, v[198:199], v[198:199], 1.0
	v_rcp_f64_e32 v[215:216], v[200:201]
	v_fma_f64 v[217:218], -v[200:201], v[215:216], 1.0
	v_fma_f64 v[215:216], v[215:216], v[217:218], v[215:216]
	v_fma_f64 v[217:218], -v[200:201], v[215:216], 1.0
	v_fma_f64 v[215:216], v[215:216], v[217:218], v[215:216]
	v_div_scale_f64 v[217:218], vcc_lo, 1.0, v[198:199], 1.0
	v_mul_f64 v[219:220], v[217:218], v[215:216]
	v_fma_f64 v[200:201], -v[200:201], v[219:220], v[217:218]
	v_div_fmas_f64 v[200:201], v[200:201], v[215:216], v[219:220]
	v_div_fixup_f64 v[198:199], v[200:201], v[198:199], 1.0
	v_mul_f64 v[200:201], v[213:214], -v[198:199]
.LBB96_807:
	s_or_b32 exec_lo, exec_lo, s7
.LBB96_808:
	s_or_b32 exec_lo, exec_lo, s0
	s_mov_b32 s0, exec_lo
	v_cmpx_ne_u32_e64 v212, v206
	s_xor_b32 s0, exec_lo, s0
	s_cbranch_execz .LBB96_814
; %bb.809:
	s_mov_b32 s7, exec_lo
	v_cmpx_eq_u32_e32 38, v212
	s_cbranch_execz .LBB96_813
; %bb.810:
	v_cmp_ne_u32_e32 vcc_lo, 38, v206
	s_xor_b32 s8, s16, -1
	s_and_b32 s9, s8, vcc_lo
	s_and_saveexec_b32 s8, s9
	s_cbranch_execz .LBB96_812
; %bb.811:
	v_ashrrev_i32_e32 v207, 31, v206
	v_lshlrev_b64 v[212:213], 2, v[206:207]
	v_add_co_u32 v212, vcc_lo, v204, v212
	v_add_co_ci_u32_e64 v213, null, v205, v213, vcc_lo
	s_clause 0x1
	global_load_dword v0, v[212:213], off
	global_load_dword v207, v[204:205], off offset:152
	s_waitcnt vmcnt(1)
	global_store_dword v[204:205], v0, off offset:152
	s_waitcnt vmcnt(0)
	global_store_dword v[212:213], v207, off
.LBB96_812:
	s_or_b32 exec_lo, exec_lo, s8
	v_mov_b32_e32 v212, v206
	v_mov_b32_e32 v0, v206
.LBB96_813:
	s_or_b32 exec_lo, exec_lo, s7
.LBB96_814:
	s_andn2_saveexec_b32 s0, s0
	s_cbranch_execz .LBB96_816
; %bb.815:
	v_mov_b32_e32 v212, 38
	ds_write2_b64 v1, v[38:39], v[40:41] offset0:78 offset1:79
	ds_write2_b64 v1, v[34:35], v[36:37] offset0:80 offset1:81
	ds_write2_b64 v1, v[30:31], v[32:33] offset0:82 offset1:83
	ds_write2_b64 v1, v[26:27], v[28:29] offset0:84 offset1:85
	ds_write2_b64 v1, v[22:23], v[24:25] offset0:86 offset1:87
	ds_write2_b64 v1, v[18:19], v[20:21] offset0:88 offset1:89
	ds_write2_b64 v1, v[14:15], v[16:17] offset0:90 offset1:91
	ds_write2_b64 v1, v[10:11], v[12:13] offset0:92 offset1:93
	ds_write2_b64 v1, v[6:7], v[8:9] offset0:94 offset1:95
	ds_write2_b64 v1, v[2:3], v[4:5] offset0:96 offset1:97
.LBB96_816:
	s_or_b32 exec_lo, exec_lo, s0
	s_mov_b32 s0, exec_lo
	s_waitcnt lgkmcnt(0)
	s_waitcnt_vscnt null, 0x0
	s_barrier
	buffer_gl0_inv
	v_cmpx_lt_i32_e32 38, v212
	s_cbranch_execz .LBB96_818
; %bb.817:
	v_mul_f64 v[206:207], v[198:199], v[44:45]
	v_mul_f64 v[44:45], v[200:201], v[44:45]
	v_fma_f64 v[206:207], v[200:201], v[42:43], v[206:207]
	v_fma_f64 v[42:43], v[198:199], v[42:43], -v[44:45]
	ds_read2_b64 v[198:201], v1 offset0:78 offset1:79
	s_waitcnt lgkmcnt(0)
	v_mul_f64 v[44:45], v[200:201], v[206:207]
	v_fma_f64 v[44:45], v[198:199], v[42:43], -v[44:45]
	v_mul_f64 v[198:199], v[198:199], v[206:207]
	v_add_f64 v[38:39], v[38:39], -v[44:45]
	v_fma_f64 v[198:199], v[200:201], v[42:43], v[198:199]
	v_add_f64 v[40:41], v[40:41], -v[198:199]
	ds_read2_b64 v[198:201], v1 offset0:80 offset1:81
	s_waitcnt lgkmcnt(0)
	v_mul_f64 v[44:45], v[200:201], v[206:207]
	v_fma_f64 v[44:45], v[198:199], v[42:43], -v[44:45]
	v_mul_f64 v[198:199], v[198:199], v[206:207]
	v_add_f64 v[34:35], v[34:35], -v[44:45]
	v_fma_f64 v[198:199], v[200:201], v[42:43], v[198:199]
	v_add_f64 v[36:37], v[36:37], -v[198:199]
	;; [unrolled: 8-line block ×9, first 2 shown]
	ds_read2_b64 v[198:201], v1 offset0:96 offset1:97
	s_waitcnt lgkmcnt(0)
	v_mul_f64 v[44:45], v[200:201], v[206:207]
	v_fma_f64 v[44:45], v[198:199], v[42:43], -v[44:45]
	v_mul_f64 v[198:199], v[198:199], v[206:207]
	v_add_f64 v[2:3], v[2:3], -v[44:45]
	v_fma_f64 v[198:199], v[200:201], v[42:43], v[198:199]
	v_mov_b32_e32 v44, v206
	v_mov_b32_e32 v45, v207
	v_add_f64 v[4:5], v[4:5], -v[198:199]
.LBB96_818:
	s_or_b32 exec_lo, exec_lo, s0
	v_lshl_add_u32 v198, v212, 4, v1
	s_barrier
	buffer_gl0_inv
	v_mov_b32_e32 v206, 39
	ds_write2_b64 v198, v[38:39], v[40:41] offset1:1
	s_waitcnt lgkmcnt(0)
	s_barrier
	buffer_gl0_inv
	ds_read2_b64 v[198:201], v1 offset0:78 offset1:79
	s_cmp_lt_i32 s1, 41
	s_cbranch_scc1 .LBB96_821
; %bb.819:
	v_add3_u32 v207, v208, 0, 0x280
	v_mov_b32_e32 v206, 39
	s_mov_b32 s7, 40
	s_inst_prefetch 0x1
	.p2align	6
.LBB96_820:                             ; =>This Inner Loop Header: Depth=1
	s_waitcnt lgkmcnt(0)
	v_cmp_gt_f64_e32 vcc_lo, 0, v[200:201]
	v_cmp_gt_f64_e64 s0, 0, v[198:199]
	ds_read2_b64 v[213:216], v207 offset1:1
	v_xor_b32_e32 v218, 0x80000000, v199
	v_xor_b32_e32 v220, 0x80000000, v201
	v_mov_b32_e32 v217, v198
	v_mov_b32_e32 v219, v200
	v_add_nc_u32_e32 v207, 16, v207
	s_waitcnt lgkmcnt(0)
	v_xor_b32_e32 v222, 0x80000000, v216
	v_cndmask_b32_e64 v218, v199, v218, s0
	v_cndmask_b32_e32 v220, v201, v220, vcc_lo
	v_cmp_gt_f64_e32 vcc_lo, 0, v[215:216]
	v_cmp_gt_f64_e64 s0, 0, v[213:214]
	v_mov_b32_e32 v221, v215
	v_add_f64 v[217:218], v[217:218], v[219:220]
	v_xor_b32_e32 v220, 0x80000000, v214
	v_mov_b32_e32 v219, v213
	v_cndmask_b32_e32 v222, v216, v222, vcc_lo
	v_cndmask_b32_e64 v220, v214, v220, s0
	v_add_f64 v[219:220], v[219:220], v[221:222]
	v_cmp_lt_f64_e32 vcc_lo, v[217:218], v[219:220]
	v_cndmask_b32_e32 v199, v199, v214, vcc_lo
	v_cndmask_b32_e32 v198, v198, v213, vcc_lo
	;; [unrolled: 1-line block ×4, first 2 shown]
	v_cndmask_b32_e64 v206, v206, s7, vcc_lo
	s_add_i32 s7, s7, 1
	s_cmp_lg_u32 s1, s7
	s_cbranch_scc1 .LBB96_820
.LBB96_821:
	s_inst_prefetch 0x2
	s_waitcnt lgkmcnt(0)
	v_cmp_eq_f64_e32 vcc_lo, 0, v[198:199]
	v_cmp_eq_f64_e64 s0, 0, v[200:201]
	s_and_b32 s0, vcc_lo, s0
	s_and_saveexec_b32 s7, s0
	s_xor_b32 s0, exec_lo, s7
; %bb.822:
	v_cmp_ne_u32_e32 vcc_lo, 0, v211
	v_cndmask_b32_e32 v211, 40, v211, vcc_lo
; %bb.823:
	s_andn2_saveexec_b32 s0, s0
	s_cbranch_execz .LBB96_829
; %bb.824:
	v_cmp_ngt_f64_e64 s7, |v[198:199]|, |v[200:201]|
	s_and_saveexec_b32 s8, s7
	s_xor_b32 s7, exec_lo, s8
	s_cbranch_execz .LBB96_826
; %bb.825:
	v_div_scale_f64 v[213:214], null, v[200:201], v[200:201], v[198:199]
	v_div_scale_f64 v[219:220], vcc_lo, v[198:199], v[200:201], v[198:199]
	v_rcp_f64_e32 v[215:216], v[213:214]
	v_fma_f64 v[217:218], -v[213:214], v[215:216], 1.0
	v_fma_f64 v[215:216], v[215:216], v[217:218], v[215:216]
	v_fma_f64 v[217:218], -v[213:214], v[215:216], 1.0
	v_fma_f64 v[215:216], v[215:216], v[217:218], v[215:216]
	v_mul_f64 v[217:218], v[219:220], v[215:216]
	v_fma_f64 v[213:214], -v[213:214], v[217:218], v[219:220]
	v_div_fmas_f64 v[213:214], v[213:214], v[215:216], v[217:218]
	v_div_fixup_f64 v[213:214], v[213:214], v[200:201], v[198:199]
	v_fma_f64 v[198:199], v[198:199], v[213:214], v[200:201]
	v_div_scale_f64 v[200:201], null, v[198:199], v[198:199], 1.0
	v_rcp_f64_e32 v[215:216], v[200:201]
	v_fma_f64 v[217:218], -v[200:201], v[215:216], 1.0
	v_fma_f64 v[215:216], v[215:216], v[217:218], v[215:216]
	v_fma_f64 v[217:218], -v[200:201], v[215:216], 1.0
	v_fma_f64 v[215:216], v[215:216], v[217:218], v[215:216]
	v_div_scale_f64 v[217:218], vcc_lo, 1.0, v[198:199], 1.0
	v_mul_f64 v[219:220], v[217:218], v[215:216]
	v_fma_f64 v[200:201], -v[200:201], v[219:220], v[217:218]
	v_div_fmas_f64 v[200:201], v[200:201], v[215:216], v[219:220]
	v_div_fixup_f64 v[200:201], v[200:201], v[198:199], 1.0
	v_mul_f64 v[198:199], v[213:214], v[200:201]
	v_xor_b32_e32 v201, 0x80000000, v201
.LBB96_826:
	s_andn2_saveexec_b32 s7, s7
	s_cbranch_execz .LBB96_828
; %bb.827:
	v_div_scale_f64 v[213:214], null, v[198:199], v[198:199], v[200:201]
	v_div_scale_f64 v[219:220], vcc_lo, v[200:201], v[198:199], v[200:201]
	v_rcp_f64_e32 v[215:216], v[213:214]
	v_fma_f64 v[217:218], -v[213:214], v[215:216], 1.0
	v_fma_f64 v[215:216], v[215:216], v[217:218], v[215:216]
	v_fma_f64 v[217:218], -v[213:214], v[215:216], 1.0
	v_fma_f64 v[215:216], v[215:216], v[217:218], v[215:216]
	v_mul_f64 v[217:218], v[219:220], v[215:216]
	v_fma_f64 v[213:214], -v[213:214], v[217:218], v[219:220]
	v_div_fmas_f64 v[213:214], v[213:214], v[215:216], v[217:218]
	v_div_fixup_f64 v[213:214], v[213:214], v[198:199], v[200:201]
	v_fma_f64 v[198:199], v[200:201], v[213:214], v[198:199]
	v_div_scale_f64 v[200:201], null, v[198:199], v[198:199], 1.0
	v_rcp_f64_e32 v[215:216], v[200:201]
	v_fma_f64 v[217:218], -v[200:201], v[215:216], 1.0
	v_fma_f64 v[215:216], v[215:216], v[217:218], v[215:216]
	v_fma_f64 v[217:218], -v[200:201], v[215:216], 1.0
	v_fma_f64 v[215:216], v[215:216], v[217:218], v[215:216]
	v_div_scale_f64 v[217:218], vcc_lo, 1.0, v[198:199], 1.0
	v_mul_f64 v[219:220], v[217:218], v[215:216]
	v_fma_f64 v[200:201], -v[200:201], v[219:220], v[217:218]
	v_div_fmas_f64 v[200:201], v[200:201], v[215:216], v[219:220]
	v_div_fixup_f64 v[198:199], v[200:201], v[198:199], 1.0
	v_mul_f64 v[200:201], v[213:214], -v[198:199]
.LBB96_828:
	s_or_b32 exec_lo, exec_lo, s7
.LBB96_829:
	s_or_b32 exec_lo, exec_lo, s0
	s_mov_b32 s0, exec_lo
	v_cmpx_ne_u32_e64 v212, v206
	s_xor_b32 s0, exec_lo, s0
	s_cbranch_execz .LBB96_835
; %bb.830:
	s_mov_b32 s7, exec_lo
	v_cmpx_eq_u32_e32 39, v212
	s_cbranch_execz .LBB96_834
; %bb.831:
	v_cmp_ne_u32_e32 vcc_lo, 39, v206
	s_xor_b32 s8, s16, -1
	s_and_b32 s9, s8, vcc_lo
	s_and_saveexec_b32 s8, s9
	s_cbranch_execz .LBB96_833
; %bb.832:
	v_ashrrev_i32_e32 v207, 31, v206
	v_lshlrev_b64 v[212:213], 2, v[206:207]
	v_add_co_u32 v212, vcc_lo, v204, v212
	v_add_co_ci_u32_e64 v213, null, v205, v213, vcc_lo
	s_clause 0x1
	global_load_dword v0, v[212:213], off
	global_load_dword v207, v[204:205], off offset:156
	s_waitcnt vmcnt(1)
	global_store_dword v[204:205], v0, off offset:156
	s_waitcnt vmcnt(0)
	global_store_dword v[212:213], v207, off
.LBB96_833:
	s_or_b32 exec_lo, exec_lo, s8
	v_mov_b32_e32 v212, v206
	v_mov_b32_e32 v0, v206
.LBB96_834:
	s_or_b32 exec_lo, exec_lo, s7
.LBB96_835:
	s_andn2_saveexec_b32 s0, s0
	s_cbranch_execz .LBB96_837
; %bb.836:
	v_mov_b32_e32 v212, 39
	ds_write2_b64 v1, v[34:35], v[36:37] offset0:80 offset1:81
	ds_write2_b64 v1, v[30:31], v[32:33] offset0:82 offset1:83
	;; [unrolled: 1-line block ×9, first 2 shown]
.LBB96_837:
	s_or_b32 exec_lo, exec_lo, s0
	s_mov_b32 s0, exec_lo
	s_waitcnt lgkmcnt(0)
	s_waitcnt_vscnt null, 0x0
	s_barrier
	buffer_gl0_inv
	v_cmpx_lt_i32_e32 39, v212
	s_cbranch_execz .LBB96_839
; %bb.838:
	v_mul_f64 v[206:207], v[198:199], v[40:41]
	v_mul_f64 v[40:41], v[200:201], v[40:41]
	v_fma_f64 v[206:207], v[200:201], v[38:39], v[206:207]
	v_fma_f64 v[38:39], v[198:199], v[38:39], -v[40:41]
	ds_read2_b64 v[198:201], v1 offset0:80 offset1:81
	s_waitcnt lgkmcnt(0)
	v_mul_f64 v[40:41], v[200:201], v[206:207]
	v_fma_f64 v[40:41], v[198:199], v[38:39], -v[40:41]
	v_mul_f64 v[198:199], v[198:199], v[206:207]
	v_add_f64 v[34:35], v[34:35], -v[40:41]
	v_fma_f64 v[198:199], v[200:201], v[38:39], v[198:199]
	v_add_f64 v[36:37], v[36:37], -v[198:199]
	ds_read2_b64 v[198:201], v1 offset0:82 offset1:83
	s_waitcnt lgkmcnt(0)
	v_mul_f64 v[40:41], v[200:201], v[206:207]
	v_fma_f64 v[40:41], v[198:199], v[38:39], -v[40:41]
	v_mul_f64 v[198:199], v[198:199], v[206:207]
	v_add_f64 v[30:31], v[30:31], -v[40:41]
	v_fma_f64 v[198:199], v[200:201], v[38:39], v[198:199]
	v_add_f64 v[32:33], v[32:33], -v[198:199]
	;; [unrolled: 8-line block ×8, first 2 shown]
	ds_read2_b64 v[198:201], v1 offset0:96 offset1:97
	s_waitcnt lgkmcnt(0)
	v_mul_f64 v[40:41], v[200:201], v[206:207]
	v_fma_f64 v[40:41], v[198:199], v[38:39], -v[40:41]
	v_mul_f64 v[198:199], v[198:199], v[206:207]
	v_add_f64 v[2:3], v[2:3], -v[40:41]
	v_fma_f64 v[198:199], v[200:201], v[38:39], v[198:199]
	v_mov_b32_e32 v40, v206
	v_mov_b32_e32 v41, v207
	v_add_f64 v[4:5], v[4:5], -v[198:199]
.LBB96_839:
	s_or_b32 exec_lo, exec_lo, s0
	v_lshl_add_u32 v198, v212, 4, v1
	s_barrier
	buffer_gl0_inv
	v_mov_b32_e32 v206, 40
	ds_write2_b64 v198, v[34:35], v[36:37] offset1:1
	s_waitcnt lgkmcnt(0)
	s_barrier
	buffer_gl0_inv
	ds_read2_b64 v[198:201], v1 offset0:80 offset1:81
	s_cmp_lt_i32 s1, 42
	s_cbranch_scc1 .LBB96_842
; %bb.840:
	v_add3_u32 v207, v208, 0, 0x290
	v_mov_b32_e32 v206, 40
	s_mov_b32 s7, 41
	s_inst_prefetch 0x1
	.p2align	6
.LBB96_841:                             ; =>This Inner Loop Header: Depth=1
	s_waitcnt lgkmcnt(0)
	v_cmp_gt_f64_e32 vcc_lo, 0, v[200:201]
	v_cmp_gt_f64_e64 s0, 0, v[198:199]
	ds_read2_b64 v[213:216], v207 offset1:1
	v_xor_b32_e32 v218, 0x80000000, v199
	v_xor_b32_e32 v220, 0x80000000, v201
	v_mov_b32_e32 v217, v198
	v_mov_b32_e32 v219, v200
	v_add_nc_u32_e32 v207, 16, v207
	s_waitcnt lgkmcnt(0)
	v_xor_b32_e32 v222, 0x80000000, v216
	v_cndmask_b32_e64 v218, v199, v218, s0
	v_cndmask_b32_e32 v220, v201, v220, vcc_lo
	v_cmp_gt_f64_e32 vcc_lo, 0, v[215:216]
	v_cmp_gt_f64_e64 s0, 0, v[213:214]
	v_mov_b32_e32 v221, v215
	v_add_f64 v[217:218], v[217:218], v[219:220]
	v_xor_b32_e32 v220, 0x80000000, v214
	v_mov_b32_e32 v219, v213
	v_cndmask_b32_e32 v222, v216, v222, vcc_lo
	v_cndmask_b32_e64 v220, v214, v220, s0
	v_add_f64 v[219:220], v[219:220], v[221:222]
	v_cmp_lt_f64_e32 vcc_lo, v[217:218], v[219:220]
	v_cndmask_b32_e32 v199, v199, v214, vcc_lo
	v_cndmask_b32_e32 v198, v198, v213, vcc_lo
	;; [unrolled: 1-line block ×4, first 2 shown]
	v_cndmask_b32_e64 v206, v206, s7, vcc_lo
	s_add_i32 s7, s7, 1
	s_cmp_lg_u32 s1, s7
	s_cbranch_scc1 .LBB96_841
.LBB96_842:
	s_inst_prefetch 0x2
	s_waitcnt lgkmcnt(0)
	v_cmp_eq_f64_e32 vcc_lo, 0, v[198:199]
	v_cmp_eq_f64_e64 s0, 0, v[200:201]
	s_and_b32 s0, vcc_lo, s0
	s_and_saveexec_b32 s7, s0
	s_xor_b32 s0, exec_lo, s7
; %bb.843:
	v_cmp_ne_u32_e32 vcc_lo, 0, v211
	v_cndmask_b32_e32 v211, 41, v211, vcc_lo
; %bb.844:
	s_andn2_saveexec_b32 s0, s0
	s_cbranch_execz .LBB96_850
; %bb.845:
	v_cmp_ngt_f64_e64 s7, |v[198:199]|, |v[200:201]|
	s_and_saveexec_b32 s8, s7
	s_xor_b32 s7, exec_lo, s8
	s_cbranch_execz .LBB96_847
; %bb.846:
	v_div_scale_f64 v[213:214], null, v[200:201], v[200:201], v[198:199]
	v_div_scale_f64 v[219:220], vcc_lo, v[198:199], v[200:201], v[198:199]
	v_rcp_f64_e32 v[215:216], v[213:214]
	v_fma_f64 v[217:218], -v[213:214], v[215:216], 1.0
	v_fma_f64 v[215:216], v[215:216], v[217:218], v[215:216]
	v_fma_f64 v[217:218], -v[213:214], v[215:216], 1.0
	v_fma_f64 v[215:216], v[215:216], v[217:218], v[215:216]
	v_mul_f64 v[217:218], v[219:220], v[215:216]
	v_fma_f64 v[213:214], -v[213:214], v[217:218], v[219:220]
	v_div_fmas_f64 v[213:214], v[213:214], v[215:216], v[217:218]
	v_div_fixup_f64 v[213:214], v[213:214], v[200:201], v[198:199]
	v_fma_f64 v[198:199], v[198:199], v[213:214], v[200:201]
	v_div_scale_f64 v[200:201], null, v[198:199], v[198:199], 1.0
	v_rcp_f64_e32 v[215:216], v[200:201]
	v_fma_f64 v[217:218], -v[200:201], v[215:216], 1.0
	v_fma_f64 v[215:216], v[215:216], v[217:218], v[215:216]
	v_fma_f64 v[217:218], -v[200:201], v[215:216], 1.0
	v_fma_f64 v[215:216], v[215:216], v[217:218], v[215:216]
	v_div_scale_f64 v[217:218], vcc_lo, 1.0, v[198:199], 1.0
	v_mul_f64 v[219:220], v[217:218], v[215:216]
	v_fma_f64 v[200:201], -v[200:201], v[219:220], v[217:218]
	v_div_fmas_f64 v[200:201], v[200:201], v[215:216], v[219:220]
	v_div_fixup_f64 v[200:201], v[200:201], v[198:199], 1.0
	v_mul_f64 v[198:199], v[213:214], v[200:201]
	v_xor_b32_e32 v201, 0x80000000, v201
.LBB96_847:
	s_andn2_saveexec_b32 s7, s7
	s_cbranch_execz .LBB96_849
; %bb.848:
	v_div_scale_f64 v[213:214], null, v[198:199], v[198:199], v[200:201]
	v_div_scale_f64 v[219:220], vcc_lo, v[200:201], v[198:199], v[200:201]
	v_rcp_f64_e32 v[215:216], v[213:214]
	v_fma_f64 v[217:218], -v[213:214], v[215:216], 1.0
	v_fma_f64 v[215:216], v[215:216], v[217:218], v[215:216]
	v_fma_f64 v[217:218], -v[213:214], v[215:216], 1.0
	v_fma_f64 v[215:216], v[215:216], v[217:218], v[215:216]
	v_mul_f64 v[217:218], v[219:220], v[215:216]
	v_fma_f64 v[213:214], -v[213:214], v[217:218], v[219:220]
	v_div_fmas_f64 v[213:214], v[213:214], v[215:216], v[217:218]
	v_div_fixup_f64 v[213:214], v[213:214], v[198:199], v[200:201]
	v_fma_f64 v[198:199], v[200:201], v[213:214], v[198:199]
	v_div_scale_f64 v[200:201], null, v[198:199], v[198:199], 1.0
	v_rcp_f64_e32 v[215:216], v[200:201]
	v_fma_f64 v[217:218], -v[200:201], v[215:216], 1.0
	v_fma_f64 v[215:216], v[215:216], v[217:218], v[215:216]
	v_fma_f64 v[217:218], -v[200:201], v[215:216], 1.0
	v_fma_f64 v[215:216], v[215:216], v[217:218], v[215:216]
	v_div_scale_f64 v[217:218], vcc_lo, 1.0, v[198:199], 1.0
	v_mul_f64 v[219:220], v[217:218], v[215:216]
	v_fma_f64 v[200:201], -v[200:201], v[219:220], v[217:218]
	v_div_fmas_f64 v[200:201], v[200:201], v[215:216], v[219:220]
	v_div_fixup_f64 v[198:199], v[200:201], v[198:199], 1.0
	v_mul_f64 v[200:201], v[213:214], -v[198:199]
.LBB96_849:
	s_or_b32 exec_lo, exec_lo, s7
.LBB96_850:
	s_or_b32 exec_lo, exec_lo, s0
	s_mov_b32 s0, exec_lo
	v_cmpx_ne_u32_e64 v212, v206
	s_xor_b32 s0, exec_lo, s0
	s_cbranch_execz .LBB96_856
; %bb.851:
	s_mov_b32 s7, exec_lo
	v_cmpx_eq_u32_e32 40, v212
	s_cbranch_execz .LBB96_855
; %bb.852:
	v_cmp_ne_u32_e32 vcc_lo, 40, v206
	s_xor_b32 s8, s16, -1
	s_and_b32 s9, s8, vcc_lo
	s_and_saveexec_b32 s8, s9
	s_cbranch_execz .LBB96_854
; %bb.853:
	v_ashrrev_i32_e32 v207, 31, v206
	v_lshlrev_b64 v[212:213], 2, v[206:207]
	v_add_co_u32 v212, vcc_lo, v204, v212
	v_add_co_ci_u32_e64 v213, null, v205, v213, vcc_lo
	s_clause 0x1
	global_load_dword v0, v[212:213], off
	global_load_dword v207, v[204:205], off offset:160
	s_waitcnt vmcnt(1)
	global_store_dword v[204:205], v0, off offset:160
	s_waitcnt vmcnt(0)
	global_store_dword v[212:213], v207, off
.LBB96_854:
	s_or_b32 exec_lo, exec_lo, s8
	v_mov_b32_e32 v212, v206
	v_mov_b32_e32 v0, v206
.LBB96_855:
	s_or_b32 exec_lo, exec_lo, s7
.LBB96_856:
	s_andn2_saveexec_b32 s0, s0
	s_cbranch_execz .LBB96_858
; %bb.857:
	v_mov_b32_e32 v212, 40
	ds_write2_b64 v1, v[30:31], v[32:33] offset0:82 offset1:83
	ds_write2_b64 v1, v[26:27], v[28:29] offset0:84 offset1:85
	;; [unrolled: 1-line block ×8, first 2 shown]
.LBB96_858:
	s_or_b32 exec_lo, exec_lo, s0
	s_mov_b32 s0, exec_lo
	s_waitcnt lgkmcnt(0)
	s_waitcnt_vscnt null, 0x0
	s_barrier
	buffer_gl0_inv
	v_cmpx_lt_i32_e32 40, v212
	s_cbranch_execz .LBB96_860
; %bb.859:
	v_mul_f64 v[206:207], v[198:199], v[36:37]
	v_mul_f64 v[36:37], v[200:201], v[36:37]
	v_fma_f64 v[206:207], v[200:201], v[34:35], v[206:207]
	v_fma_f64 v[34:35], v[198:199], v[34:35], -v[36:37]
	ds_read2_b64 v[198:201], v1 offset0:82 offset1:83
	s_waitcnt lgkmcnt(0)
	v_mul_f64 v[36:37], v[200:201], v[206:207]
	v_fma_f64 v[36:37], v[198:199], v[34:35], -v[36:37]
	v_mul_f64 v[198:199], v[198:199], v[206:207]
	v_add_f64 v[30:31], v[30:31], -v[36:37]
	v_fma_f64 v[198:199], v[200:201], v[34:35], v[198:199]
	v_add_f64 v[32:33], v[32:33], -v[198:199]
	ds_read2_b64 v[198:201], v1 offset0:84 offset1:85
	s_waitcnt lgkmcnt(0)
	v_mul_f64 v[36:37], v[200:201], v[206:207]
	v_fma_f64 v[36:37], v[198:199], v[34:35], -v[36:37]
	v_mul_f64 v[198:199], v[198:199], v[206:207]
	v_add_f64 v[26:27], v[26:27], -v[36:37]
	v_fma_f64 v[198:199], v[200:201], v[34:35], v[198:199]
	v_add_f64 v[28:29], v[28:29], -v[198:199]
	;; [unrolled: 8-line block ×7, first 2 shown]
	ds_read2_b64 v[198:201], v1 offset0:96 offset1:97
	s_waitcnt lgkmcnt(0)
	v_mul_f64 v[36:37], v[200:201], v[206:207]
	v_fma_f64 v[36:37], v[198:199], v[34:35], -v[36:37]
	v_mul_f64 v[198:199], v[198:199], v[206:207]
	v_add_f64 v[2:3], v[2:3], -v[36:37]
	v_fma_f64 v[198:199], v[200:201], v[34:35], v[198:199]
	v_mov_b32_e32 v36, v206
	v_mov_b32_e32 v37, v207
	v_add_f64 v[4:5], v[4:5], -v[198:199]
.LBB96_860:
	s_or_b32 exec_lo, exec_lo, s0
	v_lshl_add_u32 v198, v212, 4, v1
	s_barrier
	buffer_gl0_inv
	v_mov_b32_e32 v206, 41
	ds_write2_b64 v198, v[30:31], v[32:33] offset1:1
	s_waitcnt lgkmcnt(0)
	s_barrier
	buffer_gl0_inv
	ds_read2_b64 v[198:201], v1 offset0:82 offset1:83
	s_cmp_lt_i32 s1, 43
	s_cbranch_scc1 .LBB96_863
; %bb.861:
	v_add3_u32 v207, v208, 0, 0x2a0
	v_mov_b32_e32 v206, 41
	s_mov_b32 s7, 42
	s_inst_prefetch 0x1
	.p2align	6
.LBB96_862:                             ; =>This Inner Loop Header: Depth=1
	s_waitcnt lgkmcnt(0)
	v_cmp_gt_f64_e32 vcc_lo, 0, v[200:201]
	v_cmp_gt_f64_e64 s0, 0, v[198:199]
	ds_read2_b64 v[213:216], v207 offset1:1
	v_xor_b32_e32 v218, 0x80000000, v199
	v_xor_b32_e32 v220, 0x80000000, v201
	v_mov_b32_e32 v217, v198
	v_mov_b32_e32 v219, v200
	v_add_nc_u32_e32 v207, 16, v207
	s_waitcnt lgkmcnt(0)
	v_xor_b32_e32 v222, 0x80000000, v216
	v_cndmask_b32_e64 v218, v199, v218, s0
	v_cndmask_b32_e32 v220, v201, v220, vcc_lo
	v_cmp_gt_f64_e32 vcc_lo, 0, v[215:216]
	v_cmp_gt_f64_e64 s0, 0, v[213:214]
	v_mov_b32_e32 v221, v215
	v_add_f64 v[217:218], v[217:218], v[219:220]
	v_xor_b32_e32 v220, 0x80000000, v214
	v_mov_b32_e32 v219, v213
	v_cndmask_b32_e32 v222, v216, v222, vcc_lo
	v_cndmask_b32_e64 v220, v214, v220, s0
	v_add_f64 v[219:220], v[219:220], v[221:222]
	v_cmp_lt_f64_e32 vcc_lo, v[217:218], v[219:220]
	v_cndmask_b32_e32 v199, v199, v214, vcc_lo
	v_cndmask_b32_e32 v198, v198, v213, vcc_lo
	;; [unrolled: 1-line block ×4, first 2 shown]
	v_cndmask_b32_e64 v206, v206, s7, vcc_lo
	s_add_i32 s7, s7, 1
	s_cmp_lg_u32 s1, s7
	s_cbranch_scc1 .LBB96_862
.LBB96_863:
	s_inst_prefetch 0x2
	s_waitcnt lgkmcnt(0)
	v_cmp_eq_f64_e32 vcc_lo, 0, v[198:199]
	v_cmp_eq_f64_e64 s0, 0, v[200:201]
	s_and_b32 s0, vcc_lo, s0
	s_and_saveexec_b32 s7, s0
	s_xor_b32 s0, exec_lo, s7
; %bb.864:
	v_cmp_ne_u32_e32 vcc_lo, 0, v211
	v_cndmask_b32_e32 v211, 42, v211, vcc_lo
; %bb.865:
	s_andn2_saveexec_b32 s0, s0
	s_cbranch_execz .LBB96_871
; %bb.866:
	v_cmp_ngt_f64_e64 s7, |v[198:199]|, |v[200:201]|
	s_and_saveexec_b32 s8, s7
	s_xor_b32 s7, exec_lo, s8
	s_cbranch_execz .LBB96_868
; %bb.867:
	v_div_scale_f64 v[213:214], null, v[200:201], v[200:201], v[198:199]
	v_div_scale_f64 v[219:220], vcc_lo, v[198:199], v[200:201], v[198:199]
	v_rcp_f64_e32 v[215:216], v[213:214]
	v_fma_f64 v[217:218], -v[213:214], v[215:216], 1.0
	v_fma_f64 v[215:216], v[215:216], v[217:218], v[215:216]
	v_fma_f64 v[217:218], -v[213:214], v[215:216], 1.0
	v_fma_f64 v[215:216], v[215:216], v[217:218], v[215:216]
	v_mul_f64 v[217:218], v[219:220], v[215:216]
	v_fma_f64 v[213:214], -v[213:214], v[217:218], v[219:220]
	v_div_fmas_f64 v[213:214], v[213:214], v[215:216], v[217:218]
	v_div_fixup_f64 v[213:214], v[213:214], v[200:201], v[198:199]
	v_fma_f64 v[198:199], v[198:199], v[213:214], v[200:201]
	v_div_scale_f64 v[200:201], null, v[198:199], v[198:199], 1.0
	v_rcp_f64_e32 v[215:216], v[200:201]
	v_fma_f64 v[217:218], -v[200:201], v[215:216], 1.0
	v_fma_f64 v[215:216], v[215:216], v[217:218], v[215:216]
	v_fma_f64 v[217:218], -v[200:201], v[215:216], 1.0
	v_fma_f64 v[215:216], v[215:216], v[217:218], v[215:216]
	v_div_scale_f64 v[217:218], vcc_lo, 1.0, v[198:199], 1.0
	v_mul_f64 v[219:220], v[217:218], v[215:216]
	v_fma_f64 v[200:201], -v[200:201], v[219:220], v[217:218]
	v_div_fmas_f64 v[200:201], v[200:201], v[215:216], v[219:220]
	v_div_fixup_f64 v[200:201], v[200:201], v[198:199], 1.0
	v_mul_f64 v[198:199], v[213:214], v[200:201]
	v_xor_b32_e32 v201, 0x80000000, v201
.LBB96_868:
	s_andn2_saveexec_b32 s7, s7
	s_cbranch_execz .LBB96_870
; %bb.869:
	v_div_scale_f64 v[213:214], null, v[198:199], v[198:199], v[200:201]
	v_div_scale_f64 v[219:220], vcc_lo, v[200:201], v[198:199], v[200:201]
	v_rcp_f64_e32 v[215:216], v[213:214]
	v_fma_f64 v[217:218], -v[213:214], v[215:216], 1.0
	v_fma_f64 v[215:216], v[215:216], v[217:218], v[215:216]
	v_fma_f64 v[217:218], -v[213:214], v[215:216], 1.0
	v_fma_f64 v[215:216], v[215:216], v[217:218], v[215:216]
	v_mul_f64 v[217:218], v[219:220], v[215:216]
	v_fma_f64 v[213:214], -v[213:214], v[217:218], v[219:220]
	v_div_fmas_f64 v[213:214], v[213:214], v[215:216], v[217:218]
	v_div_fixup_f64 v[213:214], v[213:214], v[198:199], v[200:201]
	v_fma_f64 v[198:199], v[200:201], v[213:214], v[198:199]
	v_div_scale_f64 v[200:201], null, v[198:199], v[198:199], 1.0
	v_rcp_f64_e32 v[215:216], v[200:201]
	v_fma_f64 v[217:218], -v[200:201], v[215:216], 1.0
	v_fma_f64 v[215:216], v[215:216], v[217:218], v[215:216]
	v_fma_f64 v[217:218], -v[200:201], v[215:216], 1.0
	v_fma_f64 v[215:216], v[215:216], v[217:218], v[215:216]
	v_div_scale_f64 v[217:218], vcc_lo, 1.0, v[198:199], 1.0
	v_mul_f64 v[219:220], v[217:218], v[215:216]
	v_fma_f64 v[200:201], -v[200:201], v[219:220], v[217:218]
	v_div_fmas_f64 v[200:201], v[200:201], v[215:216], v[219:220]
	v_div_fixup_f64 v[198:199], v[200:201], v[198:199], 1.0
	v_mul_f64 v[200:201], v[213:214], -v[198:199]
.LBB96_870:
	s_or_b32 exec_lo, exec_lo, s7
.LBB96_871:
	s_or_b32 exec_lo, exec_lo, s0
	s_mov_b32 s0, exec_lo
	v_cmpx_ne_u32_e64 v212, v206
	s_xor_b32 s0, exec_lo, s0
	s_cbranch_execz .LBB96_877
; %bb.872:
	s_mov_b32 s7, exec_lo
	v_cmpx_eq_u32_e32 41, v212
	s_cbranch_execz .LBB96_876
; %bb.873:
	v_cmp_ne_u32_e32 vcc_lo, 41, v206
	s_xor_b32 s8, s16, -1
	s_and_b32 s9, s8, vcc_lo
	s_and_saveexec_b32 s8, s9
	s_cbranch_execz .LBB96_875
; %bb.874:
	v_ashrrev_i32_e32 v207, 31, v206
	v_lshlrev_b64 v[212:213], 2, v[206:207]
	v_add_co_u32 v212, vcc_lo, v204, v212
	v_add_co_ci_u32_e64 v213, null, v205, v213, vcc_lo
	s_clause 0x1
	global_load_dword v0, v[212:213], off
	global_load_dword v207, v[204:205], off offset:164
	s_waitcnt vmcnt(1)
	global_store_dword v[204:205], v0, off offset:164
	s_waitcnt vmcnt(0)
	global_store_dword v[212:213], v207, off
.LBB96_875:
	s_or_b32 exec_lo, exec_lo, s8
	v_mov_b32_e32 v212, v206
	v_mov_b32_e32 v0, v206
.LBB96_876:
	s_or_b32 exec_lo, exec_lo, s7
.LBB96_877:
	s_andn2_saveexec_b32 s0, s0
	s_cbranch_execz .LBB96_879
; %bb.878:
	v_mov_b32_e32 v212, 41
	ds_write2_b64 v1, v[26:27], v[28:29] offset0:84 offset1:85
	ds_write2_b64 v1, v[22:23], v[24:25] offset0:86 offset1:87
	;; [unrolled: 1-line block ×7, first 2 shown]
.LBB96_879:
	s_or_b32 exec_lo, exec_lo, s0
	s_mov_b32 s0, exec_lo
	s_waitcnt lgkmcnt(0)
	s_waitcnt_vscnt null, 0x0
	s_barrier
	buffer_gl0_inv
	v_cmpx_lt_i32_e32 41, v212
	s_cbranch_execz .LBB96_881
; %bb.880:
	v_mul_f64 v[206:207], v[198:199], v[32:33]
	v_mul_f64 v[32:33], v[200:201], v[32:33]
	v_fma_f64 v[206:207], v[200:201], v[30:31], v[206:207]
	v_fma_f64 v[30:31], v[198:199], v[30:31], -v[32:33]
	ds_read2_b64 v[198:201], v1 offset0:84 offset1:85
	s_waitcnt lgkmcnt(0)
	v_mul_f64 v[32:33], v[200:201], v[206:207]
	v_fma_f64 v[32:33], v[198:199], v[30:31], -v[32:33]
	v_mul_f64 v[198:199], v[198:199], v[206:207]
	v_add_f64 v[26:27], v[26:27], -v[32:33]
	v_fma_f64 v[198:199], v[200:201], v[30:31], v[198:199]
	v_add_f64 v[28:29], v[28:29], -v[198:199]
	ds_read2_b64 v[198:201], v1 offset0:86 offset1:87
	s_waitcnt lgkmcnt(0)
	v_mul_f64 v[32:33], v[200:201], v[206:207]
	v_fma_f64 v[32:33], v[198:199], v[30:31], -v[32:33]
	v_mul_f64 v[198:199], v[198:199], v[206:207]
	v_add_f64 v[22:23], v[22:23], -v[32:33]
	v_fma_f64 v[198:199], v[200:201], v[30:31], v[198:199]
	v_add_f64 v[24:25], v[24:25], -v[198:199]
	;; [unrolled: 8-line block ×6, first 2 shown]
	ds_read2_b64 v[198:201], v1 offset0:96 offset1:97
	s_waitcnt lgkmcnt(0)
	v_mul_f64 v[32:33], v[200:201], v[206:207]
	v_fma_f64 v[32:33], v[198:199], v[30:31], -v[32:33]
	v_mul_f64 v[198:199], v[198:199], v[206:207]
	v_add_f64 v[2:3], v[2:3], -v[32:33]
	v_fma_f64 v[198:199], v[200:201], v[30:31], v[198:199]
	v_mov_b32_e32 v32, v206
	v_mov_b32_e32 v33, v207
	v_add_f64 v[4:5], v[4:5], -v[198:199]
.LBB96_881:
	s_or_b32 exec_lo, exec_lo, s0
	v_lshl_add_u32 v198, v212, 4, v1
	s_barrier
	buffer_gl0_inv
	v_mov_b32_e32 v206, 42
	ds_write2_b64 v198, v[26:27], v[28:29] offset1:1
	s_waitcnt lgkmcnt(0)
	s_barrier
	buffer_gl0_inv
	ds_read2_b64 v[198:201], v1 offset0:84 offset1:85
	s_cmp_lt_i32 s1, 44
	s_cbranch_scc1 .LBB96_884
; %bb.882:
	v_add3_u32 v207, v208, 0, 0x2b0
	v_mov_b32_e32 v206, 42
	s_mov_b32 s7, 43
	s_inst_prefetch 0x1
	.p2align	6
.LBB96_883:                             ; =>This Inner Loop Header: Depth=1
	s_waitcnt lgkmcnt(0)
	v_cmp_gt_f64_e32 vcc_lo, 0, v[200:201]
	v_cmp_gt_f64_e64 s0, 0, v[198:199]
	ds_read2_b64 v[213:216], v207 offset1:1
	v_xor_b32_e32 v218, 0x80000000, v199
	v_xor_b32_e32 v220, 0x80000000, v201
	v_mov_b32_e32 v217, v198
	v_mov_b32_e32 v219, v200
	v_add_nc_u32_e32 v207, 16, v207
	s_waitcnt lgkmcnt(0)
	v_xor_b32_e32 v222, 0x80000000, v216
	v_cndmask_b32_e64 v218, v199, v218, s0
	v_cndmask_b32_e32 v220, v201, v220, vcc_lo
	v_cmp_gt_f64_e32 vcc_lo, 0, v[215:216]
	v_cmp_gt_f64_e64 s0, 0, v[213:214]
	v_mov_b32_e32 v221, v215
	v_add_f64 v[217:218], v[217:218], v[219:220]
	v_xor_b32_e32 v220, 0x80000000, v214
	v_mov_b32_e32 v219, v213
	v_cndmask_b32_e32 v222, v216, v222, vcc_lo
	v_cndmask_b32_e64 v220, v214, v220, s0
	v_add_f64 v[219:220], v[219:220], v[221:222]
	v_cmp_lt_f64_e32 vcc_lo, v[217:218], v[219:220]
	v_cndmask_b32_e32 v199, v199, v214, vcc_lo
	v_cndmask_b32_e32 v198, v198, v213, vcc_lo
	;; [unrolled: 1-line block ×4, first 2 shown]
	v_cndmask_b32_e64 v206, v206, s7, vcc_lo
	s_add_i32 s7, s7, 1
	s_cmp_lg_u32 s1, s7
	s_cbranch_scc1 .LBB96_883
.LBB96_884:
	s_inst_prefetch 0x2
	s_waitcnt lgkmcnt(0)
	v_cmp_eq_f64_e32 vcc_lo, 0, v[198:199]
	v_cmp_eq_f64_e64 s0, 0, v[200:201]
	s_and_b32 s0, vcc_lo, s0
	s_and_saveexec_b32 s7, s0
	s_xor_b32 s0, exec_lo, s7
; %bb.885:
	v_cmp_ne_u32_e32 vcc_lo, 0, v211
	v_cndmask_b32_e32 v211, 43, v211, vcc_lo
; %bb.886:
	s_andn2_saveexec_b32 s0, s0
	s_cbranch_execz .LBB96_892
; %bb.887:
	v_cmp_ngt_f64_e64 s7, |v[198:199]|, |v[200:201]|
	s_and_saveexec_b32 s8, s7
	s_xor_b32 s7, exec_lo, s8
	s_cbranch_execz .LBB96_889
; %bb.888:
	v_div_scale_f64 v[213:214], null, v[200:201], v[200:201], v[198:199]
	v_div_scale_f64 v[219:220], vcc_lo, v[198:199], v[200:201], v[198:199]
	v_rcp_f64_e32 v[215:216], v[213:214]
	v_fma_f64 v[217:218], -v[213:214], v[215:216], 1.0
	v_fma_f64 v[215:216], v[215:216], v[217:218], v[215:216]
	v_fma_f64 v[217:218], -v[213:214], v[215:216], 1.0
	v_fma_f64 v[215:216], v[215:216], v[217:218], v[215:216]
	v_mul_f64 v[217:218], v[219:220], v[215:216]
	v_fma_f64 v[213:214], -v[213:214], v[217:218], v[219:220]
	v_div_fmas_f64 v[213:214], v[213:214], v[215:216], v[217:218]
	v_div_fixup_f64 v[213:214], v[213:214], v[200:201], v[198:199]
	v_fma_f64 v[198:199], v[198:199], v[213:214], v[200:201]
	v_div_scale_f64 v[200:201], null, v[198:199], v[198:199], 1.0
	v_rcp_f64_e32 v[215:216], v[200:201]
	v_fma_f64 v[217:218], -v[200:201], v[215:216], 1.0
	v_fma_f64 v[215:216], v[215:216], v[217:218], v[215:216]
	v_fma_f64 v[217:218], -v[200:201], v[215:216], 1.0
	v_fma_f64 v[215:216], v[215:216], v[217:218], v[215:216]
	v_div_scale_f64 v[217:218], vcc_lo, 1.0, v[198:199], 1.0
	v_mul_f64 v[219:220], v[217:218], v[215:216]
	v_fma_f64 v[200:201], -v[200:201], v[219:220], v[217:218]
	v_div_fmas_f64 v[200:201], v[200:201], v[215:216], v[219:220]
	v_div_fixup_f64 v[200:201], v[200:201], v[198:199], 1.0
	v_mul_f64 v[198:199], v[213:214], v[200:201]
	v_xor_b32_e32 v201, 0x80000000, v201
.LBB96_889:
	s_andn2_saveexec_b32 s7, s7
	s_cbranch_execz .LBB96_891
; %bb.890:
	v_div_scale_f64 v[213:214], null, v[198:199], v[198:199], v[200:201]
	v_div_scale_f64 v[219:220], vcc_lo, v[200:201], v[198:199], v[200:201]
	v_rcp_f64_e32 v[215:216], v[213:214]
	v_fma_f64 v[217:218], -v[213:214], v[215:216], 1.0
	v_fma_f64 v[215:216], v[215:216], v[217:218], v[215:216]
	v_fma_f64 v[217:218], -v[213:214], v[215:216], 1.0
	v_fma_f64 v[215:216], v[215:216], v[217:218], v[215:216]
	v_mul_f64 v[217:218], v[219:220], v[215:216]
	v_fma_f64 v[213:214], -v[213:214], v[217:218], v[219:220]
	v_div_fmas_f64 v[213:214], v[213:214], v[215:216], v[217:218]
	v_div_fixup_f64 v[213:214], v[213:214], v[198:199], v[200:201]
	v_fma_f64 v[198:199], v[200:201], v[213:214], v[198:199]
	v_div_scale_f64 v[200:201], null, v[198:199], v[198:199], 1.0
	v_rcp_f64_e32 v[215:216], v[200:201]
	v_fma_f64 v[217:218], -v[200:201], v[215:216], 1.0
	v_fma_f64 v[215:216], v[215:216], v[217:218], v[215:216]
	v_fma_f64 v[217:218], -v[200:201], v[215:216], 1.0
	v_fma_f64 v[215:216], v[215:216], v[217:218], v[215:216]
	v_div_scale_f64 v[217:218], vcc_lo, 1.0, v[198:199], 1.0
	v_mul_f64 v[219:220], v[217:218], v[215:216]
	v_fma_f64 v[200:201], -v[200:201], v[219:220], v[217:218]
	v_div_fmas_f64 v[200:201], v[200:201], v[215:216], v[219:220]
	v_div_fixup_f64 v[198:199], v[200:201], v[198:199], 1.0
	v_mul_f64 v[200:201], v[213:214], -v[198:199]
.LBB96_891:
	s_or_b32 exec_lo, exec_lo, s7
.LBB96_892:
	s_or_b32 exec_lo, exec_lo, s0
	s_mov_b32 s0, exec_lo
	v_cmpx_ne_u32_e64 v212, v206
	s_xor_b32 s0, exec_lo, s0
	s_cbranch_execz .LBB96_898
; %bb.893:
	s_mov_b32 s7, exec_lo
	v_cmpx_eq_u32_e32 42, v212
	s_cbranch_execz .LBB96_897
; %bb.894:
	v_cmp_ne_u32_e32 vcc_lo, 42, v206
	s_xor_b32 s8, s16, -1
	s_and_b32 s9, s8, vcc_lo
	s_and_saveexec_b32 s8, s9
	s_cbranch_execz .LBB96_896
; %bb.895:
	v_ashrrev_i32_e32 v207, 31, v206
	v_lshlrev_b64 v[212:213], 2, v[206:207]
	v_add_co_u32 v212, vcc_lo, v204, v212
	v_add_co_ci_u32_e64 v213, null, v205, v213, vcc_lo
	s_clause 0x1
	global_load_dword v0, v[212:213], off
	global_load_dword v207, v[204:205], off offset:168
	s_waitcnt vmcnt(1)
	global_store_dword v[204:205], v0, off offset:168
	s_waitcnt vmcnt(0)
	global_store_dword v[212:213], v207, off
.LBB96_896:
	s_or_b32 exec_lo, exec_lo, s8
	v_mov_b32_e32 v212, v206
	v_mov_b32_e32 v0, v206
.LBB96_897:
	s_or_b32 exec_lo, exec_lo, s7
.LBB96_898:
	s_andn2_saveexec_b32 s0, s0
	s_cbranch_execz .LBB96_900
; %bb.899:
	v_mov_b32_e32 v212, 42
	ds_write2_b64 v1, v[22:23], v[24:25] offset0:86 offset1:87
	ds_write2_b64 v1, v[18:19], v[20:21] offset0:88 offset1:89
	;; [unrolled: 1-line block ×6, first 2 shown]
.LBB96_900:
	s_or_b32 exec_lo, exec_lo, s0
	s_mov_b32 s0, exec_lo
	s_waitcnt lgkmcnt(0)
	s_waitcnt_vscnt null, 0x0
	s_barrier
	buffer_gl0_inv
	v_cmpx_lt_i32_e32 42, v212
	s_cbranch_execz .LBB96_902
; %bb.901:
	v_mul_f64 v[206:207], v[198:199], v[28:29]
	v_mul_f64 v[28:29], v[200:201], v[28:29]
	v_fma_f64 v[206:207], v[200:201], v[26:27], v[206:207]
	v_fma_f64 v[26:27], v[198:199], v[26:27], -v[28:29]
	ds_read2_b64 v[198:201], v1 offset0:86 offset1:87
	s_waitcnt lgkmcnt(0)
	v_mul_f64 v[28:29], v[200:201], v[206:207]
	v_fma_f64 v[28:29], v[198:199], v[26:27], -v[28:29]
	v_mul_f64 v[198:199], v[198:199], v[206:207]
	v_add_f64 v[22:23], v[22:23], -v[28:29]
	v_fma_f64 v[198:199], v[200:201], v[26:27], v[198:199]
	v_add_f64 v[24:25], v[24:25], -v[198:199]
	ds_read2_b64 v[198:201], v1 offset0:88 offset1:89
	s_waitcnt lgkmcnt(0)
	v_mul_f64 v[28:29], v[200:201], v[206:207]
	v_fma_f64 v[28:29], v[198:199], v[26:27], -v[28:29]
	v_mul_f64 v[198:199], v[198:199], v[206:207]
	v_add_f64 v[18:19], v[18:19], -v[28:29]
	v_fma_f64 v[198:199], v[200:201], v[26:27], v[198:199]
	v_add_f64 v[20:21], v[20:21], -v[198:199]
	;; [unrolled: 8-line block ×5, first 2 shown]
	ds_read2_b64 v[198:201], v1 offset0:96 offset1:97
	s_waitcnt lgkmcnt(0)
	v_mul_f64 v[28:29], v[200:201], v[206:207]
	v_fma_f64 v[28:29], v[198:199], v[26:27], -v[28:29]
	v_mul_f64 v[198:199], v[198:199], v[206:207]
	v_add_f64 v[2:3], v[2:3], -v[28:29]
	v_fma_f64 v[198:199], v[200:201], v[26:27], v[198:199]
	v_mov_b32_e32 v28, v206
	v_mov_b32_e32 v29, v207
	v_add_f64 v[4:5], v[4:5], -v[198:199]
.LBB96_902:
	s_or_b32 exec_lo, exec_lo, s0
	v_lshl_add_u32 v198, v212, 4, v1
	s_barrier
	buffer_gl0_inv
	v_mov_b32_e32 v206, 43
	ds_write2_b64 v198, v[22:23], v[24:25] offset1:1
	s_waitcnt lgkmcnt(0)
	s_barrier
	buffer_gl0_inv
	ds_read2_b64 v[198:201], v1 offset0:86 offset1:87
	s_cmp_lt_i32 s1, 45
	s_cbranch_scc1 .LBB96_905
; %bb.903:
	v_add3_u32 v207, v208, 0, 0x2c0
	v_mov_b32_e32 v206, 43
	s_mov_b32 s7, 44
	s_inst_prefetch 0x1
	.p2align	6
.LBB96_904:                             ; =>This Inner Loop Header: Depth=1
	s_waitcnt lgkmcnt(0)
	v_cmp_gt_f64_e32 vcc_lo, 0, v[200:201]
	v_cmp_gt_f64_e64 s0, 0, v[198:199]
	ds_read2_b64 v[213:216], v207 offset1:1
	v_xor_b32_e32 v218, 0x80000000, v199
	v_xor_b32_e32 v220, 0x80000000, v201
	v_mov_b32_e32 v217, v198
	v_mov_b32_e32 v219, v200
	v_add_nc_u32_e32 v207, 16, v207
	s_waitcnt lgkmcnt(0)
	v_xor_b32_e32 v222, 0x80000000, v216
	v_cndmask_b32_e64 v218, v199, v218, s0
	v_cndmask_b32_e32 v220, v201, v220, vcc_lo
	v_cmp_gt_f64_e32 vcc_lo, 0, v[215:216]
	v_cmp_gt_f64_e64 s0, 0, v[213:214]
	v_mov_b32_e32 v221, v215
	v_add_f64 v[217:218], v[217:218], v[219:220]
	v_xor_b32_e32 v220, 0x80000000, v214
	v_mov_b32_e32 v219, v213
	v_cndmask_b32_e32 v222, v216, v222, vcc_lo
	v_cndmask_b32_e64 v220, v214, v220, s0
	v_add_f64 v[219:220], v[219:220], v[221:222]
	v_cmp_lt_f64_e32 vcc_lo, v[217:218], v[219:220]
	v_cndmask_b32_e32 v199, v199, v214, vcc_lo
	v_cndmask_b32_e32 v198, v198, v213, vcc_lo
	;; [unrolled: 1-line block ×4, first 2 shown]
	v_cndmask_b32_e64 v206, v206, s7, vcc_lo
	s_add_i32 s7, s7, 1
	s_cmp_lg_u32 s1, s7
	s_cbranch_scc1 .LBB96_904
.LBB96_905:
	s_inst_prefetch 0x2
	s_waitcnt lgkmcnt(0)
	v_cmp_eq_f64_e32 vcc_lo, 0, v[198:199]
	v_cmp_eq_f64_e64 s0, 0, v[200:201]
	s_and_b32 s0, vcc_lo, s0
	s_and_saveexec_b32 s7, s0
	s_xor_b32 s0, exec_lo, s7
; %bb.906:
	v_cmp_ne_u32_e32 vcc_lo, 0, v211
	v_cndmask_b32_e32 v211, 44, v211, vcc_lo
; %bb.907:
	s_andn2_saveexec_b32 s0, s0
	s_cbranch_execz .LBB96_913
; %bb.908:
	v_cmp_ngt_f64_e64 s7, |v[198:199]|, |v[200:201]|
	s_and_saveexec_b32 s8, s7
	s_xor_b32 s7, exec_lo, s8
	s_cbranch_execz .LBB96_910
; %bb.909:
	v_div_scale_f64 v[213:214], null, v[200:201], v[200:201], v[198:199]
	v_div_scale_f64 v[219:220], vcc_lo, v[198:199], v[200:201], v[198:199]
	v_rcp_f64_e32 v[215:216], v[213:214]
	v_fma_f64 v[217:218], -v[213:214], v[215:216], 1.0
	v_fma_f64 v[215:216], v[215:216], v[217:218], v[215:216]
	v_fma_f64 v[217:218], -v[213:214], v[215:216], 1.0
	v_fma_f64 v[215:216], v[215:216], v[217:218], v[215:216]
	v_mul_f64 v[217:218], v[219:220], v[215:216]
	v_fma_f64 v[213:214], -v[213:214], v[217:218], v[219:220]
	v_div_fmas_f64 v[213:214], v[213:214], v[215:216], v[217:218]
	v_div_fixup_f64 v[213:214], v[213:214], v[200:201], v[198:199]
	v_fma_f64 v[198:199], v[198:199], v[213:214], v[200:201]
	v_div_scale_f64 v[200:201], null, v[198:199], v[198:199], 1.0
	v_rcp_f64_e32 v[215:216], v[200:201]
	v_fma_f64 v[217:218], -v[200:201], v[215:216], 1.0
	v_fma_f64 v[215:216], v[215:216], v[217:218], v[215:216]
	v_fma_f64 v[217:218], -v[200:201], v[215:216], 1.0
	v_fma_f64 v[215:216], v[215:216], v[217:218], v[215:216]
	v_div_scale_f64 v[217:218], vcc_lo, 1.0, v[198:199], 1.0
	v_mul_f64 v[219:220], v[217:218], v[215:216]
	v_fma_f64 v[200:201], -v[200:201], v[219:220], v[217:218]
	v_div_fmas_f64 v[200:201], v[200:201], v[215:216], v[219:220]
	v_div_fixup_f64 v[200:201], v[200:201], v[198:199], 1.0
	v_mul_f64 v[198:199], v[213:214], v[200:201]
	v_xor_b32_e32 v201, 0x80000000, v201
.LBB96_910:
	s_andn2_saveexec_b32 s7, s7
	s_cbranch_execz .LBB96_912
; %bb.911:
	v_div_scale_f64 v[213:214], null, v[198:199], v[198:199], v[200:201]
	v_div_scale_f64 v[219:220], vcc_lo, v[200:201], v[198:199], v[200:201]
	v_rcp_f64_e32 v[215:216], v[213:214]
	v_fma_f64 v[217:218], -v[213:214], v[215:216], 1.0
	v_fma_f64 v[215:216], v[215:216], v[217:218], v[215:216]
	v_fma_f64 v[217:218], -v[213:214], v[215:216], 1.0
	v_fma_f64 v[215:216], v[215:216], v[217:218], v[215:216]
	v_mul_f64 v[217:218], v[219:220], v[215:216]
	v_fma_f64 v[213:214], -v[213:214], v[217:218], v[219:220]
	v_div_fmas_f64 v[213:214], v[213:214], v[215:216], v[217:218]
	v_div_fixup_f64 v[213:214], v[213:214], v[198:199], v[200:201]
	v_fma_f64 v[198:199], v[200:201], v[213:214], v[198:199]
	v_div_scale_f64 v[200:201], null, v[198:199], v[198:199], 1.0
	v_rcp_f64_e32 v[215:216], v[200:201]
	v_fma_f64 v[217:218], -v[200:201], v[215:216], 1.0
	v_fma_f64 v[215:216], v[215:216], v[217:218], v[215:216]
	v_fma_f64 v[217:218], -v[200:201], v[215:216], 1.0
	v_fma_f64 v[215:216], v[215:216], v[217:218], v[215:216]
	v_div_scale_f64 v[217:218], vcc_lo, 1.0, v[198:199], 1.0
	v_mul_f64 v[219:220], v[217:218], v[215:216]
	v_fma_f64 v[200:201], -v[200:201], v[219:220], v[217:218]
	v_div_fmas_f64 v[200:201], v[200:201], v[215:216], v[219:220]
	v_div_fixup_f64 v[198:199], v[200:201], v[198:199], 1.0
	v_mul_f64 v[200:201], v[213:214], -v[198:199]
.LBB96_912:
	s_or_b32 exec_lo, exec_lo, s7
.LBB96_913:
	s_or_b32 exec_lo, exec_lo, s0
	s_mov_b32 s0, exec_lo
	v_cmpx_ne_u32_e64 v212, v206
	s_xor_b32 s0, exec_lo, s0
	s_cbranch_execz .LBB96_919
; %bb.914:
	s_mov_b32 s7, exec_lo
	v_cmpx_eq_u32_e32 43, v212
	s_cbranch_execz .LBB96_918
; %bb.915:
	v_cmp_ne_u32_e32 vcc_lo, 43, v206
	s_xor_b32 s8, s16, -1
	s_and_b32 s9, s8, vcc_lo
	s_and_saveexec_b32 s8, s9
	s_cbranch_execz .LBB96_917
; %bb.916:
	v_ashrrev_i32_e32 v207, 31, v206
	v_lshlrev_b64 v[212:213], 2, v[206:207]
	v_add_co_u32 v212, vcc_lo, v204, v212
	v_add_co_ci_u32_e64 v213, null, v205, v213, vcc_lo
	s_clause 0x1
	global_load_dword v0, v[212:213], off
	global_load_dword v207, v[204:205], off offset:172
	s_waitcnt vmcnt(1)
	global_store_dword v[204:205], v0, off offset:172
	s_waitcnt vmcnt(0)
	global_store_dword v[212:213], v207, off
.LBB96_917:
	s_or_b32 exec_lo, exec_lo, s8
	v_mov_b32_e32 v212, v206
	v_mov_b32_e32 v0, v206
.LBB96_918:
	s_or_b32 exec_lo, exec_lo, s7
.LBB96_919:
	s_andn2_saveexec_b32 s0, s0
	s_cbranch_execz .LBB96_921
; %bb.920:
	v_mov_b32_e32 v212, 43
	ds_write2_b64 v1, v[18:19], v[20:21] offset0:88 offset1:89
	ds_write2_b64 v1, v[14:15], v[16:17] offset0:90 offset1:91
	;; [unrolled: 1-line block ×5, first 2 shown]
.LBB96_921:
	s_or_b32 exec_lo, exec_lo, s0
	s_mov_b32 s0, exec_lo
	s_waitcnt lgkmcnt(0)
	s_waitcnt_vscnt null, 0x0
	s_barrier
	buffer_gl0_inv
	v_cmpx_lt_i32_e32 43, v212
	s_cbranch_execz .LBB96_923
; %bb.922:
	v_mul_f64 v[206:207], v[198:199], v[24:25]
	v_mul_f64 v[24:25], v[200:201], v[24:25]
	ds_read2_b64 v[213:216], v1 offset0:88 offset1:89
	ds_read2_b64 v[217:220], v1 offset0:90 offset1:91
	;; [unrolled: 1-line block ×5, first 2 shown]
	v_fma_f64 v[200:201], v[200:201], v[22:23], v[206:207]
	v_fma_f64 v[22:23], v[198:199], v[22:23], -v[24:25]
	s_waitcnt lgkmcnt(4)
	v_mul_f64 v[24:25], v[215:216], v[200:201]
	v_mul_f64 v[198:199], v[213:214], v[200:201]
	s_waitcnt lgkmcnt(3)
	v_mul_f64 v[206:207], v[219:220], v[200:201]
	v_mul_f64 v[233:234], v[217:218], v[200:201]
	;; [unrolled: 3-line block ×5, first 2 shown]
	v_fma_f64 v[24:25], v[213:214], v[22:23], -v[24:25]
	v_fma_f64 v[198:199], v[215:216], v[22:23], v[198:199]
	v_fma_f64 v[206:207], v[217:218], v[22:23], -v[206:207]
	v_fma_f64 v[213:214], v[219:220], v[22:23], v[233:234]
	;; [unrolled: 2-line block ×5, first 2 shown]
	v_add_f64 v[18:19], v[18:19], -v[24:25]
	v_add_f64 v[20:21], v[20:21], -v[198:199]
	;; [unrolled: 1-line block ×10, first 2 shown]
	v_mov_b32_e32 v24, v200
	v_mov_b32_e32 v25, v201
.LBB96_923:
	s_or_b32 exec_lo, exec_lo, s0
	v_lshl_add_u32 v198, v212, 4, v1
	s_barrier
	buffer_gl0_inv
	v_mov_b32_e32 v206, 44
	ds_write2_b64 v198, v[18:19], v[20:21] offset1:1
	s_waitcnt lgkmcnt(0)
	s_barrier
	buffer_gl0_inv
	ds_read2_b64 v[198:201], v1 offset0:88 offset1:89
	s_cmp_lt_i32 s1, 46
	s_cbranch_scc1 .LBB96_926
; %bb.924:
	v_add3_u32 v207, v208, 0, 0x2d0
	v_mov_b32_e32 v206, 44
	s_mov_b32 s7, 45
	s_inst_prefetch 0x1
	.p2align	6
.LBB96_925:                             ; =>This Inner Loop Header: Depth=1
	s_waitcnt lgkmcnt(0)
	v_cmp_gt_f64_e32 vcc_lo, 0, v[200:201]
	v_cmp_gt_f64_e64 s0, 0, v[198:199]
	ds_read2_b64 v[213:216], v207 offset1:1
	v_xor_b32_e32 v218, 0x80000000, v199
	v_xor_b32_e32 v220, 0x80000000, v201
	v_mov_b32_e32 v217, v198
	v_mov_b32_e32 v219, v200
	v_add_nc_u32_e32 v207, 16, v207
	s_waitcnt lgkmcnt(0)
	v_xor_b32_e32 v222, 0x80000000, v216
	v_cndmask_b32_e64 v218, v199, v218, s0
	v_cndmask_b32_e32 v220, v201, v220, vcc_lo
	v_cmp_gt_f64_e32 vcc_lo, 0, v[215:216]
	v_cmp_gt_f64_e64 s0, 0, v[213:214]
	v_mov_b32_e32 v221, v215
	v_add_f64 v[217:218], v[217:218], v[219:220]
	v_xor_b32_e32 v220, 0x80000000, v214
	v_mov_b32_e32 v219, v213
	v_cndmask_b32_e32 v222, v216, v222, vcc_lo
	v_cndmask_b32_e64 v220, v214, v220, s0
	v_add_f64 v[219:220], v[219:220], v[221:222]
	v_cmp_lt_f64_e32 vcc_lo, v[217:218], v[219:220]
	v_cndmask_b32_e32 v199, v199, v214, vcc_lo
	v_cndmask_b32_e32 v198, v198, v213, vcc_lo
	v_cndmask_b32_e32 v201, v201, v216, vcc_lo
	v_cndmask_b32_e32 v200, v200, v215, vcc_lo
	v_cndmask_b32_e64 v206, v206, s7, vcc_lo
	s_add_i32 s7, s7, 1
	s_cmp_lg_u32 s1, s7
	s_cbranch_scc1 .LBB96_925
.LBB96_926:
	s_inst_prefetch 0x2
	s_waitcnt lgkmcnt(0)
	v_cmp_eq_f64_e32 vcc_lo, 0, v[198:199]
	v_cmp_eq_f64_e64 s0, 0, v[200:201]
	s_and_b32 s0, vcc_lo, s0
	s_and_saveexec_b32 s7, s0
	s_xor_b32 s0, exec_lo, s7
; %bb.927:
	v_cmp_ne_u32_e32 vcc_lo, 0, v211
	v_cndmask_b32_e32 v211, 45, v211, vcc_lo
; %bb.928:
	s_andn2_saveexec_b32 s0, s0
	s_cbranch_execz .LBB96_934
; %bb.929:
	v_cmp_ngt_f64_e64 s7, |v[198:199]|, |v[200:201]|
	s_and_saveexec_b32 s8, s7
	s_xor_b32 s7, exec_lo, s8
	s_cbranch_execz .LBB96_931
; %bb.930:
	v_div_scale_f64 v[213:214], null, v[200:201], v[200:201], v[198:199]
	v_div_scale_f64 v[219:220], vcc_lo, v[198:199], v[200:201], v[198:199]
	v_rcp_f64_e32 v[215:216], v[213:214]
	v_fma_f64 v[217:218], -v[213:214], v[215:216], 1.0
	v_fma_f64 v[215:216], v[215:216], v[217:218], v[215:216]
	v_fma_f64 v[217:218], -v[213:214], v[215:216], 1.0
	v_fma_f64 v[215:216], v[215:216], v[217:218], v[215:216]
	v_mul_f64 v[217:218], v[219:220], v[215:216]
	v_fma_f64 v[213:214], -v[213:214], v[217:218], v[219:220]
	v_div_fmas_f64 v[213:214], v[213:214], v[215:216], v[217:218]
	v_div_fixup_f64 v[213:214], v[213:214], v[200:201], v[198:199]
	v_fma_f64 v[198:199], v[198:199], v[213:214], v[200:201]
	v_div_scale_f64 v[200:201], null, v[198:199], v[198:199], 1.0
	v_rcp_f64_e32 v[215:216], v[200:201]
	v_fma_f64 v[217:218], -v[200:201], v[215:216], 1.0
	v_fma_f64 v[215:216], v[215:216], v[217:218], v[215:216]
	v_fma_f64 v[217:218], -v[200:201], v[215:216], 1.0
	v_fma_f64 v[215:216], v[215:216], v[217:218], v[215:216]
	v_div_scale_f64 v[217:218], vcc_lo, 1.0, v[198:199], 1.0
	v_mul_f64 v[219:220], v[217:218], v[215:216]
	v_fma_f64 v[200:201], -v[200:201], v[219:220], v[217:218]
	v_div_fmas_f64 v[200:201], v[200:201], v[215:216], v[219:220]
	v_div_fixup_f64 v[200:201], v[200:201], v[198:199], 1.0
	v_mul_f64 v[198:199], v[213:214], v[200:201]
	v_xor_b32_e32 v201, 0x80000000, v201
.LBB96_931:
	s_andn2_saveexec_b32 s7, s7
	s_cbranch_execz .LBB96_933
; %bb.932:
	v_div_scale_f64 v[213:214], null, v[198:199], v[198:199], v[200:201]
	v_div_scale_f64 v[219:220], vcc_lo, v[200:201], v[198:199], v[200:201]
	v_rcp_f64_e32 v[215:216], v[213:214]
	v_fma_f64 v[217:218], -v[213:214], v[215:216], 1.0
	v_fma_f64 v[215:216], v[215:216], v[217:218], v[215:216]
	v_fma_f64 v[217:218], -v[213:214], v[215:216], 1.0
	v_fma_f64 v[215:216], v[215:216], v[217:218], v[215:216]
	v_mul_f64 v[217:218], v[219:220], v[215:216]
	v_fma_f64 v[213:214], -v[213:214], v[217:218], v[219:220]
	v_div_fmas_f64 v[213:214], v[213:214], v[215:216], v[217:218]
	v_div_fixup_f64 v[213:214], v[213:214], v[198:199], v[200:201]
	v_fma_f64 v[198:199], v[200:201], v[213:214], v[198:199]
	v_div_scale_f64 v[200:201], null, v[198:199], v[198:199], 1.0
	v_rcp_f64_e32 v[215:216], v[200:201]
	v_fma_f64 v[217:218], -v[200:201], v[215:216], 1.0
	v_fma_f64 v[215:216], v[215:216], v[217:218], v[215:216]
	v_fma_f64 v[217:218], -v[200:201], v[215:216], 1.0
	v_fma_f64 v[215:216], v[215:216], v[217:218], v[215:216]
	v_div_scale_f64 v[217:218], vcc_lo, 1.0, v[198:199], 1.0
	v_mul_f64 v[219:220], v[217:218], v[215:216]
	v_fma_f64 v[200:201], -v[200:201], v[219:220], v[217:218]
	v_div_fmas_f64 v[200:201], v[200:201], v[215:216], v[219:220]
	v_div_fixup_f64 v[198:199], v[200:201], v[198:199], 1.0
	v_mul_f64 v[200:201], v[213:214], -v[198:199]
.LBB96_933:
	s_or_b32 exec_lo, exec_lo, s7
.LBB96_934:
	s_or_b32 exec_lo, exec_lo, s0
	s_mov_b32 s0, exec_lo
	v_cmpx_ne_u32_e64 v212, v206
	s_xor_b32 s0, exec_lo, s0
	s_cbranch_execz .LBB96_940
; %bb.935:
	s_mov_b32 s7, exec_lo
	v_cmpx_eq_u32_e32 44, v212
	s_cbranch_execz .LBB96_939
; %bb.936:
	v_cmp_ne_u32_e32 vcc_lo, 44, v206
	s_xor_b32 s8, s16, -1
	s_and_b32 s9, s8, vcc_lo
	s_and_saveexec_b32 s8, s9
	s_cbranch_execz .LBB96_938
; %bb.937:
	v_ashrrev_i32_e32 v207, 31, v206
	v_lshlrev_b64 v[212:213], 2, v[206:207]
	v_add_co_u32 v212, vcc_lo, v204, v212
	v_add_co_ci_u32_e64 v213, null, v205, v213, vcc_lo
	s_clause 0x1
	global_load_dword v0, v[212:213], off
	global_load_dword v207, v[204:205], off offset:176
	s_waitcnt vmcnt(1)
	global_store_dword v[204:205], v0, off offset:176
	s_waitcnt vmcnt(0)
	global_store_dword v[212:213], v207, off
.LBB96_938:
	s_or_b32 exec_lo, exec_lo, s8
	v_mov_b32_e32 v212, v206
	v_mov_b32_e32 v0, v206
.LBB96_939:
	s_or_b32 exec_lo, exec_lo, s7
.LBB96_940:
	s_andn2_saveexec_b32 s0, s0
	s_cbranch_execz .LBB96_942
; %bb.941:
	v_mov_b32_e32 v212, 44
	ds_write2_b64 v1, v[14:15], v[16:17] offset0:90 offset1:91
	ds_write2_b64 v1, v[10:11], v[12:13] offset0:92 offset1:93
	;; [unrolled: 1-line block ×4, first 2 shown]
.LBB96_942:
	s_or_b32 exec_lo, exec_lo, s0
	s_mov_b32 s0, exec_lo
	s_waitcnt lgkmcnt(0)
	s_waitcnt_vscnt null, 0x0
	s_barrier
	buffer_gl0_inv
	v_cmpx_lt_i32_e32 44, v212
	s_cbranch_execz .LBB96_944
; %bb.943:
	v_mul_f64 v[206:207], v[198:199], v[20:21]
	v_mul_f64 v[20:21], v[200:201], v[20:21]
	ds_read2_b64 v[213:216], v1 offset0:90 offset1:91
	ds_read2_b64 v[217:220], v1 offset0:92 offset1:93
	ds_read2_b64 v[221:224], v1 offset0:94 offset1:95
	ds_read2_b64 v[225:228], v1 offset0:96 offset1:97
	v_fma_f64 v[200:201], v[200:201], v[18:19], v[206:207]
	v_fma_f64 v[18:19], v[198:199], v[18:19], -v[20:21]
	s_waitcnt lgkmcnt(3)
	v_mul_f64 v[20:21], v[215:216], v[200:201]
	v_mul_f64 v[198:199], v[213:214], v[200:201]
	s_waitcnt lgkmcnt(2)
	v_mul_f64 v[206:207], v[219:220], v[200:201]
	v_mul_f64 v[229:230], v[217:218], v[200:201]
	;; [unrolled: 3-line block ×4, first 2 shown]
	v_fma_f64 v[20:21], v[213:214], v[18:19], -v[20:21]
	v_fma_f64 v[198:199], v[215:216], v[18:19], v[198:199]
	v_fma_f64 v[206:207], v[217:218], v[18:19], -v[206:207]
	v_fma_f64 v[213:214], v[219:220], v[18:19], v[229:230]
	;; [unrolled: 2-line block ×4, first 2 shown]
	v_add_f64 v[14:15], v[14:15], -v[20:21]
	v_add_f64 v[16:17], v[16:17], -v[198:199]
	;; [unrolled: 1-line block ×8, first 2 shown]
	v_mov_b32_e32 v20, v200
	v_mov_b32_e32 v21, v201
.LBB96_944:
	s_or_b32 exec_lo, exec_lo, s0
	v_lshl_add_u32 v198, v212, 4, v1
	s_barrier
	buffer_gl0_inv
	v_mov_b32_e32 v206, 45
	ds_write2_b64 v198, v[14:15], v[16:17] offset1:1
	s_waitcnt lgkmcnt(0)
	s_barrier
	buffer_gl0_inv
	ds_read2_b64 v[198:201], v1 offset0:90 offset1:91
	s_cmp_lt_i32 s1, 47
	s_cbranch_scc1 .LBB96_947
; %bb.945:
	v_add3_u32 v207, v208, 0, 0x2e0
	v_mov_b32_e32 v206, 45
	s_mov_b32 s7, 46
	s_inst_prefetch 0x1
	.p2align	6
.LBB96_946:                             ; =>This Inner Loop Header: Depth=1
	s_waitcnt lgkmcnt(0)
	v_cmp_gt_f64_e32 vcc_lo, 0, v[200:201]
	v_cmp_gt_f64_e64 s0, 0, v[198:199]
	ds_read2_b64 v[213:216], v207 offset1:1
	v_xor_b32_e32 v218, 0x80000000, v199
	v_xor_b32_e32 v220, 0x80000000, v201
	v_mov_b32_e32 v217, v198
	v_mov_b32_e32 v219, v200
	v_add_nc_u32_e32 v207, 16, v207
	s_waitcnt lgkmcnt(0)
	v_xor_b32_e32 v222, 0x80000000, v216
	v_cndmask_b32_e64 v218, v199, v218, s0
	v_cndmask_b32_e32 v220, v201, v220, vcc_lo
	v_cmp_gt_f64_e32 vcc_lo, 0, v[215:216]
	v_cmp_gt_f64_e64 s0, 0, v[213:214]
	v_mov_b32_e32 v221, v215
	v_add_f64 v[217:218], v[217:218], v[219:220]
	v_xor_b32_e32 v220, 0x80000000, v214
	v_mov_b32_e32 v219, v213
	v_cndmask_b32_e32 v222, v216, v222, vcc_lo
	v_cndmask_b32_e64 v220, v214, v220, s0
	v_add_f64 v[219:220], v[219:220], v[221:222]
	v_cmp_lt_f64_e32 vcc_lo, v[217:218], v[219:220]
	v_cndmask_b32_e32 v199, v199, v214, vcc_lo
	v_cndmask_b32_e32 v198, v198, v213, vcc_lo
	;; [unrolled: 1-line block ×4, first 2 shown]
	v_cndmask_b32_e64 v206, v206, s7, vcc_lo
	s_add_i32 s7, s7, 1
	s_cmp_lg_u32 s1, s7
	s_cbranch_scc1 .LBB96_946
.LBB96_947:
	s_inst_prefetch 0x2
	s_waitcnt lgkmcnt(0)
	v_cmp_eq_f64_e32 vcc_lo, 0, v[198:199]
	v_cmp_eq_f64_e64 s0, 0, v[200:201]
	s_and_b32 s0, vcc_lo, s0
	s_and_saveexec_b32 s7, s0
	s_xor_b32 s0, exec_lo, s7
; %bb.948:
	v_cmp_ne_u32_e32 vcc_lo, 0, v211
	v_cndmask_b32_e32 v211, 46, v211, vcc_lo
; %bb.949:
	s_andn2_saveexec_b32 s0, s0
	s_cbranch_execz .LBB96_955
; %bb.950:
	v_cmp_ngt_f64_e64 s7, |v[198:199]|, |v[200:201]|
	s_and_saveexec_b32 s8, s7
	s_xor_b32 s7, exec_lo, s8
	s_cbranch_execz .LBB96_952
; %bb.951:
	v_div_scale_f64 v[213:214], null, v[200:201], v[200:201], v[198:199]
	v_div_scale_f64 v[219:220], vcc_lo, v[198:199], v[200:201], v[198:199]
	v_rcp_f64_e32 v[215:216], v[213:214]
	v_fma_f64 v[217:218], -v[213:214], v[215:216], 1.0
	v_fma_f64 v[215:216], v[215:216], v[217:218], v[215:216]
	v_fma_f64 v[217:218], -v[213:214], v[215:216], 1.0
	v_fma_f64 v[215:216], v[215:216], v[217:218], v[215:216]
	v_mul_f64 v[217:218], v[219:220], v[215:216]
	v_fma_f64 v[213:214], -v[213:214], v[217:218], v[219:220]
	v_div_fmas_f64 v[213:214], v[213:214], v[215:216], v[217:218]
	v_div_fixup_f64 v[213:214], v[213:214], v[200:201], v[198:199]
	v_fma_f64 v[198:199], v[198:199], v[213:214], v[200:201]
	v_div_scale_f64 v[200:201], null, v[198:199], v[198:199], 1.0
	v_rcp_f64_e32 v[215:216], v[200:201]
	v_fma_f64 v[217:218], -v[200:201], v[215:216], 1.0
	v_fma_f64 v[215:216], v[215:216], v[217:218], v[215:216]
	v_fma_f64 v[217:218], -v[200:201], v[215:216], 1.0
	v_fma_f64 v[215:216], v[215:216], v[217:218], v[215:216]
	v_div_scale_f64 v[217:218], vcc_lo, 1.0, v[198:199], 1.0
	v_mul_f64 v[219:220], v[217:218], v[215:216]
	v_fma_f64 v[200:201], -v[200:201], v[219:220], v[217:218]
	v_div_fmas_f64 v[200:201], v[200:201], v[215:216], v[219:220]
	v_div_fixup_f64 v[200:201], v[200:201], v[198:199], 1.0
	v_mul_f64 v[198:199], v[213:214], v[200:201]
	v_xor_b32_e32 v201, 0x80000000, v201
.LBB96_952:
	s_andn2_saveexec_b32 s7, s7
	s_cbranch_execz .LBB96_954
; %bb.953:
	v_div_scale_f64 v[213:214], null, v[198:199], v[198:199], v[200:201]
	v_div_scale_f64 v[219:220], vcc_lo, v[200:201], v[198:199], v[200:201]
	v_rcp_f64_e32 v[215:216], v[213:214]
	v_fma_f64 v[217:218], -v[213:214], v[215:216], 1.0
	v_fma_f64 v[215:216], v[215:216], v[217:218], v[215:216]
	v_fma_f64 v[217:218], -v[213:214], v[215:216], 1.0
	v_fma_f64 v[215:216], v[215:216], v[217:218], v[215:216]
	v_mul_f64 v[217:218], v[219:220], v[215:216]
	v_fma_f64 v[213:214], -v[213:214], v[217:218], v[219:220]
	v_div_fmas_f64 v[213:214], v[213:214], v[215:216], v[217:218]
	v_div_fixup_f64 v[213:214], v[213:214], v[198:199], v[200:201]
	v_fma_f64 v[198:199], v[200:201], v[213:214], v[198:199]
	v_div_scale_f64 v[200:201], null, v[198:199], v[198:199], 1.0
	v_rcp_f64_e32 v[215:216], v[200:201]
	v_fma_f64 v[217:218], -v[200:201], v[215:216], 1.0
	v_fma_f64 v[215:216], v[215:216], v[217:218], v[215:216]
	v_fma_f64 v[217:218], -v[200:201], v[215:216], 1.0
	v_fma_f64 v[215:216], v[215:216], v[217:218], v[215:216]
	v_div_scale_f64 v[217:218], vcc_lo, 1.0, v[198:199], 1.0
	v_mul_f64 v[219:220], v[217:218], v[215:216]
	v_fma_f64 v[200:201], -v[200:201], v[219:220], v[217:218]
	v_div_fmas_f64 v[200:201], v[200:201], v[215:216], v[219:220]
	v_div_fixup_f64 v[198:199], v[200:201], v[198:199], 1.0
	v_mul_f64 v[200:201], v[213:214], -v[198:199]
.LBB96_954:
	s_or_b32 exec_lo, exec_lo, s7
.LBB96_955:
	s_or_b32 exec_lo, exec_lo, s0
	s_mov_b32 s0, exec_lo
	v_cmpx_ne_u32_e64 v212, v206
	s_xor_b32 s0, exec_lo, s0
	s_cbranch_execz .LBB96_961
; %bb.956:
	s_mov_b32 s7, exec_lo
	v_cmpx_eq_u32_e32 45, v212
	s_cbranch_execz .LBB96_960
; %bb.957:
	v_cmp_ne_u32_e32 vcc_lo, 45, v206
	s_xor_b32 s8, s16, -1
	s_and_b32 s9, s8, vcc_lo
	s_and_saveexec_b32 s8, s9
	s_cbranch_execz .LBB96_959
; %bb.958:
	v_ashrrev_i32_e32 v207, 31, v206
	v_lshlrev_b64 v[212:213], 2, v[206:207]
	v_add_co_u32 v212, vcc_lo, v204, v212
	v_add_co_ci_u32_e64 v213, null, v205, v213, vcc_lo
	s_clause 0x1
	global_load_dword v0, v[212:213], off
	global_load_dword v207, v[204:205], off offset:180
	s_waitcnt vmcnt(1)
	global_store_dword v[204:205], v0, off offset:180
	s_waitcnt vmcnt(0)
	global_store_dword v[212:213], v207, off
.LBB96_959:
	s_or_b32 exec_lo, exec_lo, s8
	v_mov_b32_e32 v212, v206
	v_mov_b32_e32 v0, v206
.LBB96_960:
	s_or_b32 exec_lo, exec_lo, s7
.LBB96_961:
	s_andn2_saveexec_b32 s0, s0
	s_cbranch_execz .LBB96_963
; %bb.962:
	v_mov_b32_e32 v212, 45
	ds_write2_b64 v1, v[10:11], v[12:13] offset0:92 offset1:93
	ds_write2_b64 v1, v[6:7], v[8:9] offset0:94 offset1:95
	;; [unrolled: 1-line block ×3, first 2 shown]
.LBB96_963:
	s_or_b32 exec_lo, exec_lo, s0
	s_mov_b32 s0, exec_lo
	s_waitcnt lgkmcnt(0)
	s_waitcnt_vscnt null, 0x0
	s_barrier
	buffer_gl0_inv
	v_cmpx_lt_i32_e32 45, v212
	s_cbranch_execz .LBB96_965
; %bb.964:
	v_mul_f64 v[206:207], v[198:199], v[16:17]
	v_mul_f64 v[16:17], v[200:201], v[16:17]
	ds_read2_b64 v[213:216], v1 offset0:92 offset1:93
	ds_read2_b64 v[217:220], v1 offset0:94 offset1:95
	;; [unrolled: 1-line block ×3, first 2 shown]
	v_fma_f64 v[200:201], v[200:201], v[14:15], v[206:207]
	v_fma_f64 v[14:15], v[198:199], v[14:15], -v[16:17]
	s_waitcnt lgkmcnt(2)
	v_mul_f64 v[16:17], v[215:216], v[200:201]
	v_mul_f64 v[198:199], v[213:214], v[200:201]
	s_waitcnt lgkmcnt(1)
	v_mul_f64 v[206:207], v[219:220], v[200:201]
	v_mul_f64 v[225:226], v[217:218], v[200:201]
	;; [unrolled: 3-line block ×3, first 2 shown]
	v_fma_f64 v[16:17], v[213:214], v[14:15], -v[16:17]
	v_fma_f64 v[198:199], v[215:216], v[14:15], v[198:199]
	v_fma_f64 v[206:207], v[217:218], v[14:15], -v[206:207]
	v_fma_f64 v[213:214], v[219:220], v[14:15], v[225:226]
	;; [unrolled: 2-line block ×3, first 2 shown]
	v_add_f64 v[10:11], v[10:11], -v[16:17]
	v_add_f64 v[12:13], v[12:13], -v[198:199]
	;; [unrolled: 1-line block ×6, first 2 shown]
	v_mov_b32_e32 v16, v200
	v_mov_b32_e32 v17, v201
.LBB96_965:
	s_or_b32 exec_lo, exec_lo, s0
	v_lshl_add_u32 v198, v212, 4, v1
	s_barrier
	buffer_gl0_inv
	v_mov_b32_e32 v206, 46
	ds_write2_b64 v198, v[10:11], v[12:13] offset1:1
	s_waitcnt lgkmcnt(0)
	s_barrier
	buffer_gl0_inv
	ds_read2_b64 v[198:201], v1 offset0:92 offset1:93
	s_cmp_lt_i32 s1, 48
	s_cbranch_scc1 .LBB96_968
; %bb.966:
	v_add3_u32 v207, v208, 0, 0x2f0
	v_mov_b32_e32 v206, 46
	s_mov_b32 s7, 47
	s_inst_prefetch 0x1
	.p2align	6
.LBB96_967:                             ; =>This Inner Loop Header: Depth=1
	s_waitcnt lgkmcnt(0)
	v_cmp_gt_f64_e32 vcc_lo, 0, v[200:201]
	v_cmp_gt_f64_e64 s0, 0, v[198:199]
	ds_read2_b64 v[213:216], v207 offset1:1
	v_xor_b32_e32 v218, 0x80000000, v199
	v_xor_b32_e32 v220, 0x80000000, v201
	v_mov_b32_e32 v217, v198
	v_mov_b32_e32 v219, v200
	v_add_nc_u32_e32 v207, 16, v207
	s_waitcnt lgkmcnt(0)
	v_xor_b32_e32 v222, 0x80000000, v216
	v_cndmask_b32_e64 v218, v199, v218, s0
	v_cndmask_b32_e32 v220, v201, v220, vcc_lo
	v_cmp_gt_f64_e32 vcc_lo, 0, v[215:216]
	v_cmp_gt_f64_e64 s0, 0, v[213:214]
	v_mov_b32_e32 v221, v215
	v_add_f64 v[217:218], v[217:218], v[219:220]
	v_xor_b32_e32 v220, 0x80000000, v214
	v_mov_b32_e32 v219, v213
	v_cndmask_b32_e32 v222, v216, v222, vcc_lo
	v_cndmask_b32_e64 v220, v214, v220, s0
	v_add_f64 v[219:220], v[219:220], v[221:222]
	v_cmp_lt_f64_e32 vcc_lo, v[217:218], v[219:220]
	v_cndmask_b32_e32 v199, v199, v214, vcc_lo
	v_cndmask_b32_e32 v198, v198, v213, vcc_lo
	;; [unrolled: 1-line block ×4, first 2 shown]
	v_cndmask_b32_e64 v206, v206, s7, vcc_lo
	s_add_i32 s7, s7, 1
	s_cmp_lg_u32 s1, s7
	s_cbranch_scc1 .LBB96_967
.LBB96_968:
	s_inst_prefetch 0x2
	s_waitcnt lgkmcnt(0)
	v_cmp_eq_f64_e32 vcc_lo, 0, v[198:199]
	v_cmp_eq_f64_e64 s0, 0, v[200:201]
	s_and_b32 s0, vcc_lo, s0
	s_and_saveexec_b32 s7, s0
	s_xor_b32 s0, exec_lo, s7
; %bb.969:
	v_cmp_ne_u32_e32 vcc_lo, 0, v211
	v_cndmask_b32_e32 v211, 47, v211, vcc_lo
; %bb.970:
	s_andn2_saveexec_b32 s0, s0
	s_cbranch_execz .LBB96_976
; %bb.971:
	v_cmp_ngt_f64_e64 s7, |v[198:199]|, |v[200:201]|
	s_and_saveexec_b32 s8, s7
	s_xor_b32 s7, exec_lo, s8
	s_cbranch_execz .LBB96_973
; %bb.972:
	v_div_scale_f64 v[213:214], null, v[200:201], v[200:201], v[198:199]
	v_div_scale_f64 v[219:220], vcc_lo, v[198:199], v[200:201], v[198:199]
	v_rcp_f64_e32 v[215:216], v[213:214]
	v_fma_f64 v[217:218], -v[213:214], v[215:216], 1.0
	v_fma_f64 v[215:216], v[215:216], v[217:218], v[215:216]
	v_fma_f64 v[217:218], -v[213:214], v[215:216], 1.0
	v_fma_f64 v[215:216], v[215:216], v[217:218], v[215:216]
	v_mul_f64 v[217:218], v[219:220], v[215:216]
	v_fma_f64 v[213:214], -v[213:214], v[217:218], v[219:220]
	v_div_fmas_f64 v[213:214], v[213:214], v[215:216], v[217:218]
	v_div_fixup_f64 v[213:214], v[213:214], v[200:201], v[198:199]
	v_fma_f64 v[198:199], v[198:199], v[213:214], v[200:201]
	v_div_scale_f64 v[200:201], null, v[198:199], v[198:199], 1.0
	v_rcp_f64_e32 v[215:216], v[200:201]
	v_fma_f64 v[217:218], -v[200:201], v[215:216], 1.0
	v_fma_f64 v[215:216], v[215:216], v[217:218], v[215:216]
	v_fma_f64 v[217:218], -v[200:201], v[215:216], 1.0
	v_fma_f64 v[215:216], v[215:216], v[217:218], v[215:216]
	v_div_scale_f64 v[217:218], vcc_lo, 1.0, v[198:199], 1.0
	v_mul_f64 v[219:220], v[217:218], v[215:216]
	v_fma_f64 v[200:201], -v[200:201], v[219:220], v[217:218]
	v_div_fmas_f64 v[200:201], v[200:201], v[215:216], v[219:220]
	v_div_fixup_f64 v[200:201], v[200:201], v[198:199], 1.0
	v_mul_f64 v[198:199], v[213:214], v[200:201]
	v_xor_b32_e32 v201, 0x80000000, v201
.LBB96_973:
	s_andn2_saveexec_b32 s7, s7
	s_cbranch_execz .LBB96_975
; %bb.974:
	v_div_scale_f64 v[213:214], null, v[198:199], v[198:199], v[200:201]
	v_div_scale_f64 v[219:220], vcc_lo, v[200:201], v[198:199], v[200:201]
	v_rcp_f64_e32 v[215:216], v[213:214]
	v_fma_f64 v[217:218], -v[213:214], v[215:216], 1.0
	v_fma_f64 v[215:216], v[215:216], v[217:218], v[215:216]
	v_fma_f64 v[217:218], -v[213:214], v[215:216], 1.0
	v_fma_f64 v[215:216], v[215:216], v[217:218], v[215:216]
	v_mul_f64 v[217:218], v[219:220], v[215:216]
	v_fma_f64 v[213:214], -v[213:214], v[217:218], v[219:220]
	v_div_fmas_f64 v[213:214], v[213:214], v[215:216], v[217:218]
	v_div_fixup_f64 v[213:214], v[213:214], v[198:199], v[200:201]
	v_fma_f64 v[198:199], v[200:201], v[213:214], v[198:199]
	v_div_scale_f64 v[200:201], null, v[198:199], v[198:199], 1.0
	v_rcp_f64_e32 v[215:216], v[200:201]
	v_fma_f64 v[217:218], -v[200:201], v[215:216], 1.0
	v_fma_f64 v[215:216], v[215:216], v[217:218], v[215:216]
	v_fma_f64 v[217:218], -v[200:201], v[215:216], 1.0
	v_fma_f64 v[215:216], v[215:216], v[217:218], v[215:216]
	v_div_scale_f64 v[217:218], vcc_lo, 1.0, v[198:199], 1.0
	v_mul_f64 v[219:220], v[217:218], v[215:216]
	v_fma_f64 v[200:201], -v[200:201], v[219:220], v[217:218]
	v_div_fmas_f64 v[200:201], v[200:201], v[215:216], v[219:220]
	v_div_fixup_f64 v[198:199], v[200:201], v[198:199], 1.0
	v_mul_f64 v[200:201], v[213:214], -v[198:199]
.LBB96_975:
	s_or_b32 exec_lo, exec_lo, s7
.LBB96_976:
	s_or_b32 exec_lo, exec_lo, s0
	s_mov_b32 s0, exec_lo
	v_cmpx_ne_u32_e64 v212, v206
	s_xor_b32 s0, exec_lo, s0
	s_cbranch_execz .LBB96_982
; %bb.977:
	s_mov_b32 s7, exec_lo
	v_cmpx_eq_u32_e32 46, v212
	s_cbranch_execz .LBB96_981
; %bb.978:
	v_cmp_ne_u32_e32 vcc_lo, 46, v206
	s_xor_b32 s8, s16, -1
	s_and_b32 s9, s8, vcc_lo
	s_and_saveexec_b32 s8, s9
	s_cbranch_execz .LBB96_980
; %bb.979:
	v_ashrrev_i32_e32 v207, 31, v206
	v_lshlrev_b64 v[212:213], 2, v[206:207]
	v_add_co_u32 v212, vcc_lo, v204, v212
	v_add_co_ci_u32_e64 v213, null, v205, v213, vcc_lo
	s_clause 0x1
	global_load_dword v0, v[212:213], off
	global_load_dword v207, v[204:205], off offset:184
	s_waitcnt vmcnt(1)
	global_store_dword v[204:205], v0, off offset:184
	s_waitcnt vmcnt(0)
	global_store_dword v[212:213], v207, off
.LBB96_980:
	s_or_b32 exec_lo, exec_lo, s8
	v_mov_b32_e32 v212, v206
	v_mov_b32_e32 v0, v206
.LBB96_981:
	s_or_b32 exec_lo, exec_lo, s7
.LBB96_982:
	s_andn2_saveexec_b32 s0, s0
	s_cbranch_execz .LBB96_984
; %bb.983:
	v_mov_b32_e32 v212, 46
	ds_write2_b64 v1, v[6:7], v[8:9] offset0:94 offset1:95
	ds_write2_b64 v1, v[2:3], v[4:5] offset0:96 offset1:97
.LBB96_984:
	s_or_b32 exec_lo, exec_lo, s0
	s_mov_b32 s0, exec_lo
	s_waitcnt lgkmcnt(0)
	s_waitcnt_vscnt null, 0x0
	s_barrier
	buffer_gl0_inv
	v_cmpx_lt_i32_e32 46, v212
	s_cbranch_execz .LBB96_986
; %bb.985:
	v_mul_f64 v[206:207], v[198:199], v[12:13]
	v_mul_f64 v[12:13], v[200:201], v[12:13]
	ds_read2_b64 v[213:216], v1 offset0:94 offset1:95
	ds_read2_b64 v[217:220], v1 offset0:96 offset1:97
	v_fma_f64 v[200:201], v[200:201], v[10:11], v[206:207]
	v_fma_f64 v[10:11], v[198:199], v[10:11], -v[12:13]
	s_waitcnt lgkmcnt(1)
	v_mul_f64 v[12:13], v[215:216], v[200:201]
	v_mul_f64 v[198:199], v[213:214], v[200:201]
	s_waitcnt lgkmcnt(0)
	v_mul_f64 v[206:207], v[219:220], v[200:201]
	v_mul_f64 v[221:222], v[217:218], v[200:201]
	v_fma_f64 v[12:13], v[213:214], v[10:11], -v[12:13]
	v_fma_f64 v[198:199], v[215:216], v[10:11], v[198:199]
	v_fma_f64 v[206:207], v[217:218], v[10:11], -v[206:207]
	v_fma_f64 v[213:214], v[219:220], v[10:11], v[221:222]
	v_add_f64 v[6:7], v[6:7], -v[12:13]
	v_add_f64 v[8:9], v[8:9], -v[198:199]
	;; [unrolled: 1-line block ×4, first 2 shown]
	v_mov_b32_e32 v12, v200
	v_mov_b32_e32 v13, v201
.LBB96_986:
	s_or_b32 exec_lo, exec_lo, s0
	v_lshl_add_u32 v198, v212, 4, v1
	s_barrier
	buffer_gl0_inv
	v_mov_b32_e32 v206, 47
	ds_write2_b64 v198, v[6:7], v[8:9] offset1:1
	s_waitcnt lgkmcnt(0)
	s_barrier
	buffer_gl0_inv
	ds_read2_b64 v[198:201], v1 offset0:94 offset1:95
	s_cmp_lt_i32 s1, 49
	s_cbranch_scc1 .LBB96_989
; %bb.987:
	v_add3_u32 v207, v208, 0, 0x300
	v_mov_b32_e32 v206, 47
	s_mov_b32 s7, 48
	s_inst_prefetch 0x1
	.p2align	6
.LBB96_988:                             ; =>This Inner Loop Header: Depth=1
	s_waitcnt lgkmcnt(0)
	v_cmp_gt_f64_e32 vcc_lo, 0, v[200:201]
	v_cmp_gt_f64_e64 s0, 0, v[198:199]
	ds_read2_b64 v[213:216], v207 offset1:1
	v_xor_b32_e32 v218, 0x80000000, v199
	v_xor_b32_e32 v220, 0x80000000, v201
	v_mov_b32_e32 v217, v198
	v_mov_b32_e32 v219, v200
	v_add_nc_u32_e32 v207, 16, v207
	s_waitcnt lgkmcnt(0)
	v_xor_b32_e32 v222, 0x80000000, v216
	v_cndmask_b32_e64 v218, v199, v218, s0
	v_cndmask_b32_e32 v220, v201, v220, vcc_lo
	v_cmp_gt_f64_e32 vcc_lo, 0, v[215:216]
	v_cmp_gt_f64_e64 s0, 0, v[213:214]
	v_mov_b32_e32 v221, v215
	v_add_f64 v[217:218], v[217:218], v[219:220]
	v_xor_b32_e32 v220, 0x80000000, v214
	v_mov_b32_e32 v219, v213
	v_cndmask_b32_e32 v222, v216, v222, vcc_lo
	v_cndmask_b32_e64 v220, v214, v220, s0
	v_add_f64 v[219:220], v[219:220], v[221:222]
	v_cmp_lt_f64_e32 vcc_lo, v[217:218], v[219:220]
	v_cndmask_b32_e32 v199, v199, v214, vcc_lo
	v_cndmask_b32_e32 v198, v198, v213, vcc_lo
	;; [unrolled: 1-line block ×4, first 2 shown]
	v_cndmask_b32_e64 v206, v206, s7, vcc_lo
	s_add_i32 s7, s7, 1
	s_cmp_lg_u32 s1, s7
	s_cbranch_scc1 .LBB96_988
.LBB96_989:
	s_inst_prefetch 0x2
	s_waitcnt lgkmcnt(0)
	v_cmp_eq_f64_e32 vcc_lo, 0, v[198:199]
	v_cmp_eq_f64_e64 s0, 0, v[200:201]
	s_and_b32 s0, vcc_lo, s0
	s_and_saveexec_b32 s7, s0
	s_xor_b32 s0, exec_lo, s7
; %bb.990:
	v_cmp_ne_u32_e32 vcc_lo, 0, v211
	v_cndmask_b32_e32 v211, 48, v211, vcc_lo
; %bb.991:
	s_andn2_saveexec_b32 s0, s0
	s_cbranch_execz .LBB96_997
; %bb.992:
	v_cmp_ngt_f64_e64 s7, |v[198:199]|, |v[200:201]|
	s_and_saveexec_b32 s8, s7
	s_xor_b32 s7, exec_lo, s8
	s_cbranch_execz .LBB96_994
; %bb.993:
	v_div_scale_f64 v[213:214], null, v[200:201], v[200:201], v[198:199]
	v_div_scale_f64 v[219:220], vcc_lo, v[198:199], v[200:201], v[198:199]
	v_rcp_f64_e32 v[215:216], v[213:214]
	v_fma_f64 v[217:218], -v[213:214], v[215:216], 1.0
	v_fma_f64 v[215:216], v[215:216], v[217:218], v[215:216]
	v_fma_f64 v[217:218], -v[213:214], v[215:216], 1.0
	v_fma_f64 v[215:216], v[215:216], v[217:218], v[215:216]
	v_mul_f64 v[217:218], v[219:220], v[215:216]
	v_fma_f64 v[213:214], -v[213:214], v[217:218], v[219:220]
	v_div_fmas_f64 v[213:214], v[213:214], v[215:216], v[217:218]
	v_div_fixup_f64 v[213:214], v[213:214], v[200:201], v[198:199]
	v_fma_f64 v[198:199], v[198:199], v[213:214], v[200:201]
	v_div_scale_f64 v[200:201], null, v[198:199], v[198:199], 1.0
	v_rcp_f64_e32 v[215:216], v[200:201]
	v_fma_f64 v[217:218], -v[200:201], v[215:216], 1.0
	v_fma_f64 v[215:216], v[215:216], v[217:218], v[215:216]
	v_fma_f64 v[217:218], -v[200:201], v[215:216], 1.0
	v_fma_f64 v[215:216], v[215:216], v[217:218], v[215:216]
	v_div_scale_f64 v[217:218], vcc_lo, 1.0, v[198:199], 1.0
	v_mul_f64 v[219:220], v[217:218], v[215:216]
	v_fma_f64 v[200:201], -v[200:201], v[219:220], v[217:218]
	v_div_fmas_f64 v[200:201], v[200:201], v[215:216], v[219:220]
	v_div_fixup_f64 v[200:201], v[200:201], v[198:199], 1.0
	v_mul_f64 v[198:199], v[213:214], v[200:201]
	v_xor_b32_e32 v201, 0x80000000, v201
.LBB96_994:
	s_andn2_saveexec_b32 s7, s7
	s_cbranch_execz .LBB96_996
; %bb.995:
	v_div_scale_f64 v[213:214], null, v[198:199], v[198:199], v[200:201]
	v_div_scale_f64 v[219:220], vcc_lo, v[200:201], v[198:199], v[200:201]
	v_rcp_f64_e32 v[215:216], v[213:214]
	v_fma_f64 v[217:218], -v[213:214], v[215:216], 1.0
	v_fma_f64 v[215:216], v[215:216], v[217:218], v[215:216]
	v_fma_f64 v[217:218], -v[213:214], v[215:216], 1.0
	v_fma_f64 v[215:216], v[215:216], v[217:218], v[215:216]
	v_mul_f64 v[217:218], v[219:220], v[215:216]
	v_fma_f64 v[213:214], -v[213:214], v[217:218], v[219:220]
	v_div_fmas_f64 v[213:214], v[213:214], v[215:216], v[217:218]
	v_div_fixup_f64 v[213:214], v[213:214], v[198:199], v[200:201]
	v_fma_f64 v[198:199], v[200:201], v[213:214], v[198:199]
	v_div_scale_f64 v[200:201], null, v[198:199], v[198:199], 1.0
	v_rcp_f64_e32 v[215:216], v[200:201]
	v_fma_f64 v[217:218], -v[200:201], v[215:216], 1.0
	v_fma_f64 v[215:216], v[215:216], v[217:218], v[215:216]
	v_fma_f64 v[217:218], -v[200:201], v[215:216], 1.0
	v_fma_f64 v[215:216], v[215:216], v[217:218], v[215:216]
	v_div_scale_f64 v[217:218], vcc_lo, 1.0, v[198:199], 1.0
	v_mul_f64 v[219:220], v[217:218], v[215:216]
	v_fma_f64 v[200:201], -v[200:201], v[219:220], v[217:218]
	v_div_fmas_f64 v[200:201], v[200:201], v[215:216], v[219:220]
	v_div_fixup_f64 v[198:199], v[200:201], v[198:199], 1.0
	v_mul_f64 v[200:201], v[213:214], -v[198:199]
.LBB96_996:
	s_or_b32 exec_lo, exec_lo, s7
.LBB96_997:
	s_or_b32 exec_lo, exec_lo, s0
	s_mov_b32 s0, exec_lo
	v_cmpx_ne_u32_e64 v212, v206
	s_xor_b32 s0, exec_lo, s0
	s_cbranch_execz .LBB96_1003
; %bb.998:
	s_mov_b32 s7, exec_lo
	v_cmpx_eq_u32_e32 47, v212
	s_cbranch_execz .LBB96_1002
; %bb.999:
	v_cmp_ne_u32_e32 vcc_lo, 47, v206
	s_xor_b32 s8, s16, -1
	s_and_b32 s9, s8, vcc_lo
	s_and_saveexec_b32 s8, s9
	s_cbranch_execz .LBB96_1001
; %bb.1000:
	v_ashrrev_i32_e32 v207, 31, v206
	v_lshlrev_b64 v[212:213], 2, v[206:207]
	v_add_co_u32 v212, vcc_lo, v204, v212
	v_add_co_ci_u32_e64 v213, null, v205, v213, vcc_lo
	s_clause 0x1
	global_load_dword v0, v[212:213], off
	global_load_dword v207, v[204:205], off offset:188
	s_waitcnt vmcnt(1)
	global_store_dword v[204:205], v0, off offset:188
	s_waitcnt vmcnt(0)
	global_store_dword v[212:213], v207, off
.LBB96_1001:
	s_or_b32 exec_lo, exec_lo, s8
	v_mov_b32_e32 v212, v206
	v_mov_b32_e32 v0, v206
.LBB96_1002:
	s_or_b32 exec_lo, exec_lo, s7
.LBB96_1003:
	s_andn2_saveexec_b32 s0, s0
; %bb.1004:
	v_mov_b32_e32 v212, 47
	ds_write2_b64 v1, v[2:3], v[4:5] offset0:96 offset1:97
; %bb.1005:
	s_or_b32 exec_lo, exec_lo, s0
	s_mov_b32 s0, exec_lo
	s_waitcnt lgkmcnt(0)
	s_waitcnt_vscnt null, 0x0
	s_barrier
	buffer_gl0_inv
	v_cmpx_lt_i32_e32 47, v212
	s_cbranch_execz .LBB96_1007
; %bb.1006:
	v_mul_f64 v[206:207], v[198:199], v[8:9]
	v_mul_f64 v[8:9], v[200:201], v[8:9]
	ds_read2_b64 v[213:216], v1 offset0:96 offset1:97
	v_fma_f64 v[200:201], v[200:201], v[6:7], v[206:207]
	v_fma_f64 v[6:7], v[198:199], v[6:7], -v[8:9]
	s_waitcnt lgkmcnt(0)
	v_mul_f64 v[8:9], v[215:216], v[200:201]
	v_mul_f64 v[198:199], v[213:214], v[200:201]
	v_fma_f64 v[8:9], v[213:214], v[6:7], -v[8:9]
	v_fma_f64 v[198:199], v[215:216], v[6:7], v[198:199]
	v_add_f64 v[2:3], v[2:3], -v[8:9]
	v_add_f64 v[4:5], v[4:5], -v[198:199]
	v_mov_b32_e32 v8, v200
	v_mov_b32_e32 v9, v201
.LBB96_1007:
	s_or_b32 exec_lo, exec_lo, s0
	v_lshl_add_u32 v198, v212, 4, v1
	s_barrier
	buffer_gl0_inv
	v_mov_b32_e32 v206, 48
	ds_write2_b64 v198, v[2:3], v[4:5] offset1:1
	s_waitcnt lgkmcnt(0)
	s_barrier
	buffer_gl0_inv
	ds_read2_b64 v[198:201], v1 offset0:96 offset1:97
	s_cmp_lt_i32 s1, 50
	s_cbranch_scc1 .LBB96_1010
; %bb.1008:
	v_add3_u32 v1, v208, 0, 0x310
	v_mov_b32_e32 v206, 48
	s_mov_b32 s7, 49
	s_inst_prefetch 0x1
	.p2align	6
.LBB96_1009:                            ; =>This Inner Loop Header: Depth=1
	s_waitcnt lgkmcnt(0)
	v_cmp_gt_f64_e32 vcc_lo, 0, v[200:201]
	v_cmp_gt_f64_e64 s0, 0, v[198:199]
	ds_read2_b64 v[213:216], v1 offset1:1
	v_xor_b32_e32 v208, 0x80000000, v199
	v_xor_b32_e32 v218, 0x80000000, v201
	v_mov_b32_e32 v207, v198
	v_mov_b32_e32 v217, v200
	v_add_nc_u32_e32 v1, 16, v1
	s_waitcnt lgkmcnt(0)
	v_xor_b32_e32 v220, 0x80000000, v216
	v_cndmask_b32_e64 v208, v199, v208, s0
	v_cndmask_b32_e32 v218, v201, v218, vcc_lo
	v_cmp_gt_f64_e32 vcc_lo, 0, v[215:216]
	v_cmp_gt_f64_e64 s0, 0, v[213:214]
	v_mov_b32_e32 v219, v215
	v_add_f64 v[207:208], v[207:208], v[217:218]
	v_xor_b32_e32 v218, 0x80000000, v214
	v_mov_b32_e32 v217, v213
	v_cndmask_b32_e32 v220, v216, v220, vcc_lo
	v_cndmask_b32_e64 v218, v214, v218, s0
	v_add_f64 v[217:218], v[217:218], v[219:220]
	v_cmp_lt_f64_e32 vcc_lo, v[207:208], v[217:218]
	v_cndmask_b32_e32 v199, v199, v214, vcc_lo
	v_cndmask_b32_e32 v198, v198, v213, vcc_lo
	;; [unrolled: 1-line block ×4, first 2 shown]
	v_cndmask_b32_e64 v206, v206, s7, vcc_lo
	s_add_i32 s7, s7, 1
	s_cmp_lg_u32 s1, s7
	s_cbranch_scc1 .LBB96_1009
.LBB96_1010:
	s_inst_prefetch 0x2
	s_waitcnt lgkmcnt(0)
	v_cmp_eq_f64_e32 vcc_lo, 0, v[198:199]
	v_cmp_eq_f64_e64 s0, 0, v[200:201]
	s_and_b32 s0, vcc_lo, s0
	s_and_saveexec_b32 s1, s0
	s_xor_b32 s0, exec_lo, s1
; %bb.1011:
	v_cmp_ne_u32_e32 vcc_lo, 0, v211
	v_cndmask_b32_e32 v211, 49, v211, vcc_lo
; %bb.1012:
	s_andn2_saveexec_b32 s0, s0
	s_cbranch_execz .LBB96_1018
; %bb.1013:
	v_cmp_ngt_f64_e64 s1, |v[198:199]|, |v[200:201]|
	s_and_saveexec_b32 s7, s1
	s_xor_b32 s1, exec_lo, s7
	s_cbranch_execz .LBB96_1015
; %bb.1014:
	v_div_scale_f64 v[207:208], null, v[200:201], v[200:201], v[198:199]
	v_div_scale_f64 v[217:218], vcc_lo, v[198:199], v[200:201], v[198:199]
	v_rcp_f64_e32 v[213:214], v[207:208]
	v_fma_f64 v[215:216], -v[207:208], v[213:214], 1.0
	v_fma_f64 v[213:214], v[213:214], v[215:216], v[213:214]
	v_fma_f64 v[215:216], -v[207:208], v[213:214], 1.0
	v_fma_f64 v[213:214], v[213:214], v[215:216], v[213:214]
	v_mul_f64 v[215:216], v[217:218], v[213:214]
	v_fma_f64 v[207:208], -v[207:208], v[215:216], v[217:218]
	v_div_fmas_f64 v[207:208], v[207:208], v[213:214], v[215:216]
	v_div_fixup_f64 v[207:208], v[207:208], v[200:201], v[198:199]
	v_fma_f64 v[198:199], v[198:199], v[207:208], v[200:201]
	v_div_scale_f64 v[200:201], null, v[198:199], v[198:199], 1.0
	v_rcp_f64_e32 v[213:214], v[200:201]
	v_fma_f64 v[215:216], -v[200:201], v[213:214], 1.0
	v_fma_f64 v[213:214], v[213:214], v[215:216], v[213:214]
	v_fma_f64 v[215:216], -v[200:201], v[213:214], 1.0
	v_fma_f64 v[213:214], v[213:214], v[215:216], v[213:214]
	v_div_scale_f64 v[215:216], vcc_lo, 1.0, v[198:199], 1.0
	v_mul_f64 v[217:218], v[215:216], v[213:214]
	v_fma_f64 v[200:201], -v[200:201], v[217:218], v[215:216]
	v_div_fmas_f64 v[200:201], v[200:201], v[213:214], v[217:218]
	v_div_fixup_f64 v[200:201], v[200:201], v[198:199], 1.0
	v_mul_f64 v[198:199], v[207:208], v[200:201]
	v_xor_b32_e32 v201, 0x80000000, v201
.LBB96_1015:
	s_andn2_saveexec_b32 s1, s1
	s_cbranch_execz .LBB96_1017
; %bb.1016:
	v_div_scale_f64 v[207:208], null, v[198:199], v[198:199], v[200:201]
	v_div_scale_f64 v[217:218], vcc_lo, v[200:201], v[198:199], v[200:201]
	v_rcp_f64_e32 v[213:214], v[207:208]
	v_fma_f64 v[215:216], -v[207:208], v[213:214], 1.0
	v_fma_f64 v[213:214], v[213:214], v[215:216], v[213:214]
	v_fma_f64 v[215:216], -v[207:208], v[213:214], 1.0
	v_fma_f64 v[213:214], v[213:214], v[215:216], v[213:214]
	v_mul_f64 v[215:216], v[217:218], v[213:214]
	v_fma_f64 v[207:208], -v[207:208], v[215:216], v[217:218]
	v_div_fmas_f64 v[207:208], v[207:208], v[213:214], v[215:216]
	v_div_fixup_f64 v[207:208], v[207:208], v[198:199], v[200:201]
	v_fma_f64 v[198:199], v[200:201], v[207:208], v[198:199]
	v_div_scale_f64 v[200:201], null, v[198:199], v[198:199], 1.0
	v_rcp_f64_e32 v[213:214], v[200:201]
	v_fma_f64 v[215:216], -v[200:201], v[213:214], 1.0
	v_fma_f64 v[213:214], v[213:214], v[215:216], v[213:214]
	v_fma_f64 v[215:216], -v[200:201], v[213:214], 1.0
	v_fma_f64 v[213:214], v[213:214], v[215:216], v[213:214]
	v_div_scale_f64 v[215:216], vcc_lo, 1.0, v[198:199], 1.0
	v_mul_f64 v[217:218], v[215:216], v[213:214]
	v_fma_f64 v[200:201], -v[200:201], v[217:218], v[215:216]
	v_div_fmas_f64 v[200:201], v[200:201], v[213:214], v[217:218]
	v_div_fixup_f64 v[198:199], v[200:201], v[198:199], 1.0
	v_mul_f64 v[200:201], v[207:208], -v[198:199]
.LBB96_1017:
	s_or_b32 exec_lo, exec_lo, s1
.LBB96_1018:
	s_or_b32 exec_lo, exec_lo, s0
	v_mov_b32_e32 v207, 48
	s_mov_b32 s0, exec_lo
	v_cmpx_ne_u32_e64 v212, v206
	s_cbranch_execz .LBB96_1024
; %bb.1019:
	s_mov_b32 s1, exec_lo
	v_cmpx_eq_u32_e32 48, v212
	s_cbranch_execz .LBB96_1023
; %bb.1020:
	v_cmp_ne_u32_e32 vcc_lo, 48, v206
	s_xor_b32 s7, s16, -1
	s_and_b32 s8, s7, vcc_lo
	s_and_saveexec_b32 s7, s8
	s_cbranch_execz .LBB96_1022
; %bb.1021:
	v_ashrrev_i32_e32 v207, 31, v206
	v_lshlrev_b64 v[0:1], 2, v[206:207]
	v_add_co_u32 v0, vcc_lo, v204, v0
	v_add_co_ci_u32_e64 v1, null, v205, v1, vcc_lo
	s_clause 0x1
	global_load_dword v207, v[0:1], off
	global_load_dword v208, v[204:205], off offset:192
	s_waitcnt vmcnt(1)
	global_store_dword v[204:205], v207, off offset:192
	s_waitcnt vmcnt(0)
	global_store_dword v[0:1], v208, off
.LBB96_1022:
	s_or_b32 exec_lo, exec_lo, s7
	v_mov_b32_e32 v212, v206
	v_mov_b32_e32 v0, v206
.LBB96_1023:
	s_or_b32 exec_lo, exec_lo, s1
	v_mov_b32_e32 v207, v212
.LBB96_1024:
	s_or_b32 exec_lo, exec_lo, s0
	s_mov_b32 s0, exec_lo
	s_waitcnt_vscnt null, 0x0
	s_barrier
	buffer_gl0_inv
	v_cmpx_lt_i32_e32 48, v207
	s_cbranch_execz .LBB96_1026
; %bb.1025:
	v_mul_f64 v[204:205], v[200:201], v[4:5]
	v_mul_f64 v[4:5], v[198:199], v[4:5]
	v_fma_f64 v[198:199], v[198:199], v[2:3], -v[204:205]
	v_fma_f64 v[4:5], v[200:201], v[2:3], v[4:5]
	v_mov_b32_e32 v2, v198
	v_mov_b32_e32 v3, v199
.LBB96_1026:
	s_or_b32 exec_lo, exec_lo, s0
	v_ashrrev_i32_e32 v208, 31, v207
	s_mov_b32 s0, exec_lo
	s_barrier
	buffer_gl0_inv
	v_cmpx_gt_i32_e32 49, v207
	s_cbranch_execz .LBB96_1028
; %bb.1027:
	v_mul_lo_u32 v1, s15, v202
	v_mul_lo_u32 v200, s14, v203
	v_mad_u64_u32 v[198:199], null, s14, v202, 0
	s_lshl_b64 s[8:9], s[12:13], 2
	v_add3_u32 v0, v0, s17, 1
	v_add3_u32 v199, v199, v200, v1
	v_lshlrev_b64 v[198:199], 2, v[198:199]
	v_add_co_u32 v1, vcc_lo, s10, v198
	v_add_co_ci_u32_e64 v200, null, s11, v199, vcc_lo
	v_lshlrev_b64 v[198:199], 2, v[207:208]
	v_add_co_u32 v1, vcc_lo, v1, s8
	v_add_co_ci_u32_e64 v200, null, s9, v200, vcc_lo
	v_add_co_u32 v198, vcc_lo, v1, v198
	v_add_co_ci_u32_e64 v199, null, v200, v199, vcc_lo
	global_store_dword v[198:199], v0, off
.LBB96_1028:
	s_or_b32 exec_lo, exec_lo, s0
	s_mov_b32 s1, exec_lo
	v_cmpx_eq_u32_e32 0, v207
	s_cbranch_execz .LBB96_1031
; %bb.1029:
	v_lshlrev_b64 v[0:1], 2, v[202:203]
	v_cmp_ne_u32_e64 s0, 0, v211
	v_add_co_u32 v0, vcc_lo, s4, v0
	v_add_co_ci_u32_e64 v1, null, s5, v1, vcc_lo
	global_load_dword v198, v[0:1], off
	s_waitcnt vmcnt(0)
	v_cmp_eq_u32_e32 vcc_lo, 0, v198
	s_and_b32 s0, vcc_lo, s0
	s_and_b32 exec_lo, exec_lo, s0
	s_cbranch_execz .LBB96_1031
; %bb.1030:
	v_add_nc_u32_e32 v198, s17, v211
	global_store_dword v[0:1], v198, off
.LBB96_1031:
	s_or_b32 exec_lo, exec_lo, s1
	v_lshlrev_b64 v[198:199], 4, v[207:208]
	v_add3_u32 v0, s6, s6, v207
	v_add_nc_u32_e32 v200, s6, v0
	v_add_co_u32 v198, vcc_lo, v209, v198
	v_add_co_ci_u32_e64 v199, null, v210, v199, vcc_lo
	v_ashrrev_i32_e32 v1, 31, v0
	v_add_co_u32 v202, vcc_lo, v198, s2
	v_add_co_ci_u32_e64 v203, null, s3, v199, vcc_lo
	global_store_dwordx4 v[198:199], v[194:197], off
	v_ashrrev_i32_e32 v201, 31, v200
	v_lshlrev_b64 v[0:1], 4, v[0:1]
	global_store_dwordx4 v[202:203], v[190:193], off
	v_add_nc_u32_e32 v190, s6, v200
	v_lshlrev_b64 v[194:195], 4, v[200:201]
	v_add_co_u32 v0, vcc_lo, v209, v0
	v_add_nc_u32_e32 v192, s6, v190
	v_ashrrev_i32_e32 v191, 31, v190
	v_add_co_ci_u32_e64 v1, null, v210, v1, vcc_lo
	v_add_co_u32 v194, vcc_lo, v209, v194
	v_add_nc_u32_e32 v196, s6, v192
	v_ashrrev_i32_e32 v193, 31, v192
	v_add_co_ci_u32_e64 v195, null, v210, v195, vcc_lo
	v_lshlrev_b64 v[190:191], 4, v[190:191]
	v_ashrrev_i32_e32 v197, 31, v196
	global_store_dwordx4 v[0:1], v[166:169], off
	global_store_dwordx4 v[194:195], v[162:165], off
	v_lshlrev_b64 v[0:1], 4, v[192:193]
	v_add_nc_u32_e32 v166, s6, v196
	v_lshlrev_b64 v[164:165], 4, v[196:197]
	v_add_co_u32 v162, vcc_lo, v209, v190
	v_add_co_ci_u32_e64 v163, null, v210, v191, vcc_lo
	v_add_co_u32 v0, vcc_lo, v209, v0
	v_add_co_ci_u32_e64 v1, null, v210, v1, vcc_lo
	v_ashrrev_i32_e32 v167, 31, v166
	v_add_co_u32 v164, vcc_lo, v209, v164
	v_add_nc_u32_e32 v168, s6, v166
	v_add_co_ci_u32_e64 v165, null, v210, v165, vcc_lo
	global_store_dwordx4 v[162:163], v[154:157], off
	v_lshlrev_b64 v[154:155], 4, v[166:167]
	v_ashrrev_i32_e32 v169, 31, v168
	global_store_dwordx4 v[0:1], v[150:153], off
	global_store_dwordx4 v[164:165], v[158:161], off
	v_add_nc_u32_e32 v150, s6, v168
	v_lshlrev_b64 v[0:1], 4, v[168:169]
	v_add_co_u32 v152, vcc_lo, v209, v154
	v_add_nc_u32_e32 v154, s6, v150
	v_ashrrev_i32_e32 v151, 31, v150
	v_add_co_ci_u32_e64 v153, null, v210, v155, vcc_lo
	v_add_co_u32 v0, vcc_lo, v209, v0
	v_add_nc_u32_e32 v156, s6, v154
	v_add_co_ci_u32_e64 v1, null, v210, v1, vcc_lo
	v_ashrrev_i32_e32 v155, 31, v154
	v_lshlrev_b64 v[150:151], 4, v[150:151]
	v_ashrrev_i32_e32 v157, 31, v156
	global_store_dwordx4 v[152:153], v[134:137], off
	global_store_dwordx4 v[0:1], v[138:141], off
	v_add_nc_u32_e32 v138, s6, v156
	v_lshlrev_b64 v[0:1], 4, v[154:155]
	v_add_co_u32 v134, vcc_lo, v209, v150
	v_lshlrev_b64 v[136:137], 4, v[156:157]
	v_add_co_ci_u32_e64 v135, null, v210, v151, vcc_lo
	v_add_nc_u32_e32 v140, s6, v138
	v_add_co_u32 v0, vcc_lo, v209, v0
	v_add_co_ci_u32_e64 v1, null, v210, v1, vcc_lo
	v_ashrrev_i32_e32 v139, 31, v138
	v_add_co_u32 v136, vcc_lo, v209, v136
	global_store_dwordx4 v[134:135], v[110:113], off
	v_add_nc_u32_e32 v112, s6, v140
	v_add_co_ci_u32_e64 v137, null, v210, v137, vcc_lo
	v_ashrrev_i32_e32 v141, 31, v140
	v_lshlrev_b64 v[110:111], 4, v[138:139]
	global_store_dwordx4 v[0:1], v[118:121], off
	global_store_dwordx4 v[136:137], v[114:117], off
	v_add_nc_u32_e32 v114, s6, v112
	v_ashrrev_i32_e32 v113, 31, v112
	v_lshlrev_b64 v[0:1], 4, v[140:141]
	v_add_co_u32 v110, vcc_lo, v209, v110
	v_add_nc_u32_e32 v116, s6, v114
	v_add_co_ci_u32_e64 v111, null, v210, v111, vcc_lo
	v_add_co_u32 v0, vcc_lo, v209, v0
	v_lshlrev_b64 v[112:113], 4, v[112:113]
	v_ashrrev_i32_e32 v115, 31, v114
	v_add_co_ci_u32_e64 v1, null, v210, v1, vcc_lo
	v_ashrrev_i32_e32 v117, 31, v116
	global_store_dwordx4 v[110:111], v[186:189], off
	global_store_dwordx4 v[0:1], v[182:185], off
	v_lshlrev_b64 v[0:1], 4, v[114:115]
	v_add_co_u32 v110, vcc_lo, v209, v112
	v_add_co_ci_u32_e64 v111, null, v210, v113, vcc_lo
	v_lshlrev_b64 v[112:113], 4, v[116:117]
	v_add_nc_u32_e32 v114, s6, v116
	v_add_co_u32 v0, vcc_lo, v209, v0
	v_add_co_ci_u32_e64 v1, null, v210, v1, vcc_lo
	v_add_co_u32 v112, vcc_lo, v209, v112
	v_add_nc_u32_e32 v116, s6, v114
	v_add_co_ci_u32_e64 v113, null, v210, v113, vcc_lo
	v_ashrrev_i32_e32 v115, 31, v114
	global_store_dwordx4 v[110:111], v[178:181], off
	global_store_dwordx4 v[0:1], v[174:177], off
	;; [unrolled: 1-line block ×3, first 2 shown]
	v_add_nc_u32_e32 v112, s6, v116
	v_ashrrev_i32_e32 v117, 31, v116
	v_lshlrev_b64 v[110:111], 4, v[114:115]
	v_add_nc_u32_e32 v114, s6, v112
	v_lshlrev_b64 v[0:1], 4, v[116:117]
	v_ashrrev_i32_e32 v113, 31, v112
	v_add_co_u32 v110, vcc_lo, v209, v110
	v_add_nc_u32_e32 v116, s6, v114
	v_add_co_ci_u32_e64 v111, null, v210, v111, vcc_lo
	v_add_co_u32 v0, vcc_lo, v209, v0
	v_lshlrev_b64 v[112:113], 4, v[112:113]
	v_ashrrev_i32_e32 v115, 31, v114
	v_add_co_ci_u32_e64 v1, null, v210, v1, vcc_lo
	v_ashrrev_i32_e32 v117, 31, v116
	global_store_dwordx4 v[110:111], v[146:149], off
	global_store_dwordx4 v[0:1], v[142:145], off
	v_lshlrev_b64 v[0:1], 4, v[114:115]
	v_add_co_u32 v110, vcc_lo, v209, v112
	v_add_co_ci_u32_e64 v111, null, v210, v113, vcc_lo
	v_lshlrev_b64 v[112:113], 4, v[116:117]
	v_add_nc_u32_e32 v114, s6, v116
	v_add_co_u32 v0, vcc_lo, v209, v0
	v_add_co_ci_u32_e64 v1, null, v210, v1, vcc_lo
	v_add_co_u32 v112, vcc_lo, v209, v112
	v_add_nc_u32_e32 v116, s6, v114
	v_add_co_ci_u32_e64 v113, null, v210, v113, vcc_lo
	v_ashrrev_i32_e32 v115, 31, v114
	global_store_dwordx4 v[110:111], v[130:133], off
	global_store_dwordx4 v[0:1], v[126:129], off
	global_store_dwordx4 v[112:113], v[122:125], off
	v_add_nc_u32_e32 v112, s6, v116
	v_ashrrev_i32_e32 v117, 31, v116
	v_lshlrev_b64 v[110:111], 4, v[114:115]
	v_add_nc_u32_e32 v114, s6, v112
	v_lshlrev_b64 v[0:1], 4, v[116:117]
	v_ashrrev_i32_e32 v113, 31, v112
	v_add_co_u32 v110, vcc_lo, v209, v110
	v_add_nc_u32_e32 v116, s6, v114
	v_add_co_ci_u32_e64 v111, null, v210, v111, vcc_lo
	v_add_co_u32 v0, vcc_lo, v209, v0
	v_ashrrev_i32_e32 v115, 31, v114
	v_add_co_ci_u32_e64 v1, null, v210, v1, vcc_lo
	v_ashrrev_i32_e32 v117, 31, v116
	v_lshlrev_b64 v[112:113], 4, v[112:113]
	global_store_dwordx4 v[110:111], v[106:109], off
	global_store_dwordx4 v[0:1], v[102:105], off
	v_lshlrev_b64 v[0:1], 4, v[114:115]
	v_add_nc_u32_e32 v106, s6, v116
	v_lshlrev_b64 v[104:105], 4, v[116:117]
	v_add_co_u32 v102, vcc_lo, v209, v112
	v_add_co_ci_u32_e64 v103, null, v210, v113, vcc_lo
	v_add_co_u32 v0, vcc_lo, v209, v0
	v_add_co_ci_u32_e64 v1, null, v210, v1, vcc_lo
	v_add_co_u32 v104, vcc_lo, v209, v104
	v_add_nc_u32_e32 v108, s6, v106
	v_add_co_ci_u32_e64 v105, null, v210, v105, vcc_lo
	v_ashrrev_i32_e32 v107, 31, v106
	global_store_dwordx4 v[102:103], v[98:101], off
	global_store_dwordx4 v[0:1], v[94:97], off
	global_store_dwordx4 v[104:105], v[90:93], off
	v_add_nc_u32_e32 v90, s6, v108
	v_ashrrev_i32_e32 v109, 31, v108
	v_lshlrev_b64 v[98:99], 4, v[106:107]
	v_add_nc_u32_e32 v94, s6, v90
	v_lshlrev_b64 v[0:1], 4, v[108:109]
	v_ashrrev_i32_e32 v91, 31, v90
	v_add_co_u32 v92, vcc_lo, v209, v98
	v_add_nc_u32_e32 v96, s6, v94
	v_add_co_ci_u32_e64 v93, null, v210, v99, vcc_lo
	v_add_co_u32 v0, vcc_lo, v209, v0
	v_ashrrev_i32_e32 v95, 31, v94
	v_add_co_ci_u32_e64 v1, null, v210, v1, vcc_lo
	v_ashrrev_i32_e32 v97, 31, v96
	v_lshlrev_b64 v[90:91], 4, v[90:91]
	global_store_dwordx4 v[92:93], v[86:89], off
	global_store_dwordx4 v[0:1], v[82:85], off
	v_lshlrev_b64 v[0:1], 4, v[94:95]
	v_add_nc_u32_e32 v86, s6, v96
	v_lshlrev_b64 v[84:85], 4, v[96:97]
	v_add_co_u32 v82, vcc_lo, v209, v90
	v_add_co_ci_u32_e64 v83, null, v210, v91, vcc_lo
	;; [unrolled: 30-line block ×4, first 2 shown]
	v_add_co_u32 v0, vcc_lo, v209, v0
	v_add_nc_u32_e32 v48, s6, v46
	v_add_co_ci_u32_e64 v1, null, v210, v1, vcc_lo
	v_add_co_u32 v44, vcc_lo, v209, v44
	v_ashrrev_i32_e32 v47, 31, v46
	v_add_co_ci_u32_e64 v45, null, v210, v45, vcc_lo
	v_ashrrev_i32_e32 v49, 31, v48
	global_store_dwordx4 v[42:43], v[38:41], off
	v_lshlrev_b64 v[38:39], 4, v[46:47]
	global_store_dwordx4 v[0:1], v[34:37], off
	global_store_dwordx4 v[44:45], v[30:33], off
	v_add_nc_u32_e32 v30, s6, v48
	v_lshlrev_b64 v[0:1], 4, v[48:49]
	v_add_co_u32 v32, vcc_lo, v209, v38
	v_add_nc_u32_e32 v34, s6, v30
	v_add_co_ci_u32_e64 v33, null, v210, v39, vcc_lo
	v_add_co_u32 v0, vcc_lo, v209, v0
	v_add_co_ci_u32_e64 v1, null, v210, v1, vcc_lo
	v_add_nc_u32_e32 v36, s6, v34
	v_ashrrev_i32_e32 v31, 31, v30
	global_store_dwordx4 v[32:33], v[26:29], off
	global_store_dwordx4 v[0:1], v[22:25], off
	v_ashrrev_i32_e32 v35, 31, v34
	v_add_nc_u32_e32 v22, s6, v36
	v_lshlrev_b64 v[26:27], 4, v[30:31]
	v_ashrrev_i32_e32 v37, 31, v36
	v_lshlrev_b64 v[0:1], 4, v[34:35]
	v_add_nc_u32_e32 v28, s6, v22
	v_ashrrev_i32_e32 v23, 31, v22
	v_add_co_u32 v24, vcc_lo, v209, v26
	v_add_co_ci_u32_e64 v25, null, v210, v27, vcc_lo
	v_ashrrev_i32_e32 v29, 31, v28
	v_lshlrev_b64 v[26:27], 4, v[36:37]
	v_lshlrev_b64 v[22:23], 4, v[22:23]
	v_add_co_u32 v0, vcc_lo, v209, v0
	v_lshlrev_b64 v[28:29], 4, v[28:29]
	v_add_co_ci_u32_e64 v1, null, v210, v1, vcc_lo
	v_add_co_u32 v26, vcc_lo, v209, v26
	v_add_co_ci_u32_e64 v27, null, v210, v27, vcc_lo
	v_add_co_u32 v22, vcc_lo, v209, v22
	v_add_co_ci_u32_e64 v23, null, v210, v23, vcc_lo
	v_add_co_u32 v28, vcc_lo, v209, v28
	v_add_co_ci_u32_e64 v29, null, v210, v29, vcc_lo
	global_store_dwordx4 v[24:25], v[18:21], off
	global_store_dwordx4 v[0:1], v[14:17], off
	;; [unrolled: 1-line block ×5, first 2 shown]
.LBB96_1032:
	s_endpgm
	.section	.rodata,"a",@progbits
	.p2align	6, 0x0
	.amdhsa_kernel _ZN9rocsolver6v33100L18getf2_small_kernelILi49E19rocblas_complex_numIdEiiPS3_EEvT1_T3_lS5_lPS5_llPT2_S5_S5_S7_l
		.amdhsa_group_segment_fixed_size 0
		.amdhsa_private_segment_fixed_size 0
		.amdhsa_kernarg_size 352
		.amdhsa_user_sgpr_count 6
		.amdhsa_user_sgpr_private_segment_buffer 1
		.amdhsa_user_sgpr_dispatch_ptr 0
		.amdhsa_user_sgpr_queue_ptr 0
		.amdhsa_user_sgpr_kernarg_segment_ptr 1
		.amdhsa_user_sgpr_dispatch_id 0
		.amdhsa_user_sgpr_flat_scratch_init 0
		.amdhsa_user_sgpr_private_segment_size 0
		.amdhsa_wavefront_size32 1
		.amdhsa_uses_dynamic_stack 0
		.amdhsa_system_sgpr_private_segment_wavefront_offset 0
		.amdhsa_system_sgpr_workgroup_id_x 1
		.amdhsa_system_sgpr_workgroup_id_y 1
		.amdhsa_system_sgpr_workgroup_id_z 0
		.amdhsa_system_sgpr_workgroup_info 0
		.amdhsa_system_vgpr_workitem_id 1
		.amdhsa_next_free_vgpr 247
		.amdhsa_next_free_sgpr 20
		.amdhsa_reserve_vcc 1
		.amdhsa_reserve_flat_scratch 0
		.amdhsa_float_round_mode_32 0
		.amdhsa_float_round_mode_16_64 0
		.amdhsa_float_denorm_mode_32 3
		.amdhsa_float_denorm_mode_16_64 3
		.amdhsa_dx10_clamp 1
		.amdhsa_ieee_mode 1
		.amdhsa_fp16_overflow 0
		.amdhsa_workgroup_processor_mode 1
		.amdhsa_memory_ordered 1
		.amdhsa_forward_progress 1
		.amdhsa_shared_vgpr_count 0
		.amdhsa_exception_fp_ieee_invalid_op 0
		.amdhsa_exception_fp_denorm_src 0
		.amdhsa_exception_fp_ieee_div_zero 0
		.amdhsa_exception_fp_ieee_overflow 0
		.amdhsa_exception_fp_ieee_underflow 0
		.amdhsa_exception_fp_ieee_inexact 0
		.amdhsa_exception_int_div_zero 0
	.end_amdhsa_kernel
	.section	.text._ZN9rocsolver6v33100L18getf2_small_kernelILi49E19rocblas_complex_numIdEiiPS3_EEvT1_T3_lS5_lPS5_llPT2_S5_S5_S7_l,"axG",@progbits,_ZN9rocsolver6v33100L18getf2_small_kernelILi49E19rocblas_complex_numIdEiiPS3_EEvT1_T3_lS5_lPS5_llPT2_S5_S5_S7_l,comdat
.Lfunc_end96:
	.size	_ZN9rocsolver6v33100L18getf2_small_kernelILi49E19rocblas_complex_numIdEiiPS3_EEvT1_T3_lS5_lPS5_llPT2_S5_S5_S7_l, .Lfunc_end96-_ZN9rocsolver6v33100L18getf2_small_kernelILi49E19rocblas_complex_numIdEiiPS3_EEvT1_T3_lS5_lPS5_llPT2_S5_S5_S7_l
                                        ; -- End function
	.set _ZN9rocsolver6v33100L18getf2_small_kernelILi49E19rocblas_complex_numIdEiiPS3_EEvT1_T3_lS5_lPS5_llPT2_S5_S5_S7_l.num_vgpr, 247
	.set _ZN9rocsolver6v33100L18getf2_small_kernelILi49E19rocblas_complex_numIdEiiPS3_EEvT1_T3_lS5_lPS5_llPT2_S5_S5_S7_l.num_agpr, 0
	.set _ZN9rocsolver6v33100L18getf2_small_kernelILi49E19rocblas_complex_numIdEiiPS3_EEvT1_T3_lS5_lPS5_llPT2_S5_S5_S7_l.numbered_sgpr, 20
	.set _ZN9rocsolver6v33100L18getf2_small_kernelILi49E19rocblas_complex_numIdEiiPS3_EEvT1_T3_lS5_lPS5_llPT2_S5_S5_S7_l.num_named_barrier, 0
	.set _ZN9rocsolver6v33100L18getf2_small_kernelILi49E19rocblas_complex_numIdEiiPS3_EEvT1_T3_lS5_lPS5_llPT2_S5_S5_S7_l.private_seg_size, 0
	.set _ZN9rocsolver6v33100L18getf2_small_kernelILi49E19rocblas_complex_numIdEiiPS3_EEvT1_T3_lS5_lPS5_llPT2_S5_S5_S7_l.uses_vcc, 1
	.set _ZN9rocsolver6v33100L18getf2_small_kernelILi49E19rocblas_complex_numIdEiiPS3_EEvT1_T3_lS5_lPS5_llPT2_S5_S5_S7_l.uses_flat_scratch, 0
	.set _ZN9rocsolver6v33100L18getf2_small_kernelILi49E19rocblas_complex_numIdEiiPS3_EEvT1_T3_lS5_lPS5_llPT2_S5_S5_S7_l.has_dyn_sized_stack, 0
	.set _ZN9rocsolver6v33100L18getf2_small_kernelILi49E19rocblas_complex_numIdEiiPS3_EEvT1_T3_lS5_lPS5_llPT2_S5_S5_S7_l.has_recursion, 0
	.set _ZN9rocsolver6v33100L18getf2_small_kernelILi49E19rocblas_complex_numIdEiiPS3_EEvT1_T3_lS5_lPS5_llPT2_S5_S5_S7_l.has_indirect_call, 0
	.section	.AMDGPU.csdata,"",@progbits
; Kernel info:
; codeLenInByte = 132504
; TotalNumSgprs: 22
; NumVgprs: 247
; ScratchSize: 0
; MemoryBound: 0
; FloatMode: 240
; IeeeMode: 1
; LDSByteSize: 0 bytes/workgroup (compile time only)
; SGPRBlocks: 0
; VGPRBlocks: 30
; NumSGPRsForWavesPerEU: 22
; NumVGPRsForWavesPerEU: 247
; Occupancy: 4
; WaveLimiterHint : 0
; COMPUTE_PGM_RSRC2:SCRATCH_EN: 0
; COMPUTE_PGM_RSRC2:USER_SGPR: 6
; COMPUTE_PGM_RSRC2:TRAP_HANDLER: 0
; COMPUTE_PGM_RSRC2:TGID_X_EN: 1
; COMPUTE_PGM_RSRC2:TGID_Y_EN: 1
; COMPUTE_PGM_RSRC2:TGID_Z_EN: 0
; COMPUTE_PGM_RSRC2:TIDIG_COMP_CNT: 1
	.section	.text._ZN9rocsolver6v33100L23getf2_npvt_small_kernelILi49E19rocblas_complex_numIdEiiPS3_EEvT1_T3_lS5_lPT2_S5_S5_,"axG",@progbits,_ZN9rocsolver6v33100L23getf2_npvt_small_kernelILi49E19rocblas_complex_numIdEiiPS3_EEvT1_T3_lS5_lPT2_S5_S5_,comdat
	.globl	_ZN9rocsolver6v33100L23getf2_npvt_small_kernelILi49E19rocblas_complex_numIdEiiPS3_EEvT1_T3_lS5_lPT2_S5_S5_ ; -- Begin function _ZN9rocsolver6v33100L23getf2_npvt_small_kernelILi49E19rocblas_complex_numIdEiiPS3_EEvT1_T3_lS5_lPT2_S5_S5_
	.p2align	8
	.type	_ZN9rocsolver6v33100L23getf2_npvt_small_kernelILi49E19rocblas_complex_numIdEiiPS3_EEvT1_T3_lS5_lPT2_S5_S5_,@function
_ZN9rocsolver6v33100L23getf2_npvt_small_kernelILi49E19rocblas_complex_numIdEiiPS3_EEvT1_T3_lS5_lPT2_S5_S5_: ; @_ZN9rocsolver6v33100L23getf2_npvt_small_kernelILi49E19rocblas_complex_numIdEiiPS3_EEvT1_T3_lS5_lPT2_S5_S5_
; %bb.0:
	s_mov_b64 s[18:19], s[2:3]
	s_mov_b64 s[16:17], s[0:1]
	s_clause 0x1
	s_load_dword s0, s[4:5], 0x44
	s_load_dwordx2 s[12:13], s[4:5], 0x30
	s_add_u32 s16, s16, s8
	s_addc_u32 s17, s17, 0
	s_waitcnt lgkmcnt(0)
	s_lshr_b32 s14, s0, 16
	s_mov_b32 s0, exec_lo
	v_mad_u64_u32 v[2:3], null, s7, s14, v[1:2]
	v_cmpx_gt_i32_e64 s12, v2
	s_cbranch_execz .LBB97_446
; %bb.1:
	s_clause 0x2
	s_load_dwordx4 s[8:11], s[4:5], 0x20
	s_load_dword s6, s[4:5], 0x18
	s_load_dwordx4 s[0:3], s[4:5], 0x8
	v_ashrrev_i32_e32 v3, 31, v2
	v_mad_u32_u24 v253, 0x310, v1, 0
	v_lshlrev_b32_e32 v1, 4, v1
	s_mulk_i32 s14, 0x310
	v_add3_u32 v255, 0, s14, v1
	s_waitcnt lgkmcnt(0)
	v_mul_lo_u32 v5, s9, v2
	v_mul_lo_u32 v7, s8, v3
	buffer_store_dword v2, off, s[16:19], 0 offset:1000 ; 4-byte Folded Spill
	buffer_store_dword v3, off, s[16:19], 0 offset:1004 ; 4-byte Folded Spill
	v_add3_u32 v4, s6, s6, v0
	s_lshl_b64 s[2:3], s[2:3], 4
	s_ashr_i32 s7, s6, 31
	v_add_nc_u32_e32 v6, s6, v4
	v_add_nc_u32_e32 v8, s6, v6
	;; [unrolled: 1-line block ×3, first 2 shown]
	v_ashrrev_i32_e32 v9, 31, v8
	v_add_nc_u32_e32 v12, s6, v10
	v_ashrrev_i32_e32 v11, 31, v10
	v_lshlrev_b64 v[8:9], 4, v[8:9]
	v_add_nc_u32_e32 v14, s6, v12
	v_ashrrev_i32_e32 v13, 31, v12
	v_lshlrev_b64 v[10:11], 4, v[10:11]
	v_ashrrev_i32_e32 v15, 31, v14
	v_mad_u64_u32 v[2:3], null, s8, v2, 0
	v_add3_u32 v3, v3, v7, v5
	v_ashrrev_i32_e32 v5, 31, v4
	v_ashrrev_i32_e32 v7, 31, v6
	v_lshlrev_b64 v[2:3], 4, v[2:3]
	v_lshlrev_b64 v[4:5], 4, v[4:5]
	;; [unrolled: 1-line block ×3, first 2 shown]
	v_add_co_u32 v2, vcc_lo, s0, v2
	v_add_co_ci_u32_e64 v3, null, s1, v3, vcc_lo
	s_lshl_b64 s[0:1], s[6:7], 4
	v_add_co_u32 v2, vcc_lo, v2, s2
	v_add_co_ci_u32_e64 v3, null, s3, v3, vcc_lo
	v_add_co_u32 v62, vcc_lo, v2, v4
	v_add_co_ci_u32_e64 v63, null, v3, v5, vcc_lo
	v_add_co_u32 v58, vcc_lo, v2, v6
	v_add_nc_u32_e32 v6, s6, v14
	v_lshlrev_b64 v[4:5], 4, v[12:13]
	v_add_co_ci_u32_e64 v59, null, v3, v7, vcc_lo
	v_add_co_u32 v60, vcc_lo, v2, v8
	v_add_co_ci_u32_e64 v61, null, v3, v9, vcc_lo
	v_add_co_u32 v64, vcc_lo, v2, v10
	v_ashrrev_i32_e32 v7, 31, v6
	v_add_nc_u32_e32 v10, s6, v6
	v_lshlrev_b64 v[8:9], 4, v[14:15]
	v_add_co_ci_u32_e64 v65, null, v3, v11, vcc_lo
	v_add_co_u32 v66, vcc_lo, v2, v4
	v_add_co_ci_u32_e64 v67, null, v3, v5, vcc_lo
	v_lshlrev_b64 v[4:5], 4, v[6:7]
	v_ashrrev_i32_e32 v11, 31, v10
	v_add_nc_u32_e32 v6, s6, v10
	v_add_co_u32 v68, vcc_lo, v2, v8
	v_add_co_ci_u32_e64 v69, null, v3, v9, vcc_lo
	v_lshlrev_b64 v[8:9], 4, v[10:11]
	v_ashrrev_i32_e32 v7, 31, v6
	v_add_nc_u32_e32 v10, s6, v6
	;; [unrolled: 5-line block ×38, first 2 shown]
	v_add_co_u32 v209, vcc_lo, v2, v4
	v_add_co_ci_u32_e64 v210, null, v3, v5, vcc_lo
	v_lshlrev_b64 v[4:5], 4, v[6:7]
	v_add_nc_u32_e32 v6, s6, v10
	v_ashrrev_i32_e32 v11, 31, v10
	v_add_co_u32 v213, vcc_lo, v2, v8
	v_add_co_ci_u32_e64 v214, null, v3, v9, vcc_lo
	v_ashrrev_i32_e32 v7, 31, v6
	v_lshlrev_b64 v[8:9], 4, v[10:11]
	v_add_co_u32 v10, vcc_lo, v2, v4
	v_add_co_ci_u32_e64 v11, null, v3, v5, vcc_lo
	v_lshlrev_b64 v[4:5], 4, v[6:7]
	v_lshlrev_b32_e32 v6, 4, v0
	v_add_co_u32 v7, vcc_lo, v2, v8
	v_add_co_ci_u32_e64 v8, null, v3, v9, vcc_lo
	v_add_co_u32 v211, vcc_lo, v2, v4
	v_add_co_ci_u32_e64 v212, null, v3, v5, vcc_lo
	;; [unrolled: 2-line block ×4, first 2 shown]
	buffer_store_dword v2, off, s[16:19], 0 offset:336 ; 4-byte Folded Spill
	buffer_store_dword v3, off, s[16:19], 0 offset:340 ; 4-byte Folded Spill
	v_cmp_ne_u32_e64 s1, 0, v0
	v_cmp_eq_u32_e64 s0, 0, v0
	global_load_dwordx4 v[54:57], v[2:3], off
	s_waitcnt vmcnt(0)
	buffer_store_dword v54, off, s[16:19], 0 offset:48 ; 4-byte Folded Spill
	buffer_store_dword v55, off, s[16:19], 0 offset:52 ; 4-byte Folded Spill
	buffer_store_dword v56, off, s[16:19], 0 offset:56 ; 4-byte Folded Spill
	buffer_store_dword v57, off, s[16:19], 0 offset:60 ; 4-byte Folded Spill
	buffer_store_dword v4, off, s[16:19], 0 offset:344 ; 4-byte Folded Spill
	buffer_store_dword v5, off, s[16:19], 0 offset:348 ; 4-byte Folded Spill
	global_load_dwordx4 v[1:4], v[4:5], off
	s_waitcnt vmcnt(0)
	buffer_store_dword v1, off, s[16:19], 0 offset:32 ; 4-byte Folded Spill
	buffer_store_dword v2, off, s[16:19], 0 offset:36 ; 4-byte Folded Spill
	buffer_store_dword v3, off, s[16:19], 0 offset:40 ; 4-byte Folded Spill
	buffer_store_dword v4, off, s[16:19], 0 offset:44 ; 4-byte Folded Spill
	buffer_store_dword v62, off, s[16:19], 0 offset:392 ; 4-byte Folded Spill
	buffer_store_dword v63, off, s[16:19], 0 offset:396 ; 4-byte Folded Spill
	;; [unrolled: 8-line block ×3, first 2 shown]
	global_load_dwordx4 v[181:184], v[58:59], off
	buffer_store_dword v60, off, s[16:19], 0 offset:368 ; 4-byte Folded Spill
	buffer_store_dword v61, off, s[16:19], 0 offset:372 ; 4-byte Folded Spill
	global_load_dwordx4 v[1:4], v[60:61], off
	s_waitcnt vmcnt(0)
	buffer_store_dword v1, off, s[16:19], 0 ; 4-byte Folded Spill
	buffer_store_dword v2, off, s[16:19], 0 offset:4 ; 4-byte Folded Spill
	buffer_store_dword v3, off, s[16:19], 0 offset:8 ; 4-byte Folded Spill
	;; [unrolled: 1-line block ×5, first 2 shown]
	global_load_dwordx4 v[173:176], v[64:65], off
	buffer_store_dword v66, off, s[16:19], 0 offset:456 ; 4-byte Folded Spill
	buffer_store_dword v67, off, s[16:19], 0 offset:460 ; 4-byte Folded Spill
	global_load_dwordx4 v[241:244], v[66:67], off
	buffer_store_dword v68, off, s[16:19], 0 offset:448 ; 4-byte Folded Spill
	buffer_store_dword v69, off, s[16:19], 0 offset:452 ; 4-byte Folded Spill
	global_load_dwordx4 v[165:168], v[68:69], off
	buffer_store_dword v12, off, s[16:19], 0 offset:64 ; 4-byte Folded Spill
	buffer_store_dword v13, off, s[16:19], 0 offset:68 ; 4-byte Folded Spill
	global_load_dwordx4 v[161:164], v[12:13], off
	buffer_store_dword v76, off, s[16:19], 0 offset:488 ; 4-byte Folded Spill
	buffer_store_dword v77, off, s[16:19], 0 offset:492 ; 4-byte Folded Spill
	global_load_dwordx4 v[157:160], v[76:77], off
	buffer_store_dword v78, off, s[16:19], 0 offset:496 ; 4-byte Folded Spill
	buffer_store_dword v79, off, s[16:19], 0 offset:500 ; 4-byte Folded Spill
	global_load_dwordx4 v[153:156], v[78:79], off
	buffer_store_dword v70, off, s[16:19], 0 offset:472 ; 4-byte Folded Spill
	buffer_store_dword v71, off, s[16:19], 0 offset:476 ; 4-byte Folded Spill
	global_load_dwordx4 v[149:152], v[70:71], off
	buffer_store_dword v72, off, s[16:19], 0 offset:464 ; 4-byte Folded Spill
	buffer_store_dword v73, off, s[16:19], 0 offset:468 ; 4-byte Folded Spill
	global_load_dwordx4 v[145:148], v[72:73], off
	buffer_store_dword v14, off, s[16:19], 0 offset:72 ; 4-byte Folded Spill
	buffer_store_dword v15, off, s[16:19], 0 offset:76 ; 4-byte Folded Spill
	global_load_dwordx4 v[141:144], v[14:15], off
	buffer_store_dword v80, off, s[16:19], 0 offset:992 ; 4-byte Folded Spill
	buffer_store_dword v81, off, s[16:19], 0 offset:996 ; 4-byte Folded Spill
	global_load_dwordx4 v[137:140], v[80:81], off
	buffer_store_dword v82, off, s[16:19], 0 offset:984 ; 4-byte Folded Spill
	buffer_store_dword v83, off, s[16:19], 0 offset:988 ; 4-byte Folded Spill
	global_load_dwordx4 v[133:136], v[82:83], off
	buffer_store_dword v74, off, s[16:19], 0 offset:480 ; 4-byte Folded Spill
	buffer_store_dword v75, off, s[16:19], 0 offset:484 ; 4-byte Folded Spill
	global_load_dwordx4 v[129:132], v[74:75], off
	buffer_store_dword v16, off, s[16:19], 0 offset:80 ; 4-byte Folded Spill
	buffer_store_dword v17, off, s[16:19], 0 offset:84 ; 4-byte Folded Spill
	global_load_dwordx4 v[125:128], v[16:17], off
	buffer_store_dword v18, off, s[16:19], 0 offset:88 ; 4-byte Folded Spill
	buffer_store_dword v19, off, s[16:19], 0 offset:92 ; 4-byte Folded Spill
	global_load_dwordx4 v[121:124], v[18:19], off
	buffer_store_dword v20, off, s[16:19], 0 offset:96 ; 4-byte Folded Spill
	buffer_store_dword v21, off, s[16:19], 0 offset:100 ; 4-byte Folded Spill
	global_load_dwordx4 v[117:120], v[20:21], off
	buffer_store_dword v22, off, s[16:19], 0 offset:104 ; 4-byte Folded Spill
	buffer_store_dword v23, off, s[16:19], 0 offset:108 ; 4-byte Folded Spill
	global_load_dwordx4 v[113:116], v[22:23], off
	buffer_store_dword v24, off, s[16:19], 0 offset:112 ; 4-byte Folded Spill
	buffer_store_dword v25, off, s[16:19], 0 offset:116 ; 4-byte Folded Spill
	global_load_dwordx4 v[109:112], v[24:25], off
	buffer_store_dword v26, off, s[16:19], 0 offset:120 ; 4-byte Folded Spill
	buffer_store_dword v27, off, s[16:19], 0 offset:124 ; 4-byte Folded Spill
	global_load_dwordx4 v[105:108], v[26:27], off
	buffer_store_dword v28, off, s[16:19], 0 offset:128 ; 4-byte Folded Spill
	buffer_store_dword v29, off, s[16:19], 0 offset:132 ; 4-byte Folded Spill
	global_load_dwordx4 v[101:104], v[28:29], off
	buffer_store_dword v30, off, s[16:19], 0 offset:136 ; 4-byte Folded Spill
	buffer_store_dword v31, off, s[16:19], 0 offset:140 ; 4-byte Folded Spill
	global_load_dwordx4 v[97:100], v[30:31], off
	buffer_store_dword v32, off, s[16:19], 0 offset:144 ; 4-byte Folded Spill
	buffer_store_dword v33, off, s[16:19], 0 offset:148 ; 4-byte Folded Spill
	global_load_dwordx4 v[93:96], v[32:33], off
	buffer_store_dword v34, off, s[16:19], 0 offset:152 ; 4-byte Folded Spill
	buffer_store_dword v35, off, s[16:19], 0 offset:156 ; 4-byte Folded Spill
	global_load_dwordx4 v[89:92], v[34:35], off
	buffer_store_dword v36, off, s[16:19], 0 offset:160 ; 4-byte Folded Spill
	buffer_store_dword v37, off, s[16:19], 0 offset:164 ; 4-byte Folded Spill
	global_load_dwordx4 v[85:88], v[36:37], off
	buffer_store_dword v38, off, s[16:19], 0 offset:168 ; 4-byte Folded Spill
	buffer_store_dword v39, off, s[16:19], 0 offset:172 ; 4-byte Folded Spill
	global_load_dwordx4 v[81:84], v[38:39], off
	buffer_store_dword v40, off, s[16:19], 0 offset:176 ; 4-byte Folded Spill
	buffer_store_dword v41, off, s[16:19], 0 offset:180 ; 4-byte Folded Spill
	global_load_dwordx4 v[77:80], v[40:41], off
	buffer_store_dword v42, off, s[16:19], 0 offset:184 ; 4-byte Folded Spill
	buffer_store_dword v43, off, s[16:19], 0 offset:188 ; 4-byte Folded Spill
	global_load_dwordx4 v[73:76], v[42:43], off
	buffer_store_dword v44, off, s[16:19], 0 offset:192 ; 4-byte Folded Spill
	buffer_store_dword v45, off, s[16:19], 0 offset:196 ; 4-byte Folded Spill
	global_load_dwordx4 v[69:72], v[44:45], off
	buffer_store_dword v46, off, s[16:19], 0 offset:200 ; 4-byte Folded Spill
	buffer_store_dword v47, off, s[16:19], 0 offset:204 ; 4-byte Folded Spill
	global_load_dwordx4 v[65:68], v[46:47], off
	buffer_store_dword v48, off, s[16:19], 0 offset:208 ; 4-byte Folded Spill
	buffer_store_dword v49, off, s[16:19], 0 offset:212 ; 4-byte Folded Spill
	global_load_dwordx4 v[61:64], v[48:49], off
	buffer_store_dword v50, off, s[16:19], 0 offset:216 ; 4-byte Folded Spill
	buffer_store_dword v51, off, s[16:19], 0 offset:220 ; 4-byte Folded Spill
	global_load_dwordx4 v[57:60], v[50:51], off
	buffer_store_dword v52, off, s[16:19], 0 offset:224 ; 4-byte Folded Spill
	buffer_store_dword v53, off, s[16:19], 0 offset:228 ; 4-byte Folded Spill
	global_load_dwordx4 v[53:56], v[52:53], off
	buffer_store_dword v185, off, s[16:19], 0 offset:232 ; 4-byte Folded Spill
	buffer_store_dword v186, off, s[16:19], 0 offset:236 ; 4-byte Folded Spill
	global_load_dwordx4 v[49:52], v[185:186], off
	buffer_store_dword v193, off, s[16:19], 0 offset:240 ; 4-byte Folded Spill
	buffer_store_dword v194, off, s[16:19], 0 offset:244 ; 4-byte Folded Spill
	global_load_dwordx4 v[45:48], v[193:194], off
	buffer_store_dword v197, off, s[16:19], 0 offset:248 ; 4-byte Folded Spill
	buffer_store_dword v198, off, s[16:19], 0 offset:252 ; 4-byte Folded Spill
	global_load_dwordx4 v[41:44], v[197:198], off
	buffer_store_dword v199, off, s[16:19], 0 offset:256 ; 4-byte Folded Spill
	buffer_store_dword v200, off, s[16:19], 0 offset:260 ; 4-byte Folded Spill
	global_load_dwordx4 v[37:40], v[199:200], off
	buffer_store_dword v201, off, s[16:19], 0 offset:264 ; 4-byte Folded Spill
	buffer_store_dword v202, off, s[16:19], 0 offset:268 ; 4-byte Folded Spill
	global_load_dwordx4 v[33:36], v[201:202], off
	buffer_store_dword v203, off, s[16:19], 0 offset:272 ; 4-byte Folded Spill
	buffer_store_dword v204, off, s[16:19], 0 offset:276 ; 4-byte Folded Spill
	global_load_dwordx4 v[29:32], v[203:204], off
	buffer_store_dword v205, off, s[16:19], 0 offset:280 ; 4-byte Folded Spill
	buffer_store_dword v206, off, s[16:19], 0 offset:284 ; 4-byte Folded Spill
	global_load_dwordx4 v[25:28], v[205:206], off
	buffer_store_dword v207, off, s[16:19], 0 offset:288 ; 4-byte Folded Spill
	buffer_store_dword v208, off, s[16:19], 0 offset:292 ; 4-byte Folded Spill
	global_load_dwordx4 v[21:24], v[207:208], off
	buffer_store_dword v209, off, s[16:19], 0 offset:296 ; 4-byte Folded Spill
	buffer_store_dword v210, off, s[16:19], 0 offset:300 ; 4-byte Folded Spill
	global_load_dwordx4 v[17:20], v[209:210], off
	buffer_store_dword v213, off, s[16:19], 0 offset:328 ; 4-byte Folded Spill
	buffer_store_dword v214, off, s[16:19], 0 offset:332 ; 4-byte Folded Spill
	global_load_dwordx4 v[13:16], v[213:214], off
	buffer_store_dword v10, off, s[16:19], 0 offset:304 ; 4-byte Folded Spill
	buffer_store_dword v11, off, s[16:19], 0 offset:308 ; 4-byte Folded Spill
	global_load_dwordx4 v[9:12], v[10:11], off
	buffer_store_dword v7, off, s[16:19], 0 offset:312 ; 4-byte Folded Spill
	buffer_store_dword v8, off, s[16:19], 0 offset:316 ; 4-byte Folded Spill
	global_load_dwordx4 v[5:8], v[7:8], off
	buffer_store_dword v211, off, s[16:19], 0 offset:320 ; 4-byte Folded Spill
	buffer_store_dword v212, off, s[16:19], 0 offset:324 ; 4-byte Folded Spill
	global_load_dwordx4 v[1:4], v[211:212], off
	s_and_saveexec_b32 s3, s0
	s_cbranch_execz .LBB97_8
; %bb.2:
	s_clause 0x3
	buffer_load_dword v197, off, s[16:19], 0 offset:48
	buffer_load_dword v198, off, s[16:19], 0 offset:52
	;; [unrolled: 1-line block ×4, first 2 shown]
	s_waitcnt vmcnt(0)
	ds_write2_b64 v255, v[197:198], v[199:200] offset1:1
	s_clause 0x3
	buffer_load_dword v197, off, s[16:19], 0 offset:32
	buffer_load_dword v198, off, s[16:19], 0 offset:36
	;; [unrolled: 1-line block ×4, first 2 shown]
	s_waitcnt vmcnt(0)
	ds_write2_b64 v253, v[197:198], v[199:200] offset0:2 offset1:3
	s_clause 0x3
	buffer_load_dword v197, off, s[16:19], 0 offset:16
	buffer_load_dword v198, off, s[16:19], 0 offset:20
	;; [unrolled: 1-line block ×4, first 2 shown]
	s_waitcnt vmcnt(0)
	ds_write2_b64 v253, v[197:198], v[199:200] offset0:4 offset1:5
	ds_write2_b64 v253, v[181:182], v[183:184] offset0:6 offset1:7
	s_clause 0x3
	buffer_load_dword v177, off, s[16:19], 0
	buffer_load_dword v178, off, s[16:19], 0 offset:4
	buffer_load_dword v179, off, s[16:19], 0 offset:8
	;; [unrolled: 1-line block ×3, first 2 shown]
	s_waitcnt vmcnt(0)
	ds_write2_b64 v253, v[177:178], v[179:180] offset0:8 offset1:9
	ds_write2_b64 v253, v[173:174], v[175:176] offset0:10 offset1:11
	;; [unrolled: 1-line block ×45, first 2 shown]
	ds_read2_b64 v[197:200], v255 offset1:1
	s_waitcnt lgkmcnt(0)
	v_cmp_neq_f64_e32 vcc_lo, 0, v[197:198]
	v_cmp_neq_f64_e64 s2, 0, v[199:200]
	s_or_b32 s2, vcc_lo, s2
	s_and_b32 exec_lo, exec_lo, s2
	s_cbranch_execz .LBB97_8
; %bb.3:
	v_cmp_ngt_f64_e64 s2, |v[197:198]|, |v[199:200]|
                                        ; implicit-def: $vgpr201_vgpr202
	s_and_saveexec_b32 s4, s2
	s_xor_b32 s2, exec_lo, s4
                                        ; implicit-def: $vgpr203_vgpr204
	s_cbranch_execz .LBB97_5
; %bb.4:
	v_div_scale_f64 v[201:202], null, v[199:200], v[199:200], v[197:198]
	v_div_scale_f64 v[207:208], vcc_lo, v[197:198], v[199:200], v[197:198]
	v_rcp_f64_e32 v[203:204], v[201:202]
	v_fma_f64 v[205:206], -v[201:202], v[203:204], 1.0
	v_fma_f64 v[203:204], v[203:204], v[205:206], v[203:204]
	v_fma_f64 v[205:206], -v[201:202], v[203:204], 1.0
	v_fma_f64 v[203:204], v[203:204], v[205:206], v[203:204]
	v_mul_f64 v[205:206], v[207:208], v[203:204]
	v_fma_f64 v[201:202], -v[201:202], v[205:206], v[207:208]
	v_div_fmas_f64 v[201:202], v[201:202], v[203:204], v[205:206]
	v_div_fixup_f64 v[201:202], v[201:202], v[199:200], v[197:198]
	v_fma_f64 v[197:198], v[197:198], v[201:202], v[199:200]
	v_div_scale_f64 v[199:200], null, v[197:198], v[197:198], 1.0
	v_rcp_f64_e32 v[203:204], v[199:200]
	v_fma_f64 v[205:206], -v[199:200], v[203:204], 1.0
	v_fma_f64 v[203:204], v[203:204], v[205:206], v[203:204]
	v_fma_f64 v[205:206], -v[199:200], v[203:204], 1.0
	v_fma_f64 v[203:204], v[203:204], v[205:206], v[203:204]
	v_div_scale_f64 v[205:206], vcc_lo, 1.0, v[197:198], 1.0
	v_mul_f64 v[207:208], v[205:206], v[203:204]
	v_fma_f64 v[199:200], -v[199:200], v[207:208], v[205:206]
	v_div_fmas_f64 v[199:200], v[199:200], v[203:204], v[207:208]
	v_div_fixup_f64 v[203:204], v[199:200], v[197:198], 1.0
                                        ; implicit-def: $vgpr197_vgpr198
	v_mul_f64 v[201:202], v[201:202], v[203:204]
	v_xor_b32_e32 v204, 0x80000000, v204
.LBB97_5:
	s_andn2_saveexec_b32 s2, s2
	s_cbranch_execz .LBB97_7
; %bb.6:
	v_div_scale_f64 v[201:202], null, v[197:198], v[197:198], v[199:200]
	v_div_scale_f64 v[207:208], vcc_lo, v[199:200], v[197:198], v[199:200]
	v_rcp_f64_e32 v[203:204], v[201:202]
	v_fma_f64 v[205:206], -v[201:202], v[203:204], 1.0
	v_fma_f64 v[203:204], v[203:204], v[205:206], v[203:204]
	v_fma_f64 v[205:206], -v[201:202], v[203:204], 1.0
	v_fma_f64 v[203:204], v[203:204], v[205:206], v[203:204]
	v_mul_f64 v[205:206], v[207:208], v[203:204]
	v_fma_f64 v[201:202], -v[201:202], v[205:206], v[207:208]
	v_div_fmas_f64 v[201:202], v[201:202], v[203:204], v[205:206]
	v_div_fixup_f64 v[203:204], v[201:202], v[197:198], v[199:200]
	v_fma_f64 v[197:198], v[199:200], v[203:204], v[197:198]
	v_div_scale_f64 v[199:200], null, v[197:198], v[197:198], 1.0
	v_rcp_f64_e32 v[201:202], v[199:200]
	v_fma_f64 v[205:206], -v[199:200], v[201:202], 1.0
	v_fma_f64 v[201:202], v[201:202], v[205:206], v[201:202]
	v_fma_f64 v[205:206], -v[199:200], v[201:202], 1.0
	v_fma_f64 v[201:202], v[201:202], v[205:206], v[201:202]
	v_div_scale_f64 v[205:206], vcc_lo, 1.0, v[197:198], 1.0
	v_mul_f64 v[207:208], v[205:206], v[201:202]
	v_fma_f64 v[199:200], -v[199:200], v[207:208], v[205:206]
	v_div_fmas_f64 v[199:200], v[199:200], v[201:202], v[207:208]
	v_div_fixup_f64 v[201:202], v[199:200], v[197:198], 1.0
	v_mul_f64 v[203:204], v[203:204], -v[201:202]
.LBB97_7:
	s_or_b32 exec_lo, exec_lo, s2
	ds_write2_b64 v255, v[201:202], v[203:204] offset1:1
.LBB97_8:
	s_or_b32 exec_lo, exec_lo, s3
	s_waitcnt vmcnt(0) lgkmcnt(0)
	s_waitcnt_vscnt null, 0x0
	s_barrier
	buffer_gl0_inv
	ds_read2_b64 v[197:200], v255 offset1:1
	s_waitcnt lgkmcnt(0)
	buffer_store_dword v197, off, s[16:19], 0 offset:352 ; 4-byte Folded Spill
	buffer_store_dword v198, off, s[16:19], 0 offset:356 ; 4-byte Folded Spill
	;; [unrolled: 1-line block ×4, first 2 shown]
	s_and_saveexec_b32 s2, s1
	s_cbranch_execz .LBB97_10
; %bb.9:
	s_clause 0x7
	buffer_load_dword v203, off, s[16:19], 0 offset:48
	buffer_load_dword v204, off, s[16:19], 0 offset:52
	;; [unrolled: 1-line block ×8, first 2 shown]
	s_waitcnt vmcnt(2)
	v_mul_f64 v[195:196], v[199:200], v[205:206]
	s_waitcnt vmcnt(0)
	v_mul_f64 v[197:198], v[201:202], v[205:206]
	v_fma_f64 v[205:206], v[201:202], v[203:204], v[195:196]
	v_fma_f64 v[197:198], v[199:200], v[203:204], -v[197:198]
	ds_read2_b64 v[199:202], v253 offset0:2 offset1:3
	s_waitcnt lgkmcnt(0)
	v_mul_f64 v[193:194], v[201:202], v[205:206]
	v_fma_f64 v[193:194], v[199:200], v[197:198], -v[193:194]
	v_mul_f64 v[199:200], v[199:200], v[205:206]
	v_fma_f64 v[199:200], v[201:202], v[197:198], v[199:200]
	s_clause 0x3
	buffer_load_dword v201, off, s[16:19], 0 offset:32
	buffer_load_dword v202, off, s[16:19], 0 offset:36
	;; [unrolled: 1-line block ×4, first 2 shown]
	s_waitcnt vmcnt(2)
	v_add_f64 v[201:202], v[201:202], -v[193:194]
	s_waitcnt vmcnt(0)
	v_add_f64 v[203:204], v[203:204], -v[199:200]
	buffer_store_dword v201, off, s[16:19], 0 offset:32 ; 4-byte Folded Spill
	buffer_store_dword v202, off, s[16:19], 0 offset:36 ; 4-byte Folded Spill
	;; [unrolled: 1-line block ×4, first 2 shown]
	ds_read2_b64 v[199:202], v253 offset0:4 offset1:5
	s_waitcnt lgkmcnt(0)
	v_mul_f64 v[193:194], v[201:202], v[205:206]
	v_fma_f64 v[193:194], v[199:200], v[197:198], -v[193:194]
	v_mul_f64 v[199:200], v[199:200], v[205:206]
	v_fma_f64 v[199:200], v[201:202], v[197:198], v[199:200]
	s_clause 0x3
	buffer_load_dword v201, off, s[16:19], 0 offset:16
	buffer_load_dword v202, off, s[16:19], 0 offset:20
	;; [unrolled: 1-line block ×4, first 2 shown]
	s_waitcnt vmcnt(2)
	v_add_f64 v[201:202], v[201:202], -v[193:194]
	s_waitcnt vmcnt(0)
	v_add_f64 v[203:204], v[203:204], -v[199:200]
	buffer_store_dword v201, off, s[16:19], 0 offset:16 ; 4-byte Folded Spill
	buffer_store_dword v202, off, s[16:19], 0 offset:20 ; 4-byte Folded Spill
	buffer_store_dword v203, off, s[16:19], 0 offset:24 ; 4-byte Folded Spill
	buffer_store_dword v204, off, s[16:19], 0 offset:28 ; 4-byte Folded Spill
	ds_read2_b64 v[199:202], v253 offset0:6 offset1:7
	v_mov_b32_e32 v204, v198
	v_mov_b32_e32 v203, v197
	s_waitcnt lgkmcnt(0)
	v_mul_f64 v[193:194], v[201:202], v[205:206]
	v_fma_f64 v[193:194], v[199:200], v[197:198], -v[193:194]
	v_mul_f64 v[199:200], v[199:200], v[205:206]
	v_add_f64 v[181:182], v[181:182], -v[193:194]
	v_fma_f64 v[199:200], v[201:202], v[197:198], v[199:200]
	v_add_f64 v[183:184], v[183:184], -v[199:200]
	ds_read2_b64 v[199:202], v253 offset0:8 offset1:9
	s_clause 0x3
	buffer_load_dword v177, off, s[16:19], 0
	buffer_load_dword v178, off, s[16:19], 0 offset:4
	buffer_load_dword v179, off, s[16:19], 0 offset:8
	;; [unrolled: 1-line block ×3, first 2 shown]
	s_waitcnt lgkmcnt(0)
	v_mul_f64 v[193:194], v[201:202], v[205:206]
	v_fma_f64 v[193:194], v[199:200], v[197:198], -v[193:194]
	v_mul_f64 v[199:200], v[199:200], v[205:206]
	v_fma_f64 v[199:200], v[201:202], v[197:198], v[199:200]
	s_waitcnt vmcnt(2)
	v_add_f64 v[177:178], v[177:178], -v[193:194]
	s_waitcnt vmcnt(0)
	v_add_f64 v[179:180], v[179:180], -v[199:200]
	buffer_store_dword v177, off, s[16:19], 0 ; 4-byte Folded Spill
	buffer_store_dword v178, off, s[16:19], 0 offset:4 ; 4-byte Folded Spill
	buffer_store_dword v179, off, s[16:19], 0 offset:8 ; 4-byte Folded Spill
	buffer_store_dword v180, off, s[16:19], 0 offset:12 ; 4-byte Folded Spill
	ds_read2_b64 v[199:202], v253 offset0:10 offset1:11
	s_waitcnt lgkmcnt(0)
	v_mul_f64 v[193:194], v[201:202], v[205:206]
	v_fma_f64 v[193:194], v[199:200], v[197:198], -v[193:194]
	v_mul_f64 v[199:200], v[199:200], v[205:206]
	v_add_f64 v[173:174], v[173:174], -v[193:194]
	v_fma_f64 v[199:200], v[201:202], v[197:198], v[199:200]
	v_add_f64 v[175:176], v[175:176], -v[199:200]
	ds_read2_b64 v[199:202], v253 offset0:12 offset1:13
	s_waitcnt lgkmcnt(0)
	v_mul_f64 v[193:194], v[201:202], v[205:206]
	v_fma_f64 v[193:194], v[199:200], v[197:198], -v[193:194]
	v_mul_f64 v[199:200], v[199:200], v[205:206]
	v_add_f64 v[241:242], v[241:242], -v[193:194]
	v_fma_f64 v[199:200], v[201:202], v[197:198], v[199:200]
	v_add_f64 v[243:244], v[243:244], -v[199:200]
	;; [unrolled: 8-line block ×43, first 2 shown]
	ds_read2_b64 v[199:202], v253 offset0:96 offset1:97
	s_waitcnt lgkmcnt(0)
	v_mul_f64 v[193:194], v[201:202], v[205:206]
	v_fma_f64 v[193:194], v[199:200], v[197:198], -v[193:194]
	v_mul_f64 v[199:200], v[199:200], v[205:206]
	buffer_store_dword v203, off, s[16:19], 0 offset:48 ; 4-byte Folded Spill
	buffer_store_dword v204, off, s[16:19], 0 offset:52 ; 4-byte Folded Spill
	;; [unrolled: 1-line block ×4, first 2 shown]
	v_add_f64 v[1:2], v[1:2], -v[193:194]
	v_fma_f64 v[199:200], v[201:202], v[197:198], v[199:200]
	v_add_f64 v[3:4], v[3:4], -v[199:200]
.LBB97_10:
	s_or_b32 exec_lo, exec_lo, s2
	s_mov_b32 s2, exec_lo
	s_waitcnt_vscnt null, 0x0
	s_barrier
	buffer_gl0_inv
	v_cmpx_eq_u32_e32 1, v0
	s_cbranch_execz .LBB97_17
; %bb.11:
	s_clause 0x3
	buffer_load_dword v197, off, s[16:19], 0 offset:32
	buffer_load_dword v198, off, s[16:19], 0 offset:36
	;; [unrolled: 1-line block ×4, first 2 shown]
	s_waitcnt vmcnt(0)
	ds_write2_b64 v255, v[197:198], v[199:200] offset1:1
	s_clause 0x3
	buffer_load_dword v197, off, s[16:19], 0 offset:16
	buffer_load_dword v198, off, s[16:19], 0 offset:20
	;; [unrolled: 1-line block ×4, first 2 shown]
	s_waitcnt vmcnt(0)
	ds_write2_b64 v253, v[197:198], v[199:200] offset0:4 offset1:5
	ds_write2_b64 v253, v[181:182], v[183:184] offset0:6 offset1:7
	s_clause 0x3
	buffer_load_dword v177, off, s[16:19], 0
	buffer_load_dword v178, off, s[16:19], 0 offset:4
	buffer_load_dword v179, off, s[16:19], 0 offset:8
	;; [unrolled: 1-line block ×3, first 2 shown]
	s_waitcnt vmcnt(0)
	ds_write2_b64 v253, v[177:178], v[179:180] offset0:8 offset1:9
	ds_write2_b64 v253, v[173:174], v[175:176] offset0:10 offset1:11
	;; [unrolled: 1-line block ×45, first 2 shown]
	ds_read2_b64 v[197:200], v255 offset1:1
	s_waitcnt lgkmcnt(0)
	v_cmp_neq_f64_e32 vcc_lo, 0, v[197:198]
	v_cmp_neq_f64_e64 s1, 0, v[199:200]
	s_or_b32 s1, vcc_lo, s1
	s_and_b32 exec_lo, exec_lo, s1
	s_cbranch_execz .LBB97_17
; %bb.12:
	v_cmp_ngt_f64_e64 s1, |v[197:198]|, |v[199:200]|
                                        ; implicit-def: $vgpr201_vgpr202
	s_and_saveexec_b32 s3, s1
	s_xor_b32 s1, exec_lo, s3
                                        ; implicit-def: $vgpr203_vgpr204
	s_cbranch_execz .LBB97_14
; %bb.13:
	v_div_scale_f64 v[201:202], null, v[199:200], v[199:200], v[197:198]
	v_div_scale_f64 v[207:208], vcc_lo, v[197:198], v[199:200], v[197:198]
	v_rcp_f64_e32 v[203:204], v[201:202]
	v_fma_f64 v[205:206], -v[201:202], v[203:204], 1.0
	v_fma_f64 v[203:204], v[203:204], v[205:206], v[203:204]
	v_fma_f64 v[205:206], -v[201:202], v[203:204], 1.0
	v_fma_f64 v[203:204], v[203:204], v[205:206], v[203:204]
	v_mul_f64 v[205:206], v[207:208], v[203:204]
	v_fma_f64 v[201:202], -v[201:202], v[205:206], v[207:208]
	v_div_fmas_f64 v[201:202], v[201:202], v[203:204], v[205:206]
	v_div_fixup_f64 v[201:202], v[201:202], v[199:200], v[197:198]
	v_fma_f64 v[197:198], v[197:198], v[201:202], v[199:200]
	v_div_scale_f64 v[199:200], null, v[197:198], v[197:198], 1.0
	v_rcp_f64_e32 v[203:204], v[199:200]
	v_fma_f64 v[205:206], -v[199:200], v[203:204], 1.0
	v_fma_f64 v[203:204], v[203:204], v[205:206], v[203:204]
	v_fma_f64 v[205:206], -v[199:200], v[203:204], 1.0
	v_fma_f64 v[203:204], v[203:204], v[205:206], v[203:204]
	v_div_scale_f64 v[205:206], vcc_lo, 1.0, v[197:198], 1.0
	v_mul_f64 v[207:208], v[205:206], v[203:204]
	v_fma_f64 v[199:200], -v[199:200], v[207:208], v[205:206]
	v_div_fmas_f64 v[199:200], v[199:200], v[203:204], v[207:208]
	v_div_fixup_f64 v[203:204], v[199:200], v[197:198], 1.0
                                        ; implicit-def: $vgpr197_vgpr198
	v_mul_f64 v[201:202], v[201:202], v[203:204]
	v_xor_b32_e32 v204, 0x80000000, v204
.LBB97_14:
	s_andn2_saveexec_b32 s1, s1
	s_cbranch_execz .LBB97_16
; %bb.15:
	v_div_scale_f64 v[201:202], null, v[197:198], v[197:198], v[199:200]
	v_div_scale_f64 v[207:208], vcc_lo, v[199:200], v[197:198], v[199:200]
	v_rcp_f64_e32 v[203:204], v[201:202]
	v_fma_f64 v[205:206], -v[201:202], v[203:204], 1.0
	v_fma_f64 v[203:204], v[203:204], v[205:206], v[203:204]
	v_fma_f64 v[205:206], -v[201:202], v[203:204], 1.0
	v_fma_f64 v[203:204], v[203:204], v[205:206], v[203:204]
	v_mul_f64 v[205:206], v[207:208], v[203:204]
	v_fma_f64 v[201:202], -v[201:202], v[205:206], v[207:208]
	v_div_fmas_f64 v[201:202], v[201:202], v[203:204], v[205:206]
	v_div_fixup_f64 v[203:204], v[201:202], v[197:198], v[199:200]
	v_fma_f64 v[197:198], v[199:200], v[203:204], v[197:198]
	v_div_scale_f64 v[199:200], null, v[197:198], v[197:198], 1.0
	v_rcp_f64_e32 v[201:202], v[199:200]
	v_fma_f64 v[205:206], -v[199:200], v[201:202], 1.0
	v_fma_f64 v[201:202], v[201:202], v[205:206], v[201:202]
	v_fma_f64 v[205:206], -v[199:200], v[201:202], 1.0
	v_fma_f64 v[201:202], v[201:202], v[205:206], v[201:202]
	v_div_scale_f64 v[205:206], vcc_lo, 1.0, v[197:198], 1.0
	v_mul_f64 v[207:208], v[205:206], v[201:202]
	v_fma_f64 v[199:200], -v[199:200], v[207:208], v[205:206]
	v_div_fmas_f64 v[199:200], v[199:200], v[201:202], v[207:208]
	v_div_fixup_f64 v[201:202], v[199:200], v[197:198], 1.0
	v_mul_f64 v[203:204], v[203:204], -v[201:202]
.LBB97_16:
	s_or_b32 exec_lo, exec_lo, s1
	ds_write2_b64 v255, v[201:202], v[203:204] offset1:1
.LBB97_17:
	s_or_b32 exec_lo, exec_lo, s2
	s_waitcnt lgkmcnt(0)
	s_barrier
	buffer_gl0_inv
	ds_read2_b64 v[229:232], v255 offset1:1
	s_mov_b32 s1, exec_lo
	v_cmpx_lt_u32_e32 1, v0
	s_cbranch_execz .LBB97_19
; %bb.18:
	s_clause 0x3
	buffer_load_dword v203, off, s[16:19], 0 offset:32
	buffer_load_dword v204, off, s[16:19], 0 offset:36
	;; [unrolled: 1-line block ×4, first 2 shown]
	ds_read2_b64 v[199:202], v253 offset0:4 offset1:5
	s_waitcnt vmcnt(0) lgkmcnt(1)
	v_mul_f64 v[191:192], v[229:230], v[205:206]
	v_mul_f64 v[197:198], v[231:232], v[205:206]
	v_fma_f64 v[205:206], v[231:232], v[203:204], v[191:192]
	v_fma_f64 v[197:198], v[229:230], v[203:204], -v[197:198]
	s_waitcnt lgkmcnt(0)
	v_mul_f64 v[189:190], v[201:202], v[205:206]
	v_fma_f64 v[189:190], v[199:200], v[197:198], -v[189:190]
	v_mul_f64 v[199:200], v[199:200], v[205:206]
	v_fma_f64 v[199:200], v[201:202], v[197:198], v[199:200]
	s_clause 0x3
	buffer_load_dword v201, off, s[16:19], 0 offset:16
	buffer_load_dword v202, off, s[16:19], 0 offset:20
	;; [unrolled: 1-line block ×4, first 2 shown]
	s_waitcnt vmcnt(2)
	v_add_f64 v[201:202], v[201:202], -v[189:190]
	s_waitcnt vmcnt(0)
	v_add_f64 v[203:204], v[203:204], -v[199:200]
	buffer_store_dword v201, off, s[16:19], 0 offset:16 ; 4-byte Folded Spill
	buffer_store_dword v202, off, s[16:19], 0 offset:20 ; 4-byte Folded Spill
	;; [unrolled: 1-line block ×4, first 2 shown]
	ds_read2_b64 v[199:202], v253 offset0:6 offset1:7
	v_mov_b32_e32 v204, v198
	v_mov_b32_e32 v203, v197
	s_waitcnt lgkmcnt(0)
	v_mul_f64 v[189:190], v[201:202], v[205:206]
	v_fma_f64 v[189:190], v[199:200], v[197:198], -v[189:190]
	v_mul_f64 v[199:200], v[199:200], v[205:206]
	v_add_f64 v[181:182], v[181:182], -v[189:190]
	v_fma_f64 v[199:200], v[201:202], v[197:198], v[199:200]
	v_add_f64 v[183:184], v[183:184], -v[199:200]
	ds_read2_b64 v[199:202], v253 offset0:8 offset1:9
	s_clause 0x3
	buffer_load_dword v177, off, s[16:19], 0
	buffer_load_dword v178, off, s[16:19], 0 offset:4
	buffer_load_dword v179, off, s[16:19], 0 offset:8
	;; [unrolled: 1-line block ×3, first 2 shown]
	s_waitcnt lgkmcnt(0)
	v_mul_f64 v[189:190], v[201:202], v[205:206]
	v_fma_f64 v[189:190], v[199:200], v[197:198], -v[189:190]
	v_mul_f64 v[199:200], v[199:200], v[205:206]
	v_fma_f64 v[199:200], v[201:202], v[197:198], v[199:200]
	s_waitcnt vmcnt(2)
	v_add_f64 v[177:178], v[177:178], -v[189:190]
	s_waitcnt vmcnt(0)
	v_add_f64 v[179:180], v[179:180], -v[199:200]
	buffer_store_dword v177, off, s[16:19], 0 ; 4-byte Folded Spill
	buffer_store_dword v178, off, s[16:19], 0 offset:4 ; 4-byte Folded Spill
	buffer_store_dword v179, off, s[16:19], 0 offset:8 ; 4-byte Folded Spill
	buffer_store_dword v180, off, s[16:19], 0 offset:12 ; 4-byte Folded Spill
	ds_read2_b64 v[199:202], v253 offset0:10 offset1:11
	s_waitcnt lgkmcnt(0)
	v_mul_f64 v[189:190], v[201:202], v[205:206]
	v_fma_f64 v[189:190], v[199:200], v[197:198], -v[189:190]
	v_mul_f64 v[199:200], v[199:200], v[205:206]
	v_add_f64 v[173:174], v[173:174], -v[189:190]
	v_fma_f64 v[199:200], v[201:202], v[197:198], v[199:200]
	v_add_f64 v[175:176], v[175:176], -v[199:200]
	ds_read2_b64 v[199:202], v253 offset0:12 offset1:13
	s_waitcnt lgkmcnt(0)
	v_mul_f64 v[189:190], v[201:202], v[205:206]
	v_fma_f64 v[189:190], v[199:200], v[197:198], -v[189:190]
	v_mul_f64 v[199:200], v[199:200], v[205:206]
	v_add_f64 v[241:242], v[241:242], -v[189:190]
	v_fma_f64 v[199:200], v[201:202], v[197:198], v[199:200]
	v_add_f64 v[243:244], v[243:244], -v[199:200]
	;; [unrolled: 8-line block ×43, first 2 shown]
	ds_read2_b64 v[199:202], v253 offset0:96 offset1:97
	s_waitcnt lgkmcnt(0)
	v_mul_f64 v[189:190], v[201:202], v[205:206]
	v_fma_f64 v[189:190], v[199:200], v[197:198], -v[189:190]
	v_mul_f64 v[199:200], v[199:200], v[205:206]
	buffer_store_dword v203, off, s[16:19], 0 offset:32 ; 4-byte Folded Spill
	buffer_store_dword v204, off, s[16:19], 0 offset:36 ; 4-byte Folded Spill
	;; [unrolled: 1-line block ×4, first 2 shown]
	v_add_f64 v[1:2], v[1:2], -v[189:190]
	v_fma_f64 v[199:200], v[201:202], v[197:198], v[199:200]
	v_add_f64 v[3:4], v[3:4], -v[199:200]
.LBB97_19:
	s_or_b32 exec_lo, exec_lo, s1
	s_mov_b32 s2, exec_lo
	s_waitcnt lgkmcnt(0)
	s_waitcnt_vscnt null, 0x0
	s_barrier
	buffer_gl0_inv
	v_cmpx_eq_u32_e32 2, v0
	s_cbranch_execz .LBB97_26
; %bb.20:
	s_clause 0x3
	buffer_load_dword v197, off, s[16:19], 0 offset:16
	buffer_load_dword v198, off, s[16:19], 0 offset:20
	;; [unrolled: 1-line block ×4, first 2 shown]
	s_waitcnt vmcnt(0)
	ds_write2_b64 v255, v[197:198], v[199:200] offset1:1
	ds_write2_b64 v253, v[181:182], v[183:184] offset0:6 offset1:7
	s_clause 0x3
	buffer_load_dword v177, off, s[16:19], 0
	buffer_load_dword v178, off, s[16:19], 0 offset:4
	buffer_load_dword v179, off, s[16:19], 0 offset:8
	;; [unrolled: 1-line block ×3, first 2 shown]
	s_waitcnt vmcnt(0)
	ds_write2_b64 v253, v[177:178], v[179:180] offset0:8 offset1:9
	ds_write2_b64 v253, v[173:174], v[175:176] offset0:10 offset1:11
	;; [unrolled: 1-line block ×45, first 2 shown]
	ds_read2_b64 v[197:200], v255 offset1:1
	s_waitcnt lgkmcnt(0)
	v_cmp_neq_f64_e32 vcc_lo, 0, v[197:198]
	v_cmp_neq_f64_e64 s1, 0, v[199:200]
	s_or_b32 s1, vcc_lo, s1
	s_and_b32 exec_lo, exec_lo, s1
	s_cbranch_execz .LBB97_26
; %bb.21:
	v_cmp_ngt_f64_e64 s1, |v[197:198]|, |v[199:200]|
                                        ; implicit-def: $vgpr201_vgpr202
	s_and_saveexec_b32 s3, s1
	s_xor_b32 s1, exec_lo, s3
                                        ; implicit-def: $vgpr203_vgpr204
	s_cbranch_execz .LBB97_23
; %bb.22:
	v_div_scale_f64 v[201:202], null, v[199:200], v[199:200], v[197:198]
	v_div_scale_f64 v[207:208], vcc_lo, v[197:198], v[199:200], v[197:198]
	v_rcp_f64_e32 v[203:204], v[201:202]
	v_fma_f64 v[205:206], -v[201:202], v[203:204], 1.0
	v_fma_f64 v[203:204], v[203:204], v[205:206], v[203:204]
	v_fma_f64 v[205:206], -v[201:202], v[203:204], 1.0
	v_fma_f64 v[203:204], v[203:204], v[205:206], v[203:204]
	v_mul_f64 v[205:206], v[207:208], v[203:204]
	v_fma_f64 v[201:202], -v[201:202], v[205:206], v[207:208]
	v_div_fmas_f64 v[201:202], v[201:202], v[203:204], v[205:206]
	v_div_fixup_f64 v[201:202], v[201:202], v[199:200], v[197:198]
	v_fma_f64 v[197:198], v[197:198], v[201:202], v[199:200]
	v_div_scale_f64 v[199:200], null, v[197:198], v[197:198], 1.0
	v_rcp_f64_e32 v[203:204], v[199:200]
	v_fma_f64 v[205:206], -v[199:200], v[203:204], 1.0
	v_fma_f64 v[203:204], v[203:204], v[205:206], v[203:204]
	v_fma_f64 v[205:206], -v[199:200], v[203:204], 1.0
	v_fma_f64 v[203:204], v[203:204], v[205:206], v[203:204]
	v_div_scale_f64 v[205:206], vcc_lo, 1.0, v[197:198], 1.0
	v_mul_f64 v[207:208], v[205:206], v[203:204]
	v_fma_f64 v[199:200], -v[199:200], v[207:208], v[205:206]
	v_div_fmas_f64 v[199:200], v[199:200], v[203:204], v[207:208]
	v_div_fixup_f64 v[203:204], v[199:200], v[197:198], 1.0
                                        ; implicit-def: $vgpr197_vgpr198
	v_mul_f64 v[201:202], v[201:202], v[203:204]
	v_xor_b32_e32 v204, 0x80000000, v204
.LBB97_23:
	s_andn2_saveexec_b32 s1, s1
	s_cbranch_execz .LBB97_25
; %bb.24:
	v_div_scale_f64 v[201:202], null, v[197:198], v[197:198], v[199:200]
	v_div_scale_f64 v[207:208], vcc_lo, v[199:200], v[197:198], v[199:200]
	v_rcp_f64_e32 v[203:204], v[201:202]
	v_fma_f64 v[205:206], -v[201:202], v[203:204], 1.0
	v_fma_f64 v[203:204], v[203:204], v[205:206], v[203:204]
	v_fma_f64 v[205:206], -v[201:202], v[203:204], 1.0
	v_fma_f64 v[203:204], v[203:204], v[205:206], v[203:204]
	v_mul_f64 v[205:206], v[207:208], v[203:204]
	v_fma_f64 v[201:202], -v[201:202], v[205:206], v[207:208]
	v_div_fmas_f64 v[201:202], v[201:202], v[203:204], v[205:206]
	v_div_fixup_f64 v[203:204], v[201:202], v[197:198], v[199:200]
	v_fma_f64 v[197:198], v[199:200], v[203:204], v[197:198]
	v_div_scale_f64 v[199:200], null, v[197:198], v[197:198], 1.0
	v_rcp_f64_e32 v[201:202], v[199:200]
	v_fma_f64 v[205:206], -v[199:200], v[201:202], 1.0
	v_fma_f64 v[201:202], v[201:202], v[205:206], v[201:202]
	v_fma_f64 v[205:206], -v[199:200], v[201:202], 1.0
	v_fma_f64 v[201:202], v[201:202], v[205:206], v[201:202]
	v_div_scale_f64 v[205:206], vcc_lo, 1.0, v[197:198], 1.0
	v_mul_f64 v[207:208], v[205:206], v[201:202]
	v_fma_f64 v[199:200], -v[199:200], v[207:208], v[205:206]
	v_div_fmas_f64 v[199:200], v[199:200], v[201:202], v[207:208]
	v_div_fixup_f64 v[201:202], v[199:200], v[197:198], 1.0
	v_mul_f64 v[203:204], v[203:204], -v[201:202]
.LBB97_25:
	s_or_b32 exec_lo, exec_lo, s1
	ds_write2_b64 v255, v[201:202], v[203:204] offset1:1
.LBB97_26:
	s_or_b32 exec_lo, exec_lo, s2
	s_waitcnt lgkmcnt(0)
	s_barrier
	buffer_gl0_inv
	ds_read2_b64 v[177:180], v255 offset1:1
	s_mov_b32 s1, exec_lo
	s_waitcnt lgkmcnt(0)
	buffer_store_dword v177, off, s[16:19], 0 offset:400 ; 4-byte Folded Spill
	buffer_store_dword v178, off, s[16:19], 0 offset:404 ; 4-byte Folded Spill
	;; [unrolled: 1-line block ×4, first 2 shown]
	v_cmpx_lt_u32_e32 2, v0
	s_cbranch_execz .LBB97_28
; %bb.27:
	s_clause 0x7
	buffer_load_dword v201, off, s[16:19], 0 offset:16
	buffer_load_dword v202, off, s[16:19], 0 offset:20
	;; [unrolled: 1-line block ×8, first 2 shown]
	s_waitcnt vmcnt(2)
	v_mul_f64 v[187:188], v[177:178], v[203:204]
	s_waitcnt vmcnt(0)
	v_mul_f64 v[197:198], v[179:180], v[203:204]
	v_fma_f64 v[203:204], v[179:180], v[201:202], v[187:188]
	v_fma_f64 v[197:198], v[177:178], v[201:202], -v[197:198]
	ds_read2_b64 v[199:202], v253 offset0:6 offset1:7
	s_waitcnt lgkmcnt(0)
	v_mul_f64 v[185:186], v[201:202], v[203:204]
	v_fma_f64 v[185:186], v[199:200], v[197:198], -v[185:186]
	v_mul_f64 v[199:200], v[199:200], v[203:204]
	v_add_f64 v[181:182], v[181:182], -v[185:186]
	v_fma_f64 v[199:200], v[201:202], v[197:198], v[199:200]
	v_add_f64 v[183:184], v[183:184], -v[199:200]
	ds_read2_b64 v[199:202], v253 offset0:8 offset1:9
	s_clause 0x3
	buffer_load_dword v177, off, s[16:19], 0
	buffer_load_dword v178, off, s[16:19], 0 offset:4
	buffer_load_dword v179, off, s[16:19], 0 offset:8
	;; [unrolled: 1-line block ×3, first 2 shown]
	s_waitcnt lgkmcnt(0)
	v_mul_f64 v[185:186], v[201:202], v[203:204]
	v_fma_f64 v[185:186], v[199:200], v[197:198], -v[185:186]
	v_mul_f64 v[199:200], v[199:200], v[203:204]
	v_fma_f64 v[199:200], v[201:202], v[197:198], v[199:200]
	s_waitcnt vmcnt(2)
	v_add_f64 v[177:178], v[177:178], -v[185:186]
	s_waitcnt vmcnt(0)
	v_add_f64 v[179:180], v[179:180], -v[199:200]
	buffer_store_dword v177, off, s[16:19], 0 ; 4-byte Folded Spill
	buffer_store_dword v178, off, s[16:19], 0 offset:4 ; 4-byte Folded Spill
	buffer_store_dword v179, off, s[16:19], 0 offset:8 ; 4-byte Folded Spill
	buffer_store_dword v180, off, s[16:19], 0 offset:12 ; 4-byte Folded Spill
	ds_read2_b64 v[199:202], v253 offset0:10 offset1:11
	s_waitcnt lgkmcnt(0)
	v_mul_f64 v[185:186], v[201:202], v[203:204]
	v_fma_f64 v[185:186], v[199:200], v[197:198], -v[185:186]
	v_mul_f64 v[199:200], v[199:200], v[203:204]
	v_add_f64 v[173:174], v[173:174], -v[185:186]
	v_fma_f64 v[199:200], v[201:202], v[197:198], v[199:200]
	v_add_f64 v[175:176], v[175:176], -v[199:200]
	ds_read2_b64 v[199:202], v253 offset0:12 offset1:13
	s_waitcnt lgkmcnt(0)
	v_mul_f64 v[185:186], v[201:202], v[203:204]
	v_fma_f64 v[185:186], v[199:200], v[197:198], -v[185:186]
	v_mul_f64 v[199:200], v[199:200], v[203:204]
	v_add_f64 v[241:242], v[241:242], -v[185:186]
	v_fma_f64 v[199:200], v[201:202], v[197:198], v[199:200]
	v_add_f64 v[243:244], v[243:244], -v[199:200]
	;; [unrolled: 8-line block ×43, first 2 shown]
	ds_read2_b64 v[199:202], v253 offset0:96 offset1:97
	s_waitcnt lgkmcnt(0)
	v_mul_f64 v[185:186], v[201:202], v[203:204]
	v_fma_f64 v[185:186], v[199:200], v[197:198], -v[185:186]
	v_mul_f64 v[199:200], v[199:200], v[203:204]
	v_add_f64 v[1:2], v[1:2], -v[185:186]
	v_fma_f64 v[199:200], v[201:202], v[197:198], v[199:200]
	v_mov_b32_e32 v202, v198
	v_mov_b32_e32 v201, v197
	buffer_store_dword v201, off, s[16:19], 0 offset:16 ; 4-byte Folded Spill
	buffer_store_dword v202, off, s[16:19], 0 offset:20 ; 4-byte Folded Spill
	;; [unrolled: 1-line block ×4, first 2 shown]
	v_add_f64 v[3:4], v[3:4], -v[199:200]
.LBB97_28:
	s_or_b32 exec_lo, exec_lo, s1
	s_mov_b32 s2, exec_lo
	s_waitcnt_vscnt null, 0x0
	s_barrier
	buffer_gl0_inv
	v_cmpx_eq_u32_e32 3, v0
	s_cbranch_execz .LBB97_35
; %bb.29:
	ds_write2_b64 v255, v[181:182], v[183:184] offset1:1
	s_clause 0x3
	buffer_load_dword v177, off, s[16:19], 0
	buffer_load_dword v178, off, s[16:19], 0 offset:4
	buffer_load_dword v179, off, s[16:19], 0 offset:8
	;; [unrolled: 1-line block ×3, first 2 shown]
	s_waitcnt vmcnt(0)
	ds_write2_b64 v253, v[177:178], v[179:180] offset0:8 offset1:9
	ds_write2_b64 v253, v[173:174], v[175:176] offset0:10 offset1:11
	;; [unrolled: 1-line block ×45, first 2 shown]
	ds_read2_b64 v[197:200], v255 offset1:1
	s_waitcnt lgkmcnt(0)
	v_cmp_neq_f64_e32 vcc_lo, 0, v[197:198]
	v_cmp_neq_f64_e64 s1, 0, v[199:200]
	s_or_b32 s1, vcc_lo, s1
	s_and_b32 exec_lo, exec_lo, s1
	s_cbranch_execz .LBB97_35
; %bb.30:
	v_cmp_ngt_f64_e64 s1, |v[197:198]|, |v[199:200]|
                                        ; implicit-def: $vgpr201_vgpr202
	s_and_saveexec_b32 s3, s1
	s_xor_b32 s1, exec_lo, s3
                                        ; implicit-def: $vgpr203_vgpr204
	s_cbranch_execz .LBB97_32
; %bb.31:
	v_div_scale_f64 v[201:202], null, v[199:200], v[199:200], v[197:198]
	v_div_scale_f64 v[207:208], vcc_lo, v[197:198], v[199:200], v[197:198]
	v_rcp_f64_e32 v[203:204], v[201:202]
	v_fma_f64 v[205:206], -v[201:202], v[203:204], 1.0
	v_fma_f64 v[203:204], v[203:204], v[205:206], v[203:204]
	v_fma_f64 v[205:206], -v[201:202], v[203:204], 1.0
	v_fma_f64 v[203:204], v[203:204], v[205:206], v[203:204]
	v_mul_f64 v[205:206], v[207:208], v[203:204]
	v_fma_f64 v[201:202], -v[201:202], v[205:206], v[207:208]
	v_div_fmas_f64 v[201:202], v[201:202], v[203:204], v[205:206]
	v_div_fixup_f64 v[201:202], v[201:202], v[199:200], v[197:198]
	v_fma_f64 v[197:198], v[197:198], v[201:202], v[199:200]
	v_div_scale_f64 v[199:200], null, v[197:198], v[197:198], 1.0
	v_rcp_f64_e32 v[203:204], v[199:200]
	v_fma_f64 v[205:206], -v[199:200], v[203:204], 1.0
	v_fma_f64 v[203:204], v[203:204], v[205:206], v[203:204]
	v_fma_f64 v[205:206], -v[199:200], v[203:204], 1.0
	v_fma_f64 v[203:204], v[203:204], v[205:206], v[203:204]
	v_div_scale_f64 v[205:206], vcc_lo, 1.0, v[197:198], 1.0
	v_mul_f64 v[207:208], v[205:206], v[203:204]
	v_fma_f64 v[199:200], -v[199:200], v[207:208], v[205:206]
	v_div_fmas_f64 v[199:200], v[199:200], v[203:204], v[207:208]
	v_div_fixup_f64 v[203:204], v[199:200], v[197:198], 1.0
                                        ; implicit-def: $vgpr197_vgpr198
	v_mul_f64 v[201:202], v[201:202], v[203:204]
	v_xor_b32_e32 v204, 0x80000000, v204
.LBB97_32:
	s_andn2_saveexec_b32 s1, s1
	s_cbranch_execz .LBB97_34
; %bb.33:
	v_div_scale_f64 v[201:202], null, v[197:198], v[197:198], v[199:200]
	v_div_scale_f64 v[207:208], vcc_lo, v[199:200], v[197:198], v[199:200]
	v_rcp_f64_e32 v[203:204], v[201:202]
	v_fma_f64 v[205:206], -v[201:202], v[203:204], 1.0
	v_fma_f64 v[203:204], v[203:204], v[205:206], v[203:204]
	v_fma_f64 v[205:206], -v[201:202], v[203:204], 1.0
	v_fma_f64 v[203:204], v[203:204], v[205:206], v[203:204]
	v_mul_f64 v[205:206], v[207:208], v[203:204]
	v_fma_f64 v[201:202], -v[201:202], v[205:206], v[207:208]
	v_div_fmas_f64 v[201:202], v[201:202], v[203:204], v[205:206]
	v_div_fixup_f64 v[203:204], v[201:202], v[197:198], v[199:200]
	v_fma_f64 v[197:198], v[199:200], v[203:204], v[197:198]
	v_div_scale_f64 v[199:200], null, v[197:198], v[197:198], 1.0
	v_rcp_f64_e32 v[201:202], v[199:200]
	v_fma_f64 v[205:206], -v[199:200], v[201:202], 1.0
	v_fma_f64 v[201:202], v[201:202], v[205:206], v[201:202]
	v_fma_f64 v[205:206], -v[199:200], v[201:202], 1.0
	v_fma_f64 v[201:202], v[201:202], v[205:206], v[201:202]
	v_div_scale_f64 v[205:206], vcc_lo, 1.0, v[197:198], 1.0
	v_mul_f64 v[207:208], v[205:206], v[201:202]
	v_fma_f64 v[199:200], -v[199:200], v[207:208], v[205:206]
	v_div_fmas_f64 v[199:200], v[199:200], v[201:202], v[207:208]
	v_div_fixup_f64 v[201:202], v[199:200], v[197:198], 1.0
	v_mul_f64 v[203:204], v[203:204], -v[201:202]
.LBB97_34:
	s_or_b32 exec_lo, exec_lo, s1
	ds_write2_b64 v255, v[201:202], v[203:204] offset1:1
.LBB97_35:
	s_or_b32 exec_lo, exec_lo, s2
	s_waitcnt lgkmcnt(0)
	s_barrier
	buffer_gl0_inv
	ds_read2_b64 v[177:180], v255 offset1:1
	s_mov_b32 s1, exec_lo
	s_waitcnt lgkmcnt(0)
	buffer_store_dword v177, off, s[16:19], 0 offset:416 ; 4-byte Folded Spill
	buffer_store_dword v178, off, s[16:19], 0 offset:420 ; 4-byte Folded Spill
	;; [unrolled: 1-line block ×4, first 2 shown]
	v_cmpx_lt_u32_e32 3, v0
	s_cbranch_execz .LBB97_37
; %bb.36:
	s_clause 0x3
	buffer_load_dword v177, off, s[16:19], 0 offset:416
	buffer_load_dword v178, off, s[16:19], 0 offset:420
	;; [unrolled: 1-line block ×4, first 2 shown]
	ds_read2_b64 v[199:202], v253 offset0:8 offset1:9
	s_waitcnt vmcnt(0)
	v_mul_f64 v[197:198], v[179:180], v[183:184]
	v_mul_f64 v[183:184], v[177:178], v[183:184]
	v_fma_f64 v[197:198], v[177:178], v[181:182], -v[197:198]
	v_fma_f64 v[183:184], v[179:180], v[181:182], v[183:184]
	s_clause 0x3
	buffer_load_dword v177, off, s[16:19], 0
	buffer_load_dword v178, off, s[16:19], 0 offset:4
	buffer_load_dword v179, off, s[16:19], 0 offset:8
	;; [unrolled: 1-line block ×3, first 2 shown]
	s_waitcnt lgkmcnt(0)
	v_mul_f64 v[181:182], v[201:202], v[183:184]
	v_fma_f64 v[181:182], v[199:200], v[197:198], -v[181:182]
	v_mul_f64 v[199:200], v[199:200], v[183:184]
	v_fma_f64 v[199:200], v[201:202], v[197:198], v[199:200]
	s_waitcnt vmcnt(2)
	v_add_f64 v[177:178], v[177:178], -v[181:182]
	s_waitcnt vmcnt(0)
	v_add_f64 v[179:180], v[179:180], -v[199:200]
	buffer_store_dword v177, off, s[16:19], 0 ; 4-byte Folded Spill
	buffer_store_dword v178, off, s[16:19], 0 offset:4 ; 4-byte Folded Spill
	buffer_store_dword v179, off, s[16:19], 0 offset:8 ; 4-byte Folded Spill
	;; [unrolled: 1-line block ×3, first 2 shown]
	ds_read2_b64 v[199:202], v253 offset0:10 offset1:11
	s_waitcnt lgkmcnt(0)
	v_mul_f64 v[181:182], v[201:202], v[183:184]
	v_fma_f64 v[181:182], v[199:200], v[197:198], -v[181:182]
	v_mul_f64 v[199:200], v[199:200], v[183:184]
	v_add_f64 v[173:174], v[173:174], -v[181:182]
	v_fma_f64 v[199:200], v[201:202], v[197:198], v[199:200]
	v_add_f64 v[175:176], v[175:176], -v[199:200]
	ds_read2_b64 v[199:202], v253 offset0:12 offset1:13
	s_waitcnt lgkmcnt(0)
	v_mul_f64 v[181:182], v[201:202], v[183:184]
	v_fma_f64 v[181:182], v[199:200], v[197:198], -v[181:182]
	v_mul_f64 v[199:200], v[199:200], v[183:184]
	v_add_f64 v[241:242], v[241:242], -v[181:182]
	v_fma_f64 v[199:200], v[201:202], v[197:198], v[199:200]
	v_add_f64 v[243:244], v[243:244], -v[199:200]
	;; [unrolled: 8-line block ×43, first 2 shown]
	ds_read2_b64 v[199:202], v253 offset0:96 offset1:97
	s_waitcnt lgkmcnt(0)
	v_mul_f64 v[181:182], v[201:202], v[183:184]
	v_fma_f64 v[181:182], v[199:200], v[197:198], -v[181:182]
	v_mul_f64 v[199:200], v[199:200], v[183:184]
	v_add_f64 v[1:2], v[1:2], -v[181:182]
	v_fma_f64 v[199:200], v[201:202], v[197:198], v[199:200]
	v_mov_b32_e32 v181, v197
	v_mov_b32_e32 v182, v198
	v_add_f64 v[3:4], v[3:4], -v[199:200]
.LBB97_37:
	s_or_b32 exec_lo, exec_lo, s1
	s_mov_b32 s2, exec_lo
	s_waitcnt_vscnt null, 0x0
	s_barrier
	buffer_gl0_inv
	v_cmpx_eq_u32_e32 4, v0
	s_cbranch_execz .LBB97_44
; %bb.38:
	s_clause 0x3
	buffer_load_dword v177, off, s[16:19], 0
	buffer_load_dword v178, off, s[16:19], 0 offset:4
	buffer_load_dword v179, off, s[16:19], 0 offset:8
	;; [unrolled: 1-line block ×3, first 2 shown]
	s_waitcnt vmcnt(0)
	ds_write2_b64 v255, v[177:178], v[179:180] offset1:1
	ds_write2_b64 v253, v[173:174], v[175:176] offset0:10 offset1:11
	ds_write2_b64 v253, v[241:242], v[243:244] offset0:12 offset1:13
	;; [unrolled: 1-line block ×44, first 2 shown]
	ds_read2_b64 v[197:200], v255 offset1:1
	s_waitcnt lgkmcnt(0)
	v_cmp_neq_f64_e32 vcc_lo, 0, v[197:198]
	v_cmp_neq_f64_e64 s1, 0, v[199:200]
	s_or_b32 s1, vcc_lo, s1
	s_and_b32 exec_lo, exec_lo, s1
	s_cbranch_execz .LBB97_44
; %bb.39:
	v_cmp_ngt_f64_e64 s1, |v[197:198]|, |v[199:200]|
                                        ; implicit-def: $vgpr201_vgpr202
	s_and_saveexec_b32 s3, s1
	s_xor_b32 s1, exec_lo, s3
                                        ; implicit-def: $vgpr203_vgpr204
	s_cbranch_execz .LBB97_41
; %bb.40:
	v_div_scale_f64 v[201:202], null, v[199:200], v[199:200], v[197:198]
	v_div_scale_f64 v[207:208], vcc_lo, v[197:198], v[199:200], v[197:198]
	v_rcp_f64_e32 v[203:204], v[201:202]
	v_fma_f64 v[205:206], -v[201:202], v[203:204], 1.0
	v_fma_f64 v[203:204], v[203:204], v[205:206], v[203:204]
	v_fma_f64 v[205:206], -v[201:202], v[203:204], 1.0
	v_fma_f64 v[203:204], v[203:204], v[205:206], v[203:204]
	v_mul_f64 v[205:206], v[207:208], v[203:204]
	v_fma_f64 v[201:202], -v[201:202], v[205:206], v[207:208]
	v_div_fmas_f64 v[201:202], v[201:202], v[203:204], v[205:206]
	v_div_fixup_f64 v[201:202], v[201:202], v[199:200], v[197:198]
	v_fma_f64 v[197:198], v[197:198], v[201:202], v[199:200]
	v_div_scale_f64 v[199:200], null, v[197:198], v[197:198], 1.0
	v_rcp_f64_e32 v[203:204], v[199:200]
	v_fma_f64 v[205:206], -v[199:200], v[203:204], 1.0
	v_fma_f64 v[203:204], v[203:204], v[205:206], v[203:204]
	v_fma_f64 v[205:206], -v[199:200], v[203:204], 1.0
	v_fma_f64 v[203:204], v[203:204], v[205:206], v[203:204]
	v_div_scale_f64 v[205:206], vcc_lo, 1.0, v[197:198], 1.0
	v_mul_f64 v[207:208], v[205:206], v[203:204]
	v_fma_f64 v[199:200], -v[199:200], v[207:208], v[205:206]
	v_div_fmas_f64 v[199:200], v[199:200], v[203:204], v[207:208]
	v_div_fixup_f64 v[203:204], v[199:200], v[197:198], 1.0
                                        ; implicit-def: $vgpr197_vgpr198
	v_mul_f64 v[201:202], v[201:202], v[203:204]
	v_xor_b32_e32 v204, 0x80000000, v204
.LBB97_41:
	s_andn2_saveexec_b32 s1, s1
	s_cbranch_execz .LBB97_43
; %bb.42:
	v_div_scale_f64 v[201:202], null, v[197:198], v[197:198], v[199:200]
	v_div_scale_f64 v[207:208], vcc_lo, v[199:200], v[197:198], v[199:200]
	v_rcp_f64_e32 v[203:204], v[201:202]
	v_fma_f64 v[205:206], -v[201:202], v[203:204], 1.0
	v_fma_f64 v[203:204], v[203:204], v[205:206], v[203:204]
	v_fma_f64 v[205:206], -v[201:202], v[203:204], 1.0
	v_fma_f64 v[203:204], v[203:204], v[205:206], v[203:204]
	v_mul_f64 v[205:206], v[207:208], v[203:204]
	v_fma_f64 v[201:202], -v[201:202], v[205:206], v[207:208]
	v_div_fmas_f64 v[201:202], v[201:202], v[203:204], v[205:206]
	v_div_fixup_f64 v[203:204], v[201:202], v[197:198], v[199:200]
	v_fma_f64 v[197:198], v[199:200], v[203:204], v[197:198]
	v_div_scale_f64 v[199:200], null, v[197:198], v[197:198], 1.0
	v_rcp_f64_e32 v[201:202], v[199:200]
	v_fma_f64 v[205:206], -v[199:200], v[201:202], 1.0
	v_fma_f64 v[201:202], v[201:202], v[205:206], v[201:202]
	v_fma_f64 v[205:206], -v[199:200], v[201:202], 1.0
	v_fma_f64 v[201:202], v[201:202], v[205:206], v[201:202]
	v_div_scale_f64 v[205:206], vcc_lo, 1.0, v[197:198], 1.0
	v_mul_f64 v[207:208], v[205:206], v[201:202]
	v_fma_f64 v[199:200], -v[199:200], v[207:208], v[205:206]
	v_div_fmas_f64 v[199:200], v[199:200], v[201:202], v[207:208]
	v_div_fixup_f64 v[201:202], v[199:200], v[197:198], 1.0
	v_mul_f64 v[203:204], v[203:204], -v[201:202]
.LBB97_43:
	s_or_b32 exec_lo, exec_lo, s1
	ds_write2_b64 v255, v[201:202], v[203:204] offset1:1
.LBB97_44:
	s_or_b32 exec_lo, exec_lo, s2
	s_waitcnt lgkmcnt(0)
	s_barrier
	buffer_gl0_inv
	ds_read2_b64 v[177:180], v255 offset1:1
	s_mov_b32 s1, exec_lo
	s_waitcnt lgkmcnt(0)
	buffer_store_dword v177, off, s[16:19], 0 offset:432 ; 4-byte Folded Spill
	buffer_store_dword v178, off, s[16:19], 0 offset:436 ; 4-byte Folded Spill
	;; [unrolled: 1-line block ×4, first 2 shown]
	v_cmpx_lt_u32_e32 4, v0
	s_cbranch_execz .LBB97_46
; %bb.45:
	s_clause 0x7
	buffer_load_dword v199, off, s[16:19], 0 offset:432
	buffer_load_dword v200, off, s[16:19], 0 offset:436
	;; [unrolled: 1-line block ×4, first 2 shown]
	buffer_load_dword v177, off, s[16:19], 0
	buffer_load_dword v178, off, s[16:19], 0 offset:4
	buffer_load_dword v179, off, s[16:19], 0 offset:8
	;; [unrolled: 1-line block ×3, first 2 shown]
	s_waitcnt vmcnt(0)
	v_mul_f64 v[197:198], v[201:202], v[179:180]
	v_mul_f64 v[179:180], v[199:200], v[179:180]
	v_fma_f64 v[197:198], v[199:200], v[177:178], -v[197:198]
	v_fma_f64 v[179:180], v[201:202], v[177:178], v[179:180]
	ds_read2_b64 v[199:202], v253 offset0:10 offset1:11
	s_waitcnt lgkmcnt(0)
	v_mul_f64 v[177:178], v[201:202], v[179:180]
	v_fma_f64 v[177:178], v[199:200], v[197:198], -v[177:178]
	v_mul_f64 v[199:200], v[199:200], v[179:180]
	v_add_f64 v[173:174], v[173:174], -v[177:178]
	v_fma_f64 v[199:200], v[201:202], v[197:198], v[199:200]
	v_add_f64 v[175:176], v[175:176], -v[199:200]
	ds_read2_b64 v[199:202], v253 offset0:12 offset1:13
	s_waitcnt lgkmcnt(0)
	v_mul_f64 v[177:178], v[201:202], v[179:180]
	v_fma_f64 v[177:178], v[199:200], v[197:198], -v[177:178]
	v_mul_f64 v[199:200], v[199:200], v[179:180]
	v_add_f64 v[241:242], v[241:242], -v[177:178]
	v_fma_f64 v[199:200], v[201:202], v[197:198], v[199:200]
	v_add_f64 v[243:244], v[243:244], -v[199:200]
	;; [unrolled: 8-line block ×43, first 2 shown]
	ds_read2_b64 v[199:202], v253 offset0:96 offset1:97
	s_waitcnt lgkmcnt(0)
	v_mul_f64 v[177:178], v[201:202], v[179:180]
	v_fma_f64 v[177:178], v[199:200], v[197:198], -v[177:178]
	v_mul_f64 v[199:200], v[199:200], v[179:180]
	v_add_f64 v[1:2], v[1:2], -v[177:178]
	v_fma_f64 v[199:200], v[201:202], v[197:198], v[199:200]
	v_mov_b32_e32 v177, v197
	v_mov_b32_e32 v178, v198
	buffer_store_dword v177, off, s[16:19], 0 ; 4-byte Folded Spill
	buffer_store_dword v178, off, s[16:19], 0 offset:4 ; 4-byte Folded Spill
	buffer_store_dword v179, off, s[16:19], 0 offset:8 ; 4-byte Folded Spill
	;; [unrolled: 1-line block ×3, first 2 shown]
	v_add_f64 v[3:4], v[3:4], -v[199:200]
.LBB97_46:
	s_or_b32 exec_lo, exec_lo, s1
	s_mov_b32 s2, exec_lo
	s_waitcnt_vscnt null, 0x0
	s_barrier
	buffer_gl0_inv
	v_cmpx_eq_u32_e32 5, v0
	s_cbranch_execz .LBB97_53
; %bb.47:
	ds_write2_b64 v255, v[173:174], v[175:176] offset1:1
	ds_write2_b64 v253, v[241:242], v[243:244] offset0:12 offset1:13
	ds_write2_b64 v253, v[165:166], v[167:168] offset0:14 offset1:15
	;; [unrolled: 1-line block ×43, first 2 shown]
	ds_read2_b64 v[197:200], v255 offset1:1
	s_waitcnt lgkmcnt(0)
	v_cmp_neq_f64_e32 vcc_lo, 0, v[197:198]
	v_cmp_neq_f64_e64 s1, 0, v[199:200]
	s_or_b32 s1, vcc_lo, s1
	s_and_b32 exec_lo, exec_lo, s1
	s_cbranch_execz .LBB97_53
; %bb.48:
	v_cmp_ngt_f64_e64 s1, |v[197:198]|, |v[199:200]|
                                        ; implicit-def: $vgpr201_vgpr202
	s_and_saveexec_b32 s3, s1
	s_xor_b32 s1, exec_lo, s3
                                        ; implicit-def: $vgpr203_vgpr204
	s_cbranch_execz .LBB97_50
; %bb.49:
	v_div_scale_f64 v[201:202], null, v[199:200], v[199:200], v[197:198]
	v_div_scale_f64 v[207:208], vcc_lo, v[197:198], v[199:200], v[197:198]
	v_rcp_f64_e32 v[203:204], v[201:202]
	v_fma_f64 v[205:206], -v[201:202], v[203:204], 1.0
	v_fma_f64 v[203:204], v[203:204], v[205:206], v[203:204]
	v_fma_f64 v[205:206], -v[201:202], v[203:204], 1.0
	v_fma_f64 v[203:204], v[203:204], v[205:206], v[203:204]
	v_mul_f64 v[205:206], v[207:208], v[203:204]
	v_fma_f64 v[201:202], -v[201:202], v[205:206], v[207:208]
	v_div_fmas_f64 v[201:202], v[201:202], v[203:204], v[205:206]
	v_div_fixup_f64 v[201:202], v[201:202], v[199:200], v[197:198]
	v_fma_f64 v[197:198], v[197:198], v[201:202], v[199:200]
	v_div_scale_f64 v[199:200], null, v[197:198], v[197:198], 1.0
	v_rcp_f64_e32 v[203:204], v[199:200]
	v_fma_f64 v[205:206], -v[199:200], v[203:204], 1.0
	v_fma_f64 v[203:204], v[203:204], v[205:206], v[203:204]
	v_fma_f64 v[205:206], -v[199:200], v[203:204], 1.0
	v_fma_f64 v[203:204], v[203:204], v[205:206], v[203:204]
	v_div_scale_f64 v[205:206], vcc_lo, 1.0, v[197:198], 1.0
	v_mul_f64 v[207:208], v[205:206], v[203:204]
	v_fma_f64 v[199:200], -v[199:200], v[207:208], v[205:206]
	v_div_fmas_f64 v[199:200], v[199:200], v[203:204], v[207:208]
	v_div_fixup_f64 v[203:204], v[199:200], v[197:198], 1.0
                                        ; implicit-def: $vgpr197_vgpr198
	v_mul_f64 v[201:202], v[201:202], v[203:204]
	v_xor_b32_e32 v204, 0x80000000, v204
.LBB97_50:
	s_andn2_saveexec_b32 s1, s1
	s_cbranch_execz .LBB97_52
; %bb.51:
	v_div_scale_f64 v[201:202], null, v[197:198], v[197:198], v[199:200]
	v_div_scale_f64 v[207:208], vcc_lo, v[199:200], v[197:198], v[199:200]
	v_rcp_f64_e32 v[203:204], v[201:202]
	v_fma_f64 v[205:206], -v[201:202], v[203:204], 1.0
	v_fma_f64 v[203:204], v[203:204], v[205:206], v[203:204]
	v_fma_f64 v[205:206], -v[201:202], v[203:204], 1.0
	v_fma_f64 v[203:204], v[203:204], v[205:206], v[203:204]
	v_mul_f64 v[205:206], v[207:208], v[203:204]
	v_fma_f64 v[201:202], -v[201:202], v[205:206], v[207:208]
	v_div_fmas_f64 v[201:202], v[201:202], v[203:204], v[205:206]
	v_div_fixup_f64 v[203:204], v[201:202], v[197:198], v[199:200]
	v_fma_f64 v[197:198], v[199:200], v[203:204], v[197:198]
	v_div_scale_f64 v[199:200], null, v[197:198], v[197:198], 1.0
	v_rcp_f64_e32 v[201:202], v[199:200]
	v_fma_f64 v[205:206], -v[199:200], v[201:202], 1.0
	v_fma_f64 v[201:202], v[201:202], v[205:206], v[201:202]
	v_fma_f64 v[205:206], -v[199:200], v[201:202], 1.0
	v_fma_f64 v[201:202], v[201:202], v[205:206], v[201:202]
	v_div_scale_f64 v[205:206], vcc_lo, 1.0, v[197:198], 1.0
	v_mul_f64 v[207:208], v[205:206], v[201:202]
	v_fma_f64 v[199:200], -v[199:200], v[207:208], v[205:206]
	v_div_fmas_f64 v[199:200], v[199:200], v[201:202], v[207:208]
	v_div_fixup_f64 v[201:202], v[199:200], v[197:198], 1.0
	v_mul_f64 v[203:204], v[203:204], -v[201:202]
.LBB97_52:
	s_or_b32 exec_lo, exec_lo, s1
	ds_write2_b64 v255, v[201:202], v[203:204] offset1:1
.LBB97_53:
	s_or_b32 exec_lo, exec_lo, s2
	s_waitcnt lgkmcnt(0)
	s_barrier
	buffer_gl0_inv
	ds_read2_b64 v[177:180], v255 offset1:1
	s_mov_b32 s1, exec_lo
	v_cmpx_lt_u32_e32 5, v0
	s_cbranch_execz .LBB97_55
; %bb.54:
	s_waitcnt lgkmcnt(0)
	v_mul_f64 v[197:198], v[179:180], v[175:176]
	v_mul_f64 v[175:176], v[177:178], v[175:176]
	ds_read2_b64 v[199:202], v253 offset0:12 offset1:13
	v_fma_f64 v[197:198], v[177:178], v[173:174], -v[197:198]
	v_fma_f64 v[175:176], v[179:180], v[173:174], v[175:176]
	s_waitcnt lgkmcnt(0)
	v_mul_f64 v[173:174], v[201:202], v[175:176]
	v_fma_f64 v[173:174], v[199:200], v[197:198], -v[173:174]
	v_mul_f64 v[199:200], v[199:200], v[175:176]
	v_add_f64 v[241:242], v[241:242], -v[173:174]
	v_fma_f64 v[199:200], v[201:202], v[197:198], v[199:200]
	v_add_f64 v[243:244], v[243:244], -v[199:200]
	ds_read2_b64 v[199:202], v253 offset0:14 offset1:15
	s_waitcnt lgkmcnt(0)
	v_mul_f64 v[173:174], v[201:202], v[175:176]
	v_fma_f64 v[173:174], v[199:200], v[197:198], -v[173:174]
	v_mul_f64 v[199:200], v[199:200], v[175:176]
	v_add_f64 v[165:166], v[165:166], -v[173:174]
	v_fma_f64 v[199:200], v[201:202], v[197:198], v[199:200]
	v_add_f64 v[167:168], v[167:168], -v[199:200]
	ds_read2_b64 v[199:202], v253 offset0:16 offset1:17
	;; [unrolled: 8-line block ×42, first 2 shown]
	s_waitcnt lgkmcnt(0)
	v_mul_f64 v[173:174], v[201:202], v[175:176]
	v_fma_f64 v[173:174], v[199:200], v[197:198], -v[173:174]
	v_mul_f64 v[199:200], v[199:200], v[175:176]
	v_add_f64 v[1:2], v[1:2], -v[173:174]
	v_fma_f64 v[199:200], v[201:202], v[197:198], v[199:200]
	v_mov_b32_e32 v173, v197
	v_mov_b32_e32 v174, v198
	v_add_f64 v[3:4], v[3:4], -v[199:200]
.LBB97_55:
	s_or_b32 exec_lo, exec_lo, s1
	s_mov_b32 s2, exec_lo
	s_waitcnt lgkmcnt(0)
	s_barrier
	buffer_gl0_inv
	v_cmpx_eq_u32_e32 6, v0
	s_cbranch_execz .LBB97_62
; %bb.56:
	ds_write2_b64 v255, v[241:242], v[243:244] offset1:1
	ds_write2_b64 v253, v[165:166], v[167:168] offset0:14 offset1:15
	ds_write2_b64 v253, v[161:162], v[163:164] offset0:16 offset1:17
	;; [unrolled: 1-line block ×42, first 2 shown]
	ds_read2_b64 v[197:200], v255 offset1:1
	s_waitcnt lgkmcnt(0)
	v_cmp_neq_f64_e32 vcc_lo, 0, v[197:198]
	v_cmp_neq_f64_e64 s1, 0, v[199:200]
	s_or_b32 s1, vcc_lo, s1
	s_and_b32 exec_lo, exec_lo, s1
	s_cbranch_execz .LBB97_62
; %bb.57:
	v_cmp_ngt_f64_e64 s1, |v[197:198]|, |v[199:200]|
                                        ; implicit-def: $vgpr201_vgpr202
	s_and_saveexec_b32 s3, s1
	s_xor_b32 s1, exec_lo, s3
                                        ; implicit-def: $vgpr203_vgpr204
	s_cbranch_execz .LBB97_59
; %bb.58:
	v_div_scale_f64 v[201:202], null, v[199:200], v[199:200], v[197:198]
	v_div_scale_f64 v[207:208], vcc_lo, v[197:198], v[199:200], v[197:198]
	v_rcp_f64_e32 v[203:204], v[201:202]
	v_fma_f64 v[205:206], -v[201:202], v[203:204], 1.0
	v_fma_f64 v[203:204], v[203:204], v[205:206], v[203:204]
	v_fma_f64 v[205:206], -v[201:202], v[203:204], 1.0
	v_fma_f64 v[203:204], v[203:204], v[205:206], v[203:204]
	v_mul_f64 v[205:206], v[207:208], v[203:204]
	v_fma_f64 v[201:202], -v[201:202], v[205:206], v[207:208]
	v_div_fmas_f64 v[201:202], v[201:202], v[203:204], v[205:206]
	v_div_fixup_f64 v[201:202], v[201:202], v[199:200], v[197:198]
	v_fma_f64 v[197:198], v[197:198], v[201:202], v[199:200]
	v_div_scale_f64 v[199:200], null, v[197:198], v[197:198], 1.0
	v_rcp_f64_e32 v[203:204], v[199:200]
	v_fma_f64 v[205:206], -v[199:200], v[203:204], 1.0
	v_fma_f64 v[203:204], v[203:204], v[205:206], v[203:204]
	v_fma_f64 v[205:206], -v[199:200], v[203:204], 1.0
	v_fma_f64 v[203:204], v[203:204], v[205:206], v[203:204]
	v_div_scale_f64 v[205:206], vcc_lo, 1.0, v[197:198], 1.0
	v_mul_f64 v[207:208], v[205:206], v[203:204]
	v_fma_f64 v[199:200], -v[199:200], v[207:208], v[205:206]
	v_div_fmas_f64 v[199:200], v[199:200], v[203:204], v[207:208]
	v_div_fixup_f64 v[203:204], v[199:200], v[197:198], 1.0
                                        ; implicit-def: $vgpr197_vgpr198
	v_mul_f64 v[201:202], v[201:202], v[203:204]
	v_xor_b32_e32 v204, 0x80000000, v204
.LBB97_59:
	s_andn2_saveexec_b32 s1, s1
	s_cbranch_execz .LBB97_61
; %bb.60:
	v_div_scale_f64 v[201:202], null, v[197:198], v[197:198], v[199:200]
	v_div_scale_f64 v[207:208], vcc_lo, v[199:200], v[197:198], v[199:200]
	v_rcp_f64_e32 v[203:204], v[201:202]
	v_fma_f64 v[205:206], -v[201:202], v[203:204], 1.0
	v_fma_f64 v[203:204], v[203:204], v[205:206], v[203:204]
	v_fma_f64 v[205:206], -v[201:202], v[203:204], 1.0
	v_fma_f64 v[203:204], v[203:204], v[205:206], v[203:204]
	v_mul_f64 v[205:206], v[207:208], v[203:204]
	v_fma_f64 v[201:202], -v[201:202], v[205:206], v[207:208]
	v_div_fmas_f64 v[201:202], v[201:202], v[203:204], v[205:206]
	v_div_fixup_f64 v[203:204], v[201:202], v[197:198], v[199:200]
	v_fma_f64 v[197:198], v[199:200], v[203:204], v[197:198]
	v_div_scale_f64 v[199:200], null, v[197:198], v[197:198], 1.0
	v_rcp_f64_e32 v[201:202], v[199:200]
	v_fma_f64 v[205:206], -v[199:200], v[201:202], 1.0
	v_fma_f64 v[201:202], v[201:202], v[205:206], v[201:202]
	v_fma_f64 v[205:206], -v[199:200], v[201:202], 1.0
	v_fma_f64 v[201:202], v[201:202], v[205:206], v[201:202]
	v_div_scale_f64 v[205:206], vcc_lo, 1.0, v[197:198], 1.0
	v_mul_f64 v[207:208], v[205:206], v[201:202]
	v_fma_f64 v[199:200], -v[199:200], v[207:208], v[205:206]
	v_div_fmas_f64 v[199:200], v[199:200], v[201:202], v[207:208]
	v_div_fixup_f64 v[201:202], v[199:200], v[197:198], 1.0
	v_mul_f64 v[203:204], v[203:204], -v[201:202]
.LBB97_61:
	s_or_b32 exec_lo, exec_lo, s1
	ds_write2_b64 v255, v[201:202], v[203:204] offset1:1
.LBB97_62:
	s_or_b32 exec_lo, exec_lo, s2
	s_waitcnt lgkmcnt(0)
	s_barrier
	buffer_gl0_inv
	ds_read2_b64 v[169:172], v255 offset1:1
	s_mov_b32 s1, exec_lo
	s_waitcnt lgkmcnt(0)
	buffer_store_dword v169, off, s[16:19], 0 offset:968 ; 4-byte Folded Spill
	buffer_store_dword v170, off, s[16:19], 0 offset:972 ; 4-byte Folded Spill
	;; [unrolled: 1-line block ×4, first 2 shown]
	v_cmpx_lt_u32_e32 6, v0
	s_cbranch_execz .LBB97_64
; %bb.63:
	s_clause 0x3
	buffer_load_dword v185, off, s[16:19], 0 offset:968
	buffer_load_dword v186, off, s[16:19], 0 offset:972
	;; [unrolled: 1-line block ×4, first 2 shown]
	ds_read2_b64 v[199:202], v253 offset0:14 offset1:15
	s_waitcnt vmcnt(2)
	v_mul_f64 v[171:172], v[185:186], v[243:244]
	s_waitcnt vmcnt(0)
	v_mul_f64 v[197:198], v[187:188], v[243:244]
	v_fma_f64 v[243:244], v[187:188], v[241:242], v[171:172]
	v_fma_f64 v[197:198], v[185:186], v[241:242], -v[197:198]
	s_waitcnt lgkmcnt(0)
	v_mul_f64 v[169:170], v[201:202], v[243:244]
	v_mov_b32_e32 v242, v198
	v_mov_b32_e32 v241, v197
	v_fma_f64 v[169:170], v[199:200], v[197:198], -v[169:170]
	v_mul_f64 v[199:200], v[199:200], v[243:244]
	v_add_f64 v[165:166], v[165:166], -v[169:170]
	v_fma_f64 v[199:200], v[201:202], v[197:198], v[199:200]
	v_add_f64 v[167:168], v[167:168], -v[199:200]
	ds_read2_b64 v[199:202], v253 offset0:16 offset1:17
	s_waitcnt lgkmcnt(0)
	v_mul_f64 v[169:170], v[201:202], v[243:244]
	v_fma_f64 v[169:170], v[199:200], v[197:198], -v[169:170]
	v_mul_f64 v[199:200], v[199:200], v[243:244]
	v_add_f64 v[161:162], v[161:162], -v[169:170]
	v_fma_f64 v[199:200], v[201:202], v[197:198], v[199:200]
	v_add_f64 v[163:164], v[163:164], -v[199:200]
	ds_read2_b64 v[199:202], v253 offset0:18 offset1:19
	s_waitcnt lgkmcnt(0)
	v_mul_f64 v[169:170], v[201:202], v[243:244]
	;; [unrolled: 8-line block ×41, first 2 shown]
	v_fma_f64 v[169:170], v[199:200], v[197:198], -v[169:170]
	v_mul_f64 v[199:200], v[199:200], v[243:244]
	v_add_f64 v[1:2], v[1:2], -v[169:170]
	v_fma_f64 v[199:200], v[201:202], v[197:198], v[199:200]
	v_add_f64 v[3:4], v[3:4], -v[199:200]
.LBB97_64:
	s_or_b32 exec_lo, exec_lo, s1
	s_mov_b32 s2, exec_lo
	s_waitcnt_vscnt null, 0x0
	s_barrier
	buffer_gl0_inv
	v_cmpx_eq_u32_e32 7, v0
	s_cbranch_execz .LBB97_71
; %bb.65:
	ds_write2_b64 v255, v[165:166], v[167:168] offset1:1
	ds_write2_b64 v253, v[161:162], v[163:164] offset0:16 offset1:17
	ds_write2_b64 v253, v[157:158], v[159:160] offset0:18 offset1:19
	;; [unrolled: 1-line block ×41, first 2 shown]
	ds_read2_b64 v[197:200], v255 offset1:1
	s_waitcnt lgkmcnt(0)
	v_cmp_neq_f64_e32 vcc_lo, 0, v[197:198]
	v_cmp_neq_f64_e64 s1, 0, v[199:200]
	s_or_b32 s1, vcc_lo, s1
	s_and_b32 exec_lo, exec_lo, s1
	s_cbranch_execz .LBB97_71
; %bb.66:
	v_cmp_ngt_f64_e64 s1, |v[197:198]|, |v[199:200]|
                                        ; implicit-def: $vgpr201_vgpr202
	s_and_saveexec_b32 s3, s1
	s_xor_b32 s1, exec_lo, s3
                                        ; implicit-def: $vgpr203_vgpr204
	s_cbranch_execz .LBB97_68
; %bb.67:
	v_div_scale_f64 v[201:202], null, v[199:200], v[199:200], v[197:198]
	v_div_scale_f64 v[207:208], vcc_lo, v[197:198], v[199:200], v[197:198]
	v_rcp_f64_e32 v[203:204], v[201:202]
	v_fma_f64 v[205:206], -v[201:202], v[203:204], 1.0
	v_fma_f64 v[203:204], v[203:204], v[205:206], v[203:204]
	v_fma_f64 v[205:206], -v[201:202], v[203:204], 1.0
	v_fma_f64 v[203:204], v[203:204], v[205:206], v[203:204]
	v_mul_f64 v[205:206], v[207:208], v[203:204]
	v_fma_f64 v[201:202], -v[201:202], v[205:206], v[207:208]
	v_div_fmas_f64 v[201:202], v[201:202], v[203:204], v[205:206]
	v_div_fixup_f64 v[201:202], v[201:202], v[199:200], v[197:198]
	v_fma_f64 v[197:198], v[197:198], v[201:202], v[199:200]
	v_div_scale_f64 v[199:200], null, v[197:198], v[197:198], 1.0
	v_rcp_f64_e32 v[203:204], v[199:200]
	v_fma_f64 v[205:206], -v[199:200], v[203:204], 1.0
	v_fma_f64 v[203:204], v[203:204], v[205:206], v[203:204]
	v_fma_f64 v[205:206], -v[199:200], v[203:204], 1.0
	v_fma_f64 v[203:204], v[203:204], v[205:206], v[203:204]
	v_div_scale_f64 v[205:206], vcc_lo, 1.0, v[197:198], 1.0
	v_mul_f64 v[207:208], v[205:206], v[203:204]
	v_fma_f64 v[199:200], -v[199:200], v[207:208], v[205:206]
	v_div_fmas_f64 v[199:200], v[199:200], v[203:204], v[207:208]
	v_div_fixup_f64 v[203:204], v[199:200], v[197:198], 1.0
                                        ; implicit-def: $vgpr197_vgpr198
	v_mul_f64 v[201:202], v[201:202], v[203:204]
	v_xor_b32_e32 v204, 0x80000000, v204
.LBB97_68:
	s_andn2_saveexec_b32 s1, s1
	s_cbranch_execz .LBB97_70
; %bb.69:
	v_div_scale_f64 v[201:202], null, v[197:198], v[197:198], v[199:200]
	v_div_scale_f64 v[207:208], vcc_lo, v[199:200], v[197:198], v[199:200]
	v_rcp_f64_e32 v[203:204], v[201:202]
	v_fma_f64 v[205:206], -v[201:202], v[203:204], 1.0
	v_fma_f64 v[203:204], v[203:204], v[205:206], v[203:204]
	v_fma_f64 v[205:206], -v[201:202], v[203:204], 1.0
	v_fma_f64 v[203:204], v[203:204], v[205:206], v[203:204]
	v_mul_f64 v[205:206], v[207:208], v[203:204]
	v_fma_f64 v[201:202], -v[201:202], v[205:206], v[207:208]
	v_div_fmas_f64 v[201:202], v[201:202], v[203:204], v[205:206]
	v_div_fixup_f64 v[203:204], v[201:202], v[197:198], v[199:200]
	v_fma_f64 v[197:198], v[199:200], v[203:204], v[197:198]
	v_div_scale_f64 v[199:200], null, v[197:198], v[197:198], 1.0
	v_rcp_f64_e32 v[201:202], v[199:200]
	v_fma_f64 v[205:206], -v[199:200], v[201:202], 1.0
	v_fma_f64 v[201:202], v[201:202], v[205:206], v[201:202]
	v_fma_f64 v[205:206], -v[199:200], v[201:202], 1.0
	v_fma_f64 v[201:202], v[201:202], v[205:206], v[201:202]
	v_div_scale_f64 v[205:206], vcc_lo, 1.0, v[197:198], 1.0
	v_mul_f64 v[207:208], v[205:206], v[201:202]
	v_fma_f64 v[199:200], -v[199:200], v[207:208], v[205:206]
	v_div_fmas_f64 v[199:200], v[199:200], v[201:202], v[207:208]
	v_div_fixup_f64 v[201:202], v[199:200], v[197:198], 1.0
	v_mul_f64 v[203:204], v[203:204], -v[201:202]
.LBB97_70:
	s_or_b32 exec_lo, exec_lo, s1
	ds_write2_b64 v255, v[201:202], v[203:204] offset1:1
.LBB97_71:
	s_or_b32 exec_lo, exec_lo, s2
	s_waitcnt lgkmcnt(0)
	s_barrier
	buffer_gl0_inv
	ds_read2_b64 v[233:236], v255 offset1:1
	s_mov_b32 s1, exec_lo
	v_cmpx_lt_u32_e32 7, v0
	s_cbranch_execz .LBB97_73
; %bb.72:
	s_waitcnt lgkmcnt(0)
	v_mul_f64 v[197:198], v[235:236], v[167:168]
	v_mul_f64 v[167:168], v[233:234], v[167:168]
	ds_read2_b64 v[199:202], v253 offset0:16 offset1:17
	v_fma_f64 v[197:198], v[233:234], v[165:166], -v[197:198]
	v_fma_f64 v[167:168], v[235:236], v[165:166], v[167:168]
	s_waitcnt lgkmcnt(0)
	v_mul_f64 v[165:166], v[201:202], v[167:168]
	v_fma_f64 v[165:166], v[199:200], v[197:198], -v[165:166]
	v_mul_f64 v[199:200], v[199:200], v[167:168]
	v_add_f64 v[161:162], v[161:162], -v[165:166]
	v_fma_f64 v[199:200], v[201:202], v[197:198], v[199:200]
	v_add_f64 v[163:164], v[163:164], -v[199:200]
	ds_read2_b64 v[199:202], v253 offset0:18 offset1:19
	s_waitcnt lgkmcnt(0)
	v_mul_f64 v[165:166], v[201:202], v[167:168]
	v_fma_f64 v[165:166], v[199:200], v[197:198], -v[165:166]
	v_mul_f64 v[199:200], v[199:200], v[167:168]
	v_add_f64 v[157:158], v[157:158], -v[165:166]
	v_fma_f64 v[199:200], v[201:202], v[197:198], v[199:200]
	v_add_f64 v[159:160], v[159:160], -v[199:200]
	ds_read2_b64 v[199:202], v253 offset0:20 offset1:21
	;; [unrolled: 8-line block ×40, first 2 shown]
	s_waitcnt lgkmcnt(0)
	v_mul_f64 v[165:166], v[201:202], v[167:168]
	v_fma_f64 v[165:166], v[199:200], v[197:198], -v[165:166]
	v_mul_f64 v[199:200], v[199:200], v[167:168]
	v_add_f64 v[1:2], v[1:2], -v[165:166]
	v_fma_f64 v[199:200], v[201:202], v[197:198], v[199:200]
	v_mov_b32_e32 v165, v197
	v_mov_b32_e32 v166, v198
	v_add_f64 v[3:4], v[3:4], -v[199:200]
.LBB97_73:
	s_or_b32 exec_lo, exec_lo, s1
	s_mov_b32 s2, exec_lo
	s_waitcnt lgkmcnt(0)
	s_barrier
	buffer_gl0_inv
	v_cmpx_eq_u32_e32 8, v0
	s_cbranch_execz .LBB97_80
; %bb.74:
	ds_write2_b64 v255, v[161:162], v[163:164] offset1:1
	ds_write2_b64 v253, v[157:158], v[159:160] offset0:18 offset1:19
	ds_write2_b64 v253, v[153:154], v[155:156] offset0:20 offset1:21
	ds_write2_b64 v253, v[149:150], v[151:152] offset0:22 offset1:23
	ds_write2_b64 v253, v[145:146], v[147:148] offset0:24 offset1:25
	ds_write2_b64 v253, v[141:142], v[143:144] offset0:26 offset1:27
	ds_write2_b64 v253, v[137:138], v[139:140] offset0:28 offset1:29
	ds_write2_b64 v253, v[133:134], v[135:136] offset0:30 offset1:31
	ds_write2_b64 v253, v[129:130], v[131:132] offset0:32 offset1:33
	ds_write2_b64 v253, v[125:126], v[127:128] offset0:34 offset1:35
	ds_write2_b64 v253, v[121:122], v[123:124] offset0:36 offset1:37
	ds_write2_b64 v253, v[117:118], v[119:120] offset0:38 offset1:39
	ds_write2_b64 v253, v[113:114], v[115:116] offset0:40 offset1:41
	ds_write2_b64 v253, v[109:110], v[111:112] offset0:42 offset1:43
	ds_write2_b64 v253, v[105:106], v[107:108] offset0:44 offset1:45
	ds_write2_b64 v253, v[101:102], v[103:104] offset0:46 offset1:47
	ds_write2_b64 v253, v[97:98], v[99:100] offset0:48 offset1:49
	ds_write2_b64 v253, v[93:94], v[95:96] offset0:50 offset1:51
	ds_write2_b64 v253, v[89:90], v[91:92] offset0:52 offset1:53
	ds_write2_b64 v253, v[85:86], v[87:88] offset0:54 offset1:55
	ds_write2_b64 v253, v[81:82], v[83:84] offset0:56 offset1:57
	ds_write2_b64 v253, v[77:78], v[79:80] offset0:58 offset1:59
	ds_write2_b64 v253, v[73:74], v[75:76] offset0:60 offset1:61
	ds_write2_b64 v253, v[69:70], v[71:72] offset0:62 offset1:63
	ds_write2_b64 v253, v[65:66], v[67:68] offset0:64 offset1:65
	ds_write2_b64 v253, v[61:62], v[63:64] offset0:66 offset1:67
	ds_write2_b64 v253, v[57:58], v[59:60] offset0:68 offset1:69
	ds_write2_b64 v253, v[53:54], v[55:56] offset0:70 offset1:71
	ds_write2_b64 v253, v[49:50], v[51:52] offset0:72 offset1:73
	ds_write2_b64 v253, v[45:46], v[47:48] offset0:74 offset1:75
	ds_write2_b64 v253, v[41:42], v[43:44] offset0:76 offset1:77
	ds_write2_b64 v253, v[37:38], v[39:40] offset0:78 offset1:79
	ds_write2_b64 v253, v[33:34], v[35:36] offset0:80 offset1:81
	ds_write2_b64 v253, v[29:30], v[31:32] offset0:82 offset1:83
	ds_write2_b64 v253, v[25:26], v[27:28] offset0:84 offset1:85
	ds_write2_b64 v253, v[21:22], v[23:24] offset0:86 offset1:87
	ds_write2_b64 v253, v[17:18], v[19:20] offset0:88 offset1:89
	ds_write2_b64 v253, v[13:14], v[15:16] offset0:90 offset1:91
	ds_write2_b64 v253, v[9:10], v[11:12] offset0:92 offset1:93
	ds_write2_b64 v253, v[5:6], v[7:8] offset0:94 offset1:95
	ds_write2_b64 v253, v[1:2], v[3:4] offset0:96 offset1:97
	ds_read2_b64 v[197:200], v255 offset1:1
	s_waitcnt lgkmcnt(0)
	v_cmp_neq_f64_e32 vcc_lo, 0, v[197:198]
	v_cmp_neq_f64_e64 s1, 0, v[199:200]
	s_or_b32 s1, vcc_lo, s1
	s_and_b32 exec_lo, exec_lo, s1
	s_cbranch_execz .LBB97_80
; %bb.75:
	v_cmp_ngt_f64_e64 s1, |v[197:198]|, |v[199:200]|
                                        ; implicit-def: $vgpr201_vgpr202
	s_and_saveexec_b32 s3, s1
	s_xor_b32 s1, exec_lo, s3
                                        ; implicit-def: $vgpr203_vgpr204
	s_cbranch_execz .LBB97_77
; %bb.76:
	v_div_scale_f64 v[201:202], null, v[199:200], v[199:200], v[197:198]
	v_div_scale_f64 v[207:208], vcc_lo, v[197:198], v[199:200], v[197:198]
	v_rcp_f64_e32 v[203:204], v[201:202]
	v_fma_f64 v[205:206], -v[201:202], v[203:204], 1.0
	v_fma_f64 v[203:204], v[203:204], v[205:206], v[203:204]
	v_fma_f64 v[205:206], -v[201:202], v[203:204], 1.0
	v_fma_f64 v[203:204], v[203:204], v[205:206], v[203:204]
	v_mul_f64 v[205:206], v[207:208], v[203:204]
	v_fma_f64 v[201:202], -v[201:202], v[205:206], v[207:208]
	v_div_fmas_f64 v[201:202], v[201:202], v[203:204], v[205:206]
	v_div_fixup_f64 v[201:202], v[201:202], v[199:200], v[197:198]
	v_fma_f64 v[197:198], v[197:198], v[201:202], v[199:200]
	v_div_scale_f64 v[199:200], null, v[197:198], v[197:198], 1.0
	v_rcp_f64_e32 v[203:204], v[199:200]
	v_fma_f64 v[205:206], -v[199:200], v[203:204], 1.0
	v_fma_f64 v[203:204], v[203:204], v[205:206], v[203:204]
	v_fma_f64 v[205:206], -v[199:200], v[203:204], 1.0
	v_fma_f64 v[203:204], v[203:204], v[205:206], v[203:204]
	v_div_scale_f64 v[205:206], vcc_lo, 1.0, v[197:198], 1.0
	v_mul_f64 v[207:208], v[205:206], v[203:204]
	v_fma_f64 v[199:200], -v[199:200], v[207:208], v[205:206]
	v_div_fmas_f64 v[199:200], v[199:200], v[203:204], v[207:208]
	v_div_fixup_f64 v[203:204], v[199:200], v[197:198], 1.0
                                        ; implicit-def: $vgpr197_vgpr198
	v_mul_f64 v[201:202], v[201:202], v[203:204]
	v_xor_b32_e32 v204, 0x80000000, v204
.LBB97_77:
	s_andn2_saveexec_b32 s1, s1
	s_cbranch_execz .LBB97_79
; %bb.78:
	v_div_scale_f64 v[201:202], null, v[197:198], v[197:198], v[199:200]
	v_div_scale_f64 v[207:208], vcc_lo, v[199:200], v[197:198], v[199:200]
	v_rcp_f64_e32 v[203:204], v[201:202]
	v_fma_f64 v[205:206], -v[201:202], v[203:204], 1.0
	v_fma_f64 v[203:204], v[203:204], v[205:206], v[203:204]
	v_fma_f64 v[205:206], -v[201:202], v[203:204], 1.0
	v_fma_f64 v[203:204], v[203:204], v[205:206], v[203:204]
	v_mul_f64 v[205:206], v[207:208], v[203:204]
	v_fma_f64 v[201:202], -v[201:202], v[205:206], v[207:208]
	v_div_fmas_f64 v[201:202], v[201:202], v[203:204], v[205:206]
	v_div_fixup_f64 v[203:204], v[201:202], v[197:198], v[199:200]
	v_fma_f64 v[197:198], v[199:200], v[203:204], v[197:198]
	v_div_scale_f64 v[199:200], null, v[197:198], v[197:198], 1.0
	v_rcp_f64_e32 v[201:202], v[199:200]
	v_fma_f64 v[205:206], -v[199:200], v[201:202], 1.0
	v_fma_f64 v[201:202], v[201:202], v[205:206], v[201:202]
	v_fma_f64 v[205:206], -v[199:200], v[201:202], 1.0
	v_fma_f64 v[201:202], v[201:202], v[205:206], v[201:202]
	v_div_scale_f64 v[205:206], vcc_lo, 1.0, v[197:198], 1.0
	v_mul_f64 v[207:208], v[205:206], v[201:202]
	v_fma_f64 v[199:200], -v[199:200], v[207:208], v[205:206]
	v_div_fmas_f64 v[199:200], v[199:200], v[201:202], v[207:208]
	v_div_fixup_f64 v[201:202], v[199:200], v[197:198], 1.0
	v_mul_f64 v[203:204], v[203:204], -v[201:202]
.LBB97_79:
	s_or_b32 exec_lo, exec_lo, s1
	ds_write2_b64 v255, v[201:202], v[203:204] offset1:1
.LBB97_80:
	s_or_b32 exec_lo, exec_lo, s2
	s_waitcnt lgkmcnt(0)
	s_barrier
	buffer_gl0_inv
	ds_read2_b64 v[185:188], v255 offset1:1
	s_mov_b32 s1, exec_lo
	v_cmpx_lt_u32_e32 8, v0
	s_cbranch_execz .LBB97_82
; %bb.81:
	s_waitcnt lgkmcnt(0)
	v_mul_f64 v[197:198], v[187:188], v[163:164]
	v_mul_f64 v[163:164], v[185:186], v[163:164]
	ds_read2_b64 v[199:202], v253 offset0:18 offset1:19
	v_fma_f64 v[197:198], v[185:186], v[161:162], -v[197:198]
	v_fma_f64 v[163:164], v[187:188], v[161:162], v[163:164]
	s_waitcnt lgkmcnt(0)
	v_mul_f64 v[161:162], v[201:202], v[163:164]
	v_fma_f64 v[161:162], v[199:200], v[197:198], -v[161:162]
	v_mul_f64 v[199:200], v[199:200], v[163:164]
	v_add_f64 v[157:158], v[157:158], -v[161:162]
	v_fma_f64 v[199:200], v[201:202], v[197:198], v[199:200]
	v_add_f64 v[159:160], v[159:160], -v[199:200]
	ds_read2_b64 v[199:202], v253 offset0:20 offset1:21
	s_waitcnt lgkmcnt(0)
	v_mul_f64 v[161:162], v[201:202], v[163:164]
	v_fma_f64 v[161:162], v[199:200], v[197:198], -v[161:162]
	v_mul_f64 v[199:200], v[199:200], v[163:164]
	v_add_f64 v[153:154], v[153:154], -v[161:162]
	v_fma_f64 v[199:200], v[201:202], v[197:198], v[199:200]
	v_add_f64 v[155:156], v[155:156], -v[199:200]
	ds_read2_b64 v[199:202], v253 offset0:22 offset1:23
	;; [unrolled: 8-line block ×39, first 2 shown]
	s_waitcnt lgkmcnt(0)
	v_mul_f64 v[161:162], v[201:202], v[163:164]
	v_fma_f64 v[161:162], v[199:200], v[197:198], -v[161:162]
	v_mul_f64 v[199:200], v[199:200], v[163:164]
	v_add_f64 v[1:2], v[1:2], -v[161:162]
	v_fma_f64 v[199:200], v[201:202], v[197:198], v[199:200]
	v_mov_b32_e32 v161, v197
	v_mov_b32_e32 v162, v198
	v_add_f64 v[3:4], v[3:4], -v[199:200]
.LBB97_82:
	s_or_b32 exec_lo, exec_lo, s1
	s_mov_b32 s2, exec_lo
	s_waitcnt lgkmcnt(0)
	s_barrier
	buffer_gl0_inv
	v_cmpx_eq_u32_e32 9, v0
	s_cbranch_execz .LBB97_89
; %bb.83:
	ds_write2_b64 v255, v[157:158], v[159:160] offset1:1
	ds_write2_b64 v253, v[153:154], v[155:156] offset0:20 offset1:21
	ds_write2_b64 v253, v[149:150], v[151:152] offset0:22 offset1:23
	;; [unrolled: 1-line block ×39, first 2 shown]
	ds_read2_b64 v[197:200], v255 offset1:1
	s_waitcnt lgkmcnt(0)
	v_cmp_neq_f64_e32 vcc_lo, 0, v[197:198]
	v_cmp_neq_f64_e64 s1, 0, v[199:200]
	s_or_b32 s1, vcc_lo, s1
	s_and_b32 exec_lo, exec_lo, s1
	s_cbranch_execz .LBB97_89
; %bb.84:
	v_cmp_ngt_f64_e64 s1, |v[197:198]|, |v[199:200]|
                                        ; implicit-def: $vgpr201_vgpr202
	s_and_saveexec_b32 s3, s1
	s_xor_b32 s1, exec_lo, s3
                                        ; implicit-def: $vgpr203_vgpr204
	s_cbranch_execz .LBB97_86
; %bb.85:
	v_div_scale_f64 v[201:202], null, v[199:200], v[199:200], v[197:198]
	v_div_scale_f64 v[207:208], vcc_lo, v[197:198], v[199:200], v[197:198]
	v_rcp_f64_e32 v[203:204], v[201:202]
	v_fma_f64 v[205:206], -v[201:202], v[203:204], 1.0
	v_fma_f64 v[203:204], v[203:204], v[205:206], v[203:204]
	v_fma_f64 v[205:206], -v[201:202], v[203:204], 1.0
	v_fma_f64 v[203:204], v[203:204], v[205:206], v[203:204]
	v_mul_f64 v[205:206], v[207:208], v[203:204]
	v_fma_f64 v[201:202], -v[201:202], v[205:206], v[207:208]
	v_div_fmas_f64 v[201:202], v[201:202], v[203:204], v[205:206]
	v_div_fixup_f64 v[201:202], v[201:202], v[199:200], v[197:198]
	v_fma_f64 v[197:198], v[197:198], v[201:202], v[199:200]
	v_div_scale_f64 v[199:200], null, v[197:198], v[197:198], 1.0
	v_rcp_f64_e32 v[203:204], v[199:200]
	v_fma_f64 v[205:206], -v[199:200], v[203:204], 1.0
	v_fma_f64 v[203:204], v[203:204], v[205:206], v[203:204]
	v_fma_f64 v[205:206], -v[199:200], v[203:204], 1.0
	v_fma_f64 v[203:204], v[203:204], v[205:206], v[203:204]
	v_div_scale_f64 v[205:206], vcc_lo, 1.0, v[197:198], 1.0
	v_mul_f64 v[207:208], v[205:206], v[203:204]
	v_fma_f64 v[199:200], -v[199:200], v[207:208], v[205:206]
	v_div_fmas_f64 v[199:200], v[199:200], v[203:204], v[207:208]
	v_div_fixup_f64 v[203:204], v[199:200], v[197:198], 1.0
                                        ; implicit-def: $vgpr197_vgpr198
	v_mul_f64 v[201:202], v[201:202], v[203:204]
	v_xor_b32_e32 v204, 0x80000000, v204
.LBB97_86:
	s_andn2_saveexec_b32 s1, s1
	s_cbranch_execz .LBB97_88
; %bb.87:
	v_div_scale_f64 v[201:202], null, v[197:198], v[197:198], v[199:200]
	v_div_scale_f64 v[207:208], vcc_lo, v[199:200], v[197:198], v[199:200]
	v_rcp_f64_e32 v[203:204], v[201:202]
	v_fma_f64 v[205:206], -v[201:202], v[203:204], 1.0
	v_fma_f64 v[203:204], v[203:204], v[205:206], v[203:204]
	v_fma_f64 v[205:206], -v[201:202], v[203:204], 1.0
	v_fma_f64 v[203:204], v[203:204], v[205:206], v[203:204]
	v_mul_f64 v[205:206], v[207:208], v[203:204]
	v_fma_f64 v[201:202], -v[201:202], v[205:206], v[207:208]
	v_div_fmas_f64 v[201:202], v[201:202], v[203:204], v[205:206]
	v_div_fixup_f64 v[203:204], v[201:202], v[197:198], v[199:200]
	v_fma_f64 v[197:198], v[199:200], v[203:204], v[197:198]
	v_div_scale_f64 v[199:200], null, v[197:198], v[197:198], 1.0
	v_rcp_f64_e32 v[201:202], v[199:200]
	v_fma_f64 v[205:206], -v[199:200], v[201:202], 1.0
	v_fma_f64 v[201:202], v[201:202], v[205:206], v[201:202]
	v_fma_f64 v[205:206], -v[199:200], v[201:202], 1.0
	v_fma_f64 v[201:202], v[201:202], v[205:206], v[201:202]
	v_div_scale_f64 v[205:206], vcc_lo, 1.0, v[197:198], 1.0
	v_mul_f64 v[207:208], v[205:206], v[201:202]
	v_fma_f64 v[199:200], -v[199:200], v[207:208], v[205:206]
	v_div_fmas_f64 v[199:200], v[199:200], v[201:202], v[207:208]
	v_div_fixup_f64 v[201:202], v[199:200], v[197:198], 1.0
	v_mul_f64 v[203:204], v[203:204], -v[201:202]
.LBB97_88:
	s_or_b32 exec_lo, exec_lo, s1
	ds_write2_b64 v255, v[201:202], v[203:204] offset1:1
.LBB97_89:
	s_or_b32 exec_lo, exec_lo, s2
	s_waitcnt lgkmcnt(0)
	s_barrier
	buffer_gl0_inv
	ds_read2_b64 v[169:172], v255 offset1:1
	s_mov_b32 s1, exec_lo
	v_cmpx_lt_u32_e32 9, v0
	s_cbranch_execz .LBB97_91
; %bb.90:
	s_waitcnt lgkmcnt(0)
	v_mul_f64 v[197:198], v[171:172], v[159:160]
	v_mul_f64 v[159:160], v[169:170], v[159:160]
	ds_read2_b64 v[199:202], v253 offset0:20 offset1:21
	v_fma_f64 v[197:198], v[169:170], v[157:158], -v[197:198]
	v_fma_f64 v[159:160], v[171:172], v[157:158], v[159:160]
	s_waitcnt lgkmcnt(0)
	v_mul_f64 v[157:158], v[201:202], v[159:160]
	v_fma_f64 v[157:158], v[199:200], v[197:198], -v[157:158]
	v_mul_f64 v[199:200], v[199:200], v[159:160]
	v_add_f64 v[153:154], v[153:154], -v[157:158]
	v_fma_f64 v[199:200], v[201:202], v[197:198], v[199:200]
	v_add_f64 v[155:156], v[155:156], -v[199:200]
	ds_read2_b64 v[199:202], v253 offset0:22 offset1:23
	s_waitcnt lgkmcnt(0)
	v_mul_f64 v[157:158], v[201:202], v[159:160]
	v_fma_f64 v[157:158], v[199:200], v[197:198], -v[157:158]
	v_mul_f64 v[199:200], v[199:200], v[159:160]
	v_add_f64 v[149:150], v[149:150], -v[157:158]
	v_fma_f64 v[199:200], v[201:202], v[197:198], v[199:200]
	v_add_f64 v[151:152], v[151:152], -v[199:200]
	ds_read2_b64 v[199:202], v253 offset0:24 offset1:25
	;; [unrolled: 8-line block ×38, first 2 shown]
	s_waitcnt lgkmcnt(0)
	v_mul_f64 v[157:158], v[201:202], v[159:160]
	v_fma_f64 v[157:158], v[199:200], v[197:198], -v[157:158]
	v_mul_f64 v[199:200], v[199:200], v[159:160]
	v_add_f64 v[1:2], v[1:2], -v[157:158]
	v_fma_f64 v[199:200], v[201:202], v[197:198], v[199:200]
	v_mov_b32_e32 v157, v197
	v_mov_b32_e32 v158, v198
	v_add_f64 v[3:4], v[3:4], -v[199:200]
.LBB97_91:
	s_or_b32 exec_lo, exec_lo, s1
	s_mov_b32 s2, exec_lo
	s_waitcnt lgkmcnt(0)
	s_barrier
	buffer_gl0_inv
	v_cmpx_eq_u32_e32 10, v0
	s_cbranch_execz .LBB97_98
; %bb.92:
	ds_write2_b64 v255, v[153:154], v[155:156] offset1:1
	ds_write2_b64 v253, v[149:150], v[151:152] offset0:22 offset1:23
	ds_write2_b64 v253, v[145:146], v[147:148] offset0:24 offset1:25
	;; [unrolled: 1-line block ×38, first 2 shown]
	ds_read2_b64 v[197:200], v255 offset1:1
	s_waitcnt lgkmcnt(0)
	v_cmp_neq_f64_e32 vcc_lo, 0, v[197:198]
	v_cmp_neq_f64_e64 s1, 0, v[199:200]
	s_or_b32 s1, vcc_lo, s1
	s_and_b32 exec_lo, exec_lo, s1
	s_cbranch_execz .LBB97_98
; %bb.93:
	v_cmp_ngt_f64_e64 s1, |v[197:198]|, |v[199:200]|
                                        ; implicit-def: $vgpr201_vgpr202
	s_and_saveexec_b32 s3, s1
	s_xor_b32 s1, exec_lo, s3
                                        ; implicit-def: $vgpr203_vgpr204
	s_cbranch_execz .LBB97_95
; %bb.94:
	v_div_scale_f64 v[201:202], null, v[199:200], v[199:200], v[197:198]
	v_div_scale_f64 v[207:208], vcc_lo, v[197:198], v[199:200], v[197:198]
	v_rcp_f64_e32 v[203:204], v[201:202]
	v_fma_f64 v[205:206], -v[201:202], v[203:204], 1.0
	v_fma_f64 v[203:204], v[203:204], v[205:206], v[203:204]
	v_fma_f64 v[205:206], -v[201:202], v[203:204], 1.0
	v_fma_f64 v[203:204], v[203:204], v[205:206], v[203:204]
	v_mul_f64 v[205:206], v[207:208], v[203:204]
	v_fma_f64 v[201:202], -v[201:202], v[205:206], v[207:208]
	v_div_fmas_f64 v[201:202], v[201:202], v[203:204], v[205:206]
	v_div_fixup_f64 v[201:202], v[201:202], v[199:200], v[197:198]
	v_fma_f64 v[197:198], v[197:198], v[201:202], v[199:200]
	v_div_scale_f64 v[199:200], null, v[197:198], v[197:198], 1.0
	v_rcp_f64_e32 v[203:204], v[199:200]
	v_fma_f64 v[205:206], -v[199:200], v[203:204], 1.0
	v_fma_f64 v[203:204], v[203:204], v[205:206], v[203:204]
	v_fma_f64 v[205:206], -v[199:200], v[203:204], 1.0
	v_fma_f64 v[203:204], v[203:204], v[205:206], v[203:204]
	v_div_scale_f64 v[205:206], vcc_lo, 1.0, v[197:198], 1.0
	v_mul_f64 v[207:208], v[205:206], v[203:204]
	v_fma_f64 v[199:200], -v[199:200], v[207:208], v[205:206]
	v_div_fmas_f64 v[199:200], v[199:200], v[203:204], v[207:208]
	v_div_fixup_f64 v[203:204], v[199:200], v[197:198], 1.0
                                        ; implicit-def: $vgpr197_vgpr198
	v_mul_f64 v[201:202], v[201:202], v[203:204]
	v_xor_b32_e32 v204, 0x80000000, v204
.LBB97_95:
	s_andn2_saveexec_b32 s1, s1
	s_cbranch_execz .LBB97_97
; %bb.96:
	v_div_scale_f64 v[201:202], null, v[197:198], v[197:198], v[199:200]
	v_div_scale_f64 v[207:208], vcc_lo, v[199:200], v[197:198], v[199:200]
	v_rcp_f64_e32 v[203:204], v[201:202]
	v_fma_f64 v[205:206], -v[201:202], v[203:204], 1.0
	v_fma_f64 v[203:204], v[203:204], v[205:206], v[203:204]
	v_fma_f64 v[205:206], -v[201:202], v[203:204], 1.0
	v_fma_f64 v[203:204], v[203:204], v[205:206], v[203:204]
	v_mul_f64 v[205:206], v[207:208], v[203:204]
	v_fma_f64 v[201:202], -v[201:202], v[205:206], v[207:208]
	v_div_fmas_f64 v[201:202], v[201:202], v[203:204], v[205:206]
	v_div_fixup_f64 v[203:204], v[201:202], v[197:198], v[199:200]
	v_fma_f64 v[197:198], v[199:200], v[203:204], v[197:198]
	v_div_scale_f64 v[199:200], null, v[197:198], v[197:198], 1.0
	v_rcp_f64_e32 v[201:202], v[199:200]
	v_fma_f64 v[205:206], -v[199:200], v[201:202], 1.0
	v_fma_f64 v[201:202], v[201:202], v[205:206], v[201:202]
	v_fma_f64 v[205:206], -v[199:200], v[201:202], 1.0
	v_fma_f64 v[201:202], v[201:202], v[205:206], v[201:202]
	v_div_scale_f64 v[205:206], vcc_lo, 1.0, v[197:198], 1.0
	v_mul_f64 v[207:208], v[205:206], v[201:202]
	v_fma_f64 v[199:200], -v[199:200], v[207:208], v[205:206]
	v_div_fmas_f64 v[199:200], v[199:200], v[201:202], v[207:208]
	v_div_fixup_f64 v[201:202], v[199:200], v[197:198], 1.0
	v_mul_f64 v[203:204], v[203:204], -v[201:202]
.LBB97_97:
	s_or_b32 exec_lo, exec_lo, s1
	ds_write2_b64 v255, v[201:202], v[203:204] offset1:1
.LBB97_98:
	s_or_b32 exec_lo, exec_lo, s2
	s_waitcnt lgkmcnt(0)
	s_barrier
	buffer_gl0_inv
	ds_read2_b64 v[193:196], v255 offset1:1
	s_mov_b32 s1, exec_lo
	v_cmpx_lt_u32_e32 10, v0
	s_cbranch_execz .LBB97_100
; %bb.99:
	s_waitcnt lgkmcnt(0)
	v_mul_f64 v[197:198], v[195:196], v[155:156]
	v_mul_f64 v[155:156], v[193:194], v[155:156]
	ds_read2_b64 v[199:202], v253 offset0:22 offset1:23
	v_fma_f64 v[197:198], v[193:194], v[153:154], -v[197:198]
	v_fma_f64 v[155:156], v[195:196], v[153:154], v[155:156]
	s_waitcnt lgkmcnt(0)
	v_mul_f64 v[153:154], v[201:202], v[155:156]
	v_fma_f64 v[153:154], v[199:200], v[197:198], -v[153:154]
	v_mul_f64 v[199:200], v[199:200], v[155:156]
	v_add_f64 v[149:150], v[149:150], -v[153:154]
	v_fma_f64 v[199:200], v[201:202], v[197:198], v[199:200]
	v_add_f64 v[151:152], v[151:152], -v[199:200]
	ds_read2_b64 v[199:202], v253 offset0:24 offset1:25
	s_waitcnt lgkmcnt(0)
	v_mul_f64 v[153:154], v[201:202], v[155:156]
	v_fma_f64 v[153:154], v[199:200], v[197:198], -v[153:154]
	v_mul_f64 v[199:200], v[199:200], v[155:156]
	v_add_f64 v[145:146], v[145:146], -v[153:154]
	v_fma_f64 v[199:200], v[201:202], v[197:198], v[199:200]
	v_add_f64 v[147:148], v[147:148], -v[199:200]
	ds_read2_b64 v[199:202], v253 offset0:26 offset1:27
	;; [unrolled: 8-line block ×37, first 2 shown]
	s_waitcnt lgkmcnt(0)
	v_mul_f64 v[153:154], v[201:202], v[155:156]
	v_fma_f64 v[153:154], v[199:200], v[197:198], -v[153:154]
	v_mul_f64 v[199:200], v[199:200], v[155:156]
	v_add_f64 v[1:2], v[1:2], -v[153:154]
	v_fma_f64 v[199:200], v[201:202], v[197:198], v[199:200]
	v_mov_b32_e32 v153, v197
	v_mov_b32_e32 v154, v198
	v_add_f64 v[3:4], v[3:4], -v[199:200]
.LBB97_100:
	s_or_b32 exec_lo, exec_lo, s1
	s_mov_b32 s2, exec_lo
	s_waitcnt lgkmcnt(0)
	s_barrier
	buffer_gl0_inv
	v_cmpx_eq_u32_e32 11, v0
	s_cbranch_execz .LBB97_107
; %bb.101:
	ds_write2_b64 v255, v[149:150], v[151:152] offset1:1
	ds_write2_b64 v253, v[145:146], v[147:148] offset0:24 offset1:25
	ds_write2_b64 v253, v[141:142], v[143:144] offset0:26 offset1:27
	;; [unrolled: 1-line block ×37, first 2 shown]
	ds_read2_b64 v[197:200], v255 offset1:1
	s_waitcnt lgkmcnt(0)
	v_cmp_neq_f64_e32 vcc_lo, 0, v[197:198]
	v_cmp_neq_f64_e64 s1, 0, v[199:200]
	s_or_b32 s1, vcc_lo, s1
	s_and_b32 exec_lo, exec_lo, s1
	s_cbranch_execz .LBB97_107
; %bb.102:
	v_cmp_ngt_f64_e64 s1, |v[197:198]|, |v[199:200]|
                                        ; implicit-def: $vgpr201_vgpr202
	s_and_saveexec_b32 s3, s1
	s_xor_b32 s1, exec_lo, s3
                                        ; implicit-def: $vgpr203_vgpr204
	s_cbranch_execz .LBB97_104
; %bb.103:
	v_div_scale_f64 v[201:202], null, v[199:200], v[199:200], v[197:198]
	v_div_scale_f64 v[207:208], vcc_lo, v[197:198], v[199:200], v[197:198]
	v_rcp_f64_e32 v[203:204], v[201:202]
	v_fma_f64 v[205:206], -v[201:202], v[203:204], 1.0
	v_fma_f64 v[203:204], v[203:204], v[205:206], v[203:204]
	v_fma_f64 v[205:206], -v[201:202], v[203:204], 1.0
	v_fma_f64 v[203:204], v[203:204], v[205:206], v[203:204]
	v_mul_f64 v[205:206], v[207:208], v[203:204]
	v_fma_f64 v[201:202], -v[201:202], v[205:206], v[207:208]
	v_div_fmas_f64 v[201:202], v[201:202], v[203:204], v[205:206]
	v_div_fixup_f64 v[201:202], v[201:202], v[199:200], v[197:198]
	v_fma_f64 v[197:198], v[197:198], v[201:202], v[199:200]
	v_div_scale_f64 v[199:200], null, v[197:198], v[197:198], 1.0
	v_rcp_f64_e32 v[203:204], v[199:200]
	v_fma_f64 v[205:206], -v[199:200], v[203:204], 1.0
	v_fma_f64 v[203:204], v[203:204], v[205:206], v[203:204]
	v_fma_f64 v[205:206], -v[199:200], v[203:204], 1.0
	v_fma_f64 v[203:204], v[203:204], v[205:206], v[203:204]
	v_div_scale_f64 v[205:206], vcc_lo, 1.0, v[197:198], 1.0
	v_mul_f64 v[207:208], v[205:206], v[203:204]
	v_fma_f64 v[199:200], -v[199:200], v[207:208], v[205:206]
	v_div_fmas_f64 v[199:200], v[199:200], v[203:204], v[207:208]
	v_div_fixup_f64 v[203:204], v[199:200], v[197:198], 1.0
                                        ; implicit-def: $vgpr197_vgpr198
	v_mul_f64 v[201:202], v[201:202], v[203:204]
	v_xor_b32_e32 v204, 0x80000000, v204
.LBB97_104:
	s_andn2_saveexec_b32 s1, s1
	s_cbranch_execz .LBB97_106
; %bb.105:
	v_div_scale_f64 v[201:202], null, v[197:198], v[197:198], v[199:200]
	v_div_scale_f64 v[207:208], vcc_lo, v[199:200], v[197:198], v[199:200]
	v_rcp_f64_e32 v[203:204], v[201:202]
	v_fma_f64 v[205:206], -v[201:202], v[203:204], 1.0
	v_fma_f64 v[203:204], v[203:204], v[205:206], v[203:204]
	v_fma_f64 v[205:206], -v[201:202], v[203:204], 1.0
	v_fma_f64 v[203:204], v[203:204], v[205:206], v[203:204]
	v_mul_f64 v[205:206], v[207:208], v[203:204]
	v_fma_f64 v[201:202], -v[201:202], v[205:206], v[207:208]
	v_div_fmas_f64 v[201:202], v[201:202], v[203:204], v[205:206]
	v_div_fixup_f64 v[203:204], v[201:202], v[197:198], v[199:200]
	v_fma_f64 v[197:198], v[199:200], v[203:204], v[197:198]
	v_div_scale_f64 v[199:200], null, v[197:198], v[197:198], 1.0
	v_rcp_f64_e32 v[201:202], v[199:200]
	v_fma_f64 v[205:206], -v[199:200], v[201:202], 1.0
	v_fma_f64 v[201:202], v[201:202], v[205:206], v[201:202]
	v_fma_f64 v[205:206], -v[199:200], v[201:202], 1.0
	v_fma_f64 v[201:202], v[201:202], v[205:206], v[201:202]
	v_div_scale_f64 v[205:206], vcc_lo, 1.0, v[197:198], 1.0
	v_mul_f64 v[207:208], v[205:206], v[201:202]
	v_fma_f64 v[199:200], -v[199:200], v[207:208], v[205:206]
	v_div_fmas_f64 v[199:200], v[199:200], v[201:202], v[207:208]
	v_div_fixup_f64 v[201:202], v[199:200], v[197:198], 1.0
	v_mul_f64 v[203:204], v[203:204], -v[201:202]
.LBB97_106:
	s_or_b32 exec_lo, exec_lo, s1
	ds_write2_b64 v255, v[201:202], v[203:204] offset1:1
.LBB97_107:
	s_or_b32 exec_lo, exec_lo, s2
	s_waitcnt lgkmcnt(0)
	s_barrier
	buffer_gl0_inv
	ds_read2_b64 v[249:252], v255 offset1:1
	s_mov_b32 s1, exec_lo
	v_cmpx_lt_u32_e32 11, v0
	s_cbranch_execz .LBB97_109
; %bb.108:
	s_waitcnt lgkmcnt(0)
	v_mul_f64 v[197:198], v[251:252], v[151:152]
	v_mul_f64 v[151:152], v[249:250], v[151:152]
	ds_read2_b64 v[199:202], v253 offset0:24 offset1:25
	v_fma_f64 v[197:198], v[249:250], v[149:150], -v[197:198]
	v_fma_f64 v[151:152], v[251:252], v[149:150], v[151:152]
	s_waitcnt lgkmcnt(0)
	v_mul_f64 v[149:150], v[201:202], v[151:152]
	v_fma_f64 v[149:150], v[199:200], v[197:198], -v[149:150]
	v_mul_f64 v[199:200], v[199:200], v[151:152]
	v_add_f64 v[145:146], v[145:146], -v[149:150]
	v_fma_f64 v[199:200], v[201:202], v[197:198], v[199:200]
	v_add_f64 v[147:148], v[147:148], -v[199:200]
	ds_read2_b64 v[199:202], v253 offset0:26 offset1:27
	s_waitcnt lgkmcnt(0)
	v_mul_f64 v[149:150], v[201:202], v[151:152]
	v_fma_f64 v[149:150], v[199:200], v[197:198], -v[149:150]
	v_mul_f64 v[199:200], v[199:200], v[151:152]
	v_add_f64 v[141:142], v[141:142], -v[149:150]
	v_fma_f64 v[199:200], v[201:202], v[197:198], v[199:200]
	v_add_f64 v[143:144], v[143:144], -v[199:200]
	ds_read2_b64 v[199:202], v253 offset0:28 offset1:29
	s_waitcnt lgkmcnt(0)
	v_mul_f64 v[149:150], v[201:202], v[151:152]
	v_fma_f64 v[149:150], v[199:200], v[197:198], -v[149:150]
	v_mul_f64 v[199:200], v[199:200], v[151:152]
	v_add_f64 v[137:138], v[137:138], -v[149:150]
	v_fma_f64 v[199:200], v[201:202], v[197:198], v[199:200]
	v_add_f64 v[139:140], v[139:140], -v[199:200]
	ds_read2_b64 v[199:202], v253 offset0:30 offset1:31
	s_waitcnt lgkmcnt(0)
	v_mul_f64 v[149:150], v[201:202], v[151:152]
	v_fma_f64 v[149:150], v[199:200], v[197:198], -v[149:150]
	v_mul_f64 v[199:200], v[199:200], v[151:152]
	v_add_f64 v[133:134], v[133:134], -v[149:150]
	v_fma_f64 v[199:200], v[201:202], v[197:198], v[199:200]
	v_add_f64 v[135:136], v[135:136], -v[199:200]
	ds_read2_b64 v[199:202], v253 offset0:32 offset1:33
	s_waitcnt lgkmcnt(0)
	v_mul_f64 v[149:150], v[201:202], v[151:152]
	v_fma_f64 v[149:150], v[199:200], v[197:198], -v[149:150]
	v_mul_f64 v[199:200], v[199:200], v[151:152]
	v_add_f64 v[129:130], v[129:130], -v[149:150]
	v_fma_f64 v[199:200], v[201:202], v[197:198], v[199:200]
	v_add_f64 v[131:132], v[131:132], -v[199:200]
	ds_read2_b64 v[199:202], v253 offset0:34 offset1:35
	s_waitcnt lgkmcnt(0)
	v_mul_f64 v[149:150], v[201:202], v[151:152]
	v_fma_f64 v[149:150], v[199:200], v[197:198], -v[149:150]
	v_mul_f64 v[199:200], v[199:200], v[151:152]
	v_add_f64 v[125:126], v[125:126], -v[149:150]
	v_fma_f64 v[199:200], v[201:202], v[197:198], v[199:200]
	v_add_f64 v[127:128], v[127:128], -v[199:200]
	ds_read2_b64 v[199:202], v253 offset0:36 offset1:37
	s_waitcnt lgkmcnt(0)
	v_mul_f64 v[149:150], v[201:202], v[151:152]
	v_fma_f64 v[149:150], v[199:200], v[197:198], -v[149:150]
	v_mul_f64 v[199:200], v[199:200], v[151:152]
	v_add_f64 v[121:122], v[121:122], -v[149:150]
	v_fma_f64 v[199:200], v[201:202], v[197:198], v[199:200]
	v_add_f64 v[123:124], v[123:124], -v[199:200]
	ds_read2_b64 v[199:202], v253 offset0:38 offset1:39
	s_waitcnt lgkmcnt(0)
	v_mul_f64 v[149:150], v[201:202], v[151:152]
	v_fma_f64 v[149:150], v[199:200], v[197:198], -v[149:150]
	v_mul_f64 v[199:200], v[199:200], v[151:152]
	v_add_f64 v[117:118], v[117:118], -v[149:150]
	v_fma_f64 v[199:200], v[201:202], v[197:198], v[199:200]
	v_add_f64 v[119:120], v[119:120], -v[199:200]
	ds_read2_b64 v[199:202], v253 offset0:40 offset1:41
	s_waitcnt lgkmcnt(0)
	v_mul_f64 v[149:150], v[201:202], v[151:152]
	v_fma_f64 v[149:150], v[199:200], v[197:198], -v[149:150]
	v_mul_f64 v[199:200], v[199:200], v[151:152]
	v_add_f64 v[113:114], v[113:114], -v[149:150]
	v_fma_f64 v[199:200], v[201:202], v[197:198], v[199:200]
	v_add_f64 v[115:116], v[115:116], -v[199:200]
	ds_read2_b64 v[199:202], v253 offset0:42 offset1:43
	s_waitcnt lgkmcnt(0)
	v_mul_f64 v[149:150], v[201:202], v[151:152]
	v_fma_f64 v[149:150], v[199:200], v[197:198], -v[149:150]
	v_mul_f64 v[199:200], v[199:200], v[151:152]
	v_add_f64 v[109:110], v[109:110], -v[149:150]
	v_fma_f64 v[199:200], v[201:202], v[197:198], v[199:200]
	v_add_f64 v[111:112], v[111:112], -v[199:200]
	ds_read2_b64 v[199:202], v253 offset0:44 offset1:45
	s_waitcnt lgkmcnt(0)
	v_mul_f64 v[149:150], v[201:202], v[151:152]
	v_fma_f64 v[149:150], v[199:200], v[197:198], -v[149:150]
	v_mul_f64 v[199:200], v[199:200], v[151:152]
	v_add_f64 v[105:106], v[105:106], -v[149:150]
	v_fma_f64 v[199:200], v[201:202], v[197:198], v[199:200]
	v_add_f64 v[107:108], v[107:108], -v[199:200]
	ds_read2_b64 v[199:202], v253 offset0:46 offset1:47
	s_waitcnt lgkmcnt(0)
	v_mul_f64 v[149:150], v[201:202], v[151:152]
	v_fma_f64 v[149:150], v[199:200], v[197:198], -v[149:150]
	v_mul_f64 v[199:200], v[199:200], v[151:152]
	v_add_f64 v[101:102], v[101:102], -v[149:150]
	v_fma_f64 v[199:200], v[201:202], v[197:198], v[199:200]
	v_add_f64 v[103:104], v[103:104], -v[199:200]
	ds_read2_b64 v[199:202], v253 offset0:48 offset1:49
	s_waitcnt lgkmcnt(0)
	v_mul_f64 v[149:150], v[201:202], v[151:152]
	v_fma_f64 v[149:150], v[199:200], v[197:198], -v[149:150]
	v_mul_f64 v[199:200], v[199:200], v[151:152]
	v_add_f64 v[97:98], v[97:98], -v[149:150]
	v_fma_f64 v[199:200], v[201:202], v[197:198], v[199:200]
	v_add_f64 v[99:100], v[99:100], -v[199:200]
	ds_read2_b64 v[199:202], v253 offset0:50 offset1:51
	s_waitcnt lgkmcnt(0)
	v_mul_f64 v[149:150], v[201:202], v[151:152]
	v_fma_f64 v[149:150], v[199:200], v[197:198], -v[149:150]
	v_mul_f64 v[199:200], v[199:200], v[151:152]
	v_add_f64 v[93:94], v[93:94], -v[149:150]
	v_fma_f64 v[199:200], v[201:202], v[197:198], v[199:200]
	v_add_f64 v[95:96], v[95:96], -v[199:200]
	ds_read2_b64 v[199:202], v253 offset0:52 offset1:53
	s_waitcnt lgkmcnt(0)
	v_mul_f64 v[149:150], v[201:202], v[151:152]
	v_fma_f64 v[149:150], v[199:200], v[197:198], -v[149:150]
	v_mul_f64 v[199:200], v[199:200], v[151:152]
	v_add_f64 v[89:90], v[89:90], -v[149:150]
	v_fma_f64 v[199:200], v[201:202], v[197:198], v[199:200]
	v_add_f64 v[91:92], v[91:92], -v[199:200]
	ds_read2_b64 v[199:202], v253 offset0:54 offset1:55
	s_waitcnt lgkmcnt(0)
	v_mul_f64 v[149:150], v[201:202], v[151:152]
	v_fma_f64 v[149:150], v[199:200], v[197:198], -v[149:150]
	v_mul_f64 v[199:200], v[199:200], v[151:152]
	v_add_f64 v[85:86], v[85:86], -v[149:150]
	v_fma_f64 v[199:200], v[201:202], v[197:198], v[199:200]
	v_add_f64 v[87:88], v[87:88], -v[199:200]
	ds_read2_b64 v[199:202], v253 offset0:56 offset1:57
	s_waitcnt lgkmcnt(0)
	v_mul_f64 v[149:150], v[201:202], v[151:152]
	v_fma_f64 v[149:150], v[199:200], v[197:198], -v[149:150]
	v_mul_f64 v[199:200], v[199:200], v[151:152]
	v_add_f64 v[81:82], v[81:82], -v[149:150]
	v_fma_f64 v[199:200], v[201:202], v[197:198], v[199:200]
	v_add_f64 v[83:84], v[83:84], -v[199:200]
	ds_read2_b64 v[199:202], v253 offset0:58 offset1:59
	s_waitcnt lgkmcnt(0)
	v_mul_f64 v[149:150], v[201:202], v[151:152]
	v_fma_f64 v[149:150], v[199:200], v[197:198], -v[149:150]
	v_mul_f64 v[199:200], v[199:200], v[151:152]
	v_add_f64 v[77:78], v[77:78], -v[149:150]
	v_fma_f64 v[199:200], v[201:202], v[197:198], v[199:200]
	v_add_f64 v[79:80], v[79:80], -v[199:200]
	ds_read2_b64 v[199:202], v253 offset0:60 offset1:61
	s_waitcnt lgkmcnt(0)
	v_mul_f64 v[149:150], v[201:202], v[151:152]
	v_fma_f64 v[149:150], v[199:200], v[197:198], -v[149:150]
	v_mul_f64 v[199:200], v[199:200], v[151:152]
	v_add_f64 v[73:74], v[73:74], -v[149:150]
	v_fma_f64 v[199:200], v[201:202], v[197:198], v[199:200]
	v_add_f64 v[75:76], v[75:76], -v[199:200]
	ds_read2_b64 v[199:202], v253 offset0:62 offset1:63
	s_waitcnt lgkmcnt(0)
	v_mul_f64 v[149:150], v[201:202], v[151:152]
	v_fma_f64 v[149:150], v[199:200], v[197:198], -v[149:150]
	v_mul_f64 v[199:200], v[199:200], v[151:152]
	v_add_f64 v[69:70], v[69:70], -v[149:150]
	v_fma_f64 v[199:200], v[201:202], v[197:198], v[199:200]
	v_add_f64 v[71:72], v[71:72], -v[199:200]
	ds_read2_b64 v[199:202], v253 offset0:64 offset1:65
	s_waitcnt lgkmcnt(0)
	v_mul_f64 v[149:150], v[201:202], v[151:152]
	v_fma_f64 v[149:150], v[199:200], v[197:198], -v[149:150]
	v_mul_f64 v[199:200], v[199:200], v[151:152]
	v_add_f64 v[65:66], v[65:66], -v[149:150]
	v_fma_f64 v[199:200], v[201:202], v[197:198], v[199:200]
	v_add_f64 v[67:68], v[67:68], -v[199:200]
	ds_read2_b64 v[199:202], v253 offset0:66 offset1:67
	s_waitcnt lgkmcnt(0)
	v_mul_f64 v[149:150], v[201:202], v[151:152]
	v_fma_f64 v[149:150], v[199:200], v[197:198], -v[149:150]
	v_mul_f64 v[199:200], v[199:200], v[151:152]
	v_add_f64 v[61:62], v[61:62], -v[149:150]
	v_fma_f64 v[199:200], v[201:202], v[197:198], v[199:200]
	v_add_f64 v[63:64], v[63:64], -v[199:200]
	ds_read2_b64 v[199:202], v253 offset0:68 offset1:69
	s_waitcnt lgkmcnt(0)
	v_mul_f64 v[149:150], v[201:202], v[151:152]
	v_fma_f64 v[149:150], v[199:200], v[197:198], -v[149:150]
	v_mul_f64 v[199:200], v[199:200], v[151:152]
	v_add_f64 v[57:58], v[57:58], -v[149:150]
	v_fma_f64 v[199:200], v[201:202], v[197:198], v[199:200]
	v_add_f64 v[59:60], v[59:60], -v[199:200]
	ds_read2_b64 v[199:202], v253 offset0:70 offset1:71
	s_waitcnt lgkmcnt(0)
	v_mul_f64 v[149:150], v[201:202], v[151:152]
	v_fma_f64 v[149:150], v[199:200], v[197:198], -v[149:150]
	v_mul_f64 v[199:200], v[199:200], v[151:152]
	v_add_f64 v[53:54], v[53:54], -v[149:150]
	v_fma_f64 v[199:200], v[201:202], v[197:198], v[199:200]
	v_add_f64 v[55:56], v[55:56], -v[199:200]
	ds_read2_b64 v[199:202], v253 offset0:72 offset1:73
	s_waitcnt lgkmcnt(0)
	v_mul_f64 v[149:150], v[201:202], v[151:152]
	v_fma_f64 v[149:150], v[199:200], v[197:198], -v[149:150]
	v_mul_f64 v[199:200], v[199:200], v[151:152]
	v_add_f64 v[49:50], v[49:50], -v[149:150]
	v_fma_f64 v[199:200], v[201:202], v[197:198], v[199:200]
	v_add_f64 v[51:52], v[51:52], -v[199:200]
	ds_read2_b64 v[199:202], v253 offset0:74 offset1:75
	s_waitcnt lgkmcnt(0)
	v_mul_f64 v[149:150], v[201:202], v[151:152]
	v_fma_f64 v[149:150], v[199:200], v[197:198], -v[149:150]
	v_mul_f64 v[199:200], v[199:200], v[151:152]
	v_add_f64 v[45:46], v[45:46], -v[149:150]
	v_fma_f64 v[199:200], v[201:202], v[197:198], v[199:200]
	v_add_f64 v[47:48], v[47:48], -v[199:200]
	ds_read2_b64 v[199:202], v253 offset0:76 offset1:77
	s_waitcnt lgkmcnt(0)
	v_mul_f64 v[149:150], v[201:202], v[151:152]
	v_fma_f64 v[149:150], v[199:200], v[197:198], -v[149:150]
	v_mul_f64 v[199:200], v[199:200], v[151:152]
	v_add_f64 v[41:42], v[41:42], -v[149:150]
	v_fma_f64 v[199:200], v[201:202], v[197:198], v[199:200]
	v_add_f64 v[43:44], v[43:44], -v[199:200]
	ds_read2_b64 v[199:202], v253 offset0:78 offset1:79
	s_waitcnt lgkmcnt(0)
	v_mul_f64 v[149:150], v[201:202], v[151:152]
	v_fma_f64 v[149:150], v[199:200], v[197:198], -v[149:150]
	v_mul_f64 v[199:200], v[199:200], v[151:152]
	v_add_f64 v[37:38], v[37:38], -v[149:150]
	v_fma_f64 v[199:200], v[201:202], v[197:198], v[199:200]
	v_add_f64 v[39:40], v[39:40], -v[199:200]
	ds_read2_b64 v[199:202], v253 offset0:80 offset1:81
	s_waitcnt lgkmcnt(0)
	v_mul_f64 v[149:150], v[201:202], v[151:152]
	v_fma_f64 v[149:150], v[199:200], v[197:198], -v[149:150]
	v_mul_f64 v[199:200], v[199:200], v[151:152]
	v_add_f64 v[33:34], v[33:34], -v[149:150]
	v_fma_f64 v[199:200], v[201:202], v[197:198], v[199:200]
	v_add_f64 v[35:36], v[35:36], -v[199:200]
	ds_read2_b64 v[199:202], v253 offset0:82 offset1:83
	s_waitcnt lgkmcnt(0)
	v_mul_f64 v[149:150], v[201:202], v[151:152]
	v_fma_f64 v[149:150], v[199:200], v[197:198], -v[149:150]
	v_mul_f64 v[199:200], v[199:200], v[151:152]
	v_add_f64 v[29:30], v[29:30], -v[149:150]
	v_fma_f64 v[199:200], v[201:202], v[197:198], v[199:200]
	v_add_f64 v[31:32], v[31:32], -v[199:200]
	ds_read2_b64 v[199:202], v253 offset0:84 offset1:85
	s_waitcnt lgkmcnt(0)
	v_mul_f64 v[149:150], v[201:202], v[151:152]
	v_fma_f64 v[149:150], v[199:200], v[197:198], -v[149:150]
	v_mul_f64 v[199:200], v[199:200], v[151:152]
	v_add_f64 v[25:26], v[25:26], -v[149:150]
	v_fma_f64 v[199:200], v[201:202], v[197:198], v[199:200]
	v_add_f64 v[27:28], v[27:28], -v[199:200]
	ds_read2_b64 v[199:202], v253 offset0:86 offset1:87
	s_waitcnt lgkmcnt(0)
	v_mul_f64 v[149:150], v[201:202], v[151:152]
	v_fma_f64 v[149:150], v[199:200], v[197:198], -v[149:150]
	v_mul_f64 v[199:200], v[199:200], v[151:152]
	v_add_f64 v[21:22], v[21:22], -v[149:150]
	v_fma_f64 v[199:200], v[201:202], v[197:198], v[199:200]
	v_add_f64 v[23:24], v[23:24], -v[199:200]
	ds_read2_b64 v[199:202], v253 offset0:88 offset1:89
	s_waitcnt lgkmcnt(0)
	v_mul_f64 v[149:150], v[201:202], v[151:152]
	v_fma_f64 v[149:150], v[199:200], v[197:198], -v[149:150]
	v_mul_f64 v[199:200], v[199:200], v[151:152]
	v_add_f64 v[17:18], v[17:18], -v[149:150]
	v_fma_f64 v[199:200], v[201:202], v[197:198], v[199:200]
	v_add_f64 v[19:20], v[19:20], -v[199:200]
	ds_read2_b64 v[199:202], v253 offset0:90 offset1:91
	s_waitcnt lgkmcnt(0)
	v_mul_f64 v[149:150], v[201:202], v[151:152]
	v_fma_f64 v[149:150], v[199:200], v[197:198], -v[149:150]
	v_mul_f64 v[199:200], v[199:200], v[151:152]
	v_add_f64 v[13:14], v[13:14], -v[149:150]
	v_fma_f64 v[199:200], v[201:202], v[197:198], v[199:200]
	v_add_f64 v[15:16], v[15:16], -v[199:200]
	ds_read2_b64 v[199:202], v253 offset0:92 offset1:93
	s_waitcnt lgkmcnt(0)
	v_mul_f64 v[149:150], v[201:202], v[151:152]
	v_fma_f64 v[149:150], v[199:200], v[197:198], -v[149:150]
	v_mul_f64 v[199:200], v[199:200], v[151:152]
	v_add_f64 v[9:10], v[9:10], -v[149:150]
	v_fma_f64 v[199:200], v[201:202], v[197:198], v[199:200]
	v_add_f64 v[11:12], v[11:12], -v[199:200]
	ds_read2_b64 v[199:202], v253 offset0:94 offset1:95
	s_waitcnt lgkmcnt(0)
	v_mul_f64 v[149:150], v[201:202], v[151:152]
	v_fma_f64 v[149:150], v[199:200], v[197:198], -v[149:150]
	v_mul_f64 v[199:200], v[199:200], v[151:152]
	v_add_f64 v[5:6], v[5:6], -v[149:150]
	v_fma_f64 v[199:200], v[201:202], v[197:198], v[199:200]
	v_add_f64 v[7:8], v[7:8], -v[199:200]
	ds_read2_b64 v[199:202], v253 offset0:96 offset1:97
	s_waitcnt lgkmcnt(0)
	v_mul_f64 v[149:150], v[201:202], v[151:152]
	v_fma_f64 v[149:150], v[199:200], v[197:198], -v[149:150]
	v_mul_f64 v[199:200], v[199:200], v[151:152]
	v_add_f64 v[1:2], v[1:2], -v[149:150]
	v_fma_f64 v[199:200], v[201:202], v[197:198], v[199:200]
	v_mov_b32_e32 v149, v197
	v_mov_b32_e32 v150, v198
	v_add_f64 v[3:4], v[3:4], -v[199:200]
.LBB97_109:
	s_or_b32 exec_lo, exec_lo, s1
	s_mov_b32 s2, exec_lo
	s_waitcnt lgkmcnt(0)
	s_barrier
	buffer_gl0_inv
	v_cmpx_eq_u32_e32 12, v0
	s_cbranch_execz .LBB97_116
; %bb.110:
	ds_write2_b64 v255, v[145:146], v[147:148] offset1:1
	ds_write2_b64 v253, v[141:142], v[143:144] offset0:26 offset1:27
	ds_write2_b64 v253, v[137:138], v[139:140] offset0:28 offset1:29
	;; [unrolled: 1-line block ×36, first 2 shown]
	ds_read2_b64 v[197:200], v255 offset1:1
	s_waitcnt lgkmcnt(0)
	v_cmp_neq_f64_e32 vcc_lo, 0, v[197:198]
	v_cmp_neq_f64_e64 s1, 0, v[199:200]
	s_or_b32 s1, vcc_lo, s1
	s_and_b32 exec_lo, exec_lo, s1
	s_cbranch_execz .LBB97_116
; %bb.111:
	v_cmp_ngt_f64_e64 s1, |v[197:198]|, |v[199:200]|
                                        ; implicit-def: $vgpr201_vgpr202
	s_and_saveexec_b32 s3, s1
	s_xor_b32 s1, exec_lo, s3
                                        ; implicit-def: $vgpr203_vgpr204
	s_cbranch_execz .LBB97_113
; %bb.112:
	v_div_scale_f64 v[201:202], null, v[199:200], v[199:200], v[197:198]
	v_div_scale_f64 v[207:208], vcc_lo, v[197:198], v[199:200], v[197:198]
	v_rcp_f64_e32 v[203:204], v[201:202]
	v_fma_f64 v[205:206], -v[201:202], v[203:204], 1.0
	v_fma_f64 v[203:204], v[203:204], v[205:206], v[203:204]
	v_fma_f64 v[205:206], -v[201:202], v[203:204], 1.0
	v_fma_f64 v[203:204], v[203:204], v[205:206], v[203:204]
	v_mul_f64 v[205:206], v[207:208], v[203:204]
	v_fma_f64 v[201:202], -v[201:202], v[205:206], v[207:208]
	v_div_fmas_f64 v[201:202], v[201:202], v[203:204], v[205:206]
	v_div_fixup_f64 v[201:202], v[201:202], v[199:200], v[197:198]
	v_fma_f64 v[197:198], v[197:198], v[201:202], v[199:200]
	v_div_scale_f64 v[199:200], null, v[197:198], v[197:198], 1.0
	v_rcp_f64_e32 v[203:204], v[199:200]
	v_fma_f64 v[205:206], -v[199:200], v[203:204], 1.0
	v_fma_f64 v[203:204], v[203:204], v[205:206], v[203:204]
	v_fma_f64 v[205:206], -v[199:200], v[203:204], 1.0
	v_fma_f64 v[203:204], v[203:204], v[205:206], v[203:204]
	v_div_scale_f64 v[205:206], vcc_lo, 1.0, v[197:198], 1.0
	v_mul_f64 v[207:208], v[205:206], v[203:204]
	v_fma_f64 v[199:200], -v[199:200], v[207:208], v[205:206]
	v_div_fmas_f64 v[199:200], v[199:200], v[203:204], v[207:208]
	v_div_fixup_f64 v[203:204], v[199:200], v[197:198], 1.0
                                        ; implicit-def: $vgpr197_vgpr198
	v_mul_f64 v[201:202], v[201:202], v[203:204]
	v_xor_b32_e32 v204, 0x80000000, v204
.LBB97_113:
	s_andn2_saveexec_b32 s1, s1
	s_cbranch_execz .LBB97_115
; %bb.114:
	v_div_scale_f64 v[201:202], null, v[197:198], v[197:198], v[199:200]
	v_div_scale_f64 v[207:208], vcc_lo, v[199:200], v[197:198], v[199:200]
	v_rcp_f64_e32 v[203:204], v[201:202]
	v_fma_f64 v[205:206], -v[201:202], v[203:204], 1.0
	v_fma_f64 v[203:204], v[203:204], v[205:206], v[203:204]
	v_fma_f64 v[205:206], -v[201:202], v[203:204], 1.0
	v_fma_f64 v[203:204], v[203:204], v[205:206], v[203:204]
	v_mul_f64 v[205:206], v[207:208], v[203:204]
	v_fma_f64 v[201:202], -v[201:202], v[205:206], v[207:208]
	v_div_fmas_f64 v[201:202], v[201:202], v[203:204], v[205:206]
	v_div_fixup_f64 v[203:204], v[201:202], v[197:198], v[199:200]
	v_fma_f64 v[197:198], v[199:200], v[203:204], v[197:198]
	v_div_scale_f64 v[199:200], null, v[197:198], v[197:198], 1.0
	v_rcp_f64_e32 v[201:202], v[199:200]
	v_fma_f64 v[205:206], -v[199:200], v[201:202], 1.0
	v_fma_f64 v[201:202], v[201:202], v[205:206], v[201:202]
	v_fma_f64 v[205:206], -v[199:200], v[201:202], 1.0
	v_fma_f64 v[201:202], v[201:202], v[205:206], v[201:202]
	v_div_scale_f64 v[205:206], vcc_lo, 1.0, v[197:198], 1.0
	v_mul_f64 v[207:208], v[205:206], v[201:202]
	v_fma_f64 v[199:200], -v[199:200], v[207:208], v[205:206]
	v_div_fmas_f64 v[199:200], v[199:200], v[201:202], v[207:208]
	v_div_fixup_f64 v[201:202], v[199:200], v[197:198], 1.0
	v_mul_f64 v[203:204], v[203:204], -v[201:202]
.LBB97_115:
	s_or_b32 exec_lo, exec_lo, s1
	ds_write2_b64 v255, v[201:202], v[203:204] offset1:1
.LBB97_116:
	s_or_b32 exec_lo, exec_lo, s2
	s_waitcnt lgkmcnt(0)
	s_barrier
	buffer_gl0_inv
	ds_read2_b64 v[245:248], v255 offset1:1
	s_mov_b32 s1, exec_lo
	v_cmpx_lt_u32_e32 12, v0
	s_cbranch_execz .LBB97_118
; %bb.117:
	s_waitcnt lgkmcnt(0)
	v_mul_f64 v[197:198], v[247:248], v[147:148]
	v_mul_f64 v[147:148], v[245:246], v[147:148]
	ds_read2_b64 v[199:202], v253 offset0:26 offset1:27
	v_fma_f64 v[197:198], v[245:246], v[145:146], -v[197:198]
	v_fma_f64 v[147:148], v[247:248], v[145:146], v[147:148]
	s_waitcnt lgkmcnt(0)
	v_mul_f64 v[145:146], v[201:202], v[147:148]
	v_fma_f64 v[145:146], v[199:200], v[197:198], -v[145:146]
	v_mul_f64 v[199:200], v[199:200], v[147:148]
	v_add_f64 v[141:142], v[141:142], -v[145:146]
	v_fma_f64 v[199:200], v[201:202], v[197:198], v[199:200]
	v_add_f64 v[143:144], v[143:144], -v[199:200]
	ds_read2_b64 v[199:202], v253 offset0:28 offset1:29
	s_waitcnt lgkmcnt(0)
	v_mul_f64 v[145:146], v[201:202], v[147:148]
	v_fma_f64 v[145:146], v[199:200], v[197:198], -v[145:146]
	v_mul_f64 v[199:200], v[199:200], v[147:148]
	v_add_f64 v[137:138], v[137:138], -v[145:146]
	v_fma_f64 v[199:200], v[201:202], v[197:198], v[199:200]
	v_add_f64 v[139:140], v[139:140], -v[199:200]
	ds_read2_b64 v[199:202], v253 offset0:30 offset1:31
	;; [unrolled: 8-line block ×35, first 2 shown]
	s_waitcnt lgkmcnt(0)
	v_mul_f64 v[145:146], v[201:202], v[147:148]
	v_fma_f64 v[145:146], v[199:200], v[197:198], -v[145:146]
	v_mul_f64 v[199:200], v[199:200], v[147:148]
	v_add_f64 v[1:2], v[1:2], -v[145:146]
	v_fma_f64 v[199:200], v[201:202], v[197:198], v[199:200]
	v_mov_b32_e32 v145, v197
	v_mov_b32_e32 v146, v198
	v_add_f64 v[3:4], v[3:4], -v[199:200]
.LBB97_118:
	s_or_b32 exec_lo, exec_lo, s1
	s_mov_b32 s2, exec_lo
	s_waitcnt lgkmcnt(0)
	s_barrier
	buffer_gl0_inv
	v_cmpx_eq_u32_e32 13, v0
	s_cbranch_execz .LBB97_125
; %bb.119:
	ds_write2_b64 v255, v[141:142], v[143:144] offset1:1
	ds_write2_b64 v253, v[137:138], v[139:140] offset0:28 offset1:29
	ds_write2_b64 v253, v[133:134], v[135:136] offset0:30 offset1:31
	ds_write2_b64 v253, v[129:130], v[131:132] offset0:32 offset1:33
	ds_write2_b64 v253, v[125:126], v[127:128] offset0:34 offset1:35
	ds_write2_b64 v253, v[121:122], v[123:124] offset0:36 offset1:37
	ds_write2_b64 v253, v[117:118], v[119:120] offset0:38 offset1:39
	ds_write2_b64 v253, v[113:114], v[115:116] offset0:40 offset1:41
	ds_write2_b64 v253, v[109:110], v[111:112] offset0:42 offset1:43
	ds_write2_b64 v253, v[105:106], v[107:108] offset0:44 offset1:45
	ds_write2_b64 v253, v[101:102], v[103:104] offset0:46 offset1:47
	ds_write2_b64 v253, v[97:98], v[99:100] offset0:48 offset1:49
	ds_write2_b64 v253, v[93:94], v[95:96] offset0:50 offset1:51
	ds_write2_b64 v253, v[89:90], v[91:92] offset0:52 offset1:53
	ds_write2_b64 v253, v[85:86], v[87:88] offset0:54 offset1:55
	ds_write2_b64 v253, v[81:82], v[83:84] offset0:56 offset1:57
	ds_write2_b64 v253, v[77:78], v[79:80] offset0:58 offset1:59
	ds_write2_b64 v253, v[73:74], v[75:76] offset0:60 offset1:61
	ds_write2_b64 v253, v[69:70], v[71:72] offset0:62 offset1:63
	ds_write2_b64 v253, v[65:66], v[67:68] offset0:64 offset1:65
	ds_write2_b64 v253, v[61:62], v[63:64] offset0:66 offset1:67
	ds_write2_b64 v253, v[57:58], v[59:60] offset0:68 offset1:69
	ds_write2_b64 v253, v[53:54], v[55:56] offset0:70 offset1:71
	ds_write2_b64 v253, v[49:50], v[51:52] offset0:72 offset1:73
	ds_write2_b64 v253, v[45:46], v[47:48] offset0:74 offset1:75
	ds_write2_b64 v253, v[41:42], v[43:44] offset0:76 offset1:77
	ds_write2_b64 v253, v[37:38], v[39:40] offset0:78 offset1:79
	ds_write2_b64 v253, v[33:34], v[35:36] offset0:80 offset1:81
	ds_write2_b64 v253, v[29:30], v[31:32] offset0:82 offset1:83
	ds_write2_b64 v253, v[25:26], v[27:28] offset0:84 offset1:85
	ds_write2_b64 v253, v[21:22], v[23:24] offset0:86 offset1:87
	ds_write2_b64 v253, v[17:18], v[19:20] offset0:88 offset1:89
	ds_write2_b64 v253, v[13:14], v[15:16] offset0:90 offset1:91
	ds_write2_b64 v253, v[9:10], v[11:12] offset0:92 offset1:93
	ds_write2_b64 v253, v[5:6], v[7:8] offset0:94 offset1:95
	ds_write2_b64 v253, v[1:2], v[3:4] offset0:96 offset1:97
	ds_read2_b64 v[197:200], v255 offset1:1
	s_waitcnt lgkmcnt(0)
	v_cmp_neq_f64_e32 vcc_lo, 0, v[197:198]
	v_cmp_neq_f64_e64 s1, 0, v[199:200]
	s_or_b32 s1, vcc_lo, s1
	s_and_b32 exec_lo, exec_lo, s1
	s_cbranch_execz .LBB97_125
; %bb.120:
	v_cmp_ngt_f64_e64 s1, |v[197:198]|, |v[199:200]|
                                        ; implicit-def: $vgpr201_vgpr202
	s_and_saveexec_b32 s3, s1
	s_xor_b32 s1, exec_lo, s3
                                        ; implicit-def: $vgpr203_vgpr204
	s_cbranch_execz .LBB97_122
; %bb.121:
	v_div_scale_f64 v[201:202], null, v[199:200], v[199:200], v[197:198]
	v_div_scale_f64 v[207:208], vcc_lo, v[197:198], v[199:200], v[197:198]
	v_rcp_f64_e32 v[203:204], v[201:202]
	v_fma_f64 v[205:206], -v[201:202], v[203:204], 1.0
	v_fma_f64 v[203:204], v[203:204], v[205:206], v[203:204]
	v_fma_f64 v[205:206], -v[201:202], v[203:204], 1.0
	v_fma_f64 v[203:204], v[203:204], v[205:206], v[203:204]
	v_mul_f64 v[205:206], v[207:208], v[203:204]
	v_fma_f64 v[201:202], -v[201:202], v[205:206], v[207:208]
	v_div_fmas_f64 v[201:202], v[201:202], v[203:204], v[205:206]
	v_div_fixup_f64 v[201:202], v[201:202], v[199:200], v[197:198]
	v_fma_f64 v[197:198], v[197:198], v[201:202], v[199:200]
	v_div_scale_f64 v[199:200], null, v[197:198], v[197:198], 1.0
	v_rcp_f64_e32 v[203:204], v[199:200]
	v_fma_f64 v[205:206], -v[199:200], v[203:204], 1.0
	v_fma_f64 v[203:204], v[203:204], v[205:206], v[203:204]
	v_fma_f64 v[205:206], -v[199:200], v[203:204], 1.0
	v_fma_f64 v[203:204], v[203:204], v[205:206], v[203:204]
	v_div_scale_f64 v[205:206], vcc_lo, 1.0, v[197:198], 1.0
	v_mul_f64 v[207:208], v[205:206], v[203:204]
	v_fma_f64 v[199:200], -v[199:200], v[207:208], v[205:206]
	v_div_fmas_f64 v[199:200], v[199:200], v[203:204], v[207:208]
	v_div_fixup_f64 v[203:204], v[199:200], v[197:198], 1.0
                                        ; implicit-def: $vgpr197_vgpr198
	v_mul_f64 v[201:202], v[201:202], v[203:204]
	v_xor_b32_e32 v204, 0x80000000, v204
.LBB97_122:
	s_andn2_saveexec_b32 s1, s1
	s_cbranch_execz .LBB97_124
; %bb.123:
	v_div_scale_f64 v[201:202], null, v[197:198], v[197:198], v[199:200]
	v_div_scale_f64 v[207:208], vcc_lo, v[199:200], v[197:198], v[199:200]
	v_rcp_f64_e32 v[203:204], v[201:202]
	v_fma_f64 v[205:206], -v[201:202], v[203:204], 1.0
	v_fma_f64 v[203:204], v[203:204], v[205:206], v[203:204]
	v_fma_f64 v[205:206], -v[201:202], v[203:204], 1.0
	v_fma_f64 v[203:204], v[203:204], v[205:206], v[203:204]
	v_mul_f64 v[205:206], v[207:208], v[203:204]
	v_fma_f64 v[201:202], -v[201:202], v[205:206], v[207:208]
	v_div_fmas_f64 v[201:202], v[201:202], v[203:204], v[205:206]
	v_div_fixup_f64 v[203:204], v[201:202], v[197:198], v[199:200]
	v_fma_f64 v[197:198], v[199:200], v[203:204], v[197:198]
	v_div_scale_f64 v[199:200], null, v[197:198], v[197:198], 1.0
	v_rcp_f64_e32 v[201:202], v[199:200]
	v_fma_f64 v[205:206], -v[199:200], v[201:202], 1.0
	v_fma_f64 v[201:202], v[201:202], v[205:206], v[201:202]
	v_fma_f64 v[205:206], -v[199:200], v[201:202], 1.0
	v_fma_f64 v[201:202], v[201:202], v[205:206], v[201:202]
	v_div_scale_f64 v[205:206], vcc_lo, 1.0, v[197:198], 1.0
	v_mul_f64 v[207:208], v[205:206], v[201:202]
	v_fma_f64 v[199:200], -v[199:200], v[207:208], v[205:206]
	v_div_fmas_f64 v[199:200], v[199:200], v[201:202], v[207:208]
	v_div_fixup_f64 v[201:202], v[199:200], v[197:198], 1.0
	v_mul_f64 v[203:204], v[203:204], -v[201:202]
.LBB97_124:
	s_or_b32 exec_lo, exec_lo, s1
	ds_write2_b64 v255, v[201:202], v[203:204] offset1:1
.LBB97_125:
	s_or_b32 exec_lo, exec_lo, s2
	s_waitcnt lgkmcnt(0)
	s_barrier
	buffer_gl0_inv
	ds_read2_b64 v[197:200], v255 offset1:1
	s_mov_b32 s1, exec_lo
	s_waitcnt lgkmcnt(0)
	buffer_store_dword v197, off, s[16:19], 0 offset:504 ; 4-byte Folded Spill
	buffer_store_dword v198, off, s[16:19], 0 offset:508 ; 4-byte Folded Spill
	;; [unrolled: 1-line block ×4, first 2 shown]
	v_cmpx_lt_u32_e32 13, v0
	s_cbranch_execz .LBB97_127
; %bb.126:
	s_clause 0x3
	buffer_load_dword v199, off, s[16:19], 0 offset:504
	buffer_load_dword v200, off, s[16:19], 0 offset:508
	;; [unrolled: 1-line block ×4, first 2 shown]
	s_waitcnt vmcnt(0)
	v_mul_f64 v[197:198], v[201:202], v[143:144]
	v_mul_f64 v[143:144], v[199:200], v[143:144]
	v_fma_f64 v[197:198], v[199:200], v[141:142], -v[197:198]
	v_fma_f64 v[143:144], v[201:202], v[141:142], v[143:144]
	ds_read2_b64 v[199:202], v253 offset0:28 offset1:29
	s_waitcnt lgkmcnt(0)
	v_mul_f64 v[141:142], v[201:202], v[143:144]
	v_fma_f64 v[141:142], v[199:200], v[197:198], -v[141:142]
	v_mul_f64 v[199:200], v[199:200], v[143:144]
	v_add_f64 v[137:138], v[137:138], -v[141:142]
	v_fma_f64 v[199:200], v[201:202], v[197:198], v[199:200]
	v_add_f64 v[139:140], v[139:140], -v[199:200]
	ds_read2_b64 v[199:202], v253 offset0:30 offset1:31
	s_waitcnt lgkmcnt(0)
	v_mul_f64 v[141:142], v[201:202], v[143:144]
	v_fma_f64 v[141:142], v[199:200], v[197:198], -v[141:142]
	v_mul_f64 v[199:200], v[199:200], v[143:144]
	v_add_f64 v[133:134], v[133:134], -v[141:142]
	v_fma_f64 v[199:200], v[201:202], v[197:198], v[199:200]
	v_add_f64 v[135:136], v[135:136], -v[199:200]
	;; [unrolled: 8-line block ×34, first 2 shown]
	ds_read2_b64 v[199:202], v253 offset0:96 offset1:97
	s_waitcnt lgkmcnt(0)
	v_mul_f64 v[141:142], v[201:202], v[143:144]
	v_fma_f64 v[141:142], v[199:200], v[197:198], -v[141:142]
	v_mul_f64 v[199:200], v[199:200], v[143:144]
	v_add_f64 v[1:2], v[1:2], -v[141:142]
	v_fma_f64 v[199:200], v[201:202], v[197:198], v[199:200]
	v_mov_b32_e32 v141, v197
	v_mov_b32_e32 v142, v198
	v_add_f64 v[3:4], v[3:4], -v[199:200]
.LBB97_127:
	s_or_b32 exec_lo, exec_lo, s1
	s_mov_b32 s2, exec_lo
	s_waitcnt_vscnt null, 0x0
	s_barrier
	buffer_gl0_inv
	v_cmpx_eq_u32_e32 14, v0
	s_cbranch_execz .LBB97_134
; %bb.128:
	ds_write2_b64 v255, v[137:138], v[139:140] offset1:1
	ds_write2_b64 v253, v[133:134], v[135:136] offset0:30 offset1:31
	ds_write2_b64 v253, v[129:130], v[131:132] offset0:32 offset1:33
	;; [unrolled: 1-line block ×34, first 2 shown]
	ds_read2_b64 v[197:200], v255 offset1:1
	s_waitcnt lgkmcnt(0)
	v_cmp_neq_f64_e32 vcc_lo, 0, v[197:198]
	v_cmp_neq_f64_e64 s1, 0, v[199:200]
	s_or_b32 s1, vcc_lo, s1
	s_and_b32 exec_lo, exec_lo, s1
	s_cbranch_execz .LBB97_134
; %bb.129:
	v_cmp_ngt_f64_e64 s1, |v[197:198]|, |v[199:200]|
                                        ; implicit-def: $vgpr201_vgpr202
	s_and_saveexec_b32 s3, s1
	s_xor_b32 s1, exec_lo, s3
                                        ; implicit-def: $vgpr203_vgpr204
	s_cbranch_execz .LBB97_131
; %bb.130:
	v_div_scale_f64 v[201:202], null, v[199:200], v[199:200], v[197:198]
	v_div_scale_f64 v[207:208], vcc_lo, v[197:198], v[199:200], v[197:198]
	v_rcp_f64_e32 v[203:204], v[201:202]
	v_fma_f64 v[205:206], -v[201:202], v[203:204], 1.0
	v_fma_f64 v[203:204], v[203:204], v[205:206], v[203:204]
	v_fma_f64 v[205:206], -v[201:202], v[203:204], 1.0
	v_fma_f64 v[203:204], v[203:204], v[205:206], v[203:204]
	v_mul_f64 v[205:206], v[207:208], v[203:204]
	v_fma_f64 v[201:202], -v[201:202], v[205:206], v[207:208]
	v_div_fmas_f64 v[201:202], v[201:202], v[203:204], v[205:206]
	v_div_fixup_f64 v[201:202], v[201:202], v[199:200], v[197:198]
	v_fma_f64 v[197:198], v[197:198], v[201:202], v[199:200]
	v_div_scale_f64 v[199:200], null, v[197:198], v[197:198], 1.0
	v_rcp_f64_e32 v[203:204], v[199:200]
	v_fma_f64 v[205:206], -v[199:200], v[203:204], 1.0
	v_fma_f64 v[203:204], v[203:204], v[205:206], v[203:204]
	v_fma_f64 v[205:206], -v[199:200], v[203:204], 1.0
	v_fma_f64 v[203:204], v[203:204], v[205:206], v[203:204]
	v_div_scale_f64 v[205:206], vcc_lo, 1.0, v[197:198], 1.0
	v_mul_f64 v[207:208], v[205:206], v[203:204]
	v_fma_f64 v[199:200], -v[199:200], v[207:208], v[205:206]
	v_div_fmas_f64 v[199:200], v[199:200], v[203:204], v[207:208]
	v_div_fixup_f64 v[203:204], v[199:200], v[197:198], 1.0
                                        ; implicit-def: $vgpr197_vgpr198
	v_mul_f64 v[201:202], v[201:202], v[203:204]
	v_xor_b32_e32 v204, 0x80000000, v204
.LBB97_131:
	s_andn2_saveexec_b32 s1, s1
	s_cbranch_execz .LBB97_133
; %bb.132:
	v_div_scale_f64 v[201:202], null, v[197:198], v[197:198], v[199:200]
	v_div_scale_f64 v[207:208], vcc_lo, v[199:200], v[197:198], v[199:200]
	v_rcp_f64_e32 v[203:204], v[201:202]
	v_fma_f64 v[205:206], -v[201:202], v[203:204], 1.0
	v_fma_f64 v[203:204], v[203:204], v[205:206], v[203:204]
	v_fma_f64 v[205:206], -v[201:202], v[203:204], 1.0
	v_fma_f64 v[203:204], v[203:204], v[205:206], v[203:204]
	v_mul_f64 v[205:206], v[207:208], v[203:204]
	v_fma_f64 v[201:202], -v[201:202], v[205:206], v[207:208]
	v_div_fmas_f64 v[201:202], v[201:202], v[203:204], v[205:206]
	v_div_fixup_f64 v[203:204], v[201:202], v[197:198], v[199:200]
	v_fma_f64 v[197:198], v[199:200], v[203:204], v[197:198]
	v_div_scale_f64 v[199:200], null, v[197:198], v[197:198], 1.0
	v_rcp_f64_e32 v[201:202], v[199:200]
	v_fma_f64 v[205:206], -v[199:200], v[201:202], 1.0
	v_fma_f64 v[201:202], v[201:202], v[205:206], v[201:202]
	v_fma_f64 v[205:206], -v[199:200], v[201:202], 1.0
	v_fma_f64 v[201:202], v[201:202], v[205:206], v[201:202]
	v_div_scale_f64 v[205:206], vcc_lo, 1.0, v[197:198], 1.0
	v_mul_f64 v[207:208], v[205:206], v[201:202]
	v_fma_f64 v[199:200], -v[199:200], v[207:208], v[205:206]
	v_div_fmas_f64 v[199:200], v[199:200], v[201:202], v[207:208]
	v_div_fixup_f64 v[201:202], v[199:200], v[197:198], 1.0
	v_mul_f64 v[203:204], v[203:204], -v[201:202]
.LBB97_133:
	s_or_b32 exec_lo, exec_lo, s1
	ds_write2_b64 v255, v[201:202], v[203:204] offset1:1
.LBB97_134:
	s_or_b32 exec_lo, exec_lo, s2
	s_waitcnt lgkmcnt(0)
	s_barrier
	buffer_gl0_inv
	ds_read2_b64 v[197:200], v255 offset1:1
	s_mov_b32 s1, exec_lo
	s_waitcnt lgkmcnt(0)
	buffer_store_dword v197, off, s[16:19], 0 offset:520 ; 4-byte Folded Spill
	buffer_store_dword v198, off, s[16:19], 0 offset:524 ; 4-byte Folded Spill
	;; [unrolled: 1-line block ×4, first 2 shown]
	v_cmpx_lt_u32_e32 14, v0
	s_cbranch_execz .LBB97_136
; %bb.135:
	s_clause 0x3
	buffer_load_dword v199, off, s[16:19], 0 offset:520
	buffer_load_dword v200, off, s[16:19], 0 offset:524
	;; [unrolled: 1-line block ×4, first 2 shown]
	s_waitcnt vmcnt(0)
	v_mul_f64 v[197:198], v[201:202], v[139:140]
	v_mul_f64 v[139:140], v[199:200], v[139:140]
	v_fma_f64 v[197:198], v[199:200], v[137:138], -v[197:198]
	v_fma_f64 v[139:140], v[201:202], v[137:138], v[139:140]
	ds_read2_b64 v[199:202], v253 offset0:30 offset1:31
	s_waitcnt lgkmcnt(0)
	v_mul_f64 v[137:138], v[201:202], v[139:140]
	v_fma_f64 v[137:138], v[199:200], v[197:198], -v[137:138]
	v_mul_f64 v[199:200], v[199:200], v[139:140]
	v_add_f64 v[133:134], v[133:134], -v[137:138]
	v_fma_f64 v[199:200], v[201:202], v[197:198], v[199:200]
	v_add_f64 v[135:136], v[135:136], -v[199:200]
	ds_read2_b64 v[199:202], v253 offset0:32 offset1:33
	s_waitcnt lgkmcnt(0)
	v_mul_f64 v[137:138], v[201:202], v[139:140]
	v_fma_f64 v[137:138], v[199:200], v[197:198], -v[137:138]
	v_mul_f64 v[199:200], v[199:200], v[139:140]
	v_add_f64 v[129:130], v[129:130], -v[137:138]
	v_fma_f64 v[199:200], v[201:202], v[197:198], v[199:200]
	v_add_f64 v[131:132], v[131:132], -v[199:200]
	;; [unrolled: 8-line block ×33, first 2 shown]
	ds_read2_b64 v[199:202], v253 offset0:96 offset1:97
	s_waitcnt lgkmcnt(0)
	v_mul_f64 v[137:138], v[201:202], v[139:140]
	v_fma_f64 v[137:138], v[199:200], v[197:198], -v[137:138]
	v_mul_f64 v[199:200], v[199:200], v[139:140]
	v_add_f64 v[1:2], v[1:2], -v[137:138]
	v_fma_f64 v[199:200], v[201:202], v[197:198], v[199:200]
	v_mov_b32_e32 v137, v197
	v_mov_b32_e32 v138, v198
	v_add_f64 v[3:4], v[3:4], -v[199:200]
.LBB97_136:
	s_or_b32 exec_lo, exec_lo, s1
	s_mov_b32 s2, exec_lo
	s_waitcnt_vscnt null, 0x0
	s_barrier
	buffer_gl0_inv
	v_cmpx_eq_u32_e32 15, v0
	s_cbranch_execz .LBB97_143
; %bb.137:
	ds_write2_b64 v255, v[133:134], v[135:136] offset1:1
	ds_write2_b64 v253, v[129:130], v[131:132] offset0:32 offset1:33
	ds_write2_b64 v253, v[125:126], v[127:128] offset0:34 offset1:35
	;; [unrolled: 1-line block ×33, first 2 shown]
	ds_read2_b64 v[197:200], v255 offset1:1
	s_waitcnt lgkmcnt(0)
	v_cmp_neq_f64_e32 vcc_lo, 0, v[197:198]
	v_cmp_neq_f64_e64 s1, 0, v[199:200]
	s_or_b32 s1, vcc_lo, s1
	s_and_b32 exec_lo, exec_lo, s1
	s_cbranch_execz .LBB97_143
; %bb.138:
	v_cmp_ngt_f64_e64 s1, |v[197:198]|, |v[199:200]|
                                        ; implicit-def: $vgpr201_vgpr202
	s_and_saveexec_b32 s3, s1
	s_xor_b32 s1, exec_lo, s3
                                        ; implicit-def: $vgpr203_vgpr204
	s_cbranch_execz .LBB97_140
; %bb.139:
	v_div_scale_f64 v[201:202], null, v[199:200], v[199:200], v[197:198]
	v_div_scale_f64 v[207:208], vcc_lo, v[197:198], v[199:200], v[197:198]
	v_rcp_f64_e32 v[203:204], v[201:202]
	v_fma_f64 v[205:206], -v[201:202], v[203:204], 1.0
	v_fma_f64 v[203:204], v[203:204], v[205:206], v[203:204]
	v_fma_f64 v[205:206], -v[201:202], v[203:204], 1.0
	v_fma_f64 v[203:204], v[203:204], v[205:206], v[203:204]
	v_mul_f64 v[205:206], v[207:208], v[203:204]
	v_fma_f64 v[201:202], -v[201:202], v[205:206], v[207:208]
	v_div_fmas_f64 v[201:202], v[201:202], v[203:204], v[205:206]
	v_div_fixup_f64 v[201:202], v[201:202], v[199:200], v[197:198]
	v_fma_f64 v[197:198], v[197:198], v[201:202], v[199:200]
	v_div_scale_f64 v[199:200], null, v[197:198], v[197:198], 1.0
	v_rcp_f64_e32 v[203:204], v[199:200]
	v_fma_f64 v[205:206], -v[199:200], v[203:204], 1.0
	v_fma_f64 v[203:204], v[203:204], v[205:206], v[203:204]
	v_fma_f64 v[205:206], -v[199:200], v[203:204], 1.0
	v_fma_f64 v[203:204], v[203:204], v[205:206], v[203:204]
	v_div_scale_f64 v[205:206], vcc_lo, 1.0, v[197:198], 1.0
	v_mul_f64 v[207:208], v[205:206], v[203:204]
	v_fma_f64 v[199:200], -v[199:200], v[207:208], v[205:206]
	v_div_fmas_f64 v[199:200], v[199:200], v[203:204], v[207:208]
	v_div_fixup_f64 v[203:204], v[199:200], v[197:198], 1.0
                                        ; implicit-def: $vgpr197_vgpr198
	v_mul_f64 v[201:202], v[201:202], v[203:204]
	v_xor_b32_e32 v204, 0x80000000, v204
.LBB97_140:
	s_andn2_saveexec_b32 s1, s1
	s_cbranch_execz .LBB97_142
; %bb.141:
	v_div_scale_f64 v[201:202], null, v[197:198], v[197:198], v[199:200]
	v_div_scale_f64 v[207:208], vcc_lo, v[199:200], v[197:198], v[199:200]
	v_rcp_f64_e32 v[203:204], v[201:202]
	v_fma_f64 v[205:206], -v[201:202], v[203:204], 1.0
	v_fma_f64 v[203:204], v[203:204], v[205:206], v[203:204]
	v_fma_f64 v[205:206], -v[201:202], v[203:204], 1.0
	v_fma_f64 v[203:204], v[203:204], v[205:206], v[203:204]
	v_mul_f64 v[205:206], v[207:208], v[203:204]
	v_fma_f64 v[201:202], -v[201:202], v[205:206], v[207:208]
	v_div_fmas_f64 v[201:202], v[201:202], v[203:204], v[205:206]
	v_div_fixup_f64 v[203:204], v[201:202], v[197:198], v[199:200]
	v_fma_f64 v[197:198], v[199:200], v[203:204], v[197:198]
	v_div_scale_f64 v[199:200], null, v[197:198], v[197:198], 1.0
	v_rcp_f64_e32 v[201:202], v[199:200]
	v_fma_f64 v[205:206], -v[199:200], v[201:202], 1.0
	v_fma_f64 v[201:202], v[201:202], v[205:206], v[201:202]
	v_fma_f64 v[205:206], -v[199:200], v[201:202], 1.0
	v_fma_f64 v[201:202], v[201:202], v[205:206], v[201:202]
	v_div_scale_f64 v[205:206], vcc_lo, 1.0, v[197:198], 1.0
	v_mul_f64 v[207:208], v[205:206], v[201:202]
	v_fma_f64 v[199:200], -v[199:200], v[207:208], v[205:206]
	v_div_fmas_f64 v[199:200], v[199:200], v[201:202], v[207:208]
	v_div_fixup_f64 v[201:202], v[199:200], v[197:198], 1.0
	v_mul_f64 v[203:204], v[203:204], -v[201:202]
.LBB97_142:
	s_or_b32 exec_lo, exec_lo, s1
	ds_write2_b64 v255, v[201:202], v[203:204] offset1:1
.LBB97_143:
	s_or_b32 exec_lo, exec_lo, s2
	s_waitcnt lgkmcnt(0)
	s_barrier
	buffer_gl0_inv
	ds_read2_b64 v[197:200], v255 offset1:1
	s_mov_b32 s1, exec_lo
	s_waitcnt lgkmcnt(0)
	buffer_store_dword v197, off, s[16:19], 0 offset:536 ; 4-byte Folded Spill
	buffer_store_dword v198, off, s[16:19], 0 offset:540 ; 4-byte Folded Spill
	;; [unrolled: 1-line block ×4, first 2 shown]
	v_cmpx_lt_u32_e32 15, v0
	s_cbranch_execz .LBB97_145
; %bb.144:
	s_clause 0x3
	buffer_load_dword v199, off, s[16:19], 0 offset:536
	buffer_load_dword v200, off, s[16:19], 0 offset:540
	;; [unrolled: 1-line block ×4, first 2 shown]
	s_waitcnt vmcnt(0)
	v_mul_f64 v[197:198], v[201:202], v[135:136]
	v_mul_f64 v[135:136], v[199:200], v[135:136]
	v_fma_f64 v[197:198], v[199:200], v[133:134], -v[197:198]
	v_fma_f64 v[135:136], v[201:202], v[133:134], v[135:136]
	ds_read2_b64 v[199:202], v253 offset0:32 offset1:33
	s_waitcnt lgkmcnt(0)
	v_mul_f64 v[133:134], v[201:202], v[135:136]
	v_fma_f64 v[133:134], v[199:200], v[197:198], -v[133:134]
	v_mul_f64 v[199:200], v[199:200], v[135:136]
	v_add_f64 v[129:130], v[129:130], -v[133:134]
	v_fma_f64 v[199:200], v[201:202], v[197:198], v[199:200]
	v_add_f64 v[131:132], v[131:132], -v[199:200]
	ds_read2_b64 v[199:202], v253 offset0:34 offset1:35
	s_waitcnt lgkmcnt(0)
	v_mul_f64 v[133:134], v[201:202], v[135:136]
	v_fma_f64 v[133:134], v[199:200], v[197:198], -v[133:134]
	v_mul_f64 v[199:200], v[199:200], v[135:136]
	v_add_f64 v[125:126], v[125:126], -v[133:134]
	v_fma_f64 v[199:200], v[201:202], v[197:198], v[199:200]
	v_add_f64 v[127:128], v[127:128], -v[199:200]
	ds_read2_b64 v[199:202], v253 offset0:36 offset1:37
	s_waitcnt lgkmcnt(0)
	v_mul_f64 v[133:134], v[201:202], v[135:136]
	v_fma_f64 v[133:134], v[199:200], v[197:198], -v[133:134]
	v_mul_f64 v[199:200], v[199:200], v[135:136]
	v_add_f64 v[121:122], v[121:122], -v[133:134]
	v_fma_f64 v[199:200], v[201:202], v[197:198], v[199:200]
	v_add_f64 v[123:124], v[123:124], -v[199:200]
	ds_read2_b64 v[199:202], v253 offset0:38 offset1:39
	s_waitcnt lgkmcnt(0)
	v_mul_f64 v[133:134], v[201:202], v[135:136]
	v_fma_f64 v[133:134], v[199:200], v[197:198], -v[133:134]
	v_mul_f64 v[199:200], v[199:200], v[135:136]
	v_add_f64 v[117:118], v[117:118], -v[133:134]
	v_fma_f64 v[199:200], v[201:202], v[197:198], v[199:200]
	v_add_f64 v[119:120], v[119:120], -v[199:200]
	ds_read2_b64 v[199:202], v253 offset0:40 offset1:41
	s_waitcnt lgkmcnt(0)
	v_mul_f64 v[133:134], v[201:202], v[135:136]
	v_fma_f64 v[133:134], v[199:200], v[197:198], -v[133:134]
	v_mul_f64 v[199:200], v[199:200], v[135:136]
	v_add_f64 v[113:114], v[113:114], -v[133:134]
	v_fma_f64 v[199:200], v[201:202], v[197:198], v[199:200]
	v_add_f64 v[115:116], v[115:116], -v[199:200]
	ds_read2_b64 v[199:202], v253 offset0:42 offset1:43
	s_waitcnt lgkmcnt(0)
	v_mul_f64 v[133:134], v[201:202], v[135:136]
	v_fma_f64 v[133:134], v[199:200], v[197:198], -v[133:134]
	v_mul_f64 v[199:200], v[199:200], v[135:136]
	v_add_f64 v[109:110], v[109:110], -v[133:134]
	v_fma_f64 v[199:200], v[201:202], v[197:198], v[199:200]
	v_add_f64 v[111:112], v[111:112], -v[199:200]
	ds_read2_b64 v[199:202], v253 offset0:44 offset1:45
	s_waitcnt lgkmcnt(0)
	v_mul_f64 v[133:134], v[201:202], v[135:136]
	v_fma_f64 v[133:134], v[199:200], v[197:198], -v[133:134]
	v_mul_f64 v[199:200], v[199:200], v[135:136]
	v_add_f64 v[105:106], v[105:106], -v[133:134]
	v_fma_f64 v[199:200], v[201:202], v[197:198], v[199:200]
	v_add_f64 v[107:108], v[107:108], -v[199:200]
	ds_read2_b64 v[199:202], v253 offset0:46 offset1:47
	s_waitcnt lgkmcnt(0)
	v_mul_f64 v[133:134], v[201:202], v[135:136]
	v_fma_f64 v[133:134], v[199:200], v[197:198], -v[133:134]
	v_mul_f64 v[199:200], v[199:200], v[135:136]
	v_add_f64 v[101:102], v[101:102], -v[133:134]
	v_fma_f64 v[199:200], v[201:202], v[197:198], v[199:200]
	v_add_f64 v[103:104], v[103:104], -v[199:200]
	ds_read2_b64 v[199:202], v253 offset0:48 offset1:49
	s_waitcnt lgkmcnt(0)
	v_mul_f64 v[133:134], v[201:202], v[135:136]
	v_fma_f64 v[133:134], v[199:200], v[197:198], -v[133:134]
	v_mul_f64 v[199:200], v[199:200], v[135:136]
	v_add_f64 v[97:98], v[97:98], -v[133:134]
	v_fma_f64 v[199:200], v[201:202], v[197:198], v[199:200]
	v_add_f64 v[99:100], v[99:100], -v[199:200]
	ds_read2_b64 v[199:202], v253 offset0:50 offset1:51
	s_waitcnt lgkmcnt(0)
	v_mul_f64 v[133:134], v[201:202], v[135:136]
	v_fma_f64 v[133:134], v[199:200], v[197:198], -v[133:134]
	v_mul_f64 v[199:200], v[199:200], v[135:136]
	v_add_f64 v[93:94], v[93:94], -v[133:134]
	v_fma_f64 v[199:200], v[201:202], v[197:198], v[199:200]
	v_add_f64 v[95:96], v[95:96], -v[199:200]
	ds_read2_b64 v[199:202], v253 offset0:52 offset1:53
	s_waitcnt lgkmcnt(0)
	v_mul_f64 v[133:134], v[201:202], v[135:136]
	v_fma_f64 v[133:134], v[199:200], v[197:198], -v[133:134]
	v_mul_f64 v[199:200], v[199:200], v[135:136]
	v_add_f64 v[89:90], v[89:90], -v[133:134]
	v_fma_f64 v[199:200], v[201:202], v[197:198], v[199:200]
	v_add_f64 v[91:92], v[91:92], -v[199:200]
	ds_read2_b64 v[199:202], v253 offset0:54 offset1:55
	s_waitcnt lgkmcnt(0)
	v_mul_f64 v[133:134], v[201:202], v[135:136]
	v_fma_f64 v[133:134], v[199:200], v[197:198], -v[133:134]
	v_mul_f64 v[199:200], v[199:200], v[135:136]
	v_add_f64 v[85:86], v[85:86], -v[133:134]
	v_fma_f64 v[199:200], v[201:202], v[197:198], v[199:200]
	v_add_f64 v[87:88], v[87:88], -v[199:200]
	ds_read2_b64 v[199:202], v253 offset0:56 offset1:57
	s_waitcnt lgkmcnt(0)
	v_mul_f64 v[133:134], v[201:202], v[135:136]
	v_fma_f64 v[133:134], v[199:200], v[197:198], -v[133:134]
	v_mul_f64 v[199:200], v[199:200], v[135:136]
	v_add_f64 v[81:82], v[81:82], -v[133:134]
	v_fma_f64 v[199:200], v[201:202], v[197:198], v[199:200]
	v_add_f64 v[83:84], v[83:84], -v[199:200]
	ds_read2_b64 v[199:202], v253 offset0:58 offset1:59
	s_waitcnt lgkmcnt(0)
	v_mul_f64 v[133:134], v[201:202], v[135:136]
	v_fma_f64 v[133:134], v[199:200], v[197:198], -v[133:134]
	v_mul_f64 v[199:200], v[199:200], v[135:136]
	v_add_f64 v[77:78], v[77:78], -v[133:134]
	v_fma_f64 v[199:200], v[201:202], v[197:198], v[199:200]
	v_add_f64 v[79:80], v[79:80], -v[199:200]
	ds_read2_b64 v[199:202], v253 offset0:60 offset1:61
	s_waitcnt lgkmcnt(0)
	v_mul_f64 v[133:134], v[201:202], v[135:136]
	v_fma_f64 v[133:134], v[199:200], v[197:198], -v[133:134]
	v_mul_f64 v[199:200], v[199:200], v[135:136]
	v_add_f64 v[73:74], v[73:74], -v[133:134]
	v_fma_f64 v[199:200], v[201:202], v[197:198], v[199:200]
	v_add_f64 v[75:76], v[75:76], -v[199:200]
	ds_read2_b64 v[199:202], v253 offset0:62 offset1:63
	s_waitcnt lgkmcnt(0)
	v_mul_f64 v[133:134], v[201:202], v[135:136]
	v_fma_f64 v[133:134], v[199:200], v[197:198], -v[133:134]
	v_mul_f64 v[199:200], v[199:200], v[135:136]
	v_add_f64 v[69:70], v[69:70], -v[133:134]
	v_fma_f64 v[199:200], v[201:202], v[197:198], v[199:200]
	v_add_f64 v[71:72], v[71:72], -v[199:200]
	ds_read2_b64 v[199:202], v253 offset0:64 offset1:65
	s_waitcnt lgkmcnt(0)
	v_mul_f64 v[133:134], v[201:202], v[135:136]
	v_fma_f64 v[133:134], v[199:200], v[197:198], -v[133:134]
	v_mul_f64 v[199:200], v[199:200], v[135:136]
	v_add_f64 v[65:66], v[65:66], -v[133:134]
	v_fma_f64 v[199:200], v[201:202], v[197:198], v[199:200]
	v_add_f64 v[67:68], v[67:68], -v[199:200]
	ds_read2_b64 v[199:202], v253 offset0:66 offset1:67
	s_waitcnt lgkmcnt(0)
	v_mul_f64 v[133:134], v[201:202], v[135:136]
	v_fma_f64 v[133:134], v[199:200], v[197:198], -v[133:134]
	v_mul_f64 v[199:200], v[199:200], v[135:136]
	v_add_f64 v[61:62], v[61:62], -v[133:134]
	v_fma_f64 v[199:200], v[201:202], v[197:198], v[199:200]
	v_add_f64 v[63:64], v[63:64], -v[199:200]
	ds_read2_b64 v[199:202], v253 offset0:68 offset1:69
	s_waitcnt lgkmcnt(0)
	v_mul_f64 v[133:134], v[201:202], v[135:136]
	v_fma_f64 v[133:134], v[199:200], v[197:198], -v[133:134]
	v_mul_f64 v[199:200], v[199:200], v[135:136]
	v_add_f64 v[57:58], v[57:58], -v[133:134]
	v_fma_f64 v[199:200], v[201:202], v[197:198], v[199:200]
	v_add_f64 v[59:60], v[59:60], -v[199:200]
	ds_read2_b64 v[199:202], v253 offset0:70 offset1:71
	s_waitcnt lgkmcnt(0)
	v_mul_f64 v[133:134], v[201:202], v[135:136]
	v_fma_f64 v[133:134], v[199:200], v[197:198], -v[133:134]
	v_mul_f64 v[199:200], v[199:200], v[135:136]
	v_add_f64 v[53:54], v[53:54], -v[133:134]
	v_fma_f64 v[199:200], v[201:202], v[197:198], v[199:200]
	v_add_f64 v[55:56], v[55:56], -v[199:200]
	ds_read2_b64 v[199:202], v253 offset0:72 offset1:73
	s_waitcnt lgkmcnt(0)
	v_mul_f64 v[133:134], v[201:202], v[135:136]
	v_fma_f64 v[133:134], v[199:200], v[197:198], -v[133:134]
	v_mul_f64 v[199:200], v[199:200], v[135:136]
	v_add_f64 v[49:50], v[49:50], -v[133:134]
	v_fma_f64 v[199:200], v[201:202], v[197:198], v[199:200]
	v_add_f64 v[51:52], v[51:52], -v[199:200]
	ds_read2_b64 v[199:202], v253 offset0:74 offset1:75
	s_waitcnt lgkmcnt(0)
	v_mul_f64 v[133:134], v[201:202], v[135:136]
	v_fma_f64 v[133:134], v[199:200], v[197:198], -v[133:134]
	v_mul_f64 v[199:200], v[199:200], v[135:136]
	v_add_f64 v[45:46], v[45:46], -v[133:134]
	v_fma_f64 v[199:200], v[201:202], v[197:198], v[199:200]
	v_add_f64 v[47:48], v[47:48], -v[199:200]
	ds_read2_b64 v[199:202], v253 offset0:76 offset1:77
	s_waitcnt lgkmcnt(0)
	v_mul_f64 v[133:134], v[201:202], v[135:136]
	v_fma_f64 v[133:134], v[199:200], v[197:198], -v[133:134]
	v_mul_f64 v[199:200], v[199:200], v[135:136]
	v_add_f64 v[41:42], v[41:42], -v[133:134]
	v_fma_f64 v[199:200], v[201:202], v[197:198], v[199:200]
	v_add_f64 v[43:44], v[43:44], -v[199:200]
	ds_read2_b64 v[199:202], v253 offset0:78 offset1:79
	s_waitcnt lgkmcnt(0)
	v_mul_f64 v[133:134], v[201:202], v[135:136]
	v_fma_f64 v[133:134], v[199:200], v[197:198], -v[133:134]
	v_mul_f64 v[199:200], v[199:200], v[135:136]
	v_add_f64 v[37:38], v[37:38], -v[133:134]
	v_fma_f64 v[199:200], v[201:202], v[197:198], v[199:200]
	v_add_f64 v[39:40], v[39:40], -v[199:200]
	ds_read2_b64 v[199:202], v253 offset0:80 offset1:81
	s_waitcnt lgkmcnt(0)
	v_mul_f64 v[133:134], v[201:202], v[135:136]
	v_fma_f64 v[133:134], v[199:200], v[197:198], -v[133:134]
	v_mul_f64 v[199:200], v[199:200], v[135:136]
	v_add_f64 v[33:34], v[33:34], -v[133:134]
	v_fma_f64 v[199:200], v[201:202], v[197:198], v[199:200]
	v_add_f64 v[35:36], v[35:36], -v[199:200]
	ds_read2_b64 v[199:202], v253 offset0:82 offset1:83
	s_waitcnt lgkmcnt(0)
	v_mul_f64 v[133:134], v[201:202], v[135:136]
	v_fma_f64 v[133:134], v[199:200], v[197:198], -v[133:134]
	v_mul_f64 v[199:200], v[199:200], v[135:136]
	v_add_f64 v[29:30], v[29:30], -v[133:134]
	v_fma_f64 v[199:200], v[201:202], v[197:198], v[199:200]
	v_add_f64 v[31:32], v[31:32], -v[199:200]
	ds_read2_b64 v[199:202], v253 offset0:84 offset1:85
	s_waitcnt lgkmcnt(0)
	v_mul_f64 v[133:134], v[201:202], v[135:136]
	v_fma_f64 v[133:134], v[199:200], v[197:198], -v[133:134]
	v_mul_f64 v[199:200], v[199:200], v[135:136]
	v_add_f64 v[25:26], v[25:26], -v[133:134]
	v_fma_f64 v[199:200], v[201:202], v[197:198], v[199:200]
	v_add_f64 v[27:28], v[27:28], -v[199:200]
	ds_read2_b64 v[199:202], v253 offset0:86 offset1:87
	s_waitcnt lgkmcnt(0)
	v_mul_f64 v[133:134], v[201:202], v[135:136]
	v_fma_f64 v[133:134], v[199:200], v[197:198], -v[133:134]
	v_mul_f64 v[199:200], v[199:200], v[135:136]
	v_add_f64 v[21:22], v[21:22], -v[133:134]
	v_fma_f64 v[199:200], v[201:202], v[197:198], v[199:200]
	v_add_f64 v[23:24], v[23:24], -v[199:200]
	ds_read2_b64 v[199:202], v253 offset0:88 offset1:89
	s_waitcnt lgkmcnt(0)
	v_mul_f64 v[133:134], v[201:202], v[135:136]
	v_fma_f64 v[133:134], v[199:200], v[197:198], -v[133:134]
	v_mul_f64 v[199:200], v[199:200], v[135:136]
	v_add_f64 v[17:18], v[17:18], -v[133:134]
	v_fma_f64 v[199:200], v[201:202], v[197:198], v[199:200]
	v_add_f64 v[19:20], v[19:20], -v[199:200]
	ds_read2_b64 v[199:202], v253 offset0:90 offset1:91
	s_waitcnt lgkmcnt(0)
	v_mul_f64 v[133:134], v[201:202], v[135:136]
	v_fma_f64 v[133:134], v[199:200], v[197:198], -v[133:134]
	v_mul_f64 v[199:200], v[199:200], v[135:136]
	v_add_f64 v[13:14], v[13:14], -v[133:134]
	v_fma_f64 v[199:200], v[201:202], v[197:198], v[199:200]
	v_add_f64 v[15:16], v[15:16], -v[199:200]
	ds_read2_b64 v[199:202], v253 offset0:92 offset1:93
	s_waitcnt lgkmcnt(0)
	v_mul_f64 v[133:134], v[201:202], v[135:136]
	v_fma_f64 v[133:134], v[199:200], v[197:198], -v[133:134]
	v_mul_f64 v[199:200], v[199:200], v[135:136]
	v_add_f64 v[9:10], v[9:10], -v[133:134]
	v_fma_f64 v[199:200], v[201:202], v[197:198], v[199:200]
	v_add_f64 v[11:12], v[11:12], -v[199:200]
	ds_read2_b64 v[199:202], v253 offset0:94 offset1:95
	s_waitcnt lgkmcnt(0)
	v_mul_f64 v[133:134], v[201:202], v[135:136]
	v_fma_f64 v[133:134], v[199:200], v[197:198], -v[133:134]
	v_mul_f64 v[199:200], v[199:200], v[135:136]
	v_add_f64 v[5:6], v[5:6], -v[133:134]
	v_fma_f64 v[199:200], v[201:202], v[197:198], v[199:200]
	v_add_f64 v[7:8], v[7:8], -v[199:200]
	ds_read2_b64 v[199:202], v253 offset0:96 offset1:97
	s_waitcnt lgkmcnt(0)
	v_mul_f64 v[133:134], v[201:202], v[135:136]
	v_fma_f64 v[133:134], v[199:200], v[197:198], -v[133:134]
	v_mul_f64 v[199:200], v[199:200], v[135:136]
	v_add_f64 v[1:2], v[1:2], -v[133:134]
	v_fma_f64 v[199:200], v[201:202], v[197:198], v[199:200]
	v_mov_b32_e32 v133, v197
	v_mov_b32_e32 v134, v198
	v_add_f64 v[3:4], v[3:4], -v[199:200]
.LBB97_145:
	s_or_b32 exec_lo, exec_lo, s1
	s_mov_b32 s2, exec_lo
	s_waitcnt_vscnt null, 0x0
	s_barrier
	buffer_gl0_inv
	v_cmpx_eq_u32_e32 16, v0
	s_cbranch_execz .LBB97_152
; %bb.146:
	ds_write2_b64 v255, v[129:130], v[131:132] offset1:1
	ds_write2_b64 v253, v[125:126], v[127:128] offset0:34 offset1:35
	ds_write2_b64 v253, v[121:122], v[123:124] offset0:36 offset1:37
	ds_write2_b64 v253, v[117:118], v[119:120] offset0:38 offset1:39
	ds_write2_b64 v253, v[113:114], v[115:116] offset0:40 offset1:41
	ds_write2_b64 v253, v[109:110], v[111:112] offset0:42 offset1:43
	ds_write2_b64 v253, v[105:106], v[107:108] offset0:44 offset1:45
	ds_write2_b64 v253, v[101:102], v[103:104] offset0:46 offset1:47
	ds_write2_b64 v253, v[97:98], v[99:100] offset0:48 offset1:49
	ds_write2_b64 v253, v[93:94], v[95:96] offset0:50 offset1:51
	ds_write2_b64 v253, v[89:90], v[91:92] offset0:52 offset1:53
	ds_write2_b64 v253, v[85:86], v[87:88] offset0:54 offset1:55
	ds_write2_b64 v253, v[81:82], v[83:84] offset0:56 offset1:57
	ds_write2_b64 v253, v[77:78], v[79:80] offset0:58 offset1:59
	ds_write2_b64 v253, v[73:74], v[75:76] offset0:60 offset1:61
	ds_write2_b64 v253, v[69:70], v[71:72] offset0:62 offset1:63
	ds_write2_b64 v253, v[65:66], v[67:68] offset0:64 offset1:65
	ds_write2_b64 v253, v[61:62], v[63:64] offset0:66 offset1:67
	ds_write2_b64 v253, v[57:58], v[59:60] offset0:68 offset1:69
	ds_write2_b64 v253, v[53:54], v[55:56] offset0:70 offset1:71
	ds_write2_b64 v253, v[49:50], v[51:52] offset0:72 offset1:73
	ds_write2_b64 v253, v[45:46], v[47:48] offset0:74 offset1:75
	ds_write2_b64 v253, v[41:42], v[43:44] offset0:76 offset1:77
	ds_write2_b64 v253, v[37:38], v[39:40] offset0:78 offset1:79
	ds_write2_b64 v253, v[33:34], v[35:36] offset0:80 offset1:81
	ds_write2_b64 v253, v[29:30], v[31:32] offset0:82 offset1:83
	ds_write2_b64 v253, v[25:26], v[27:28] offset0:84 offset1:85
	ds_write2_b64 v253, v[21:22], v[23:24] offset0:86 offset1:87
	ds_write2_b64 v253, v[17:18], v[19:20] offset0:88 offset1:89
	ds_write2_b64 v253, v[13:14], v[15:16] offset0:90 offset1:91
	ds_write2_b64 v253, v[9:10], v[11:12] offset0:92 offset1:93
	ds_write2_b64 v253, v[5:6], v[7:8] offset0:94 offset1:95
	ds_write2_b64 v253, v[1:2], v[3:4] offset0:96 offset1:97
	ds_read2_b64 v[197:200], v255 offset1:1
	s_waitcnt lgkmcnt(0)
	v_cmp_neq_f64_e32 vcc_lo, 0, v[197:198]
	v_cmp_neq_f64_e64 s1, 0, v[199:200]
	s_or_b32 s1, vcc_lo, s1
	s_and_b32 exec_lo, exec_lo, s1
	s_cbranch_execz .LBB97_152
; %bb.147:
	v_cmp_ngt_f64_e64 s1, |v[197:198]|, |v[199:200]|
                                        ; implicit-def: $vgpr201_vgpr202
	s_and_saveexec_b32 s3, s1
	s_xor_b32 s1, exec_lo, s3
                                        ; implicit-def: $vgpr203_vgpr204
	s_cbranch_execz .LBB97_149
; %bb.148:
	v_div_scale_f64 v[201:202], null, v[199:200], v[199:200], v[197:198]
	v_div_scale_f64 v[207:208], vcc_lo, v[197:198], v[199:200], v[197:198]
	v_rcp_f64_e32 v[203:204], v[201:202]
	v_fma_f64 v[205:206], -v[201:202], v[203:204], 1.0
	v_fma_f64 v[203:204], v[203:204], v[205:206], v[203:204]
	v_fma_f64 v[205:206], -v[201:202], v[203:204], 1.0
	v_fma_f64 v[203:204], v[203:204], v[205:206], v[203:204]
	v_mul_f64 v[205:206], v[207:208], v[203:204]
	v_fma_f64 v[201:202], -v[201:202], v[205:206], v[207:208]
	v_div_fmas_f64 v[201:202], v[201:202], v[203:204], v[205:206]
	v_div_fixup_f64 v[201:202], v[201:202], v[199:200], v[197:198]
	v_fma_f64 v[197:198], v[197:198], v[201:202], v[199:200]
	v_div_scale_f64 v[199:200], null, v[197:198], v[197:198], 1.0
	v_rcp_f64_e32 v[203:204], v[199:200]
	v_fma_f64 v[205:206], -v[199:200], v[203:204], 1.0
	v_fma_f64 v[203:204], v[203:204], v[205:206], v[203:204]
	v_fma_f64 v[205:206], -v[199:200], v[203:204], 1.0
	v_fma_f64 v[203:204], v[203:204], v[205:206], v[203:204]
	v_div_scale_f64 v[205:206], vcc_lo, 1.0, v[197:198], 1.0
	v_mul_f64 v[207:208], v[205:206], v[203:204]
	v_fma_f64 v[199:200], -v[199:200], v[207:208], v[205:206]
	v_div_fmas_f64 v[199:200], v[199:200], v[203:204], v[207:208]
	v_div_fixup_f64 v[203:204], v[199:200], v[197:198], 1.0
                                        ; implicit-def: $vgpr197_vgpr198
	v_mul_f64 v[201:202], v[201:202], v[203:204]
	v_xor_b32_e32 v204, 0x80000000, v204
.LBB97_149:
	s_andn2_saveexec_b32 s1, s1
	s_cbranch_execz .LBB97_151
; %bb.150:
	v_div_scale_f64 v[201:202], null, v[197:198], v[197:198], v[199:200]
	v_div_scale_f64 v[207:208], vcc_lo, v[199:200], v[197:198], v[199:200]
	v_rcp_f64_e32 v[203:204], v[201:202]
	v_fma_f64 v[205:206], -v[201:202], v[203:204], 1.0
	v_fma_f64 v[203:204], v[203:204], v[205:206], v[203:204]
	v_fma_f64 v[205:206], -v[201:202], v[203:204], 1.0
	v_fma_f64 v[203:204], v[203:204], v[205:206], v[203:204]
	v_mul_f64 v[205:206], v[207:208], v[203:204]
	v_fma_f64 v[201:202], -v[201:202], v[205:206], v[207:208]
	v_div_fmas_f64 v[201:202], v[201:202], v[203:204], v[205:206]
	v_div_fixup_f64 v[203:204], v[201:202], v[197:198], v[199:200]
	v_fma_f64 v[197:198], v[199:200], v[203:204], v[197:198]
	v_div_scale_f64 v[199:200], null, v[197:198], v[197:198], 1.0
	v_rcp_f64_e32 v[201:202], v[199:200]
	v_fma_f64 v[205:206], -v[199:200], v[201:202], 1.0
	v_fma_f64 v[201:202], v[201:202], v[205:206], v[201:202]
	v_fma_f64 v[205:206], -v[199:200], v[201:202], 1.0
	v_fma_f64 v[201:202], v[201:202], v[205:206], v[201:202]
	v_div_scale_f64 v[205:206], vcc_lo, 1.0, v[197:198], 1.0
	v_mul_f64 v[207:208], v[205:206], v[201:202]
	v_fma_f64 v[199:200], -v[199:200], v[207:208], v[205:206]
	v_div_fmas_f64 v[199:200], v[199:200], v[201:202], v[207:208]
	v_div_fixup_f64 v[201:202], v[199:200], v[197:198], 1.0
	v_mul_f64 v[203:204], v[203:204], -v[201:202]
.LBB97_151:
	s_or_b32 exec_lo, exec_lo, s1
	ds_write2_b64 v255, v[201:202], v[203:204] offset1:1
.LBB97_152:
	s_or_b32 exec_lo, exec_lo, s2
	s_waitcnt lgkmcnt(0)
	s_barrier
	buffer_gl0_inv
	ds_read2_b64 v[197:200], v255 offset1:1
	s_mov_b32 s1, exec_lo
	s_waitcnt lgkmcnt(0)
	buffer_store_dword v197, off, s[16:19], 0 offset:552 ; 4-byte Folded Spill
	buffer_store_dword v198, off, s[16:19], 0 offset:556 ; 4-byte Folded Spill
	;; [unrolled: 1-line block ×4, first 2 shown]
	v_cmpx_lt_u32_e32 16, v0
	s_cbranch_execz .LBB97_154
; %bb.153:
	s_clause 0x3
	buffer_load_dword v199, off, s[16:19], 0 offset:552
	buffer_load_dword v200, off, s[16:19], 0 offset:556
	;; [unrolled: 1-line block ×4, first 2 shown]
	s_waitcnt vmcnt(0)
	v_mul_f64 v[197:198], v[201:202], v[131:132]
	v_mul_f64 v[131:132], v[199:200], v[131:132]
	v_fma_f64 v[197:198], v[199:200], v[129:130], -v[197:198]
	v_fma_f64 v[131:132], v[201:202], v[129:130], v[131:132]
	ds_read2_b64 v[199:202], v253 offset0:34 offset1:35
	s_waitcnt lgkmcnt(0)
	v_mul_f64 v[129:130], v[201:202], v[131:132]
	v_fma_f64 v[129:130], v[199:200], v[197:198], -v[129:130]
	v_mul_f64 v[199:200], v[199:200], v[131:132]
	v_add_f64 v[125:126], v[125:126], -v[129:130]
	v_fma_f64 v[199:200], v[201:202], v[197:198], v[199:200]
	v_add_f64 v[127:128], v[127:128], -v[199:200]
	ds_read2_b64 v[199:202], v253 offset0:36 offset1:37
	s_waitcnt lgkmcnt(0)
	v_mul_f64 v[129:130], v[201:202], v[131:132]
	v_fma_f64 v[129:130], v[199:200], v[197:198], -v[129:130]
	v_mul_f64 v[199:200], v[199:200], v[131:132]
	v_add_f64 v[121:122], v[121:122], -v[129:130]
	v_fma_f64 v[199:200], v[201:202], v[197:198], v[199:200]
	v_add_f64 v[123:124], v[123:124], -v[199:200]
	;; [unrolled: 8-line block ×31, first 2 shown]
	ds_read2_b64 v[199:202], v253 offset0:96 offset1:97
	s_waitcnt lgkmcnt(0)
	v_mul_f64 v[129:130], v[201:202], v[131:132]
	v_fma_f64 v[129:130], v[199:200], v[197:198], -v[129:130]
	v_mul_f64 v[199:200], v[199:200], v[131:132]
	v_add_f64 v[1:2], v[1:2], -v[129:130]
	v_fma_f64 v[199:200], v[201:202], v[197:198], v[199:200]
	v_mov_b32_e32 v129, v197
	v_mov_b32_e32 v130, v198
	v_add_f64 v[3:4], v[3:4], -v[199:200]
.LBB97_154:
	s_or_b32 exec_lo, exec_lo, s1
	s_mov_b32 s2, exec_lo
	s_waitcnt_vscnt null, 0x0
	s_barrier
	buffer_gl0_inv
	v_cmpx_eq_u32_e32 17, v0
	s_cbranch_execz .LBB97_161
; %bb.155:
	ds_write2_b64 v255, v[125:126], v[127:128] offset1:1
	ds_write2_b64 v253, v[121:122], v[123:124] offset0:36 offset1:37
	ds_write2_b64 v253, v[117:118], v[119:120] offset0:38 offset1:39
	;; [unrolled: 1-line block ×31, first 2 shown]
	ds_read2_b64 v[197:200], v255 offset1:1
	s_waitcnt lgkmcnt(0)
	v_cmp_neq_f64_e32 vcc_lo, 0, v[197:198]
	v_cmp_neq_f64_e64 s1, 0, v[199:200]
	s_or_b32 s1, vcc_lo, s1
	s_and_b32 exec_lo, exec_lo, s1
	s_cbranch_execz .LBB97_161
; %bb.156:
	v_cmp_ngt_f64_e64 s1, |v[197:198]|, |v[199:200]|
                                        ; implicit-def: $vgpr201_vgpr202
	s_and_saveexec_b32 s3, s1
	s_xor_b32 s1, exec_lo, s3
                                        ; implicit-def: $vgpr203_vgpr204
	s_cbranch_execz .LBB97_158
; %bb.157:
	v_div_scale_f64 v[201:202], null, v[199:200], v[199:200], v[197:198]
	v_div_scale_f64 v[207:208], vcc_lo, v[197:198], v[199:200], v[197:198]
	v_rcp_f64_e32 v[203:204], v[201:202]
	v_fma_f64 v[205:206], -v[201:202], v[203:204], 1.0
	v_fma_f64 v[203:204], v[203:204], v[205:206], v[203:204]
	v_fma_f64 v[205:206], -v[201:202], v[203:204], 1.0
	v_fma_f64 v[203:204], v[203:204], v[205:206], v[203:204]
	v_mul_f64 v[205:206], v[207:208], v[203:204]
	v_fma_f64 v[201:202], -v[201:202], v[205:206], v[207:208]
	v_div_fmas_f64 v[201:202], v[201:202], v[203:204], v[205:206]
	v_div_fixup_f64 v[201:202], v[201:202], v[199:200], v[197:198]
	v_fma_f64 v[197:198], v[197:198], v[201:202], v[199:200]
	v_div_scale_f64 v[199:200], null, v[197:198], v[197:198], 1.0
	v_rcp_f64_e32 v[203:204], v[199:200]
	v_fma_f64 v[205:206], -v[199:200], v[203:204], 1.0
	v_fma_f64 v[203:204], v[203:204], v[205:206], v[203:204]
	v_fma_f64 v[205:206], -v[199:200], v[203:204], 1.0
	v_fma_f64 v[203:204], v[203:204], v[205:206], v[203:204]
	v_div_scale_f64 v[205:206], vcc_lo, 1.0, v[197:198], 1.0
	v_mul_f64 v[207:208], v[205:206], v[203:204]
	v_fma_f64 v[199:200], -v[199:200], v[207:208], v[205:206]
	v_div_fmas_f64 v[199:200], v[199:200], v[203:204], v[207:208]
	v_div_fixup_f64 v[203:204], v[199:200], v[197:198], 1.0
                                        ; implicit-def: $vgpr197_vgpr198
	v_mul_f64 v[201:202], v[201:202], v[203:204]
	v_xor_b32_e32 v204, 0x80000000, v204
.LBB97_158:
	s_andn2_saveexec_b32 s1, s1
	s_cbranch_execz .LBB97_160
; %bb.159:
	v_div_scale_f64 v[201:202], null, v[197:198], v[197:198], v[199:200]
	v_div_scale_f64 v[207:208], vcc_lo, v[199:200], v[197:198], v[199:200]
	v_rcp_f64_e32 v[203:204], v[201:202]
	v_fma_f64 v[205:206], -v[201:202], v[203:204], 1.0
	v_fma_f64 v[203:204], v[203:204], v[205:206], v[203:204]
	v_fma_f64 v[205:206], -v[201:202], v[203:204], 1.0
	v_fma_f64 v[203:204], v[203:204], v[205:206], v[203:204]
	v_mul_f64 v[205:206], v[207:208], v[203:204]
	v_fma_f64 v[201:202], -v[201:202], v[205:206], v[207:208]
	v_div_fmas_f64 v[201:202], v[201:202], v[203:204], v[205:206]
	v_div_fixup_f64 v[203:204], v[201:202], v[197:198], v[199:200]
	v_fma_f64 v[197:198], v[199:200], v[203:204], v[197:198]
	v_div_scale_f64 v[199:200], null, v[197:198], v[197:198], 1.0
	v_rcp_f64_e32 v[201:202], v[199:200]
	v_fma_f64 v[205:206], -v[199:200], v[201:202], 1.0
	v_fma_f64 v[201:202], v[201:202], v[205:206], v[201:202]
	v_fma_f64 v[205:206], -v[199:200], v[201:202], 1.0
	v_fma_f64 v[201:202], v[201:202], v[205:206], v[201:202]
	v_div_scale_f64 v[205:206], vcc_lo, 1.0, v[197:198], 1.0
	v_mul_f64 v[207:208], v[205:206], v[201:202]
	v_fma_f64 v[199:200], -v[199:200], v[207:208], v[205:206]
	v_div_fmas_f64 v[199:200], v[199:200], v[201:202], v[207:208]
	v_div_fixup_f64 v[201:202], v[199:200], v[197:198], 1.0
	v_mul_f64 v[203:204], v[203:204], -v[201:202]
.LBB97_160:
	s_or_b32 exec_lo, exec_lo, s1
	ds_write2_b64 v255, v[201:202], v[203:204] offset1:1
.LBB97_161:
	s_or_b32 exec_lo, exec_lo, s2
	s_waitcnt lgkmcnt(0)
	s_barrier
	buffer_gl0_inv
	ds_read2_b64 v[197:200], v255 offset1:1
	s_mov_b32 s1, exec_lo
	s_waitcnt lgkmcnt(0)
	buffer_store_dword v197, off, s[16:19], 0 offset:568 ; 4-byte Folded Spill
	buffer_store_dword v198, off, s[16:19], 0 offset:572 ; 4-byte Folded Spill
	;; [unrolled: 1-line block ×4, first 2 shown]
	v_cmpx_lt_u32_e32 17, v0
	s_cbranch_execz .LBB97_163
; %bb.162:
	s_clause 0x3
	buffer_load_dword v199, off, s[16:19], 0 offset:568
	buffer_load_dword v200, off, s[16:19], 0 offset:572
	;; [unrolled: 1-line block ×4, first 2 shown]
	s_waitcnt vmcnt(0)
	v_mul_f64 v[197:198], v[201:202], v[127:128]
	v_mul_f64 v[127:128], v[199:200], v[127:128]
	v_fma_f64 v[197:198], v[199:200], v[125:126], -v[197:198]
	v_fma_f64 v[127:128], v[201:202], v[125:126], v[127:128]
	ds_read2_b64 v[199:202], v253 offset0:36 offset1:37
	s_waitcnt lgkmcnt(0)
	v_mul_f64 v[125:126], v[201:202], v[127:128]
	v_fma_f64 v[125:126], v[199:200], v[197:198], -v[125:126]
	v_mul_f64 v[199:200], v[199:200], v[127:128]
	v_add_f64 v[121:122], v[121:122], -v[125:126]
	v_fma_f64 v[199:200], v[201:202], v[197:198], v[199:200]
	v_add_f64 v[123:124], v[123:124], -v[199:200]
	ds_read2_b64 v[199:202], v253 offset0:38 offset1:39
	s_waitcnt lgkmcnt(0)
	v_mul_f64 v[125:126], v[201:202], v[127:128]
	v_fma_f64 v[125:126], v[199:200], v[197:198], -v[125:126]
	v_mul_f64 v[199:200], v[199:200], v[127:128]
	v_add_f64 v[117:118], v[117:118], -v[125:126]
	v_fma_f64 v[199:200], v[201:202], v[197:198], v[199:200]
	v_add_f64 v[119:120], v[119:120], -v[199:200]
	;; [unrolled: 8-line block ×30, first 2 shown]
	ds_read2_b64 v[199:202], v253 offset0:96 offset1:97
	s_waitcnt lgkmcnt(0)
	v_mul_f64 v[125:126], v[201:202], v[127:128]
	v_fma_f64 v[125:126], v[199:200], v[197:198], -v[125:126]
	v_mul_f64 v[199:200], v[199:200], v[127:128]
	v_add_f64 v[1:2], v[1:2], -v[125:126]
	v_fma_f64 v[199:200], v[201:202], v[197:198], v[199:200]
	v_mov_b32_e32 v125, v197
	v_mov_b32_e32 v126, v198
	v_add_f64 v[3:4], v[3:4], -v[199:200]
.LBB97_163:
	s_or_b32 exec_lo, exec_lo, s1
	s_mov_b32 s2, exec_lo
	s_waitcnt_vscnt null, 0x0
	s_barrier
	buffer_gl0_inv
	v_cmpx_eq_u32_e32 18, v0
	s_cbranch_execz .LBB97_170
; %bb.164:
	ds_write2_b64 v255, v[121:122], v[123:124] offset1:1
	ds_write2_b64 v253, v[117:118], v[119:120] offset0:38 offset1:39
	ds_write2_b64 v253, v[113:114], v[115:116] offset0:40 offset1:41
	;; [unrolled: 1-line block ×30, first 2 shown]
	ds_read2_b64 v[197:200], v255 offset1:1
	s_waitcnt lgkmcnt(0)
	v_cmp_neq_f64_e32 vcc_lo, 0, v[197:198]
	v_cmp_neq_f64_e64 s1, 0, v[199:200]
	s_or_b32 s1, vcc_lo, s1
	s_and_b32 exec_lo, exec_lo, s1
	s_cbranch_execz .LBB97_170
; %bb.165:
	v_cmp_ngt_f64_e64 s1, |v[197:198]|, |v[199:200]|
                                        ; implicit-def: $vgpr201_vgpr202
	s_and_saveexec_b32 s3, s1
	s_xor_b32 s1, exec_lo, s3
                                        ; implicit-def: $vgpr203_vgpr204
	s_cbranch_execz .LBB97_167
; %bb.166:
	v_div_scale_f64 v[201:202], null, v[199:200], v[199:200], v[197:198]
	v_div_scale_f64 v[207:208], vcc_lo, v[197:198], v[199:200], v[197:198]
	v_rcp_f64_e32 v[203:204], v[201:202]
	v_fma_f64 v[205:206], -v[201:202], v[203:204], 1.0
	v_fma_f64 v[203:204], v[203:204], v[205:206], v[203:204]
	v_fma_f64 v[205:206], -v[201:202], v[203:204], 1.0
	v_fma_f64 v[203:204], v[203:204], v[205:206], v[203:204]
	v_mul_f64 v[205:206], v[207:208], v[203:204]
	v_fma_f64 v[201:202], -v[201:202], v[205:206], v[207:208]
	v_div_fmas_f64 v[201:202], v[201:202], v[203:204], v[205:206]
	v_div_fixup_f64 v[201:202], v[201:202], v[199:200], v[197:198]
	v_fma_f64 v[197:198], v[197:198], v[201:202], v[199:200]
	v_div_scale_f64 v[199:200], null, v[197:198], v[197:198], 1.0
	v_rcp_f64_e32 v[203:204], v[199:200]
	v_fma_f64 v[205:206], -v[199:200], v[203:204], 1.0
	v_fma_f64 v[203:204], v[203:204], v[205:206], v[203:204]
	v_fma_f64 v[205:206], -v[199:200], v[203:204], 1.0
	v_fma_f64 v[203:204], v[203:204], v[205:206], v[203:204]
	v_div_scale_f64 v[205:206], vcc_lo, 1.0, v[197:198], 1.0
	v_mul_f64 v[207:208], v[205:206], v[203:204]
	v_fma_f64 v[199:200], -v[199:200], v[207:208], v[205:206]
	v_div_fmas_f64 v[199:200], v[199:200], v[203:204], v[207:208]
	v_div_fixup_f64 v[203:204], v[199:200], v[197:198], 1.0
                                        ; implicit-def: $vgpr197_vgpr198
	v_mul_f64 v[201:202], v[201:202], v[203:204]
	v_xor_b32_e32 v204, 0x80000000, v204
.LBB97_167:
	s_andn2_saveexec_b32 s1, s1
	s_cbranch_execz .LBB97_169
; %bb.168:
	v_div_scale_f64 v[201:202], null, v[197:198], v[197:198], v[199:200]
	v_div_scale_f64 v[207:208], vcc_lo, v[199:200], v[197:198], v[199:200]
	v_rcp_f64_e32 v[203:204], v[201:202]
	v_fma_f64 v[205:206], -v[201:202], v[203:204], 1.0
	v_fma_f64 v[203:204], v[203:204], v[205:206], v[203:204]
	v_fma_f64 v[205:206], -v[201:202], v[203:204], 1.0
	v_fma_f64 v[203:204], v[203:204], v[205:206], v[203:204]
	v_mul_f64 v[205:206], v[207:208], v[203:204]
	v_fma_f64 v[201:202], -v[201:202], v[205:206], v[207:208]
	v_div_fmas_f64 v[201:202], v[201:202], v[203:204], v[205:206]
	v_div_fixup_f64 v[203:204], v[201:202], v[197:198], v[199:200]
	v_fma_f64 v[197:198], v[199:200], v[203:204], v[197:198]
	v_div_scale_f64 v[199:200], null, v[197:198], v[197:198], 1.0
	v_rcp_f64_e32 v[201:202], v[199:200]
	v_fma_f64 v[205:206], -v[199:200], v[201:202], 1.0
	v_fma_f64 v[201:202], v[201:202], v[205:206], v[201:202]
	v_fma_f64 v[205:206], -v[199:200], v[201:202], 1.0
	v_fma_f64 v[201:202], v[201:202], v[205:206], v[201:202]
	v_div_scale_f64 v[205:206], vcc_lo, 1.0, v[197:198], 1.0
	v_mul_f64 v[207:208], v[205:206], v[201:202]
	v_fma_f64 v[199:200], -v[199:200], v[207:208], v[205:206]
	v_div_fmas_f64 v[199:200], v[199:200], v[201:202], v[207:208]
	v_div_fixup_f64 v[201:202], v[199:200], v[197:198], 1.0
	v_mul_f64 v[203:204], v[203:204], -v[201:202]
.LBB97_169:
	s_or_b32 exec_lo, exec_lo, s1
	ds_write2_b64 v255, v[201:202], v[203:204] offset1:1
.LBB97_170:
	s_or_b32 exec_lo, exec_lo, s2
	s_waitcnt lgkmcnt(0)
	s_barrier
	buffer_gl0_inv
	ds_read2_b64 v[197:200], v255 offset1:1
	s_mov_b32 s1, exec_lo
	s_waitcnt lgkmcnt(0)
	buffer_store_dword v197, off, s[16:19], 0 offset:584 ; 4-byte Folded Spill
	buffer_store_dword v198, off, s[16:19], 0 offset:588 ; 4-byte Folded Spill
	;; [unrolled: 1-line block ×4, first 2 shown]
	v_cmpx_lt_u32_e32 18, v0
	s_cbranch_execz .LBB97_172
; %bb.171:
	s_clause 0x3
	buffer_load_dword v199, off, s[16:19], 0 offset:584
	buffer_load_dword v200, off, s[16:19], 0 offset:588
	;; [unrolled: 1-line block ×4, first 2 shown]
	s_waitcnt vmcnt(0)
	v_mul_f64 v[197:198], v[201:202], v[123:124]
	v_mul_f64 v[123:124], v[199:200], v[123:124]
	v_fma_f64 v[197:198], v[199:200], v[121:122], -v[197:198]
	v_fma_f64 v[123:124], v[201:202], v[121:122], v[123:124]
	ds_read2_b64 v[199:202], v253 offset0:38 offset1:39
	s_waitcnt lgkmcnt(0)
	v_mul_f64 v[121:122], v[201:202], v[123:124]
	v_fma_f64 v[121:122], v[199:200], v[197:198], -v[121:122]
	v_mul_f64 v[199:200], v[199:200], v[123:124]
	v_add_f64 v[117:118], v[117:118], -v[121:122]
	v_fma_f64 v[199:200], v[201:202], v[197:198], v[199:200]
	v_add_f64 v[119:120], v[119:120], -v[199:200]
	ds_read2_b64 v[199:202], v253 offset0:40 offset1:41
	s_waitcnt lgkmcnt(0)
	v_mul_f64 v[121:122], v[201:202], v[123:124]
	v_fma_f64 v[121:122], v[199:200], v[197:198], -v[121:122]
	v_mul_f64 v[199:200], v[199:200], v[123:124]
	v_add_f64 v[113:114], v[113:114], -v[121:122]
	v_fma_f64 v[199:200], v[201:202], v[197:198], v[199:200]
	v_add_f64 v[115:116], v[115:116], -v[199:200]
	ds_read2_b64 v[199:202], v253 offset0:42 offset1:43
	s_waitcnt lgkmcnt(0)
	v_mul_f64 v[121:122], v[201:202], v[123:124]
	v_fma_f64 v[121:122], v[199:200], v[197:198], -v[121:122]
	v_mul_f64 v[199:200], v[199:200], v[123:124]
	v_add_f64 v[109:110], v[109:110], -v[121:122]
	v_fma_f64 v[199:200], v[201:202], v[197:198], v[199:200]
	v_add_f64 v[111:112], v[111:112], -v[199:200]
	ds_read2_b64 v[199:202], v253 offset0:44 offset1:45
	s_waitcnt lgkmcnt(0)
	v_mul_f64 v[121:122], v[201:202], v[123:124]
	v_fma_f64 v[121:122], v[199:200], v[197:198], -v[121:122]
	v_mul_f64 v[199:200], v[199:200], v[123:124]
	v_add_f64 v[105:106], v[105:106], -v[121:122]
	v_fma_f64 v[199:200], v[201:202], v[197:198], v[199:200]
	v_add_f64 v[107:108], v[107:108], -v[199:200]
	ds_read2_b64 v[199:202], v253 offset0:46 offset1:47
	s_waitcnt lgkmcnt(0)
	v_mul_f64 v[121:122], v[201:202], v[123:124]
	v_fma_f64 v[121:122], v[199:200], v[197:198], -v[121:122]
	v_mul_f64 v[199:200], v[199:200], v[123:124]
	v_add_f64 v[101:102], v[101:102], -v[121:122]
	v_fma_f64 v[199:200], v[201:202], v[197:198], v[199:200]
	v_add_f64 v[103:104], v[103:104], -v[199:200]
	ds_read2_b64 v[199:202], v253 offset0:48 offset1:49
	s_waitcnt lgkmcnt(0)
	v_mul_f64 v[121:122], v[201:202], v[123:124]
	v_fma_f64 v[121:122], v[199:200], v[197:198], -v[121:122]
	v_mul_f64 v[199:200], v[199:200], v[123:124]
	v_add_f64 v[97:98], v[97:98], -v[121:122]
	v_fma_f64 v[199:200], v[201:202], v[197:198], v[199:200]
	v_add_f64 v[99:100], v[99:100], -v[199:200]
	ds_read2_b64 v[199:202], v253 offset0:50 offset1:51
	s_waitcnt lgkmcnt(0)
	v_mul_f64 v[121:122], v[201:202], v[123:124]
	v_fma_f64 v[121:122], v[199:200], v[197:198], -v[121:122]
	v_mul_f64 v[199:200], v[199:200], v[123:124]
	v_add_f64 v[93:94], v[93:94], -v[121:122]
	v_fma_f64 v[199:200], v[201:202], v[197:198], v[199:200]
	v_add_f64 v[95:96], v[95:96], -v[199:200]
	ds_read2_b64 v[199:202], v253 offset0:52 offset1:53
	s_waitcnt lgkmcnt(0)
	v_mul_f64 v[121:122], v[201:202], v[123:124]
	v_fma_f64 v[121:122], v[199:200], v[197:198], -v[121:122]
	v_mul_f64 v[199:200], v[199:200], v[123:124]
	v_add_f64 v[89:90], v[89:90], -v[121:122]
	v_fma_f64 v[199:200], v[201:202], v[197:198], v[199:200]
	v_add_f64 v[91:92], v[91:92], -v[199:200]
	ds_read2_b64 v[199:202], v253 offset0:54 offset1:55
	s_waitcnt lgkmcnt(0)
	v_mul_f64 v[121:122], v[201:202], v[123:124]
	v_fma_f64 v[121:122], v[199:200], v[197:198], -v[121:122]
	v_mul_f64 v[199:200], v[199:200], v[123:124]
	v_add_f64 v[85:86], v[85:86], -v[121:122]
	v_fma_f64 v[199:200], v[201:202], v[197:198], v[199:200]
	v_add_f64 v[87:88], v[87:88], -v[199:200]
	ds_read2_b64 v[199:202], v253 offset0:56 offset1:57
	s_waitcnt lgkmcnt(0)
	v_mul_f64 v[121:122], v[201:202], v[123:124]
	v_fma_f64 v[121:122], v[199:200], v[197:198], -v[121:122]
	v_mul_f64 v[199:200], v[199:200], v[123:124]
	v_add_f64 v[81:82], v[81:82], -v[121:122]
	v_fma_f64 v[199:200], v[201:202], v[197:198], v[199:200]
	v_add_f64 v[83:84], v[83:84], -v[199:200]
	ds_read2_b64 v[199:202], v253 offset0:58 offset1:59
	s_waitcnt lgkmcnt(0)
	v_mul_f64 v[121:122], v[201:202], v[123:124]
	v_fma_f64 v[121:122], v[199:200], v[197:198], -v[121:122]
	v_mul_f64 v[199:200], v[199:200], v[123:124]
	v_add_f64 v[77:78], v[77:78], -v[121:122]
	v_fma_f64 v[199:200], v[201:202], v[197:198], v[199:200]
	v_add_f64 v[79:80], v[79:80], -v[199:200]
	ds_read2_b64 v[199:202], v253 offset0:60 offset1:61
	s_waitcnt lgkmcnt(0)
	v_mul_f64 v[121:122], v[201:202], v[123:124]
	v_fma_f64 v[121:122], v[199:200], v[197:198], -v[121:122]
	v_mul_f64 v[199:200], v[199:200], v[123:124]
	v_add_f64 v[73:74], v[73:74], -v[121:122]
	v_fma_f64 v[199:200], v[201:202], v[197:198], v[199:200]
	v_add_f64 v[75:76], v[75:76], -v[199:200]
	ds_read2_b64 v[199:202], v253 offset0:62 offset1:63
	s_waitcnt lgkmcnt(0)
	v_mul_f64 v[121:122], v[201:202], v[123:124]
	v_fma_f64 v[121:122], v[199:200], v[197:198], -v[121:122]
	v_mul_f64 v[199:200], v[199:200], v[123:124]
	v_add_f64 v[69:70], v[69:70], -v[121:122]
	v_fma_f64 v[199:200], v[201:202], v[197:198], v[199:200]
	v_add_f64 v[71:72], v[71:72], -v[199:200]
	ds_read2_b64 v[199:202], v253 offset0:64 offset1:65
	s_waitcnt lgkmcnt(0)
	v_mul_f64 v[121:122], v[201:202], v[123:124]
	v_fma_f64 v[121:122], v[199:200], v[197:198], -v[121:122]
	v_mul_f64 v[199:200], v[199:200], v[123:124]
	v_add_f64 v[65:66], v[65:66], -v[121:122]
	v_fma_f64 v[199:200], v[201:202], v[197:198], v[199:200]
	v_add_f64 v[67:68], v[67:68], -v[199:200]
	ds_read2_b64 v[199:202], v253 offset0:66 offset1:67
	s_waitcnt lgkmcnt(0)
	v_mul_f64 v[121:122], v[201:202], v[123:124]
	v_fma_f64 v[121:122], v[199:200], v[197:198], -v[121:122]
	v_mul_f64 v[199:200], v[199:200], v[123:124]
	v_add_f64 v[61:62], v[61:62], -v[121:122]
	v_fma_f64 v[199:200], v[201:202], v[197:198], v[199:200]
	v_add_f64 v[63:64], v[63:64], -v[199:200]
	ds_read2_b64 v[199:202], v253 offset0:68 offset1:69
	s_waitcnt lgkmcnt(0)
	v_mul_f64 v[121:122], v[201:202], v[123:124]
	v_fma_f64 v[121:122], v[199:200], v[197:198], -v[121:122]
	v_mul_f64 v[199:200], v[199:200], v[123:124]
	v_add_f64 v[57:58], v[57:58], -v[121:122]
	v_fma_f64 v[199:200], v[201:202], v[197:198], v[199:200]
	v_add_f64 v[59:60], v[59:60], -v[199:200]
	ds_read2_b64 v[199:202], v253 offset0:70 offset1:71
	s_waitcnt lgkmcnt(0)
	v_mul_f64 v[121:122], v[201:202], v[123:124]
	v_fma_f64 v[121:122], v[199:200], v[197:198], -v[121:122]
	v_mul_f64 v[199:200], v[199:200], v[123:124]
	v_add_f64 v[53:54], v[53:54], -v[121:122]
	v_fma_f64 v[199:200], v[201:202], v[197:198], v[199:200]
	v_add_f64 v[55:56], v[55:56], -v[199:200]
	ds_read2_b64 v[199:202], v253 offset0:72 offset1:73
	s_waitcnt lgkmcnt(0)
	v_mul_f64 v[121:122], v[201:202], v[123:124]
	v_fma_f64 v[121:122], v[199:200], v[197:198], -v[121:122]
	v_mul_f64 v[199:200], v[199:200], v[123:124]
	v_add_f64 v[49:50], v[49:50], -v[121:122]
	v_fma_f64 v[199:200], v[201:202], v[197:198], v[199:200]
	v_add_f64 v[51:52], v[51:52], -v[199:200]
	ds_read2_b64 v[199:202], v253 offset0:74 offset1:75
	s_waitcnt lgkmcnt(0)
	v_mul_f64 v[121:122], v[201:202], v[123:124]
	v_fma_f64 v[121:122], v[199:200], v[197:198], -v[121:122]
	v_mul_f64 v[199:200], v[199:200], v[123:124]
	v_add_f64 v[45:46], v[45:46], -v[121:122]
	v_fma_f64 v[199:200], v[201:202], v[197:198], v[199:200]
	v_add_f64 v[47:48], v[47:48], -v[199:200]
	ds_read2_b64 v[199:202], v253 offset0:76 offset1:77
	s_waitcnt lgkmcnt(0)
	v_mul_f64 v[121:122], v[201:202], v[123:124]
	v_fma_f64 v[121:122], v[199:200], v[197:198], -v[121:122]
	v_mul_f64 v[199:200], v[199:200], v[123:124]
	v_add_f64 v[41:42], v[41:42], -v[121:122]
	v_fma_f64 v[199:200], v[201:202], v[197:198], v[199:200]
	v_add_f64 v[43:44], v[43:44], -v[199:200]
	ds_read2_b64 v[199:202], v253 offset0:78 offset1:79
	s_waitcnt lgkmcnt(0)
	v_mul_f64 v[121:122], v[201:202], v[123:124]
	v_fma_f64 v[121:122], v[199:200], v[197:198], -v[121:122]
	v_mul_f64 v[199:200], v[199:200], v[123:124]
	v_add_f64 v[37:38], v[37:38], -v[121:122]
	v_fma_f64 v[199:200], v[201:202], v[197:198], v[199:200]
	v_add_f64 v[39:40], v[39:40], -v[199:200]
	ds_read2_b64 v[199:202], v253 offset0:80 offset1:81
	s_waitcnt lgkmcnt(0)
	v_mul_f64 v[121:122], v[201:202], v[123:124]
	v_fma_f64 v[121:122], v[199:200], v[197:198], -v[121:122]
	v_mul_f64 v[199:200], v[199:200], v[123:124]
	v_add_f64 v[33:34], v[33:34], -v[121:122]
	v_fma_f64 v[199:200], v[201:202], v[197:198], v[199:200]
	v_add_f64 v[35:36], v[35:36], -v[199:200]
	ds_read2_b64 v[199:202], v253 offset0:82 offset1:83
	s_waitcnt lgkmcnt(0)
	v_mul_f64 v[121:122], v[201:202], v[123:124]
	v_fma_f64 v[121:122], v[199:200], v[197:198], -v[121:122]
	v_mul_f64 v[199:200], v[199:200], v[123:124]
	v_add_f64 v[29:30], v[29:30], -v[121:122]
	v_fma_f64 v[199:200], v[201:202], v[197:198], v[199:200]
	v_add_f64 v[31:32], v[31:32], -v[199:200]
	ds_read2_b64 v[199:202], v253 offset0:84 offset1:85
	s_waitcnt lgkmcnt(0)
	v_mul_f64 v[121:122], v[201:202], v[123:124]
	v_fma_f64 v[121:122], v[199:200], v[197:198], -v[121:122]
	v_mul_f64 v[199:200], v[199:200], v[123:124]
	v_add_f64 v[25:26], v[25:26], -v[121:122]
	v_fma_f64 v[199:200], v[201:202], v[197:198], v[199:200]
	v_add_f64 v[27:28], v[27:28], -v[199:200]
	ds_read2_b64 v[199:202], v253 offset0:86 offset1:87
	s_waitcnt lgkmcnt(0)
	v_mul_f64 v[121:122], v[201:202], v[123:124]
	v_fma_f64 v[121:122], v[199:200], v[197:198], -v[121:122]
	v_mul_f64 v[199:200], v[199:200], v[123:124]
	v_add_f64 v[21:22], v[21:22], -v[121:122]
	v_fma_f64 v[199:200], v[201:202], v[197:198], v[199:200]
	v_add_f64 v[23:24], v[23:24], -v[199:200]
	ds_read2_b64 v[199:202], v253 offset0:88 offset1:89
	s_waitcnt lgkmcnt(0)
	v_mul_f64 v[121:122], v[201:202], v[123:124]
	v_fma_f64 v[121:122], v[199:200], v[197:198], -v[121:122]
	v_mul_f64 v[199:200], v[199:200], v[123:124]
	v_add_f64 v[17:18], v[17:18], -v[121:122]
	v_fma_f64 v[199:200], v[201:202], v[197:198], v[199:200]
	v_add_f64 v[19:20], v[19:20], -v[199:200]
	ds_read2_b64 v[199:202], v253 offset0:90 offset1:91
	s_waitcnt lgkmcnt(0)
	v_mul_f64 v[121:122], v[201:202], v[123:124]
	v_fma_f64 v[121:122], v[199:200], v[197:198], -v[121:122]
	v_mul_f64 v[199:200], v[199:200], v[123:124]
	v_add_f64 v[13:14], v[13:14], -v[121:122]
	v_fma_f64 v[199:200], v[201:202], v[197:198], v[199:200]
	v_add_f64 v[15:16], v[15:16], -v[199:200]
	ds_read2_b64 v[199:202], v253 offset0:92 offset1:93
	s_waitcnt lgkmcnt(0)
	v_mul_f64 v[121:122], v[201:202], v[123:124]
	v_fma_f64 v[121:122], v[199:200], v[197:198], -v[121:122]
	v_mul_f64 v[199:200], v[199:200], v[123:124]
	v_add_f64 v[9:10], v[9:10], -v[121:122]
	v_fma_f64 v[199:200], v[201:202], v[197:198], v[199:200]
	v_add_f64 v[11:12], v[11:12], -v[199:200]
	ds_read2_b64 v[199:202], v253 offset0:94 offset1:95
	s_waitcnt lgkmcnt(0)
	v_mul_f64 v[121:122], v[201:202], v[123:124]
	v_fma_f64 v[121:122], v[199:200], v[197:198], -v[121:122]
	v_mul_f64 v[199:200], v[199:200], v[123:124]
	v_add_f64 v[5:6], v[5:6], -v[121:122]
	v_fma_f64 v[199:200], v[201:202], v[197:198], v[199:200]
	v_add_f64 v[7:8], v[7:8], -v[199:200]
	ds_read2_b64 v[199:202], v253 offset0:96 offset1:97
	s_waitcnt lgkmcnt(0)
	v_mul_f64 v[121:122], v[201:202], v[123:124]
	v_fma_f64 v[121:122], v[199:200], v[197:198], -v[121:122]
	v_mul_f64 v[199:200], v[199:200], v[123:124]
	v_add_f64 v[1:2], v[1:2], -v[121:122]
	v_fma_f64 v[199:200], v[201:202], v[197:198], v[199:200]
	v_mov_b32_e32 v121, v197
	v_mov_b32_e32 v122, v198
	v_add_f64 v[3:4], v[3:4], -v[199:200]
.LBB97_172:
	s_or_b32 exec_lo, exec_lo, s1
	s_mov_b32 s2, exec_lo
	s_waitcnt_vscnt null, 0x0
	s_barrier
	buffer_gl0_inv
	v_cmpx_eq_u32_e32 19, v0
	s_cbranch_execz .LBB97_179
; %bb.173:
	ds_write2_b64 v255, v[117:118], v[119:120] offset1:1
	ds_write2_b64 v253, v[113:114], v[115:116] offset0:40 offset1:41
	ds_write2_b64 v253, v[109:110], v[111:112] offset0:42 offset1:43
	;; [unrolled: 1-line block ×29, first 2 shown]
	ds_read2_b64 v[197:200], v255 offset1:1
	s_waitcnt lgkmcnt(0)
	v_cmp_neq_f64_e32 vcc_lo, 0, v[197:198]
	v_cmp_neq_f64_e64 s1, 0, v[199:200]
	s_or_b32 s1, vcc_lo, s1
	s_and_b32 exec_lo, exec_lo, s1
	s_cbranch_execz .LBB97_179
; %bb.174:
	v_cmp_ngt_f64_e64 s1, |v[197:198]|, |v[199:200]|
                                        ; implicit-def: $vgpr201_vgpr202
	s_and_saveexec_b32 s3, s1
	s_xor_b32 s1, exec_lo, s3
                                        ; implicit-def: $vgpr203_vgpr204
	s_cbranch_execz .LBB97_176
; %bb.175:
	v_div_scale_f64 v[201:202], null, v[199:200], v[199:200], v[197:198]
	v_div_scale_f64 v[207:208], vcc_lo, v[197:198], v[199:200], v[197:198]
	v_rcp_f64_e32 v[203:204], v[201:202]
	v_fma_f64 v[205:206], -v[201:202], v[203:204], 1.0
	v_fma_f64 v[203:204], v[203:204], v[205:206], v[203:204]
	v_fma_f64 v[205:206], -v[201:202], v[203:204], 1.0
	v_fma_f64 v[203:204], v[203:204], v[205:206], v[203:204]
	v_mul_f64 v[205:206], v[207:208], v[203:204]
	v_fma_f64 v[201:202], -v[201:202], v[205:206], v[207:208]
	v_div_fmas_f64 v[201:202], v[201:202], v[203:204], v[205:206]
	v_div_fixup_f64 v[201:202], v[201:202], v[199:200], v[197:198]
	v_fma_f64 v[197:198], v[197:198], v[201:202], v[199:200]
	v_div_scale_f64 v[199:200], null, v[197:198], v[197:198], 1.0
	v_rcp_f64_e32 v[203:204], v[199:200]
	v_fma_f64 v[205:206], -v[199:200], v[203:204], 1.0
	v_fma_f64 v[203:204], v[203:204], v[205:206], v[203:204]
	v_fma_f64 v[205:206], -v[199:200], v[203:204], 1.0
	v_fma_f64 v[203:204], v[203:204], v[205:206], v[203:204]
	v_div_scale_f64 v[205:206], vcc_lo, 1.0, v[197:198], 1.0
	v_mul_f64 v[207:208], v[205:206], v[203:204]
	v_fma_f64 v[199:200], -v[199:200], v[207:208], v[205:206]
	v_div_fmas_f64 v[199:200], v[199:200], v[203:204], v[207:208]
	v_div_fixup_f64 v[203:204], v[199:200], v[197:198], 1.0
                                        ; implicit-def: $vgpr197_vgpr198
	v_mul_f64 v[201:202], v[201:202], v[203:204]
	v_xor_b32_e32 v204, 0x80000000, v204
.LBB97_176:
	s_andn2_saveexec_b32 s1, s1
	s_cbranch_execz .LBB97_178
; %bb.177:
	v_div_scale_f64 v[201:202], null, v[197:198], v[197:198], v[199:200]
	v_div_scale_f64 v[207:208], vcc_lo, v[199:200], v[197:198], v[199:200]
	v_rcp_f64_e32 v[203:204], v[201:202]
	v_fma_f64 v[205:206], -v[201:202], v[203:204], 1.0
	v_fma_f64 v[203:204], v[203:204], v[205:206], v[203:204]
	v_fma_f64 v[205:206], -v[201:202], v[203:204], 1.0
	v_fma_f64 v[203:204], v[203:204], v[205:206], v[203:204]
	v_mul_f64 v[205:206], v[207:208], v[203:204]
	v_fma_f64 v[201:202], -v[201:202], v[205:206], v[207:208]
	v_div_fmas_f64 v[201:202], v[201:202], v[203:204], v[205:206]
	v_div_fixup_f64 v[203:204], v[201:202], v[197:198], v[199:200]
	v_fma_f64 v[197:198], v[199:200], v[203:204], v[197:198]
	v_div_scale_f64 v[199:200], null, v[197:198], v[197:198], 1.0
	v_rcp_f64_e32 v[201:202], v[199:200]
	v_fma_f64 v[205:206], -v[199:200], v[201:202], 1.0
	v_fma_f64 v[201:202], v[201:202], v[205:206], v[201:202]
	v_fma_f64 v[205:206], -v[199:200], v[201:202], 1.0
	v_fma_f64 v[201:202], v[201:202], v[205:206], v[201:202]
	v_div_scale_f64 v[205:206], vcc_lo, 1.0, v[197:198], 1.0
	v_mul_f64 v[207:208], v[205:206], v[201:202]
	v_fma_f64 v[199:200], -v[199:200], v[207:208], v[205:206]
	v_div_fmas_f64 v[199:200], v[199:200], v[201:202], v[207:208]
	v_div_fixup_f64 v[201:202], v[199:200], v[197:198], 1.0
	v_mul_f64 v[203:204], v[203:204], -v[201:202]
.LBB97_178:
	s_or_b32 exec_lo, exec_lo, s1
	ds_write2_b64 v255, v[201:202], v[203:204] offset1:1
.LBB97_179:
	s_or_b32 exec_lo, exec_lo, s2
	s_waitcnt lgkmcnt(0)
	s_barrier
	buffer_gl0_inv
	ds_read2_b64 v[197:200], v255 offset1:1
	s_mov_b32 s1, exec_lo
	s_waitcnt lgkmcnt(0)
	buffer_store_dword v197, off, s[16:19], 0 offset:600 ; 4-byte Folded Spill
	buffer_store_dword v198, off, s[16:19], 0 offset:604 ; 4-byte Folded Spill
	;; [unrolled: 1-line block ×4, first 2 shown]
	v_cmpx_lt_u32_e32 19, v0
	s_cbranch_execz .LBB97_181
; %bb.180:
	s_clause 0x3
	buffer_load_dword v199, off, s[16:19], 0 offset:600
	buffer_load_dword v200, off, s[16:19], 0 offset:604
	;; [unrolled: 1-line block ×4, first 2 shown]
	s_waitcnt vmcnt(0)
	v_mul_f64 v[197:198], v[201:202], v[119:120]
	v_mul_f64 v[119:120], v[199:200], v[119:120]
	v_fma_f64 v[197:198], v[199:200], v[117:118], -v[197:198]
	v_fma_f64 v[119:120], v[201:202], v[117:118], v[119:120]
	ds_read2_b64 v[199:202], v253 offset0:40 offset1:41
	s_waitcnt lgkmcnt(0)
	v_mul_f64 v[117:118], v[201:202], v[119:120]
	v_fma_f64 v[117:118], v[199:200], v[197:198], -v[117:118]
	v_mul_f64 v[199:200], v[199:200], v[119:120]
	v_add_f64 v[113:114], v[113:114], -v[117:118]
	v_fma_f64 v[199:200], v[201:202], v[197:198], v[199:200]
	v_add_f64 v[115:116], v[115:116], -v[199:200]
	ds_read2_b64 v[199:202], v253 offset0:42 offset1:43
	s_waitcnt lgkmcnt(0)
	v_mul_f64 v[117:118], v[201:202], v[119:120]
	v_fma_f64 v[117:118], v[199:200], v[197:198], -v[117:118]
	v_mul_f64 v[199:200], v[199:200], v[119:120]
	v_add_f64 v[109:110], v[109:110], -v[117:118]
	v_fma_f64 v[199:200], v[201:202], v[197:198], v[199:200]
	v_add_f64 v[111:112], v[111:112], -v[199:200]
	;; [unrolled: 8-line block ×28, first 2 shown]
	ds_read2_b64 v[199:202], v253 offset0:96 offset1:97
	s_waitcnt lgkmcnt(0)
	v_mul_f64 v[117:118], v[201:202], v[119:120]
	v_fma_f64 v[117:118], v[199:200], v[197:198], -v[117:118]
	v_mul_f64 v[199:200], v[199:200], v[119:120]
	v_add_f64 v[1:2], v[1:2], -v[117:118]
	v_fma_f64 v[199:200], v[201:202], v[197:198], v[199:200]
	v_mov_b32_e32 v117, v197
	v_mov_b32_e32 v118, v198
	v_add_f64 v[3:4], v[3:4], -v[199:200]
.LBB97_181:
	s_or_b32 exec_lo, exec_lo, s1
	s_mov_b32 s2, exec_lo
	s_waitcnt_vscnt null, 0x0
	s_barrier
	buffer_gl0_inv
	v_cmpx_eq_u32_e32 20, v0
	s_cbranch_execz .LBB97_188
; %bb.182:
	ds_write2_b64 v255, v[113:114], v[115:116] offset1:1
	ds_write2_b64 v253, v[109:110], v[111:112] offset0:42 offset1:43
	ds_write2_b64 v253, v[105:106], v[107:108] offset0:44 offset1:45
	;; [unrolled: 1-line block ×28, first 2 shown]
	ds_read2_b64 v[197:200], v255 offset1:1
	s_waitcnt lgkmcnt(0)
	v_cmp_neq_f64_e32 vcc_lo, 0, v[197:198]
	v_cmp_neq_f64_e64 s1, 0, v[199:200]
	s_or_b32 s1, vcc_lo, s1
	s_and_b32 exec_lo, exec_lo, s1
	s_cbranch_execz .LBB97_188
; %bb.183:
	v_cmp_ngt_f64_e64 s1, |v[197:198]|, |v[199:200]|
                                        ; implicit-def: $vgpr201_vgpr202
	s_and_saveexec_b32 s3, s1
	s_xor_b32 s1, exec_lo, s3
                                        ; implicit-def: $vgpr203_vgpr204
	s_cbranch_execz .LBB97_185
; %bb.184:
	v_div_scale_f64 v[201:202], null, v[199:200], v[199:200], v[197:198]
	v_div_scale_f64 v[207:208], vcc_lo, v[197:198], v[199:200], v[197:198]
	v_rcp_f64_e32 v[203:204], v[201:202]
	v_fma_f64 v[205:206], -v[201:202], v[203:204], 1.0
	v_fma_f64 v[203:204], v[203:204], v[205:206], v[203:204]
	v_fma_f64 v[205:206], -v[201:202], v[203:204], 1.0
	v_fma_f64 v[203:204], v[203:204], v[205:206], v[203:204]
	v_mul_f64 v[205:206], v[207:208], v[203:204]
	v_fma_f64 v[201:202], -v[201:202], v[205:206], v[207:208]
	v_div_fmas_f64 v[201:202], v[201:202], v[203:204], v[205:206]
	v_div_fixup_f64 v[201:202], v[201:202], v[199:200], v[197:198]
	v_fma_f64 v[197:198], v[197:198], v[201:202], v[199:200]
	v_div_scale_f64 v[199:200], null, v[197:198], v[197:198], 1.0
	v_rcp_f64_e32 v[203:204], v[199:200]
	v_fma_f64 v[205:206], -v[199:200], v[203:204], 1.0
	v_fma_f64 v[203:204], v[203:204], v[205:206], v[203:204]
	v_fma_f64 v[205:206], -v[199:200], v[203:204], 1.0
	v_fma_f64 v[203:204], v[203:204], v[205:206], v[203:204]
	v_div_scale_f64 v[205:206], vcc_lo, 1.0, v[197:198], 1.0
	v_mul_f64 v[207:208], v[205:206], v[203:204]
	v_fma_f64 v[199:200], -v[199:200], v[207:208], v[205:206]
	v_div_fmas_f64 v[199:200], v[199:200], v[203:204], v[207:208]
	v_div_fixup_f64 v[203:204], v[199:200], v[197:198], 1.0
                                        ; implicit-def: $vgpr197_vgpr198
	v_mul_f64 v[201:202], v[201:202], v[203:204]
	v_xor_b32_e32 v204, 0x80000000, v204
.LBB97_185:
	s_andn2_saveexec_b32 s1, s1
	s_cbranch_execz .LBB97_187
; %bb.186:
	v_div_scale_f64 v[201:202], null, v[197:198], v[197:198], v[199:200]
	v_div_scale_f64 v[207:208], vcc_lo, v[199:200], v[197:198], v[199:200]
	v_rcp_f64_e32 v[203:204], v[201:202]
	v_fma_f64 v[205:206], -v[201:202], v[203:204], 1.0
	v_fma_f64 v[203:204], v[203:204], v[205:206], v[203:204]
	v_fma_f64 v[205:206], -v[201:202], v[203:204], 1.0
	v_fma_f64 v[203:204], v[203:204], v[205:206], v[203:204]
	v_mul_f64 v[205:206], v[207:208], v[203:204]
	v_fma_f64 v[201:202], -v[201:202], v[205:206], v[207:208]
	v_div_fmas_f64 v[201:202], v[201:202], v[203:204], v[205:206]
	v_div_fixup_f64 v[203:204], v[201:202], v[197:198], v[199:200]
	v_fma_f64 v[197:198], v[199:200], v[203:204], v[197:198]
	v_div_scale_f64 v[199:200], null, v[197:198], v[197:198], 1.0
	v_rcp_f64_e32 v[201:202], v[199:200]
	v_fma_f64 v[205:206], -v[199:200], v[201:202], 1.0
	v_fma_f64 v[201:202], v[201:202], v[205:206], v[201:202]
	v_fma_f64 v[205:206], -v[199:200], v[201:202], 1.0
	v_fma_f64 v[201:202], v[201:202], v[205:206], v[201:202]
	v_div_scale_f64 v[205:206], vcc_lo, 1.0, v[197:198], 1.0
	v_mul_f64 v[207:208], v[205:206], v[201:202]
	v_fma_f64 v[199:200], -v[199:200], v[207:208], v[205:206]
	v_div_fmas_f64 v[199:200], v[199:200], v[201:202], v[207:208]
	v_div_fixup_f64 v[201:202], v[199:200], v[197:198], 1.0
	v_mul_f64 v[203:204], v[203:204], -v[201:202]
.LBB97_187:
	s_or_b32 exec_lo, exec_lo, s1
	ds_write2_b64 v255, v[201:202], v[203:204] offset1:1
.LBB97_188:
	s_or_b32 exec_lo, exec_lo, s2
	s_waitcnt lgkmcnt(0)
	s_barrier
	buffer_gl0_inv
	ds_read2_b64 v[197:200], v255 offset1:1
	s_mov_b32 s1, exec_lo
	s_waitcnt lgkmcnt(0)
	buffer_store_dword v197, off, s[16:19], 0 offset:616 ; 4-byte Folded Spill
	buffer_store_dword v198, off, s[16:19], 0 offset:620 ; 4-byte Folded Spill
	;; [unrolled: 1-line block ×4, first 2 shown]
	v_cmpx_lt_u32_e32 20, v0
	s_cbranch_execz .LBB97_190
; %bb.189:
	s_clause 0x3
	buffer_load_dword v199, off, s[16:19], 0 offset:616
	buffer_load_dword v200, off, s[16:19], 0 offset:620
	;; [unrolled: 1-line block ×4, first 2 shown]
	s_waitcnt vmcnt(0)
	v_mul_f64 v[197:198], v[201:202], v[115:116]
	v_mul_f64 v[115:116], v[199:200], v[115:116]
	v_fma_f64 v[197:198], v[199:200], v[113:114], -v[197:198]
	v_fma_f64 v[115:116], v[201:202], v[113:114], v[115:116]
	ds_read2_b64 v[199:202], v253 offset0:42 offset1:43
	s_waitcnt lgkmcnt(0)
	v_mul_f64 v[113:114], v[201:202], v[115:116]
	v_fma_f64 v[113:114], v[199:200], v[197:198], -v[113:114]
	v_mul_f64 v[199:200], v[199:200], v[115:116]
	v_add_f64 v[109:110], v[109:110], -v[113:114]
	v_fma_f64 v[199:200], v[201:202], v[197:198], v[199:200]
	v_add_f64 v[111:112], v[111:112], -v[199:200]
	ds_read2_b64 v[199:202], v253 offset0:44 offset1:45
	s_waitcnt lgkmcnt(0)
	v_mul_f64 v[113:114], v[201:202], v[115:116]
	v_fma_f64 v[113:114], v[199:200], v[197:198], -v[113:114]
	v_mul_f64 v[199:200], v[199:200], v[115:116]
	v_add_f64 v[105:106], v[105:106], -v[113:114]
	v_fma_f64 v[199:200], v[201:202], v[197:198], v[199:200]
	v_add_f64 v[107:108], v[107:108], -v[199:200]
	;; [unrolled: 8-line block ×27, first 2 shown]
	ds_read2_b64 v[199:202], v253 offset0:96 offset1:97
	s_waitcnt lgkmcnt(0)
	v_mul_f64 v[113:114], v[201:202], v[115:116]
	v_fma_f64 v[113:114], v[199:200], v[197:198], -v[113:114]
	v_mul_f64 v[199:200], v[199:200], v[115:116]
	v_add_f64 v[1:2], v[1:2], -v[113:114]
	v_fma_f64 v[199:200], v[201:202], v[197:198], v[199:200]
	v_mov_b32_e32 v113, v197
	v_mov_b32_e32 v114, v198
	v_add_f64 v[3:4], v[3:4], -v[199:200]
.LBB97_190:
	s_or_b32 exec_lo, exec_lo, s1
	s_mov_b32 s2, exec_lo
	s_waitcnt_vscnt null, 0x0
	s_barrier
	buffer_gl0_inv
	v_cmpx_eq_u32_e32 21, v0
	s_cbranch_execz .LBB97_197
; %bb.191:
	ds_write2_b64 v255, v[109:110], v[111:112] offset1:1
	ds_write2_b64 v253, v[105:106], v[107:108] offset0:44 offset1:45
	ds_write2_b64 v253, v[101:102], v[103:104] offset0:46 offset1:47
	;; [unrolled: 1-line block ×27, first 2 shown]
	ds_read2_b64 v[197:200], v255 offset1:1
	s_waitcnt lgkmcnt(0)
	v_cmp_neq_f64_e32 vcc_lo, 0, v[197:198]
	v_cmp_neq_f64_e64 s1, 0, v[199:200]
	s_or_b32 s1, vcc_lo, s1
	s_and_b32 exec_lo, exec_lo, s1
	s_cbranch_execz .LBB97_197
; %bb.192:
	v_cmp_ngt_f64_e64 s1, |v[197:198]|, |v[199:200]|
                                        ; implicit-def: $vgpr201_vgpr202
	s_and_saveexec_b32 s3, s1
	s_xor_b32 s1, exec_lo, s3
                                        ; implicit-def: $vgpr203_vgpr204
	s_cbranch_execz .LBB97_194
; %bb.193:
	v_div_scale_f64 v[201:202], null, v[199:200], v[199:200], v[197:198]
	v_div_scale_f64 v[207:208], vcc_lo, v[197:198], v[199:200], v[197:198]
	v_rcp_f64_e32 v[203:204], v[201:202]
	v_fma_f64 v[205:206], -v[201:202], v[203:204], 1.0
	v_fma_f64 v[203:204], v[203:204], v[205:206], v[203:204]
	v_fma_f64 v[205:206], -v[201:202], v[203:204], 1.0
	v_fma_f64 v[203:204], v[203:204], v[205:206], v[203:204]
	v_mul_f64 v[205:206], v[207:208], v[203:204]
	v_fma_f64 v[201:202], -v[201:202], v[205:206], v[207:208]
	v_div_fmas_f64 v[201:202], v[201:202], v[203:204], v[205:206]
	v_div_fixup_f64 v[201:202], v[201:202], v[199:200], v[197:198]
	v_fma_f64 v[197:198], v[197:198], v[201:202], v[199:200]
	v_div_scale_f64 v[199:200], null, v[197:198], v[197:198], 1.0
	v_rcp_f64_e32 v[203:204], v[199:200]
	v_fma_f64 v[205:206], -v[199:200], v[203:204], 1.0
	v_fma_f64 v[203:204], v[203:204], v[205:206], v[203:204]
	v_fma_f64 v[205:206], -v[199:200], v[203:204], 1.0
	v_fma_f64 v[203:204], v[203:204], v[205:206], v[203:204]
	v_div_scale_f64 v[205:206], vcc_lo, 1.0, v[197:198], 1.0
	v_mul_f64 v[207:208], v[205:206], v[203:204]
	v_fma_f64 v[199:200], -v[199:200], v[207:208], v[205:206]
	v_div_fmas_f64 v[199:200], v[199:200], v[203:204], v[207:208]
	v_div_fixup_f64 v[203:204], v[199:200], v[197:198], 1.0
                                        ; implicit-def: $vgpr197_vgpr198
	v_mul_f64 v[201:202], v[201:202], v[203:204]
	v_xor_b32_e32 v204, 0x80000000, v204
.LBB97_194:
	s_andn2_saveexec_b32 s1, s1
	s_cbranch_execz .LBB97_196
; %bb.195:
	v_div_scale_f64 v[201:202], null, v[197:198], v[197:198], v[199:200]
	v_div_scale_f64 v[207:208], vcc_lo, v[199:200], v[197:198], v[199:200]
	v_rcp_f64_e32 v[203:204], v[201:202]
	v_fma_f64 v[205:206], -v[201:202], v[203:204], 1.0
	v_fma_f64 v[203:204], v[203:204], v[205:206], v[203:204]
	v_fma_f64 v[205:206], -v[201:202], v[203:204], 1.0
	v_fma_f64 v[203:204], v[203:204], v[205:206], v[203:204]
	v_mul_f64 v[205:206], v[207:208], v[203:204]
	v_fma_f64 v[201:202], -v[201:202], v[205:206], v[207:208]
	v_div_fmas_f64 v[201:202], v[201:202], v[203:204], v[205:206]
	v_div_fixup_f64 v[203:204], v[201:202], v[197:198], v[199:200]
	v_fma_f64 v[197:198], v[199:200], v[203:204], v[197:198]
	v_div_scale_f64 v[199:200], null, v[197:198], v[197:198], 1.0
	v_rcp_f64_e32 v[201:202], v[199:200]
	v_fma_f64 v[205:206], -v[199:200], v[201:202], 1.0
	v_fma_f64 v[201:202], v[201:202], v[205:206], v[201:202]
	v_fma_f64 v[205:206], -v[199:200], v[201:202], 1.0
	v_fma_f64 v[201:202], v[201:202], v[205:206], v[201:202]
	v_div_scale_f64 v[205:206], vcc_lo, 1.0, v[197:198], 1.0
	v_mul_f64 v[207:208], v[205:206], v[201:202]
	v_fma_f64 v[199:200], -v[199:200], v[207:208], v[205:206]
	v_div_fmas_f64 v[199:200], v[199:200], v[201:202], v[207:208]
	v_div_fixup_f64 v[201:202], v[199:200], v[197:198], 1.0
	v_mul_f64 v[203:204], v[203:204], -v[201:202]
.LBB97_196:
	s_or_b32 exec_lo, exec_lo, s1
	ds_write2_b64 v255, v[201:202], v[203:204] offset1:1
.LBB97_197:
	s_or_b32 exec_lo, exec_lo, s2
	s_waitcnt lgkmcnt(0)
	s_barrier
	buffer_gl0_inv
	ds_read2_b64 v[197:200], v255 offset1:1
	s_mov_b32 s1, exec_lo
	s_waitcnt lgkmcnt(0)
	buffer_store_dword v197, off, s[16:19], 0 offset:632 ; 4-byte Folded Spill
	buffer_store_dword v198, off, s[16:19], 0 offset:636 ; 4-byte Folded Spill
	;; [unrolled: 1-line block ×4, first 2 shown]
	v_cmpx_lt_u32_e32 21, v0
	s_cbranch_execz .LBB97_199
; %bb.198:
	s_clause 0x3
	buffer_load_dword v199, off, s[16:19], 0 offset:632
	buffer_load_dword v200, off, s[16:19], 0 offset:636
	;; [unrolled: 1-line block ×4, first 2 shown]
	s_waitcnt vmcnt(0)
	v_mul_f64 v[197:198], v[201:202], v[111:112]
	v_mul_f64 v[111:112], v[199:200], v[111:112]
	v_fma_f64 v[197:198], v[199:200], v[109:110], -v[197:198]
	v_fma_f64 v[111:112], v[201:202], v[109:110], v[111:112]
	ds_read2_b64 v[199:202], v253 offset0:44 offset1:45
	s_waitcnt lgkmcnt(0)
	v_mul_f64 v[109:110], v[201:202], v[111:112]
	v_fma_f64 v[109:110], v[199:200], v[197:198], -v[109:110]
	v_mul_f64 v[199:200], v[199:200], v[111:112]
	v_add_f64 v[105:106], v[105:106], -v[109:110]
	v_fma_f64 v[199:200], v[201:202], v[197:198], v[199:200]
	v_add_f64 v[107:108], v[107:108], -v[199:200]
	ds_read2_b64 v[199:202], v253 offset0:46 offset1:47
	s_waitcnt lgkmcnt(0)
	v_mul_f64 v[109:110], v[201:202], v[111:112]
	v_fma_f64 v[109:110], v[199:200], v[197:198], -v[109:110]
	v_mul_f64 v[199:200], v[199:200], v[111:112]
	v_add_f64 v[101:102], v[101:102], -v[109:110]
	v_fma_f64 v[199:200], v[201:202], v[197:198], v[199:200]
	v_add_f64 v[103:104], v[103:104], -v[199:200]
	;; [unrolled: 8-line block ×26, first 2 shown]
	ds_read2_b64 v[199:202], v253 offset0:96 offset1:97
	s_waitcnt lgkmcnt(0)
	v_mul_f64 v[109:110], v[201:202], v[111:112]
	v_fma_f64 v[109:110], v[199:200], v[197:198], -v[109:110]
	v_mul_f64 v[199:200], v[199:200], v[111:112]
	v_add_f64 v[1:2], v[1:2], -v[109:110]
	v_fma_f64 v[199:200], v[201:202], v[197:198], v[199:200]
	v_mov_b32_e32 v109, v197
	v_mov_b32_e32 v110, v198
	v_add_f64 v[3:4], v[3:4], -v[199:200]
.LBB97_199:
	s_or_b32 exec_lo, exec_lo, s1
	s_mov_b32 s2, exec_lo
	s_waitcnt_vscnt null, 0x0
	s_barrier
	buffer_gl0_inv
	v_cmpx_eq_u32_e32 22, v0
	s_cbranch_execz .LBB97_206
; %bb.200:
	ds_write2_b64 v255, v[105:106], v[107:108] offset1:1
	ds_write2_b64 v253, v[101:102], v[103:104] offset0:46 offset1:47
	ds_write2_b64 v253, v[97:98], v[99:100] offset0:48 offset1:49
	;; [unrolled: 1-line block ×26, first 2 shown]
	ds_read2_b64 v[197:200], v255 offset1:1
	s_waitcnt lgkmcnt(0)
	v_cmp_neq_f64_e32 vcc_lo, 0, v[197:198]
	v_cmp_neq_f64_e64 s1, 0, v[199:200]
	s_or_b32 s1, vcc_lo, s1
	s_and_b32 exec_lo, exec_lo, s1
	s_cbranch_execz .LBB97_206
; %bb.201:
	v_cmp_ngt_f64_e64 s1, |v[197:198]|, |v[199:200]|
                                        ; implicit-def: $vgpr201_vgpr202
	s_and_saveexec_b32 s3, s1
	s_xor_b32 s1, exec_lo, s3
                                        ; implicit-def: $vgpr203_vgpr204
	s_cbranch_execz .LBB97_203
; %bb.202:
	v_div_scale_f64 v[201:202], null, v[199:200], v[199:200], v[197:198]
	v_div_scale_f64 v[207:208], vcc_lo, v[197:198], v[199:200], v[197:198]
	v_rcp_f64_e32 v[203:204], v[201:202]
	v_fma_f64 v[205:206], -v[201:202], v[203:204], 1.0
	v_fma_f64 v[203:204], v[203:204], v[205:206], v[203:204]
	v_fma_f64 v[205:206], -v[201:202], v[203:204], 1.0
	v_fma_f64 v[203:204], v[203:204], v[205:206], v[203:204]
	v_mul_f64 v[205:206], v[207:208], v[203:204]
	v_fma_f64 v[201:202], -v[201:202], v[205:206], v[207:208]
	v_div_fmas_f64 v[201:202], v[201:202], v[203:204], v[205:206]
	v_div_fixup_f64 v[201:202], v[201:202], v[199:200], v[197:198]
	v_fma_f64 v[197:198], v[197:198], v[201:202], v[199:200]
	v_div_scale_f64 v[199:200], null, v[197:198], v[197:198], 1.0
	v_rcp_f64_e32 v[203:204], v[199:200]
	v_fma_f64 v[205:206], -v[199:200], v[203:204], 1.0
	v_fma_f64 v[203:204], v[203:204], v[205:206], v[203:204]
	v_fma_f64 v[205:206], -v[199:200], v[203:204], 1.0
	v_fma_f64 v[203:204], v[203:204], v[205:206], v[203:204]
	v_div_scale_f64 v[205:206], vcc_lo, 1.0, v[197:198], 1.0
	v_mul_f64 v[207:208], v[205:206], v[203:204]
	v_fma_f64 v[199:200], -v[199:200], v[207:208], v[205:206]
	v_div_fmas_f64 v[199:200], v[199:200], v[203:204], v[207:208]
	v_div_fixup_f64 v[203:204], v[199:200], v[197:198], 1.0
                                        ; implicit-def: $vgpr197_vgpr198
	v_mul_f64 v[201:202], v[201:202], v[203:204]
	v_xor_b32_e32 v204, 0x80000000, v204
.LBB97_203:
	s_andn2_saveexec_b32 s1, s1
	s_cbranch_execz .LBB97_205
; %bb.204:
	v_div_scale_f64 v[201:202], null, v[197:198], v[197:198], v[199:200]
	v_div_scale_f64 v[207:208], vcc_lo, v[199:200], v[197:198], v[199:200]
	v_rcp_f64_e32 v[203:204], v[201:202]
	v_fma_f64 v[205:206], -v[201:202], v[203:204], 1.0
	v_fma_f64 v[203:204], v[203:204], v[205:206], v[203:204]
	v_fma_f64 v[205:206], -v[201:202], v[203:204], 1.0
	v_fma_f64 v[203:204], v[203:204], v[205:206], v[203:204]
	v_mul_f64 v[205:206], v[207:208], v[203:204]
	v_fma_f64 v[201:202], -v[201:202], v[205:206], v[207:208]
	v_div_fmas_f64 v[201:202], v[201:202], v[203:204], v[205:206]
	v_div_fixup_f64 v[203:204], v[201:202], v[197:198], v[199:200]
	v_fma_f64 v[197:198], v[199:200], v[203:204], v[197:198]
	v_div_scale_f64 v[199:200], null, v[197:198], v[197:198], 1.0
	v_rcp_f64_e32 v[201:202], v[199:200]
	v_fma_f64 v[205:206], -v[199:200], v[201:202], 1.0
	v_fma_f64 v[201:202], v[201:202], v[205:206], v[201:202]
	v_fma_f64 v[205:206], -v[199:200], v[201:202], 1.0
	v_fma_f64 v[201:202], v[201:202], v[205:206], v[201:202]
	v_div_scale_f64 v[205:206], vcc_lo, 1.0, v[197:198], 1.0
	v_mul_f64 v[207:208], v[205:206], v[201:202]
	v_fma_f64 v[199:200], -v[199:200], v[207:208], v[205:206]
	v_div_fmas_f64 v[199:200], v[199:200], v[201:202], v[207:208]
	v_div_fixup_f64 v[201:202], v[199:200], v[197:198], 1.0
	v_mul_f64 v[203:204], v[203:204], -v[201:202]
.LBB97_205:
	s_or_b32 exec_lo, exec_lo, s1
	ds_write2_b64 v255, v[201:202], v[203:204] offset1:1
.LBB97_206:
	s_or_b32 exec_lo, exec_lo, s2
	s_waitcnt lgkmcnt(0)
	s_barrier
	buffer_gl0_inv
	ds_read2_b64 v[197:200], v255 offset1:1
	s_mov_b32 s1, exec_lo
	s_waitcnt lgkmcnt(0)
	buffer_store_dword v197, off, s[16:19], 0 offset:648 ; 4-byte Folded Spill
	buffer_store_dword v198, off, s[16:19], 0 offset:652 ; 4-byte Folded Spill
	;; [unrolled: 1-line block ×4, first 2 shown]
	v_cmpx_lt_u32_e32 22, v0
	s_cbranch_execz .LBB97_208
; %bb.207:
	s_clause 0x3
	buffer_load_dword v199, off, s[16:19], 0 offset:648
	buffer_load_dword v200, off, s[16:19], 0 offset:652
	;; [unrolled: 1-line block ×4, first 2 shown]
	s_waitcnt vmcnt(0)
	v_mul_f64 v[197:198], v[201:202], v[107:108]
	v_mul_f64 v[107:108], v[199:200], v[107:108]
	v_fma_f64 v[197:198], v[199:200], v[105:106], -v[197:198]
	v_fma_f64 v[107:108], v[201:202], v[105:106], v[107:108]
	ds_read2_b64 v[199:202], v253 offset0:46 offset1:47
	s_waitcnt lgkmcnt(0)
	v_mul_f64 v[105:106], v[201:202], v[107:108]
	v_fma_f64 v[105:106], v[199:200], v[197:198], -v[105:106]
	v_mul_f64 v[199:200], v[199:200], v[107:108]
	v_add_f64 v[101:102], v[101:102], -v[105:106]
	v_fma_f64 v[199:200], v[201:202], v[197:198], v[199:200]
	v_add_f64 v[103:104], v[103:104], -v[199:200]
	ds_read2_b64 v[199:202], v253 offset0:48 offset1:49
	s_waitcnt lgkmcnt(0)
	v_mul_f64 v[105:106], v[201:202], v[107:108]
	v_fma_f64 v[105:106], v[199:200], v[197:198], -v[105:106]
	v_mul_f64 v[199:200], v[199:200], v[107:108]
	v_add_f64 v[97:98], v[97:98], -v[105:106]
	v_fma_f64 v[199:200], v[201:202], v[197:198], v[199:200]
	v_add_f64 v[99:100], v[99:100], -v[199:200]
	;; [unrolled: 8-line block ×25, first 2 shown]
	ds_read2_b64 v[199:202], v253 offset0:96 offset1:97
	s_waitcnt lgkmcnt(0)
	v_mul_f64 v[105:106], v[201:202], v[107:108]
	v_fma_f64 v[105:106], v[199:200], v[197:198], -v[105:106]
	v_mul_f64 v[199:200], v[199:200], v[107:108]
	v_add_f64 v[1:2], v[1:2], -v[105:106]
	v_fma_f64 v[199:200], v[201:202], v[197:198], v[199:200]
	v_mov_b32_e32 v105, v197
	v_mov_b32_e32 v106, v198
	v_add_f64 v[3:4], v[3:4], -v[199:200]
.LBB97_208:
	s_or_b32 exec_lo, exec_lo, s1
	s_mov_b32 s2, exec_lo
	s_waitcnt_vscnt null, 0x0
	s_barrier
	buffer_gl0_inv
	v_cmpx_eq_u32_e32 23, v0
	s_cbranch_execz .LBB97_215
; %bb.209:
	ds_write2_b64 v255, v[101:102], v[103:104] offset1:1
	ds_write2_b64 v253, v[97:98], v[99:100] offset0:48 offset1:49
	ds_write2_b64 v253, v[93:94], v[95:96] offset0:50 offset1:51
	;; [unrolled: 1-line block ×25, first 2 shown]
	ds_read2_b64 v[197:200], v255 offset1:1
	s_waitcnt lgkmcnt(0)
	v_cmp_neq_f64_e32 vcc_lo, 0, v[197:198]
	v_cmp_neq_f64_e64 s1, 0, v[199:200]
	s_or_b32 s1, vcc_lo, s1
	s_and_b32 exec_lo, exec_lo, s1
	s_cbranch_execz .LBB97_215
; %bb.210:
	v_cmp_ngt_f64_e64 s1, |v[197:198]|, |v[199:200]|
                                        ; implicit-def: $vgpr201_vgpr202
	s_and_saveexec_b32 s3, s1
	s_xor_b32 s1, exec_lo, s3
                                        ; implicit-def: $vgpr203_vgpr204
	s_cbranch_execz .LBB97_212
; %bb.211:
	v_div_scale_f64 v[201:202], null, v[199:200], v[199:200], v[197:198]
	v_div_scale_f64 v[207:208], vcc_lo, v[197:198], v[199:200], v[197:198]
	v_rcp_f64_e32 v[203:204], v[201:202]
	v_fma_f64 v[205:206], -v[201:202], v[203:204], 1.0
	v_fma_f64 v[203:204], v[203:204], v[205:206], v[203:204]
	v_fma_f64 v[205:206], -v[201:202], v[203:204], 1.0
	v_fma_f64 v[203:204], v[203:204], v[205:206], v[203:204]
	v_mul_f64 v[205:206], v[207:208], v[203:204]
	v_fma_f64 v[201:202], -v[201:202], v[205:206], v[207:208]
	v_div_fmas_f64 v[201:202], v[201:202], v[203:204], v[205:206]
	v_div_fixup_f64 v[201:202], v[201:202], v[199:200], v[197:198]
	v_fma_f64 v[197:198], v[197:198], v[201:202], v[199:200]
	v_div_scale_f64 v[199:200], null, v[197:198], v[197:198], 1.0
	v_rcp_f64_e32 v[203:204], v[199:200]
	v_fma_f64 v[205:206], -v[199:200], v[203:204], 1.0
	v_fma_f64 v[203:204], v[203:204], v[205:206], v[203:204]
	v_fma_f64 v[205:206], -v[199:200], v[203:204], 1.0
	v_fma_f64 v[203:204], v[203:204], v[205:206], v[203:204]
	v_div_scale_f64 v[205:206], vcc_lo, 1.0, v[197:198], 1.0
	v_mul_f64 v[207:208], v[205:206], v[203:204]
	v_fma_f64 v[199:200], -v[199:200], v[207:208], v[205:206]
	v_div_fmas_f64 v[199:200], v[199:200], v[203:204], v[207:208]
	v_div_fixup_f64 v[203:204], v[199:200], v[197:198], 1.0
                                        ; implicit-def: $vgpr197_vgpr198
	v_mul_f64 v[201:202], v[201:202], v[203:204]
	v_xor_b32_e32 v204, 0x80000000, v204
.LBB97_212:
	s_andn2_saveexec_b32 s1, s1
	s_cbranch_execz .LBB97_214
; %bb.213:
	v_div_scale_f64 v[201:202], null, v[197:198], v[197:198], v[199:200]
	v_div_scale_f64 v[207:208], vcc_lo, v[199:200], v[197:198], v[199:200]
	v_rcp_f64_e32 v[203:204], v[201:202]
	v_fma_f64 v[205:206], -v[201:202], v[203:204], 1.0
	v_fma_f64 v[203:204], v[203:204], v[205:206], v[203:204]
	v_fma_f64 v[205:206], -v[201:202], v[203:204], 1.0
	v_fma_f64 v[203:204], v[203:204], v[205:206], v[203:204]
	v_mul_f64 v[205:206], v[207:208], v[203:204]
	v_fma_f64 v[201:202], -v[201:202], v[205:206], v[207:208]
	v_div_fmas_f64 v[201:202], v[201:202], v[203:204], v[205:206]
	v_div_fixup_f64 v[203:204], v[201:202], v[197:198], v[199:200]
	v_fma_f64 v[197:198], v[199:200], v[203:204], v[197:198]
	v_div_scale_f64 v[199:200], null, v[197:198], v[197:198], 1.0
	v_rcp_f64_e32 v[201:202], v[199:200]
	v_fma_f64 v[205:206], -v[199:200], v[201:202], 1.0
	v_fma_f64 v[201:202], v[201:202], v[205:206], v[201:202]
	v_fma_f64 v[205:206], -v[199:200], v[201:202], 1.0
	v_fma_f64 v[201:202], v[201:202], v[205:206], v[201:202]
	v_div_scale_f64 v[205:206], vcc_lo, 1.0, v[197:198], 1.0
	v_mul_f64 v[207:208], v[205:206], v[201:202]
	v_fma_f64 v[199:200], -v[199:200], v[207:208], v[205:206]
	v_div_fmas_f64 v[199:200], v[199:200], v[201:202], v[207:208]
	v_div_fixup_f64 v[201:202], v[199:200], v[197:198], 1.0
	v_mul_f64 v[203:204], v[203:204], -v[201:202]
.LBB97_214:
	s_or_b32 exec_lo, exec_lo, s1
	ds_write2_b64 v255, v[201:202], v[203:204] offset1:1
.LBB97_215:
	s_or_b32 exec_lo, exec_lo, s2
	s_waitcnt lgkmcnt(0)
	s_barrier
	buffer_gl0_inv
	ds_read2_b64 v[197:200], v255 offset1:1
	s_mov_b32 s1, exec_lo
	s_waitcnt lgkmcnt(0)
	buffer_store_dword v197, off, s[16:19], 0 offset:664 ; 4-byte Folded Spill
	buffer_store_dword v198, off, s[16:19], 0 offset:668 ; 4-byte Folded Spill
	;; [unrolled: 1-line block ×4, first 2 shown]
	v_cmpx_lt_u32_e32 23, v0
	s_cbranch_execz .LBB97_217
; %bb.216:
	s_clause 0x3
	buffer_load_dword v199, off, s[16:19], 0 offset:664
	buffer_load_dword v200, off, s[16:19], 0 offset:668
	;; [unrolled: 1-line block ×4, first 2 shown]
	s_waitcnt vmcnt(0)
	v_mul_f64 v[197:198], v[201:202], v[103:104]
	v_mul_f64 v[103:104], v[199:200], v[103:104]
	v_fma_f64 v[197:198], v[199:200], v[101:102], -v[197:198]
	v_fma_f64 v[103:104], v[201:202], v[101:102], v[103:104]
	ds_read2_b64 v[199:202], v253 offset0:48 offset1:49
	s_waitcnt lgkmcnt(0)
	v_mul_f64 v[101:102], v[201:202], v[103:104]
	v_fma_f64 v[101:102], v[199:200], v[197:198], -v[101:102]
	v_mul_f64 v[199:200], v[199:200], v[103:104]
	v_add_f64 v[97:98], v[97:98], -v[101:102]
	v_fma_f64 v[199:200], v[201:202], v[197:198], v[199:200]
	v_add_f64 v[99:100], v[99:100], -v[199:200]
	ds_read2_b64 v[199:202], v253 offset0:50 offset1:51
	s_waitcnt lgkmcnt(0)
	v_mul_f64 v[101:102], v[201:202], v[103:104]
	v_fma_f64 v[101:102], v[199:200], v[197:198], -v[101:102]
	v_mul_f64 v[199:200], v[199:200], v[103:104]
	v_add_f64 v[93:94], v[93:94], -v[101:102]
	v_fma_f64 v[199:200], v[201:202], v[197:198], v[199:200]
	v_add_f64 v[95:96], v[95:96], -v[199:200]
	;; [unrolled: 8-line block ×24, first 2 shown]
	ds_read2_b64 v[199:202], v253 offset0:96 offset1:97
	s_waitcnt lgkmcnt(0)
	v_mul_f64 v[101:102], v[201:202], v[103:104]
	v_fma_f64 v[101:102], v[199:200], v[197:198], -v[101:102]
	v_mul_f64 v[199:200], v[199:200], v[103:104]
	v_add_f64 v[1:2], v[1:2], -v[101:102]
	v_fma_f64 v[199:200], v[201:202], v[197:198], v[199:200]
	v_mov_b32_e32 v101, v197
	v_mov_b32_e32 v102, v198
	v_add_f64 v[3:4], v[3:4], -v[199:200]
.LBB97_217:
	s_or_b32 exec_lo, exec_lo, s1
	s_mov_b32 s2, exec_lo
	s_waitcnt_vscnt null, 0x0
	s_barrier
	buffer_gl0_inv
	v_cmpx_eq_u32_e32 24, v0
	s_cbranch_execz .LBB97_224
; %bb.218:
	ds_write2_b64 v255, v[97:98], v[99:100] offset1:1
	ds_write2_b64 v253, v[93:94], v[95:96] offset0:50 offset1:51
	ds_write2_b64 v253, v[89:90], v[91:92] offset0:52 offset1:53
	;; [unrolled: 1-line block ×24, first 2 shown]
	ds_read2_b64 v[197:200], v255 offset1:1
	s_waitcnt lgkmcnt(0)
	v_cmp_neq_f64_e32 vcc_lo, 0, v[197:198]
	v_cmp_neq_f64_e64 s1, 0, v[199:200]
	s_or_b32 s1, vcc_lo, s1
	s_and_b32 exec_lo, exec_lo, s1
	s_cbranch_execz .LBB97_224
; %bb.219:
	v_cmp_ngt_f64_e64 s1, |v[197:198]|, |v[199:200]|
                                        ; implicit-def: $vgpr201_vgpr202
	s_and_saveexec_b32 s3, s1
	s_xor_b32 s1, exec_lo, s3
                                        ; implicit-def: $vgpr203_vgpr204
	s_cbranch_execz .LBB97_221
; %bb.220:
	v_div_scale_f64 v[201:202], null, v[199:200], v[199:200], v[197:198]
	v_div_scale_f64 v[207:208], vcc_lo, v[197:198], v[199:200], v[197:198]
	v_rcp_f64_e32 v[203:204], v[201:202]
	v_fma_f64 v[205:206], -v[201:202], v[203:204], 1.0
	v_fma_f64 v[203:204], v[203:204], v[205:206], v[203:204]
	v_fma_f64 v[205:206], -v[201:202], v[203:204], 1.0
	v_fma_f64 v[203:204], v[203:204], v[205:206], v[203:204]
	v_mul_f64 v[205:206], v[207:208], v[203:204]
	v_fma_f64 v[201:202], -v[201:202], v[205:206], v[207:208]
	v_div_fmas_f64 v[201:202], v[201:202], v[203:204], v[205:206]
	v_div_fixup_f64 v[201:202], v[201:202], v[199:200], v[197:198]
	v_fma_f64 v[197:198], v[197:198], v[201:202], v[199:200]
	v_div_scale_f64 v[199:200], null, v[197:198], v[197:198], 1.0
	v_rcp_f64_e32 v[203:204], v[199:200]
	v_fma_f64 v[205:206], -v[199:200], v[203:204], 1.0
	v_fma_f64 v[203:204], v[203:204], v[205:206], v[203:204]
	v_fma_f64 v[205:206], -v[199:200], v[203:204], 1.0
	v_fma_f64 v[203:204], v[203:204], v[205:206], v[203:204]
	v_div_scale_f64 v[205:206], vcc_lo, 1.0, v[197:198], 1.0
	v_mul_f64 v[207:208], v[205:206], v[203:204]
	v_fma_f64 v[199:200], -v[199:200], v[207:208], v[205:206]
	v_div_fmas_f64 v[199:200], v[199:200], v[203:204], v[207:208]
	v_div_fixup_f64 v[203:204], v[199:200], v[197:198], 1.0
                                        ; implicit-def: $vgpr197_vgpr198
	v_mul_f64 v[201:202], v[201:202], v[203:204]
	v_xor_b32_e32 v204, 0x80000000, v204
.LBB97_221:
	s_andn2_saveexec_b32 s1, s1
	s_cbranch_execz .LBB97_223
; %bb.222:
	v_div_scale_f64 v[201:202], null, v[197:198], v[197:198], v[199:200]
	v_div_scale_f64 v[207:208], vcc_lo, v[199:200], v[197:198], v[199:200]
	v_rcp_f64_e32 v[203:204], v[201:202]
	v_fma_f64 v[205:206], -v[201:202], v[203:204], 1.0
	v_fma_f64 v[203:204], v[203:204], v[205:206], v[203:204]
	v_fma_f64 v[205:206], -v[201:202], v[203:204], 1.0
	v_fma_f64 v[203:204], v[203:204], v[205:206], v[203:204]
	v_mul_f64 v[205:206], v[207:208], v[203:204]
	v_fma_f64 v[201:202], -v[201:202], v[205:206], v[207:208]
	v_div_fmas_f64 v[201:202], v[201:202], v[203:204], v[205:206]
	v_div_fixup_f64 v[203:204], v[201:202], v[197:198], v[199:200]
	v_fma_f64 v[197:198], v[199:200], v[203:204], v[197:198]
	v_div_scale_f64 v[199:200], null, v[197:198], v[197:198], 1.0
	v_rcp_f64_e32 v[201:202], v[199:200]
	v_fma_f64 v[205:206], -v[199:200], v[201:202], 1.0
	v_fma_f64 v[201:202], v[201:202], v[205:206], v[201:202]
	v_fma_f64 v[205:206], -v[199:200], v[201:202], 1.0
	v_fma_f64 v[201:202], v[201:202], v[205:206], v[201:202]
	v_div_scale_f64 v[205:206], vcc_lo, 1.0, v[197:198], 1.0
	v_mul_f64 v[207:208], v[205:206], v[201:202]
	v_fma_f64 v[199:200], -v[199:200], v[207:208], v[205:206]
	v_div_fmas_f64 v[199:200], v[199:200], v[201:202], v[207:208]
	v_div_fixup_f64 v[201:202], v[199:200], v[197:198], 1.0
	v_mul_f64 v[203:204], v[203:204], -v[201:202]
.LBB97_223:
	s_or_b32 exec_lo, exec_lo, s1
	ds_write2_b64 v255, v[201:202], v[203:204] offset1:1
.LBB97_224:
	s_or_b32 exec_lo, exec_lo, s2
	s_waitcnt lgkmcnt(0)
	s_barrier
	buffer_gl0_inv
	ds_read2_b64 v[197:200], v255 offset1:1
	s_mov_b32 s1, exec_lo
	s_waitcnt lgkmcnt(0)
	buffer_store_dword v197, off, s[16:19], 0 offset:680 ; 4-byte Folded Spill
	buffer_store_dword v198, off, s[16:19], 0 offset:684 ; 4-byte Folded Spill
	;; [unrolled: 1-line block ×4, first 2 shown]
	v_cmpx_lt_u32_e32 24, v0
	s_cbranch_execz .LBB97_226
; %bb.225:
	s_clause 0x3
	buffer_load_dword v199, off, s[16:19], 0 offset:680
	buffer_load_dword v200, off, s[16:19], 0 offset:684
	;; [unrolled: 1-line block ×4, first 2 shown]
	s_waitcnt vmcnt(0)
	v_mul_f64 v[197:198], v[201:202], v[99:100]
	v_mul_f64 v[99:100], v[199:200], v[99:100]
	v_fma_f64 v[197:198], v[199:200], v[97:98], -v[197:198]
	v_fma_f64 v[99:100], v[201:202], v[97:98], v[99:100]
	ds_read2_b64 v[199:202], v253 offset0:50 offset1:51
	s_waitcnt lgkmcnt(0)
	v_mul_f64 v[97:98], v[201:202], v[99:100]
	v_fma_f64 v[97:98], v[199:200], v[197:198], -v[97:98]
	v_mul_f64 v[199:200], v[199:200], v[99:100]
	v_add_f64 v[93:94], v[93:94], -v[97:98]
	v_fma_f64 v[199:200], v[201:202], v[197:198], v[199:200]
	v_add_f64 v[95:96], v[95:96], -v[199:200]
	ds_read2_b64 v[199:202], v253 offset0:52 offset1:53
	s_waitcnt lgkmcnt(0)
	v_mul_f64 v[97:98], v[201:202], v[99:100]
	v_fma_f64 v[97:98], v[199:200], v[197:198], -v[97:98]
	v_mul_f64 v[199:200], v[199:200], v[99:100]
	v_add_f64 v[89:90], v[89:90], -v[97:98]
	v_fma_f64 v[199:200], v[201:202], v[197:198], v[199:200]
	v_add_f64 v[91:92], v[91:92], -v[199:200]
	;; [unrolled: 8-line block ×23, first 2 shown]
	ds_read2_b64 v[199:202], v253 offset0:96 offset1:97
	s_waitcnt lgkmcnt(0)
	v_mul_f64 v[97:98], v[201:202], v[99:100]
	v_fma_f64 v[97:98], v[199:200], v[197:198], -v[97:98]
	v_mul_f64 v[199:200], v[199:200], v[99:100]
	v_add_f64 v[1:2], v[1:2], -v[97:98]
	v_fma_f64 v[199:200], v[201:202], v[197:198], v[199:200]
	v_mov_b32_e32 v97, v197
	v_mov_b32_e32 v98, v198
	v_add_f64 v[3:4], v[3:4], -v[199:200]
.LBB97_226:
	s_or_b32 exec_lo, exec_lo, s1
	s_mov_b32 s2, exec_lo
	s_waitcnt_vscnt null, 0x0
	s_barrier
	buffer_gl0_inv
	v_cmpx_eq_u32_e32 25, v0
	s_cbranch_execz .LBB97_233
; %bb.227:
	ds_write2_b64 v255, v[93:94], v[95:96] offset1:1
	ds_write2_b64 v253, v[89:90], v[91:92] offset0:52 offset1:53
	ds_write2_b64 v253, v[85:86], v[87:88] offset0:54 offset1:55
	ds_write2_b64 v253, v[81:82], v[83:84] offset0:56 offset1:57
	ds_write2_b64 v253, v[77:78], v[79:80] offset0:58 offset1:59
	ds_write2_b64 v253, v[73:74], v[75:76] offset0:60 offset1:61
	ds_write2_b64 v253, v[69:70], v[71:72] offset0:62 offset1:63
	ds_write2_b64 v253, v[65:66], v[67:68] offset0:64 offset1:65
	ds_write2_b64 v253, v[61:62], v[63:64] offset0:66 offset1:67
	ds_write2_b64 v253, v[57:58], v[59:60] offset0:68 offset1:69
	ds_write2_b64 v253, v[53:54], v[55:56] offset0:70 offset1:71
	ds_write2_b64 v253, v[49:50], v[51:52] offset0:72 offset1:73
	ds_write2_b64 v253, v[45:46], v[47:48] offset0:74 offset1:75
	ds_write2_b64 v253, v[41:42], v[43:44] offset0:76 offset1:77
	ds_write2_b64 v253, v[37:38], v[39:40] offset0:78 offset1:79
	ds_write2_b64 v253, v[33:34], v[35:36] offset0:80 offset1:81
	ds_write2_b64 v253, v[29:30], v[31:32] offset0:82 offset1:83
	ds_write2_b64 v253, v[25:26], v[27:28] offset0:84 offset1:85
	ds_write2_b64 v253, v[21:22], v[23:24] offset0:86 offset1:87
	ds_write2_b64 v253, v[17:18], v[19:20] offset0:88 offset1:89
	ds_write2_b64 v253, v[13:14], v[15:16] offset0:90 offset1:91
	ds_write2_b64 v253, v[9:10], v[11:12] offset0:92 offset1:93
	ds_write2_b64 v253, v[5:6], v[7:8] offset0:94 offset1:95
	ds_write2_b64 v253, v[1:2], v[3:4] offset0:96 offset1:97
	ds_read2_b64 v[197:200], v255 offset1:1
	s_waitcnt lgkmcnt(0)
	v_cmp_neq_f64_e32 vcc_lo, 0, v[197:198]
	v_cmp_neq_f64_e64 s1, 0, v[199:200]
	s_or_b32 s1, vcc_lo, s1
	s_and_b32 exec_lo, exec_lo, s1
	s_cbranch_execz .LBB97_233
; %bb.228:
	v_cmp_ngt_f64_e64 s1, |v[197:198]|, |v[199:200]|
                                        ; implicit-def: $vgpr201_vgpr202
	s_and_saveexec_b32 s3, s1
	s_xor_b32 s1, exec_lo, s3
                                        ; implicit-def: $vgpr203_vgpr204
	s_cbranch_execz .LBB97_230
; %bb.229:
	v_div_scale_f64 v[201:202], null, v[199:200], v[199:200], v[197:198]
	v_div_scale_f64 v[207:208], vcc_lo, v[197:198], v[199:200], v[197:198]
	v_rcp_f64_e32 v[203:204], v[201:202]
	v_fma_f64 v[205:206], -v[201:202], v[203:204], 1.0
	v_fma_f64 v[203:204], v[203:204], v[205:206], v[203:204]
	v_fma_f64 v[205:206], -v[201:202], v[203:204], 1.0
	v_fma_f64 v[203:204], v[203:204], v[205:206], v[203:204]
	v_mul_f64 v[205:206], v[207:208], v[203:204]
	v_fma_f64 v[201:202], -v[201:202], v[205:206], v[207:208]
	v_div_fmas_f64 v[201:202], v[201:202], v[203:204], v[205:206]
	v_div_fixup_f64 v[201:202], v[201:202], v[199:200], v[197:198]
	v_fma_f64 v[197:198], v[197:198], v[201:202], v[199:200]
	v_div_scale_f64 v[199:200], null, v[197:198], v[197:198], 1.0
	v_rcp_f64_e32 v[203:204], v[199:200]
	v_fma_f64 v[205:206], -v[199:200], v[203:204], 1.0
	v_fma_f64 v[203:204], v[203:204], v[205:206], v[203:204]
	v_fma_f64 v[205:206], -v[199:200], v[203:204], 1.0
	v_fma_f64 v[203:204], v[203:204], v[205:206], v[203:204]
	v_div_scale_f64 v[205:206], vcc_lo, 1.0, v[197:198], 1.0
	v_mul_f64 v[207:208], v[205:206], v[203:204]
	v_fma_f64 v[199:200], -v[199:200], v[207:208], v[205:206]
	v_div_fmas_f64 v[199:200], v[199:200], v[203:204], v[207:208]
	v_div_fixup_f64 v[203:204], v[199:200], v[197:198], 1.0
                                        ; implicit-def: $vgpr197_vgpr198
	v_mul_f64 v[201:202], v[201:202], v[203:204]
	v_xor_b32_e32 v204, 0x80000000, v204
.LBB97_230:
	s_andn2_saveexec_b32 s1, s1
	s_cbranch_execz .LBB97_232
; %bb.231:
	v_div_scale_f64 v[201:202], null, v[197:198], v[197:198], v[199:200]
	v_div_scale_f64 v[207:208], vcc_lo, v[199:200], v[197:198], v[199:200]
	v_rcp_f64_e32 v[203:204], v[201:202]
	v_fma_f64 v[205:206], -v[201:202], v[203:204], 1.0
	v_fma_f64 v[203:204], v[203:204], v[205:206], v[203:204]
	v_fma_f64 v[205:206], -v[201:202], v[203:204], 1.0
	v_fma_f64 v[203:204], v[203:204], v[205:206], v[203:204]
	v_mul_f64 v[205:206], v[207:208], v[203:204]
	v_fma_f64 v[201:202], -v[201:202], v[205:206], v[207:208]
	v_div_fmas_f64 v[201:202], v[201:202], v[203:204], v[205:206]
	v_div_fixup_f64 v[203:204], v[201:202], v[197:198], v[199:200]
	v_fma_f64 v[197:198], v[199:200], v[203:204], v[197:198]
	v_div_scale_f64 v[199:200], null, v[197:198], v[197:198], 1.0
	v_rcp_f64_e32 v[201:202], v[199:200]
	v_fma_f64 v[205:206], -v[199:200], v[201:202], 1.0
	v_fma_f64 v[201:202], v[201:202], v[205:206], v[201:202]
	v_fma_f64 v[205:206], -v[199:200], v[201:202], 1.0
	v_fma_f64 v[201:202], v[201:202], v[205:206], v[201:202]
	v_div_scale_f64 v[205:206], vcc_lo, 1.0, v[197:198], 1.0
	v_mul_f64 v[207:208], v[205:206], v[201:202]
	v_fma_f64 v[199:200], -v[199:200], v[207:208], v[205:206]
	v_div_fmas_f64 v[199:200], v[199:200], v[201:202], v[207:208]
	v_div_fixup_f64 v[201:202], v[199:200], v[197:198], 1.0
	v_mul_f64 v[203:204], v[203:204], -v[201:202]
.LBB97_232:
	s_or_b32 exec_lo, exec_lo, s1
	ds_write2_b64 v255, v[201:202], v[203:204] offset1:1
.LBB97_233:
	s_or_b32 exec_lo, exec_lo, s2
	s_waitcnt lgkmcnt(0)
	s_barrier
	buffer_gl0_inv
	ds_read2_b64 v[197:200], v255 offset1:1
	s_mov_b32 s1, exec_lo
	s_waitcnt lgkmcnt(0)
	buffer_store_dword v197, off, s[16:19], 0 offset:696 ; 4-byte Folded Spill
	buffer_store_dword v198, off, s[16:19], 0 offset:700 ; 4-byte Folded Spill
	;; [unrolled: 1-line block ×4, first 2 shown]
	v_cmpx_lt_u32_e32 25, v0
	s_cbranch_execz .LBB97_235
; %bb.234:
	s_clause 0x3
	buffer_load_dword v199, off, s[16:19], 0 offset:696
	buffer_load_dword v200, off, s[16:19], 0 offset:700
	;; [unrolled: 1-line block ×4, first 2 shown]
	s_waitcnt vmcnt(0)
	v_mul_f64 v[197:198], v[201:202], v[95:96]
	v_mul_f64 v[95:96], v[199:200], v[95:96]
	v_fma_f64 v[197:198], v[199:200], v[93:94], -v[197:198]
	v_fma_f64 v[95:96], v[201:202], v[93:94], v[95:96]
	ds_read2_b64 v[199:202], v253 offset0:52 offset1:53
	s_waitcnt lgkmcnt(0)
	v_mul_f64 v[93:94], v[201:202], v[95:96]
	v_fma_f64 v[93:94], v[199:200], v[197:198], -v[93:94]
	v_mul_f64 v[199:200], v[199:200], v[95:96]
	v_add_f64 v[89:90], v[89:90], -v[93:94]
	v_fma_f64 v[199:200], v[201:202], v[197:198], v[199:200]
	v_add_f64 v[91:92], v[91:92], -v[199:200]
	ds_read2_b64 v[199:202], v253 offset0:54 offset1:55
	s_waitcnt lgkmcnt(0)
	v_mul_f64 v[93:94], v[201:202], v[95:96]
	v_fma_f64 v[93:94], v[199:200], v[197:198], -v[93:94]
	v_mul_f64 v[199:200], v[199:200], v[95:96]
	v_add_f64 v[85:86], v[85:86], -v[93:94]
	v_fma_f64 v[199:200], v[201:202], v[197:198], v[199:200]
	v_add_f64 v[87:88], v[87:88], -v[199:200]
	;; [unrolled: 8-line block ×22, first 2 shown]
	ds_read2_b64 v[199:202], v253 offset0:96 offset1:97
	s_waitcnt lgkmcnt(0)
	v_mul_f64 v[93:94], v[201:202], v[95:96]
	v_fma_f64 v[93:94], v[199:200], v[197:198], -v[93:94]
	v_mul_f64 v[199:200], v[199:200], v[95:96]
	v_add_f64 v[1:2], v[1:2], -v[93:94]
	v_fma_f64 v[199:200], v[201:202], v[197:198], v[199:200]
	v_mov_b32_e32 v93, v197
	v_mov_b32_e32 v94, v198
	v_add_f64 v[3:4], v[3:4], -v[199:200]
.LBB97_235:
	s_or_b32 exec_lo, exec_lo, s1
	s_mov_b32 s2, exec_lo
	s_waitcnt_vscnt null, 0x0
	s_barrier
	buffer_gl0_inv
	v_cmpx_eq_u32_e32 26, v0
	s_cbranch_execz .LBB97_242
; %bb.236:
	ds_write2_b64 v255, v[89:90], v[91:92] offset1:1
	ds_write2_b64 v253, v[85:86], v[87:88] offset0:54 offset1:55
	ds_write2_b64 v253, v[81:82], v[83:84] offset0:56 offset1:57
	;; [unrolled: 1-line block ×22, first 2 shown]
	ds_read2_b64 v[197:200], v255 offset1:1
	s_waitcnt lgkmcnt(0)
	v_cmp_neq_f64_e32 vcc_lo, 0, v[197:198]
	v_cmp_neq_f64_e64 s1, 0, v[199:200]
	s_or_b32 s1, vcc_lo, s1
	s_and_b32 exec_lo, exec_lo, s1
	s_cbranch_execz .LBB97_242
; %bb.237:
	v_cmp_ngt_f64_e64 s1, |v[197:198]|, |v[199:200]|
                                        ; implicit-def: $vgpr201_vgpr202
	s_and_saveexec_b32 s3, s1
	s_xor_b32 s1, exec_lo, s3
                                        ; implicit-def: $vgpr203_vgpr204
	s_cbranch_execz .LBB97_239
; %bb.238:
	v_div_scale_f64 v[201:202], null, v[199:200], v[199:200], v[197:198]
	v_div_scale_f64 v[207:208], vcc_lo, v[197:198], v[199:200], v[197:198]
	v_rcp_f64_e32 v[203:204], v[201:202]
	v_fma_f64 v[205:206], -v[201:202], v[203:204], 1.0
	v_fma_f64 v[203:204], v[203:204], v[205:206], v[203:204]
	v_fma_f64 v[205:206], -v[201:202], v[203:204], 1.0
	v_fma_f64 v[203:204], v[203:204], v[205:206], v[203:204]
	v_mul_f64 v[205:206], v[207:208], v[203:204]
	v_fma_f64 v[201:202], -v[201:202], v[205:206], v[207:208]
	v_div_fmas_f64 v[201:202], v[201:202], v[203:204], v[205:206]
	v_div_fixup_f64 v[201:202], v[201:202], v[199:200], v[197:198]
	v_fma_f64 v[197:198], v[197:198], v[201:202], v[199:200]
	v_div_scale_f64 v[199:200], null, v[197:198], v[197:198], 1.0
	v_rcp_f64_e32 v[203:204], v[199:200]
	v_fma_f64 v[205:206], -v[199:200], v[203:204], 1.0
	v_fma_f64 v[203:204], v[203:204], v[205:206], v[203:204]
	v_fma_f64 v[205:206], -v[199:200], v[203:204], 1.0
	v_fma_f64 v[203:204], v[203:204], v[205:206], v[203:204]
	v_div_scale_f64 v[205:206], vcc_lo, 1.0, v[197:198], 1.0
	v_mul_f64 v[207:208], v[205:206], v[203:204]
	v_fma_f64 v[199:200], -v[199:200], v[207:208], v[205:206]
	v_div_fmas_f64 v[199:200], v[199:200], v[203:204], v[207:208]
	v_div_fixup_f64 v[203:204], v[199:200], v[197:198], 1.0
                                        ; implicit-def: $vgpr197_vgpr198
	v_mul_f64 v[201:202], v[201:202], v[203:204]
	v_xor_b32_e32 v204, 0x80000000, v204
.LBB97_239:
	s_andn2_saveexec_b32 s1, s1
	s_cbranch_execz .LBB97_241
; %bb.240:
	v_div_scale_f64 v[201:202], null, v[197:198], v[197:198], v[199:200]
	v_div_scale_f64 v[207:208], vcc_lo, v[199:200], v[197:198], v[199:200]
	v_rcp_f64_e32 v[203:204], v[201:202]
	v_fma_f64 v[205:206], -v[201:202], v[203:204], 1.0
	v_fma_f64 v[203:204], v[203:204], v[205:206], v[203:204]
	v_fma_f64 v[205:206], -v[201:202], v[203:204], 1.0
	v_fma_f64 v[203:204], v[203:204], v[205:206], v[203:204]
	v_mul_f64 v[205:206], v[207:208], v[203:204]
	v_fma_f64 v[201:202], -v[201:202], v[205:206], v[207:208]
	v_div_fmas_f64 v[201:202], v[201:202], v[203:204], v[205:206]
	v_div_fixup_f64 v[203:204], v[201:202], v[197:198], v[199:200]
	v_fma_f64 v[197:198], v[199:200], v[203:204], v[197:198]
	v_div_scale_f64 v[199:200], null, v[197:198], v[197:198], 1.0
	v_rcp_f64_e32 v[201:202], v[199:200]
	v_fma_f64 v[205:206], -v[199:200], v[201:202], 1.0
	v_fma_f64 v[201:202], v[201:202], v[205:206], v[201:202]
	v_fma_f64 v[205:206], -v[199:200], v[201:202], 1.0
	v_fma_f64 v[201:202], v[201:202], v[205:206], v[201:202]
	v_div_scale_f64 v[205:206], vcc_lo, 1.0, v[197:198], 1.0
	v_mul_f64 v[207:208], v[205:206], v[201:202]
	v_fma_f64 v[199:200], -v[199:200], v[207:208], v[205:206]
	v_div_fmas_f64 v[199:200], v[199:200], v[201:202], v[207:208]
	v_div_fixup_f64 v[201:202], v[199:200], v[197:198], 1.0
	v_mul_f64 v[203:204], v[203:204], -v[201:202]
.LBB97_241:
	s_or_b32 exec_lo, exec_lo, s1
	ds_write2_b64 v255, v[201:202], v[203:204] offset1:1
.LBB97_242:
	s_or_b32 exec_lo, exec_lo, s2
	s_waitcnt lgkmcnt(0)
	s_barrier
	buffer_gl0_inv
	ds_read2_b64 v[197:200], v255 offset1:1
	s_mov_b32 s1, exec_lo
	s_waitcnt lgkmcnt(0)
	buffer_store_dword v197, off, s[16:19], 0 offset:712 ; 4-byte Folded Spill
	buffer_store_dword v198, off, s[16:19], 0 offset:716 ; 4-byte Folded Spill
	;; [unrolled: 1-line block ×4, first 2 shown]
	v_cmpx_lt_u32_e32 26, v0
	s_cbranch_execz .LBB97_244
; %bb.243:
	s_clause 0x3
	buffer_load_dword v199, off, s[16:19], 0 offset:712
	buffer_load_dword v200, off, s[16:19], 0 offset:716
	;; [unrolled: 1-line block ×4, first 2 shown]
	s_waitcnt vmcnt(0)
	v_mul_f64 v[197:198], v[201:202], v[91:92]
	v_mul_f64 v[91:92], v[199:200], v[91:92]
	v_fma_f64 v[197:198], v[199:200], v[89:90], -v[197:198]
	v_fma_f64 v[91:92], v[201:202], v[89:90], v[91:92]
	ds_read2_b64 v[199:202], v253 offset0:54 offset1:55
	s_waitcnt lgkmcnt(0)
	v_mul_f64 v[89:90], v[201:202], v[91:92]
	v_fma_f64 v[89:90], v[199:200], v[197:198], -v[89:90]
	v_mul_f64 v[199:200], v[199:200], v[91:92]
	v_add_f64 v[85:86], v[85:86], -v[89:90]
	v_fma_f64 v[199:200], v[201:202], v[197:198], v[199:200]
	v_add_f64 v[87:88], v[87:88], -v[199:200]
	ds_read2_b64 v[199:202], v253 offset0:56 offset1:57
	s_waitcnt lgkmcnt(0)
	v_mul_f64 v[89:90], v[201:202], v[91:92]
	v_fma_f64 v[89:90], v[199:200], v[197:198], -v[89:90]
	v_mul_f64 v[199:200], v[199:200], v[91:92]
	v_add_f64 v[81:82], v[81:82], -v[89:90]
	v_fma_f64 v[199:200], v[201:202], v[197:198], v[199:200]
	v_add_f64 v[83:84], v[83:84], -v[199:200]
	;; [unrolled: 8-line block ×21, first 2 shown]
	ds_read2_b64 v[199:202], v253 offset0:96 offset1:97
	s_waitcnt lgkmcnt(0)
	v_mul_f64 v[89:90], v[201:202], v[91:92]
	v_fma_f64 v[89:90], v[199:200], v[197:198], -v[89:90]
	v_mul_f64 v[199:200], v[199:200], v[91:92]
	v_add_f64 v[1:2], v[1:2], -v[89:90]
	v_fma_f64 v[199:200], v[201:202], v[197:198], v[199:200]
	v_mov_b32_e32 v89, v197
	v_mov_b32_e32 v90, v198
	v_add_f64 v[3:4], v[3:4], -v[199:200]
.LBB97_244:
	s_or_b32 exec_lo, exec_lo, s1
	s_mov_b32 s2, exec_lo
	s_waitcnt_vscnt null, 0x0
	s_barrier
	buffer_gl0_inv
	v_cmpx_eq_u32_e32 27, v0
	s_cbranch_execz .LBB97_251
; %bb.245:
	ds_write2_b64 v255, v[85:86], v[87:88] offset1:1
	ds_write2_b64 v253, v[81:82], v[83:84] offset0:56 offset1:57
	ds_write2_b64 v253, v[77:78], v[79:80] offset0:58 offset1:59
	;; [unrolled: 1-line block ×21, first 2 shown]
	ds_read2_b64 v[197:200], v255 offset1:1
	s_waitcnt lgkmcnt(0)
	v_cmp_neq_f64_e32 vcc_lo, 0, v[197:198]
	v_cmp_neq_f64_e64 s1, 0, v[199:200]
	s_or_b32 s1, vcc_lo, s1
	s_and_b32 exec_lo, exec_lo, s1
	s_cbranch_execz .LBB97_251
; %bb.246:
	v_cmp_ngt_f64_e64 s1, |v[197:198]|, |v[199:200]|
                                        ; implicit-def: $vgpr201_vgpr202
	s_and_saveexec_b32 s3, s1
	s_xor_b32 s1, exec_lo, s3
                                        ; implicit-def: $vgpr203_vgpr204
	s_cbranch_execz .LBB97_248
; %bb.247:
	v_div_scale_f64 v[201:202], null, v[199:200], v[199:200], v[197:198]
	v_div_scale_f64 v[207:208], vcc_lo, v[197:198], v[199:200], v[197:198]
	v_rcp_f64_e32 v[203:204], v[201:202]
	v_fma_f64 v[205:206], -v[201:202], v[203:204], 1.0
	v_fma_f64 v[203:204], v[203:204], v[205:206], v[203:204]
	v_fma_f64 v[205:206], -v[201:202], v[203:204], 1.0
	v_fma_f64 v[203:204], v[203:204], v[205:206], v[203:204]
	v_mul_f64 v[205:206], v[207:208], v[203:204]
	v_fma_f64 v[201:202], -v[201:202], v[205:206], v[207:208]
	v_div_fmas_f64 v[201:202], v[201:202], v[203:204], v[205:206]
	v_div_fixup_f64 v[201:202], v[201:202], v[199:200], v[197:198]
	v_fma_f64 v[197:198], v[197:198], v[201:202], v[199:200]
	v_div_scale_f64 v[199:200], null, v[197:198], v[197:198], 1.0
	v_rcp_f64_e32 v[203:204], v[199:200]
	v_fma_f64 v[205:206], -v[199:200], v[203:204], 1.0
	v_fma_f64 v[203:204], v[203:204], v[205:206], v[203:204]
	v_fma_f64 v[205:206], -v[199:200], v[203:204], 1.0
	v_fma_f64 v[203:204], v[203:204], v[205:206], v[203:204]
	v_div_scale_f64 v[205:206], vcc_lo, 1.0, v[197:198], 1.0
	v_mul_f64 v[207:208], v[205:206], v[203:204]
	v_fma_f64 v[199:200], -v[199:200], v[207:208], v[205:206]
	v_div_fmas_f64 v[199:200], v[199:200], v[203:204], v[207:208]
	v_div_fixup_f64 v[203:204], v[199:200], v[197:198], 1.0
                                        ; implicit-def: $vgpr197_vgpr198
	v_mul_f64 v[201:202], v[201:202], v[203:204]
	v_xor_b32_e32 v204, 0x80000000, v204
.LBB97_248:
	s_andn2_saveexec_b32 s1, s1
	s_cbranch_execz .LBB97_250
; %bb.249:
	v_div_scale_f64 v[201:202], null, v[197:198], v[197:198], v[199:200]
	v_div_scale_f64 v[207:208], vcc_lo, v[199:200], v[197:198], v[199:200]
	v_rcp_f64_e32 v[203:204], v[201:202]
	v_fma_f64 v[205:206], -v[201:202], v[203:204], 1.0
	v_fma_f64 v[203:204], v[203:204], v[205:206], v[203:204]
	v_fma_f64 v[205:206], -v[201:202], v[203:204], 1.0
	v_fma_f64 v[203:204], v[203:204], v[205:206], v[203:204]
	v_mul_f64 v[205:206], v[207:208], v[203:204]
	v_fma_f64 v[201:202], -v[201:202], v[205:206], v[207:208]
	v_div_fmas_f64 v[201:202], v[201:202], v[203:204], v[205:206]
	v_div_fixup_f64 v[203:204], v[201:202], v[197:198], v[199:200]
	v_fma_f64 v[197:198], v[199:200], v[203:204], v[197:198]
	v_div_scale_f64 v[199:200], null, v[197:198], v[197:198], 1.0
	v_rcp_f64_e32 v[201:202], v[199:200]
	v_fma_f64 v[205:206], -v[199:200], v[201:202], 1.0
	v_fma_f64 v[201:202], v[201:202], v[205:206], v[201:202]
	v_fma_f64 v[205:206], -v[199:200], v[201:202], 1.0
	v_fma_f64 v[201:202], v[201:202], v[205:206], v[201:202]
	v_div_scale_f64 v[205:206], vcc_lo, 1.0, v[197:198], 1.0
	v_mul_f64 v[207:208], v[205:206], v[201:202]
	v_fma_f64 v[199:200], -v[199:200], v[207:208], v[205:206]
	v_div_fmas_f64 v[199:200], v[199:200], v[201:202], v[207:208]
	v_div_fixup_f64 v[201:202], v[199:200], v[197:198], 1.0
	v_mul_f64 v[203:204], v[203:204], -v[201:202]
.LBB97_250:
	s_or_b32 exec_lo, exec_lo, s1
	ds_write2_b64 v255, v[201:202], v[203:204] offset1:1
.LBB97_251:
	s_or_b32 exec_lo, exec_lo, s2
	s_waitcnt lgkmcnt(0)
	s_barrier
	buffer_gl0_inv
	ds_read2_b64 v[197:200], v255 offset1:1
	s_mov_b32 s1, exec_lo
	s_waitcnt lgkmcnt(0)
	buffer_store_dword v197, off, s[16:19], 0 offset:728 ; 4-byte Folded Spill
	buffer_store_dword v198, off, s[16:19], 0 offset:732 ; 4-byte Folded Spill
	;; [unrolled: 1-line block ×4, first 2 shown]
	v_cmpx_lt_u32_e32 27, v0
	s_cbranch_execz .LBB97_253
; %bb.252:
	s_clause 0x3
	buffer_load_dword v199, off, s[16:19], 0 offset:728
	buffer_load_dword v200, off, s[16:19], 0 offset:732
	;; [unrolled: 1-line block ×4, first 2 shown]
	s_waitcnt vmcnt(0)
	v_mul_f64 v[197:198], v[201:202], v[87:88]
	v_mul_f64 v[87:88], v[199:200], v[87:88]
	v_fma_f64 v[197:198], v[199:200], v[85:86], -v[197:198]
	v_fma_f64 v[87:88], v[201:202], v[85:86], v[87:88]
	ds_read2_b64 v[199:202], v253 offset0:56 offset1:57
	s_waitcnt lgkmcnt(0)
	v_mul_f64 v[85:86], v[201:202], v[87:88]
	v_fma_f64 v[85:86], v[199:200], v[197:198], -v[85:86]
	v_mul_f64 v[199:200], v[199:200], v[87:88]
	v_add_f64 v[81:82], v[81:82], -v[85:86]
	v_fma_f64 v[199:200], v[201:202], v[197:198], v[199:200]
	v_add_f64 v[83:84], v[83:84], -v[199:200]
	ds_read2_b64 v[199:202], v253 offset0:58 offset1:59
	s_waitcnt lgkmcnt(0)
	v_mul_f64 v[85:86], v[201:202], v[87:88]
	v_fma_f64 v[85:86], v[199:200], v[197:198], -v[85:86]
	v_mul_f64 v[199:200], v[199:200], v[87:88]
	v_add_f64 v[77:78], v[77:78], -v[85:86]
	v_fma_f64 v[199:200], v[201:202], v[197:198], v[199:200]
	v_add_f64 v[79:80], v[79:80], -v[199:200]
	;; [unrolled: 8-line block ×20, first 2 shown]
	ds_read2_b64 v[199:202], v253 offset0:96 offset1:97
	s_waitcnt lgkmcnt(0)
	v_mul_f64 v[85:86], v[201:202], v[87:88]
	v_fma_f64 v[85:86], v[199:200], v[197:198], -v[85:86]
	v_mul_f64 v[199:200], v[199:200], v[87:88]
	v_add_f64 v[1:2], v[1:2], -v[85:86]
	v_fma_f64 v[199:200], v[201:202], v[197:198], v[199:200]
	v_mov_b32_e32 v85, v197
	v_mov_b32_e32 v86, v198
	v_add_f64 v[3:4], v[3:4], -v[199:200]
.LBB97_253:
	s_or_b32 exec_lo, exec_lo, s1
	s_mov_b32 s2, exec_lo
	s_waitcnt_vscnt null, 0x0
	s_barrier
	buffer_gl0_inv
	v_cmpx_eq_u32_e32 28, v0
	s_cbranch_execz .LBB97_260
; %bb.254:
	ds_write2_b64 v255, v[81:82], v[83:84] offset1:1
	ds_write2_b64 v253, v[77:78], v[79:80] offset0:58 offset1:59
	ds_write2_b64 v253, v[73:74], v[75:76] offset0:60 offset1:61
	;; [unrolled: 1-line block ×20, first 2 shown]
	ds_read2_b64 v[197:200], v255 offset1:1
	s_waitcnt lgkmcnt(0)
	v_cmp_neq_f64_e32 vcc_lo, 0, v[197:198]
	v_cmp_neq_f64_e64 s1, 0, v[199:200]
	s_or_b32 s1, vcc_lo, s1
	s_and_b32 exec_lo, exec_lo, s1
	s_cbranch_execz .LBB97_260
; %bb.255:
	v_cmp_ngt_f64_e64 s1, |v[197:198]|, |v[199:200]|
                                        ; implicit-def: $vgpr201_vgpr202
	s_and_saveexec_b32 s3, s1
	s_xor_b32 s1, exec_lo, s3
                                        ; implicit-def: $vgpr203_vgpr204
	s_cbranch_execz .LBB97_257
; %bb.256:
	v_div_scale_f64 v[201:202], null, v[199:200], v[199:200], v[197:198]
	v_div_scale_f64 v[207:208], vcc_lo, v[197:198], v[199:200], v[197:198]
	v_rcp_f64_e32 v[203:204], v[201:202]
	v_fma_f64 v[205:206], -v[201:202], v[203:204], 1.0
	v_fma_f64 v[203:204], v[203:204], v[205:206], v[203:204]
	v_fma_f64 v[205:206], -v[201:202], v[203:204], 1.0
	v_fma_f64 v[203:204], v[203:204], v[205:206], v[203:204]
	v_mul_f64 v[205:206], v[207:208], v[203:204]
	v_fma_f64 v[201:202], -v[201:202], v[205:206], v[207:208]
	v_div_fmas_f64 v[201:202], v[201:202], v[203:204], v[205:206]
	v_div_fixup_f64 v[201:202], v[201:202], v[199:200], v[197:198]
	v_fma_f64 v[197:198], v[197:198], v[201:202], v[199:200]
	v_div_scale_f64 v[199:200], null, v[197:198], v[197:198], 1.0
	v_rcp_f64_e32 v[203:204], v[199:200]
	v_fma_f64 v[205:206], -v[199:200], v[203:204], 1.0
	v_fma_f64 v[203:204], v[203:204], v[205:206], v[203:204]
	v_fma_f64 v[205:206], -v[199:200], v[203:204], 1.0
	v_fma_f64 v[203:204], v[203:204], v[205:206], v[203:204]
	v_div_scale_f64 v[205:206], vcc_lo, 1.0, v[197:198], 1.0
	v_mul_f64 v[207:208], v[205:206], v[203:204]
	v_fma_f64 v[199:200], -v[199:200], v[207:208], v[205:206]
	v_div_fmas_f64 v[199:200], v[199:200], v[203:204], v[207:208]
	v_div_fixup_f64 v[203:204], v[199:200], v[197:198], 1.0
                                        ; implicit-def: $vgpr197_vgpr198
	v_mul_f64 v[201:202], v[201:202], v[203:204]
	v_xor_b32_e32 v204, 0x80000000, v204
.LBB97_257:
	s_andn2_saveexec_b32 s1, s1
	s_cbranch_execz .LBB97_259
; %bb.258:
	v_div_scale_f64 v[201:202], null, v[197:198], v[197:198], v[199:200]
	v_div_scale_f64 v[207:208], vcc_lo, v[199:200], v[197:198], v[199:200]
	v_rcp_f64_e32 v[203:204], v[201:202]
	v_fma_f64 v[205:206], -v[201:202], v[203:204], 1.0
	v_fma_f64 v[203:204], v[203:204], v[205:206], v[203:204]
	v_fma_f64 v[205:206], -v[201:202], v[203:204], 1.0
	v_fma_f64 v[203:204], v[203:204], v[205:206], v[203:204]
	v_mul_f64 v[205:206], v[207:208], v[203:204]
	v_fma_f64 v[201:202], -v[201:202], v[205:206], v[207:208]
	v_div_fmas_f64 v[201:202], v[201:202], v[203:204], v[205:206]
	v_div_fixup_f64 v[203:204], v[201:202], v[197:198], v[199:200]
	v_fma_f64 v[197:198], v[199:200], v[203:204], v[197:198]
	v_div_scale_f64 v[199:200], null, v[197:198], v[197:198], 1.0
	v_rcp_f64_e32 v[201:202], v[199:200]
	v_fma_f64 v[205:206], -v[199:200], v[201:202], 1.0
	v_fma_f64 v[201:202], v[201:202], v[205:206], v[201:202]
	v_fma_f64 v[205:206], -v[199:200], v[201:202], 1.0
	v_fma_f64 v[201:202], v[201:202], v[205:206], v[201:202]
	v_div_scale_f64 v[205:206], vcc_lo, 1.0, v[197:198], 1.0
	v_mul_f64 v[207:208], v[205:206], v[201:202]
	v_fma_f64 v[199:200], -v[199:200], v[207:208], v[205:206]
	v_div_fmas_f64 v[199:200], v[199:200], v[201:202], v[207:208]
	v_div_fixup_f64 v[201:202], v[199:200], v[197:198], 1.0
	v_mul_f64 v[203:204], v[203:204], -v[201:202]
.LBB97_259:
	s_or_b32 exec_lo, exec_lo, s1
	ds_write2_b64 v255, v[201:202], v[203:204] offset1:1
.LBB97_260:
	s_or_b32 exec_lo, exec_lo, s2
	s_waitcnt lgkmcnt(0)
	s_barrier
	buffer_gl0_inv
	ds_read2_b64 v[197:200], v255 offset1:1
	s_mov_b32 s1, exec_lo
	s_waitcnt lgkmcnt(0)
	buffer_store_dword v197, off, s[16:19], 0 offset:744 ; 4-byte Folded Spill
	buffer_store_dword v198, off, s[16:19], 0 offset:748 ; 4-byte Folded Spill
	;; [unrolled: 1-line block ×4, first 2 shown]
	v_cmpx_lt_u32_e32 28, v0
	s_cbranch_execz .LBB97_262
; %bb.261:
	s_clause 0x3
	buffer_load_dword v199, off, s[16:19], 0 offset:744
	buffer_load_dword v200, off, s[16:19], 0 offset:748
	;; [unrolled: 1-line block ×4, first 2 shown]
	s_waitcnt vmcnt(0)
	v_mul_f64 v[197:198], v[201:202], v[83:84]
	v_mul_f64 v[83:84], v[199:200], v[83:84]
	v_fma_f64 v[197:198], v[199:200], v[81:82], -v[197:198]
	v_fma_f64 v[83:84], v[201:202], v[81:82], v[83:84]
	ds_read2_b64 v[199:202], v253 offset0:58 offset1:59
	s_waitcnt lgkmcnt(0)
	v_mul_f64 v[81:82], v[201:202], v[83:84]
	v_fma_f64 v[81:82], v[199:200], v[197:198], -v[81:82]
	v_mul_f64 v[199:200], v[199:200], v[83:84]
	v_add_f64 v[77:78], v[77:78], -v[81:82]
	v_fma_f64 v[199:200], v[201:202], v[197:198], v[199:200]
	v_add_f64 v[79:80], v[79:80], -v[199:200]
	ds_read2_b64 v[199:202], v253 offset0:60 offset1:61
	s_waitcnt lgkmcnt(0)
	v_mul_f64 v[81:82], v[201:202], v[83:84]
	v_fma_f64 v[81:82], v[199:200], v[197:198], -v[81:82]
	v_mul_f64 v[199:200], v[199:200], v[83:84]
	v_add_f64 v[73:74], v[73:74], -v[81:82]
	v_fma_f64 v[199:200], v[201:202], v[197:198], v[199:200]
	v_add_f64 v[75:76], v[75:76], -v[199:200]
	;; [unrolled: 8-line block ×19, first 2 shown]
	ds_read2_b64 v[199:202], v253 offset0:96 offset1:97
	s_waitcnt lgkmcnt(0)
	v_mul_f64 v[81:82], v[201:202], v[83:84]
	v_fma_f64 v[81:82], v[199:200], v[197:198], -v[81:82]
	v_mul_f64 v[199:200], v[199:200], v[83:84]
	v_add_f64 v[1:2], v[1:2], -v[81:82]
	v_fma_f64 v[199:200], v[201:202], v[197:198], v[199:200]
	v_mov_b32_e32 v81, v197
	v_mov_b32_e32 v82, v198
	v_add_f64 v[3:4], v[3:4], -v[199:200]
.LBB97_262:
	s_or_b32 exec_lo, exec_lo, s1
	s_mov_b32 s2, exec_lo
	s_waitcnt_vscnt null, 0x0
	s_barrier
	buffer_gl0_inv
	v_cmpx_eq_u32_e32 29, v0
	s_cbranch_execz .LBB97_269
; %bb.263:
	ds_write2_b64 v255, v[77:78], v[79:80] offset1:1
	ds_write2_b64 v253, v[73:74], v[75:76] offset0:60 offset1:61
	ds_write2_b64 v253, v[69:70], v[71:72] offset0:62 offset1:63
	;; [unrolled: 1-line block ×19, first 2 shown]
	ds_read2_b64 v[197:200], v255 offset1:1
	s_waitcnt lgkmcnt(0)
	v_cmp_neq_f64_e32 vcc_lo, 0, v[197:198]
	v_cmp_neq_f64_e64 s1, 0, v[199:200]
	s_or_b32 s1, vcc_lo, s1
	s_and_b32 exec_lo, exec_lo, s1
	s_cbranch_execz .LBB97_269
; %bb.264:
	v_cmp_ngt_f64_e64 s1, |v[197:198]|, |v[199:200]|
                                        ; implicit-def: $vgpr201_vgpr202
	s_and_saveexec_b32 s3, s1
	s_xor_b32 s1, exec_lo, s3
                                        ; implicit-def: $vgpr203_vgpr204
	s_cbranch_execz .LBB97_266
; %bb.265:
	v_div_scale_f64 v[201:202], null, v[199:200], v[199:200], v[197:198]
	v_div_scale_f64 v[207:208], vcc_lo, v[197:198], v[199:200], v[197:198]
	v_rcp_f64_e32 v[203:204], v[201:202]
	v_fma_f64 v[205:206], -v[201:202], v[203:204], 1.0
	v_fma_f64 v[203:204], v[203:204], v[205:206], v[203:204]
	v_fma_f64 v[205:206], -v[201:202], v[203:204], 1.0
	v_fma_f64 v[203:204], v[203:204], v[205:206], v[203:204]
	v_mul_f64 v[205:206], v[207:208], v[203:204]
	v_fma_f64 v[201:202], -v[201:202], v[205:206], v[207:208]
	v_div_fmas_f64 v[201:202], v[201:202], v[203:204], v[205:206]
	v_div_fixup_f64 v[201:202], v[201:202], v[199:200], v[197:198]
	v_fma_f64 v[197:198], v[197:198], v[201:202], v[199:200]
	v_div_scale_f64 v[199:200], null, v[197:198], v[197:198], 1.0
	v_rcp_f64_e32 v[203:204], v[199:200]
	v_fma_f64 v[205:206], -v[199:200], v[203:204], 1.0
	v_fma_f64 v[203:204], v[203:204], v[205:206], v[203:204]
	v_fma_f64 v[205:206], -v[199:200], v[203:204], 1.0
	v_fma_f64 v[203:204], v[203:204], v[205:206], v[203:204]
	v_div_scale_f64 v[205:206], vcc_lo, 1.0, v[197:198], 1.0
	v_mul_f64 v[207:208], v[205:206], v[203:204]
	v_fma_f64 v[199:200], -v[199:200], v[207:208], v[205:206]
	v_div_fmas_f64 v[199:200], v[199:200], v[203:204], v[207:208]
	v_div_fixup_f64 v[203:204], v[199:200], v[197:198], 1.0
                                        ; implicit-def: $vgpr197_vgpr198
	v_mul_f64 v[201:202], v[201:202], v[203:204]
	v_xor_b32_e32 v204, 0x80000000, v204
.LBB97_266:
	s_andn2_saveexec_b32 s1, s1
	s_cbranch_execz .LBB97_268
; %bb.267:
	v_div_scale_f64 v[201:202], null, v[197:198], v[197:198], v[199:200]
	v_div_scale_f64 v[207:208], vcc_lo, v[199:200], v[197:198], v[199:200]
	v_rcp_f64_e32 v[203:204], v[201:202]
	v_fma_f64 v[205:206], -v[201:202], v[203:204], 1.0
	v_fma_f64 v[203:204], v[203:204], v[205:206], v[203:204]
	v_fma_f64 v[205:206], -v[201:202], v[203:204], 1.0
	v_fma_f64 v[203:204], v[203:204], v[205:206], v[203:204]
	v_mul_f64 v[205:206], v[207:208], v[203:204]
	v_fma_f64 v[201:202], -v[201:202], v[205:206], v[207:208]
	v_div_fmas_f64 v[201:202], v[201:202], v[203:204], v[205:206]
	v_div_fixup_f64 v[203:204], v[201:202], v[197:198], v[199:200]
	v_fma_f64 v[197:198], v[199:200], v[203:204], v[197:198]
	v_div_scale_f64 v[199:200], null, v[197:198], v[197:198], 1.0
	v_rcp_f64_e32 v[201:202], v[199:200]
	v_fma_f64 v[205:206], -v[199:200], v[201:202], 1.0
	v_fma_f64 v[201:202], v[201:202], v[205:206], v[201:202]
	v_fma_f64 v[205:206], -v[199:200], v[201:202], 1.0
	v_fma_f64 v[201:202], v[201:202], v[205:206], v[201:202]
	v_div_scale_f64 v[205:206], vcc_lo, 1.0, v[197:198], 1.0
	v_mul_f64 v[207:208], v[205:206], v[201:202]
	v_fma_f64 v[199:200], -v[199:200], v[207:208], v[205:206]
	v_div_fmas_f64 v[199:200], v[199:200], v[201:202], v[207:208]
	v_div_fixup_f64 v[201:202], v[199:200], v[197:198], 1.0
	v_mul_f64 v[203:204], v[203:204], -v[201:202]
.LBB97_268:
	s_or_b32 exec_lo, exec_lo, s1
	ds_write2_b64 v255, v[201:202], v[203:204] offset1:1
.LBB97_269:
	s_or_b32 exec_lo, exec_lo, s2
	s_waitcnt lgkmcnt(0)
	s_barrier
	buffer_gl0_inv
	ds_read2_b64 v[197:200], v255 offset1:1
	s_mov_b32 s1, exec_lo
	s_waitcnt lgkmcnt(0)
	buffer_store_dword v197, off, s[16:19], 0 offset:760 ; 4-byte Folded Spill
	buffer_store_dword v198, off, s[16:19], 0 offset:764 ; 4-byte Folded Spill
	;; [unrolled: 1-line block ×4, first 2 shown]
	v_cmpx_lt_u32_e32 29, v0
	s_cbranch_execz .LBB97_271
; %bb.270:
	s_clause 0x3
	buffer_load_dword v199, off, s[16:19], 0 offset:760
	buffer_load_dword v200, off, s[16:19], 0 offset:764
	;; [unrolled: 1-line block ×4, first 2 shown]
	s_waitcnt vmcnt(0)
	v_mul_f64 v[197:198], v[201:202], v[79:80]
	v_mul_f64 v[79:80], v[199:200], v[79:80]
	v_fma_f64 v[197:198], v[199:200], v[77:78], -v[197:198]
	v_fma_f64 v[79:80], v[201:202], v[77:78], v[79:80]
	ds_read2_b64 v[199:202], v253 offset0:60 offset1:61
	s_waitcnt lgkmcnt(0)
	v_mul_f64 v[77:78], v[201:202], v[79:80]
	v_fma_f64 v[77:78], v[199:200], v[197:198], -v[77:78]
	v_mul_f64 v[199:200], v[199:200], v[79:80]
	v_add_f64 v[73:74], v[73:74], -v[77:78]
	v_fma_f64 v[199:200], v[201:202], v[197:198], v[199:200]
	v_add_f64 v[75:76], v[75:76], -v[199:200]
	ds_read2_b64 v[199:202], v253 offset0:62 offset1:63
	s_waitcnt lgkmcnt(0)
	v_mul_f64 v[77:78], v[201:202], v[79:80]
	v_fma_f64 v[77:78], v[199:200], v[197:198], -v[77:78]
	v_mul_f64 v[199:200], v[199:200], v[79:80]
	v_add_f64 v[69:70], v[69:70], -v[77:78]
	v_fma_f64 v[199:200], v[201:202], v[197:198], v[199:200]
	v_add_f64 v[71:72], v[71:72], -v[199:200]
	;; [unrolled: 8-line block ×18, first 2 shown]
	ds_read2_b64 v[199:202], v253 offset0:96 offset1:97
	s_waitcnt lgkmcnt(0)
	v_mul_f64 v[77:78], v[201:202], v[79:80]
	v_fma_f64 v[77:78], v[199:200], v[197:198], -v[77:78]
	v_mul_f64 v[199:200], v[199:200], v[79:80]
	v_add_f64 v[1:2], v[1:2], -v[77:78]
	v_fma_f64 v[199:200], v[201:202], v[197:198], v[199:200]
	v_mov_b32_e32 v77, v197
	v_mov_b32_e32 v78, v198
	v_add_f64 v[3:4], v[3:4], -v[199:200]
.LBB97_271:
	s_or_b32 exec_lo, exec_lo, s1
	s_mov_b32 s2, exec_lo
	s_waitcnt_vscnt null, 0x0
	s_barrier
	buffer_gl0_inv
	v_cmpx_eq_u32_e32 30, v0
	s_cbranch_execz .LBB97_278
; %bb.272:
	ds_write2_b64 v255, v[73:74], v[75:76] offset1:1
	ds_write2_b64 v253, v[69:70], v[71:72] offset0:62 offset1:63
	ds_write2_b64 v253, v[65:66], v[67:68] offset0:64 offset1:65
	;; [unrolled: 1-line block ×18, first 2 shown]
	ds_read2_b64 v[197:200], v255 offset1:1
	s_waitcnt lgkmcnt(0)
	v_cmp_neq_f64_e32 vcc_lo, 0, v[197:198]
	v_cmp_neq_f64_e64 s1, 0, v[199:200]
	s_or_b32 s1, vcc_lo, s1
	s_and_b32 exec_lo, exec_lo, s1
	s_cbranch_execz .LBB97_278
; %bb.273:
	v_cmp_ngt_f64_e64 s1, |v[197:198]|, |v[199:200]|
                                        ; implicit-def: $vgpr201_vgpr202
	s_and_saveexec_b32 s3, s1
	s_xor_b32 s1, exec_lo, s3
                                        ; implicit-def: $vgpr203_vgpr204
	s_cbranch_execz .LBB97_275
; %bb.274:
	v_div_scale_f64 v[201:202], null, v[199:200], v[199:200], v[197:198]
	v_div_scale_f64 v[207:208], vcc_lo, v[197:198], v[199:200], v[197:198]
	v_rcp_f64_e32 v[203:204], v[201:202]
	v_fma_f64 v[205:206], -v[201:202], v[203:204], 1.0
	v_fma_f64 v[203:204], v[203:204], v[205:206], v[203:204]
	v_fma_f64 v[205:206], -v[201:202], v[203:204], 1.0
	v_fma_f64 v[203:204], v[203:204], v[205:206], v[203:204]
	v_mul_f64 v[205:206], v[207:208], v[203:204]
	v_fma_f64 v[201:202], -v[201:202], v[205:206], v[207:208]
	v_div_fmas_f64 v[201:202], v[201:202], v[203:204], v[205:206]
	v_div_fixup_f64 v[201:202], v[201:202], v[199:200], v[197:198]
	v_fma_f64 v[197:198], v[197:198], v[201:202], v[199:200]
	v_div_scale_f64 v[199:200], null, v[197:198], v[197:198], 1.0
	v_rcp_f64_e32 v[203:204], v[199:200]
	v_fma_f64 v[205:206], -v[199:200], v[203:204], 1.0
	v_fma_f64 v[203:204], v[203:204], v[205:206], v[203:204]
	v_fma_f64 v[205:206], -v[199:200], v[203:204], 1.0
	v_fma_f64 v[203:204], v[203:204], v[205:206], v[203:204]
	v_div_scale_f64 v[205:206], vcc_lo, 1.0, v[197:198], 1.0
	v_mul_f64 v[207:208], v[205:206], v[203:204]
	v_fma_f64 v[199:200], -v[199:200], v[207:208], v[205:206]
	v_div_fmas_f64 v[199:200], v[199:200], v[203:204], v[207:208]
	v_div_fixup_f64 v[203:204], v[199:200], v[197:198], 1.0
                                        ; implicit-def: $vgpr197_vgpr198
	v_mul_f64 v[201:202], v[201:202], v[203:204]
	v_xor_b32_e32 v204, 0x80000000, v204
.LBB97_275:
	s_andn2_saveexec_b32 s1, s1
	s_cbranch_execz .LBB97_277
; %bb.276:
	v_div_scale_f64 v[201:202], null, v[197:198], v[197:198], v[199:200]
	v_div_scale_f64 v[207:208], vcc_lo, v[199:200], v[197:198], v[199:200]
	v_rcp_f64_e32 v[203:204], v[201:202]
	v_fma_f64 v[205:206], -v[201:202], v[203:204], 1.0
	v_fma_f64 v[203:204], v[203:204], v[205:206], v[203:204]
	v_fma_f64 v[205:206], -v[201:202], v[203:204], 1.0
	v_fma_f64 v[203:204], v[203:204], v[205:206], v[203:204]
	v_mul_f64 v[205:206], v[207:208], v[203:204]
	v_fma_f64 v[201:202], -v[201:202], v[205:206], v[207:208]
	v_div_fmas_f64 v[201:202], v[201:202], v[203:204], v[205:206]
	v_div_fixup_f64 v[203:204], v[201:202], v[197:198], v[199:200]
	v_fma_f64 v[197:198], v[199:200], v[203:204], v[197:198]
	v_div_scale_f64 v[199:200], null, v[197:198], v[197:198], 1.0
	v_rcp_f64_e32 v[201:202], v[199:200]
	v_fma_f64 v[205:206], -v[199:200], v[201:202], 1.0
	v_fma_f64 v[201:202], v[201:202], v[205:206], v[201:202]
	v_fma_f64 v[205:206], -v[199:200], v[201:202], 1.0
	v_fma_f64 v[201:202], v[201:202], v[205:206], v[201:202]
	v_div_scale_f64 v[205:206], vcc_lo, 1.0, v[197:198], 1.0
	v_mul_f64 v[207:208], v[205:206], v[201:202]
	v_fma_f64 v[199:200], -v[199:200], v[207:208], v[205:206]
	v_div_fmas_f64 v[199:200], v[199:200], v[201:202], v[207:208]
	v_div_fixup_f64 v[201:202], v[199:200], v[197:198], 1.0
	v_mul_f64 v[203:204], v[203:204], -v[201:202]
.LBB97_277:
	s_or_b32 exec_lo, exec_lo, s1
	ds_write2_b64 v255, v[201:202], v[203:204] offset1:1
.LBB97_278:
	s_or_b32 exec_lo, exec_lo, s2
	s_waitcnt lgkmcnt(0)
	s_barrier
	buffer_gl0_inv
	ds_read2_b64 v[197:200], v255 offset1:1
	s_mov_b32 s1, exec_lo
	s_waitcnt lgkmcnt(0)
	buffer_store_dword v197, off, s[16:19], 0 offset:776 ; 4-byte Folded Spill
	buffer_store_dword v198, off, s[16:19], 0 offset:780 ; 4-byte Folded Spill
	buffer_store_dword v199, off, s[16:19], 0 offset:784 ; 4-byte Folded Spill
	buffer_store_dword v200, off, s[16:19], 0 offset:788 ; 4-byte Folded Spill
	v_cmpx_lt_u32_e32 30, v0
	s_cbranch_execz .LBB97_280
; %bb.279:
	s_clause 0x3
	buffer_load_dword v199, off, s[16:19], 0 offset:776
	buffer_load_dword v200, off, s[16:19], 0 offset:780
	;; [unrolled: 1-line block ×4, first 2 shown]
	s_waitcnt vmcnt(0)
	v_mul_f64 v[197:198], v[201:202], v[75:76]
	v_mul_f64 v[75:76], v[199:200], v[75:76]
	v_fma_f64 v[197:198], v[199:200], v[73:74], -v[197:198]
	v_fma_f64 v[75:76], v[201:202], v[73:74], v[75:76]
	ds_read2_b64 v[199:202], v253 offset0:62 offset1:63
	s_waitcnt lgkmcnt(0)
	v_mul_f64 v[73:74], v[201:202], v[75:76]
	v_fma_f64 v[73:74], v[199:200], v[197:198], -v[73:74]
	v_mul_f64 v[199:200], v[199:200], v[75:76]
	v_add_f64 v[69:70], v[69:70], -v[73:74]
	v_fma_f64 v[199:200], v[201:202], v[197:198], v[199:200]
	v_add_f64 v[71:72], v[71:72], -v[199:200]
	ds_read2_b64 v[199:202], v253 offset0:64 offset1:65
	s_waitcnt lgkmcnt(0)
	v_mul_f64 v[73:74], v[201:202], v[75:76]
	v_fma_f64 v[73:74], v[199:200], v[197:198], -v[73:74]
	v_mul_f64 v[199:200], v[199:200], v[75:76]
	v_add_f64 v[65:66], v[65:66], -v[73:74]
	v_fma_f64 v[199:200], v[201:202], v[197:198], v[199:200]
	v_add_f64 v[67:68], v[67:68], -v[199:200]
	;; [unrolled: 8-line block ×17, first 2 shown]
	ds_read2_b64 v[199:202], v253 offset0:96 offset1:97
	s_waitcnt lgkmcnt(0)
	v_mul_f64 v[73:74], v[201:202], v[75:76]
	v_fma_f64 v[73:74], v[199:200], v[197:198], -v[73:74]
	v_mul_f64 v[199:200], v[199:200], v[75:76]
	v_add_f64 v[1:2], v[1:2], -v[73:74]
	v_fma_f64 v[199:200], v[201:202], v[197:198], v[199:200]
	v_mov_b32_e32 v73, v197
	v_mov_b32_e32 v74, v198
	v_add_f64 v[3:4], v[3:4], -v[199:200]
.LBB97_280:
	s_or_b32 exec_lo, exec_lo, s1
	s_mov_b32 s2, exec_lo
	s_waitcnt_vscnt null, 0x0
	s_barrier
	buffer_gl0_inv
	v_cmpx_eq_u32_e32 31, v0
	s_cbranch_execz .LBB97_287
; %bb.281:
	ds_write2_b64 v255, v[69:70], v[71:72] offset1:1
	ds_write2_b64 v253, v[65:66], v[67:68] offset0:64 offset1:65
	ds_write2_b64 v253, v[61:62], v[63:64] offset0:66 offset1:67
	;; [unrolled: 1-line block ×17, first 2 shown]
	ds_read2_b64 v[197:200], v255 offset1:1
	s_waitcnt lgkmcnt(0)
	v_cmp_neq_f64_e32 vcc_lo, 0, v[197:198]
	v_cmp_neq_f64_e64 s1, 0, v[199:200]
	s_or_b32 s1, vcc_lo, s1
	s_and_b32 exec_lo, exec_lo, s1
	s_cbranch_execz .LBB97_287
; %bb.282:
	v_cmp_ngt_f64_e64 s1, |v[197:198]|, |v[199:200]|
                                        ; implicit-def: $vgpr201_vgpr202
	s_and_saveexec_b32 s3, s1
	s_xor_b32 s1, exec_lo, s3
                                        ; implicit-def: $vgpr203_vgpr204
	s_cbranch_execz .LBB97_284
; %bb.283:
	v_div_scale_f64 v[201:202], null, v[199:200], v[199:200], v[197:198]
	v_div_scale_f64 v[207:208], vcc_lo, v[197:198], v[199:200], v[197:198]
	v_rcp_f64_e32 v[203:204], v[201:202]
	v_fma_f64 v[205:206], -v[201:202], v[203:204], 1.0
	v_fma_f64 v[203:204], v[203:204], v[205:206], v[203:204]
	v_fma_f64 v[205:206], -v[201:202], v[203:204], 1.0
	v_fma_f64 v[203:204], v[203:204], v[205:206], v[203:204]
	v_mul_f64 v[205:206], v[207:208], v[203:204]
	v_fma_f64 v[201:202], -v[201:202], v[205:206], v[207:208]
	v_div_fmas_f64 v[201:202], v[201:202], v[203:204], v[205:206]
	v_div_fixup_f64 v[201:202], v[201:202], v[199:200], v[197:198]
	v_fma_f64 v[197:198], v[197:198], v[201:202], v[199:200]
	v_div_scale_f64 v[199:200], null, v[197:198], v[197:198], 1.0
	v_rcp_f64_e32 v[203:204], v[199:200]
	v_fma_f64 v[205:206], -v[199:200], v[203:204], 1.0
	v_fma_f64 v[203:204], v[203:204], v[205:206], v[203:204]
	v_fma_f64 v[205:206], -v[199:200], v[203:204], 1.0
	v_fma_f64 v[203:204], v[203:204], v[205:206], v[203:204]
	v_div_scale_f64 v[205:206], vcc_lo, 1.0, v[197:198], 1.0
	v_mul_f64 v[207:208], v[205:206], v[203:204]
	v_fma_f64 v[199:200], -v[199:200], v[207:208], v[205:206]
	v_div_fmas_f64 v[199:200], v[199:200], v[203:204], v[207:208]
	v_div_fixup_f64 v[203:204], v[199:200], v[197:198], 1.0
                                        ; implicit-def: $vgpr197_vgpr198
	v_mul_f64 v[201:202], v[201:202], v[203:204]
	v_xor_b32_e32 v204, 0x80000000, v204
.LBB97_284:
	s_andn2_saveexec_b32 s1, s1
	s_cbranch_execz .LBB97_286
; %bb.285:
	v_div_scale_f64 v[201:202], null, v[197:198], v[197:198], v[199:200]
	v_div_scale_f64 v[207:208], vcc_lo, v[199:200], v[197:198], v[199:200]
	v_rcp_f64_e32 v[203:204], v[201:202]
	v_fma_f64 v[205:206], -v[201:202], v[203:204], 1.0
	v_fma_f64 v[203:204], v[203:204], v[205:206], v[203:204]
	v_fma_f64 v[205:206], -v[201:202], v[203:204], 1.0
	v_fma_f64 v[203:204], v[203:204], v[205:206], v[203:204]
	v_mul_f64 v[205:206], v[207:208], v[203:204]
	v_fma_f64 v[201:202], -v[201:202], v[205:206], v[207:208]
	v_div_fmas_f64 v[201:202], v[201:202], v[203:204], v[205:206]
	v_div_fixup_f64 v[203:204], v[201:202], v[197:198], v[199:200]
	v_fma_f64 v[197:198], v[199:200], v[203:204], v[197:198]
	v_div_scale_f64 v[199:200], null, v[197:198], v[197:198], 1.0
	v_rcp_f64_e32 v[201:202], v[199:200]
	v_fma_f64 v[205:206], -v[199:200], v[201:202], 1.0
	v_fma_f64 v[201:202], v[201:202], v[205:206], v[201:202]
	v_fma_f64 v[205:206], -v[199:200], v[201:202], 1.0
	v_fma_f64 v[201:202], v[201:202], v[205:206], v[201:202]
	v_div_scale_f64 v[205:206], vcc_lo, 1.0, v[197:198], 1.0
	v_mul_f64 v[207:208], v[205:206], v[201:202]
	v_fma_f64 v[199:200], -v[199:200], v[207:208], v[205:206]
	v_div_fmas_f64 v[199:200], v[199:200], v[201:202], v[207:208]
	v_div_fixup_f64 v[201:202], v[199:200], v[197:198], 1.0
	v_mul_f64 v[203:204], v[203:204], -v[201:202]
.LBB97_286:
	s_or_b32 exec_lo, exec_lo, s1
	ds_write2_b64 v255, v[201:202], v[203:204] offset1:1
.LBB97_287:
	s_or_b32 exec_lo, exec_lo, s2
	s_waitcnt lgkmcnt(0)
	s_barrier
	buffer_gl0_inv
	ds_read2_b64 v[197:200], v255 offset1:1
	s_mov_b32 s1, exec_lo
	s_waitcnt lgkmcnt(0)
	buffer_store_dword v197, off, s[16:19], 0 offset:792 ; 4-byte Folded Spill
	buffer_store_dword v198, off, s[16:19], 0 offset:796 ; 4-byte Folded Spill
	buffer_store_dword v199, off, s[16:19], 0 offset:800 ; 4-byte Folded Spill
	buffer_store_dword v200, off, s[16:19], 0 offset:804 ; 4-byte Folded Spill
	v_cmpx_lt_u32_e32 31, v0
	s_cbranch_execz .LBB97_289
; %bb.288:
	s_clause 0x3
	buffer_load_dword v199, off, s[16:19], 0 offset:792
	buffer_load_dword v200, off, s[16:19], 0 offset:796
	;; [unrolled: 1-line block ×4, first 2 shown]
	s_waitcnt vmcnt(0)
	v_mul_f64 v[197:198], v[201:202], v[71:72]
	v_mul_f64 v[71:72], v[199:200], v[71:72]
	v_fma_f64 v[197:198], v[199:200], v[69:70], -v[197:198]
	v_fma_f64 v[71:72], v[201:202], v[69:70], v[71:72]
	ds_read2_b64 v[199:202], v253 offset0:64 offset1:65
	s_waitcnt lgkmcnt(0)
	v_mul_f64 v[69:70], v[201:202], v[71:72]
	v_fma_f64 v[69:70], v[199:200], v[197:198], -v[69:70]
	v_mul_f64 v[199:200], v[199:200], v[71:72]
	v_add_f64 v[65:66], v[65:66], -v[69:70]
	v_fma_f64 v[199:200], v[201:202], v[197:198], v[199:200]
	v_add_f64 v[67:68], v[67:68], -v[199:200]
	ds_read2_b64 v[199:202], v253 offset0:66 offset1:67
	s_waitcnt lgkmcnt(0)
	v_mul_f64 v[69:70], v[201:202], v[71:72]
	v_fma_f64 v[69:70], v[199:200], v[197:198], -v[69:70]
	v_mul_f64 v[199:200], v[199:200], v[71:72]
	v_add_f64 v[61:62], v[61:62], -v[69:70]
	v_fma_f64 v[199:200], v[201:202], v[197:198], v[199:200]
	v_add_f64 v[63:64], v[63:64], -v[199:200]
	;; [unrolled: 8-line block ×16, first 2 shown]
	ds_read2_b64 v[199:202], v253 offset0:96 offset1:97
	s_waitcnt lgkmcnt(0)
	v_mul_f64 v[69:70], v[201:202], v[71:72]
	v_fma_f64 v[69:70], v[199:200], v[197:198], -v[69:70]
	v_mul_f64 v[199:200], v[199:200], v[71:72]
	v_add_f64 v[1:2], v[1:2], -v[69:70]
	v_fma_f64 v[199:200], v[201:202], v[197:198], v[199:200]
	v_mov_b32_e32 v69, v197
	v_mov_b32_e32 v70, v198
	v_add_f64 v[3:4], v[3:4], -v[199:200]
.LBB97_289:
	s_or_b32 exec_lo, exec_lo, s1
	s_mov_b32 s2, exec_lo
	s_waitcnt_vscnt null, 0x0
	s_barrier
	buffer_gl0_inv
	v_cmpx_eq_u32_e32 32, v0
	s_cbranch_execz .LBB97_296
; %bb.290:
	ds_write2_b64 v255, v[65:66], v[67:68] offset1:1
	ds_write2_b64 v253, v[61:62], v[63:64] offset0:66 offset1:67
	ds_write2_b64 v253, v[57:58], v[59:60] offset0:68 offset1:69
	;; [unrolled: 1-line block ×16, first 2 shown]
	ds_read2_b64 v[197:200], v255 offset1:1
	s_waitcnt lgkmcnt(0)
	v_cmp_neq_f64_e32 vcc_lo, 0, v[197:198]
	v_cmp_neq_f64_e64 s1, 0, v[199:200]
	s_or_b32 s1, vcc_lo, s1
	s_and_b32 exec_lo, exec_lo, s1
	s_cbranch_execz .LBB97_296
; %bb.291:
	v_cmp_ngt_f64_e64 s1, |v[197:198]|, |v[199:200]|
                                        ; implicit-def: $vgpr201_vgpr202
	s_and_saveexec_b32 s3, s1
	s_xor_b32 s1, exec_lo, s3
                                        ; implicit-def: $vgpr203_vgpr204
	s_cbranch_execz .LBB97_293
; %bb.292:
	v_div_scale_f64 v[201:202], null, v[199:200], v[199:200], v[197:198]
	v_div_scale_f64 v[207:208], vcc_lo, v[197:198], v[199:200], v[197:198]
	v_rcp_f64_e32 v[203:204], v[201:202]
	v_fma_f64 v[205:206], -v[201:202], v[203:204], 1.0
	v_fma_f64 v[203:204], v[203:204], v[205:206], v[203:204]
	v_fma_f64 v[205:206], -v[201:202], v[203:204], 1.0
	v_fma_f64 v[203:204], v[203:204], v[205:206], v[203:204]
	v_mul_f64 v[205:206], v[207:208], v[203:204]
	v_fma_f64 v[201:202], -v[201:202], v[205:206], v[207:208]
	v_div_fmas_f64 v[201:202], v[201:202], v[203:204], v[205:206]
	v_div_fixup_f64 v[201:202], v[201:202], v[199:200], v[197:198]
	v_fma_f64 v[197:198], v[197:198], v[201:202], v[199:200]
	v_div_scale_f64 v[199:200], null, v[197:198], v[197:198], 1.0
	v_rcp_f64_e32 v[203:204], v[199:200]
	v_fma_f64 v[205:206], -v[199:200], v[203:204], 1.0
	v_fma_f64 v[203:204], v[203:204], v[205:206], v[203:204]
	v_fma_f64 v[205:206], -v[199:200], v[203:204], 1.0
	v_fma_f64 v[203:204], v[203:204], v[205:206], v[203:204]
	v_div_scale_f64 v[205:206], vcc_lo, 1.0, v[197:198], 1.0
	v_mul_f64 v[207:208], v[205:206], v[203:204]
	v_fma_f64 v[199:200], -v[199:200], v[207:208], v[205:206]
	v_div_fmas_f64 v[199:200], v[199:200], v[203:204], v[207:208]
	v_div_fixup_f64 v[203:204], v[199:200], v[197:198], 1.0
                                        ; implicit-def: $vgpr197_vgpr198
	v_mul_f64 v[201:202], v[201:202], v[203:204]
	v_xor_b32_e32 v204, 0x80000000, v204
.LBB97_293:
	s_andn2_saveexec_b32 s1, s1
	s_cbranch_execz .LBB97_295
; %bb.294:
	v_div_scale_f64 v[201:202], null, v[197:198], v[197:198], v[199:200]
	v_div_scale_f64 v[207:208], vcc_lo, v[199:200], v[197:198], v[199:200]
	v_rcp_f64_e32 v[203:204], v[201:202]
	v_fma_f64 v[205:206], -v[201:202], v[203:204], 1.0
	v_fma_f64 v[203:204], v[203:204], v[205:206], v[203:204]
	v_fma_f64 v[205:206], -v[201:202], v[203:204], 1.0
	v_fma_f64 v[203:204], v[203:204], v[205:206], v[203:204]
	v_mul_f64 v[205:206], v[207:208], v[203:204]
	v_fma_f64 v[201:202], -v[201:202], v[205:206], v[207:208]
	v_div_fmas_f64 v[201:202], v[201:202], v[203:204], v[205:206]
	v_div_fixup_f64 v[203:204], v[201:202], v[197:198], v[199:200]
	v_fma_f64 v[197:198], v[199:200], v[203:204], v[197:198]
	v_div_scale_f64 v[199:200], null, v[197:198], v[197:198], 1.0
	v_rcp_f64_e32 v[201:202], v[199:200]
	v_fma_f64 v[205:206], -v[199:200], v[201:202], 1.0
	v_fma_f64 v[201:202], v[201:202], v[205:206], v[201:202]
	v_fma_f64 v[205:206], -v[199:200], v[201:202], 1.0
	v_fma_f64 v[201:202], v[201:202], v[205:206], v[201:202]
	v_div_scale_f64 v[205:206], vcc_lo, 1.0, v[197:198], 1.0
	v_mul_f64 v[207:208], v[205:206], v[201:202]
	v_fma_f64 v[199:200], -v[199:200], v[207:208], v[205:206]
	v_div_fmas_f64 v[199:200], v[199:200], v[201:202], v[207:208]
	v_div_fixup_f64 v[201:202], v[199:200], v[197:198], 1.0
	v_mul_f64 v[203:204], v[203:204], -v[201:202]
.LBB97_295:
	s_or_b32 exec_lo, exec_lo, s1
	ds_write2_b64 v255, v[201:202], v[203:204] offset1:1
.LBB97_296:
	s_or_b32 exec_lo, exec_lo, s2
	s_waitcnt lgkmcnt(0)
	s_barrier
	buffer_gl0_inv
	ds_read2_b64 v[197:200], v255 offset1:1
	s_mov_b32 s1, exec_lo
	s_waitcnt lgkmcnt(0)
	buffer_store_dword v197, off, s[16:19], 0 offset:808 ; 4-byte Folded Spill
	buffer_store_dword v198, off, s[16:19], 0 offset:812 ; 4-byte Folded Spill
	;; [unrolled: 1-line block ×4, first 2 shown]
	v_cmpx_lt_u32_e32 32, v0
	s_cbranch_execz .LBB97_298
; %bb.297:
	s_clause 0x3
	buffer_load_dword v199, off, s[16:19], 0 offset:808
	buffer_load_dword v200, off, s[16:19], 0 offset:812
	;; [unrolled: 1-line block ×4, first 2 shown]
	s_waitcnt vmcnt(2)
	v_mul_f64 v[197:198], v[199:200], v[67:68]
	s_waitcnt vmcnt(0)
	v_mul_f64 v[67:68], v[201:202], v[67:68]
	v_fma_f64 v[197:198], v[201:202], v[65:66], v[197:198]
	v_fma_f64 v[65:66], v[199:200], v[65:66], -v[67:68]
	ds_read2_b64 v[199:202], v253 offset0:66 offset1:67
	s_waitcnt lgkmcnt(0)
	v_mul_f64 v[67:68], v[201:202], v[197:198]
	v_fma_f64 v[67:68], v[199:200], v[65:66], -v[67:68]
	v_mul_f64 v[199:200], v[199:200], v[197:198]
	v_add_f64 v[61:62], v[61:62], -v[67:68]
	v_fma_f64 v[199:200], v[201:202], v[65:66], v[199:200]
	v_add_f64 v[63:64], v[63:64], -v[199:200]
	ds_read2_b64 v[199:202], v253 offset0:68 offset1:69
	s_waitcnt lgkmcnt(0)
	v_mul_f64 v[67:68], v[201:202], v[197:198]
	v_fma_f64 v[67:68], v[199:200], v[65:66], -v[67:68]
	v_mul_f64 v[199:200], v[199:200], v[197:198]
	v_add_f64 v[57:58], v[57:58], -v[67:68]
	v_fma_f64 v[199:200], v[201:202], v[65:66], v[199:200]
	v_add_f64 v[59:60], v[59:60], -v[199:200]
	;; [unrolled: 8-line block ×15, first 2 shown]
	ds_read2_b64 v[199:202], v253 offset0:96 offset1:97
	s_waitcnt lgkmcnt(0)
	v_mul_f64 v[67:68], v[201:202], v[197:198]
	v_fma_f64 v[67:68], v[199:200], v[65:66], -v[67:68]
	v_mul_f64 v[199:200], v[199:200], v[197:198]
	v_add_f64 v[1:2], v[1:2], -v[67:68]
	v_fma_f64 v[199:200], v[201:202], v[65:66], v[199:200]
	v_mov_b32_e32 v67, v197
	v_mov_b32_e32 v68, v198
	v_add_f64 v[3:4], v[3:4], -v[199:200]
.LBB97_298:
	s_or_b32 exec_lo, exec_lo, s1
	s_mov_b32 s2, exec_lo
	s_waitcnt_vscnt null, 0x0
	s_barrier
	buffer_gl0_inv
	v_cmpx_eq_u32_e32 33, v0
	s_cbranch_execz .LBB97_305
; %bb.299:
	ds_write2_b64 v255, v[61:62], v[63:64] offset1:1
	ds_write2_b64 v253, v[57:58], v[59:60] offset0:68 offset1:69
	ds_write2_b64 v253, v[53:54], v[55:56] offset0:70 offset1:71
	;; [unrolled: 1-line block ×15, first 2 shown]
	ds_read2_b64 v[197:200], v255 offset1:1
	s_waitcnt lgkmcnt(0)
	v_cmp_neq_f64_e32 vcc_lo, 0, v[197:198]
	v_cmp_neq_f64_e64 s1, 0, v[199:200]
	s_or_b32 s1, vcc_lo, s1
	s_and_b32 exec_lo, exec_lo, s1
	s_cbranch_execz .LBB97_305
; %bb.300:
	v_cmp_ngt_f64_e64 s1, |v[197:198]|, |v[199:200]|
                                        ; implicit-def: $vgpr201_vgpr202
	s_and_saveexec_b32 s3, s1
	s_xor_b32 s1, exec_lo, s3
                                        ; implicit-def: $vgpr203_vgpr204
	s_cbranch_execz .LBB97_302
; %bb.301:
	v_div_scale_f64 v[201:202], null, v[199:200], v[199:200], v[197:198]
	v_div_scale_f64 v[207:208], vcc_lo, v[197:198], v[199:200], v[197:198]
	v_rcp_f64_e32 v[203:204], v[201:202]
	v_fma_f64 v[205:206], -v[201:202], v[203:204], 1.0
	v_fma_f64 v[203:204], v[203:204], v[205:206], v[203:204]
	v_fma_f64 v[205:206], -v[201:202], v[203:204], 1.0
	v_fma_f64 v[203:204], v[203:204], v[205:206], v[203:204]
	v_mul_f64 v[205:206], v[207:208], v[203:204]
	v_fma_f64 v[201:202], -v[201:202], v[205:206], v[207:208]
	v_div_fmas_f64 v[201:202], v[201:202], v[203:204], v[205:206]
	v_div_fixup_f64 v[201:202], v[201:202], v[199:200], v[197:198]
	v_fma_f64 v[197:198], v[197:198], v[201:202], v[199:200]
	v_div_scale_f64 v[199:200], null, v[197:198], v[197:198], 1.0
	v_rcp_f64_e32 v[203:204], v[199:200]
	v_fma_f64 v[205:206], -v[199:200], v[203:204], 1.0
	v_fma_f64 v[203:204], v[203:204], v[205:206], v[203:204]
	v_fma_f64 v[205:206], -v[199:200], v[203:204], 1.0
	v_fma_f64 v[203:204], v[203:204], v[205:206], v[203:204]
	v_div_scale_f64 v[205:206], vcc_lo, 1.0, v[197:198], 1.0
	v_mul_f64 v[207:208], v[205:206], v[203:204]
	v_fma_f64 v[199:200], -v[199:200], v[207:208], v[205:206]
	v_div_fmas_f64 v[199:200], v[199:200], v[203:204], v[207:208]
	v_div_fixup_f64 v[203:204], v[199:200], v[197:198], 1.0
                                        ; implicit-def: $vgpr197_vgpr198
	v_mul_f64 v[201:202], v[201:202], v[203:204]
	v_xor_b32_e32 v204, 0x80000000, v204
.LBB97_302:
	s_andn2_saveexec_b32 s1, s1
	s_cbranch_execz .LBB97_304
; %bb.303:
	v_div_scale_f64 v[201:202], null, v[197:198], v[197:198], v[199:200]
	v_div_scale_f64 v[207:208], vcc_lo, v[199:200], v[197:198], v[199:200]
	v_rcp_f64_e32 v[203:204], v[201:202]
	v_fma_f64 v[205:206], -v[201:202], v[203:204], 1.0
	v_fma_f64 v[203:204], v[203:204], v[205:206], v[203:204]
	v_fma_f64 v[205:206], -v[201:202], v[203:204], 1.0
	v_fma_f64 v[203:204], v[203:204], v[205:206], v[203:204]
	v_mul_f64 v[205:206], v[207:208], v[203:204]
	v_fma_f64 v[201:202], -v[201:202], v[205:206], v[207:208]
	v_div_fmas_f64 v[201:202], v[201:202], v[203:204], v[205:206]
	v_div_fixup_f64 v[203:204], v[201:202], v[197:198], v[199:200]
	v_fma_f64 v[197:198], v[199:200], v[203:204], v[197:198]
	v_div_scale_f64 v[199:200], null, v[197:198], v[197:198], 1.0
	v_rcp_f64_e32 v[201:202], v[199:200]
	v_fma_f64 v[205:206], -v[199:200], v[201:202], 1.0
	v_fma_f64 v[201:202], v[201:202], v[205:206], v[201:202]
	v_fma_f64 v[205:206], -v[199:200], v[201:202], 1.0
	v_fma_f64 v[201:202], v[201:202], v[205:206], v[201:202]
	v_div_scale_f64 v[205:206], vcc_lo, 1.0, v[197:198], 1.0
	v_mul_f64 v[207:208], v[205:206], v[201:202]
	v_fma_f64 v[199:200], -v[199:200], v[207:208], v[205:206]
	v_div_fmas_f64 v[199:200], v[199:200], v[201:202], v[207:208]
	v_div_fixup_f64 v[201:202], v[199:200], v[197:198], 1.0
	v_mul_f64 v[203:204], v[203:204], -v[201:202]
.LBB97_304:
	s_or_b32 exec_lo, exec_lo, s1
	ds_write2_b64 v255, v[201:202], v[203:204] offset1:1
.LBB97_305:
	s_or_b32 exec_lo, exec_lo, s2
	s_waitcnt lgkmcnt(0)
	s_barrier
	buffer_gl0_inv
	ds_read2_b64 v[197:200], v255 offset1:1
	s_mov_b32 s1, exec_lo
	s_waitcnt lgkmcnt(0)
	buffer_store_dword v197, off, s[16:19], 0 offset:824 ; 4-byte Folded Spill
	buffer_store_dword v198, off, s[16:19], 0 offset:828 ; 4-byte Folded Spill
	buffer_store_dword v199, off, s[16:19], 0 offset:832 ; 4-byte Folded Spill
	buffer_store_dword v200, off, s[16:19], 0 offset:836 ; 4-byte Folded Spill
	v_cmpx_lt_u32_e32 33, v0
	s_cbranch_execz .LBB97_307
; %bb.306:
	s_clause 0x3
	buffer_load_dword v199, off, s[16:19], 0 offset:824
	buffer_load_dword v200, off, s[16:19], 0 offset:828
	;; [unrolled: 1-line block ×4, first 2 shown]
	s_waitcnt vmcnt(2)
	v_mul_f64 v[197:198], v[199:200], v[63:64]
	s_waitcnt vmcnt(0)
	v_mul_f64 v[63:64], v[201:202], v[63:64]
	v_fma_f64 v[197:198], v[201:202], v[61:62], v[197:198]
	v_fma_f64 v[61:62], v[199:200], v[61:62], -v[63:64]
	ds_read2_b64 v[199:202], v253 offset0:68 offset1:69
	s_waitcnt lgkmcnt(0)
	v_mul_f64 v[63:64], v[201:202], v[197:198]
	v_fma_f64 v[63:64], v[199:200], v[61:62], -v[63:64]
	v_mul_f64 v[199:200], v[199:200], v[197:198]
	v_add_f64 v[57:58], v[57:58], -v[63:64]
	v_fma_f64 v[199:200], v[201:202], v[61:62], v[199:200]
	v_add_f64 v[59:60], v[59:60], -v[199:200]
	ds_read2_b64 v[199:202], v253 offset0:70 offset1:71
	s_waitcnt lgkmcnt(0)
	v_mul_f64 v[63:64], v[201:202], v[197:198]
	v_fma_f64 v[63:64], v[199:200], v[61:62], -v[63:64]
	v_mul_f64 v[199:200], v[199:200], v[197:198]
	v_add_f64 v[53:54], v[53:54], -v[63:64]
	v_fma_f64 v[199:200], v[201:202], v[61:62], v[199:200]
	v_add_f64 v[55:56], v[55:56], -v[199:200]
	;; [unrolled: 8-line block ×14, first 2 shown]
	ds_read2_b64 v[199:202], v253 offset0:96 offset1:97
	s_waitcnt lgkmcnt(0)
	v_mul_f64 v[63:64], v[201:202], v[197:198]
	v_fma_f64 v[63:64], v[199:200], v[61:62], -v[63:64]
	v_mul_f64 v[199:200], v[199:200], v[197:198]
	v_add_f64 v[1:2], v[1:2], -v[63:64]
	v_fma_f64 v[199:200], v[201:202], v[61:62], v[199:200]
	v_mov_b32_e32 v63, v197
	v_mov_b32_e32 v64, v198
	v_add_f64 v[3:4], v[3:4], -v[199:200]
.LBB97_307:
	s_or_b32 exec_lo, exec_lo, s1
	s_mov_b32 s2, exec_lo
	s_waitcnt_vscnt null, 0x0
	s_barrier
	buffer_gl0_inv
	v_cmpx_eq_u32_e32 34, v0
	s_cbranch_execz .LBB97_314
; %bb.308:
	ds_write2_b64 v255, v[57:58], v[59:60] offset1:1
	ds_write2_b64 v253, v[53:54], v[55:56] offset0:70 offset1:71
	ds_write2_b64 v253, v[49:50], v[51:52] offset0:72 offset1:73
	;; [unrolled: 1-line block ×14, first 2 shown]
	ds_read2_b64 v[197:200], v255 offset1:1
	s_waitcnt lgkmcnt(0)
	v_cmp_neq_f64_e32 vcc_lo, 0, v[197:198]
	v_cmp_neq_f64_e64 s1, 0, v[199:200]
	s_or_b32 s1, vcc_lo, s1
	s_and_b32 exec_lo, exec_lo, s1
	s_cbranch_execz .LBB97_314
; %bb.309:
	v_cmp_ngt_f64_e64 s1, |v[197:198]|, |v[199:200]|
                                        ; implicit-def: $vgpr201_vgpr202
	s_and_saveexec_b32 s3, s1
	s_xor_b32 s1, exec_lo, s3
                                        ; implicit-def: $vgpr203_vgpr204
	s_cbranch_execz .LBB97_311
; %bb.310:
	v_div_scale_f64 v[201:202], null, v[199:200], v[199:200], v[197:198]
	v_div_scale_f64 v[207:208], vcc_lo, v[197:198], v[199:200], v[197:198]
	v_rcp_f64_e32 v[203:204], v[201:202]
	v_fma_f64 v[205:206], -v[201:202], v[203:204], 1.0
	v_fma_f64 v[203:204], v[203:204], v[205:206], v[203:204]
	v_fma_f64 v[205:206], -v[201:202], v[203:204], 1.0
	v_fma_f64 v[203:204], v[203:204], v[205:206], v[203:204]
	v_mul_f64 v[205:206], v[207:208], v[203:204]
	v_fma_f64 v[201:202], -v[201:202], v[205:206], v[207:208]
	v_div_fmas_f64 v[201:202], v[201:202], v[203:204], v[205:206]
	v_div_fixup_f64 v[201:202], v[201:202], v[199:200], v[197:198]
	v_fma_f64 v[197:198], v[197:198], v[201:202], v[199:200]
	v_div_scale_f64 v[199:200], null, v[197:198], v[197:198], 1.0
	v_rcp_f64_e32 v[203:204], v[199:200]
	v_fma_f64 v[205:206], -v[199:200], v[203:204], 1.0
	v_fma_f64 v[203:204], v[203:204], v[205:206], v[203:204]
	v_fma_f64 v[205:206], -v[199:200], v[203:204], 1.0
	v_fma_f64 v[203:204], v[203:204], v[205:206], v[203:204]
	v_div_scale_f64 v[205:206], vcc_lo, 1.0, v[197:198], 1.0
	v_mul_f64 v[207:208], v[205:206], v[203:204]
	v_fma_f64 v[199:200], -v[199:200], v[207:208], v[205:206]
	v_div_fmas_f64 v[199:200], v[199:200], v[203:204], v[207:208]
	v_div_fixup_f64 v[203:204], v[199:200], v[197:198], 1.0
                                        ; implicit-def: $vgpr197_vgpr198
	v_mul_f64 v[201:202], v[201:202], v[203:204]
	v_xor_b32_e32 v204, 0x80000000, v204
.LBB97_311:
	s_andn2_saveexec_b32 s1, s1
	s_cbranch_execz .LBB97_313
; %bb.312:
	v_div_scale_f64 v[201:202], null, v[197:198], v[197:198], v[199:200]
	v_div_scale_f64 v[207:208], vcc_lo, v[199:200], v[197:198], v[199:200]
	v_rcp_f64_e32 v[203:204], v[201:202]
	v_fma_f64 v[205:206], -v[201:202], v[203:204], 1.0
	v_fma_f64 v[203:204], v[203:204], v[205:206], v[203:204]
	v_fma_f64 v[205:206], -v[201:202], v[203:204], 1.0
	v_fma_f64 v[203:204], v[203:204], v[205:206], v[203:204]
	v_mul_f64 v[205:206], v[207:208], v[203:204]
	v_fma_f64 v[201:202], -v[201:202], v[205:206], v[207:208]
	v_div_fmas_f64 v[201:202], v[201:202], v[203:204], v[205:206]
	v_div_fixup_f64 v[203:204], v[201:202], v[197:198], v[199:200]
	v_fma_f64 v[197:198], v[199:200], v[203:204], v[197:198]
	v_div_scale_f64 v[199:200], null, v[197:198], v[197:198], 1.0
	v_rcp_f64_e32 v[201:202], v[199:200]
	v_fma_f64 v[205:206], -v[199:200], v[201:202], 1.0
	v_fma_f64 v[201:202], v[201:202], v[205:206], v[201:202]
	v_fma_f64 v[205:206], -v[199:200], v[201:202], 1.0
	v_fma_f64 v[201:202], v[201:202], v[205:206], v[201:202]
	v_div_scale_f64 v[205:206], vcc_lo, 1.0, v[197:198], 1.0
	v_mul_f64 v[207:208], v[205:206], v[201:202]
	v_fma_f64 v[199:200], -v[199:200], v[207:208], v[205:206]
	v_div_fmas_f64 v[199:200], v[199:200], v[201:202], v[207:208]
	v_div_fixup_f64 v[201:202], v[199:200], v[197:198], 1.0
	v_mul_f64 v[203:204], v[203:204], -v[201:202]
.LBB97_313:
	s_or_b32 exec_lo, exec_lo, s1
	ds_write2_b64 v255, v[201:202], v[203:204] offset1:1
.LBB97_314:
	s_or_b32 exec_lo, exec_lo, s2
	s_waitcnt lgkmcnt(0)
	s_barrier
	buffer_gl0_inv
	ds_read2_b64 v[197:200], v255 offset1:1
	s_mov_b32 s1, exec_lo
	s_waitcnt lgkmcnt(0)
	buffer_store_dword v197, off, s[16:19], 0 offset:840 ; 4-byte Folded Spill
	buffer_store_dword v198, off, s[16:19], 0 offset:844 ; 4-byte Folded Spill
	;; [unrolled: 1-line block ×4, first 2 shown]
	v_cmpx_lt_u32_e32 34, v0
	s_cbranch_execz .LBB97_316
; %bb.315:
	s_clause 0x3
	buffer_load_dword v199, off, s[16:19], 0 offset:840
	buffer_load_dword v200, off, s[16:19], 0 offset:844
	;; [unrolled: 1-line block ×4, first 2 shown]
	s_waitcnt vmcnt(2)
	v_mul_f64 v[197:198], v[199:200], v[59:60]
	s_waitcnt vmcnt(0)
	v_mul_f64 v[59:60], v[201:202], v[59:60]
	v_fma_f64 v[197:198], v[201:202], v[57:58], v[197:198]
	v_fma_f64 v[57:58], v[199:200], v[57:58], -v[59:60]
	ds_read2_b64 v[199:202], v253 offset0:70 offset1:71
	s_waitcnt lgkmcnt(0)
	v_mul_f64 v[59:60], v[201:202], v[197:198]
	v_fma_f64 v[59:60], v[199:200], v[57:58], -v[59:60]
	v_mul_f64 v[199:200], v[199:200], v[197:198]
	v_add_f64 v[53:54], v[53:54], -v[59:60]
	v_fma_f64 v[199:200], v[201:202], v[57:58], v[199:200]
	v_add_f64 v[55:56], v[55:56], -v[199:200]
	ds_read2_b64 v[199:202], v253 offset0:72 offset1:73
	s_waitcnt lgkmcnt(0)
	v_mul_f64 v[59:60], v[201:202], v[197:198]
	v_fma_f64 v[59:60], v[199:200], v[57:58], -v[59:60]
	v_mul_f64 v[199:200], v[199:200], v[197:198]
	v_add_f64 v[49:50], v[49:50], -v[59:60]
	v_fma_f64 v[199:200], v[201:202], v[57:58], v[199:200]
	v_add_f64 v[51:52], v[51:52], -v[199:200]
	;; [unrolled: 8-line block ×13, first 2 shown]
	ds_read2_b64 v[199:202], v253 offset0:96 offset1:97
	s_waitcnt lgkmcnt(0)
	v_mul_f64 v[59:60], v[201:202], v[197:198]
	v_fma_f64 v[59:60], v[199:200], v[57:58], -v[59:60]
	v_mul_f64 v[199:200], v[199:200], v[197:198]
	v_add_f64 v[1:2], v[1:2], -v[59:60]
	v_fma_f64 v[199:200], v[201:202], v[57:58], v[199:200]
	v_mov_b32_e32 v59, v197
	v_mov_b32_e32 v60, v198
	v_add_f64 v[3:4], v[3:4], -v[199:200]
.LBB97_316:
	s_or_b32 exec_lo, exec_lo, s1
	s_mov_b32 s2, exec_lo
	s_waitcnt_vscnt null, 0x0
	s_barrier
	buffer_gl0_inv
	v_cmpx_eq_u32_e32 35, v0
	s_cbranch_execz .LBB97_323
; %bb.317:
	ds_write2_b64 v255, v[53:54], v[55:56] offset1:1
	ds_write2_b64 v253, v[49:50], v[51:52] offset0:72 offset1:73
	ds_write2_b64 v253, v[45:46], v[47:48] offset0:74 offset1:75
	;; [unrolled: 1-line block ×13, first 2 shown]
	ds_read2_b64 v[197:200], v255 offset1:1
	s_waitcnt lgkmcnt(0)
	v_cmp_neq_f64_e32 vcc_lo, 0, v[197:198]
	v_cmp_neq_f64_e64 s1, 0, v[199:200]
	s_or_b32 s1, vcc_lo, s1
	s_and_b32 exec_lo, exec_lo, s1
	s_cbranch_execz .LBB97_323
; %bb.318:
	v_cmp_ngt_f64_e64 s1, |v[197:198]|, |v[199:200]|
                                        ; implicit-def: $vgpr201_vgpr202
	s_and_saveexec_b32 s3, s1
	s_xor_b32 s1, exec_lo, s3
                                        ; implicit-def: $vgpr203_vgpr204
	s_cbranch_execz .LBB97_320
; %bb.319:
	v_div_scale_f64 v[201:202], null, v[199:200], v[199:200], v[197:198]
	v_div_scale_f64 v[207:208], vcc_lo, v[197:198], v[199:200], v[197:198]
	v_rcp_f64_e32 v[203:204], v[201:202]
	v_fma_f64 v[205:206], -v[201:202], v[203:204], 1.0
	v_fma_f64 v[203:204], v[203:204], v[205:206], v[203:204]
	v_fma_f64 v[205:206], -v[201:202], v[203:204], 1.0
	v_fma_f64 v[203:204], v[203:204], v[205:206], v[203:204]
	v_mul_f64 v[205:206], v[207:208], v[203:204]
	v_fma_f64 v[201:202], -v[201:202], v[205:206], v[207:208]
	v_div_fmas_f64 v[201:202], v[201:202], v[203:204], v[205:206]
	v_div_fixup_f64 v[201:202], v[201:202], v[199:200], v[197:198]
	v_fma_f64 v[197:198], v[197:198], v[201:202], v[199:200]
	v_div_scale_f64 v[199:200], null, v[197:198], v[197:198], 1.0
	v_rcp_f64_e32 v[203:204], v[199:200]
	v_fma_f64 v[205:206], -v[199:200], v[203:204], 1.0
	v_fma_f64 v[203:204], v[203:204], v[205:206], v[203:204]
	v_fma_f64 v[205:206], -v[199:200], v[203:204], 1.0
	v_fma_f64 v[203:204], v[203:204], v[205:206], v[203:204]
	v_div_scale_f64 v[205:206], vcc_lo, 1.0, v[197:198], 1.0
	v_mul_f64 v[207:208], v[205:206], v[203:204]
	v_fma_f64 v[199:200], -v[199:200], v[207:208], v[205:206]
	v_div_fmas_f64 v[199:200], v[199:200], v[203:204], v[207:208]
	v_div_fixup_f64 v[203:204], v[199:200], v[197:198], 1.0
                                        ; implicit-def: $vgpr197_vgpr198
	v_mul_f64 v[201:202], v[201:202], v[203:204]
	v_xor_b32_e32 v204, 0x80000000, v204
.LBB97_320:
	s_andn2_saveexec_b32 s1, s1
	s_cbranch_execz .LBB97_322
; %bb.321:
	v_div_scale_f64 v[201:202], null, v[197:198], v[197:198], v[199:200]
	v_div_scale_f64 v[207:208], vcc_lo, v[199:200], v[197:198], v[199:200]
	v_rcp_f64_e32 v[203:204], v[201:202]
	v_fma_f64 v[205:206], -v[201:202], v[203:204], 1.0
	v_fma_f64 v[203:204], v[203:204], v[205:206], v[203:204]
	v_fma_f64 v[205:206], -v[201:202], v[203:204], 1.0
	v_fma_f64 v[203:204], v[203:204], v[205:206], v[203:204]
	v_mul_f64 v[205:206], v[207:208], v[203:204]
	v_fma_f64 v[201:202], -v[201:202], v[205:206], v[207:208]
	v_div_fmas_f64 v[201:202], v[201:202], v[203:204], v[205:206]
	v_div_fixup_f64 v[203:204], v[201:202], v[197:198], v[199:200]
	v_fma_f64 v[197:198], v[199:200], v[203:204], v[197:198]
	v_div_scale_f64 v[199:200], null, v[197:198], v[197:198], 1.0
	v_rcp_f64_e32 v[201:202], v[199:200]
	v_fma_f64 v[205:206], -v[199:200], v[201:202], 1.0
	v_fma_f64 v[201:202], v[201:202], v[205:206], v[201:202]
	v_fma_f64 v[205:206], -v[199:200], v[201:202], 1.0
	v_fma_f64 v[201:202], v[201:202], v[205:206], v[201:202]
	v_div_scale_f64 v[205:206], vcc_lo, 1.0, v[197:198], 1.0
	v_mul_f64 v[207:208], v[205:206], v[201:202]
	v_fma_f64 v[199:200], -v[199:200], v[207:208], v[205:206]
	v_div_fmas_f64 v[199:200], v[199:200], v[201:202], v[207:208]
	v_div_fixup_f64 v[201:202], v[199:200], v[197:198], 1.0
	v_mul_f64 v[203:204], v[203:204], -v[201:202]
.LBB97_322:
	s_or_b32 exec_lo, exec_lo, s1
	ds_write2_b64 v255, v[201:202], v[203:204] offset1:1
.LBB97_323:
	s_or_b32 exec_lo, exec_lo, s2
	s_waitcnt lgkmcnt(0)
	s_barrier
	buffer_gl0_inv
	ds_read2_b64 v[197:200], v255 offset1:1
	s_mov_b32 s1, exec_lo
	s_waitcnt lgkmcnt(0)
	buffer_store_dword v197, off, s[16:19], 0 offset:856 ; 4-byte Folded Spill
	buffer_store_dword v198, off, s[16:19], 0 offset:860 ; 4-byte Folded Spill
	;; [unrolled: 1-line block ×4, first 2 shown]
	v_cmpx_lt_u32_e32 35, v0
	s_cbranch_execz .LBB97_325
; %bb.324:
	s_clause 0x3
	buffer_load_dword v199, off, s[16:19], 0 offset:856
	buffer_load_dword v200, off, s[16:19], 0 offset:860
	;; [unrolled: 1-line block ×4, first 2 shown]
	s_waitcnt vmcnt(2)
	v_mul_f64 v[197:198], v[199:200], v[55:56]
	s_waitcnt vmcnt(0)
	v_mul_f64 v[55:56], v[201:202], v[55:56]
	v_fma_f64 v[197:198], v[201:202], v[53:54], v[197:198]
	v_fma_f64 v[53:54], v[199:200], v[53:54], -v[55:56]
	ds_read2_b64 v[199:202], v253 offset0:72 offset1:73
	s_waitcnt lgkmcnt(0)
	v_mul_f64 v[55:56], v[201:202], v[197:198]
	v_fma_f64 v[55:56], v[199:200], v[53:54], -v[55:56]
	v_mul_f64 v[199:200], v[199:200], v[197:198]
	v_add_f64 v[49:50], v[49:50], -v[55:56]
	v_fma_f64 v[199:200], v[201:202], v[53:54], v[199:200]
	v_add_f64 v[51:52], v[51:52], -v[199:200]
	ds_read2_b64 v[199:202], v253 offset0:74 offset1:75
	s_waitcnt lgkmcnt(0)
	v_mul_f64 v[55:56], v[201:202], v[197:198]
	v_fma_f64 v[55:56], v[199:200], v[53:54], -v[55:56]
	v_mul_f64 v[199:200], v[199:200], v[197:198]
	v_add_f64 v[45:46], v[45:46], -v[55:56]
	v_fma_f64 v[199:200], v[201:202], v[53:54], v[199:200]
	v_add_f64 v[47:48], v[47:48], -v[199:200]
	;; [unrolled: 8-line block ×12, first 2 shown]
	ds_read2_b64 v[199:202], v253 offset0:96 offset1:97
	s_waitcnt lgkmcnt(0)
	v_mul_f64 v[55:56], v[201:202], v[197:198]
	v_fma_f64 v[55:56], v[199:200], v[53:54], -v[55:56]
	v_mul_f64 v[199:200], v[199:200], v[197:198]
	v_add_f64 v[1:2], v[1:2], -v[55:56]
	v_fma_f64 v[199:200], v[201:202], v[53:54], v[199:200]
	v_mov_b32_e32 v55, v197
	v_mov_b32_e32 v56, v198
	v_add_f64 v[3:4], v[3:4], -v[199:200]
.LBB97_325:
	s_or_b32 exec_lo, exec_lo, s1
	s_mov_b32 s2, exec_lo
	s_waitcnt_vscnt null, 0x0
	s_barrier
	buffer_gl0_inv
	v_cmpx_eq_u32_e32 36, v0
	s_cbranch_execz .LBB97_332
; %bb.326:
	ds_write2_b64 v255, v[49:50], v[51:52] offset1:1
	ds_write2_b64 v253, v[45:46], v[47:48] offset0:74 offset1:75
	ds_write2_b64 v253, v[41:42], v[43:44] offset0:76 offset1:77
	;; [unrolled: 1-line block ×12, first 2 shown]
	ds_read2_b64 v[197:200], v255 offset1:1
	s_waitcnt lgkmcnt(0)
	v_cmp_neq_f64_e32 vcc_lo, 0, v[197:198]
	v_cmp_neq_f64_e64 s1, 0, v[199:200]
	s_or_b32 s1, vcc_lo, s1
	s_and_b32 exec_lo, exec_lo, s1
	s_cbranch_execz .LBB97_332
; %bb.327:
	v_cmp_ngt_f64_e64 s1, |v[197:198]|, |v[199:200]|
                                        ; implicit-def: $vgpr201_vgpr202
	s_and_saveexec_b32 s3, s1
	s_xor_b32 s1, exec_lo, s3
                                        ; implicit-def: $vgpr203_vgpr204
	s_cbranch_execz .LBB97_329
; %bb.328:
	v_div_scale_f64 v[201:202], null, v[199:200], v[199:200], v[197:198]
	v_div_scale_f64 v[207:208], vcc_lo, v[197:198], v[199:200], v[197:198]
	v_rcp_f64_e32 v[203:204], v[201:202]
	v_fma_f64 v[205:206], -v[201:202], v[203:204], 1.0
	v_fma_f64 v[203:204], v[203:204], v[205:206], v[203:204]
	v_fma_f64 v[205:206], -v[201:202], v[203:204], 1.0
	v_fma_f64 v[203:204], v[203:204], v[205:206], v[203:204]
	v_mul_f64 v[205:206], v[207:208], v[203:204]
	v_fma_f64 v[201:202], -v[201:202], v[205:206], v[207:208]
	v_div_fmas_f64 v[201:202], v[201:202], v[203:204], v[205:206]
	v_div_fixup_f64 v[201:202], v[201:202], v[199:200], v[197:198]
	v_fma_f64 v[197:198], v[197:198], v[201:202], v[199:200]
	v_div_scale_f64 v[199:200], null, v[197:198], v[197:198], 1.0
	v_rcp_f64_e32 v[203:204], v[199:200]
	v_fma_f64 v[205:206], -v[199:200], v[203:204], 1.0
	v_fma_f64 v[203:204], v[203:204], v[205:206], v[203:204]
	v_fma_f64 v[205:206], -v[199:200], v[203:204], 1.0
	v_fma_f64 v[203:204], v[203:204], v[205:206], v[203:204]
	v_div_scale_f64 v[205:206], vcc_lo, 1.0, v[197:198], 1.0
	v_mul_f64 v[207:208], v[205:206], v[203:204]
	v_fma_f64 v[199:200], -v[199:200], v[207:208], v[205:206]
	v_div_fmas_f64 v[199:200], v[199:200], v[203:204], v[207:208]
	v_div_fixup_f64 v[203:204], v[199:200], v[197:198], 1.0
                                        ; implicit-def: $vgpr197_vgpr198
	v_mul_f64 v[201:202], v[201:202], v[203:204]
	v_xor_b32_e32 v204, 0x80000000, v204
.LBB97_329:
	s_andn2_saveexec_b32 s1, s1
	s_cbranch_execz .LBB97_331
; %bb.330:
	v_div_scale_f64 v[201:202], null, v[197:198], v[197:198], v[199:200]
	v_div_scale_f64 v[207:208], vcc_lo, v[199:200], v[197:198], v[199:200]
	v_rcp_f64_e32 v[203:204], v[201:202]
	v_fma_f64 v[205:206], -v[201:202], v[203:204], 1.0
	v_fma_f64 v[203:204], v[203:204], v[205:206], v[203:204]
	v_fma_f64 v[205:206], -v[201:202], v[203:204], 1.0
	v_fma_f64 v[203:204], v[203:204], v[205:206], v[203:204]
	v_mul_f64 v[205:206], v[207:208], v[203:204]
	v_fma_f64 v[201:202], -v[201:202], v[205:206], v[207:208]
	v_div_fmas_f64 v[201:202], v[201:202], v[203:204], v[205:206]
	v_div_fixup_f64 v[203:204], v[201:202], v[197:198], v[199:200]
	v_fma_f64 v[197:198], v[199:200], v[203:204], v[197:198]
	v_div_scale_f64 v[199:200], null, v[197:198], v[197:198], 1.0
	v_rcp_f64_e32 v[201:202], v[199:200]
	v_fma_f64 v[205:206], -v[199:200], v[201:202], 1.0
	v_fma_f64 v[201:202], v[201:202], v[205:206], v[201:202]
	v_fma_f64 v[205:206], -v[199:200], v[201:202], 1.0
	v_fma_f64 v[201:202], v[201:202], v[205:206], v[201:202]
	v_div_scale_f64 v[205:206], vcc_lo, 1.0, v[197:198], 1.0
	v_mul_f64 v[207:208], v[205:206], v[201:202]
	v_fma_f64 v[199:200], -v[199:200], v[207:208], v[205:206]
	v_div_fmas_f64 v[199:200], v[199:200], v[201:202], v[207:208]
	v_div_fixup_f64 v[201:202], v[199:200], v[197:198], 1.0
	v_mul_f64 v[203:204], v[203:204], -v[201:202]
.LBB97_331:
	s_or_b32 exec_lo, exec_lo, s1
	ds_write2_b64 v255, v[201:202], v[203:204] offset1:1
.LBB97_332:
	s_or_b32 exec_lo, exec_lo, s2
	s_waitcnt lgkmcnt(0)
	s_barrier
	buffer_gl0_inv
	ds_read2_b64 v[197:200], v255 offset1:1
	s_mov_b32 s1, exec_lo
	s_waitcnt lgkmcnt(0)
	buffer_store_dword v197, off, s[16:19], 0 offset:872 ; 4-byte Folded Spill
	buffer_store_dword v198, off, s[16:19], 0 offset:876 ; 4-byte Folded Spill
	;; [unrolled: 1-line block ×4, first 2 shown]
	v_cmpx_lt_u32_e32 36, v0
	s_cbranch_execz .LBB97_334
; %bb.333:
	s_clause 0x3
	buffer_load_dword v199, off, s[16:19], 0 offset:872
	buffer_load_dword v200, off, s[16:19], 0 offset:876
	;; [unrolled: 1-line block ×4, first 2 shown]
	s_waitcnt vmcnt(2)
	v_mul_f64 v[197:198], v[199:200], v[51:52]
	s_waitcnt vmcnt(0)
	v_mul_f64 v[51:52], v[201:202], v[51:52]
	v_fma_f64 v[197:198], v[201:202], v[49:50], v[197:198]
	v_fma_f64 v[49:50], v[199:200], v[49:50], -v[51:52]
	ds_read2_b64 v[199:202], v253 offset0:74 offset1:75
	s_waitcnt lgkmcnt(0)
	v_mul_f64 v[51:52], v[201:202], v[197:198]
	v_fma_f64 v[51:52], v[199:200], v[49:50], -v[51:52]
	v_mul_f64 v[199:200], v[199:200], v[197:198]
	v_add_f64 v[45:46], v[45:46], -v[51:52]
	v_fma_f64 v[199:200], v[201:202], v[49:50], v[199:200]
	v_add_f64 v[47:48], v[47:48], -v[199:200]
	ds_read2_b64 v[199:202], v253 offset0:76 offset1:77
	s_waitcnt lgkmcnt(0)
	v_mul_f64 v[51:52], v[201:202], v[197:198]
	v_fma_f64 v[51:52], v[199:200], v[49:50], -v[51:52]
	v_mul_f64 v[199:200], v[199:200], v[197:198]
	v_add_f64 v[41:42], v[41:42], -v[51:52]
	v_fma_f64 v[199:200], v[201:202], v[49:50], v[199:200]
	v_add_f64 v[43:44], v[43:44], -v[199:200]
	;; [unrolled: 8-line block ×11, first 2 shown]
	ds_read2_b64 v[199:202], v253 offset0:96 offset1:97
	s_waitcnt lgkmcnt(0)
	v_mul_f64 v[51:52], v[201:202], v[197:198]
	v_fma_f64 v[51:52], v[199:200], v[49:50], -v[51:52]
	v_mul_f64 v[199:200], v[199:200], v[197:198]
	v_add_f64 v[1:2], v[1:2], -v[51:52]
	v_fma_f64 v[199:200], v[201:202], v[49:50], v[199:200]
	v_mov_b32_e32 v51, v197
	v_mov_b32_e32 v52, v198
	v_add_f64 v[3:4], v[3:4], -v[199:200]
.LBB97_334:
	s_or_b32 exec_lo, exec_lo, s1
	s_mov_b32 s2, exec_lo
	s_waitcnt_vscnt null, 0x0
	s_barrier
	buffer_gl0_inv
	v_cmpx_eq_u32_e32 37, v0
	s_cbranch_execz .LBB97_341
; %bb.335:
	ds_write2_b64 v255, v[45:46], v[47:48] offset1:1
	ds_write2_b64 v253, v[41:42], v[43:44] offset0:76 offset1:77
	ds_write2_b64 v253, v[37:38], v[39:40] offset0:78 offset1:79
	;; [unrolled: 1-line block ×11, first 2 shown]
	ds_read2_b64 v[197:200], v255 offset1:1
	s_waitcnt lgkmcnt(0)
	v_cmp_neq_f64_e32 vcc_lo, 0, v[197:198]
	v_cmp_neq_f64_e64 s1, 0, v[199:200]
	s_or_b32 s1, vcc_lo, s1
	s_and_b32 exec_lo, exec_lo, s1
	s_cbranch_execz .LBB97_341
; %bb.336:
	v_cmp_ngt_f64_e64 s1, |v[197:198]|, |v[199:200]|
                                        ; implicit-def: $vgpr201_vgpr202
	s_and_saveexec_b32 s3, s1
	s_xor_b32 s1, exec_lo, s3
                                        ; implicit-def: $vgpr203_vgpr204
	s_cbranch_execz .LBB97_338
; %bb.337:
	v_div_scale_f64 v[201:202], null, v[199:200], v[199:200], v[197:198]
	v_div_scale_f64 v[207:208], vcc_lo, v[197:198], v[199:200], v[197:198]
	v_rcp_f64_e32 v[203:204], v[201:202]
	v_fma_f64 v[205:206], -v[201:202], v[203:204], 1.0
	v_fma_f64 v[203:204], v[203:204], v[205:206], v[203:204]
	v_fma_f64 v[205:206], -v[201:202], v[203:204], 1.0
	v_fma_f64 v[203:204], v[203:204], v[205:206], v[203:204]
	v_mul_f64 v[205:206], v[207:208], v[203:204]
	v_fma_f64 v[201:202], -v[201:202], v[205:206], v[207:208]
	v_div_fmas_f64 v[201:202], v[201:202], v[203:204], v[205:206]
	v_div_fixup_f64 v[201:202], v[201:202], v[199:200], v[197:198]
	v_fma_f64 v[197:198], v[197:198], v[201:202], v[199:200]
	v_div_scale_f64 v[199:200], null, v[197:198], v[197:198], 1.0
	v_rcp_f64_e32 v[203:204], v[199:200]
	v_fma_f64 v[205:206], -v[199:200], v[203:204], 1.0
	v_fma_f64 v[203:204], v[203:204], v[205:206], v[203:204]
	v_fma_f64 v[205:206], -v[199:200], v[203:204], 1.0
	v_fma_f64 v[203:204], v[203:204], v[205:206], v[203:204]
	v_div_scale_f64 v[205:206], vcc_lo, 1.0, v[197:198], 1.0
	v_mul_f64 v[207:208], v[205:206], v[203:204]
	v_fma_f64 v[199:200], -v[199:200], v[207:208], v[205:206]
	v_div_fmas_f64 v[199:200], v[199:200], v[203:204], v[207:208]
	v_div_fixup_f64 v[203:204], v[199:200], v[197:198], 1.0
                                        ; implicit-def: $vgpr197_vgpr198
	v_mul_f64 v[201:202], v[201:202], v[203:204]
	v_xor_b32_e32 v204, 0x80000000, v204
.LBB97_338:
	s_andn2_saveexec_b32 s1, s1
	s_cbranch_execz .LBB97_340
; %bb.339:
	v_div_scale_f64 v[201:202], null, v[197:198], v[197:198], v[199:200]
	v_div_scale_f64 v[207:208], vcc_lo, v[199:200], v[197:198], v[199:200]
	v_rcp_f64_e32 v[203:204], v[201:202]
	v_fma_f64 v[205:206], -v[201:202], v[203:204], 1.0
	v_fma_f64 v[203:204], v[203:204], v[205:206], v[203:204]
	v_fma_f64 v[205:206], -v[201:202], v[203:204], 1.0
	v_fma_f64 v[203:204], v[203:204], v[205:206], v[203:204]
	v_mul_f64 v[205:206], v[207:208], v[203:204]
	v_fma_f64 v[201:202], -v[201:202], v[205:206], v[207:208]
	v_div_fmas_f64 v[201:202], v[201:202], v[203:204], v[205:206]
	v_div_fixup_f64 v[203:204], v[201:202], v[197:198], v[199:200]
	v_fma_f64 v[197:198], v[199:200], v[203:204], v[197:198]
	v_div_scale_f64 v[199:200], null, v[197:198], v[197:198], 1.0
	v_rcp_f64_e32 v[201:202], v[199:200]
	v_fma_f64 v[205:206], -v[199:200], v[201:202], 1.0
	v_fma_f64 v[201:202], v[201:202], v[205:206], v[201:202]
	v_fma_f64 v[205:206], -v[199:200], v[201:202], 1.0
	v_fma_f64 v[201:202], v[201:202], v[205:206], v[201:202]
	v_div_scale_f64 v[205:206], vcc_lo, 1.0, v[197:198], 1.0
	v_mul_f64 v[207:208], v[205:206], v[201:202]
	v_fma_f64 v[199:200], -v[199:200], v[207:208], v[205:206]
	v_div_fmas_f64 v[199:200], v[199:200], v[201:202], v[207:208]
	v_div_fixup_f64 v[201:202], v[199:200], v[197:198], 1.0
	v_mul_f64 v[203:204], v[203:204], -v[201:202]
.LBB97_340:
	s_or_b32 exec_lo, exec_lo, s1
	ds_write2_b64 v255, v[201:202], v[203:204] offset1:1
.LBB97_341:
	s_or_b32 exec_lo, exec_lo, s2
	s_waitcnt lgkmcnt(0)
	s_barrier
	buffer_gl0_inv
	ds_read2_b64 v[197:200], v255 offset1:1
	s_mov_b32 s1, exec_lo
	s_waitcnt lgkmcnt(0)
	buffer_store_dword v197, off, s[16:19], 0 offset:888 ; 4-byte Folded Spill
	buffer_store_dword v198, off, s[16:19], 0 offset:892 ; 4-byte Folded Spill
	;; [unrolled: 1-line block ×4, first 2 shown]
	v_cmpx_lt_u32_e32 37, v0
	s_cbranch_execz .LBB97_343
; %bb.342:
	s_clause 0x3
	buffer_load_dword v199, off, s[16:19], 0 offset:888
	buffer_load_dword v200, off, s[16:19], 0 offset:892
	;; [unrolled: 1-line block ×4, first 2 shown]
	s_waitcnt vmcnt(2)
	v_mul_f64 v[197:198], v[199:200], v[47:48]
	s_waitcnt vmcnt(0)
	v_mul_f64 v[47:48], v[201:202], v[47:48]
	v_fma_f64 v[197:198], v[201:202], v[45:46], v[197:198]
	v_fma_f64 v[45:46], v[199:200], v[45:46], -v[47:48]
	ds_read2_b64 v[199:202], v253 offset0:76 offset1:77
	s_waitcnt lgkmcnt(0)
	v_mul_f64 v[47:48], v[201:202], v[197:198]
	v_fma_f64 v[47:48], v[199:200], v[45:46], -v[47:48]
	v_mul_f64 v[199:200], v[199:200], v[197:198]
	v_add_f64 v[41:42], v[41:42], -v[47:48]
	v_fma_f64 v[199:200], v[201:202], v[45:46], v[199:200]
	v_add_f64 v[43:44], v[43:44], -v[199:200]
	ds_read2_b64 v[199:202], v253 offset0:78 offset1:79
	s_waitcnt lgkmcnt(0)
	v_mul_f64 v[47:48], v[201:202], v[197:198]
	v_fma_f64 v[47:48], v[199:200], v[45:46], -v[47:48]
	v_mul_f64 v[199:200], v[199:200], v[197:198]
	v_add_f64 v[37:38], v[37:38], -v[47:48]
	v_fma_f64 v[199:200], v[201:202], v[45:46], v[199:200]
	v_add_f64 v[39:40], v[39:40], -v[199:200]
	;; [unrolled: 8-line block ×10, first 2 shown]
	ds_read2_b64 v[199:202], v253 offset0:96 offset1:97
	s_waitcnt lgkmcnt(0)
	v_mul_f64 v[47:48], v[201:202], v[197:198]
	v_fma_f64 v[47:48], v[199:200], v[45:46], -v[47:48]
	v_mul_f64 v[199:200], v[199:200], v[197:198]
	v_add_f64 v[1:2], v[1:2], -v[47:48]
	v_fma_f64 v[199:200], v[201:202], v[45:46], v[199:200]
	v_mov_b32_e32 v47, v197
	v_mov_b32_e32 v48, v198
	v_add_f64 v[3:4], v[3:4], -v[199:200]
.LBB97_343:
	s_or_b32 exec_lo, exec_lo, s1
	s_mov_b32 s2, exec_lo
	s_waitcnt_vscnt null, 0x0
	s_barrier
	buffer_gl0_inv
	v_cmpx_eq_u32_e32 38, v0
	s_cbranch_execz .LBB97_350
; %bb.344:
	ds_write2_b64 v255, v[41:42], v[43:44] offset1:1
	ds_write2_b64 v253, v[37:38], v[39:40] offset0:78 offset1:79
	ds_write2_b64 v253, v[33:34], v[35:36] offset0:80 offset1:81
	;; [unrolled: 1-line block ×10, first 2 shown]
	ds_read2_b64 v[197:200], v255 offset1:1
	s_waitcnt lgkmcnt(0)
	v_cmp_neq_f64_e32 vcc_lo, 0, v[197:198]
	v_cmp_neq_f64_e64 s1, 0, v[199:200]
	s_or_b32 s1, vcc_lo, s1
	s_and_b32 exec_lo, exec_lo, s1
	s_cbranch_execz .LBB97_350
; %bb.345:
	v_cmp_ngt_f64_e64 s1, |v[197:198]|, |v[199:200]|
                                        ; implicit-def: $vgpr201_vgpr202
	s_and_saveexec_b32 s3, s1
	s_xor_b32 s1, exec_lo, s3
                                        ; implicit-def: $vgpr203_vgpr204
	s_cbranch_execz .LBB97_347
; %bb.346:
	v_div_scale_f64 v[201:202], null, v[199:200], v[199:200], v[197:198]
	v_div_scale_f64 v[207:208], vcc_lo, v[197:198], v[199:200], v[197:198]
	v_rcp_f64_e32 v[203:204], v[201:202]
	v_fma_f64 v[205:206], -v[201:202], v[203:204], 1.0
	v_fma_f64 v[203:204], v[203:204], v[205:206], v[203:204]
	v_fma_f64 v[205:206], -v[201:202], v[203:204], 1.0
	v_fma_f64 v[203:204], v[203:204], v[205:206], v[203:204]
	v_mul_f64 v[205:206], v[207:208], v[203:204]
	v_fma_f64 v[201:202], -v[201:202], v[205:206], v[207:208]
	v_div_fmas_f64 v[201:202], v[201:202], v[203:204], v[205:206]
	v_div_fixup_f64 v[201:202], v[201:202], v[199:200], v[197:198]
	v_fma_f64 v[197:198], v[197:198], v[201:202], v[199:200]
	v_div_scale_f64 v[199:200], null, v[197:198], v[197:198], 1.0
	v_rcp_f64_e32 v[203:204], v[199:200]
	v_fma_f64 v[205:206], -v[199:200], v[203:204], 1.0
	v_fma_f64 v[203:204], v[203:204], v[205:206], v[203:204]
	v_fma_f64 v[205:206], -v[199:200], v[203:204], 1.0
	v_fma_f64 v[203:204], v[203:204], v[205:206], v[203:204]
	v_div_scale_f64 v[205:206], vcc_lo, 1.0, v[197:198], 1.0
	v_mul_f64 v[207:208], v[205:206], v[203:204]
	v_fma_f64 v[199:200], -v[199:200], v[207:208], v[205:206]
	v_div_fmas_f64 v[199:200], v[199:200], v[203:204], v[207:208]
	v_div_fixup_f64 v[203:204], v[199:200], v[197:198], 1.0
                                        ; implicit-def: $vgpr197_vgpr198
	v_mul_f64 v[201:202], v[201:202], v[203:204]
	v_xor_b32_e32 v204, 0x80000000, v204
.LBB97_347:
	s_andn2_saveexec_b32 s1, s1
	s_cbranch_execz .LBB97_349
; %bb.348:
	v_div_scale_f64 v[201:202], null, v[197:198], v[197:198], v[199:200]
	v_div_scale_f64 v[207:208], vcc_lo, v[199:200], v[197:198], v[199:200]
	v_rcp_f64_e32 v[203:204], v[201:202]
	v_fma_f64 v[205:206], -v[201:202], v[203:204], 1.0
	v_fma_f64 v[203:204], v[203:204], v[205:206], v[203:204]
	v_fma_f64 v[205:206], -v[201:202], v[203:204], 1.0
	v_fma_f64 v[203:204], v[203:204], v[205:206], v[203:204]
	v_mul_f64 v[205:206], v[207:208], v[203:204]
	v_fma_f64 v[201:202], -v[201:202], v[205:206], v[207:208]
	v_div_fmas_f64 v[201:202], v[201:202], v[203:204], v[205:206]
	v_div_fixup_f64 v[203:204], v[201:202], v[197:198], v[199:200]
	v_fma_f64 v[197:198], v[199:200], v[203:204], v[197:198]
	v_div_scale_f64 v[199:200], null, v[197:198], v[197:198], 1.0
	v_rcp_f64_e32 v[201:202], v[199:200]
	v_fma_f64 v[205:206], -v[199:200], v[201:202], 1.0
	v_fma_f64 v[201:202], v[201:202], v[205:206], v[201:202]
	v_fma_f64 v[205:206], -v[199:200], v[201:202], 1.0
	v_fma_f64 v[201:202], v[201:202], v[205:206], v[201:202]
	v_div_scale_f64 v[205:206], vcc_lo, 1.0, v[197:198], 1.0
	v_mul_f64 v[207:208], v[205:206], v[201:202]
	v_fma_f64 v[199:200], -v[199:200], v[207:208], v[205:206]
	v_div_fmas_f64 v[199:200], v[199:200], v[201:202], v[207:208]
	v_div_fixup_f64 v[201:202], v[199:200], v[197:198], 1.0
	v_mul_f64 v[203:204], v[203:204], -v[201:202]
.LBB97_349:
	s_or_b32 exec_lo, exec_lo, s1
	ds_write2_b64 v255, v[201:202], v[203:204] offset1:1
.LBB97_350:
	s_or_b32 exec_lo, exec_lo, s2
	s_waitcnt lgkmcnt(0)
	s_barrier
	buffer_gl0_inv
	ds_read2_b64 v[197:200], v255 offset1:1
	s_mov_b32 s1, exec_lo
	s_waitcnt lgkmcnt(0)
	buffer_store_dword v197, off, s[16:19], 0 offset:904 ; 4-byte Folded Spill
	buffer_store_dword v198, off, s[16:19], 0 offset:908 ; 4-byte Folded Spill
	;; [unrolled: 1-line block ×4, first 2 shown]
	v_cmpx_lt_u32_e32 38, v0
	s_cbranch_execz .LBB97_352
; %bb.351:
	s_clause 0x3
	buffer_load_dword v203, off, s[16:19], 0 offset:904
	buffer_load_dword v204, off, s[16:19], 0 offset:908
	;; [unrolled: 1-line block ×4, first 2 shown]
	s_waitcnt vmcnt(2)
	v_mul_f64 v[197:198], v[203:204], v[43:44]
	s_waitcnt vmcnt(0)
	v_mul_f64 v[43:44], v[205:206], v[43:44]
	v_fma_f64 v[201:202], v[205:206], v[41:42], v[197:198]
	ds_read2_b64 v[197:200], v253 offset0:78 offset1:79
	v_fma_f64 v[41:42], v[203:204], v[41:42], -v[43:44]
	s_waitcnt lgkmcnt(0)
	v_mul_f64 v[43:44], v[199:200], v[201:202]
	v_fma_f64 v[43:44], v[197:198], v[41:42], -v[43:44]
	v_mul_f64 v[197:198], v[197:198], v[201:202]
	v_add_f64 v[37:38], v[37:38], -v[43:44]
	v_fma_f64 v[197:198], v[199:200], v[41:42], v[197:198]
	v_add_f64 v[39:40], v[39:40], -v[197:198]
	ds_read2_b64 v[197:200], v253 offset0:80 offset1:81
	s_waitcnt lgkmcnt(0)
	v_mul_f64 v[43:44], v[199:200], v[201:202]
	v_fma_f64 v[43:44], v[197:198], v[41:42], -v[43:44]
	v_mul_f64 v[197:198], v[197:198], v[201:202]
	v_add_f64 v[33:34], v[33:34], -v[43:44]
	v_fma_f64 v[197:198], v[199:200], v[41:42], v[197:198]
	v_add_f64 v[35:36], v[35:36], -v[197:198]
	ds_read2_b64 v[197:200], v253 offset0:82 offset1:83
	;; [unrolled: 8-line block ×9, first 2 shown]
	s_waitcnt lgkmcnt(0)
	v_mul_f64 v[43:44], v[199:200], v[201:202]
	v_fma_f64 v[43:44], v[197:198], v[41:42], -v[43:44]
	v_mul_f64 v[197:198], v[197:198], v[201:202]
	v_add_f64 v[1:2], v[1:2], -v[43:44]
	v_fma_f64 v[197:198], v[199:200], v[41:42], v[197:198]
	v_mov_b32_e32 v43, v201
	v_mov_b32_e32 v44, v202
	v_add_f64 v[3:4], v[3:4], -v[197:198]
.LBB97_352:
	s_or_b32 exec_lo, exec_lo, s1
	s_mov_b32 s2, exec_lo
	s_waitcnt_vscnt null, 0x0
	s_barrier
	buffer_gl0_inv
	v_cmpx_eq_u32_e32 39, v0
	s_cbranch_execz .LBB97_359
; %bb.353:
	ds_write2_b64 v255, v[37:38], v[39:40] offset1:1
	ds_write2_b64 v253, v[33:34], v[35:36] offset0:80 offset1:81
	ds_write2_b64 v253, v[29:30], v[31:32] offset0:82 offset1:83
	;; [unrolled: 1-line block ×9, first 2 shown]
	ds_read2_b64 v[197:200], v255 offset1:1
	s_waitcnt lgkmcnt(0)
	v_cmp_neq_f64_e32 vcc_lo, 0, v[197:198]
	v_cmp_neq_f64_e64 s1, 0, v[199:200]
	s_or_b32 s1, vcc_lo, s1
	s_and_b32 exec_lo, exec_lo, s1
	s_cbranch_execz .LBB97_359
; %bb.354:
	v_cmp_ngt_f64_e64 s1, |v[197:198]|, |v[199:200]|
                                        ; implicit-def: $vgpr201_vgpr202
	s_and_saveexec_b32 s3, s1
	s_xor_b32 s1, exec_lo, s3
                                        ; implicit-def: $vgpr203_vgpr204
	s_cbranch_execz .LBB97_356
; %bb.355:
	v_div_scale_f64 v[201:202], null, v[199:200], v[199:200], v[197:198]
	v_div_scale_f64 v[207:208], vcc_lo, v[197:198], v[199:200], v[197:198]
	v_rcp_f64_e32 v[203:204], v[201:202]
	v_fma_f64 v[205:206], -v[201:202], v[203:204], 1.0
	v_fma_f64 v[203:204], v[203:204], v[205:206], v[203:204]
	v_fma_f64 v[205:206], -v[201:202], v[203:204], 1.0
	v_fma_f64 v[203:204], v[203:204], v[205:206], v[203:204]
	v_mul_f64 v[205:206], v[207:208], v[203:204]
	v_fma_f64 v[201:202], -v[201:202], v[205:206], v[207:208]
	v_div_fmas_f64 v[201:202], v[201:202], v[203:204], v[205:206]
	v_div_fixup_f64 v[201:202], v[201:202], v[199:200], v[197:198]
	v_fma_f64 v[197:198], v[197:198], v[201:202], v[199:200]
	v_div_scale_f64 v[199:200], null, v[197:198], v[197:198], 1.0
	v_rcp_f64_e32 v[203:204], v[199:200]
	v_fma_f64 v[205:206], -v[199:200], v[203:204], 1.0
	v_fma_f64 v[203:204], v[203:204], v[205:206], v[203:204]
	v_fma_f64 v[205:206], -v[199:200], v[203:204], 1.0
	v_fma_f64 v[203:204], v[203:204], v[205:206], v[203:204]
	v_div_scale_f64 v[205:206], vcc_lo, 1.0, v[197:198], 1.0
	v_mul_f64 v[207:208], v[205:206], v[203:204]
	v_fma_f64 v[199:200], -v[199:200], v[207:208], v[205:206]
	v_div_fmas_f64 v[199:200], v[199:200], v[203:204], v[207:208]
	v_div_fixup_f64 v[203:204], v[199:200], v[197:198], 1.0
                                        ; implicit-def: $vgpr197_vgpr198
	v_mul_f64 v[201:202], v[201:202], v[203:204]
	v_xor_b32_e32 v204, 0x80000000, v204
.LBB97_356:
	s_andn2_saveexec_b32 s1, s1
	s_cbranch_execz .LBB97_358
; %bb.357:
	v_div_scale_f64 v[201:202], null, v[197:198], v[197:198], v[199:200]
	v_div_scale_f64 v[207:208], vcc_lo, v[199:200], v[197:198], v[199:200]
	v_rcp_f64_e32 v[203:204], v[201:202]
	v_fma_f64 v[205:206], -v[201:202], v[203:204], 1.0
	v_fma_f64 v[203:204], v[203:204], v[205:206], v[203:204]
	v_fma_f64 v[205:206], -v[201:202], v[203:204], 1.0
	v_fma_f64 v[203:204], v[203:204], v[205:206], v[203:204]
	v_mul_f64 v[205:206], v[207:208], v[203:204]
	v_fma_f64 v[201:202], -v[201:202], v[205:206], v[207:208]
	v_div_fmas_f64 v[201:202], v[201:202], v[203:204], v[205:206]
	v_div_fixup_f64 v[203:204], v[201:202], v[197:198], v[199:200]
	v_fma_f64 v[197:198], v[199:200], v[203:204], v[197:198]
	v_div_scale_f64 v[199:200], null, v[197:198], v[197:198], 1.0
	v_rcp_f64_e32 v[201:202], v[199:200]
	v_fma_f64 v[205:206], -v[199:200], v[201:202], 1.0
	v_fma_f64 v[201:202], v[201:202], v[205:206], v[201:202]
	v_fma_f64 v[205:206], -v[199:200], v[201:202], 1.0
	v_fma_f64 v[201:202], v[201:202], v[205:206], v[201:202]
	v_div_scale_f64 v[205:206], vcc_lo, 1.0, v[197:198], 1.0
	v_mul_f64 v[207:208], v[205:206], v[201:202]
	v_fma_f64 v[199:200], -v[199:200], v[207:208], v[205:206]
	v_div_fmas_f64 v[199:200], v[199:200], v[201:202], v[207:208]
	v_div_fixup_f64 v[201:202], v[199:200], v[197:198], 1.0
	v_mul_f64 v[203:204], v[203:204], -v[201:202]
.LBB97_358:
	s_or_b32 exec_lo, exec_lo, s1
	ds_write2_b64 v255, v[201:202], v[203:204] offset1:1
.LBB97_359:
	s_or_b32 exec_lo, exec_lo, s2
	s_waitcnt lgkmcnt(0)
	s_barrier
	buffer_gl0_inv
	ds_read2_b64 v[197:200], v255 offset1:1
	s_mov_b32 s1, exec_lo
	s_waitcnt lgkmcnt(0)
	buffer_store_dword v197, off, s[16:19], 0 offset:920 ; 4-byte Folded Spill
	buffer_store_dword v198, off, s[16:19], 0 offset:924 ; 4-byte Folded Spill
	;; [unrolled: 1-line block ×4, first 2 shown]
	v_cmpx_lt_u32_e32 39, v0
	s_cbranch_execz .LBB97_361
; %bb.360:
	s_clause 0x3
	buffer_load_dword v203, off, s[16:19], 0 offset:920
	buffer_load_dword v204, off, s[16:19], 0 offset:924
	;; [unrolled: 1-line block ×4, first 2 shown]
	s_waitcnt vmcnt(2)
	v_mul_f64 v[197:198], v[203:204], v[39:40]
	s_waitcnt vmcnt(0)
	v_mul_f64 v[39:40], v[205:206], v[39:40]
	v_fma_f64 v[201:202], v[205:206], v[37:38], v[197:198]
	ds_read2_b64 v[197:200], v253 offset0:80 offset1:81
	v_fma_f64 v[37:38], v[203:204], v[37:38], -v[39:40]
	s_waitcnt lgkmcnt(0)
	v_mul_f64 v[39:40], v[199:200], v[201:202]
	v_fma_f64 v[39:40], v[197:198], v[37:38], -v[39:40]
	v_mul_f64 v[197:198], v[197:198], v[201:202]
	v_add_f64 v[33:34], v[33:34], -v[39:40]
	v_fma_f64 v[197:198], v[199:200], v[37:38], v[197:198]
	v_add_f64 v[35:36], v[35:36], -v[197:198]
	ds_read2_b64 v[197:200], v253 offset0:82 offset1:83
	s_waitcnt lgkmcnt(0)
	v_mul_f64 v[39:40], v[199:200], v[201:202]
	v_fma_f64 v[39:40], v[197:198], v[37:38], -v[39:40]
	v_mul_f64 v[197:198], v[197:198], v[201:202]
	v_add_f64 v[29:30], v[29:30], -v[39:40]
	v_fma_f64 v[197:198], v[199:200], v[37:38], v[197:198]
	v_add_f64 v[31:32], v[31:32], -v[197:198]
	ds_read2_b64 v[197:200], v253 offset0:84 offset1:85
	s_waitcnt lgkmcnt(0)
	v_mul_f64 v[39:40], v[199:200], v[201:202]
	v_fma_f64 v[39:40], v[197:198], v[37:38], -v[39:40]
	v_mul_f64 v[197:198], v[197:198], v[201:202]
	v_add_f64 v[25:26], v[25:26], -v[39:40]
	v_fma_f64 v[197:198], v[199:200], v[37:38], v[197:198]
	v_add_f64 v[27:28], v[27:28], -v[197:198]
	ds_read2_b64 v[197:200], v253 offset0:86 offset1:87
	s_waitcnt lgkmcnt(0)
	v_mul_f64 v[39:40], v[199:200], v[201:202]
	v_fma_f64 v[39:40], v[197:198], v[37:38], -v[39:40]
	v_mul_f64 v[197:198], v[197:198], v[201:202]
	v_add_f64 v[21:22], v[21:22], -v[39:40]
	v_fma_f64 v[197:198], v[199:200], v[37:38], v[197:198]
	v_add_f64 v[23:24], v[23:24], -v[197:198]
	ds_read2_b64 v[197:200], v253 offset0:88 offset1:89
	s_waitcnt lgkmcnt(0)
	v_mul_f64 v[39:40], v[199:200], v[201:202]
	v_fma_f64 v[39:40], v[197:198], v[37:38], -v[39:40]
	v_mul_f64 v[197:198], v[197:198], v[201:202]
	v_add_f64 v[17:18], v[17:18], -v[39:40]
	v_fma_f64 v[197:198], v[199:200], v[37:38], v[197:198]
	v_add_f64 v[19:20], v[19:20], -v[197:198]
	ds_read2_b64 v[197:200], v253 offset0:90 offset1:91
	s_waitcnt lgkmcnt(0)
	v_mul_f64 v[39:40], v[199:200], v[201:202]
	v_fma_f64 v[39:40], v[197:198], v[37:38], -v[39:40]
	v_mul_f64 v[197:198], v[197:198], v[201:202]
	v_add_f64 v[13:14], v[13:14], -v[39:40]
	v_fma_f64 v[197:198], v[199:200], v[37:38], v[197:198]
	v_add_f64 v[15:16], v[15:16], -v[197:198]
	ds_read2_b64 v[197:200], v253 offset0:92 offset1:93
	s_waitcnt lgkmcnt(0)
	v_mul_f64 v[39:40], v[199:200], v[201:202]
	v_fma_f64 v[39:40], v[197:198], v[37:38], -v[39:40]
	v_mul_f64 v[197:198], v[197:198], v[201:202]
	v_add_f64 v[9:10], v[9:10], -v[39:40]
	v_fma_f64 v[197:198], v[199:200], v[37:38], v[197:198]
	v_add_f64 v[11:12], v[11:12], -v[197:198]
	ds_read2_b64 v[197:200], v253 offset0:94 offset1:95
	s_waitcnt lgkmcnt(0)
	v_mul_f64 v[39:40], v[199:200], v[201:202]
	v_fma_f64 v[39:40], v[197:198], v[37:38], -v[39:40]
	v_mul_f64 v[197:198], v[197:198], v[201:202]
	v_add_f64 v[5:6], v[5:6], -v[39:40]
	v_fma_f64 v[197:198], v[199:200], v[37:38], v[197:198]
	v_add_f64 v[7:8], v[7:8], -v[197:198]
	ds_read2_b64 v[197:200], v253 offset0:96 offset1:97
	s_waitcnt lgkmcnt(0)
	v_mul_f64 v[39:40], v[199:200], v[201:202]
	v_fma_f64 v[39:40], v[197:198], v[37:38], -v[39:40]
	v_mul_f64 v[197:198], v[197:198], v[201:202]
	v_add_f64 v[1:2], v[1:2], -v[39:40]
	v_fma_f64 v[197:198], v[199:200], v[37:38], v[197:198]
	v_mov_b32_e32 v39, v201
	v_mov_b32_e32 v40, v202
	v_add_f64 v[3:4], v[3:4], -v[197:198]
.LBB97_361:
	s_or_b32 exec_lo, exec_lo, s1
	s_mov_b32 s2, exec_lo
	s_waitcnt_vscnt null, 0x0
	s_barrier
	buffer_gl0_inv
	v_cmpx_eq_u32_e32 40, v0
	s_cbranch_execz .LBB97_368
; %bb.362:
	ds_write2_b64 v255, v[33:34], v[35:36] offset1:1
	ds_write2_b64 v253, v[29:30], v[31:32] offset0:82 offset1:83
	ds_write2_b64 v253, v[25:26], v[27:28] offset0:84 offset1:85
	;; [unrolled: 1-line block ×8, first 2 shown]
	ds_read2_b64 v[197:200], v255 offset1:1
	s_waitcnt lgkmcnt(0)
	v_cmp_neq_f64_e32 vcc_lo, 0, v[197:198]
	v_cmp_neq_f64_e64 s1, 0, v[199:200]
	s_or_b32 s1, vcc_lo, s1
	s_and_b32 exec_lo, exec_lo, s1
	s_cbranch_execz .LBB97_368
; %bb.363:
	v_cmp_ngt_f64_e64 s1, |v[197:198]|, |v[199:200]|
                                        ; implicit-def: $vgpr201_vgpr202
	s_and_saveexec_b32 s3, s1
	s_xor_b32 s1, exec_lo, s3
                                        ; implicit-def: $vgpr203_vgpr204
	s_cbranch_execz .LBB97_365
; %bb.364:
	v_div_scale_f64 v[201:202], null, v[199:200], v[199:200], v[197:198]
	v_div_scale_f64 v[207:208], vcc_lo, v[197:198], v[199:200], v[197:198]
	v_rcp_f64_e32 v[203:204], v[201:202]
	v_fma_f64 v[205:206], -v[201:202], v[203:204], 1.0
	v_fma_f64 v[203:204], v[203:204], v[205:206], v[203:204]
	v_fma_f64 v[205:206], -v[201:202], v[203:204], 1.0
	v_fma_f64 v[203:204], v[203:204], v[205:206], v[203:204]
	v_mul_f64 v[205:206], v[207:208], v[203:204]
	v_fma_f64 v[201:202], -v[201:202], v[205:206], v[207:208]
	v_div_fmas_f64 v[201:202], v[201:202], v[203:204], v[205:206]
	v_div_fixup_f64 v[201:202], v[201:202], v[199:200], v[197:198]
	v_fma_f64 v[197:198], v[197:198], v[201:202], v[199:200]
	v_div_scale_f64 v[199:200], null, v[197:198], v[197:198], 1.0
	v_rcp_f64_e32 v[203:204], v[199:200]
	v_fma_f64 v[205:206], -v[199:200], v[203:204], 1.0
	v_fma_f64 v[203:204], v[203:204], v[205:206], v[203:204]
	v_fma_f64 v[205:206], -v[199:200], v[203:204], 1.0
	v_fma_f64 v[203:204], v[203:204], v[205:206], v[203:204]
	v_div_scale_f64 v[205:206], vcc_lo, 1.0, v[197:198], 1.0
	v_mul_f64 v[207:208], v[205:206], v[203:204]
	v_fma_f64 v[199:200], -v[199:200], v[207:208], v[205:206]
	v_div_fmas_f64 v[199:200], v[199:200], v[203:204], v[207:208]
	v_div_fixup_f64 v[203:204], v[199:200], v[197:198], 1.0
                                        ; implicit-def: $vgpr197_vgpr198
	v_mul_f64 v[201:202], v[201:202], v[203:204]
	v_xor_b32_e32 v204, 0x80000000, v204
.LBB97_365:
	s_andn2_saveexec_b32 s1, s1
	s_cbranch_execz .LBB97_367
; %bb.366:
	v_div_scale_f64 v[201:202], null, v[197:198], v[197:198], v[199:200]
	v_div_scale_f64 v[207:208], vcc_lo, v[199:200], v[197:198], v[199:200]
	v_rcp_f64_e32 v[203:204], v[201:202]
	v_fma_f64 v[205:206], -v[201:202], v[203:204], 1.0
	v_fma_f64 v[203:204], v[203:204], v[205:206], v[203:204]
	v_fma_f64 v[205:206], -v[201:202], v[203:204], 1.0
	v_fma_f64 v[203:204], v[203:204], v[205:206], v[203:204]
	v_mul_f64 v[205:206], v[207:208], v[203:204]
	v_fma_f64 v[201:202], -v[201:202], v[205:206], v[207:208]
	v_div_fmas_f64 v[201:202], v[201:202], v[203:204], v[205:206]
	v_div_fixup_f64 v[203:204], v[201:202], v[197:198], v[199:200]
	v_fma_f64 v[197:198], v[199:200], v[203:204], v[197:198]
	v_div_scale_f64 v[199:200], null, v[197:198], v[197:198], 1.0
	v_rcp_f64_e32 v[201:202], v[199:200]
	v_fma_f64 v[205:206], -v[199:200], v[201:202], 1.0
	v_fma_f64 v[201:202], v[201:202], v[205:206], v[201:202]
	v_fma_f64 v[205:206], -v[199:200], v[201:202], 1.0
	v_fma_f64 v[201:202], v[201:202], v[205:206], v[201:202]
	v_div_scale_f64 v[205:206], vcc_lo, 1.0, v[197:198], 1.0
	v_mul_f64 v[207:208], v[205:206], v[201:202]
	v_fma_f64 v[199:200], -v[199:200], v[207:208], v[205:206]
	v_div_fmas_f64 v[199:200], v[199:200], v[201:202], v[207:208]
	v_div_fixup_f64 v[201:202], v[199:200], v[197:198], 1.0
	v_mul_f64 v[203:204], v[203:204], -v[201:202]
.LBB97_367:
	s_or_b32 exec_lo, exec_lo, s1
	ds_write2_b64 v255, v[201:202], v[203:204] offset1:1
.LBB97_368:
	s_or_b32 exec_lo, exec_lo, s2
	s_waitcnt lgkmcnt(0)
	s_barrier
	buffer_gl0_inv
	ds_read2_b64 v[197:200], v255 offset1:1
	s_mov_b32 s1, exec_lo
	s_waitcnt lgkmcnt(0)
	buffer_store_dword v197, off, s[16:19], 0 offset:936 ; 4-byte Folded Spill
	buffer_store_dword v198, off, s[16:19], 0 offset:940 ; 4-byte Folded Spill
	;; [unrolled: 1-line block ×4, first 2 shown]
	v_cmpx_lt_u32_e32 40, v0
	s_cbranch_execz .LBB97_370
; %bb.369:
	s_clause 0x3
	buffer_load_dword v203, off, s[16:19], 0 offset:936
	buffer_load_dword v204, off, s[16:19], 0 offset:940
	;; [unrolled: 1-line block ×4, first 2 shown]
	s_waitcnt vmcnt(2)
	v_mul_f64 v[197:198], v[203:204], v[35:36]
	s_waitcnt vmcnt(0)
	v_mul_f64 v[35:36], v[205:206], v[35:36]
	v_fma_f64 v[201:202], v[205:206], v[33:34], v[197:198]
	ds_read2_b64 v[197:200], v253 offset0:82 offset1:83
	v_fma_f64 v[33:34], v[203:204], v[33:34], -v[35:36]
	s_waitcnt lgkmcnt(0)
	v_mul_f64 v[35:36], v[199:200], v[201:202]
	v_fma_f64 v[35:36], v[197:198], v[33:34], -v[35:36]
	v_mul_f64 v[197:198], v[197:198], v[201:202]
	v_add_f64 v[29:30], v[29:30], -v[35:36]
	v_fma_f64 v[197:198], v[199:200], v[33:34], v[197:198]
	v_add_f64 v[31:32], v[31:32], -v[197:198]
	ds_read2_b64 v[197:200], v253 offset0:84 offset1:85
	s_waitcnt lgkmcnt(0)
	v_mul_f64 v[35:36], v[199:200], v[201:202]
	v_fma_f64 v[35:36], v[197:198], v[33:34], -v[35:36]
	v_mul_f64 v[197:198], v[197:198], v[201:202]
	v_add_f64 v[25:26], v[25:26], -v[35:36]
	v_fma_f64 v[197:198], v[199:200], v[33:34], v[197:198]
	v_add_f64 v[27:28], v[27:28], -v[197:198]
	ds_read2_b64 v[197:200], v253 offset0:86 offset1:87
	;; [unrolled: 8-line block ×7, first 2 shown]
	s_waitcnt lgkmcnt(0)
	v_mul_f64 v[35:36], v[199:200], v[201:202]
	v_fma_f64 v[35:36], v[197:198], v[33:34], -v[35:36]
	v_mul_f64 v[197:198], v[197:198], v[201:202]
	v_add_f64 v[1:2], v[1:2], -v[35:36]
	v_fma_f64 v[197:198], v[199:200], v[33:34], v[197:198]
	v_mov_b32_e32 v35, v201
	v_mov_b32_e32 v36, v202
	v_add_f64 v[3:4], v[3:4], -v[197:198]
.LBB97_370:
	s_or_b32 exec_lo, exec_lo, s1
	s_mov_b32 s2, exec_lo
	s_waitcnt_vscnt null, 0x0
	s_barrier
	buffer_gl0_inv
	v_cmpx_eq_u32_e32 41, v0
	s_cbranch_execz .LBB97_377
; %bb.371:
	ds_write2_b64 v255, v[29:30], v[31:32] offset1:1
	ds_write2_b64 v253, v[25:26], v[27:28] offset0:84 offset1:85
	ds_write2_b64 v253, v[21:22], v[23:24] offset0:86 offset1:87
	;; [unrolled: 1-line block ×7, first 2 shown]
	ds_read2_b64 v[197:200], v255 offset1:1
	s_waitcnt lgkmcnt(0)
	v_cmp_neq_f64_e32 vcc_lo, 0, v[197:198]
	v_cmp_neq_f64_e64 s1, 0, v[199:200]
	s_or_b32 s1, vcc_lo, s1
	s_and_b32 exec_lo, exec_lo, s1
	s_cbranch_execz .LBB97_377
; %bb.372:
	v_cmp_ngt_f64_e64 s1, |v[197:198]|, |v[199:200]|
                                        ; implicit-def: $vgpr201_vgpr202
	s_and_saveexec_b32 s3, s1
	s_xor_b32 s1, exec_lo, s3
                                        ; implicit-def: $vgpr203_vgpr204
	s_cbranch_execz .LBB97_374
; %bb.373:
	v_div_scale_f64 v[201:202], null, v[199:200], v[199:200], v[197:198]
	v_div_scale_f64 v[207:208], vcc_lo, v[197:198], v[199:200], v[197:198]
	v_rcp_f64_e32 v[203:204], v[201:202]
	v_fma_f64 v[205:206], -v[201:202], v[203:204], 1.0
	v_fma_f64 v[203:204], v[203:204], v[205:206], v[203:204]
	v_fma_f64 v[205:206], -v[201:202], v[203:204], 1.0
	v_fma_f64 v[203:204], v[203:204], v[205:206], v[203:204]
	v_mul_f64 v[205:206], v[207:208], v[203:204]
	v_fma_f64 v[201:202], -v[201:202], v[205:206], v[207:208]
	v_div_fmas_f64 v[201:202], v[201:202], v[203:204], v[205:206]
	v_div_fixup_f64 v[201:202], v[201:202], v[199:200], v[197:198]
	v_fma_f64 v[197:198], v[197:198], v[201:202], v[199:200]
	v_div_scale_f64 v[199:200], null, v[197:198], v[197:198], 1.0
	v_rcp_f64_e32 v[203:204], v[199:200]
	v_fma_f64 v[205:206], -v[199:200], v[203:204], 1.0
	v_fma_f64 v[203:204], v[203:204], v[205:206], v[203:204]
	v_fma_f64 v[205:206], -v[199:200], v[203:204], 1.0
	v_fma_f64 v[203:204], v[203:204], v[205:206], v[203:204]
	v_div_scale_f64 v[205:206], vcc_lo, 1.0, v[197:198], 1.0
	v_mul_f64 v[207:208], v[205:206], v[203:204]
	v_fma_f64 v[199:200], -v[199:200], v[207:208], v[205:206]
	v_div_fmas_f64 v[199:200], v[199:200], v[203:204], v[207:208]
	v_div_fixup_f64 v[203:204], v[199:200], v[197:198], 1.0
                                        ; implicit-def: $vgpr197_vgpr198
	v_mul_f64 v[201:202], v[201:202], v[203:204]
	v_xor_b32_e32 v204, 0x80000000, v204
.LBB97_374:
	s_andn2_saveexec_b32 s1, s1
	s_cbranch_execz .LBB97_376
; %bb.375:
	v_div_scale_f64 v[201:202], null, v[197:198], v[197:198], v[199:200]
	v_div_scale_f64 v[207:208], vcc_lo, v[199:200], v[197:198], v[199:200]
	v_rcp_f64_e32 v[203:204], v[201:202]
	v_fma_f64 v[205:206], -v[201:202], v[203:204], 1.0
	v_fma_f64 v[203:204], v[203:204], v[205:206], v[203:204]
	v_fma_f64 v[205:206], -v[201:202], v[203:204], 1.0
	v_fma_f64 v[203:204], v[203:204], v[205:206], v[203:204]
	v_mul_f64 v[205:206], v[207:208], v[203:204]
	v_fma_f64 v[201:202], -v[201:202], v[205:206], v[207:208]
	v_div_fmas_f64 v[201:202], v[201:202], v[203:204], v[205:206]
	v_div_fixup_f64 v[203:204], v[201:202], v[197:198], v[199:200]
	v_fma_f64 v[197:198], v[199:200], v[203:204], v[197:198]
	v_div_scale_f64 v[199:200], null, v[197:198], v[197:198], 1.0
	v_rcp_f64_e32 v[201:202], v[199:200]
	v_fma_f64 v[205:206], -v[199:200], v[201:202], 1.0
	v_fma_f64 v[201:202], v[201:202], v[205:206], v[201:202]
	v_fma_f64 v[205:206], -v[199:200], v[201:202], 1.0
	v_fma_f64 v[201:202], v[201:202], v[205:206], v[201:202]
	v_div_scale_f64 v[205:206], vcc_lo, 1.0, v[197:198], 1.0
	v_mul_f64 v[207:208], v[205:206], v[201:202]
	v_fma_f64 v[199:200], -v[199:200], v[207:208], v[205:206]
	v_div_fmas_f64 v[199:200], v[199:200], v[201:202], v[207:208]
	v_div_fixup_f64 v[201:202], v[199:200], v[197:198], 1.0
	v_mul_f64 v[203:204], v[203:204], -v[201:202]
.LBB97_376:
	s_or_b32 exec_lo, exec_lo, s1
	ds_write2_b64 v255, v[201:202], v[203:204] offset1:1
.LBB97_377:
	s_or_b32 exec_lo, exec_lo, s2
	s_waitcnt lgkmcnt(0)
	s_barrier
	buffer_gl0_inv
	ds_read2_b64 v[197:200], v255 offset1:1
	s_mov_b32 s1, exec_lo
	s_waitcnt lgkmcnt(0)
	buffer_store_dword v197, off, s[16:19], 0 offset:952 ; 4-byte Folded Spill
	buffer_store_dword v198, off, s[16:19], 0 offset:956 ; 4-byte Folded Spill
	;; [unrolled: 1-line block ×4, first 2 shown]
	v_cmpx_lt_u32_e32 41, v0
	s_cbranch_execz .LBB97_379
; %bb.378:
	s_clause 0x3
	buffer_load_dword v203, off, s[16:19], 0 offset:952
	buffer_load_dword v204, off, s[16:19], 0 offset:956
	;; [unrolled: 1-line block ×4, first 2 shown]
	s_waitcnt vmcnt(2)
	v_mul_f64 v[197:198], v[203:204], v[31:32]
	s_waitcnt vmcnt(0)
	v_mul_f64 v[31:32], v[205:206], v[31:32]
	v_fma_f64 v[201:202], v[205:206], v[29:30], v[197:198]
	ds_read2_b64 v[197:200], v253 offset0:84 offset1:85
	v_fma_f64 v[29:30], v[203:204], v[29:30], -v[31:32]
	s_waitcnt lgkmcnt(0)
	v_mul_f64 v[31:32], v[199:200], v[201:202]
	v_fma_f64 v[31:32], v[197:198], v[29:30], -v[31:32]
	v_mul_f64 v[197:198], v[197:198], v[201:202]
	v_add_f64 v[25:26], v[25:26], -v[31:32]
	v_fma_f64 v[197:198], v[199:200], v[29:30], v[197:198]
	v_add_f64 v[27:28], v[27:28], -v[197:198]
	ds_read2_b64 v[197:200], v253 offset0:86 offset1:87
	s_waitcnt lgkmcnt(0)
	v_mul_f64 v[31:32], v[199:200], v[201:202]
	v_fma_f64 v[31:32], v[197:198], v[29:30], -v[31:32]
	v_mul_f64 v[197:198], v[197:198], v[201:202]
	v_add_f64 v[21:22], v[21:22], -v[31:32]
	v_fma_f64 v[197:198], v[199:200], v[29:30], v[197:198]
	v_add_f64 v[23:24], v[23:24], -v[197:198]
	ds_read2_b64 v[197:200], v253 offset0:88 offset1:89
	;; [unrolled: 8-line block ×6, first 2 shown]
	s_waitcnt lgkmcnt(0)
	v_mul_f64 v[31:32], v[199:200], v[201:202]
	v_fma_f64 v[31:32], v[197:198], v[29:30], -v[31:32]
	v_mul_f64 v[197:198], v[197:198], v[201:202]
	v_add_f64 v[1:2], v[1:2], -v[31:32]
	v_fma_f64 v[197:198], v[199:200], v[29:30], v[197:198]
	v_mov_b32_e32 v31, v201
	v_mov_b32_e32 v32, v202
	v_add_f64 v[3:4], v[3:4], -v[197:198]
.LBB97_379:
	s_or_b32 exec_lo, exec_lo, s1
	s_mov_b32 s2, exec_lo
	s_waitcnt_vscnt null, 0x0
	s_barrier
	buffer_gl0_inv
	v_cmpx_eq_u32_e32 42, v0
	s_cbranch_execz .LBB97_386
; %bb.380:
	ds_write2_b64 v255, v[25:26], v[27:28] offset1:1
	ds_write2_b64 v253, v[21:22], v[23:24] offset0:86 offset1:87
	ds_write2_b64 v253, v[17:18], v[19:20] offset0:88 offset1:89
	;; [unrolled: 1-line block ×6, first 2 shown]
	ds_read2_b64 v[197:200], v255 offset1:1
	s_waitcnt lgkmcnt(0)
	v_cmp_neq_f64_e32 vcc_lo, 0, v[197:198]
	v_cmp_neq_f64_e64 s1, 0, v[199:200]
	s_or_b32 s1, vcc_lo, s1
	s_and_b32 exec_lo, exec_lo, s1
	s_cbranch_execz .LBB97_386
; %bb.381:
	v_cmp_ngt_f64_e64 s1, |v[197:198]|, |v[199:200]|
                                        ; implicit-def: $vgpr201_vgpr202
	s_and_saveexec_b32 s3, s1
	s_xor_b32 s1, exec_lo, s3
                                        ; implicit-def: $vgpr203_vgpr204
	s_cbranch_execz .LBB97_383
; %bb.382:
	v_div_scale_f64 v[201:202], null, v[199:200], v[199:200], v[197:198]
	v_div_scale_f64 v[207:208], vcc_lo, v[197:198], v[199:200], v[197:198]
	v_rcp_f64_e32 v[203:204], v[201:202]
	v_fma_f64 v[205:206], -v[201:202], v[203:204], 1.0
	v_fma_f64 v[203:204], v[203:204], v[205:206], v[203:204]
	v_fma_f64 v[205:206], -v[201:202], v[203:204], 1.0
	v_fma_f64 v[203:204], v[203:204], v[205:206], v[203:204]
	v_mul_f64 v[205:206], v[207:208], v[203:204]
	v_fma_f64 v[201:202], -v[201:202], v[205:206], v[207:208]
	v_div_fmas_f64 v[201:202], v[201:202], v[203:204], v[205:206]
	v_div_fixup_f64 v[201:202], v[201:202], v[199:200], v[197:198]
	v_fma_f64 v[197:198], v[197:198], v[201:202], v[199:200]
	v_div_scale_f64 v[199:200], null, v[197:198], v[197:198], 1.0
	v_rcp_f64_e32 v[203:204], v[199:200]
	v_fma_f64 v[205:206], -v[199:200], v[203:204], 1.0
	v_fma_f64 v[203:204], v[203:204], v[205:206], v[203:204]
	v_fma_f64 v[205:206], -v[199:200], v[203:204], 1.0
	v_fma_f64 v[203:204], v[203:204], v[205:206], v[203:204]
	v_div_scale_f64 v[205:206], vcc_lo, 1.0, v[197:198], 1.0
	v_mul_f64 v[207:208], v[205:206], v[203:204]
	v_fma_f64 v[199:200], -v[199:200], v[207:208], v[205:206]
	v_div_fmas_f64 v[199:200], v[199:200], v[203:204], v[207:208]
	v_div_fixup_f64 v[203:204], v[199:200], v[197:198], 1.0
                                        ; implicit-def: $vgpr197_vgpr198
	v_mul_f64 v[201:202], v[201:202], v[203:204]
	v_xor_b32_e32 v204, 0x80000000, v204
.LBB97_383:
	s_andn2_saveexec_b32 s1, s1
	s_cbranch_execz .LBB97_385
; %bb.384:
	v_div_scale_f64 v[201:202], null, v[197:198], v[197:198], v[199:200]
	v_div_scale_f64 v[207:208], vcc_lo, v[199:200], v[197:198], v[199:200]
	v_rcp_f64_e32 v[203:204], v[201:202]
	v_fma_f64 v[205:206], -v[201:202], v[203:204], 1.0
	v_fma_f64 v[203:204], v[203:204], v[205:206], v[203:204]
	v_fma_f64 v[205:206], -v[201:202], v[203:204], 1.0
	v_fma_f64 v[203:204], v[203:204], v[205:206], v[203:204]
	v_mul_f64 v[205:206], v[207:208], v[203:204]
	v_fma_f64 v[201:202], -v[201:202], v[205:206], v[207:208]
	v_div_fmas_f64 v[201:202], v[201:202], v[203:204], v[205:206]
	v_div_fixup_f64 v[203:204], v[201:202], v[197:198], v[199:200]
	v_fma_f64 v[197:198], v[199:200], v[203:204], v[197:198]
	v_div_scale_f64 v[199:200], null, v[197:198], v[197:198], 1.0
	v_rcp_f64_e32 v[201:202], v[199:200]
	v_fma_f64 v[205:206], -v[199:200], v[201:202], 1.0
	v_fma_f64 v[201:202], v[201:202], v[205:206], v[201:202]
	v_fma_f64 v[205:206], -v[199:200], v[201:202], 1.0
	v_fma_f64 v[201:202], v[201:202], v[205:206], v[201:202]
	v_div_scale_f64 v[205:206], vcc_lo, 1.0, v[197:198], 1.0
	v_mul_f64 v[207:208], v[205:206], v[201:202]
	v_fma_f64 v[199:200], -v[199:200], v[207:208], v[205:206]
	v_div_fmas_f64 v[199:200], v[199:200], v[201:202], v[207:208]
	v_div_fixup_f64 v[201:202], v[199:200], v[197:198], 1.0
	v_mul_f64 v[203:204], v[203:204], -v[201:202]
.LBB97_385:
	s_or_b32 exec_lo, exec_lo, s1
	ds_write2_b64 v255, v[201:202], v[203:204] offset1:1
.LBB97_386:
	s_or_b32 exec_lo, exec_lo, s2
	s_waitcnt lgkmcnt(0)
	s_barrier
	buffer_gl0_inv
	ds_read2_b64 v[197:200], v255 offset1:1
	s_mov_b32 s1, exec_lo
	v_cmpx_lt_u32_e32 42, v0
	s_cbranch_execz .LBB97_388
; %bb.387:
	s_waitcnt lgkmcnt(0)
	v_mul_f64 v[201:202], v[197:198], v[27:28]
	v_mul_f64 v[27:28], v[199:200], v[27:28]
	v_fma_f64 v[205:206], v[199:200], v[25:26], v[201:202]
	ds_read2_b64 v[201:204], v253 offset0:86 offset1:87
	v_fma_f64 v[25:26], v[197:198], v[25:26], -v[27:28]
	s_waitcnt lgkmcnt(0)
	v_mul_f64 v[27:28], v[203:204], v[205:206]
	v_fma_f64 v[27:28], v[201:202], v[25:26], -v[27:28]
	v_mul_f64 v[201:202], v[201:202], v[205:206]
	v_add_f64 v[21:22], v[21:22], -v[27:28]
	v_fma_f64 v[201:202], v[203:204], v[25:26], v[201:202]
	v_add_f64 v[23:24], v[23:24], -v[201:202]
	ds_read2_b64 v[201:204], v253 offset0:88 offset1:89
	s_waitcnt lgkmcnt(0)
	v_mul_f64 v[27:28], v[203:204], v[205:206]
	v_fma_f64 v[27:28], v[201:202], v[25:26], -v[27:28]
	v_mul_f64 v[201:202], v[201:202], v[205:206]
	v_add_f64 v[17:18], v[17:18], -v[27:28]
	v_fma_f64 v[201:202], v[203:204], v[25:26], v[201:202]
	v_add_f64 v[19:20], v[19:20], -v[201:202]
	ds_read2_b64 v[201:204], v253 offset0:90 offset1:91
	;; [unrolled: 8-line block ×5, first 2 shown]
	s_waitcnt lgkmcnt(0)
	v_mul_f64 v[27:28], v[203:204], v[205:206]
	v_fma_f64 v[27:28], v[201:202], v[25:26], -v[27:28]
	v_mul_f64 v[201:202], v[201:202], v[205:206]
	v_add_f64 v[1:2], v[1:2], -v[27:28]
	v_fma_f64 v[201:202], v[203:204], v[25:26], v[201:202]
	v_mov_b32_e32 v27, v205
	v_mov_b32_e32 v28, v206
	v_add_f64 v[3:4], v[3:4], -v[201:202]
.LBB97_388:
	s_or_b32 exec_lo, exec_lo, s1
	s_mov_b32 s2, exec_lo
	s_waitcnt lgkmcnt(0)
	s_barrier
	buffer_gl0_inv
	v_cmpx_eq_u32_e32 43, v0
	s_cbranch_execz .LBB97_395
; %bb.389:
	ds_write2_b64 v255, v[21:22], v[23:24] offset1:1
	ds_write2_b64 v253, v[17:18], v[19:20] offset0:88 offset1:89
	ds_write2_b64 v253, v[13:14], v[15:16] offset0:90 offset1:91
	;; [unrolled: 1-line block ×5, first 2 shown]
	ds_read2_b64 v[201:204], v255 offset1:1
	s_waitcnt lgkmcnt(0)
	v_cmp_neq_f64_e32 vcc_lo, 0, v[201:202]
	v_cmp_neq_f64_e64 s1, 0, v[203:204]
	s_or_b32 s1, vcc_lo, s1
	s_and_b32 exec_lo, exec_lo, s1
	s_cbranch_execz .LBB97_395
; %bb.390:
	v_cmp_ngt_f64_e64 s1, |v[201:202]|, |v[203:204]|
                                        ; implicit-def: $vgpr205_vgpr206
	s_and_saveexec_b32 s3, s1
	s_xor_b32 s1, exec_lo, s3
                                        ; implicit-def: $vgpr207_vgpr208
	s_cbranch_execz .LBB97_392
; %bb.391:
	v_div_scale_f64 v[205:206], null, v[203:204], v[203:204], v[201:202]
	v_div_scale_f64 v[211:212], vcc_lo, v[201:202], v[203:204], v[201:202]
	v_rcp_f64_e32 v[207:208], v[205:206]
	v_fma_f64 v[209:210], -v[205:206], v[207:208], 1.0
	v_fma_f64 v[207:208], v[207:208], v[209:210], v[207:208]
	v_fma_f64 v[209:210], -v[205:206], v[207:208], 1.0
	v_fma_f64 v[207:208], v[207:208], v[209:210], v[207:208]
	v_mul_f64 v[209:210], v[211:212], v[207:208]
	v_fma_f64 v[205:206], -v[205:206], v[209:210], v[211:212]
	v_div_fmas_f64 v[205:206], v[205:206], v[207:208], v[209:210]
	v_div_fixup_f64 v[205:206], v[205:206], v[203:204], v[201:202]
	v_fma_f64 v[201:202], v[201:202], v[205:206], v[203:204]
	v_div_scale_f64 v[203:204], null, v[201:202], v[201:202], 1.0
	v_rcp_f64_e32 v[207:208], v[203:204]
	v_fma_f64 v[209:210], -v[203:204], v[207:208], 1.0
	v_fma_f64 v[207:208], v[207:208], v[209:210], v[207:208]
	v_fma_f64 v[209:210], -v[203:204], v[207:208], 1.0
	v_fma_f64 v[207:208], v[207:208], v[209:210], v[207:208]
	v_div_scale_f64 v[209:210], vcc_lo, 1.0, v[201:202], 1.0
	v_mul_f64 v[211:212], v[209:210], v[207:208]
	v_fma_f64 v[203:204], -v[203:204], v[211:212], v[209:210]
	v_div_fmas_f64 v[203:204], v[203:204], v[207:208], v[211:212]
	v_div_fixup_f64 v[207:208], v[203:204], v[201:202], 1.0
                                        ; implicit-def: $vgpr201_vgpr202
	v_mul_f64 v[205:206], v[205:206], v[207:208]
	v_xor_b32_e32 v208, 0x80000000, v208
.LBB97_392:
	s_andn2_saveexec_b32 s1, s1
	s_cbranch_execz .LBB97_394
; %bb.393:
	v_div_scale_f64 v[205:206], null, v[201:202], v[201:202], v[203:204]
	v_div_scale_f64 v[211:212], vcc_lo, v[203:204], v[201:202], v[203:204]
	v_rcp_f64_e32 v[207:208], v[205:206]
	v_fma_f64 v[209:210], -v[205:206], v[207:208], 1.0
	v_fma_f64 v[207:208], v[207:208], v[209:210], v[207:208]
	v_fma_f64 v[209:210], -v[205:206], v[207:208], 1.0
	v_fma_f64 v[207:208], v[207:208], v[209:210], v[207:208]
	v_mul_f64 v[209:210], v[211:212], v[207:208]
	v_fma_f64 v[205:206], -v[205:206], v[209:210], v[211:212]
	v_div_fmas_f64 v[205:206], v[205:206], v[207:208], v[209:210]
	v_div_fixup_f64 v[207:208], v[205:206], v[201:202], v[203:204]
	v_fma_f64 v[201:202], v[203:204], v[207:208], v[201:202]
	v_div_scale_f64 v[203:204], null, v[201:202], v[201:202], 1.0
	v_rcp_f64_e32 v[205:206], v[203:204]
	v_fma_f64 v[209:210], -v[203:204], v[205:206], 1.0
	v_fma_f64 v[205:206], v[205:206], v[209:210], v[205:206]
	v_fma_f64 v[209:210], -v[203:204], v[205:206], 1.0
	v_fma_f64 v[205:206], v[205:206], v[209:210], v[205:206]
	v_div_scale_f64 v[209:210], vcc_lo, 1.0, v[201:202], 1.0
	v_mul_f64 v[211:212], v[209:210], v[205:206]
	v_fma_f64 v[203:204], -v[203:204], v[211:212], v[209:210]
	v_div_fmas_f64 v[203:204], v[203:204], v[205:206], v[211:212]
	v_div_fixup_f64 v[205:206], v[203:204], v[201:202], 1.0
	v_mul_f64 v[207:208], v[207:208], -v[205:206]
.LBB97_394:
	s_or_b32 exec_lo, exec_lo, s1
	ds_write2_b64 v255, v[205:206], v[207:208] offset1:1
.LBB97_395:
	s_or_b32 exec_lo, exec_lo, s2
	s_waitcnt lgkmcnt(0)
	s_barrier
	buffer_gl0_inv
	ds_read2_b64 v[201:204], v255 offset1:1
	s_mov_b32 s1, exec_lo
	v_cmpx_lt_u32_e32 43, v0
	s_cbranch_execz .LBB97_397
; %bb.396:
	s_waitcnt lgkmcnt(0)
	v_mul_f64 v[205:206], v[201:202], v[23:24]
	v_mul_f64 v[23:24], v[203:204], v[23:24]
	v_fma_f64 v[209:210], v[203:204], v[21:22], v[205:206]
	ds_read2_b64 v[205:208], v253 offset0:88 offset1:89
	v_fma_f64 v[21:22], v[201:202], v[21:22], -v[23:24]
	s_waitcnt lgkmcnt(0)
	v_mul_f64 v[23:24], v[207:208], v[209:210]
	v_fma_f64 v[23:24], v[205:206], v[21:22], -v[23:24]
	v_mul_f64 v[205:206], v[205:206], v[209:210]
	v_add_f64 v[17:18], v[17:18], -v[23:24]
	v_fma_f64 v[205:206], v[207:208], v[21:22], v[205:206]
	v_add_f64 v[19:20], v[19:20], -v[205:206]
	ds_read2_b64 v[205:208], v253 offset0:90 offset1:91
	s_waitcnt lgkmcnt(0)
	v_mul_f64 v[23:24], v[207:208], v[209:210]
	v_fma_f64 v[23:24], v[205:206], v[21:22], -v[23:24]
	v_mul_f64 v[205:206], v[205:206], v[209:210]
	v_add_f64 v[13:14], v[13:14], -v[23:24]
	v_fma_f64 v[205:206], v[207:208], v[21:22], v[205:206]
	v_add_f64 v[15:16], v[15:16], -v[205:206]
	ds_read2_b64 v[205:208], v253 offset0:92 offset1:93
	s_waitcnt lgkmcnt(0)
	v_mul_f64 v[23:24], v[207:208], v[209:210]
	v_fma_f64 v[23:24], v[205:206], v[21:22], -v[23:24]
	v_mul_f64 v[205:206], v[205:206], v[209:210]
	v_add_f64 v[9:10], v[9:10], -v[23:24]
	v_fma_f64 v[205:206], v[207:208], v[21:22], v[205:206]
	v_add_f64 v[11:12], v[11:12], -v[205:206]
	ds_read2_b64 v[205:208], v253 offset0:94 offset1:95
	s_waitcnt lgkmcnt(0)
	v_mul_f64 v[23:24], v[207:208], v[209:210]
	v_fma_f64 v[23:24], v[205:206], v[21:22], -v[23:24]
	v_mul_f64 v[205:206], v[205:206], v[209:210]
	v_add_f64 v[5:6], v[5:6], -v[23:24]
	v_fma_f64 v[205:206], v[207:208], v[21:22], v[205:206]
	v_add_f64 v[7:8], v[7:8], -v[205:206]
	ds_read2_b64 v[205:208], v253 offset0:96 offset1:97
	s_waitcnt lgkmcnt(0)
	v_mul_f64 v[23:24], v[207:208], v[209:210]
	v_fma_f64 v[23:24], v[205:206], v[21:22], -v[23:24]
	v_mul_f64 v[205:206], v[205:206], v[209:210]
	v_add_f64 v[1:2], v[1:2], -v[23:24]
	v_fma_f64 v[205:206], v[207:208], v[21:22], v[205:206]
	v_mov_b32_e32 v23, v209
	v_mov_b32_e32 v24, v210
	v_add_f64 v[3:4], v[3:4], -v[205:206]
.LBB97_397:
	s_or_b32 exec_lo, exec_lo, s1
	s_mov_b32 s2, exec_lo
	s_waitcnt lgkmcnt(0)
	s_barrier
	buffer_gl0_inv
	v_cmpx_eq_u32_e32 44, v0
	s_cbranch_execz .LBB97_404
; %bb.398:
	ds_write2_b64 v255, v[17:18], v[19:20] offset1:1
	ds_write2_b64 v253, v[13:14], v[15:16] offset0:90 offset1:91
	ds_write2_b64 v253, v[9:10], v[11:12] offset0:92 offset1:93
	;; [unrolled: 1-line block ×4, first 2 shown]
	ds_read2_b64 v[205:208], v255 offset1:1
	s_waitcnt lgkmcnt(0)
	v_cmp_neq_f64_e32 vcc_lo, 0, v[205:206]
	v_cmp_neq_f64_e64 s1, 0, v[207:208]
	s_or_b32 s1, vcc_lo, s1
	s_and_b32 exec_lo, exec_lo, s1
	s_cbranch_execz .LBB97_404
; %bb.399:
	v_cmp_ngt_f64_e64 s1, |v[205:206]|, |v[207:208]|
                                        ; implicit-def: $vgpr209_vgpr210
	s_and_saveexec_b32 s3, s1
	s_xor_b32 s1, exec_lo, s3
                                        ; implicit-def: $vgpr211_vgpr212
	s_cbranch_execz .LBB97_401
; %bb.400:
	v_div_scale_f64 v[209:210], null, v[207:208], v[207:208], v[205:206]
	v_div_scale_f64 v[215:216], vcc_lo, v[205:206], v[207:208], v[205:206]
	v_rcp_f64_e32 v[211:212], v[209:210]
	v_fma_f64 v[213:214], -v[209:210], v[211:212], 1.0
	v_fma_f64 v[211:212], v[211:212], v[213:214], v[211:212]
	v_fma_f64 v[213:214], -v[209:210], v[211:212], 1.0
	v_fma_f64 v[211:212], v[211:212], v[213:214], v[211:212]
	v_mul_f64 v[213:214], v[215:216], v[211:212]
	v_fma_f64 v[209:210], -v[209:210], v[213:214], v[215:216]
	v_div_fmas_f64 v[209:210], v[209:210], v[211:212], v[213:214]
	v_div_fixup_f64 v[209:210], v[209:210], v[207:208], v[205:206]
	v_fma_f64 v[205:206], v[205:206], v[209:210], v[207:208]
	v_div_scale_f64 v[207:208], null, v[205:206], v[205:206], 1.0
	v_rcp_f64_e32 v[211:212], v[207:208]
	v_fma_f64 v[213:214], -v[207:208], v[211:212], 1.0
	v_fma_f64 v[211:212], v[211:212], v[213:214], v[211:212]
	v_fma_f64 v[213:214], -v[207:208], v[211:212], 1.0
	v_fma_f64 v[211:212], v[211:212], v[213:214], v[211:212]
	v_div_scale_f64 v[213:214], vcc_lo, 1.0, v[205:206], 1.0
	v_mul_f64 v[215:216], v[213:214], v[211:212]
	v_fma_f64 v[207:208], -v[207:208], v[215:216], v[213:214]
	v_div_fmas_f64 v[207:208], v[207:208], v[211:212], v[215:216]
	v_div_fixup_f64 v[211:212], v[207:208], v[205:206], 1.0
                                        ; implicit-def: $vgpr205_vgpr206
	v_mul_f64 v[209:210], v[209:210], v[211:212]
	v_xor_b32_e32 v212, 0x80000000, v212
.LBB97_401:
	s_andn2_saveexec_b32 s1, s1
	s_cbranch_execz .LBB97_403
; %bb.402:
	v_div_scale_f64 v[209:210], null, v[205:206], v[205:206], v[207:208]
	v_div_scale_f64 v[215:216], vcc_lo, v[207:208], v[205:206], v[207:208]
	v_rcp_f64_e32 v[211:212], v[209:210]
	v_fma_f64 v[213:214], -v[209:210], v[211:212], 1.0
	v_fma_f64 v[211:212], v[211:212], v[213:214], v[211:212]
	v_fma_f64 v[213:214], -v[209:210], v[211:212], 1.0
	v_fma_f64 v[211:212], v[211:212], v[213:214], v[211:212]
	v_mul_f64 v[213:214], v[215:216], v[211:212]
	v_fma_f64 v[209:210], -v[209:210], v[213:214], v[215:216]
	v_div_fmas_f64 v[209:210], v[209:210], v[211:212], v[213:214]
	v_div_fixup_f64 v[211:212], v[209:210], v[205:206], v[207:208]
	v_fma_f64 v[205:206], v[207:208], v[211:212], v[205:206]
	v_div_scale_f64 v[207:208], null, v[205:206], v[205:206], 1.0
	v_rcp_f64_e32 v[209:210], v[207:208]
	v_fma_f64 v[213:214], -v[207:208], v[209:210], 1.0
	v_fma_f64 v[209:210], v[209:210], v[213:214], v[209:210]
	v_fma_f64 v[213:214], -v[207:208], v[209:210], 1.0
	v_fma_f64 v[209:210], v[209:210], v[213:214], v[209:210]
	v_div_scale_f64 v[213:214], vcc_lo, 1.0, v[205:206], 1.0
	v_mul_f64 v[215:216], v[213:214], v[209:210]
	v_fma_f64 v[207:208], -v[207:208], v[215:216], v[213:214]
	v_div_fmas_f64 v[207:208], v[207:208], v[209:210], v[215:216]
	v_div_fixup_f64 v[209:210], v[207:208], v[205:206], 1.0
	v_mul_f64 v[211:212], v[211:212], -v[209:210]
.LBB97_403:
	s_or_b32 exec_lo, exec_lo, s1
	ds_write2_b64 v255, v[209:210], v[211:212] offset1:1
.LBB97_404:
	s_or_b32 exec_lo, exec_lo, s2
	s_waitcnt lgkmcnt(0)
	s_barrier
	buffer_gl0_inv
	ds_read2_b64 v[205:208], v255 offset1:1
	s_mov_b32 s1, exec_lo
	v_cmpx_lt_u32_e32 44, v0
	s_cbranch_execz .LBB97_406
; %bb.405:
	s_waitcnt lgkmcnt(0)
	v_mul_f64 v[209:210], v[205:206], v[19:20]
	v_mul_f64 v[19:20], v[207:208], v[19:20]
	v_fma_f64 v[213:214], v[207:208], v[17:18], v[209:210]
	ds_read2_b64 v[209:212], v253 offset0:90 offset1:91
	v_fma_f64 v[17:18], v[205:206], v[17:18], -v[19:20]
	s_waitcnt lgkmcnt(0)
	v_mul_f64 v[19:20], v[211:212], v[213:214]
	v_fma_f64 v[19:20], v[209:210], v[17:18], -v[19:20]
	v_mul_f64 v[209:210], v[209:210], v[213:214]
	v_add_f64 v[13:14], v[13:14], -v[19:20]
	v_fma_f64 v[209:210], v[211:212], v[17:18], v[209:210]
	v_add_f64 v[15:16], v[15:16], -v[209:210]
	ds_read2_b64 v[209:212], v253 offset0:92 offset1:93
	s_waitcnt lgkmcnt(0)
	v_mul_f64 v[19:20], v[211:212], v[213:214]
	v_fma_f64 v[19:20], v[209:210], v[17:18], -v[19:20]
	v_mul_f64 v[209:210], v[209:210], v[213:214]
	v_add_f64 v[9:10], v[9:10], -v[19:20]
	v_fma_f64 v[209:210], v[211:212], v[17:18], v[209:210]
	v_add_f64 v[11:12], v[11:12], -v[209:210]
	ds_read2_b64 v[209:212], v253 offset0:94 offset1:95
	;; [unrolled: 8-line block ×3, first 2 shown]
	s_waitcnt lgkmcnt(0)
	v_mul_f64 v[19:20], v[211:212], v[213:214]
	v_fma_f64 v[19:20], v[209:210], v[17:18], -v[19:20]
	v_mul_f64 v[209:210], v[209:210], v[213:214]
	v_add_f64 v[1:2], v[1:2], -v[19:20]
	v_fma_f64 v[209:210], v[211:212], v[17:18], v[209:210]
	v_mov_b32_e32 v19, v213
	v_mov_b32_e32 v20, v214
	v_add_f64 v[3:4], v[3:4], -v[209:210]
.LBB97_406:
	s_or_b32 exec_lo, exec_lo, s1
	s_mov_b32 s2, exec_lo
	s_waitcnt lgkmcnt(0)
	s_barrier
	buffer_gl0_inv
	v_cmpx_eq_u32_e32 45, v0
	s_cbranch_execz .LBB97_413
; %bb.407:
	ds_write2_b64 v255, v[13:14], v[15:16] offset1:1
	ds_write2_b64 v253, v[9:10], v[11:12] offset0:92 offset1:93
	ds_write2_b64 v253, v[5:6], v[7:8] offset0:94 offset1:95
	;; [unrolled: 1-line block ×3, first 2 shown]
	ds_read2_b64 v[209:212], v255 offset1:1
	s_waitcnt lgkmcnt(0)
	v_cmp_neq_f64_e32 vcc_lo, 0, v[209:210]
	v_cmp_neq_f64_e64 s1, 0, v[211:212]
	s_or_b32 s1, vcc_lo, s1
	s_and_b32 exec_lo, exec_lo, s1
	s_cbranch_execz .LBB97_413
; %bb.408:
	v_cmp_ngt_f64_e64 s1, |v[209:210]|, |v[211:212]|
                                        ; implicit-def: $vgpr213_vgpr214
	s_and_saveexec_b32 s3, s1
	s_xor_b32 s1, exec_lo, s3
                                        ; implicit-def: $vgpr215_vgpr216
	s_cbranch_execz .LBB97_410
; %bb.409:
	v_div_scale_f64 v[213:214], null, v[211:212], v[211:212], v[209:210]
	v_div_scale_f64 v[219:220], vcc_lo, v[209:210], v[211:212], v[209:210]
	v_rcp_f64_e32 v[215:216], v[213:214]
	v_fma_f64 v[217:218], -v[213:214], v[215:216], 1.0
	v_fma_f64 v[215:216], v[215:216], v[217:218], v[215:216]
	v_fma_f64 v[217:218], -v[213:214], v[215:216], 1.0
	v_fma_f64 v[215:216], v[215:216], v[217:218], v[215:216]
	v_mul_f64 v[217:218], v[219:220], v[215:216]
	v_fma_f64 v[213:214], -v[213:214], v[217:218], v[219:220]
	v_div_fmas_f64 v[213:214], v[213:214], v[215:216], v[217:218]
	v_div_fixup_f64 v[213:214], v[213:214], v[211:212], v[209:210]
	v_fma_f64 v[209:210], v[209:210], v[213:214], v[211:212]
	v_div_scale_f64 v[211:212], null, v[209:210], v[209:210], 1.0
	v_rcp_f64_e32 v[215:216], v[211:212]
	v_fma_f64 v[217:218], -v[211:212], v[215:216], 1.0
	v_fma_f64 v[215:216], v[215:216], v[217:218], v[215:216]
	v_fma_f64 v[217:218], -v[211:212], v[215:216], 1.0
	v_fma_f64 v[215:216], v[215:216], v[217:218], v[215:216]
	v_div_scale_f64 v[217:218], vcc_lo, 1.0, v[209:210], 1.0
	v_mul_f64 v[219:220], v[217:218], v[215:216]
	v_fma_f64 v[211:212], -v[211:212], v[219:220], v[217:218]
	v_div_fmas_f64 v[211:212], v[211:212], v[215:216], v[219:220]
	v_div_fixup_f64 v[215:216], v[211:212], v[209:210], 1.0
                                        ; implicit-def: $vgpr209_vgpr210
	v_mul_f64 v[213:214], v[213:214], v[215:216]
	v_xor_b32_e32 v216, 0x80000000, v216
.LBB97_410:
	s_andn2_saveexec_b32 s1, s1
	s_cbranch_execz .LBB97_412
; %bb.411:
	v_div_scale_f64 v[213:214], null, v[209:210], v[209:210], v[211:212]
	v_div_scale_f64 v[219:220], vcc_lo, v[211:212], v[209:210], v[211:212]
	v_rcp_f64_e32 v[215:216], v[213:214]
	v_fma_f64 v[217:218], -v[213:214], v[215:216], 1.0
	v_fma_f64 v[215:216], v[215:216], v[217:218], v[215:216]
	v_fma_f64 v[217:218], -v[213:214], v[215:216], 1.0
	v_fma_f64 v[215:216], v[215:216], v[217:218], v[215:216]
	v_mul_f64 v[217:218], v[219:220], v[215:216]
	v_fma_f64 v[213:214], -v[213:214], v[217:218], v[219:220]
	v_div_fmas_f64 v[213:214], v[213:214], v[215:216], v[217:218]
	v_div_fixup_f64 v[215:216], v[213:214], v[209:210], v[211:212]
	v_fma_f64 v[209:210], v[211:212], v[215:216], v[209:210]
	v_div_scale_f64 v[211:212], null, v[209:210], v[209:210], 1.0
	v_rcp_f64_e32 v[213:214], v[211:212]
	v_fma_f64 v[217:218], -v[211:212], v[213:214], 1.0
	v_fma_f64 v[213:214], v[213:214], v[217:218], v[213:214]
	v_fma_f64 v[217:218], -v[211:212], v[213:214], 1.0
	v_fma_f64 v[213:214], v[213:214], v[217:218], v[213:214]
	v_div_scale_f64 v[217:218], vcc_lo, 1.0, v[209:210], 1.0
	v_mul_f64 v[219:220], v[217:218], v[213:214]
	v_fma_f64 v[211:212], -v[211:212], v[219:220], v[217:218]
	v_div_fmas_f64 v[211:212], v[211:212], v[213:214], v[219:220]
	v_div_fixup_f64 v[213:214], v[211:212], v[209:210], 1.0
	v_mul_f64 v[215:216], v[215:216], -v[213:214]
.LBB97_412:
	s_or_b32 exec_lo, exec_lo, s1
	ds_write2_b64 v255, v[213:214], v[215:216] offset1:1
.LBB97_413:
	s_or_b32 exec_lo, exec_lo, s2
	s_waitcnt lgkmcnt(0)
	s_barrier
	buffer_gl0_inv
	ds_read2_b64 v[237:240], v255 offset1:1
	s_mov_b32 s1, exec_lo
	v_cmpx_lt_u32_e32 45, v0
	s_cbranch_execz .LBB97_415
; %bb.414:
	s_waitcnt lgkmcnt(0)
	v_mul_f64 v[213:214], v[237:238], v[15:16]
	v_mul_f64 v[15:16], v[239:240], v[15:16]
	v_fma_f64 v[217:218], v[239:240], v[13:14], v[213:214]
	ds_read2_b64 v[213:216], v253 offset0:92 offset1:93
	v_fma_f64 v[13:14], v[237:238], v[13:14], -v[15:16]
	s_waitcnt lgkmcnt(0)
	v_mul_f64 v[15:16], v[215:216], v[217:218]
	v_fma_f64 v[15:16], v[213:214], v[13:14], -v[15:16]
	v_mul_f64 v[213:214], v[213:214], v[217:218]
	v_add_f64 v[9:10], v[9:10], -v[15:16]
	v_fma_f64 v[213:214], v[215:216], v[13:14], v[213:214]
	v_add_f64 v[11:12], v[11:12], -v[213:214]
	ds_read2_b64 v[213:216], v253 offset0:94 offset1:95
	s_waitcnt lgkmcnt(0)
	v_mul_f64 v[15:16], v[215:216], v[217:218]
	v_fma_f64 v[15:16], v[213:214], v[13:14], -v[15:16]
	v_mul_f64 v[213:214], v[213:214], v[217:218]
	v_add_f64 v[5:6], v[5:6], -v[15:16]
	v_fma_f64 v[213:214], v[215:216], v[13:14], v[213:214]
	v_add_f64 v[7:8], v[7:8], -v[213:214]
	ds_read2_b64 v[213:216], v253 offset0:96 offset1:97
	s_waitcnt lgkmcnt(0)
	v_mul_f64 v[15:16], v[215:216], v[217:218]
	v_fma_f64 v[15:16], v[213:214], v[13:14], -v[15:16]
	v_mul_f64 v[213:214], v[213:214], v[217:218]
	v_add_f64 v[1:2], v[1:2], -v[15:16]
	v_fma_f64 v[213:214], v[215:216], v[13:14], v[213:214]
	v_mov_b32_e32 v15, v217
	v_mov_b32_e32 v16, v218
	v_add_f64 v[3:4], v[3:4], -v[213:214]
.LBB97_415:
	s_or_b32 exec_lo, exec_lo, s1
	s_mov_b32 s2, exec_lo
	s_waitcnt lgkmcnt(0)
	s_barrier
	buffer_gl0_inv
	v_cmpx_eq_u32_e32 46, v0
	s_cbranch_execz .LBB97_422
; %bb.416:
	ds_write2_b64 v255, v[9:10], v[11:12] offset1:1
	ds_write2_b64 v253, v[5:6], v[7:8] offset0:94 offset1:95
	ds_write2_b64 v253, v[1:2], v[3:4] offset0:96 offset1:97
	ds_read2_b64 v[213:216], v255 offset1:1
	s_waitcnt lgkmcnt(0)
	v_cmp_neq_f64_e32 vcc_lo, 0, v[213:214]
	v_cmp_neq_f64_e64 s1, 0, v[215:216]
	s_or_b32 s1, vcc_lo, s1
	s_and_b32 exec_lo, exec_lo, s1
	s_cbranch_execz .LBB97_422
; %bb.417:
	v_cmp_ngt_f64_e64 s1, |v[213:214]|, |v[215:216]|
                                        ; implicit-def: $vgpr217_vgpr218
	s_and_saveexec_b32 s3, s1
	s_xor_b32 s1, exec_lo, s3
                                        ; implicit-def: $vgpr219_vgpr220
	s_cbranch_execz .LBB97_419
; %bb.418:
	v_div_scale_f64 v[217:218], null, v[215:216], v[215:216], v[213:214]
	v_div_scale_f64 v[223:224], vcc_lo, v[213:214], v[215:216], v[213:214]
	v_rcp_f64_e32 v[219:220], v[217:218]
	v_fma_f64 v[221:222], -v[217:218], v[219:220], 1.0
	v_fma_f64 v[219:220], v[219:220], v[221:222], v[219:220]
	v_fma_f64 v[221:222], -v[217:218], v[219:220], 1.0
	v_fma_f64 v[219:220], v[219:220], v[221:222], v[219:220]
	v_mul_f64 v[221:222], v[223:224], v[219:220]
	v_fma_f64 v[217:218], -v[217:218], v[221:222], v[223:224]
	v_div_fmas_f64 v[217:218], v[217:218], v[219:220], v[221:222]
	v_div_fixup_f64 v[217:218], v[217:218], v[215:216], v[213:214]
	v_fma_f64 v[213:214], v[213:214], v[217:218], v[215:216]
	v_div_scale_f64 v[215:216], null, v[213:214], v[213:214], 1.0
	v_rcp_f64_e32 v[219:220], v[215:216]
	v_fma_f64 v[221:222], -v[215:216], v[219:220], 1.0
	v_fma_f64 v[219:220], v[219:220], v[221:222], v[219:220]
	v_fma_f64 v[221:222], -v[215:216], v[219:220], 1.0
	v_fma_f64 v[219:220], v[219:220], v[221:222], v[219:220]
	v_div_scale_f64 v[221:222], vcc_lo, 1.0, v[213:214], 1.0
	v_mul_f64 v[223:224], v[221:222], v[219:220]
	v_fma_f64 v[215:216], -v[215:216], v[223:224], v[221:222]
	v_div_fmas_f64 v[215:216], v[215:216], v[219:220], v[223:224]
	v_div_fixup_f64 v[219:220], v[215:216], v[213:214], 1.0
                                        ; implicit-def: $vgpr213_vgpr214
	v_mul_f64 v[217:218], v[217:218], v[219:220]
	v_xor_b32_e32 v220, 0x80000000, v220
.LBB97_419:
	s_andn2_saveexec_b32 s1, s1
	s_cbranch_execz .LBB97_421
; %bb.420:
	v_div_scale_f64 v[217:218], null, v[213:214], v[213:214], v[215:216]
	v_div_scale_f64 v[223:224], vcc_lo, v[215:216], v[213:214], v[215:216]
	v_rcp_f64_e32 v[219:220], v[217:218]
	v_fma_f64 v[221:222], -v[217:218], v[219:220], 1.0
	v_fma_f64 v[219:220], v[219:220], v[221:222], v[219:220]
	v_fma_f64 v[221:222], -v[217:218], v[219:220], 1.0
	v_fma_f64 v[219:220], v[219:220], v[221:222], v[219:220]
	v_mul_f64 v[221:222], v[223:224], v[219:220]
	v_fma_f64 v[217:218], -v[217:218], v[221:222], v[223:224]
	v_div_fmas_f64 v[217:218], v[217:218], v[219:220], v[221:222]
	v_div_fixup_f64 v[219:220], v[217:218], v[213:214], v[215:216]
	v_fma_f64 v[213:214], v[215:216], v[219:220], v[213:214]
	v_div_scale_f64 v[215:216], null, v[213:214], v[213:214], 1.0
	v_rcp_f64_e32 v[217:218], v[215:216]
	v_fma_f64 v[221:222], -v[215:216], v[217:218], 1.0
	v_fma_f64 v[217:218], v[217:218], v[221:222], v[217:218]
	v_fma_f64 v[221:222], -v[215:216], v[217:218], 1.0
	v_fma_f64 v[217:218], v[217:218], v[221:222], v[217:218]
	v_div_scale_f64 v[221:222], vcc_lo, 1.0, v[213:214], 1.0
	v_mul_f64 v[223:224], v[221:222], v[217:218]
	v_fma_f64 v[215:216], -v[215:216], v[223:224], v[221:222]
	v_div_fmas_f64 v[215:216], v[215:216], v[217:218], v[223:224]
	v_div_fixup_f64 v[217:218], v[215:216], v[213:214], 1.0
	v_mul_f64 v[219:220], v[219:220], -v[217:218]
.LBB97_421:
	s_or_b32 exec_lo, exec_lo, s1
	ds_write2_b64 v255, v[217:218], v[219:220] offset1:1
.LBB97_422:
	s_or_b32 exec_lo, exec_lo, s2
	s_waitcnt lgkmcnt(0)
	s_barrier
	buffer_gl0_inv
	ds_read2_b64 v[213:216], v255 offset1:1
	s_mov_b32 s1, exec_lo
	v_cmpx_lt_u32_e32 46, v0
	s_cbranch_execz .LBB97_424
; %bb.423:
	s_waitcnt lgkmcnt(0)
	v_mul_f64 v[217:218], v[213:214], v[11:12]
	v_mul_f64 v[11:12], v[215:216], v[11:12]
	v_fma_f64 v[221:222], v[215:216], v[9:10], v[217:218]
	ds_read2_b64 v[217:220], v253 offset0:94 offset1:95
	v_fma_f64 v[9:10], v[213:214], v[9:10], -v[11:12]
	s_waitcnt lgkmcnt(0)
	v_mul_f64 v[11:12], v[219:220], v[221:222]
	v_fma_f64 v[11:12], v[217:218], v[9:10], -v[11:12]
	v_mul_f64 v[217:218], v[217:218], v[221:222]
	v_add_f64 v[5:6], v[5:6], -v[11:12]
	v_fma_f64 v[217:218], v[219:220], v[9:10], v[217:218]
	v_add_f64 v[7:8], v[7:8], -v[217:218]
	ds_read2_b64 v[217:220], v253 offset0:96 offset1:97
	s_waitcnt lgkmcnt(0)
	v_mul_f64 v[11:12], v[219:220], v[221:222]
	v_fma_f64 v[11:12], v[217:218], v[9:10], -v[11:12]
	v_mul_f64 v[217:218], v[217:218], v[221:222]
	v_add_f64 v[1:2], v[1:2], -v[11:12]
	v_fma_f64 v[217:218], v[219:220], v[9:10], v[217:218]
	v_mov_b32_e32 v11, v221
	v_mov_b32_e32 v12, v222
	v_add_f64 v[3:4], v[3:4], -v[217:218]
.LBB97_424:
	s_or_b32 exec_lo, exec_lo, s1
	s_mov_b32 s2, exec_lo
	s_waitcnt lgkmcnt(0)
	s_barrier
	buffer_gl0_inv
	v_cmpx_eq_u32_e32 47, v0
	s_cbranch_execz .LBB97_431
; %bb.425:
	ds_write2_b64 v255, v[5:6], v[7:8] offset1:1
	ds_write2_b64 v253, v[1:2], v[3:4] offset0:96 offset1:97
	ds_read2_b64 v[217:220], v255 offset1:1
	s_waitcnt lgkmcnt(0)
	v_cmp_neq_f64_e32 vcc_lo, 0, v[217:218]
	v_cmp_neq_f64_e64 s1, 0, v[219:220]
	s_or_b32 s1, vcc_lo, s1
	s_and_b32 exec_lo, exec_lo, s1
	s_cbranch_execz .LBB97_431
; %bb.426:
	v_cmp_ngt_f64_e64 s1, |v[217:218]|, |v[219:220]|
                                        ; implicit-def: $vgpr221_vgpr222
	s_and_saveexec_b32 s3, s1
	s_xor_b32 s1, exec_lo, s3
                                        ; implicit-def: $vgpr223_vgpr224
	s_cbranch_execz .LBB97_428
; %bb.427:
	v_div_scale_f64 v[221:222], null, v[219:220], v[219:220], v[217:218]
	v_div_scale_f64 v[227:228], vcc_lo, v[217:218], v[219:220], v[217:218]
	v_rcp_f64_e32 v[223:224], v[221:222]
	v_fma_f64 v[225:226], -v[221:222], v[223:224], 1.0
	v_fma_f64 v[223:224], v[223:224], v[225:226], v[223:224]
	v_fma_f64 v[225:226], -v[221:222], v[223:224], 1.0
	v_fma_f64 v[223:224], v[223:224], v[225:226], v[223:224]
	v_mul_f64 v[225:226], v[227:228], v[223:224]
	v_fma_f64 v[221:222], -v[221:222], v[225:226], v[227:228]
	v_div_fmas_f64 v[221:222], v[221:222], v[223:224], v[225:226]
	v_div_fixup_f64 v[221:222], v[221:222], v[219:220], v[217:218]
	v_fma_f64 v[217:218], v[217:218], v[221:222], v[219:220]
	v_div_scale_f64 v[219:220], null, v[217:218], v[217:218], 1.0
	v_rcp_f64_e32 v[223:224], v[219:220]
	v_fma_f64 v[225:226], -v[219:220], v[223:224], 1.0
	v_fma_f64 v[223:224], v[223:224], v[225:226], v[223:224]
	v_fma_f64 v[225:226], -v[219:220], v[223:224], 1.0
	v_fma_f64 v[223:224], v[223:224], v[225:226], v[223:224]
	v_div_scale_f64 v[225:226], vcc_lo, 1.0, v[217:218], 1.0
	v_mul_f64 v[227:228], v[225:226], v[223:224]
	v_fma_f64 v[219:220], -v[219:220], v[227:228], v[225:226]
	v_div_fmas_f64 v[219:220], v[219:220], v[223:224], v[227:228]
	v_div_fixup_f64 v[223:224], v[219:220], v[217:218], 1.0
                                        ; implicit-def: $vgpr217_vgpr218
	v_mul_f64 v[221:222], v[221:222], v[223:224]
	v_xor_b32_e32 v224, 0x80000000, v224
.LBB97_428:
	s_andn2_saveexec_b32 s1, s1
	s_cbranch_execz .LBB97_430
; %bb.429:
	v_div_scale_f64 v[221:222], null, v[217:218], v[217:218], v[219:220]
	v_div_scale_f64 v[227:228], vcc_lo, v[219:220], v[217:218], v[219:220]
	v_rcp_f64_e32 v[223:224], v[221:222]
	v_fma_f64 v[225:226], -v[221:222], v[223:224], 1.0
	v_fma_f64 v[223:224], v[223:224], v[225:226], v[223:224]
	v_fma_f64 v[225:226], -v[221:222], v[223:224], 1.0
	v_fma_f64 v[223:224], v[223:224], v[225:226], v[223:224]
	v_mul_f64 v[225:226], v[227:228], v[223:224]
	v_fma_f64 v[221:222], -v[221:222], v[225:226], v[227:228]
	v_div_fmas_f64 v[221:222], v[221:222], v[223:224], v[225:226]
	v_div_fixup_f64 v[223:224], v[221:222], v[217:218], v[219:220]
	v_fma_f64 v[217:218], v[219:220], v[223:224], v[217:218]
	v_div_scale_f64 v[219:220], null, v[217:218], v[217:218], 1.0
	v_rcp_f64_e32 v[221:222], v[219:220]
	v_fma_f64 v[225:226], -v[219:220], v[221:222], 1.0
	v_fma_f64 v[221:222], v[221:222], v[225:226], v[221:222]
	v_fma_f64 v[225:226], -v[219:220], v[221:222], 1.0
	v_fma_f64 v[221:222], v[221:222], v[225:226], v[221:222]
	v_div_scale_f64 v[225:226], vcc_lo, 1.0, v[217:218], 1.0
	v_mul_f64 v[227:228], v[225:226], v[221:222]
	v_fma_f64 v[219:220], -v[219:220], v[227:228], v[225:226]
	v_div_fmas_f64 v[219:220], v[219:220], v[221:222], v[227:228]
	v_div_fixup_f64 v[221:222], v[219:220], v[217:218], 1.0
	v_mul_f64 v[223:224], v[223:224], -v[221:222]
.LBB97_430:
	s_or_b32 exec_lo, exec_lo, s1
	ds_write2_b64 v255, v[221:222], v[223:224] offset1:1
.LBB97_431:
	s_or_b32 exec_lo, exec_lo, s2
	s_waitcnt lgkmcnt(0)
	s_barrier
	buffer_gl0_inv
	ds_read2_b64 v[217:220], v255 offset1:1
	s_mov_b32 s1, exec_lo
	v_cmpx_lt_u32_e32 47, v0
	s_cbranch_execz .LBB97_433
; %bb.432:
	s_waitcnt lgkmcnt(0)
	v_mul_f64 v[221:222], v[217:218], v[7:8]
	v_mul_f64 v[7:8], v[219:220], v[7:8]
	v_fma_f64 v[225:226], v[219:220], v[5:6], v[221:222]
	ds_read2_b64 v[221:224], v253 offset0:96 offset1:97
	v_fma_f64 v[5:6], v[217:218], v[5:6], -v[7:8]
	s_waitcnt lgkmcnt(0)
	v_mul_f64 v[7:8], v[223:224], v[225:226]
	v_fma_f64 v[7:8], v[221:222], v[5:6], -v[7:8]
	v_mul_f64 v[221:222], v[221:222], v[225:226]
	v_add_f64 v[1:2], v[1:2], -v[7:8]
	v_fma_f64 v[221:222], v[223:224], v[5:6], v[221:222]
	v_mov_b32_e32 v7, v225
	v_mov_b32_e32 v8, v226
	v_add_f64 v[3:4], v[3:4], -v[221:222]
.LBB97_433:
	s_or_b32 exec_lo, exec_lo, s1
	s_mov_b32 s2, exec_lo
	s_waitcnt lgkmcnt(0)
	s_barrier
	buffer_gl0_inv
	v_cmpx_eq_u32_e32 48, v0
	s_cbranch_execz .LBB97_440
; %bb.434:
	v_cmp_neq_f64_e32 vcc_lo, 0, v[1:2]
	v_cmp_neq_f64_e64 s1, 0, v[3:4]
	ds_write2_b64 v255, v[1:2], v[3:4] offset1:1
	s_or_b32 s1, vcc_lo, s1
	s_and_b32 exec_lo, exec_lo, s1
	s_cbranch_execz .LBB97_440
; %bb.435:
	v_cmp_ngt_f64_e64 s1, |v[1:2]|, |v[3:4]|
                                        ; implicit-def: $vgpr221_vgpr222
	s_and_saveexec_b32 s3, s1
	s_xor_b32 s1, exec_lo, s3
                                        ; implicit-def: $vgpr223_vgpr224
	s_cbranch_execz .LBB97_437
; %bb.436:
	v_div_scale_f64 v[221:222], null, v[3:4], v[3:4], v[1:2]
	v_div_scale_f64 v[227:228], vcc_lo, v[1:2], v[3:4], v[1:2]
	buffer_store_dword v237, off, s[16:19], 0 offset:1008 ; 4-byte Folded Spill
	buffer_store_dword v238, off, s[16:19], 0 offset:1012 ; 4-byte Folded Spill
	;; [unrolled: 1-line block ×4, first 2 shown]
	v_mov_b32_e32 v240, v208
	v_mov_b32_e32 v239, v207
	;; [unrolled: 1-line block ×17, first 2 shown]
	v_rcp_f64_e32 v[223:224], v[221:222]
	v_mov_b32_e32 v14, v18
	v_mov_b32_e32 v15, v19
	;; [unrolled: 1-line block ×23, first 2 shown]
	v_fma_f64 v[225:226], -v[221:222], v[223:224], 1.0
	v_mov_b32_e32 v37, v41
	v_mov_b32_e32 v38, v42
	v_mov_b32_e32 v39, v43
	v_mov_b32_e32 v40, v44
	v_mov_b32_e32 v41, v45
	v_mov_b32_e32 v42, v46
	v_mov_b32_e32 v43, v47
	v_mov_b32_e32 v44, v48
	v_mov_b32_e32 v45, v49
	v_mov_b32_e32 v46, v50
	v_mov_b32_e32 v47, v51
	v_mov_b32_e32 v48, v52
	v_mov_b32_e32 v49, v53
	v_mov_b32_e32 v212, v204
	v_mov_b32_e32 v50, v54
	v_mov_b32_e32 v51, v55
	v_mov_b32_e32 v52, v56
	v_mov_b32_e32 v53, v57
	v_mov_b32_e32 v211, v203
	v_mov_b32_e32 v210, v202
	v_mov_b32_e32 v209, v201
	v_fma_f64 v[223:224], v[223:224], v[225:226], v[223:224]
	v_mov_b32_e32 v204, v64
	v_mov_b32_e32 v54, v58
	;; [unrolled: 1-line block ×21, first 2 shown]
	v_fma_f64 v[225:226], -v[221:222], v[223:224], 1.0
	v_mov_b32_e32 v66, v70
	v_mov_b32_e32 v67, v71
	;; [unrolled: 1-line block ×21, first 2 shown]
	v_fma_f64 v[223:224], v[223:224], v[225:226], v[223:224]
	v_mov_b32_e32 v115, v119
	v_mov_b32_e32 v116, v120
	;; [unrolled: 1-line block ×21, first 2 shown]
	v_mul_f64 v[225:226], v[227:228], v[223:224]
	v_mov_b32_e32 v88, v92
	v_mov_b32_e32 v89, v93
	;; [unrolled: 1-line block ×21, first 2 shown]
	v_fma_f64 v[221:222], -v[221:222], v[225:226], v[227:228]
	v_mov_b32_e32 v137, v249
	v_mov_b32_e32 v98, v102
	;; [unrolled: 1-line block ×21, first 2 shown]
	v_div_fmas_f64 v[221:222], v[221:222], v[223:224], v[225:226]
	v_mov_b32_e32 v147, v151
	v_mov_b32_e32 v148, v152
	;; [unrolled: 1-line block ×21, first 2 shown]
	v_div_fixup_f64 v[221:222], v[221:222], v[3:4], v[1:2]
	v_mov_b32_e32 v193, v165
	v_mov_b32_e32 v165, v169
	;; [unrolled: 1-line block ×21, first 2 shown]
	v_fma_f64 v[223:224], v[1:2], v[221:222], v[3:4]
	v_mov_b32_e32 v177, v181
	v_mov_b32_e32 v178, v182
	;; [unrolled: 1-line block ×16, first 2 shown]
	v_div_scale_f64 v[225:226], null, v[223:224], v[223:224], 1.0
	v_rcp_f64_e32 v[227:228], v[225:226]
	v_fma_f64 v[253:254], -v[225:226], v[227:228], 1.0
	v_fma_f64 v[227:228], v[227:228], v[253:254], v[227:228]
	v_fma_f64 v[253:254], -v[225:226], v[227:228], 1.0
	v_fma_f64 v[227:228], v[227:228], v[253:254], v[227:228]
	v_div_scale_f64 v[253:254], vcc_lo, 1.0, v[223:224], 1.0
	v_mul_f64 v[229:230], v[253:254], v[227:228]
	v_fma_f64 v[225:226], -v[225:226], v[229:230], v[253:254]
	v_div_fmas_f64 v[225:226], v[225:226], v[227:228], v[229:230]
	v_mov_b32_e32 v232, v184
	v_mov_b32_e32 v231, v183
	;; [unrolled: 1-line block ×164, first 2 shown]
	s_clause 0x3
	buffer_load_dword v237, off, s[16:19], 0 offset:1008
	buffer_load_dword v238, off, s[16:19], 0 offset:1012
	;; [unrolled: 1-line block ×4, first 2 shown]
	v_div_fixup_f64 v[223:224], v[225:226], v[223:224], 1.0
	v_mov_b32_e32 v248, v104
	v_mov_b32_e32 v247, v103
	;; [unrolled: 1-line block ×21, first 2 shown]
	v_mul_f64 v[221:222], v[221:222], v[223:224]
	v_mov_b32_e32 v87, v83
	v_mov_b32_e32 v86, v82
	v_mov_b32_e32 v85, v81
	v_mov_b32_e32 v84, v80
	v_mov_b32_e32 v83, v79
	v_mov_b32_e32 v82, v78
	v_mov_b32_e32 v81, v77
	v_mov_b32_e32 v80, v76
	v_mov_b32_e32 v79, v75
	v_mov_b32_e32 v78, v74
	v_mov_b32_e32 v77, v73
	v_mov_b32_e32 v76, v72
	v_mov_b32_e32 v75, v71
	v_mov_b32_e32 v74, v70
	v_mov_b32_e32 v73, v69
	v_mov_b32_e32 v72, v68
	v_mov_b32_e32 v71, v67
	v_mov_b32_e32 v70, v66
	v_mov_b32_e32 v69, v65
	v_mov_b32_e32 v68, v64
	v_mov_b32_e32 v67, v63
	v_mov_b32_e32 v66, v62
	v_mov_b32_e32 v65, v61
	v_mov_b32_e32 v61, v201
	v_mov_b32_e32 v62, v202
	v_mov_b32_e32 v63, v203
	v_mov_b32_e32 v64, v204
	v_mov_b32_e32 v201, v209
	v_mov_b32_e32 v202, v210
	v_mov_b32_e32 v203, v211
	v_mov_b32_e32 v204, v212
	v_xor_b32_e32 v224, 0x80000000, v224
.LBB97_437:
	s_andn2_saveexec_b32 s1, s1
	s_cbranch_execz .LBB97_439
; %bb.438:
	v_div_scale_f64 v[221:222], null, v[1:2], v[1:2], v[3:4]
	v_div_scale_f64 v[227:228], vcc_lo, v[3:4], v[1:2], v[3:4]
	v_mov_b32_e32 v212, v208
	v_mov_b32_e32 v211, v207
	;; [unrolled: 1-line block ×18, first 2 shown]
	v_rcp_f64_e32 v[223:224], v[221:222]
	v_mov_b32_e32 v11, v15
	v_mov_b32_e32 v12, v16
	;; [unrolled: 1-line block ×23, first 2 shown]
	v_fma_f64 v[225:226], -v[221:222], v[223:224], 1.0
	v_mov_b32_e32 v34, v38
	v_mov_b32_e32 v35, v39
	;; [unrolled: 1-line block ×21, first 2 shown]
	v_fma_f64 v[223:224], v[223:224], v[225:226], v[223:224]
	v_mov_b32_e32 v55, v59
	v_mov_b32_e32 v56, v60
	;; [unrolled: 1-line block ×21, first 2 shown]
	v_fma_f64 v[225:226], -v[221:222], v[223:224], 1.0
	v_mov_b32_e32 v144, v148
	v_mov_b32_e32 v145, v149
	;; [unrolled: 1-line block ×21, first 2 shown]
	v_fma_f64 v[223:224], v[223:224], v[225:226], v[223:224]
	v_mov_b32_e32 v196, v168
	v_mov_b32_e32 v195, v167
	;; [unrolled: 1-line block ×21, first 2 shown]
	v_mul_f64 v[225:226], v[227:228], v[223:224]
	v_mov_b32_e32 v174, v178
	v_mov_b32_e32 v175, v179
	;; [unrolled: 1-line block ×17, first 2 shown]
	v_fma_f64 v[221:222], -v[221:222], v[225:226], v[227:228]
	v_mov_b32_e32 v243, v245
	v_mov_b32_e32 v244, v246
	v_div_fmas_f64 v[221:222], v[221:222], v[223:224], v[225:226]
	v_div_fixup_f64 v[223:224], v[221:222], v[1:2], v[3:4]
	v_fma_f64 v[221:222], v[3:4], v[223:224], v[1:2]
	v_div_scale_f64 v[225:226], null, v[221:222], v[221:222], 1.0
	v_rcp_f64_e32 v[227:228], v[225:226]
	v_fma_f64 v[229:230], -v[225:226], v[227:228], 1.0
	v_fma_f64 v[227:228], v[227:228], v[229:230], v[227:228]
	v_fma_f64 v[229:230], -v[225:226], v[227:228], 1.0
	v_fma_f64 v[227:228], v[227:228], v[229:230], v[227:228]
	v_div_scale_f64 v[229:230], vcc_lo, 1.0, v[221:222], 1.0
	v_mul_f64 v[231:232], v[229:230], v[227:228]
	v_fma_f64 v[225:226], -v[225:226], v[231:232], v[229:230]
	v_div_fmas_f64 v[225:226], v[225:226], v[227:228], v[231:232]
	v_mov_b32_e32 v232, v184
	v_mov_b32_e32 v231, v183
	;; [unrolled: 1-line block ×21, first 2 shown]
	v_div_fixup_f64 v[221:222], v[225:226], v[221:222], 1.0
	v_mov_b32_e32 v187, v171
	v_mov_b32_e32 v186, v170
	;; [unrolled: 1-line block ×44, first 2 shown]
	v_mul_f64 v[223:224], v[223:224], -v[221:222]
	v_mov_b32_e32 v199, v59
	v_mov_b32_e32 v198, v58
	;; [unrolled: 1-line block ×71, first 2 shown]
.LBB97_439:
	s_or_b32 exec_lo, exec_lo, s1
	ds_write2_b64 v255, v[221:222], v[223:224] offset1:1
.LBB97_440:
	s_or_b32 exec_lo, exec_lo, s2
	s_waitcnt vmcnt(0) lgkmcnt(0)
	s_waitcnt_vscnt null, 0x0
	s_barrier
	buffer_gl0_inv
	ds_read2_b64 v[221:224], v255 offset1:1
	s_mov_b32 s1, exec_lo
	v_cmpx_lt_u32_e32 48, v0
	s_cbranch_execz .LBB97_442
; %bb.441:
	s_waitcnt lgkmcnt(0)
	v_mul_f64 v[225:226], v[223:224], v[3:4]
	v_mul_f64 v[3:4], v[221:222], v[3:4]
	v_fma_f64 v[225:226], v[221:222], v[1:2], -v[225:226]
	v_fma_f64 v[3:4], v[223:224], v[1:2], v[3:4]
	v_mov_b32_e32 v1, v225
	v_mov_b32_e32 v2, v226
.LBB97_442:
	s_or_b32 exec_lo, exec_lo, s1
	s_waitcnt lgkmcnt(0)
	s_barrier
	buffer_gl0_inv
	s_and_saveexec_b32 s7, s0
	s_cbranch_execz .LBB97_445
; %bb.443:
	v_mov_b32_e32 v212, v208
	v_mov_b32_e32 v211, v207
	;; [unrolled: 1-line block ×50, first 2 shown]
	s_clause 0x3
	buffer_load_dword v237, off, s[16:19], 0 offset:968
	buffer_load_dword v238, off, s[16:19], 0 offset:972
	buffer_load_dword v239, off, s[16:19], 0 offset:976
	buffer_load_dword v240, off, s[16:19], 0 offset:980
	v_mov_b32_e32 v174, v178
	v_mov_b32_e32 v175, v179
	;; [unrolled: 1-line block ×6, first 2 shown]
	s_clause 0x7
	buffer_load_dword v229, off, s[16:19], 0 offset:352
	buffer_load_dword v230, off, s[16:19], 0 offset:356
	;; [unrolled: 1-line block ×8, first 2 shown]
	v_cmp_neq_f64_e64 s1, 0, v[181:182]
	v_cmp_neq_f64_e64 s2, 0, v[183:184]
	v_mov_b32_e32 v181, v233
	v_mov_b32_e32 v182, v234
	;; [unrolled: 1-line block ×4, first 2 shown]
	s_or_b32 s1, s1, s2
	s_waitcnt vmcnt(6)
	v_cmp_eq_f64_e32 vcc_lo, 0, v[229:230]
	s_waitcnt vmcnt(2)
	v_cmp_eq_f64_e64 s3, 0, v[177:178]
	v_cmp_eq_f64_e64 s0, 0, v[231:232]
	s_waitcnt vmcnt(0)
	v_cmp_eq_f64_e64 s4, 0, v[179:180]
	s_clause 0x3
	buffer_load_dword v177, off, s[16:19], 0 offset:416
	buffer_load_dword v178, off, s[16:19], 0 offset:420
	;; [unrolled: 1-line block ×4, first 2 shown]
	s_and_b32 s0, vcc_lo, s0
	s_and_b32 s3, s3, s4
	v_cndmask_b32_e64 v0, 0, 1, s0
	s_or_b32 s0, s1, s0
	v_cmp_eq_f64_e64 s4, 0, v[175:176]
	v_cndmask_b32_e64 v0, 2, v0, s0
	v_cmp_eq_u32_e64 s0, 0, v0
	s_and_b32 s0, s3, s0
	v_cmp_eq_f64_e64 s3, 0, v[173:174]
	v_cndmask_b32_e64 v0, v0, 3, s0
	v_mov_b32_e32 v173, v225
	v_mov_b32_e32 v174, v226
	v_mov_b32_e32 v175, v227
	v_mov_b32_e32 v176, v228
	v_cmp_eq_u32_e64 s0, 0, v0
	s_and_b32 s3, s3, s4
	v_cmp_eq_f64_e64 s4, 0, v[171:172]
	s_waitcnt vmcnt(2)
	v_cmp_eq_f64_e64 s5, 0, v[177:178]
	s_waitcnt vmcnt(0)
	v_cmp_eq_f64_e32 vcc_lo, 0, v[179:180]
	s_clause 0x3
	buffer_load_dword v177, off, s[16:19], 0 offset:432
	buffer_load_dword v178, off, s[16:19], 0 offset:436
	;; [unrolled: 1-line block ×4, first 2 shown]
	s_and_b32 s5, s5, vcc_lo
	s_and_b32 s0, s5, s0
	v_cmp_eq_f64_e64 s5, 0, v[239:240]
	v_cndmask_b32_e64 v0, v0, 4, s0
	v_cmp_eq_f64_e64 s0, 0, v[237:238]
	v_cmp_eq_u32_e32 vcc_lo, 0, v0
	s_and_b32 s0, s0, s5
	v_cmp_eq_f64_e64 s5, 0, v[167:168]
	s_waitcnt vmcnt(2)
	v_cmp_eq_f64_e64 s1, 0, v[177:178]
	s_waitcnt vmcnt(0)
	v_cmp_eq_f64_e64 s2, 0, v[179:180]
	s_and_b32 s1, s1, s2
	v_cmp_eq_f64_e64 s2, 0, v[187:188]
	s_and_b32 s1, s1, vcc_lo
	v_cndmask_b32_e64 v0, v0, 5, s1
	v_cmp_eq_f64_e64 s1, 0, v[185:186]
	v_cmp_eq_u32_e32 vcc_lo, 0, v0
	s_and_b32 s3, s3, vcc_lo
	v_cndmask_b32_e64 v0, v0, 6, s3
	v_cmp_eq_f64_e64 s3, 0, v[169:170]
	s_clause 0x3
	buffer_load_dword v169, off, s[16:19], 0 offset:504
	buffer_load_dword v170, off, s[16:19], 0 offset:508
	;; [unrolled: 1-line block ×4, first 2 shown]
	v_cmp_eq_u32_e32 vcc_lo, 0, v0
	s_and_b32 s0, s0, vcc_lo
	s_and_b32 s1, s1, s2
	v_cndmask_b32_e64 v0, v0, 7, s0
	v_cmp_eq_f64_e64 s0, 0, v[165:166]
	v_cmp_eq_f64_e64 s2, 0, v[195:196]
	v_mov_b32_e32 v165, v245
	v_mov_b32_e32 v166, v246
	v_cmp_eq_u32_e32 vcc_lo, 0, v0
	v_mov_b32_e32 v167, v247
	v_mov_b32_e32 v168, v248
	s_and_b32 s1, s1, vcc_lo
	s_and_b32 s3, s3, s4
	v_cndmask_b32_e64 v0, v0, 8, s1
	v_cmp_eq_f64_e64 s1, 0, v[193:194]
	v_cmp_eq_f64_e64 s4, 0, v[251:252]
	v_cmp_eq_u32_e32 vcc_lo, 0, v0
	s_and_b32 s3, s3, vcc_lo
	s_and_b32 s0, s0, s5
	v_cndmask_b32_e64 v0, v0, 9, s3
	v_cmp_eq_f64_e64 s3, 0, v[249:250]
	v_cmp_eq_f64_e64 s5, 0, v[103:104]
	v_cmp_eq_u32_e32 vcc_lo, 0, v0
	s_and_b32 s0, s0, vcc_lo
	s_and_b32 s1, s1, s2
	v_cndmask_b32_e64 v0, v0, 10, s0
	v_cmp_eq_f64_e64 s0, 0, v[101:102]
	v_mov_b32_e32 v101, v197
	v_mov_b32_e32 v102, v198
	;; [unrolled: 1-line block ×3, first 2 shown]
	v_cmp_eq_u32_e32 vcc_lo, 0, v0
	v_mov_b32_e32 v104, v200
	s_and_b32 s1, s1, vcc_lo
	s_and_b32 s3, s3, s4
	v_cndmask_b32_e64 v0, v0, 11, s1
	v_cmp_eq_u32_e32 vcc_lo, 0, v0
	s_and_b32 s3, s3, vcc_lo
	s_and_b32 s0, s0, s5
	v_cndmask_b32_e64 v0, v0, 12, s3
	v_cmp_eq_u32_e32 vcc_lo, 0, v0
	s_and_b32 s0, s0, vcc_lo
	v_cndmask_b32_e64 v0, v0, 13, s0
	v_cmp_eq_u32_e32 vcc_lo, 0, v0
	s_waitcnt vmcnt(2)
	v_cmp_eq_f64_e64 s1, 0, v[169:170]
	s_waitcnt vmcnt(0)
	v_cmp_eq_f64_e64 s2, 0, v[171:172]
	s_clause 0x3
	buffer_load_dword v169, off, s[16:19], 0 offset:520
	buffer_load_dword v170, off, s[16:19], 0 offset:524
	buffer_load_dword v171, off, s[16:19], 0 offset:528
	buffer_load_dword v172, off, s[16:19], 0 offset:532
	s_and_b32 s1, s1, s2
	s_and_b32 s1, s1, vcc_lo
	v_cndmask_b32_e64 v0, v0, 14, s1
	v_cmp_eq_u32_e32 vcc_lo, 0, v0
	s_waitcnt vmcnt(2)
	v_cmp_eq_f64_e64 s3, 0, v[169:170]
	s_waitcnt vmcnt(0)
	v_cmp_eq_f64_e64 s4, 0, v[171:172]
	s_clause 0x3
	buffer_load_dword v169, off, s[16:19], 0 offset:536
	buffer_load_dword v170, off, s[16:19], 0 offset:540
	buffer_load_dword v171, off, s[16:19], 0 offset:544
	buffer_load_dword v172, off, s[16:19], 0 offset:548
	s_and_b32 s3, s3, s4
	;; [unrolled: 13-line block ×5, first 2 shown]
	s_and_b32 s0, s0, vcc_lo
	v_cndmask_b32_e64 v0, v0, 18, s0
	v_cmp_eq_u32_e64 s3, 0, v0
	s_waitcnt vmcnt(2)
	v_cmp_eq_f64_e64 s5, 0, v[169:170]
	s_waitcnt vmcnt(0)
	v_cmp_eq_f64_e64 s6, 0, v[171:172]
	s_clause 0x3
	buffer_load_dword v169, off, s[16:19], 0 offset:600
	buffer_load_dword v170, off, s[16:19], 0 offset:604
	;; [unrolled: 1-line block ×4, first 2 shown]
	s_and_b32 s4, s5, s6
	s_and_b32 s3, s4, s3
	v_cndmask_b32_e64 v0, v0, 19, s3
	s_waitcnt vmcnt(2)
	v_cmp_eq_f64_e64 s1, 0, v[169:170]
	s_waitcnt vmcnt(0)
	v_cmp_eq_f64_e64 s2, 0, v[171:172]
	s_clause 0x5
	buffer_load_dword v169, off, s[16:19], 0 offset:616
	buffer_load_dword v170, off, s[16:19], 0 offset:620
	;; [unrolled: 1-line block ×6, first 2 shown]
	s_and_b32 s5, s1, s2
	v_cmp_eq_u32_e64 s1, 0, v0
	s_and_b32 s1, s5, s1
	v_cndmask_b32_e64 v0, v0, 20, s1
	v_cmp_eq_u32_e64 s1, 0, v0
	s_waitcnt vmcnt(4)
	v_cmp_eq_f64_e32 vcc_lo, 0, v[169:170]
	s_waitcnt vmcnt(2)
	v_cmp_eq_f64_e64 s0, 0, v[171:172]
	s_clause 0x3
	buffer_load_dword v169, off, s[16:19], 0 offset:632
	buffer_load_dword v170, off, s[16:19], 0 offset:636
	;; [unrolled: 1-line block ×4, first 2 shown]
	s_waitcnt vmcnt(4)
	v_lshlrev_b64 v[225:226], 2, v[185:186]
	v_add_co_u32 v253, s2, s10, v225
	v_add_co_ci_u32_e64 v254, null, s11, v226, s2
	global_load_dword v225, v[253:254], off
	s_and_b32 s0, vcc_lo, s0
	s_and_b32 s0, s0, s1
	v_cndmask_b32_e64 v0, v0, 21, s0
	v_cmp_eq_u32_e32 vcc_lo, 0, v0
	s_waitcnt vmcnt(3)
	v_cmp_eq_f64_e64 s3, 0, v[169:170]
	s_waitcnt vmcnt(1)
	v_cmp_eq_f64_e64 s4, 0, v[171:172]
	s_clause 0x3
	buffer_load_dword v169, off, s[16:19], 0 offset:648
	buffer_load_dword v170, off, s[16:19], 0 offset:652
	buffer_load_dword v171, off, s[16:19], 0 offset:656
	buffer_load_dword v172, off, s[16:19], 0 offset:660
	s_and_b32 s3, s3, s4
	s_and_b32 s3, s3, vcc_lo
	v_cndmask_b32_e64 v0, v0, 22, s3
	v_cmp_eq_u32_e32 vcc_lo, 0, v0
	s_waitcnt vmcnt(2)
	v_cmp_eq_f64_e64 s2, 0, v[169:170]
	s_waitcnt vmcnt(0)
	v_cmp_eq_f64_e64 s5, 0, v[171:172]
	s_clause 0x3
	buffer_load_dword v169, off, s[16:19], 0 offset:664
	buffer_load_dword v170, off, s[16:19], 0 offset:668
	buffer_load_dword v171, off, s[16:19], 0 offset:672
	buffer_load_dword v172, off, s[16:19], 0 offset:676
	s_and_b32 s2, s2, s5
	s_and_b32 s2, s2, vcc_lo
	;; [unrolled: 13-line block ×18, first 2 shown]
	v_cndmask_b32_e64 v0, v0, 39, s0
	v_cmp_eq_u32_e32 vcc_lo, 0, v0
	s_waitcnt vmcnt(2)
	v_cmp_eq_f64_e64 s3, 0, v[169:170]
	s_waitcnt vmcnt(0)
	v_cmp_eq_f64_e64 s4, 0, v[171:172]
	s_clause 0x3
	buffer_load_dword v169, off, s[16:19], 0 offset:936
	buffer_load_dword v170, off, s[16:19], 0 offset:940
	buffer_load_dword v171, off, s[16:19], 0 offset:944
	buffer_load_dword v172, off, s[16:19], 0 offset:948
	s_and_b32 s3, s3, s4
	v_cmp_eq_f64_e64 s4, 0, v[203:204]
	s_and_b32 s3, s3, vcc_lo
	v_cndmask_b32_e64 v0, v0, 40, s3
	v_cmp_eq_f64_e64 s3, 0, v[201:202]
	v_cmp_eq_u32_e32 vcc_lo, 0, v0
	s_and_b32 s3, s3, s4
	v_cmp_eq_f64_e64 s4, 0, v[191:192]
	s_waitcnt vmcnt(2)
	v_cmp_eq_f64_e64 s2, 0, v[169:170]
	s_waitcnt vmcnt(0)
	v_cmp_eq_f64_e64 s5, 0, v[171:172]
	s_clause 0x3
	buffer_load_dword v169, off, s[16:19], 0 offset:952
	buffer_load_dword v170, off, s[16:19], 0 offset:956
	;; [unrolled: 1-line block ×4, first 2 shown]
	s_and_b32 s2, s2, s5
	v_cmp_eq_f64_e64 s5, 0, v[207:208]
	s_and_b32 s2, s2, vcc_lo
	v_cndmask_b32_e64 v0, v0, 41, s2
	v_cmp_eq_f64_e64 s2, 0, v[205:206]
	v_cmp_eq_u32_e32 vcc_lo, 0, v0
	s_and_b32 s2, s2, s5
	v_cmp_eq_f64_e64 s5, 0, v[215:216]
	s_waitcnt vmcnt(2)
	v_cmp_eq_f64_e64 s0, 0, v[169:170]
	s_waitcnt vmcnt(0)
	v_cmp_eq_f64_e64 s1, 0, v[171:172]
	s_and_b32 s0, s0, s1
	v_cmp_eq_f64_e64 s1, 0, v[211:212]
	s_and_b32 s0, s0, vcc_lo
	v_cndmask_b32_e64 v0, v0, 42, s0
	v_cmp_eq_f64_e64 s0, 0, v[209:210]
	v_cmp_eq_u32_e32 vcc_lo, 0, v0
	s_and_b32 s3, s3, vcc_lo
	v_cndmask_b32_e64 v0, v0, 43, s3
	v_cmp_eq_f64_e64 s3, 0, v[189:190]
	v_cmp_eq_u32_e32 vcc_lo, 0, v0
	s_and_b32 s2, s2, vcc_lo
	s_and_b32 s0, s0, s1
	v_cndmask_b32_e64 v0, v0, 44, s2
	v_cmp_eq_f64_e64 s2, 0, v[213:214]
	v_cmp_eq_f64_e64 s1, 0, v[219:220]
	v_cmp_eq_u32_e32 vcc_lo, 0, v0
	s_and_b32 s0, s0, vcc_lo
	s_and_b32 s3, s3, s4
	v_cndmask_b32_e64 v0, v0, 45, s0
	v_cmp_eq_f64_e64 s0, 0, v[217:218]
	;; [unrolled: 6-line block ×3, first 2 shown]
	v_cmp_eq_u32_e32 vcc_lo, 0, v0
	s_and_b32 s2, s2, vcc_lo
	s_and_b32 s0, s0, s1
	v_cndmask_b32_e64 v0, v0, 47, s2
	v_cmp_eq_u32_e32 vcc_lo, 0, v0
	s_and_b32 s0, s0, vcc_lo
	v_cndmask_b32_e64 v0, v0, 48, s0
	s_and_b32 s0, s3, s4
	v_cmp_eq_u32_e32 vcc_lo, 0, v0
	s_and_b32 s0, s0, vcc_lo
	v_cmp_eq_u32_e32 vcc_lo, 0, v225
	v_cndmask_b32_e64 v0, v0, 49, s0
	v_cmp_ne_u32_e64 s0, 0, v0
	s_and_b32 s0, vcc_lo, s0
	s_and_b32 exec_lo, exec_lo, s0
	s_cbranch_execz .LBB97_445
; %bb.444:
	v_add_nc_u32_e32 v0, s13, v0
	global_store_dword v[253:254], v0, off
.LBB97_445:
	s_or_b32 exec_lo, exec_lo, s7
	s_clause 0x5
	buffer_load_dword v185, off, s[16:19], 0 offset:336
	buffer_load_dword v186, off, s[16:19], 0 offset:340
	buffer_load_dword v197, off, s[16:19], 0 offset:48
	buffer_load_dword v198, off, s[16:19], 0 offset:52
	buffer_load_dword v199, off, s[16:19], 0 offset:56
	buffer_load_dword v200, off, s[16:19], 0 offset:60
	s_waitcnt vmcnt(0)
	global_store_dwordx4 v[185:186], v[197:200], off
	s_clause 0x5
	buffer_load_dword v185, off, s[16:19], 0 offset:344
	buffer_load_dword v186, off, s[16:19], 0 offset:348
	buffer_load_dword v197, off, s[16:19], 0 offset:32
	buffer_load_dword v198, off, s[16:19], 0 offset:36
	buffer_load_dword v199, off, s[16:19], 0 offset:40
	buffer_load_dword v200, off, s[16:19], 0 offset:44
	s_waitcnt vmcnt(0)
	global_store_dwordx4 v[185:186], v[197:200], off
	s_clause 0x5
	buffer_load_dword v197, off, s[16:19], 0 offset:16
	buffer_load_dword v198, off, s[16:19], 0 offset:20
	buffer_load_dword v199, off, s[16:19], 0 offset:24
	buffer_load_dword v200, off, s[16:19], 0 offset:28
	buffer_load_dword v177, off, s[16:19], 0 offset:392
	buffer_load_dword v178, off, s[16:19], 0 offset:396
	s_waitcnt vmcnt(0)
	global_store_dwordx4 v[177:178], v[197:200], off
	s_clause 0x1
	buffer_load_dword v185, off, s[16:19], 0 offset:376
	buffer_load_dword v186, off, s[16:19], 0 offset:380
	s_waitcnt vmcnt(0)
	global_store_dwordx4 v[185:186], v[181:184], off
	s_clause 0x5
	buffer_load_dword v181, off, s[16:19], 0 offset:368
	buffer_load_dword v182, off, s[16:19], 0 offset:372
	buffer_load_dword v177, off, s[16:19], 0
	buffer_load_dword v178, off, s[16:19], 0 offset:4
	buffer_load_dword v179, off, s[16:19], 0 offset:8
	;; [unrolled: 1-line block ×3, first 2 shown]
	s_waitcnt vmcnt(0)
	global_store_dwordx4 v[181:182], v[177:180], off
	s_clause 0x1
	buffer_load_dword v177, off, s[16:19], 0 offset:384
	buffer_load_dword v178, off, s[16:19], 0 offset:388
	s_waitcnt vmcnt(0)
	global_store_dwordx4 v[177:178], v[173:176], off
	s_clause 0x1
	buffer_load_dword v173, off, s[16:19], 0 offset:456
	buffer_load_dword v174, off, s[16:19], 0 offset:460
	;; [unrolled: 5-line block ×44, first 2 shown]
	s_waitcnt vmcnt(0)
	global_store_dwordx4 v[5:6], v[1:4], off
.LBB97_446:
	s_endpgm
	.section	.rodata,"a",@progbits
	.p2align	6, 0x0
	.amdhsa_kernel _ZN9rocsolver6v33100L23getf2_npvt_small_kernelILi49E19rocblas_complex_numIdEiiPS3_EEvT1_T3_lS5_lPT2_S5_S5_
		.amdhsa_group_segment_fixed_size 0
		.amdhsa_private_segment_fixed_size 1028
		.amdhsa_kernarg_size 312
		.amdhsa_user_sgpr_count 6
		.amdhsa_user_sgpr_private_segment_buffer 1
		.amdhsa_user_sgpr_dispatch_ptr 0
		.amdhsa_user_sgpr_queue_ptr 0
		.amdhsa_user_sgpr_kernarg_segment_ptr 1
		.amdhsa_user_sgpr_dispatch_id 0
		.amdhsa_user_sgpr_flat_scratch_init 0
		.amdhsa_user_sgpr_private_segment_size 0
		.amdhsa_wavefront_size32 1
		.amdhsa_uses_dynamic_stack 0
		.amdhsa_system_sgpr_private_segment_wavefront_offset 1
		.amdhsa_system_sgpr_workgroup_id_x 1
		.amdhsa_system_sgpr_workgroup_id_y 1
		.amdhsa_system_sgpr_workgroup_id_z 0
		.amdhsa_system_sgpr_workgroup_info 0
		.amdhsa_system_vgpr_workitem_id 1
		.amdhsa_next_free_vgpr 256
		.amdhsa_next_free_sgpr 20
		.amdhsa_reserve_vcc 1
		.amdhsa_reserve_flat_scratch 0
		.amdhsa_float_round_mode_32 0
		.amdhsa_float_round_mode_16_64 0
		.amdhsa_float_denorm_mode_32 3
		.amdhsa_float_denorm_mode_16_64 3
		.amdhsa_dx10_clamp 1
		.amdhsa_ieee_mode 1
		.amdhsa_fp16_overflow 0
		.amdhsa_workgroup_processor_mode 1
		.amdhsa_memory_ordered 1
		.amdhsa_forward_progress 1
		.amdhsa_shared_vgpr_count 0
		.amdhsa_exception_fp_ieee_invalid_op 0
		.amdhsa_exception_fp_denorm_src 0
		.amdhsa_exception_fp_ieee_div_zero 0
		.amdhsa_exception_fp_ieee_overflow 0
		.amdhsa_exception_fp_ieee_underflow 0
		.amdhsa_exception_fp_ieee_inexact 0
		.amdhsa_exception_int_div_zero 0
	.end_amdhsa_kernel
	.section	.text._ZN9rocsolver6v33100L23getf2_npvt_small_kernelILi49E19rocblas_complex_numIdEiiPS3_EEvT1_T3_lS5_lPT2_S5_S5_,"axG",@progbits,_ZN9rocsolver6v33100L23getf2_npvt_small_kernelILi49E19rocblas_complex_numIdEiiPS3_EEvT1_T3_lS5_lPT2_S5_S5_,comdat
.Lfunc_end97:
	.size	_ZN9rocsolver6v33100L23getf2_npvt_small_kernelILi49E19rocblas_complex_numIdEiiPS3_EEvT1_T3_lS5_lPT2_S5_S5_, .Lfunc_end97-_ZN9rocsolver6v33100L23getf2_npvt_small_kernelILi49E19rocblas_complex_numIdEiiPS3_EEvT1_T3_lS5_lPT2_S5_S5_
                                        ; -- End function
	.set _ZN9rocsolver6v33100L23getf2_npvt_small_kernelILi49E19rocblas_complex_numIdEiiPS3_EEvT1_T3_lS5_lPT2_S5_S5_.num_vgpr, 256
	.set _ZN9rocsolver6v33100L23getf2_npvt_small_kernelILi49E19rocblas_complex_numIdEiiPS3_EEvT1_T3_lS5_lPT2_S5_S5_.num_agpr, 0
	.set _ZN9rocsolver6v33100L23getf2_npvt_small_kernelILi49E19rocblas_complex_numIdEiiPS3_EEvT1_T3_lS5_lPT2_S5_S5_.numbered_sgpr, 20
	.set _ZN9rocsolver6v33100L23getf2_npvt_small_kernelILi49E19rocblas_complex_numIdEiiPS3_EEvT1_T3_lS5_lPT2_S5_S5_.num_named_barrier, 0
	.set _ZN9rocsolver6v33100L23getf2_npvt_small_kernelILi49E19rocblas_complex_numIdEiiPS3_EEvT1_T3_lS5_lPT2_S5_S5_.private_seg_size, 1028
	.set _ZN9rocsolver6v33100L23getf2_npvt_small_kernelILi49E19rocblas_complex_numIdEiiPS3_EEvT1_T3_lS5_lPT2_S5_S5_.uses_vcc, 1
	.set _ZN9rocsolver6v33100L23getf2_npvt_small_kernelILi49E19rocblas_complex_numIdEiiPS3_EEvT1_T3_lS5_lPT2_S5_S5_.uses_flat_scratch, 0
	.set _ZN9rocsolver6v33100L23getf2_npvt_small_kernelILi49E19rocblas_complex_numIdEiiPS3_EEvT1_T3_lS5_lPT2_S5_S5_.has_dyn_sized_stack, 0
	.set _ZN9rocsolver6v33100L23getf2_npvt_small_kernelILi49E19rocblas_complex_numIdEiiPS3_EEvT1_T3_lS5_lPT2_S5_S5_.has_recursion, 0
	.set _ZN9rocsolver6v33100L23getf2_npvt_small_kernelILi49E19rocblas_complex_numIdEiiPS3_EEvT1_T3_lS5_lPT2_S5_S5_.has_indirect_call, 0
	.section	.AMDGPU.csdata,"",@progbits
; Kernel info:
; codeLenInByte = 123304
; TotalNumSgprs: 22
; NumVgprs: 256
; ScratchSize: 1028
; MemoryBound: 1
; FloatMode: 240
; IeeeMode: 1
; LDSByteSize: 0 bytes/workgroup (compile time only)
; SGPRBlocks: 0
; VGPRBlocks: 31
; NumSGPRsForWavesPerEU: 22
; NumVGPRsForWavesPerEU: 256
; Occupancy: 4
; WaveLimiterHint : 0
; COMPUTE_PGM_RSRC2:SCRATCH_EN: 1
; COMPUTE_PGM_RSRC2:USER_SGPR: 6
; COMPUTE_PGM_RSRC2:TRAP_HANDLER: 0
; COMPUTE_PGM_RSRC2:TGID_X_EN: 1
; COMPUTE_PGM_RSRC2:TGID_Y_EN: 1
; COMPUTE_PGM_RSRC2:TGID_Z_EN: 0
; COMPUTE_PGM_RSRC2:TIDIG_COMP_CNT: 1
	.section	.text._ZN9rocsolver6v33100L18getf2_small_kernelILi50E19rocblas_complex_numIdEiiPS3_EEvT1_T3_lS5_lPS5_llPT2_S5_S5_S7_l,"axG",@progbits,_ZN9rocsolver6v33100L18getf2_small_kernelILi50E19rocblas_complex_numIdEiiPS3_EEvT1_T3_lS5_lPS5_llPT2_S5_S5_S7_l,comdat
	.globl	_ZN9rocsolver6v33100L18getf2_small_kernelILi50E19rocblas_complex_numIdEiiPS3_EEvT1_T3_lS5_lPS5_llPT2_S5_S5_S7_l ; -- Begin function _ZN9rocsolver6v33100L18getf2_small_kernelILi50E19rocblas_complex_numIdEiiPS3_EEvT1_T3_lS5_lPS5_llPT2_S5_S5_S7_l
	.p2align	8
	.type	_ZN9rocsolver6v33100L18getf2_small_kernelILi50E19rocblas_complex_numIdEiiPS3_EEvT1_T3_lS5_lPS5_llPT2_S5_S5_S7_l,@function
_ZN9rocsolver6v33100L18getf2_small_kernelILi50E19rocblas_complex_numIdEiiPS3_EEvT1_T3_lS5_lPS5_llPT2_S5_S5_S7_l: ; @_ZN9rocsolver6v33100L18getf2_small_kernelILi50E19rocblas_complex_numIdEiiPS3_EEvT1_T3_lS5_lPS5_llPT2_S5_S5_S7_l
; %bb.0:
	s_clause 0x1
	s_load_dword s0, s[4:5], 0x6c
	s_load_dwordx2 s[16:17], s[4:5], 0x48
	s_waitcnt lgkmcnt(0)
	s_lshr_b32 s0, s0, 16
	v_mad_u64_u32 v[206:207], null, s7, s0, v[1:2]
	s_mov_b32 s0, exec_lo
	v_cmpx_gt_i32_e64 s16, v206
	s_cbranch_execnz .LBB98_1
; %bb.1054:
	s_getpc_b64 s[18:19]
.Lpost_getpc2:
	s_add_u32 s18, s18, (.LBB98_1053-.Lpost_getpc2)&4294967295
	s_addc_u32 s19, s19, (.LBB98_1053-.Lpost_getpc2)>>32
	s_setpc_b64 s[18:19]
.LBB98_1:
	s_load_dwordx4 s[0:3], s[4:5], 0x50
	v_mov_b32_e32 v208, 0
	v_ashrrev_i32_e32 v207, 31, v206
	v_mov_b32_e32 v209, 0
	s_waitcnt lgkmcnt(0)
	s_cmp_eq_u64 s[0:1], 0
	s_cselect_b32 s16, -1, 0
	s_and_b32 vcc_lo, exec_lo, s16
	s_cbranch_vccnz .LBB98_3
; %bb.2:
	v_mul_lo_u32 v4, s3, v206
	v_mul_lo_u32 v5, s2, v207
	v_mad_u64_u32 v[2:3], null, s2, v206, 0
	v_add3_u32 v3, v3, v5, v4
	v_lshlrev_b64 v[2:3], 2, v[2:3]
	v_add_co_u32 v208, vcc_lo, s0, v2
	v_add_co_ci_u32_e64 v209, null, s1, v3, vcc_lo
.LBB98_3:
	s_clause 0x2
	s_load_dwordx8 s[8:15], s[4:5], 0x20
	s_load_dword s6, s[4:5], 0x18
	s_load_dwordx4 s[0:3], s[4:5], 0x8
	v_lshlrev_b32_e32 v212, 4, v0
	s_waitcnt lgkmcnt(0)
	v_mul_lo_u32 v3, s9, v206
	v_mul_lo_u32 v7, s8, v207
	v_mad_u64_u32 v[4:5], null, s8, v206, 0
	v_add3_u32 v2, s6, s6, v0
	s_lshl_b64 s[8:9], s[2:3], 4
	s_ashr_i32 s7, s6, 31
	s_lshl_b64 s[2:3], s[6:7], 4
	v_add_nc_u32_e32 v6, s6, v2
	v_add3_u32 v5, v5, v7, v3
	v_ashrrev_i32_e32 v3, 31, v2
	v_add_nc_u32_e32 v8, s6, v6
	v_lshlrev_b64 v[4:5], 4, v[4:5]
	v_ashrrev_i32_e32 v7, 31, v6
	v_lshlrev_b64 v[2:3], 4, v[2:3]
	v_ashrrev_i32_e32 v9, 31, v8
	v_add_nc_u32_e32 v10, s6, v8
	v_add_co_u32 v12, vcc_lo, s0, v4
	v_add_co_ci_u32_e64 v13, null, s1, v5, vcc_lo
	v_lshlrev_b64 v[4:5], 4, v[8:9]
	v_add_nc_u32_e32 v8, s6, v10
	v_add_co_u32 v213, vcc_lo, v12, s8
	v_ashrrev_i32_e32 v11, 31, v10
	v_add_co_ci_u32_e64 v214, null, s9, v13, vcc_lo
	v_add_nc_u32_e32 v12, s6, v8
	v_lshlrev_b64 v[6:7], 4, v[6:7]
	v_add_co_u32 v14, vcc_lo, v213, v212
	v_ashrrev_i32_e32 v9, 31, v8
	v_lshlrev_b64 v[10:11], 4, v[10:11]
	v_add_co_ci_u32_e64 v15, null, 0, v214, vcc_lo
	v_add_co_u32 v2, vcc_lo, v213, v2
	v_add_nc_u32_e32 v16, s6, v12
	v_add_co_ci_u32_e64 v3, null, v214, v3, vcc_lo
	v_add_co_u32 v6, vcc_lo, v213, v6
	v_add_co_ci_u32_e64 v7, null, v214, v7, vcc_lo
	v_lshlrev_b64 v[8:9], 4, v[8:9]
	v_add_co_u32 v4, vcc_lo, v213, v4
	v_add_nc_u32_e32 v18, s6, v16
	v_add_co_ci_u32_e64 v5, null, v214, v5, vcc_lo
	v_add_co_u32 v10, vcc_lo, v213, v10
	v_add_co_ci_u32_e64 v11, null, v214, v11, vcc_lo
	v_add_co_u32 v20, vcc_lo, v14, s2
	v_ashrrev_i32_e32 v17, 31, v16
	v_add_co_ci_u32_e64 v21, null, s3, v15, vcc_lo
	s_clause 0x1
	global_load_dwordx4 v[146:149], v[2:3], off
	global_load_dwordx4 v[130:133], v[6:7], off
	v_add_co_u32 v2, vcc_lo, v213, v8
	v_add_nc_u32_e32 v8, s6, v18
	v_lshlrev_b64 v[6:7], 4, v[16:17]
	v_ashrrev_i32_e32 v19, 31, v18
	s_clause 0x1
	global_load_dwordx4 v[158:161], v[14:15], off
	global_load_dwordx4 v[162:165], v[20:21], off
	v_ashrrev_i32_e32 v13, 31, v12
	v_add_nc_u32_e32 v16, s6, v8
	v_add_co_ci_u32_e64 v3, null, v214, v9, vcc_lo
	v_lshlrev_b64 v[14:15], 4, v[18:19]
	v_lshlrev_b64 v[12:13], 4, v[12:13]
	v_add_nc_u32_e32 v18, s6, v16
	v_ashrrev_i32_e32 v9, 31, v8
	v_ashrrev_i32_e32 v17, 31, v16
	s_clause 0x1
	s_load_dword s1, s[4:5], 0x0
	s_load_dwordx2 s[4:5], s[4:5], 0x40
	v_add_nc_u32_e32 v20, s6, v18
	v_ashrrev_i32_e32 v19, 31, v18
	v_add_co_u32 v12, vcc_lo, v213, v12
	v_lshlrev_b64 v[8:9], 4, v[8:9]
	v_add_nc_u32_e32 v22, s6, v20
	v_ashrrev_i32_e32 v21, 31, v20
	v_add_co_ci_u32_e64 v13, null, v214, v13, vcc_lo
	v_add_co_u32 v6, vcc_lo, v213, v6
	v_add_nc_u32_e32 v24, s6, v22
	v_lshlrev_b64 v[16:17], 4, v[16:17]
	v_ashrrev_i32_e32 v23, 31, v22
	v_add_co_ci_u32_e64 v7, null, v214, v7, vcc_lo
	v_add_nc_u32_e32 v26, s6, v24
	v_add_co_u32 v14, vcc_lo, v213, v14
	v_lshlrev_b64 v[18:19], 4, v[18:19]
	v_ashrrev_i32_e32 v25, 31, v24
	v_add_nc_u32_e32 v28, s6, v26
	v_add_co_ci_u32_e64 v15, null, v214, v15, vcc_lo
	v_add_co_u32 v8, vcc_lo, v213, v8
	v_add_nc_u32_e32 v30, s6, v28
	v_lshlrev_b64 v[20:21], 4, v[20:21]
	v_ashrrev_i32_e32 v27, 31, v26
	v_add_co_ci_u32_e64 v9, null, v214, v9, vcc_lo
	v_add_nc_u32_e32 v32, s6, v30
	v_add_co_u32 v16, vcc_lo, v213, v16
	v_lshlrev_b64 v[22:23], 4, v[22:23]
	v_ashrrev_i32_e32 v29, 31, v28
	v_add_nc_u32_e32 v34, s6, v32
	;; [unrolled: 11-line block ×6, first 2 shown]
	v_add_co_ci_u32_e64 v33, null, v214, v33, vcc_lo
	v_add_co_u32 v34, vcc_lo, v213, v34
	v_lshlrev_b64 v[40:41], 4, v[40:41]
	v_ashrrev_i32_e32 v47, 31, v46
	v_add_co_ci_u32_e64 v35, null, v214, v35, vcc_lo
	v_add_co_u32 v36, vcc_lo, v213, v36
	v_lshlrev_b64 v[42:43], 4, v[42:43]
	v_add_nc_u32_e32 v60, s6, v58
	v_ashrrev_i32_e32 v49, 31, v48
	v_add_co_ci_u32_e64 v37, null, v214, v37, vcc_lo
	v_add_co_u32 v38, vcc_lo, v213, v38
	v_lshlrev_b64 v[44:45], 4, v[44:45]
	v_ashrrev_i32_e32 v51, 31, v50
	v_add_co_ci_u32_e64 v39, null, v214, v39, vcc_lo
	v_add_co_u32 v40, vcc_lo, v213, v40
	v_lshlrev_b64 v[46:47], 4, v[46:47]
	v_ashrrev_i32_e32 v53, 31, v52
	v_add_nc_u32_e32 v62, s6, v60
	v_add_co_ci_u32_e64 v41, null, v214, v41, vcc_lo
	v_add_co_u32 v42, vcc_lo, v213, v42
	v_lshlrev_b64 v[48:49], 4, v[48:49]
	v_ashrrev_i32_e32 v55, 31, v54
	v_add_co_ci_u32_e64 v43, null, v214, v43, vcc_lo
	v_add_co_u32 v44, vcc_lo, v213, v44
	v_lshlrev_b64 v[50:51], 4, v[50:51]
	v_ashrrev_i32_e32 v57, 31, v56
	v_add_co_ci_u32_e64 v45, null, v214, v45, vcc_lo
	v_add_co_u32 v46, vcc_lo, v213, v46
	v_lshlrev_b64 v[52:53], 4, v[52:53]
	v_add_nc_u32_e32 v64, s6, v62
	v_ashrrev_i32_e32 v59, 31, v58
	v_add_co_ci_u32_e64 v47, null, v214, v47, vcc_lo
	v_add_co_u32 v48, vcc_lo, v213, v48
	v_lshlrev_b64 v[54:55], 4, v[54:55]
	v_ashrrev_i32_e32 v61, 31, v60
	v_add_co_ci_u32_e64 v49, null, v214, v49, vcc_lo
	v_add_co_u32 v50, vcc_lo, v213, v50
	v_lshlrev_b64 v[56:57], 4, v[56:57]
	v_ashrrev_i32_e32 v63, 31, v62
	v_add_nc_u32_e32 v66, s6, v64
	v_add_co_ci_u32_e64 v51, null, v214, v51, vcc_lo
	v_add_co_u32 v52, vcc_lo, v213, v52
	v_lshlrev_b64 v[58:59], 4, v[58:59]
	v_ashrrev_i32_e32 v65, 31, v64
	v_add_co_ci_u32_e64 v53, null, v214, v53, vcc_lo
	v_add_co_u32 v54, vcc_lo, v213, v54
	v_lshlrev_b64 v[60:61], 4, v[60:61]
	v_add_co_ci_u32_e64 v55, null, v214, v55, vcc_lo
	v_add_co_u32 v56, vcc_lo, v213, v56
	v_lshlrev_b64 v[62:63], 4, v[62:63]
	v_add_nc_u32_e32 v68, s6, v66
	v_add_co_ci_u32_e64 v57, null, v214, v57, vcc_lo
	v_add_co_u32 v58, vcc_lo, v213, v58
	v_lshlrev_b64 v[64:65], 4, v[64:65]
	v_ashrrev_i32_e32 v67, 31, v66
	v_add_co_ci_u32_e64 v59, null, v214, v59, vcc_lo
	v_add_co_u32 v60, vcc_lo, v213, v60
	v_ashrrev_i32_e32 v69, 31, v68
	v_add_nc_u32_e32 v70, s6, v68
	v_add_co_ci_u32_e64 v61, null, v214, v61, vcc_lo
	v_add_co_u32 v62, vcc_lo, v213, v62
	v_lshlrev_b64 v[66:67], 4, v[66:67]
	v_add_co_ci_u32_e64 v63, null, v214, v63, vcc_lo
	v_add_co_u32 v202, vcc_lo, v213, v64
	v_add_co_ci_u32_e64 v203, null, v214, v65, vcc_lo
	v_lshlrev_b64 v[64:65], 4, v[68:69]
	v_ashrrev_i32_e32 v71, 31, v70
	v_add_nc_u32_e32 v68, s6, v70
	v_add_co_u32 v204, vcc_lo, v213, v66
	v_add_co_ci_u32_e64 v205, null, v214, v67, vcc_lo
	v_lshlrev_b64 v[66:67], 4, v[70:71]
	v_ashrrev_i32_e32 v69, 31, v68
	v_add_nc_u32_e32 v70, s6, v68
	v_add_co_u32 v210, vcc_lo, v213, v64
	v_add_co_ci_u32_e64 v211, null, v214, v65, vcc_lo
	v_lshlrev_b64 v[64:65], 4, v[68:69]
	v_ashrrev_i32_e32 v71, 31, v70
	v_add_nc_u32_e32 v68, s6, v70
	v_add_co_u32 v215, vcc_lo, v213, v66
	v_add_co_ci_u32_e64 v216, null, v214, v67, vcc_lo
	v_lshlrev_b64 v[66:67], 4, v[70:71]
	v_ashrrev_i32_e32 v69, 31, v68
	v_add_nc_u32_e32 v70, s6, v68
	v_add_co_u32 v217, vcc_lo, v213, v64
	v_add_co_ci_u32_e64 v218, null, v214, v65, vcc_lo
	v_lshlrev_b64 v[64:65], 4, v[68:69]
	v_ashrrev_i32_e32 v71, 31, v70
	v_add_nc_u32_e32 v68, s6, v70
	v_add_co_u32 v219, vcc_lo, v213, v66
	v_add_co_ci_u32_e64 v220, null, v214, v67, vcc_lo
	v_lshlrev_b64 v[66:67], 4, v[70:71]
	v_ashrrev_i32_e32 v69, 31, v68
	v_add_nc_u32_e32 v70, s6, v68
	v_add_co_u32 v221, vcc_lo, v213, v64
	v_add_co_ci_u32_e64 v222, null, v214, v65, vcc_lo
	v_lshlrev_b64 v[64:65], 4, v[68:69]
	v_ashrrev_i32_e32 v71, 31, v70
	v_add_nc_u32_e32 v68, s6, v70
	v_add_co_u32 v223, vcc_lo, v213, v66
	v_add_co_ci_u32_e64 v224, null, v214, v67, vcc_lo
	v_lshlrev_b64 v[66:67], 4, v[70:71]
	v_ashrrev_i32_e32 v69, 31, v68
	v_add_nc_u32_e32 v70, s6, v68
	v_add_co_u32 v225, vcc_lo, v213, v64
	v_add_co_ci_u32_e64 v226, null, v214, v65, vcc_lo
	v_lshlrev_b64 v[64:65], 4, v[68:69]
	v_ashrrev_i32_e32 v71, 31, v70
	v_add_nc_u32_e32 v68, s6, v70
	v_add_co_u32 v227, vcc_lo, v213, v66
	v_add_co_ci_u32_e64 v228, null, v214, v67, vcc_lo
	v_lshlrev_b64 v[66:67], 4, v[70:71]
	v_ashrrev_i32_e32 v69, 31, v68
	v_add_nc_u32_e32 v70, s6, v68
	v_add_co_u32 v229, vcc_lo, v213, v64
	v_add_co_ci_u32_e64 v230, null, v214, v65, vcc_lo
	v_lshlrev_b64 v[64:65], 4, v[68:69]
	v_add_nc_u32_e32 v68, s6, v70
	v_ashrrev_i32_e32 v71, 31, v70
	v_add_co_u32 v231, vcc_lo, v213, v66
	v_add_co_ci_u32_e64 v232, null, v214, v67, vcc_lo
	v_ashrrev_i32_e32 v69, 31, v68
	v_lshlrev_b64 v[66:67], 4, v[70:71]
	v_add_co_u32 v233, vcc_lo, v213, v64
	v_add_co_ci_u32_e64 v234, null, v214, v65, vcc_lo
	v_lshlrev_b64 v[64:65], 4, v[68:69]
	v_add_co_u32 v235, vcc_lo, v213, v66
	v_add_co_ci_u32_e64 v236, null, v214, v67, vcc_lo
	s_waitcnt lgkmcnt(0)
	s_max_i32 s0, s1, 50
	v_add_co_u32 v237, vcc_lo, v213, v64
	v_add_co_ci_u32_e64 v238, null, v214, v65, vcc_lo
	s_clause 0x2d
	global_load_dwordx4 v[198:201], v[4:5], off
	global_load_dwordx4 v[194:197], v[10:11], off
	;; [unrolled: 1-line block ×46, first 2 shown]
	v_mul_lo_u32 v210, s0, v1
	s_cmp_lt_i32 s1, 2
	v_lshl_add_u32 v1, v210, 4, 0
	v_add_nc_u32_e32 v202, v1, v212
	v_lshlrev_b32_e32 v212, 4, v210
	v_mov_b32_e32 v210, 0
	s_waitcnt vmcnt(47)
	ds_write2_b64 v202, v[158:159], v[160:161] offset1:1
	s_waitcnt vmcnt(0) lgkmcnt(0)
	s_barrier
	buffer_gl0_inv
	ds_read2_b64 v[202:205], v1 offset1:1
	s_cbranch_scc1 .LBB98_6
; %bb.4:
	v_add3_u32 v211, v212, 0, 16
	v_mov_b32_e32 v210, 0
	s_mov_b32 s7, 1
	s_inst_prefetch 0x1
	.p2align	6
.LBB98_5:                               ; =>This Inner Loop Header: Depth=1
	s_waitcnt lgkmcnt(0)
	v_cmp_gt_f64_e32 vcc_lo, 0, v[204:205]
	v_cmp_gt_f64_e64 s0, 0, v[202:203]
	ds_read2_b64 v[215:218], v211 offset1:1
	v_xor_b32_e32 v220, 0x80000000, v203
	v_xor_b32_e32 v222, 0x80000000, v205
	v_mov_b32_e32 v219, v202
	v_mov_b32_e32 v221, v204
	v_add_nc_u32_e32 v211, 16, v211
	s_waitcnt lgkmcnt(0)
	v_xor_b32_e32 v224, 0x80000000, v218
	v_cndmask_b32_e64 v220, v203, v220, s0
	v_cndmask_b32_e32 v222, v205, v222, vcc_lo
	v_cmp_gt_f64_e32 vcc_lo, 0, v[217:218]
	v_cmp_gt_f64_e64 s0, 0, v[215:216]
	v_mov_b32_e32 v223, v217
	v_add_f64 v[219:220], v[219:220], v[221:222]
	v_xor_b32_e32 v222, 0x80000000, v216
	v_mov_b32_e32 v221, v215
	v_cndmask_b32_e32 v224, v218, v224, vcc_lo
	v_cndmask_b32_e64 v222, v216, v222, s0
	v_add_f64 v[221:222], v[221:222], v[223:224]
	v_cmp_lt_f64_e32 vcc_lo, v[219:220], v[221:222]
	v_cndmask_b32_e32 v203, v203, v216, vcc_lo
	v_cndmask_b32_e32 v202, v202, v215, vcc_lo
	;; [unrolled: 1-line block ×4, first 2 shown]
	v_cndmask_b32_e64 v210, v210, s7, vcc_lo
	s_add_i32 s7, s7, 1
	s_cmp_eq_u32 s1, s7
	s_cbranch_scc0 .LBB98_5
.LBB98_6:
	s_inst_prefetch 0x2
	s_waitcnt lgkmcnt(0)
	v_cmp_neq_f64_e32 vcc_lo, 0, v[202:203]
	v_cmp_neq_f64_e64 s0, 0, v[204:205]
	v_mov_b32_e32 v215, 1
	v_mov_b32_e32 v217, 1
	s_or_b32 s7, vcc_lo, s0
	s_and_saveexec_b32 s0, s7
	s_cbranch_execz .LBB98_12
; %bb.7:
	v_cmp_ngt_f64_e64 s7, |v[202:203]|, |v[204:205]|
	s_and_saveexec_b32 s8, s7
	s_xor_b32 s7, exec_lo, s8
	s_cbranch_execz .LBB98_9
; %bb.8:
	v_div_scale_f64 v[215:216], null, v[204:205], v[204:205], v[202:203]
	v_div_scale_f64 v[221:222], vcc_lo, v[202:203], v[204:205], v[202:203]
	v_rcp_f64_e32 v[217:218], v[215:216]
	v_fma_f64 v[219:220], -v[215:216], v[217:218], 1.0
	v_fma_f64 v[217:218], v[217:218], v[219:220], v[217:218]
	v_fma_f64 v[219:220], -v[215:216], v[217:218], 1.0
	v_fma_f64 v[217:218], v[217:218], v[219:220], v[217:218]
	v_mul_f64 v[219:220], v[221:222], v[217:218]
	v_fma_f64 v[215:216], -v[215:216], v[219:220], v[221:222]
	v_div_fmas_f64 v[215:216], v[215:216], v[217:218], v[219:220]
	v_div_fixup_f64 v[215:216], v[215:216], v[204:205], v[202:203]
	v_fma_f64 v[202:203], v[202:203], v[215:216], v[204:205]
	v_div_scale_f64 v[204:205], null, v[202:203], v[202:203], 1.0
	v_rcp_f64_e32 v[217:218], v[204:205]
	v_fma_f64 v[219:220], -v[204:205], v[217:218], 1.0
	v_fma_f64 v[217:218], v[217:218], v[219:220], v[217:218]
	v_fma_f64 v[219:220], -v[204:205], v[217:218], 1.0
	v_fma_f64 v[217:218], v[217:218], v[219:220], v[217:218]
	v_div_scale_f64 v[219:220], vcc_lo, 1.0, v[202:203], 1.0
	v_mul_f64 v[221:222], v[219:220], v[217:218]
	v_fma_f64 v[204:205], -v[204:205], v[221:222], v[219:220]
	v_div_fmas_f64 v[204:205], v[204:205], v[217:218], v[221:222]
	v_div_fixup_f64 v[204:205], v[204:205], v[202:203], 1.0
	v_mul_f64 v[202:203], v[215:216], v[204:205]
	v_xor_b32_e32 v205, 0x80000000, v205
.LBB98_9:
	s_andn2_saveexec_b32 s7, s7
	s_cbranch_execz .LBB98_11
; %bb.10:
	v_div_scale_f64 v[215:216], null, v[202:203], v[202:203], v[204:205]
	v_div_scale_f64 v[221:222], vcc_lo, v[204:205], v[202:203], v[204:205]
	v_rcp_f64_e32 v[217:218], v[215:216]
	v_fma_f64 v[219:220], -v[215:216], v[217:218], 1.0
	v_fma_f64 v[217:218], v[217:218], v[219:220], v[217:218]
	v_fma_f64 v[219:220], -v[215:216], v[217:218], 1.0
	v_fma_f64 v[217:218], v[217:218], v[219:220], v[217:218]
	v_mul_f64 v[219:220], v[221:222], v[217:218]
	v_fma_f64 v[215:216], -v[215:216], v[219:220], v[221:222]
	v_div_fmas_f64 v[215:216], v[215:216], v[217:218], v[219:220]
	v_div_fixup_f64 v[215:216], v[215:216], v[202:203], v[204:205]
	v_fma_f64 v[202:203], v[204:205], v[215:216], v[202:203]
	v_div_scale_f64 v[204:205], null, v[202:203], v[202:203], 1.0
	v_rcp_f64_e32 v[217:218], v[204:205]
	v_fma_f64 v[219:220], -v[204:205], v[217:218], 1.0
	v_fma_f64 v[217:218], v[217:218], v[219:220], v[217:218]
	v_fma_f64 v[219:220], -v[204:205], v[217:218], 1.0
	v_fma_f64 v[217:218], v[217:218], v[219:220], v[217:218]
	v_div_scale_f64 v[219:220], vcc_lo, 1.0, v[202:203], 1.0
	v_mul_f64 v[221:222], v[219:220], v[217:218]
	v_fma_f64 v[204:205], -v[204:205], v[221:222], v[219:220]
	v_div_fmas_f64 v[204:205], v[204:205], v[217:218], v[221:222]
	v_div_fixup_f64 v[202:203], v[204:205], v[202:203], 1.0
	v_mul_f64 v[204:205], v[215:216], -v[202:203]
.LBB98_11:
	s_or_b32 exec_lo, exec_lo, s7
	v_mov_b32_e32 v217, 0
	v_mov_b32_e32 v215, 2
.LBB98_12:
	s_or_b32 exec_lo, exec_lo, s0
	s_mov_b32 s0, exec_lo
	v_cmpx_ne_u32_e64 v0, v210
	s_xor_b32 s0, exec_lo, s0
	s_cbranch_execz .LBB98_18
; %bb.13:
	s_mov_b32 s7, exec_lo
	v_cmpx_eq_u32_e32 0, v0
	s_cbranch_execz .LBB98_17
; %bb.14:
	v_cmp_ne_u32_e32 vcc_lo, 0, v210
	s_xor_b32 s8, s16, -1
	s_and_b32 s9, s8, vcc_lo
	s_and_saveexec_b32 s8, s9
	s_cbranch_execz .LBB98_16
; %bb.15:
	v_ashrrev_i32_e32 v211, 31, v210
	v_lshlrev_b64 v[218:219], 2, v[210:211]
	v_add_co_u32 v218, vcc_lo, v208, v218
	v_add_co_ci_u32_e64 v219, null, v209, v219, vcc_lo
	s_clause 0x1
	global_load_dword v0, v[218:219], off
	global_load_dword v211, v[208:209], off
	s_waitcnt vmcnt(1)
	global_store_dword v[208:209], v0, off
	s_waitcnt vmcnt(0)
	global_store_dword v[218:219], v211, off
.LBB98_16:
	s_or_b32 exec_lo, exec_lo, s8
	v_mov_b32_e32 v0, v210
.LBB98_17:
	s_or_b32 exec_lo, exec_lo, s7
.LBB98_18:
	s_or_saveexec_b32 s0, s0
	v_mov_b32_e32 v216, v0
	s_xor_b32 exec_lo, exec_lo, s0
	s_cbranch_execz .LBB98_20
; %bb.19:
	v_mov_b32_e32 v216, 0
	ds_write2_b64 v1, v[162:163], v[164:165] offset0:2 offset1:3
	ds_write2_b64 v1, v[146:147], v[148:149] offset0:4 offset1:5
	;; [unrolled: 1-line block ×49, first 2 shown]
.LBB98_20:
	s_or_b32 exec_lo, exec_lo, s0
	s_mov_b32 s0, exec_lo
	s_waitcnt lgkmcnt(0)
	s_waitcnt_vscnt null, 0x0
	s_barrier
	buffer_gl0_inv
	v_cmpx_lt_i32_e32 0, v216
	s_cbranch_execz .LBB98_22
; %bb.21:
	v_mul_f64 v[210:211], v[204:205], v[160:161]
	v_mul_f64 v[160:161], v[202:203], v[160:161]
	v_fma_f64 v[210:211], v[202:203], v[158:159], -v[210:211]
	v_fma_f64 v[160:161], v[204:205], v[158:159], v[160:161]
	ds_read2_b64 v[202:205], v1 offset0:2 offset1:3
	s_waitcnt lgkmcnt(0)
	v_mul_f64 v[158:159], v[204:205], v[160:161]
	v_fma_f64 v[158:159], v[202:203], v[210:211], -v[158:159]
	v_mul_f64 v[202:203], v[202:203], v[160:161]
	v_add_f64 v[162:163], v[162:163], -v[158:159]
	v_fma_f64 v[202:203], v[204:205], v[210:211], v[202:203]
	v_add_f64 v[164:165], v[164:165], -v[202:203]
	ds_read2_b64 v[202:205], v1 offset0:4 offset1:5
	s_waitcnt lgkmcnt(0)
	v_mul_f64 v[158:159], v[204:205], v[160:161]
	v_fma_f64 v[158:159], v[202:203], v[210:211], -v[158:159]
	v_mul_f64 v[202:203], v[202:203], v[160:161]
	v_add_f64 v[146:147], v[146:147], -v[158:159]
	v_fma_f64 v[202:203], v[204:205], v[210:211], v[202:203]
	v_add_f64 v[148:149], v[148:149], -v[202:203]
	ds_read2_b64 v[202:205], v1 offset0:6 offset1:7
	s_waitcnt lgkmcnt(0)
	v_mul_f64 v[158:159], v[204:205], v[160:161]
	v_fma_f64 v[158:159], v[202:203], v[210:211], -v[158:159]
	v_mul_f64 v[202:203], v[202:203], v[160:161]
	v_add_f64 v[130:131], v[130:131], -v[158:159]
	v_fma_f64 v[202:203], v[204:205], v[210:211], v[202:203]
	v_add_f64 v[132:133], v[132:133], -v[202:203]
	ds_read2_b64 v[202:205], v1 offset0:8 offset1:9
	s_waitcnt lgkmcnt(0)
	v_mul_f64 v[158:159], v[204:205], v[160:161]
	v_fma_f64 v[158:159], v[202:203], v[210:211], -v[158:159]
	v_mul_f64 v[202:203], v[202:203], v[160:161]
	v_add_f64 v[198:199], v[198:199], -v[158:159]
	v_fma_f64 v[202:203], v[204:205], v[210:211], v[202:203]
	v_add_f64 v[200:201], v[200:201], -v[202:203]
	ds_read2_b64 v[202:205], v1 offset0:10 offset1:11
	s_waitcnt lgkmcnt(0)
	v_mul_f64 v[158:159], v[204:205], v[160:161]
	v_fma_f64 v[158:159], v[202:203], v[210:211], -v[158:159]
	v_mul_f64 v[202:203], v[202:203], v[160:161]
	v_add_f64 v[194:195], v[194:195], -v[158:159]
	v_fma_f64 v[202:203], v[204:205], v[210:211], v[202:203]
	v_add_f64 v[196:197], v[196:197], -v[202:203]
	ds_read2_b64 v[202:205], v1 offset0:12 offset1:13
	s_waitcnt lgkmcnt(0)
	v_mul_f64 v[158:159], v[204:205], v[160:161]
	v_fma_f64 v[158:159], v[202:203], v[210:211], -v[158:159]
	v_mul_f64 v[202:203], v[202:203], v[160:161]
	v_add_f64 v[190:191], v[190:191], -v[158:159]
	v_fma_f64 v[202:203], v[204:205], v[210:211], v[202:203]
	v_add_f64 v[192:193], v[192:193], -v[202:203]
	ds_read2_b64 v[202:205], v1 offset0:14 offset1:15
	s_waitcnt lgkmcnt(0)
	v_mul_f64 v[158:159], v[204:205], v[160:161]
	v_fma_f64 v[158:159], v[202:203], v[210:211], -v[158:159]
	v_mul_f64 v[202:203], v[202:203], v[160:161]
	v_add_f64 v[186:187], v[186:187], -v[158:159]
	v_fma_f64 v[202:203], v[204:205], v[210:211], v[202:203]
	v_add_f64 v[188:189], v[188:189], -v[202:203]
	ds_read2_b64 v[202:205], v1 offset0:16 offset1:17
	s_waitcnt lgkmcnt(0)
	v_mul_f64 v[158:159], v[204:205], v[160:161]
	v_fma_f64 v[158:159], v[202:203], v[210:211], -v[158:159]
	v_mul_f64 v[202:203], v[202:203], v[160:161]
	v_add_f64 v[182:183], v[182:183], -v[158:159]
	v_fma_f64 v[202:203], v[204:205], v[210:211], v[202:203]
	v_add_f64 v[184:185], v[184:185], -v[202:203]
	ds_read2_b64 v[202:205], v1 offset0:18 offset1:19
	s_waitcnt lgkmcnt(0)
	v_mul_f64 v[158:159], v[204:205], v[160:161]
	v_fma_f64 v[158:159], v[202:203], v[210:211], -v[158:159]
	v_mul_f64 v[202:203], v[202:203], v[160:161]
	v_add_f64 v[178:179], v[178:179], -v[158:159]
	v_fma_f64 v[202:203], v[204:205], v[210:211], v[202:203]
	v_add_f64 v[180:181], v[180:181], -v[202:203]
	ds_read2_b64 v[202:205], v1 offset0:20 offset1:21
	s_waitcnt lgkmcnt(0)
	v_mul_f64 v[158:159], v[204:205], v[160:161]
	v_fma_f64 v[158:159], v[202:203], v[210:211], -v[158:159]
	v_mul_f64 v[202:203], v[202:203], v[160:161]
	v_add_f64 v[174:175], v[174:175], -v[158:159]
	v_fma_f64 v[202:203], v[204:205], v[210:211], v[202:203]
	v_add_f64 v[176:177], v[176:177], -v[202:203]
	ds_read2_b64 v[202:205], v1 offset0:22 offset1:23
	s_waitcnt lgkmcnt(0)
	v_mul_f64 v[158:159], v[204:205], v[160:161]
	v_fma_f64 v[158:159], v[202:203], v[210:211], -v[158:159]
	v_mul_f64 v[202:203], v[202:203], v[160:161]
	v_add_f64 v[170:171], v[170:171], -v[158:159]
	v_fma_f64 v[202:203], v[204:205], v[210:211], v[202:203]
	v_add_f64 v[172:173], v[172:173], -v[202:203]
	ds_read2_b64 v[202:205], v1 offset0:24 offset1:25
	s_waitcnt lgkmcnt(0)
	v_mul_f64 v[158:159], v[204:205], v[160:161]
	v_fma_f64 v[158:159], v[202:203], v[210:211], -v[158:159]
	v_mul_f64 v[202:203], v[202:203], v[160:161]
	v_add_f64 v[166:167], v[166:167], -v[158:159]
	v_fma_f64 v[202:203], v[204:205], v[210:211], v[202:203]
	v_add_f64 v[168:169], v[168:169], -v[202:203]
	ds_read2_b64 v[202:205], v1 offset0:26 offset1:27
	s_waitcnt lgkmcnt(0)
	v_mul_f64 v[158:159], v[204:205], v[160:161]
	v_fma_f64 v[158:159], v[202:203], v[210:211], -v[158:159]
	v_mul_f64 v[202:203], v[202:203], v[160:161]
	v_add_f64 v[154:155], v[154:155], -v[158:159]
	v_fma_f64 v[202:203], v[204:205], v[210:211], v[202:203]
	v_add_f64 v[156:157], v[156:157], -v[202:203]
	ds_read2_b64 v[202:205], v1 offset0:28 offset1:29
	s_waitcnt lgkmcnt(0)
	v_mul_f64 v[158:159], v[204:205], v[160:161]
	v_fma_f64 v[158:159], v[202:203], v[210:211], -v[158:159]
	v_mul_f64 v[202:203], v[202:203], v[160:161]
	v_add_f64 v[150:151], v[150:151], -v[158:159]
	v_fma_f64 v[202:203], v[204:205], v[210:211], v[202:203]
	v_add_f64 v[152:153], v[152:153], -v[202:203]
	ds_read2_b64 v[202:205], v1 offset0:30 offset1:31
	s_waitcnt lgkmcnt(0)
	v_mul_f64 v[158:159], v[204:205], v[160:161]
	v_fma_f64 v[158:159], v[202:203], v[210:211], -v[158:159]
	v_mul_f64 v[202:203], v[202:203], v[160:161]
	v_add_f64 v[142:143], v[142:143], -v[158:159]
	v_fma_f64 v[202:203], v[204:205], v[210:211], v[202:203]
	v_add_f64 v[144:145], v[144:145], -v[202:203]
	ds_read2_b64 v[202:205], v1 offset0:32 offset1:33
	s_waitcnt lgkmcnt(0)
	v_mul_f64 v[158:159], v[204:205], v[160:161]
	v_fma_f64 v[158:159], v[202:203], v[210:211], -v[158:159]
	v_mul_f64 v[202:203], v[202:203], v[160:161]
	v_add_f64 v[138:139], v[138:139], -v[158:159]
	v_fma_f64 v[202:203], v[204:205], v[210:211], v[202:203]
	v_add_f64 v[140:141], v[140:141], -v[202:203]
	ds_read2_b64 v[202:205], v1 offset0:34 offset1:35
	s_waitcnt lgkmcnt(0)
	v_mul_f64 v[158:159], v[204:205], v[160:161]
	v_fma_f64 v[158:159], v[202:203], v[210:211], -v[158:159]
	v_mul_f64 v[202:203], v[202:203], v[160:161]
	v_add_f64 v[134:135], v[134:135], -v[158:159]
	v_fma_f64 v[202:203], v[204:205], v[210:211], v[202:203]
	v_add_f64 v[136:137], v[136:137], -v[202:203]
	ds_read2_b64 v[202:205], v1 offset0:36 offset1:37
	s_waitcnt lgkmcnt(0)
	v_mul_f64 v[158:159], v[204:205], v[160:161]
	v_fma_f64 v[158:159], v[202:203], v[210:211], -v[158:159]
	v_mul_f64 v[202:203], v[202:203], v[160:161]
	v_add_f64 v[126:127], v[126:127], -v[158:159]
	v_fma_f64 v[202:203], v[204:205], v[210:211], v[202:203]
	v_add_f64 v[128:129], v[128:129], -v[202:203]
	ds_read2_b64 v[202:205], v1 offset0:38 offset1:39
	s_waitcnt lgkmcnt(0)
	v_mul_f64 v[158:159], v[204:205], v[160:161]
	v_fma_f64 v[158:159], v[202:203], v[210:211], -v[158:159]
	v_mul_f64 v[202:203], v[202:203], v[160:161]
	v_add_f64 v[122:123], v[122:123], -v[158:159]
	v_fma_f64 v[202:203], v[204:205], v[210:211], v[202:203]
	v_add_f64 v[124:125], v[124:125], -v[202:203]
	ds_read2_b64 v[202:205], v1 offset0:40 offset1:41
	s_waitcnt lgkmcnt(0)
	v_mul_f64 v[158:159], v[204:205], v[160:161]
	v_fma_f64 v[158:159], v[202:203], v[210:211], -v[158:159]
	v_mul_f64 v[202:203], v[202:203], v[160:161]
	v_add_f64 v[118:119], v[118:119], -v[158:159]
	v_fma_f64 v[202:203], v[204:205], v[210:211], v[202:203]
	v_add_f64 v[120:121], v[120:121], -v[202:203]
	ds_read2_b64 v[202:205], v1 offset0:42 offset1:43
	s_waitcnt lgkmcnt(0)
	v_mul_f64 v[158:159], v[204:205], v[160:161]
	v_fma_f64 v[158:159], v[202:203], v[210:211], -v[158:159]
	v_mul_f64 v[202:203], v[202:203], v[160:161]
	v_add_f64 v[114:115], v[114:115], -v[158:159]
	v_fma_f64 v[202:203], v[204:205], v[210:211], v[202:203]
	v_add_f64 v[116:117], v[116:117], -v[202:203]
	ds_read2_b64 v[202:205], v1 offset0:44 offset1:45
	s_waitcnt lgkmcnt(0)
	v_mul_f64 v[158:159], v[204:205], v[160:161]
	v_fma_f64 v[158:159], v[202:203], v[210:211], -v[158:159]
	v_mul_f64 v[202:203], v[202:203], v[160:161]
	v_add_f64 v[110:111], v[110:111], -v[158:159]
	v_fma_f64 v[202:203], v[204:205], v[210:211], v[202:203]
	v_add_f64 v[112:113], v[112:113], -v[202:203]
	ds_read2_b64 v[202:205], v1 offset0:46 offset1:47
	s_waitcnt lgkmcnt(0)
	v_mul_f64 v[158:159], v[204:205], v[160:161]
	v_fma_f64 v[158:159], v[202:203], v[210:211], -v[158:159]
	v_mul_f64 v[202:203], v[202:203], v[160:161]
	v_add_f64 v[106:107], v[106:107], -v[158:159]
	v_fma_f64 v[202:203], v[204:205], v[210:211], v[202:203]
	v_add_f64 v[108:109], v[108:109], -v[202:203]
	ds_read2_b64 v[202:205], v1 offset0:48 offset1:49
	s_waitcnt lgkmcnt(0)
	v_mul_f64 v[158:159], v[204:205], v[160:161]
	v_fma_f64 v[158:159], v[202:203], v[210:211], -v[158:159]
	v_mul_f64 v[202:203], v[202:203], v[160:161]
	v_add_f64 v[102:103], v[102:103], -v[158:159]
	v_fma_f64 v[202:203], v[204:205], v[210:211], v[202:203]
	v_add_f64 v[104:105], v[104:105], -v[202:203]
	ds_read2_b64 v[202:205], v1 offset0:50 offset1:51
	s_waitcnt lgkmcnt(0)
	v_mul_f64 v[158:159], v[204:205], v[160:161]
	v_fma_f64 v[158:159], v[202:203], v[210:211], -v[158:159]
	v_mul_f64 v[202:203], v[202:203], v[160:161]
	v_add_f64 v[98:99], v[98:99], -v[158:159]
	v_fma_f64 v[202:203], v[204:205], v[210:211], v[202:203]
	v_add_f64 v[100:101], v[100:101], -v[202:203]
	ds_read2_b64 v[202:205], v1 offset0:52 offset1:53
	s_waitcnt lgkmcnt(0)
	v_mul_f64 v[158:159], v[204:205], v[160:161]
	v_fma_f64 v[158:159], v[202:203], v[210:211], -v[158:159]
	v_mul_f64 v[202:203], v[202:203], v[160:161]
	v_add_f64 v[94:95], v[94:95], -v[158:159]
	v_fma_f64 v[202:203], v[204:205], v[210:211], v[202:203]
	v_add_f64 v[96:97], v[96:97], -v[202:203]
	ds_read2_b64 v[202:205], v1 offset0:54 offset1:55
	s_waitcnt lgkmcnt(0)
	v_mul_f64 v[158:159], v[204:205], v[160:161]
	v_fma_f64 v[158:159], v[202:203], v[210:211], -v[158:159]
	v_mul_f64 v[202:203], v[202:203], v[160:161]
	v_add_f64 v[90:91], v[90:91], -v[158:159]
	v_fma_f64 v[202:203], v[204:205], v[210:211], v[202:203]
	v_add_f64 v[92:93], v[92:93], -v[202:203]
	ds_read2_b64 v[202:205], v1 offset0:56 offset1:57
	s_waitcnt lgkmcnt(0)
	v_mul_f64 v[158:159], v[204:205], v[160:161]
	v_fma_f64 v[158:159], v[202:203], v[210:211], -v[158:159]
	v_mul_f64 v[202:203], v[202:203], v[160:161]
	v_add_f64 v[86:87], v[86:87], -v[158:159]
	v_fma_f64 v[202:203], v[204:205], v[210:211], v[202:203]
	v_add_f64 v[88:89], v[88:89], -v[202:203]
	ds_read2_b64 v[202:205], v1 offset0:58 offset1:59
	s_waitcnt lgkmcnt(0)
	v_mul_f64 v[158:159], v[204:205], v[160:161]
	v_fma_f64 v[158:159], v[202:203], v[210:211], -v[158:159]
	v_mul_f64 v[202:203], v[202:203], v[160:161]
	v_add_f64 v[82:83], v[82:83], -v[158:159]
	v_fma_f64 v[202:203], v[204:205], v[210:211], v[202:203]
	v_add_f64 v[84:85], v[84:85], -v[202:203]
	ds_read2_b64 v[202:205], v1 offset0:60 offset1:61
	s_waitcnt lgkmcnt(0)
	v_mul_f64 v[158:159], v[204:205], v[160:161]
	v_fma_f64 v[158:159], v[202:203], v[210:211], -v[158:159]
	v_mul_f64 v[202:203], v[202:203], v[160:161]
	v_add_f64 v[78:79], v[78:79], -v[158:159]
	v_fma_f64 v[202:203], v[204:205], v[210:211], v[202:203]
	v_add_f64 v[80:81], v[80:81], -v[202:203]
	ds_read2_b64 v[202:205], v1 offset0:62 offset1:63
	s_waitcnt lgkmcnt(0)
	v_mul_f64 v[158:159], v[204:205], v[160:161]
	v_fma_f64 v[158:159], v[202:203], v[210:211], -v[158:159]
	v_mul_f64 v[202:203], v[202:203], v[160:161]
	v_add_f64 v[74:75], v[74:75], -v[158:159]
	v_fma_f64 v[202:203], v[204:205], v[210:211], v[202:203]
	v_add_f64 v[76:77], v[76:77], -v[202:203]
	ds_read2_b64 v[202:205], v1 offset0:64 offset1:65
	s_waitcnt lgkmcnt(0)
	v_mul_f64 v[158:159], v[204:205], v[160:161]
	v_fma_f64 v[158:159], v[202:203], v[210:211], -v[158:159]
	v_mul_f64 v[202:203], v[202:203], v[160:161]
	v_add_f64 v[70:71], v[70:71], -v[158:159]
	v_fma_f64 v[202:203], v[204:205], v[210:211], v[202:203]
	v_add_f64 v[72:73], v[72:73], -v[202:203]
	ds_read2_b64 v[202:205], v1 offset0:66 offset1:67
	s_waitcnt lgkmcnt(0)
	v_mul_f64 v[158:159], v[204:205], v[160:161]
	v_fma_f64 v[158:159], v[202:203], v[210:211], -v[158:159]
	v_mul_f64 v[202:203], v[202:203], v[160:161]
	v_add_f64 v[66:67], v[66:67], -v[158:159]
	v_fma_f64 v[202:203], v[204:205], v[210:211], v[202:203]
	v_add_f64 v[68:69], v[68:69], -v[202:203]
	ds_read2_b64 v[202:205], v1 offset0:68 offset1:69
	s_waitcnt lgkmcnt(0)
	v_mul_f64 v[158:159], v[204:205], v[160:161]
	v_fma_f64 v[158:159], v[202:203], v[210:211], -v[158:159]
	v_mul_f64 v[202:203], v[202:203], v[160:161]
	v_add_f64 v[62:63], v[62:63], -v[158:159]
	v_fma_f64 v[202:203], v[204:205], v[210:211], v[202:203]
	v_add_f64 v[64:65], v[64:65], -v[202:203]
	ds_read2_b64 v[202:205], v1 offset0:70 offset1:71
	s_waitcnt lgkmcnt(0)
	v_mul_f64 v[158:159], v[204:205], v[160:161]
	v_fma_f64 v[158:159], v[202:203], v[210:211], -v[158:159]
	v_mul_f64 v[202:203], v[202:203], v[160:161]
	v_add_f64 v[58:59], v[58:59], -v[158:159]
	v_fma_f64 v[202:203], v[204:205], v[210:211], v[202:203]
	v_add_f64 v[60:61], v[60:61], -v[202:203]
	ds_read2_b64 v[202:205], v1 offset0:72 offset1:73
	s_waitcnt lgkmcnt(0)
	v_mul_f64 v[158:159], v[204:205], v[160:161]
	v_fma_f64 v[158:159], v[202:203], v[210:211], -v[158:159]
	v_mul_f64 v[202:203], v[202:203], v[160:161]
	v_add_f64 v[54:55], v[54:55], -v[158:159]
	v_fma_f64 v[202:203], v[204:205], v[210:211], v[202:203]
	v_add_f64 v[56:57], v[56:57], -v[202:203]
	ds_read2_b64 v[202:205], v1 offset0:74 offset1:75
	s_waitcnt lgkmcnt(0)
	v_mul_f64 v[158:159], v[204:205], v[160:161]
	v_fma_f64 v[158:159], v[202:203], v[210:211], -v[158:159]
	v_mul_f64 v[202:203], v[202:203], v[160:161]
	v_add_f64 v[50:51], v[50:51], -v[158:159]
	v_fma_f64 v[202:203], v[204:205], v[210:211], v[202:203]
	v_add_f64 v[52:53], v[52:53], -v[202:203]
	ds_read2_b64 v[202:205], v1 offset0:76 offset1:77
	s_waitcnt lgkmcnt(0)
	v_mul_f64 v[158:159], v[204:205], v[160:161]
	v_fma_f64 v[158:159], v[202:203], v[210:211], -v[158:159]
	v_mul_f64 v[202:203], v[202:203], v[160:161]
	v_add_f64 v[46:47], v[46:47], -v[158:159]
	v_fma_f64 v[202:203], v[204:205], v[210:211], v[202:203]
	v_add_f64 v[48:49], v[48:49], -v[202:203]
	ds_read2_b64 v[202:205], v1 offset0:78 offset1:79
	s_waitcnt lgkmcnt(0)
	v_mul_f64 v[158:159], v[204:205], v[160:161]
	v_fma_f64 v[158:159], v[202:203], v[210:211], -v[158:159]
	v_mul_f64 v[202:203], v[202:203], v[160:161]
	v_add_f64 v[42:43], v[42:43], -v[158:159]
	v_fma_f64 v[202:203], v[204:205], v[210:211], v[202:203]
	v_add_f64 v[44:45], v[44:45], -v[202:203]
	ds_read2_b64 v[202:205], v1 offset0:80 offset1:81
	s_waitcnt lgkmcnt(0)
	v_mul_f64 v[158:159], v[204:205], v[160:161]
	v_fma_f64 v[158:159], v[202:203], v[210:211], -v[158:159]
	v_mul_f64 v[202:203], v[202:203], v[160:161]
	v_add_f64 v[38:39], v[38:39], -v[158:159]
	v_fma_f64 v[202:203], v[204:205], v[210:211], v[202:203]
	v_add_f64 v[40:41], v[40:41], -v[202:203]
	ds_read2_b64 v[202:205], v1 offset0:82 offset1:83
	s_waitcnt lgkmcnt(0)
	v_mul_f64 v[158:159], v[204:205], v[160:161]
	v_fma_f64 v[158:159], v[202:203], v[210:211], -v[158:159]
	v_mul_f64 v[202:203], v[202:203], v[160:161]
	v_add_f64 v[34:35], v[34:35], -v[158:159]
	v_fma_f64 v[202:203], v[204:205], v[210:211], v[202:203]
	v_add_f64 v[36:37], v[36:37], -v[202:203]
	ds_read2_b64 v[202:205], v1 offset0:84 offset1:85
	s_waitcnt lgkmcnt(0)
	v_mul_f64 v[158:159], v[204:205], v[160:161]
	v_fma_f64 v[158:159], v[202:203], v[210:211], -v[158:159]
	v_mul_f64 v[202:203], v[202:203], v[160:161]
	v_add_f64 v[30:31], v[30:31], -v[158:159]
	v_fma_f64 v[202:203], v[204:205], v[210:211], v[202:203]
	v_add_f64 v[32:33], v[32:33], -v[202:203]
	ds_read2_b64 v[202:205], v1 offset0:86 offset1:87
	s_waitcnt lgkmcnt(0)
	v_mul_f64 v[158:159], v[204:205], v[160:161]
	v_fma_f64 v[158:159], v[202:203], v[210:211], -v[158:159]
	v_mul_f64 v[202:203], v[202:203], v[160:161]
	v_add_f64 v[26:27], v[26:27], -v[158:159]
	v_fma_f64 v[202:203], v[204:205], v[210:211], v[202:203]
	v_add_f64 v[28:29], v[28:29], -v[202:203]
	ds_read2_b64 v[202:205], v1 offset0:88 offset1:89
	s_waitcnt lgkmcnt(0)
	v_mul_f64 v[158:159], v[204:205], v[160:161]
	v_fma_f64 v[158:159], v[202:203], v[210:211], -v[158:159]
	v_mul_f64 v[202:203], v[202:203], v[160:161]
	v_add_f64 v[22:23], v[22:23], -v[158:159]
	v_fma_f64 v[202:203], v[204:205], v[210:211], v[202:203]
	v_add_f64 v[24:25], v[24:25], -v[202:203]
	ds_read2_b64 v[202:205], v1 offset0:90 offset1:91
	s_waitcnt lgkmcnt(0)
	v_mul_f64 v[158:159], v[204:205], v[160:161]
	v_fma_f64 v[158:159], v[202:203], v[210:211], -v[158:159]
	v_mul_f64 v[202:203], v[202:203], v[160:161]
	v_add_f64 v[18:19], v[18:19], -v[158:159]
	v_fma_f64 v[202:203], v[204:205], v[210:211], v[202:203]
	v_add_f64 v[20:21], v[20:21], -v[202:203]
	ds_read2_b64 v[202:205], v1 offset0:92 offset1:93
	s_waitcnt lgkmcnt(0)
	v_mul_f64 v[158:159], v[204:205], v[160:161]
	v_fma_f64 v[158:159], v[202:203], v[210:211], -v[158:159]
	v_mul_f64 v[202:203], v[202:203], v[160:161]
	v_add_f64 v[14:15], v[14:15], -v[158:159]
	v_fma_f64 v[202:203], v[204:205], v[210:211], v[202:203]
	v_add_f64 v[16:17], v[16:17], -v[202:203]
	ds_read2_b64 v[202:205], v1 offset0:94 offset1:95
	s_waitcnt lgkmcnt(0)
	v_mul_f64 v[158:159], v[204:205], v[160:161]
	v_fma_f64 v[158:159], v[202:203], v[210:211], -v[158:159]
	v_mul_f64 v[202:203], v[202:203], v[160:161]
	v_add_f64 v[10:11], v[10:11], -v[158:159]
	v_fma_f64 v[202:203], v[204:205], v[210:211], v[202:203]
	v_add_f64 v[12:13], v[12:13], -v[202:203]
	ds_read2_b64 v[202:205], v1 offset0:96 offset1:97
	s_waitcnt lgkmcnt(0)
	v_mul_f64 v[158:159], v[204:205], v[160:161]
	v_fma_f64 v[158:159], v[202:203], v[210:211], -v[158:159]
	v_mul_f64 v[202:203], v[202:203], v[160:161]
	v_add_f64 v[6:7], v[6:7], -v[158:159]
	v_fma_f64 v[202:203], v[204:205], v[210:211], v[202:203]
	v_add_f64 v[8:9], v[8:9], -v[202:203]
	ds_read2_b64 v[202:205], v1 offset0:98 offset1:99
	s_waitcnt lgkmcnt(0)
	v_mul_f64 v[158:159], v[204:205], v[160:161]
	v_fma_f64 v[158:159], v[202:203], v[210:211], -v[158:159]
	v_mul_f64 v[202:203], v[202:203], v[160:161]
	v_add_f64 v[2:3], v[2:3], -v[158:159]
	v_fma_f64 v[202:203], v[204:205], v[210:211], v[202:203]
	v_mov_b32_e32 v158, v210
	v_mov_b32_e32 v159, v211
	v_add_f64 v[4:5], v[4:5], -v[202:203]
.LBB98_22:
	s_or_b32 exec_lo, exec_lo, s0
	v_lshl_add_u32 v202, v216, 4, v1
	s_barrier
	buffer_gl0_inv
	v_mov_b32_e32 v210, 1
	ds_write2_b64 v202, v[162:163], v[164:165] offset1:1
	s_waitcnt lgkmcnt(0)
	s_barrier
	buffer_gl0_inv
	ds_read2_b64 v[202:205], v1 offset0:2 offset1:3
	s_cmp_lt_i32 s1, 3
	s_cbranch_scc1 .LBB98_25
; %bb.23:
	v_add3_u32 v211, v212, 0, 32
	v_mov_b32_e32 v210, 1
	s_mov_b32 s7, 2
	s_inst_prefetch 0x1
	.p2align	6
.LBB98_24:                              ; =>This Inner Loop Header: Depth=1
	s_waitcnt lgkmcnt(0)
	v_cmp_gt_f64_e32 vcc_lo, 0, v[204:205]
	v_cmp_gt_f64_e64 s0, 0, v[202:203]
	ds_read2_b64 v[218:221], v211 offset1:1
	v_xor_b32_e32 v223, 0x80000000, v203
	v_xor_b32_e32 v225, 0x80000000, v205
	v_mov_b32_e32 v222, v202
	v_mov_b32_e32 v224, v204
	v_add_nc_u32_e32 v211, 16, v211
	s_waitcnt lgkmcnt(0)
	v_xor_b32_e32 v227, 0x80000000, v221
	v_cndmask_b32_e64 v223, v203, v223, s0
	v_cndmask_b32_e32 v225, v205, v225, vcc_lo
	v_cmp_gt_f64_e32 vcc_lo, 0, v[220:221]
	v_cmp_gt_f64_e64 s0, 0, v[218:219]
	v_mov_b32_e32 v226, v220
	v_add_f64 v[222:223], v[222:223], v[224:225]
	v_xor_b32_e32 v225, 0x80000000, v219
	v_mov_b32_e32 v224, v218
	v_cndmask_b32_e32 v227, v221, v227, vcc_lo
	v_cndmask_b32_e64 v225, v219, v225, s0
	v_add_f64 v[224:225], v[224:225], v[226:227]
	v_cmp_lt_f64_e32 vcc_lo, v[222:223], v[224:225]
	v_cndmask_b32_e32 v203, v203, v219, vcc_lo
	v_cndmask_b32_e32 v202, v202, v218, vcc_lo
	;; [unrolled: 1-line block ×4, first 2 shown]
	v_cndmask_b32_e64 v210, v210, s7, vcc_lo
	s_add_i32 s7, s7, 1
	s_cmp_lg_u32 s1, s7
	s_cbranch_scc1 .LBB98_24
.LBB98_25:
	s_inst_prefetch 0x2
	s_waitcnt lgkmcnt(0)
	v_cmp_neq_f64_e32 vcc_lo, 0, v[202:203]
	v_cmp_neq_f64_e64 s0, 0, v[204:205]
	s_or_b32 s7, vcc_lo, s0
	s_and_saveexec_b32 s0, s7
	s_cbranch_execz .LBB98_31
; %bb.26:
	v_cmp_ngt_f64_e64 s7, |v[202:203]|, |v[204:205]|
	s_and_saveexec_b32 s8, s7
	s_xor_b32 s7, exec_lo, s8
	s_cbranch_execz .LBB98_28
; %bb.27:
	v_div_scale_f64 v[218:219], null, v[204:205], v[204:205], v[202:203]
	v_div_scale_f64 v[224:225], vcc_lo, v[202:203], v[204:205], v[202:203]
	v_rcp_f64_e32 v[220:221], v[218:219]
	v_fma_f64 v[222:223], -v[218:219], v[220:221], 1.0
	v_fma_f64 v[220:221], v[220:221], v[222:223], v[220:221]
	v_fma_f64 v[222:223], -v[218:219], v[220:221], 1.0
	v_fma_f64 v[220:221], v[220:221], v[222:223], v[220:221]
	v_mul_f64 v[222:223], v[224:225], v[220:221]
	v_fma_f64 v[218:219], -v[218:219], v[222:223], v[224:225]
	v_div_fmas_f64 v[218:219], v[218:219], v[220:221], v[222:223]
	v_div_fixup_f64 v[218:219], v[218:219], v[204:205], v[202:203]
	v_fma_f64 v[202:203], v[202:203], v[218:219], v[204:205]
	v_div_scale_f64 v[204:205], null, v[202:203], v[202:203], 1.0
	v_rcp_f64_e32 v[220:221], v[204:205]
	v_fma_f64 v[222:223], -v[204:205], v[220:221], 1.0
	v_fma_f64 v[220:221], v[220:221], v[222:223], v[220:221]
	v_fma_f64 v[222:223], -v[204:205], v[220:221], 1.0
	v_fma_f64 v[220:221], v[220:221], v[222:223], v[220:221]
	v_div_scale_f64 v[222:223], vcc_lo, 1.0, v[202:203], 1.0
	v_mul_f64 v[224:225], v[222:223], v[220:221]
	v_fma_f64 v[204:205], -v[204:205], v[224:225], v[222:223]
	v_div_fmas_f64 v[204:205], v[204:205], v[220:221], v[224:225]
	v_div_fixup_f64 v[204:205], v[204:205], v[202:203], 1.0
	v_mul_f64 v[202:203], v[218:219], v[204:205]
	v_xor_b32_e32 v205, 0x80000000, v205
.LBB98_28:
	s_andn2_saveexec_b32 s7, s7
	s_cbranch_execz .LBB98_30
; %bb.29:
	v_div_scale_f64 v[218:219], null, v[202:203], v[202:203], v[204:205]
	v_div_scale_f64 v[224:225], vcc_lo, v[204:205], v[202:203], v[204:205]
	v_rcp_f64_e32 v[220:221], v[218:219]
	v_fma_f64 v[222:223], -v[218:219], v[220:221], 1.0
	v_fma_f64 v[220:221], v[220:221], v[222:223], v[220:221]
	v_fma_f64 v[222:223], -v[218:219], v[220:221], 1.0
	v_fma_f64 v[220:221], v[220:221], v[222:223], v[220:221]
	v_mul_f64 v[222:223], v[224:225], v[220:221]
	v_fma_f64 v[218:219], -v[218:219], v[222:223], v[224:225]
	v_div_fmas_f64 v[218:219], v[218:219], v[220:221], v[222:223]
	v_div_fixup_f64 v[218:219], v[218:219], v[202:203], v[204:205]
	v_fma_f64 v[202:203], v[204:205], v[218:219], v[202:203]
	v_div_scale_f64 v[204:205], null, v[202:203], v[202:203], 1.0
	v_rcp_f64_e32 v[220:221], v[204:205]
	v_fma_f64 v[222:223], -v[204:205], v[220:221], 1.0
	v_fma_f64 v[220:221], v[220:221], v[222:223], v[220:221]
	v_fma_f64 v[222:223], -v[204:205], v[220:221], 1.0
	v_fma_f64 v[220:221], v[220:221], v[222:223], v[220:221]
	v_div_scale_f64 v[222:223], vcc_lo, 1.0, v[202:203], 1.0
	v_mul_f64 v[224:225], v[222:223], v[220:221]
	v_fma_f64 v[204:205], -v[204:205], v[224:225], v[222:223]
	v_div_fmas_f64 v[204:205], v[204:205], v[220:221], v[224:225]
	v_div_fixup_f64 v[202:203], v[204:205], v[202:203], 1.0
	v_mul_f64 v[204:205], v[218:219], -v[202:203]
.LBB98_30:
	s_or_b32 exec_lo, exec_lo, s7
	v_mov_b32_e32 v215, v217
.LBB98_31:
	s_or_b32 exec_lo, exec_lo, s0
	s_mov_b32 s0, exec_lo
	v_cmpx_ne_u32_e64 v216, v210
	s_xor_b32 s0, exec_lo, s0
	s_cbranch_execz .LBB98_37
; %bb.32:
	s_mov_b32 s7, exec_lo
	v_cmpx_eq_u32_e32 1, v216
	s_cbranch_execz .LBB98_36
; %bb.33:
	v_cmp_ne_u32_e32 vcc_lo, 1, v210
	s_xor_b32 s8, s16, -1
	s_and_b32 s9, s8, vcc_lo
	s_and_saveexec_b32 s8, s9
	s_cbranch_execz .LBB98_35
; %bb.34:
	v_ashrrev_i32_e32 v211, 31, v210
	v_lshlrev_b64 v[216:217], 2, v[210:211]
	v_add_co_u32 v216, vcc_lo, v208, v216
	v_add_co_ci_u32_e64 v217, null, v209, v217, vcc_lo
	s_clause 0x1
	global_load_dword v0, v[216:217], off
	global_load_dword v211, v[208:209], off offset:4
	s_waitcnt vmcnt(1)
	global_store_dword v[208:209], v0, off offset:4
	s_waitcnt vmcnt(0)
	global_store_dword v[216:217], v211, off
.LBB98_35:
	s_or_b32 exec_lo, exec_lo, s8
	v_mov_b32_e32 v216, v210
	v_mov_b32_e32 v0, v210
.LBB98_36:
	s_or_b32 exec_lo, exec_lo, s7
.LBB98_37:
	s_andn2_saveexec_b32 s0, s0
	s_cbranch_execz .LBB98_39
; %bb.38:
	v_mov_b32_e32 v216, 1
	ds_write2_b64 v1, v[146:147], v[148:149] offset0:4 offset1:5
	ds_write2_b64 v1, v[130:131], v[132:133] offset0:6 offset1:7
	;; [unrolled: 1-line block ×48, first 2 shown]
.LBB98_39:
	s_or_b32 exec_lo, exec_lo, s0
	s_mov_b32 s0, exec_lo
	s_waitcnt lgkmcnt(0)
	s_waitcnt_vscnt null, 0x0
	s_barrier
	buffer_gl0_inv
	v_cmpx_lt_i32_e32 1, v216
	s_cbranch_execz .LBB98_41
; %bb.40:
	v_mul_f64 v[210:211], v[204:205], v[164:165]
	v_mul_f64 v[164:165], v[202:203], v[164:165]
	v_fma_f64 v[210:211], v[202:203], v[162:163], -v[210:211]
	v_fma_f64 v[164:165], v[204:205], v[162:163], v[164:165]
	ds_read2_b64 v[202:205], v1 offset0:4 offset1:5
	s_waitcnt lgkmcnt(0)
	v_mul_f64 v[162:163], v[204:205], v[164:165]
	v_fma_f64 v[162:163], v[202:203], v[210:211], -v[162:163]
	v_mul_f64 v[202:203], v[202:203], v[164:165]
	v_add_f64 v[146:147], v[146:147], -v[162:163]
	v_fma_f64 v[202:203], v[204:205], v[210:211], v[202:203]
	v_add_f64 v[148:149], v[148:149], -v[202:203]
	ds_read2_b64 v[202:205], v1 offset0:6 offset1:7
	s_waitcnt lgkmcnt(0)
	v_mul_f64 v[162:163], v[204:205], v[164:165]
	v_fma_f64 v[162:163], v[202:203], v[210:211], -v[162:163]
	v_mul_f64 v[202:203], v[202:203], v[164:165]
	v_add_f64 v[130:131], v[130:131], -v[162:163]
	v_fma_f64 v[202:203], v[204:205], v[210:211], v[202:203]
	v_add_f64 v[132:133], v[132:133], -v[202:203]
	;; [unrolled: 8-line block ×47, first 2 shown]
	ds_read2_b64 v[202:205], v1 offset0:98 offset1:99
	s_waitcnt lgkmcnt(0)
	v_mul_f64 v[162:163], v[204:205], v[164:165]
	v_fma_f64 v[162:163], v[202:203], v[210:211], -v[162:163]
	v_mul_f64 v[202:203], v[202:203], v[164:165]
	v_add_f64 v[2:3], v[2:3], -v[162:163]
	v_fma_f64 v[202:203], v[204:205], v[210:211], v[202:203]
	v_mov_b32_e32 v162, v210
	v_mov_b32_e32 v163, v211
	v_add_f64 v[4:5], v[4:5], -v[202:203]
.LBB98_41:
	s_or_b32 exec_lo, exec_lo, s0
	v_lshl_add_u32 v202, v216, 4, v1
	s_barrier
	buffer_gl0_inv
	v_mov_b32_e32 v210, 2
	ds_write2_b64 v202, v[146:147], v[148:149] offset1:1
	s_waitcnt lgkmcnt(0)
	s_barrier
	buffer_gl0_inv
	ds_read2_b64 v[202:205], v1 offset0:4 offset1:5
	s_cmp_lt_i32 s1, 4
	s_cbranch_scc1 .LBB98_44
; %bb.42:
	v_add3_u32 v211, v212, 0, 48
	v_mov_b32_e32 v210, 2
	s_mov_b32 s7, 3
	s_inst_prefetch 0x1
	.p2align	6
.LBB98_43:                              ; =>This Inner Loop Header: Depth=1
	s_waitcnt lgkmcnt(0)
	v_cmp_gt_f64_e32 vcc_lo, 0, v[204:205]
	v_cmp_gt_f64_e64 s0, 0, v[202:203]
	ds_read2_b64 v[217:220], v211 offset1:1
	v_xor_b32_e32 v222, 0x80000000, v203
	v_xor_b32_e32 v224, 0x80000000, v205
	v_mov_b32_e32 v221, v202
	v_mov_b32_e32 v223, v204
	v_add_nc_u32_e32 v211, 16, v211
	s_waitcnt lgkmcnt(0)
	v_xor_b32_e32 v226, 0x80000000, v220
	v_cndmask_b32_e64 v222, v203, v222, s0
	v_cndmask_b32_e32 v224, v205, v224, vcc_lo
	v_cmp_gt_f64_e32 vcc_lo, 0, v[219:220]
	v_cmp_gt_f64_e64 s0, 0, v[217:218]
	v_mov_b32_e32 v225, v219
	v_add_f64 v[221:222], v[221:222], v[223:224]
	v_xor_b32_e32 v224, 0x80000000, v218
	v_mov_b32_e32 v223, v217
	v_cndmask_b32_e32 v226, v220, v226, vcc_lo
	v_cndmask_b32_e64 v224, v218, v224, s0
	v_add_f64 v[223:224], v[223:224], v[225:226]
	v_cmp_lt_f64_e32 vcc_lo, v[221:222], v[223:224]
	v_cndmask_b32_e32 v203, v203, v218, vcc_lo
	v_cndmask_b32_e32 v202, v202, v217, vcc_lo
	;; [unrolled: 1-line block ×4, first 2 shown]
	v_cndmask_b32_e64 v210, v210, s7, vcc_lo
	s_add_i32 s7, s7, 1
	s_cmp_lg_u32 s1, s7
	s_cbranch_scc1 .LBB98_43
.LBB98_44:
	s_inst_prefetch 0x2
	s_waitcnt lgkmcnt(0)
	v_cmp_eq_f64_e32 vcc_lo, 0, v[202:203]
	v_cmp_eq_f64_e64 s0, 0, v[204:205]
	s_and_b32 s0, vcc_lo, s0
	s_and_saveexec_b32 s7, s0
	s_xor_b32 s0, exec_lo, s7
; %bb.45:
	v_cmp_ne_u32_e32 vcc_lo, 0, v215
	v_cndmask_b32_e32 v215, 3, v215, vcc_lo
; %bb.46:
	s_andn2_saveexec_b32 s0, s0
	s_cbranch_execz .LBB98_52
; %bb.47:
	v_cmp_ngt_f64_e64 s7, |v[202:203]|, |v[204:205]|
	s_and_saveexec_b32 s8, s7
	s_xor_b32 s7, exec_lo, s8
	s_cbranch_execz .LBB98_49
; %bb.48:
	v_div_scale_f64 v[217:218], null, v[204:205], v[204:205], v[202:203]
	v_div_scale_f64 v[223:224], vcc_lo, v[202:203], v[204:205], v[202:203]
	v_rcp_f64_e32 v[219:220], v[217:218]
	v_fma_f64 v[221:222], -v[217:218], v[219:220], 1.0
	v_fma_f64 v[219:220], v[219:220], v[221:222], v[219:220]
	v_fma_f64 v[221:222], -v[217:218], v[219:220], 1.0
	v_fma_f64 v[219:220], v[219:220], v[221:222], v[219:220]
	v_mul_f64 v[221:222], v[223:224], v[219:220]
	v_fma_f64 v[217:218], -v[217:218], v[221:222], v[223:224]
	v_div_fmas_f64 v[217:218], v[217:218], v[219:220], v[221:222]
	v_div_fixup_f64 v[217:218], v[217:218], v[204:205], v[202:203]
	v_fma_f64 v[202:203], v[202:203], v[217:218], v[204:205]
	v_div_scale_f64 v[204:205], null, v[202:203], v[202:203], 1.0
	v_rcp_f64_e32 v[219:220], v[204:205]
	v_fma_f64 v[221:222], -v[204:205], v[219:220], 1.0
	v_fma_f64 v[219:220], v[219:220], v[221:222], v[219:220]
	v_fma_f64 v[221:222], -v[204:205], v[219:220], 1.0
	v_fma_f64 v[219:220], v[219:220], v[221:222], v[219:220]
	v_div_scale_f64 v[221:222], vcc_lo, 1.0, v[202:203], 1.0
	v_mul_f64 v[223:224], v[221:222], v[219:220]
	v_fma_f64 v[204:205], -v[204:205], v[223:224], v[221:222]
	v_div_fmas_f64 v[204:205], v[204:205], v[219:220], v[223:224]
	v_div_fixup_f64 v[204:205], v[204:205], v[202:203], 1.0
	v_mul_f64 v[202:203], v[217:218], v[204:205]
	v_xor_b32_e32 v205, 0x80000000, v205
.LBB98_49:
	s_andn2_saveexec_b32 s7, s7
	s_cbranch_execz .LBB98_51
; %bb.50:
	v_div_scale_f64 v[217:218], null, v[202:203], v[202:203], v[204:205]
	v_div_scale_f64 v[223:224], vcc_lo, v[204:205], v[202:203], v[204:205]
	v_rcp_f64_e32 v[219:220], v[217:218]
	v_fma_f64 v[221:222], -v[217:218], v[219:220], 1.0
	v_fma_f64 v[219:220], v[219:220], v[221:222], v[219:220]
	v_fma_f64 v[221:222], -v[217:218], v[219:220], 1.0
	v_fma_f64 v[219:220], v[219:220], v[221:222], v[219:220]
	v_mul_f64 v[221:222], v[223:224], v[219:220]
	v_fma_f64 v[217:218], -v[217:218], v[221:222], v[223:224]
	v_div_fmas_f64 v[217:218], v[217:218], v[219:220], v[221:222]
	v_div_fixup_f64 v[217:218], v[217:218], v[202:203], v[204:205]
	v_fma_f64 v[202:203], v[204:205], v[217:218], v[202:203]
	v_div_scale_f64 v[204:205], null, v[202:203], v[202:203], 1.0
	v_rcp_f64_e32 v[219:220], v[204:205]
	v_fma_f64 v[221:222], -v[204:205], v[219:220], 1.0
	v_fma_f64 v[219:220], v[219:220], v[221:222], v[219:220]
	v_fma_f64 v[221:222], -v[204:205], v[219:220], 1.0
	v_fma_f64 v[219:220], v[219:220], v[221:222], v[219:220]
	v_div_scale_f64 v[221:222], vcc_lo, 1.0, v[202:203], 1.0
	v_mul_f64 v[223:224], v[221:222], v[219:220]
	v_fma_f64 v[204:205], -v[204:205], v[223:224], v[221:222]
	v_div_fmas_f64 v[204:205], v[204:205], v[219:220], v[223:224]
	v_div_fixup_f64 v[202:203], v[204:205], v[202:203], 1.0
	v_mul_f64 v[204:205], v[217:218], -v[202:203]
.LBB98_51:
	s_or_b32 exec_lo, exec_lo, s7
.LBB98_52:
	s_or_b32 exec_lo, exec_lo, s0
	s_mov_b32 s0, exec_lo
	v_cmpx_ne_u32_e64 v216, v210
	s_xor_b32 s0, exec_lo, s0
	s_cbranch_execz .LBB98_58
; %bb.53:
	s_mov_b32 s7, exec_lo
	v_cmpx_eq_u32_e32 2, v216
	s_cbranch_execz .LBB98_57
; %bb.54:
	v_cmp_ne_u32_e32 vcc_lo, 2, v210
	s_xor_b32 s8, s16, -1
	s_and_b32 s9, s8, vcc_lo
	s_and_saveexec_b32 s8, s9
	s_cbranch_execz .LBB98_56
; %bb.55:
	v_ashrrev_i32_e32 v211, 31, v210
	v_lshlrev_b64 v[216:217], 2, v[210:211]
	v_add_co_u32 v216, vcc_lo, v208, v216
	v_add_co_ci_u32_e64 v217, null, v209, v217, vcc_lo
	s_clause 0x1
	global_load_dword v0, v[216:217], off
	global_load_dword v211, v[208:209], off offset:8
	s_waitcnt vmcnt(1)
	global_store_dword v[208:209], v0, off offset:8
	s_waitcnt vmcnt(0)
	global_store_dword v[216:217], v211, off
.LBB98_56:
	s_or_b32 exec_lo, exec_lo, s8
	v_mov_b32_e32 v216, v210
	v_mov_b32_e32 v0, v210
.LBB98_57:
	s_or_b32 exec_lo, exec_lo, s7
.LBB98_58:
	s_andn2_saveexec_b32 s0, s0
	s_cbranch_execz .LBB98_60
; %bb.59:
	v_mov_b32_e32 v216, 2
	ds_write2_b64 v1, v[130:131], v[132:133] offset0:6 offset1:7
	ds_write2_b64 v1, v[198:199], v[200:201] offset0:8 offset1:9
	;; [unrolled: 1-line block ×47, first 2 shown]
.LBB98_60:
	s_or_b32 exec_lo, exec_lo, s0
	s_mov_b32 s0, exec_lo
	s_waitcnt lgkmcnt(0)
	s_waitcnt_vscnt null, 0x0
	s_barrier
	buffer_gl0_inv
	v_cmpx_lt_i32_e32 2, v216
	s_cbranch_execz .LBB98_62
; %bb.61:
	v_mul_f64 v[210:211], v[204:205], v[148:149]
	v_mul_f64 v[148:149], v[202:203], v[148:149]
	v_fma_f64 v[210:211], v[202:203], v[146:147], -v[210:211]
	v_fma_f64 v[148:149], v[204:205], v[146:147], v[148:149]
	ds_read2_b64 v[202:205], v1 offset0:6 offset1:7
	s_waitcnt lgkmcnt(0)
	v_mul_f64 v[146:147], v[204:205], v[148:149]
	v_fma_f64 v[146:147], v[202:203], v[210:211], -v[146:147]
	v_mul_f64 v[202:203], v[202:203], v[148:149]
	v_add_f64 v[130:131], v[130:131], -v[146:147]
	v_fma_f64 v[202:203], v[204:205], v[210:211], v[202:203]
	v_add_f64 v[132:133], v[132:133], -v[202:203]
	ds_read2_b64 v[202:205], v1 offset0:8 offset1:9
	s_waitcnt lgkmcnt(0)
	v_mul_f64 v[146:147], v[204:205], v[148:149]
	v_fma_f64 v[146:147], v[202:203], v[210:211], -v[146:147]
	v_mul_f64 v[202:203], v[202:203], v[148:149]
	v_add_f64 v[198:199], v[198:199], -v[146:147]
	v_fma_f64 v[202:203], v[204:205], v[210:211], v[202:203]
	v_add_f64 v[200:201], v[200:201], -v[202:203]
	;; [unrolled: 8-line block ×46, first 2 shown]
	ds_read2_b64 v[202:205], v1 offset0:98 offset1:99
	s_waitcnt lgkmcnt(0)
	v_mul_f64 v[146:147], v[204:205], v[148:149]
	v_fma_f64 v[146:147], v[202:203], v[210:211], -v[146:147]
	v_mul_f64 v[202:203], v[202:203], v[148:149]
	v_add_f64 v[2:3], v[2:3], -v[146:147]
	v_fma_f64 v[202:203], v[204:205], v[210:211], v[202:203]
	v_mov_b32_e32 v146, v210
	v_mov_b32_e32 v147, v211
	v_add_f64 v[4:5], v[4:5], -v[202:203]
.LBB98_62:
	s_or_b32 exec_lo, exec_lo, s0
	v_lshl_add_u32 v202, v216, 4, v1
	s_barrier
	buffer_gl0_inv
	v_mov_b32_e32 v210, 3
	ds_write2_b64 v202, v[130:131], v[132:133] offset1:1
	s_waitcnt lgkmcnt(0)
	s_barrier
	buffer_gl0_inv
	ds_read2_b64 v[202:205], v1 offset0:6 offset1:7
	s_cmp_lt_i32 s1, 5
	s_mov_b32 s7, 4
	s_cbranch_scc1 .LBB98_65
; %bb.63:
	v_add3_u32 v211, v212, 0, 64
	v_mov_b32_e32 v210, 3
	s_inst_prefetch 0x1
	.p2align	6
.LBB98_64:                              ; =>This Inner Loop Header: Depth=1
	s_waitcnt lgkmcnt(0)
	v_cmp_gt_f64_e32 vcc_lo, 0, v[204:205]
	v_cmp_gt_f64_e64 s0, 0, v[202:203]
	ds_read2_b64 v[217:220], v211 offset1:1
	v_xor_b32_e32 v222, 0x80000000, v203
	v_xor_b32_e32 v224, 0x80000000, v205
	v_mov_b32_e32 v221, v202
	v_mov_b32_e32 v223, v204
	v_add_nc_u32_e32 v211, 16, v211
	s_waitcnt lgkmcnt(0)
	v_xor_b32_e32 v226, 0x80000000, v220
	v_cndmask_b32_e64 v222, v203, v222, s0
	v_cndmask_b32_e32 v224, v205, v224, vcc_lo
	v_cmp_gt_f64_e32 vcc_lo, 0, v[219:220]
	v_cmp_gt_f64_e64 s0, 0, v[217:218]
	v_mov_b32_e32 v225, v219
	v_add_f64 v[221:222], v[221:222], v[223:224]
	v_xor_b32_e32 v224, 0x80000000, v218
	v_mov_b32_e32 v223, v217
	v_cndmask_b32_e32 v226, v220, v226, vcc_lo
	v_cndmask_b32_e64 v224, v218, v224, s0
	v_add_f64 v[223:224], v[223:224], v[225:226]
	v_cmp_lt_f64_e32 vcc_lo, v[221:222], v[223:224]
	v_cndmask_b32_e32 v203, v203, v218, vcc_lo
	v_cndmask_b32_e32 v202, v202, v217, vcc_lo
	;; [unrolled: 1-line block ×4, first 2 shown]
	v_cndmask_b32_e64 v210, v210, s7, vcc_lo
	s_add_i32 s7, s7, 1
	s_cmp_lg_u32 s1, s7
	s_cbranch_scc1 .LBB98_64
.LBB98_65:
	s_inst_prefetch 0x2
	s_waitcnt lgkmcnt(0)
	v_cmp_eq_f64_e32 vcc_lo, 0, v[202:203]
	v_cmp_eq_f64_e64 s0, 0, v[204:205]
	s_and_b32 s0, vcc_lo, s0
	s_and_saveexec_b32 s7, s0
	s_xor_b32 s0, exec_lo, s7
; %bb.66:
	v_cmp_ne_u32_e32 vcc_lo, 0, v215
	v_cndmask_b32_e32 v215, 4, v215, vcc_lo
; %bb.67:
	s_andn2_saveexec_b32 s0, s0
	s_cbranch_execz .LBB98_73
; %bb.68:
	v_cmp_ngt_f64_e64 s7, |v[202:203]|, |v[204:205]|
	s_and_saveexec_b32 s8, s7
	s_xor_b32 s7, exec_lo, s8
	s_cbranch_execz .LBB98_70
; %bb.69:
	v_div_scale_f64 v[217:218], null, v[204:205], v[204:205], v[202:203]
	v_div_scale_f64 v[223:224], vcc_lo, v[202:203], v[204:205], v[202:203]
	v_rcp_f64_e32 v[219:220], v[217:218]
	v_fma_f64 v[221:222], -v[217:218], v[219:220], 1.0
	v_fma_f64 v[219:220], v[219:220], v[221:222], v[219:220]
	v_fma_f64 v[221:222], -v[217:218], v[219:220], 1.0
	v_fma_f64 v[219:220], v[219:220], v[221:222], v[219:220]
	v_mul_f64 v[221:222], v[223:224], v[219:220]
	v_fma_f64 v[217:218], -v[217:218], v[221:222], v[223:224]
	v_div_fmas_f64 v[217:218], v[217:218], v[219:220], v[221:222]
	v_div_fixup_f64 v[217:218], v[217:218], v[204:205], v[202:203]
	v_fma_f64 v[202:203], v[202:203], v[217:218], v[204:205]
	v_div_scale_f64 v[204:205], null, v[202:203], v[202:203], 1.0
	v_rcp_f64_e32 v[219:220], v[204:205]
	v_fma_f64 v[221:222], -v[204:205], v[219:220], 1.0
	v_fma_f64 v[219:220], v[219:220], v[221:222], v[219:220]
	v_fma_f64 v[221:222], -v[204:205], v[219:220], 1.0
	v_fma_f64 v[219:220], v[219:220], v[221:222], v[219:220]
	v_div_scale_f64 v[221:222], vcc_lo, 1.0, v[202:203], 1.0
	v_mul_f64 v[223:224], v[221:222], v[219:220]
	v_fma_f64 v[204:205], -v[204:205], v[223:224], v[221:222]
	v_div_fmas_f64 v[204:205], v[204:205], v[219:220], v[223:224]
	v_div_fixup_f64 v[204:205], v[204:205], v[202:203], 1.0
	v_mul_f64 v[202:203], v[217:218], v[204:205]
	v_xor_b32_e32 v205, 0x80000000, v205
.LBB98_70:
	s_andn2_saveexec_b32 s7, s7
	s_cbranch_execz .LBB98_72
; %bb.71:
	v_div_scale_f64 v[217:218], null, v[202:203], v[202:203], v[204:205]
	v_div_scale_f64 v[223:224], vcc_lo, v[204:205], v[202:203], v[204:205]
	v_rcp_f64_e32 v[219:220], v[217:218]
	v_fma_f64 v[221:222], -v[217:218], v[219:220], 1.0
	v_fma_f64 v[219:220], v[219:220], v[221:222], v[219:220]
	v_fma_f64 v[221:222], -v[217:218], v[219:220], 1.0
	v_fma_f64 v[219:220], v[219:220], v[221:222], v[219:220]
	v_mul_f64 v[221:222], v[223:224], v[219:220]
	v_fma_f64 v[217:218], -v[217:218], v[221:222], v[223:224]
	v_div_fmas_f64 v[217:218], v[217:218], v[219:220], v[221:222]
	v_div_fixup_f64 v[217:218], v[217:218], v[202:203], v[204:205]
	v_fma_f64 v[202:203], v[204:205], v[217:218], v[202:203]
	v_div_scale_f64 v[204:205], null, v[202:203], v[202:203], 1.0
	v_rcp_f64_e32 v[219:220], v[204:205]
	v_fma_f64 v[221:222], -v[204:205], v[219:220], 1.0
	v_fma_f64 v[219:220], v[219:220], v[221:222], v[219:220]
	v_fma_f64 v[221:222], -v[204:205], v[219:220], 1.0
	v_fma_f64 v[219:220], v[219:220], v[221:222], v[219:220]
	v_div_scale_f64 v[221:222], vcc_lo, 1.0, v[202:203], 1.0
	v_mul_f64 v[223:224], v[221:222], v[219:220]
	v_fma_f64 v[204:205], -v[204:205], v[223:224], v[221:222]
	v_div_fmas_f64 v[204:205], v[204:205], v[219:220], v[223:224]
	v_div_fixup_f64 v[202:203], v[204:205], v[202:203], 1.0
	v_mul_f64 v[204:205], v[217:218], -v[202:203]
.LBB98_72:
	s_or_b32 exec_lo, exec_lo, s7
.LBB98_73:
	s_or_b32 exec_lo, exec_lo, s0
	s_mov_b32 s0, exec_lo
	v_cmpx_ne_u32_e64 v216, v210
	s_xor_b32 s0, exec_lo, s0
	s_cbranch_execz .LBB98_79
; %bb.74:
	s_mov_b32 s7, exec_lo
	v_cmpx_eq_u32_e32 3, v216
	s_cbranch_execz .LBB98_78
; %bb.75:
	v_cmp_ne_u32_e32 vcc_lo, 3, v210
	s_xor_b32 s8, s16, -1
	s_and_b32 s9, s8, vcc_lo
	s_and_saveexec_b32 s8, s9
	s_cbranch_execz .LBB98_77
; %bb.76:
	v_ashrrev_i32_e32 v211, 31, v210
	v_lshlrev_b64 v[216:217], 2, v[210:211]
	v_add_co_u32 v216, vcc_lo, v208, v216
	v_add_co_ci_u32_e64 v217, null, v209, v217, vcc_lo
	s_clause 0x1
	global_load_dword v0, v[216:217], off
	global_load_dword v211, v[208:209], off offset:12
	s_waitcnt vmcnt(1)
	global_store_dword v[208:209], v0, off offset:12
	s_waitcnt vmcnt(0)
	global_store_dword v[216:217], v211, off
.LBB98_77:
	s_or_b32 exec_lo, exec_lo, s8
	v_mov_b32_e32 v216, v210
	v_mov_b32_e32 v0, v210
.LBB98_78:
	s_or_b32 exec_lo, exec_lo, s7
.LBB98_79:
	s_andn2_saveexec_b32 s0, s0
	s_cbranch_execz .LBB98_81
; %bb.80:
	v_mov_b32_e32 v216, 3
	ds_write2_b64 v1, v[198:199], v[200:201] offset0:8 offset1:9
	ds_write2_b64 v1, v[194:195], v[196:197] offset0:10 offset1:11
	;; [unrolled: 1-line block ×46, first 2 shown]
.LBB98_81:
	s_or_b32 exec_lo, exec_lo, s0
	s_mov_b32 s0, exec_lo
	s_waitcnt lgkmcnt(0)
	s_waitcnt_vscnt null, 0x0
	s_barrier
	buffer_gl0_inv
	v_cmpx_lt_i32_e32 3, v216
	s_cbranch_execz .LBB98_83
; %bb.82:
	v_mul_f64 v[210:211], v[204:205], v[132:133]
	v_mul_f64 v[132:133], v[202:203], v[132:133]
	v_fma_f64 v[210:211], v[202:203], v[130:131], -v[210:211]
	v_fma_f64 v[132:133], v[204:205], v[130:131], v[132:133]
	ds_read2_b64 v[202:205], v1 offset0:8 offset1:9
	s_waitcnt lgkmcnt(0)
	v_mul_f64 v[130:131], v[204:205], v[132:133]
	v_fma_f64 v[130:131], v[202:203], v[210:211], -v[130:131]
	v_mul_f64 v[202:203], v[202:203], v[132:133]
	v_add_f64 v[198:199], v[198:199], -v[130:131]
	v_fma_f64 v[202:203], v[204:205], v[210:211], v[202:203]
	v_add_f64 v[200:201], v[200:201], -v[202:203]
	ds_read2_b64 v[202:205], v1 offset0:10 offset1:11
	s_waitcnt lgkmcnt(0)
	v_mul_f64 v[130:131], v[204:205], v[132:133]
	v_fma_f64 v[130:131], v[202:203], v[210:211], -v[130:131]
	v_mul_f64 v[202:203], v[202:203], v[132:133]
	v_add_f64 v[194:195], v[194:195], -v[130:131]
	v_fma_f64 v[202:203], v[204:205], v[210:211], v[202:203]
	v_add_f64 v[196:197], v[196:197], -v[202:203]
	;; [unrolled: 8-line block ×45, first 2 shown]
	ds_read2_b64 v[202:205], v1 offset0:98 offset1:99
	s_waitcnt lgkmcnt(0)
	v_mul_f64 v[130:131], v[204:205], v[132:133]
	v_fma_f64 v[130:131], v[202:203], v[210:211], -v[130:131]
	v_mul_f64 v[202:203], v[202:203], v[132:133]
	v_add_f64 v[2:3], v[2:3], -v[130:131]
	v_fma_f64 v[202:203], v[204:205], v[210:211], v[202:203]
	v_mov_b32_e32 v130, v210
	v_mov_b32_e32 v131, v211
	v_add_f64 v[4:5], v[4:5], -v[202:203]
.LBB98_83:
	s_or_b32 exec_lo, exec_lo, s0
	v_lshl_add_u32 v202, v216, 4, v1
	s_barrier
	buffer_gl0_inv
	v_mov_b32_e32 v210, 4
	ds_write2_b64 v202, v[198:199], v[200:201] offset1:1
	s_waitcnt lgkmcnt(0)
	s_barrier
	buffer_gl0_inv
	ds_read2_b64 v[202:205], v1 offset0:8 offset1:9
	s_cmp_lt_i32 s1, 6
	s_cbranch_scc1 .LBB98_86
; %bb.84:
	v_mov_b32_e32 v210, 4
	v_add3_u32 v211, v212, 0, 0x50
	s_mov_b32 s7, 5
	s_inst_prefetch 0x1
	.p2align	6
.LBB98_85:                              ; =>This Inner Loop Header: Depth=1
	s_waitcnt lgkmcnt(0)
	v_cmp_gt_f64_e32 vcc_lo, 0, v[204:205]
	v_cmp_gt_f64_e64 s0, 0, v[202:203]
	ds_read2_b64 v[217:220], v211 offset1:1
	v_xor_b32_e32 v222, 0x80000000, v203
	v_xor_b32_e32 v224, 0x80000000, v205
	v_mov_b32_e32 v221, v202
	v_mov_b32_e32 v223, v204
	v_add_nc_u32_e32 v211, 16, v211
	s_waitcnt lgkmcnt(0)
	v_xor_b32_e32 v226, 0x80000000, v220
	v_cndmask_b32_e64 v222, v203, v222, s0
	v_cndmask_b32_e32 v224, v205, v224, vcc_lo
	v_cmp_gt_f64_e32 vcc_lo, 0, v[219:220]
	v_cmp_gt_f64_e64 s0, 0, v[217:218]
	v_mov_b32_e32 v225, v219
	v_add_f64 v[221:222], v[221:222], v[223:224]
	v_xor_b32_e32 v224, 0x80000000, v218
	v_mov_b32_e32 v223, v217
	v_cndmask_b32_e32 v226, v220, v226, vcc_lo
	v_cndmask_b32_e64 v224, v218, v224, s0
	v_add_f64 v[223:224], v[223:224], v[225:226]
	v_cmp_lt_f64_e32 vcc_lo, v[221:222], v[223:224]
	v_cndmask_b32_e32 v203, v203, v218, vcc_lo
	v_cndmask_b32_e32 v202, v202, v217, vcc_lo
	;; [unrolled: 1-line block ×4, first 2 shown]
	v_cndmask_b32_e64 v210, v210, s7, vcc_lo
	s_add_i32 s7, s7, 1
	s_cmp_lg_u32 s1, s7
	s_cbranch_scc1 .LBB98_85
.LBB98_86:
	s_inst_prefetch 0x2
	s_waitcnt lgkmcnt(0)
	v_cmp_eq_f64_e32 vcc_lo, 0, v[202:203]
	v_cmp_eq_f64_e64 s0, 0, v[204:205]
	s_and_b32 s0, vcc_lo, s0
	s_and_saveexec_b32 s7, s0
	s_xor_b32 s0, exec_lo, s7
; %bb.87:
	v_cmp_ne_u32_e32 vcc_lo, 0, v215
	v_cndmask_b32_e32 v215, 5, v215, vcc_lo
; %bb.88:
	s_andn2_saveexec_b32 s0, s0
	s_cbranch_execz .LBB98_94
; %bb.89:
	v_cmp_ngt_f64_e64 s7, |v[202:203]|, |v[204:205]|
	s_and_saveexec_b32 s8, s7
	s_xor_b32 s7, exec_lo, s8
	s_cbranch_execz .LBB98_91
; %bb.90:
	v_div_scale_f64 v[217:218], null, v[204:205], v[204:205], v[202:203]
	v_div_scale_f64 v[223:224], vcc_lo, v[202:203], v[204:205], v[202:203]
	v_rcp_f64_e32 v[219:220], v[217:218]
	v_fma_f64 v[221:222], -v[217:218], v[219:220], 1.0
	v_fma_f64 v[219:220], v[219:220], v[221:222], v[219:220]
	v_fma_f64 v[221:222], -v[217:218], v[219:220], 1.0
	v_fma_f64 v[219:220], v[219:220], v[221:222], v[219:220]
	v_mul_f64 v[221:222], v[223:224], v[219:220]
	v_fma_f64 v[217:218], -v[217:218], v[221:222], v[223:224]
	v_div_fmas_f64 v[217:218], v[217:218], v[219:220], v[221:222]
	v_div_fixup_f64 v[217:218], v[217:218], v[204:205], v[202:203]
	v_fma_f64 v[202:203], v[202:203], v[217:218], v[204:205]
	v_div_scale_f64 v[204:205], null, v[202:203], v[202:203], 1.0
	v_rcp_f64_e32 v[219:220], v[204:205]
	v_fma_f64 v[221:222], -v[204:205], v[219:220], 1.0
	v_fma_f64 v[219:220], v[219:220], v[221:222], v[219:220]
	v_fma_f64 v[221:222], -v[204:205], v[219:220], 1.0
	v_fma_f64 v[219:220], v[219:220], v[221:222], v[219:220]
	v_div_scale_f64 v[221:222], vcc_lo, 1.0, v[202:203], 1.0
	v_mul_f64 v[223:224], v[221:222], v[219:220]
	v_fma_f64 v[204:205], -v[204:205], v[223:224], v[221:222]
	v_div_fmas_f64 v[204:205], v[204:205], v[219:220], v[223:224]
	v_div_fixup_f64 v[204:205], v[204:205], v[202:203], 1.0
	v_mul_f64 v[202:203], v[217:218], v[204:205]
	v_xor_b32_e32 v205, 0x80000000, v205
.LBB98_91:
	s_andn2_saveexec_b32 s7, s7
	s_cbranch_execz .LBB98_93
; %bb.92:
	v_div_scale_f64 v[217:218], null, v[202:203], v[202:203], v[204:205]
	v_div_scale_f64 v[223:224], vcc_lo, v[204:205], v[202:203], v[204:205]
	v_rcp_f64_e32 v[219:220], v[217:218]
	v_fma_f64 v[221:222], -v[217:218], v[219:220], 1.0
	v_fma_f64 v[219:220], v[219:220], v[221:222], v[219:220]
	v_fma_f64 v[221:222], -v[217:218], v[219:220], 1.0
	v_fma_f64 v[219:220], v[219:220], v[221:222], v[219:220]
	v_mul_f64 v[221:222], v[223:224], v[219:220]
	v_fma_f64 v[217:218], -v[217:218], v[221:222], v[223:224]
	v_div_fmas_f64 v[217:218], v[217:218], v[219:220], v[221:222]
	v_div_fixup_f64 v[217:218], v[217:218], v[202:203], v[204:205]
	v_fma_f64 v[202:203], v[204:205], v[217:218], v[202:203]
	v_div_scale_f64 v[204:205], null, v[202:203], v[202:203], 1.0
	v_rcp_f64_e32 v[219:220], v[204:205]
	v_fma_f64 v[221:222], -v[204:205], v[219:220], 1.0
	v_fma_f64 v[219:220], v[219:220], v[221:222], v[219:220]
	v_fma_f64 v[221:222], -v[204:205], v[219:220], 1.0
	v_fma_f64 v[219:220], v[219:220], v[221:222], v[219:220]
	v_div_scale_f64 v[221:222], vcc_lo, 1.0, v[202:203], 1.0
	v_mul_f64 v[223:224], v[221:222], v[219:220]
	v_fma_f64 v[204:205], -v[204:205], v[223:224], v[221:222]
	v_div_fmas_f64 v[204:205], v[204:205], v[219:220], v[223:224]
	v_div_fixup_f64 v[202:203], v[204:205], v[202:203], 1.0
	v_mul_f64 v[204:205], v[217:218], -v[202:203]
.LBB98_93:
	s_or_b32 exec_lo, exec_lo, s7
.LBB98_94:
	s_or_b32 exec_lo, exec_lo, s0
	s_mov_b32 s0, exec_lo
	v_cmpx_ne_u32_e64 v216, v210
	s_xor_b32 s0, exec_lo, s0
	s_cbranch_execz .LBB98_100
; %bb.95:
	s_mov_b32 s7, exec_lo
	v_cmpx_eq_u32_e32 4, v216
	s_cbranch_execz .LBB98_99
; %bb.96:
	v_cmp_ne_u32_e32 vcc_lo, 4, v210
	s_xor_b32 s8, s16, -1
	s_and_b32 s9, s8, vcc_lo
	s_and_saveexec_b32 s8, s9
	s_cbranch_execz .LBB98_98
; %bb.97:
	v_ashrrev_i32_e32 v211, 31, v210
	v_lshlrev_b64 v[216:217], 2, v[210:211]
	v_add_co_u32 v216, vcc_lo, v208, v216
	v_add_co_ci_u32_e64 v217, null, v209, v217, vcc_lo
	s_clause 0x1
	global_load_dword v0, v[216:217], off
	global_load_dword v211, v[208:209], off offset:16
	s_waitcnt vmcnt(1)
	global_store_dword v[208:209], v0, off offset:16
	s_waitcnt vmcnt(0)
	global_store_dword v[216:217], v211, off
.LBB98_98:
	s_or_b32 exec_lo, exec_lo, s8
	v_mov_b32_e32 v216, v210
	v_mov_b32_e32 v0, v210
.LBB98_99:
	s_or_b32 exec_lo, exec_lo, s7
.LBB98_100:
	s_andn2_saveexec_b32 s0, s0
	s_cbranch_execz .LBB98_102
; %bb.101:
	v_mov_b32_e32 v216, 4
	ds_write2_b64 v1, v[194:195], v[196:197] offset0:10 offset1:11
	ds_write2_b64 v1, v[190:191], v[192:193] offset0:12 offset1:13
	;; [unrolled: 1-line block ×45, first 2 shown]
.LBB98_102:
	s_or_b32 exec_lo, exec_lo, s0
	s_mov_b32 s0, exec_lo
	s_waitcnt lgkmcnt(0)
	s_waitcnt_vscnt null, 0x0
	s_barrier
	buffer_gl0_inv
	v_cmpx_lt_i32_e32 4, v216
	s_cbranch_execz .LBB98_104
; %bb.103:
	v_mul_f64 v[210:211], v[204:205], v[200:201]
	v_mul_f64 v[200:201], v[202:203], v[200:201]
	v_fma_f64 v[210:211], v[202:203], v[198:199], -v[210:211]
	v_fma_f64 v[200:201], v[204:205], v[198:199], v[200:201]
	ds_read2_b64 v[202:205], v1 offset0:10 offset1:11
	s_waitcnt lgkmcnt(0)
	v_mul_f64 v[198:199], v[204:205], v[200:201]
	v_fma_f64 v[198:199], v[202:203], v[210:211], -v[198:199]
	v_mul_f64 v[202:203], v[202:203], v[200:201]
	v_add_f64 v[194:195], v[194:195], -v[198:199]
	v_fma_f64 v[202:203], v[204:205], v[210:211], v[202:203]
	v_add_f64 v[196:197], v[196:197], -v[202:203]
	ds_read2_b64 v[202:205], v1 offset0:12 offset1:13
	s_waitcnt lgkmcnt(0)
	v_mul_f64 v[198:199], v[204:205], v[200:201]
	v_fma_f64 v[198:199], v[202:203], v[210:211], -v[198:199]
	v_mul_f64 v[202:203], v[202:203], v[200:201]
	v_add_f64 v[190:191], v[190:191], -v[198:199]
	v_fma_f64 v[202:203], v[204:205], v[210:211], v[202:203]
	v_add_f64 v[192:193], v[192:193], -v[202:203]
	;; [unrolled: 8-line block ×44, first 2 shown]
	ds_read2_b64 v[202:205], v1 offset0:98 offset1:99
	s_waitcnt lgkmcnt(0)
	v_mul_f64 v[198:199], v[204:205], v[200:201]
	v_fma_f64 v[198:199], v[202:203], v[210:211], -v[198:199]
	v_mul_f64 v[202:203], v[202:203], v[200:201]
	v_add_f64 v[2:3], v[2:3], -v[198:199]
	v_fma_f64 v[202:203], v[204:205], v[210:211], v[202:203]
	v_mov_b32_e32 v198, v210
	v_mov_b32_e32 v199, v211
	v_add_f64 v[4:5], v[4:5], -v[202:203]
.LBB98_104:
	s_or_b32 exec_lo, exec_lo, s0
	v_lshl_add_u32 v202, v216, 4, v1
	s_barrier
	buffer_gl0_inv
	v_mov_b32_e32 v210, 5
	ds_write2_b64 v202, v[194:195], v[196:197] offset1:1
	s_waitcnt lgkmcnt(0)
	s_barrier
	buffer_gl0_inv
	ds_read2_b64 v[202:205], v1 offset0:10 offset1:11
	s_cmp_lt_i32 s1, 7
	s_cbranch_scc1 .LBB98_107
; %bb.105:
	v_add3_u32 v211, v212, 0, 0x60
	v_mov_b32_e32 v210, 5
	s_mov_b32 s7, 6
	s_inst_prefetch 0x1
	.p2align	6
.LBB98_106:                             ; =>This Inner Loop Header: Depth=1
	s_waitcnt lgkmcnt(0)
	v_cmp_gt_f64_e32 vcc_lo, 0, v[204:205]
	v_cmp_gt_f64_e64 s0, 0, v[202:203]
	ds_read2_b64 v[217:220], v211 offset1:1
	v_xor_b32_e32 v222, 0x80000000, v203
	v_xor_b32_e32 v224, 0x80000000, v205
	v_mov_b32_e32 v221, v202
	v_mov_b32_e32 v223, v204
	v_add_nc_u32_e32 v211, 16, v211
	s_waitcnt lgkmcnt(0)
	v_xor_b32_e32 v226, 0x80000000, v220
	v_cndmask_b32_e64 v222, v203, v222, s0
	v_cndmask_b32_e32 v224, v205, v224, vcc_lo
	v_cmp_gt_f64_e32 vcc_lo, 0, v[219:220]
	v_cmp_gt_f64_e64 s0, 0, v[217:218]
	v_mov_b32_e32 v225, v219
	v_add_f64 v[221:222], v[221:222], v[223:224]
	v_xor_b32_e32 v224, 0x80000000, v218
	v_mov_b32_e32 v223, v217
	v_cndmask_b32_e32 v226, v220, v226, vcc_lo
	v_cndmask_b32_e64 v224, v218, v224, s0
	v_add_f64 v[223:224], v[223:224], v[225:226]
	v_cmp_lt_f64_e32 vcc_lo, v[221:222], v[223:224]
	v_cndmask_b32_e32 v203, v203, v218, vcc_lo
	v_cndmask_b32_e32 v202, v202, v217, vcc_lo
	;; [unrolled: 1-line block ×4, first 2 shown]
	v_cndmask_b32_e64 v210, v210, s7, vcc_lo
	s_add_i32 s7, s7, 1
	s_cmp_lg_u32 s1, s7
	s_cbranch_scc1 .LBB98_106
.LBB98_107:
	s_inst_prefetch 0x2
	s_waitcnt lgkmcnt(0)
	v_cmp_eq_f64_e32 vcc_lo, 0, v[202:203]
	v_cmp_eq_f64_e64 s0, 0, v[204:205]
	s_and_b32 s0, vcc_lo, s0
	s_and_saveexec_b32 s7, s0
	s_xor_b32 s0, exec_lo, s7
; %bb.108:
	v_cmp_ne_u32_e32 vcc_lo, 0, v215
	v_cndmask_b32_e32 v215, 6, v215, vcc_lo
; %bb.109:
	s_andn2_saveexec_b32 s0, s0
	s_cbranch_execz .LBB98_115
; %bb.110:
	v_cmp_ngt_f64_e64 s7, |v[202:203]|, |v[204:205]|
	s_and_saveexec_b32 s8, s7
	s_xor_b32 s7, exec_lo, s8
	s_cbranch_execz .LBB98_112
; %bb.111:
	v_div_scale_f64 v[217:218], null, v[204:205], v[204:205], v[202:203]
	v_div_scale_f64 v[223:224], vcc_lo, v[202:203], v[204:205], v[202:203]
	v_rcp_f64_e32 v[219:220], v[217:218]
	v_fma_f64 v[221:222], -v[217:218], v[219:220], 1.0
	v_fma_f64 v[219:220], v[219:220], v[221:222], v[219:220]
	v_fma_f64 v[221:222], -v[217:218], v[219:220], 1.0
	v_fma_f64 v[219:220], v[219:220], v[221:222], v[219:220]
	v_mul_f64 v[221:222], v[223:224], v[219:220]
	v_fma_f64 v[217:218], -v[217:218], v[221:222], v[223:224]
	v_div_fmas_f64 v[217:218], v[217:218], v[219:220], v[221:222]
	v_div_fixup_f64 v[217:218], v[217:218], v[204:205], v[202:203]
	v_fma_f64 v[202:203], v[202:203], v[217:218], v[204:205]
	v_div_scale_f64 v[204:205], null, v[202:203], v[202:203], 1.0
	v_rcp_f64_e32 v[219:220], v[204:205]
	v_fma_f64 v[221:222], -v[204:205], v[219:220], 1.0
	v_fma_f64 v[219:220], v[219:220], v[221:222], v[219:220]
	v_fma_f64 v[221:222], -v[204:205], v[219:220], 1.0
	v_fma_f64 v[219:220], v[219:220], v[221:222], v[219:220]
	v_div_scale_f64 v[221:222], vcc_lo, 1.0, v[202:203], 1.0
	v_mul_f64 v[223:224], v[221:222], v[219:220]
	v_fma_f64 v[204:205], -v[204:205], v[223:224], v[221:222]
	v_div_fmas_f64 v[204:205], v[204:205], v[219:220], v[223:224]
	v_div_fixup_f64 v[204:205], v[204:205], v[202:203], 1.0
	v_mul_f64 v[202:203], v[217:218], v[204:205]
	v_xor_b32_e32 v205, 0x80000000, v205
.LBB98_112:
	s_andn2_saveexec_b32 s7, s7
	s_cbranch_execz .LBB98_114
; %bb.113:
	v_div_scale_f64 v[217:218], null, v[202:203], v[202:203], v[204:205]
	v_div_scale_f64 v[223:224], vcc_lo, v[204:205], v[202:203], v[204:205]
	v_rcp_f64_e32 v[219:220], v[217:218]
	v_fma_f64 v[221:222], -v[217:218], v[219:220], 1.0
	v_fma_f64 v[219:220], v[219:220], v[221:222], v[219:220]
	v_fma_f64 v[221:222], -v[217:218], v[219:220], 1.0
	v_fma_f64 v[219:220], v[219:220], v[221:222], v[219:220]
	v_mul_f64 v[221:222], v[223:224], v[219:220]
	v_fma_f64 v[217:218], -v[217:218], v[221:222], v[223:224]
	v_div_fmas_f64 v[217:218], v[217:218], v[219:220], v[221:222]
	v_div_fixup_f64 v[217:218], v[217:218], v[202:203], v[204:205]
	v_fma_f64 v[202:203], v[204:205], v[217:218], v[202:203]
	v_div_scale_f64 v[204:205], null, v[202:203], v[202:203], 1.0
	v_rcp_f64_e32 v[219:220], v[204:205]
	v_fma_f64 v[221:222], -v[204:205], v[219:220], 1.0
	v_fma_f64 v[219:220], v[219:220], v[221:222], v[219:220]
	v_fma_f64 v[221:222], -v[204:205], v[219:220], 1.0
	v_fma_f64 v[219:220], v[219:220], v[221:222], v[219:220]
	v_div_scale_f64 v[221:222], vcc_lo, 1.0, v[202:203], 1.0
	v_mul_f64 v[223:224], v[221:222], v[219:220]
	v_fma_f64 v[204:205], -v[204:205], v[223:224], v[221:222]
	v_div_fmas_f64 v[204:205], v[204:205], v[219:220], v[223:224]
	v_div_fixup_f64 v[202:203], v[204:205], v[202:203], 1.0
	v_mul_f64 v[204:205], v[217:218], -v[202:203]
.LBB98_114:
	s_or_b32 exec_lo, exec_lo, s7
.LBB98_115:
	s_or_b32 exec_lo, exec_lo, s0
	s_mov_b32 s0, exec_lo
	v_cmpx_ne_u32_e64 v216, v210
	s_xor_b32 s0, exec_lo, s0
	s_cbranch_execz .LBB98_121
; %bb.116:
	s_mov_b32 s7, exec_lo
	v_cmpx_eq_u32_e32 5, v216
	s_cbranch_execz .LBB98_120
; %bb.117:
	v_cmp_ne_u32_e32 vcc_lo, 5, v210
	s_xor_b32 s8, s16, -1
	s_and_b32 s9, s8, vcc_lo
	s_and_saveexec_b32 s8, s9
	s_cbranch_execz .LBB98_119
; %bb.118:
	v_ashrrev_i32_e32 v211, 31, v210
	v_lshlrev_b64 v[216:217], 2, v[210:211]
	v_add_co_u32 v216, vcc_lo, v208, v216
	v_add_co_ci_u32_e64 v217, null, v209, v217, vcc_lo
	s_clause 0x1
	global_load_dword v0, v[216:217], off
	global_load_dword v211, v[208:209], off offset:20
	s_waitcnt vmcnt(1)
	global_store_dword v[208:209], v0, off offset:20
	s_waitcnt vmcnt(0)
	global_store_dword v[216:217], v211, off
.LBB98_119:
	s_or_b32 exec_lo, exec_lo, s8
	v_mov_b32_e32 v216, v210
	v_mov_b32_e32 v0, v210
.LBB98_120:
	s_or_b32 exec_lo, exec_lo, s7
.LBB98_121:
	s_andn2_saveexec_b32 s0, s0
	s_cbranch_execz .LBB98_123
; %bb.122:
	v_mov_b32_e32 v216, 5
	ds_write2_b64 v1, v[190:191], v[192:193] offset0:12 offset1:13
	ds_write2_b64 v1, v[186:187], v[188:189] offset0:14 offset1:15
	ds_write2_b64 v1, v[182:183], v[184:185] offset0:16 offset1:17
	ds_write2_b64 v1, v[178:179], v[180:181] offset0:18 offset1:19
	ds_write2_b64 v1, v[174:175], v[176:177] offset0:20 offset1:21
	ds_write2_b64 v1, v[170:171], v[172:173] offset0:22 offset1:23
	ds_write2_b64 v1, v[166:167], v[168:169] offset0:24 offset1:25
	ds_write2_b64 v1, v[154:155], v[156:157] offset0:26 offset1:27
	ds_write2_b64 v1, v[150:151], v[152:153] offset0:28 offset1:29
	ds_write2_b64 v1, v[142:143], v[144:145] offset0:30 offset1:31
	ds_write2_b64 v1, v[138:139], v[140:141] offset0:32 offset1:33
	ds_write2_b64 v1, v[134:135], v[136:137] offset0:34 offset1:35
	ds_write2_b64 v1, v[126:127], v[128:129] offset0:36 offset1:37
	ds_write2_b64 v1, v[122:123], v[124:125] offset0:38 offset1:39
	ds_write2_b64 v1, v[118:119], v[120:121] offset0:40 offset1:41
	ds_write2_b64 v1, v[114:115], v[116:117] offset0:42 offset1:43
	ds_write2_b64 v1, v[110:111], v[112:113] offset0:44 offset1:45
	ds_write2_b64 v1, v[106:107], v[108:109] offset0:46 offset1:47
	ds_write2_b64 v1, v[102:103], v[104:105] offset0:48 offset1:49
	ds_write2_b64 v1, v[98:99], v[100:101] offset0:50 offset1:51
	ds_write2_b64 v1, v[94:95], v[96:97] offset0:52 offset1:53
	ds_write2_b64 v1, v[90:91], v[92:93] offset0:54 offset1:55
	ds_write2_b64 v1, v[86:87], v[88:89] offset0:56 offset1:57
	ds_write2_b64 v1, v[82:83], v[84:85] offset0:58 offset1:59
	ds_write2_b64 v1, v[78:79], v[80:81] offset0:60 offset1:61
	ds_write2_b64 v1, v[74:75], v[76:77] offset0:62 offset1:63
	ds_write2_b64 v1, v[70:71], v[72:73] offset0:64 offset1:65
	ds_write2_b64 v1, v[66:67], v[68:69] offset0:66 offset1:67
	ds_write2_b64 v1, v[62:63], v[64:65] offset0:68 offset1:69
	ds_write2_b64 v1, v[58:59], v[60:61] offset0:70 offset1:71
	ds_write2_b64 v1, v[54:55], v[56:57] offset0:72 offset1:73
	ds_write2_b64 v1, v[50:51], v[52:53] offset0:74 offset1:75
	ds_write2_b64 v1, v[46:47], v[48:49] offset0:76 offset1:77
	ds_write2_b64 v1, v[42:43], v[44:45] offset0:78 offset1:79
	ds_write2_b64 v1, v[38:39], v[40:41] offset0:80 offset1:81
	ds_write2_b64 v1, v[34:35], v[36:37] offset0:82 offset1:83
	ds_write2_b64 v1, v[30:31], v[32:33] offset0:84 offset1:85
	ds_write2_b64 v1, v[26:27], v[28:29] offset0:86 offset1:87
	ds_write2_b64 v1, v[22:23], v[24:25] offset0:88 offset1:89
	ds_write2_b64 v1, v[18:19], v[20:21] offset0:90 offset1:91
	ds_write2_b64 v1, v[14:15], v[16:17] offset0:92 offset1:93
	ds_write2_b64 v1, v[10:11], v[12:13] offset0:94 offset1:95
	ds_write2_b64 v1, v[6:7], v[8:9] offset0:96 offset1:97
	ds_write2_b64 v1, v[2:3], v[4:5] offset0:98 offset1:99
.LBB98_123:
	s_or_b32 exec_lo, exec_lo, s0
	s_mov_b32 s0, exec_lo
	s_waitcnt lgkmcnt(0)
	s_waitcnt_vscnt null, 0x0
	s_barrier
	buffer_gl0_inv
	v_cmpx_lt_i32_e32 5, v216
	s_cbranch_execz .LBB98_125
; %bb.124:
	v_mul_f64 v[210:211], v[204:205], v[196:197]
	v_mul_f64 v[196:197], v[202:203], v[196:197]
	v_fma_f64 v[210:211], v[202:203], v[194:195], -v[210:211]
	v_fma_f64 v[196:197], v[204:205], v[194:195], v[196:197]
	ds_read2_b64 v[202:205], v1 offset0:12 offset1:13
	s_waitcnt lgkmcnt(0)
	v_mul_f64 v[194:195], v[204:205], v[196:197]
	v_fma_f64 v[194:195], v[202:203], v[210:211], -v[194:195]
	v_mul_f64 v[202:203], v[202:203], v[196:197]
	v_add_f64 v[190:191], v[190:191], -v[194:195]
	v_fma_f64 v[202:203], v[204:205], v[210:211], v[202:203]
	v_add_f64 v[192:193], v[192:193], -v[202:203]
	ds_read2_b64 v[202:205], v1 offset0:14 offset1:15
	s_waitcnt lgkmcnt(0)
	v_mul_f64 v[194:195], v[204:205], v[196:197]
	v_fma_f64 v[194:195], v[202:203], v[210:211], -v[194:195]
	v_mul_f64 v[202:203], v[202:203], v[196:197]
	v_add_f64 v[186:187], v[186:187], -v[194:195]
	v_fma_f64 v[202:203], v[204:205], v[210:211], v[202:203]
	v_add_f64 v[188:189], v[188:189], -v[202:203]
	;; [unrolled: 8-line block ×43, first 2 shown]
	ds_read2_b64 v[202:205], v1 offset0:98 offset1:99
	s_waitcnt lgkmcnt(0)
	v_mul_f64 v[194:195], v[204:205], v[196:197]
	v_fma_f64 v[194:195], v[202:203], v[210:211], -v[194:195]
	v_mul_f64 v[202:203], v[202:203], v[196:197]
	v_add_f64 v[2:3], v[2:3], -v[194:195]
	v_fma_f64 v[202:203], v[204:205], v[210:211], v[202:203]
	v_mov_b32_e32 v194, v210
	v_mov_b32_e32 v195, v211
	v_add_f64 v[4:5], v[4:5], -v[202:203]
.LBB98_125:
	s_or_b32 exec_lo, exec_lo, s0
	v_lshl_add_u32 v202, v216, 4, v1
	s_barrier
	buffer_gl0_inv
	v_mov_b32_e32 v210, 6
	ds_write2_b64 v202, v[190:191], v[192:193] offset1:1
	s_waitcnt lgkmcnt(0)
	s_barrier
	buffer_gl0_inv
	ds_read2_b64 v[202:205], v1 offset0:12 offset1:13
	s_cmp_lt_i32 s1, 8
	s_cbranch_scc1 .LBB98_128
; %bb.126:
	v_add3_u32 v211, v212, 0, 0x70
	v_mov_b32_e32 v210, 6
	s_mov_b32 s7, 7
	s_inst_prefetch 0x1
	.p2align	6
.LBB98_127:                             ; =>This Inner Loop Header: Depth=1
	s_waitcnt lgkmcnt(0)
	v_cmp_gt_f64_e32 vcc_lo, 0, v[204:205]
	v_cmp_gt_f64_e64 s0, 0, v[202:203]
	ds_read2_b64 v[217:220], v211 offset1:1
	v_xor_b32_e32 v222, 0x80000000, v203
	v_xor_b32_e32 v224, 0x80000000, v205
	v_mov_b32_e32 v221, v202
	v_mov_b32_e32 v223, v204
	v_add_nc_u32_e32 v211, 16, v211
	s_waitcnt lgkmcnt(0)
	v_xor_b32_e32 v226, 0x80000000, v220
	v_cndmask_b32_e64 v222, v203, v222, s0
	v_cndmask_b32_e32 v224, v205, v224, vcc_lo
	v_cmp_gt_f64_e32 vcc_lo, 0, v[219:220]
	v_cmp_gt_f64_e64 s0, 0, v[217:218]
	v_mov_b32_e32 v225, v219
	v_add_f64 v[221:222], v[221:222], v[223:224]
	v_xor_b32_e32 v224, 0x80000000, v218
	v_mov_b32_e32 v223, v217
	v_cndmask_b32_e32 v226, v220, v226, vcc_lo
	v_cndmask_b32_e64 v224, v218, v224, s0
	v_add_f64 v[223:224], v[223:224], v[225:226]
	v_cmp_lt_f64_e32 vcc_lo, v[221:222], v[223:224]
	v_cndmask_b32_e32 v203, v203, v218, vcc_lo
	v_cndmask_b32_e32 v202, v202, v217, vcc_lo
	;; [unrolled: 1-line block ×4, first 2 shown]
	v_cndmask_b32_e64 v210, v210, s7, vcc_lo
	s_add_i32 s7, s7, 1
	s_cmp_lg_u32 s1, s7
	s_cbranch_scc1 .LBB98_127
.LBB98_128:
	s_inst_prefetch 0x2
	s_waitcnt lgkmcnt(0)
	v_cmp_eq_f64_e32 vcc_lo, 0, v[202:203]
	v_cmp_eq_f64_e64 s0, 0, v[204:205]
	s_and_b32 s0, vcc_lo, s0
	s_and_saveexec_b32 s7, s0
	s_xor_b32 s0, exec_lo, s7
; %bb.129:
	v_cmp_ne_u32_e32 vcc_lo, 0, v215
	v_cndmask_b32_e32 v215, 7, v215, vcc_lo
; %bb.130:
	s_andn2_saveexec_b32 s0, s0
	s_cbranch_execz .LBB98_136
; %bb.131:
	v_cmp_ngt_f64_e64 s7, |v[202:203]|, |v[204:205]|
	s_and_saveexec_b32 s8, s7
	s_xor_b32 s7, exec_lo, s8
	s_cbranch_execz .LBB98_133
; %bb.132:
	v_div_scale_f64 v[217:218], null, v[204:205], v[204:205], v[202:203]
	v_div_scale_f64 v[223:224], vcc_lo, v[202:203], v[204:205], v[202:203]
	v_rcp_f64_e32 v[219:220], v[217:218]
	v_fma_f64 v[221:222], -v[217:218], v[219:220], 1.0
	v_fma_f64 v[219:220], v[219:220], v[221:222], v[219:220]
	v_fma_f64 v[221:222], -v[217:218], v[219:220], 1.0
	v_fma_f64 v[219:220], v[219:220], v[221:222], v[219:220]
	v_mul_f64 v[221:222], v[223:224], v[219:220]
	v_fma_f64 v[217:218], -v[217:218], v[221:222], v[223:224]
	v_div_fmas_f64 v[217:218], v[217:218], v[219:220], v[221:222]
	v_div_fixup_f64 v[217:218], v[217:218], v[204:205], v[202:203]
	v_fma_f64 v[202:203], v[202:203], v[217:218], v[204:205]
	v_div_scale_f64 v[204:205], null, v[202:203], v[202:203], 1.0
	v_rcp_f64_e32 v[219:220], v[204:205]
	v_fma_f64 v[221:222], -v[204:205], v[219:220], 1.0
	v_fma_f64 v[219:220], v[219:220], v[221:222], v[219:220]
	v_fma_f64 v[221:222], -v[204:205], v[219:220], 1.0
	v_fma_f64 v[219:220], v[219:220], v[221:222], v[219:220]
	v_div_scale_f64 v[221:222], vcc_lo, 1.0, v[202:203], 1.0
	v_mul_f64 v[223:224], v[221:222], v[219:220]
	v_fma_f64 v[204:205], -v[204:205], v[223:224], v[221:222]
	v_div_fmas_f64 v[204:205], v[204:205], v[219:220], v[223:224]
	v_div_fixup_f64 v[204:205], v[204:205], v[202:203], 1.0
	v_mul_f64 v[202:203], v[217:218], v[204:205]
	v_xor_b32_e32 v205, 0x80000000, v205
.LBB98_133:
	s_andn2_saveexec_b32 s7, s7
	s_cbranch_execz .LBB98_135
; %bb.134:
	v_div_scale_f64 v[217:218], null, v[202:203], v[202:203], v[204:205]
	v_div_scale_f64 v[223:224], vcc_lo, v[204:205], v[202:203], v[204:205]
	v_rcp_f64_e32 v[219:220], v[217:218]
	v_fma_f64 v[221:222], -v[217:218], v[219:220], 1.0
	v_fma_f64 v[219:220], v[219:220], v[221:222], v[219:220]
	v_fma_f64 v[221:222], -v[217:218], v[219:220], 1.0
	v_fma_f64 v[219:220], v[219:220], v[221:222], v[219:220]
	v_mul_f64 v[221:222], v[223:224], v[219:220]
	v_fma_f64 v[217:218], -v[217:218], v[221:222], v[223:224]
	v_div_fmas_f64 v[217:218], v[217:218], v[219:220], v[221:222]
	v_div_fixup_f64 v[217:218], v[217:218], v[202:203], v[204:205]
	v_fma_f64 v[202:203], v[204:205], v[217:218], v[202:203]
	v_div_scale_f64 v[204:205], null, v[202:203], v[202:203], 1.0
	v_rcp_f64_e32 v[219:220], v[204:205]
	v_fma_f64 v[221:222], -v[204:205], v[219:220], 1.0
	v_fma_f64 v[219:220], v[219:220], v[221:222], v[219:220]
	v_fma_f64 v[221:222], -v[204:205], v[219:220], 1.0
	v_fma_f64 v[219:220], v[219:220], v[221:222], v[219:220]
	v_div_scale_f64 v[221:222], vcc_lo, 1.0, v[202:203], 1.0
	v_mul_f64 v[223:224], v[221:222], v[219:220]
	v_fma_f64 v[204:205], -v[204:205], v[223:224], v[221:222]
	v_div_fmas_f64 v[204:205], v[204:205], v[219:220], v[223:224]
	v_div_fixup_f64 v[202:203], v[204:205], v[202:203], 1.0
	v_mul_f64 v[204:205], v[217:218], -v[202:203]
.LBB98_135:
	s_or_b32 exec_lo, exec_lo, s7
.LBB98_136:
	s_or_b32 exec_lo, exec_lo, s0
	s_mov_b32 s0, exec_lo
	v_cmpx_ne_u32_e64 v216, v210
	s_xor_b32 s0, exec_lo, s0
	s_cbranch_execz .LBB98_142
; %bb.137:
	s_mov_b32 s7, exec_lo
	v_cmpx_eq_u32_e32 6, v216
	s_cbranch_execz .LBB98_141
; %bb.138:
	v_cmp_ne_u32_e32 vcc_lo, 6, v210
	s_xor_b32 s8, s16, -1
	s_and_b32 s9, s8, vcc_lo
	s_and_saveexec_b32 s8, s9
	s_cbranch_execz .LBB98_140
; %bb.139:
	v_ashrrev_i32_e32 v211, 31, v210
	v_lshlrev_b64 v[216:217], 2, v[210:211]
	v_add_co_u32 v216, vcc_lo, v208, v216
	v_add_co_ci_u32_e64 v217, null, v209, v217, vcc_lo
	s_clause 0x1
	global_load_dword v0, v[216:217], off
	global_load_dword v211, v[208:209], off offset:24
	s_waitcnt vmcnt(1)
	global_store_dword v[208:209], v0, off offset:24
	s_waitcnt vmcnt(0)
	global_store_dword v[216:217], v211, off
.LBB98_140:
	s_or_b32 exec_lo, exec_lo, s8
	v_mov_b32_e32 v216, v210
	v_mov_b32_e32 v0, v210
.LBB98_141:
	s_or_b32 exec_lo, exec_lo, s7
.LBB98_142:
	s_andn2_saveexec_b32 s0, s0
	s_cbranch_execz .LBB98_144
; %bb.143:
	v_mov_b32_e32 v216, 6
	ds_write2_b64 v1, v[186:187], v[188:189] offset0:14 offset1:15
	ds_write2_b64 v1, v[182:183], v[184:185] offset0:16 offset1:17
	;; [unrolled: 1-line block ×43, first 2 shown]
.LBB98_144:
	s_or_b32 exec_lo, exec_lo, s0
	s_mov_b32 s0, exec_lo
	s_waitcnt lgkmcnt(0)
	s_waitcnt_vscnt null, 0x0
	s_barrier
	buffer_gl0_inv
	v_cmpx_lt_i32_e32 6, v216
	s_cbranch_execz .LBB98_146
; %bb.145:
	v_mul_f64 v[210:211], v[204:205], v[192:193]
	v_mul_f64 v[192:193], v[202:203], v[192:193]
	v_fma_f64 v[210:211], v[202:203], v[190:191], -v[210:211]
	v_fma_f64 v[192:193], v[204:205], v[190:191], v[192:193]
	ds_read2_b64 v[202:205], v1 offset0:14 offset1:15
	s_waitcnt lgkmcnt(0)
	v_mul_f64 v[190:191], v[204:205], v[192:193]
	v_fma_f64 v[190:191], v[202:203], v[210:211], -v[190:191]
	v_mul_f64 v[202:203], v[202:203], v[192:193]
	v_add_f64 v[186:187], v[186:187], -v[190:191]
	v_fma_f64 v[202:203], v[204:205], v[210:211], v[202:203]
	v_add_f64 v[188:189], v[188:189], -v[202:203]
	ds_read2_b64 v[202:205], v1 offset0:16 offset1:17
	s_waitcnt lgkmcnt(0)
	v_mul_f64 v[190:191], v[204:205], v[192:193]
	v_fma_f64 v[190:191], v[202:203], v[210:211], -v[190:191]
	v_mul_f64 v[202:203], v[202:203], v[192:193]
	v_add_f64 v[182:183], v[182:183], -v[190:191]
	v_fma_f64 v[202:203], v[204:205], v[210:211], v[202:203]
	v_add_f64 v[184:185], v[184:185], -v[202:203]
	;; [unrolled: 8-line block ×42, first 2 shown]
	ds_read2_b64 v[202:205], v1 offset0:98 offset1:99
	s_waitcnt lgkmcnt(0)
	v_mul_f64 v[190:191], v[204:205], v[192:193]
	v_fma_f64 v[190:191], v[202:203], v[210:211], -v[190:191]
	v_mul_f64 v[202:203], v[202:203], v[192:193]
	v_add_f64 v[2:3], v[2:3], -v[190:191]
	v_fma_f64 v[202:203], v[204:205], v[210:211], v[202:203]
	v_mov_b32_e32 v190, v210
	v_mov_b32_e32 v191, v211
	v_add_f64 v[4:5], v[4:5], -v[202:203]
.LBB98_146:
	s_or_b32 exec_lo, exec_lo, s0
	v_lshl_add_u32 v202, v216, 4, v1
	s_barrier
	buffer_gl0_inv
	v_mov_b32_e32 v210, 7
	ds_write2_b64 v202, v[186:187], v[188:189] offset1:1
	s_waitcnt lgkmcnt(0)
	s_barrier
	buffer_gl0_inv
	ds_read2_b64 v[202:205], v1 offset0:14 offset1:15
	s_cmp_lt_i32 s1, 9
	s_cbranch_scc1 .LBB98_149
; %bb.147:
	v_add3_u32 v211, v212, 0, 0x80
	v_mov_b32_e32 v210, 7
	s_mov_b32 s7, 8
	s_inst_prefetch 0x1
	.p2align	6
.LBB98_148:                             ; =>This Inner Loop Header: Depth=1
	s_waitcnt lgkmcnt(0)
	v_cmp_gt_f64_e32 vcc_lo, 0, v[204:205]
	v_cmp_gt_f64_e64 s0, 0, v[202:203]
	ds_read2_b64 v[217:220], v211 offset1:1
	v_xor_b32_e32 v222, 0x80000000, v203
	v_xor_b32_e32 v224, 0x80000000, v205
	v_mov_b32_e32 v221, v202
	v_mov_b32_e32 v223, v204
	v_add_nc_u32_e32 v211, 16, v211
	s_waitcnt lgkmcnt(0)
	v_xor_b32_e32 v226, 0x80000000, v220
	v_cndmask_b32_e64 v222, v203, v222, s0
	v_cndmask_b32_e32 v224, v205, v224, vcc_lo
	v_cmp_gt_f64_e32 vcc_lo, 0, v[219:220]
	v_cmp_gt_f64_e64 s0, 0, v[217:218]
	v_mov_b32_e32 v225, v219
	v_add_f64 v[221:222], v[221:222], v[223:224]
	v_xor_b32_e32 v224, 0x80000000, v218
	v_mov_b32_e32 v223, v217
	v_cndmask_b32_e32 v226, v220, v226, vcc_lo
	v_cndmask_b32_e64 v224, v218, v224, s0
	v_add_f64 v[223:224], v[223:224], v[225:226]
	v_cmp_lt_f64_e32 vcc_lo, v[221:222], v[223:224]
	v_cndmask_b32_e32 v203, v203, v218, vcc_lo
	v_cndmask_b32_e32 v202, v202, v217, vcc_lo
	;; [unrolled: 1-line block ×4, first 2 shown]
	v_cndmask_b32_e64 v210, v210, s7, vcc_lo
	s_add_i32 s7, s7, 1
	s_cmp_lg_u32 s1, s7
	s_cbranch_scc1 .LBB98_148
.LBB98_149:
	s_inst_prefetch 0x2
	s_waitcnt lgkmcnt(0)
	v_cmp_eq_f64_e32 vcc_lo, 0, v[202:203]
	v_cmp_eq_f64_e64 s0, 0, v[204:205]
	s_and_b32 s0, vcc_lo, s0
	s_and_saveexec_b32 s7, s0
	s_xor_b32 s0, exec_lo, s7
; %bb.150:
	v_cmp_ne_u32_e32 vcc_lo, 0, v215
	v_cndmask_b32_e32 v215, 8, v215, vcc_lo
; %bb.151:
	s_andn2_saveexec_b32 s0, s0
	s_cbranch_execz .LBB98_157
; %bb.152:
	v_cmp_ngt_f64_e64 s7, |v[202:203]|, |v[204:205]|
	s_and_saveexec_b32 s8, s7
	s_xor_b32 s7, exec_lo, s8
	s_cbranch_execz .LBB98_154
; %bb.153:
	v_div_scale_f64 v[217:218], null, v[204:205], v[204:205], v[202:203]
	v_div_scale_f64 v[223:224], vcc_lo, v[202:203], v[204:205], v[202:203]
	v_rcp_f64_e32 v[219:220], v[217:218]
	v_fma_f64 v[221:222], -v[217:218], v[219:220], 1.0
	v_fma_f64 v[219:220], v[219:220], v[221:222], v[219:220]
	v_fma_f64 v[221:222], -v[217:218], v[219:220], 1.0
	v_fma_f64 v[219:220], v[219:220], v[221:222], v[219:220]
	v_mul_f64 v[221:222], v[223:224], v[219:220]
	v_fma_f64 v[217:218], -v[217:218], v[221:222], v[223:224]
	v_div_fmas_f64 v[217:218], v[217:218], v[219:220], v[221:222]
	v_div_fixup_f64 v[217:218], v[217:218], v[204:205], v[202:203]
	v_fma_f64 v[202:203], v[202:203], v[217:218], v[204:205]
	v_div_scale_f64 v[204:205], null, v[202:203], v[202:203], 1.0
	v_rcp_f64_e32 v[219:220], v[204:205]
	v_fma_f64 v[221:222], -v[204:205], v[219:220], 1.0
	v_fma_f64 v[219:220], v[219:220], v[221:222], v[219:220]
	v_fma_f64 v[221:222], -v[204:205], v[219:220], 1.0
	v_fma_f64 v[219:220], v[219:220], v[221:222], v[219:220]
	v_div_scale_f64 v[221:222], vcc_lo, 1.0, v[202:203], 1.0
	v_mul_f64 v[223:224], v[221:222], v[219:220]
	v_fma_f64 v[204:205], -v[204:205], v[223:224], v[221:222]
	v_div_fmas_f64 v[204:205], v[204:205], v[219:220], v[223:224]
	v_div_fixup_f64 v[204:205], v[204:205], v[202:203], 1.0
	v_mul_f64 v[202:203], v[217:218], v[204:205]
	v_xor_b32_e32 v205, 0x80000000, v205
.LBB98_154:
	s_andn2_saveexec_b32 s7, s7
	s_cbranch_execz .LBB98_156
; %bb.155:
	v_div_scale_f64 v[217:218], null, v[202:203], v[202:203], v[204:205]
	v_div_scale_f64 v[223:224], vcc_lo, v[204:205], v[202:203], v[204:205]
	v_rcp_f64_e32 v[219:220], v[217:218]
	v_fma_f64 v[221:222], -v[217:218], v[219:220], 1.0
	v_fma_f64 v[219:220], v[219:220], v[221:222], v[219:220]
	v_fma_f64 v[221:222], -v[217:218], v[219:220], 1.0
	v_fma_f64 v[219:220], v[219:220], v[221:222], v[219:220]
	v_mul_f64 v[221:222], v[223:224], v[219:220]
	v_fma_f64 v[217:218], -v[217:218], v[221:222], v[223:224]
	v_div_fmas_f64 v[217:218], v[217:218], v[219:220], v[221:222]
	v_div_fixup_f64 v[217:218], v[217:218], v[202:203], v[204:205]
	v_fma_f64 v[202:203], v[204:205], v[217:218], v[202:203]
	v_div_scale_f64 v[204:205], null, v[202:203], v[202:203], 1.0
	v_rcp_f64_e32 v[219:220], v[204:205]
	v_fma_f64 v[221:222], -v[204:205], v[219:220], 1.0
	v_fma_f64 v[219:220], v[219:220], v[221:222], v[219:220]
	v_fma_f64 v[221:222], -v[204:205], v[219:220], 1.0
	v_fma_f64 v[219:220], v[219:220], v[221:222], v[219:220]
	v_div_scale_f64 v[221:222], vcc_lo, 1.0, v[202:203], 1.0
	v_mul_f64 v[223:224], v[221:222], v[219:220]
	v_fma_f64 v[204:205], -v[204:205], v[223:224], v[221:222]
	v_div_fmas_f64 v[204:205], v[204:205], v[219:220], v[223:224]
	v_div_fixup_f64 v[202:203], v[204:205], v[202:203], 1.0
	v_mul_f64 v[204:205], v[217:218], -v[202:203]
.LBB98_156:
	s_or_b32 exec_lo, exec_lo, s7
.LBB98_157:
	s_or_b32 exec_lo, exec_lo, s0
	s_mov_b32 s0, exec_lo
	v_cmpx_ne_u32_e64 v216, v210
	s_xor_b32 s0, exec_lo, s0
	s_cbranch_execz .LBB98_163
; %bb.158:
	s_mov_b32 s7, exec_lo
	v_cmpx_eq_u32_e32 7, v216
	s_cbranch_execz .LBB98_162
; %bb.159:
	v_cmp_ne_u32_e32 vcc_lo, 7, v210
	s_xor_b32 s8, s16, -1
	s_and_b32 s9, s8, vcc_lo
	s_and_saveexec_b32 s8, s9
	s_cbranch_execz .LBB98_161
; %bb.160:
	v_ashrrev_i32_e32 v211, 31, v210
	v_lshlrev_b64 v[216:217], 2, v[210:211]
	v_add_co_u32 v216, vcc_lo, v208, v216
	v_add_co_ci_u32_e64 v217, null, v209, v217, vcc_lo
	s_clause 0x1
	global_load_dword v0, v[216:217], off
	global_load_dword v211, v[208:209], off offset:28
	s_waitcnt vmcnt(1)
	global_store_dword v[208:209], v0, off offset:28
	s_waitcnt vmcnt(0)
	global_store_dword v[216:217], v211, off
.LBB98_161:
	s_or_b32 exec_lo, exec_lo, s8
	v_mov_b32_e32 v216, v210
	v_mov_b32_e32 v0, v210
.LBB98_162:
	s_or_b32 exec_lo, exec_lo, s7
.LBB98_163:
	s_andn2_saveexec_b32 s0, s0
	s_cbranch_execz .LBB98_165
; %bb.164:
	v_mov_b32_e32 v216, 7
	ds_write2_b64 v1, v[182:183], v[184:185] offset0:16 offset1:17
	ds_write2_b64 v1, v[178:179], v[180:181] offset0:18 offset1:19
	;; [unrolled: 1-line block ×42, first 2 shown]
.LBB98_165:
	s_or_b32 exec_lo, exec_lo, s0
	s_mov_b32 s0, exec_lo
	s_waitcnt lgkmcnt(0)
	s_waitcnt_vscnt null, 0x0
	s_barrier
	buffer_gl0_inv
	v_cmpx_lt_i32_e32 7, v216
	s_cbranch_execz .LBB98_167
; %bb.166:
	v_mul_f64 v[210:211], v[204:205], v[188:189]
	v_mul_f64 v[188:189], v[202:203], v[188:189]
	v_fma_f64 v[210:211], v[202:203], v[186:187], -v[210:211]
	v_fma_f64 v[188:189], v[204:205], v[186:187], v[188:189]
	ds_read2_b64 v[202:205], v1 offset0:16 offset1:17
	s_waitcnt lgkmcnt(0)
	v_mul_f64 v[186:187], v[204:205], v[188:189]
	v_fma_f64 v[186:187], v[202:203], v[210:211], -v[186:187]
	v_mul_f64 v[202:203], v[202:203], v[188:189]
	v_add_f64 v[182:183], v[182:183], -v[186:187]
	v_fma_f64 v[202:203], v[204:205], v[210:211], v[202:203]
	v_add_f64 v[184:185], v[184:185], -v[202:203]
	ds_read2_b64 v[202:205], v1 offset0:18 offset1:19
	s_waitcnt lgkmcnt(0)
	v_mul_f64 v[186:187], v[204:205], v[188:189]
	v_fma_f64 v[186:187], v[202:203], v[210:211], -v[186:187]
	v_mul_f64 v[202:203], v[202:203], v[188:189]
	v_add_f64 v[178:179], v[178:179], -v[186:187]
	v_fma_f64 v[202:203], v[204:205], v[210:211], v[202:203]
	v_add_f64 v[180:181], v[180:181], -v[202:203]
	;; [unrolled: 8-line block ×41, first 2 shown]
	ds_read2_b64 v[202:205], v1 offset0:98 offset1:99
	s_waitcnt lgkmcnt(0)
	v_mul_f64 v[186:187], v[204:205], v[188:189]
	v_fma_f64 v[186:187], v[202:203], v[210:211], -v[186:187]
	v_mul_f64 v[202:203], v[202:203], v[188:189]
	v_add_f64 v[2:3], v[2:3], -v[186:187]
	v_fma_f64 v[202:203], v[204:205], v[210:211], v[202:203]
	v_mov_b32_e32 v186, v210
	v_mov_b32_e32 v187, v211
	v_add_f64 v[4:5], v[4:5], -v[202:203]
.LBB98_167:
	s_or_b32 exec_lo, exec_lo, s0
	v_lshl_add_u32 v202, v216, 4, v1
	s_barrier
	buffer_gl0_inv
	v_mov_b32_e32 v210, 8
	ds_write2_b64 v202, v[182:183], v[184:185] offset1:1
	s_waitcnt lgkmcnt(0)
	s_barrier
	buffer_gl0_inv
	ds_read2_b64 v[202:205], v1 offset0:16 offset1:17
	s_cmp_lt_i32 s1, 10
	s_cbranch_scc1 .LBB98_170
; %bb.168:
	v_add3_u32 v211, v212, 0, 0x90
	v_mov_b32_e32 v210, 8
	s_mov_b32 s7, 9
	s_inst_prefetch 0x1
	.p2align	6
.LBB98_169:                             ; =>This Inner Loop Header: Depth=1
	s_waitcnt lgkmcnt(0)
	v_cmp_gt_f64_e32 vcc_lo, 0, v[204:205]
	v_cmp_gt_f64_e64 s0, 0, v[202:203]
	ds_read2_b64 v[217:220], v211 offset1:1
	v_xor_b32_e32 v222, 0x80000000, v203
	v_xor_b32_e32 v224, 0x80000000, v205
	v_mov_b32_e32 v221, v202
	v_mov_b32_e32 v223, v204
	v_add_nc_u32_e32 v211, 16, v211
	s_waitcnt lgkmcnt(0)
	v_xor_b32_e32 v226, 0x80000000, v220
	v_cndmask_b32_e64 v222, v203, v222, s0
	v_cndmask_b32_e32 v224, v205, v224, vcc_lo
	v_cmp_gt_f64_e32 vcc_lo, 0, v[219:220]
	v_cmp_gt_f64_e64 s0, 0, v[217:218]
	v_mov_b32_e32 v225, v219
	v_add_f64 v[221:222], v[221:222], v[223:224]
	v_xor_b32_e32 v224, 0x80000000, v218
	v_mov_b32_e32 v223, v217
	v_cndmask_b32_e32 v226, v220, v226, vcc_lo
	v_cndmask_b32_e64 v224, v218, v224, s0
	v_add_f64 v[223:224], v[223:224], v[225:226]
	v_cmp_lt_f64_e32 vcc_lo, v[221:222], v[223:224]
	v_cndmask_b32_e32 v203, v203, v218, vcc_lo
	v_cndmask_b32_e32 v202, v202, v217, vcc_lo
	v_cndmask_b32_e32 v205, v205, v220, vcc_lo
	v_cndmask_b32_e32 v204, v204, v219, vcc_lo
	v_cndmask_b32_e64 v210, v210, s7, vcc_lo
	s_add_i32 s7, s7, 1
	s_cmp_lg_u32 s1, s7
	s_cbranch_scc1 .LBB98_169
.LBB98_170:
	s_inst_prefetch 0x2
	s_waitcnt lgkmcnt(0)
	v_cmp_eq_f64_e32 vcc_lo, 0, v[202:203]
	v_cmp_eq_f64_e64 s0, 0, v[204:205]
	s_and_b32 s0, vcc_lo, s0
	s_and_saveexec_b32 s7, s0
	s_xor_b32 s0, exec_lo, s7
; %bb.171:
	v_cmp_ne_u32_e32 vcc_lo, 0, v215
	v_cndmask_b32_e32 v215, 9, v215, vcc_lo
; %bb.172:
	s_andn2_saveexec_b32 s0, s0
	s_cbranch_execz .LBB98_178
; %bb.173:
	v_cmp_ngt_f64_e64 s7, |v[202:203]|, |v[204:205]|
	s_and_saveexec_b32 s8, s7
	s_xor_b32 s7, exec_lo, s8
	s_cbranch_execz .LBB98_175
; %bb.174:
	v_div_scale_f64 v[217:218], null, v[204:205], v[204:205], v[202:203]
	v_div_scale_f64 v[223:224], vcc_lo, v[202:203], v[204:205], v[202:203]
	v_rcp_f64_e32 v[219:220], v[217:218]
	v_fma_f64 v[221:222], -v[217:218], v[219:220], 1.0
	v_fma_f64 v[219:220], v[219:220], v[221:222], v[219:220]
	v_fma_f64 v[221:222], -v[217:218], v[219:220], 1.0
	v_fma_f64 v[219:220], v[219:220], v[221:222], v[219:220]
	v_mul_f64 v[221:222], v[223:224], v[219:220]
	v_fma_f64 v[217:218], -v[217:218], v[221:222], v[223:224]
	v_div_fmas_f64 v[217:218], v[217:218], v[219:220], v[221:222]
	v_div_fixup_f64 v[217:218], v[217:218], v[204:205], v[202:203]
	v_fma_f64 v[202:203], v[202:203], v[217:218], v[204:205]
	v_div_scale_f64 v[204:205], null, v[202:203], v[202:203], 1.0
	v_rcp_f64_e32 v[219:220], v[204:205]
	v_fma_f64 v[221:222], -v[204:205], v[219:220], 1.0
	v_fma_f64 v[219:220], v[219:220], v[221:222], v[219:220]
	v_fma_f64 v[221:222], -v[204:205], v[219:220], 1.0
	v_fma_f64 v[219:220], v[219:220], v[221:222], v[219:220]
	v_div_scale_f64 v[221:222], vcc_lo, 1.0, v[202:203], 1.0
	v_mul_f64 v[223:224], v[221:222], v[219:220]
	v_fma_f64 v[204:205], -v[204:205], v[223:224], v[221:222]
	v_div_fmas_f64 v[204:205], v[204:205], v[219:220], v[223:224]
	v_div_fixup_f64 v[204:205], v[204:205], v[202:203], 1.0
	v_mul_f64 v[202:203], v[217:218], v[204:205]
	v_xor_b32_e32 v205, 0x80000000, v205
.LBB98_175:
	s_andn2_saveexec_b32 s7, s7
	s_cbranch_execz .LBB98_177
; %bb.176:
	v_div_scale_f64 v[217:218], null, v[202:203], v[202:203], v[204:205]
	v_div_scale_f64 v[223:224], vcc_lo, v[204:205], v[202:203], v[204:205]
	v_rcp_f64_e32 v[219:220], v[217:218]
	v_fma_f64 v[221:222], -v[217:218], v[219:220], 1.0
	v_fma_f64 v[219:220], v[219:220], v[221:222], v[219:220]
	v_fma_f64 v[221:222], -v[217:218], v[219:220], 1.0
	v_fma_f64 v[219:220], v[219:220], v[221:222], v[219:220]
	v_mul_f64 v[221:222], v[223:224], v[219:220]
	v_fma_f64 v[217:218], -v[217:218], v[221:222], v[223:224]
	v_div_fmas_f64 v[217:218], v[217:218], v[219:220], v[221:222]
	v_div_fixup_f64 v[217:218], v[217:218], v[202:203], v[204:205]
	v_fma_f64 v[202:203], v[204:205], v[217:218], v[202:203]
	v_div_scale_f64 v[204:205], null, v[202:203], v[202:203], 1.0
	v_rcp_f64_e32 v[219:220], v[204:205]
	v_fma_f64 v[221:222], -v[204:205], v[219:220], 1.0
	v_fma_f64 v[219:220], v[219:220], v[221:222], v[219:220]
	v_fma_f64 v[221:222], -v[204:205], v[219:220], 1.0
	v_fma_f64 v[219:220], v[219:220], v[221:222], v[219:220]
	v_div_scale_f64 v[221:222], vcc_lo, 1.0, v[202:203], 1.0
	v_mul_f64 v[223:224], v[221:222], v[219:220]
	v_fma_f64 v[204:205], -v[204:205], v[223:224], v[221:222]
	v_div_fmas_f64 v[204:205], v[204:205], v[219:220], v[223:224]
	v_div_fixup_f64 v[202:203], v[204:205], v[202:203], 1.0
	v_mul_f64 v[204:205], v[217:218], -v[202:203]
.LBB98_177:
	s_or_b32 exec_lo, exec_lo, s7
.LBB98_178:
	s_or_b32 exec_lo, exec_lo, s0
	s_mov_b32 s0, exec_lo
	v_cmpx_ne_u32_e64 v216, v210
	s_xor_b32 s0, exec_lo, s0
	s_cbranch_execz .LBB98_184
; %bb.179:
	s_mov_b32 s7, exec_lo
	v_cmpx_eq_u32_e32 8, v216
	s_cbranch_execz .LBB98_183
; %bb.180:
	v_cmp_ne_u32_e32 vcc_lo, 8, v210
	s_xor_b32 s8, s16, -1
	s_and_b32 s9, s8, vcc_lo
	s_and_saveexec_b32 s8, s9
	s_cbranch_execz .LBB98_182
; %bb.181:
	v_ashrrev_i32_e32 v211, 31, v210
	v_lshlrev_b64 v[216:217], 2, v[210:211]
	v_add_co_u32 v216, vcc_lo, v208, v216
	v_add_co_ci_u32_e64 v217, null, v209, v217, vcc_lo
	s_clause 0x1
	global_load_dword v0, v[216:217], off
	global_load_dword v211, v[208:209], off offset:32
	s_waitcnt vmcnt(1)
	global_store_dword v[208:209], v0, off offset:32
	s_waitcnt vmcnt(0)
	global_store_dword v[216:217], v211, off
.LBB98_182:
	s_or_b32 exec_lo, exec_lo, s8
	v_mov_b32_e32 v216, v210
	v_mov_b32_e32 v0, v210
.LBB98_183:
	s_or_b32 exec_lo, exec_lo, s7
.LBB98_184:
	s_andn2_saveexec_b32 s0, s0
	s_cbranch_execz .LBB98_186
; %bb.185:
	v_mov_b32_e32 v216, 8
	ds_write2_b64 v1, v[178:179], v[180:181] offset0:18 offset1:19
	ds_write2_b64 v1, v[174:175], v[176:177] offset0:20 offset1:21
	;; [unrolled: 1-line block ×41, first 2 shown]
.LBB98_186:
	s_or_b32 exec_lo, exec_lo, s0
	s_mov_b32 s0, exec_lo
	s_waitcnt lgkmcnt(0)
	s_waitcnt_vscnt null, 0x0
	s_barrier
	buffer_gl0_inv
	v_cmpx_lt_i32_e32 8, v216
	s_cbranch_execz .LBB98_188
; %bb.187:
	v_mul_f64 v[210:211], v[204:205], v[184:185]
	v_mul_f64 v[184:185], v[202:203], v[184:185]
	v_fma_f64 v[210:211], v[202:203], v[182:183], -v[210:211]
	v_fma_f64 v[184:185], v[204:205], v[182:183], v[184:185]
	ds_read2_b64 v[202:205], v1 offset0:18 offset1:19
	s_waitcnt lgkmcnt(0)
	v_mul_f64 v[182:183], v[204:205], v[184:185]
	v_fma_f64 v[182:183], v[202:203], v[210:211], -v[182:183]
	v_mul_f64 v[202:203], v[202:203], v[184:185]
	v_add_f64 v[178:179], v[178:179], -v[182:183]
	v_fma_f64 v[202:203], v[204:205], v[210:211], v[202:203]
	v_add_f64 v[180:181], v[180:181], -v[202:203]
	ds_read2_b64 v[202:205], v1 offset0:20 offset1:21
	s_waitcnt lgkmcnt(0)
	v_mul_f64 v[182:183], v[204:205], v[184:185]
	v_fma_f64 v[182:183], v[202:203], v[210:211], -v[182:183]
	v_mul_f64 v[202:203], v[202:203], v[184:185]
	v_add_f64 v[174:175], v[174:175], -v[182:183]
	v_fma_f64 v[202:203], v[204:205], v[210:211], v[202:203]
	v_add_f64 v[176:177], v[176:177], -v[202:203]
	;; [unrolled: 8-line block ×40, first 2 shown]
	ds_read2_b64 v[202:205], v1 offset0:98 offset1:99
	s_waitcnt lgkmcnt(0)
	v_mul_f64 v[182:183], v[204:205], v[184:185]
	v_fma_f64 v[182:183], v[202:203], v[210:211], -v[182:183]
	v_mul_f64 v[202:203], v[202:203], v[184:185]
	v_add_f64 v[2:3], v[2:3], -v[182:183]
	v_fma_f64 v[202:203], v[204:205], v[210:211], v[202:203]
	v_mov_b32_e32 v182, v210
	v_mov_b32_e32 v183, v211
	v_add_f64 v[4:5], v[4:5], -v[202:203]
.LBB98_188:
	s_or_b32 exec_lo, exec_lo, s0
	v_lshl_add_u32 v202, v216, 4, v1
	s_barrier
	buffer_gl0_inv
	v_mov_b32_e32 v210, 9
	ds_write2_b64 v202, v[178:179], v[180:181] offset1:1
	s_waitcnt lgkmcnt(0)
	s_barrier
	buffer_gl0_inv
	ds_read2_b64 v[202:205], v1 offset0:18 offset1:19
	s_cmp_lt_i32 s1, 11
	s_cbranch_scc1 .LBB98_191
; %bb.189:
	v_add3_u32 v211, v212, 0, 0xa0
	v_mov_b32_e32 v210, 9
	s_mov_b32 s7, 10
	s_inst_prefetch 0x1
	.p2align	6
.LBB98_190:                             ; =>This Inner Loop Header: Depth=1
	s_waitcnt lgkmcnt(0)
	v_cmp_gt_f64_e32 vcc_lo, 0, v[204:205]
	v_cmp_gt_f64_e64 s0, 0, v[202:203]
	ds_read2_b64 v[217:220], v211 offset1:1
	v_xor_b32_e32 v222, 0x80000000, v203
	v_xor_b32_e32 v224, 0x80000000, v205
	v_mov_b32_e32 v221, v202
	v_mov_b32_e32 v223, v204
	v_add_nc_u32_e32 v211, 16, v211
	s_waitcnt lgkmcnt(0)
	v_xor_b32_e32 v226, 0x80000000, v220
	v_cndmask_b32_e64 v222, v203, v222, s0
	v_cndmask_b32_e32 v224, v205, v224, vcc_lo
	v_cmp_gt_f64_e32 vcc_lo, 0, v[219:220]
	v_cmp_gt_f64_e64 s0, 0, v[217:218]
	v_mov_b32_e32 v225, v219
	v_add_f64 v[221:222], v[221:222], v[223:224]
	v_xor_b32_e32 v224, 0x80000000, v218
	v_mov_b32_e32 v223, v217
	v_cndmask_b32_e32 v226, v220, v226, vcc_lo
	v_cndmask_b32_e64 v224, v218, v224, s0
	v_add_f64 v[223:224], v[223:224], v[225:226]
	v_cmp_lt_f64_e32 vcc_lo, v[221:222], v[223:224]
	v_cndmask_b32_e32 v203, v203, v218, vcc_lo
	v_cndmask_b32_e32 v202, v202, v217, vcc_lo
	;; [unrolled: 1-line block ×4, first 2 shown]
	v_cndmask_b32_e64 v210, v210, s7, vcc_lo
	s_add_i32 s7, s7, 1
	s_cmp_lg_u32 s1, s7
	s_cbranch_scc1 .LBB98_190
.LBB98_191:
	s_inst_prefetch 0x2
	s_waitcnt lgkmcnt(0)
	v_cmp_eq_f64_e32 vcc_lo, 0, v[202:203]
	v_cmp_eq_f64_e64 s0, 0, v[204:205]
	s_and_b32 s0, vcc_lo, s0
	s_and_saveexec_b32 s7, s0
	s_xor_b32 s0, exec_lo, s7
; %bb.192:
	v_cmp_ne_u32_e32 vcc_lo, 0, v215
	v_cndmask_b32_e32 v215, 10, v215, vcc_lo
; %bb.193:
	s_andn2_saveexec_b32 s0, s0
	s_cbranch_execz .LBB98_199
; %bb.194:
	v_cmp_ngt_f64_e64 s7, |v[202:203]|, |v[204:205]|
	s_and_saveexec_b32 s8, s7
	s_xor_b32 s7, exec_lo, s8
	s_cbranch_execz .LBB98_196
; %bb.195:
	v_div_scale_f64 v[217:218], null, v[204:205], v[204:205], v[202:203]
	v_div_scale_f64 v[223:224], vcc_lo, v[202:203], v[204:205], v[202:203]
	v_rcp_f64_e32 v[219:220], v[217:218]
	v_fma_f64 v[221:222], -v[217:218], v[219:220], 1.0
	v_fma_f64 v[219:220], v[219:220], v[221:222], v[219:220]
	v_fma_f64 v[221:222], -v[217:218], v[219:220], 1.0
	v_fma_f64 v[219:220], v[219:220], v[221:222], v[219:220]
	v_mul_f64 v[221:222], v[223:224], v[219:220]
	v_fma_f64 v[217:218], -v[217:218], v[221:222], v[223:224]
	v_div_fmas_f64 v[217:218], v[217:218], v[219:220], v[221:222]
	v_div_fixup_f64 v[217:218], v[217:218], v[204:205], v[202:203]
	v_fma_f64 v[202:203], v[202:203], v[217:218], v[204:205]
	v_div_scale_f64 v[204:205], null, v[202:203], v[202:203], 1.0
	v_rcp_f64_e32 v[219:220], v[204:205]
	v_fma_f64 v[221:222], -v[204:205], v[219:220], 1.0
	v_fma_f64 v[219:220], v[219:220], v[221:222], v[219:220]
	v_fma_f64 v[221:222], -v[204:205], v[219:220], 1.0
	v_fma_f64 v[219:220], v[219:220], v[221:222], v[219:220]
	v_div_scale_f64 v[221:222], vcc_lo, 1.0, v[202:203], 1.0
	v_mul_f64 v[223:224], v[221:222], v[219:220]
	v_fma_f64 v[204:205], -v[204:205], v[223:224], v[221:222]
	v_div_fmas_f64 v[204:205], v[204:205], v[219:220], v[223:224]
	v_div_fixup_f64 v[204:205], v[204:205], v[202:203], 1.0
	v_mul_f64 v[202:203], v[217:218], v[204:205]
	v_xor_b32_e32 v205, 0x80000000, v205
.LBB98_196:
	s_andn2_saveexec_b32 s7, s7
	s_cbranch_execz .LBB98_198
; %bb.197:
	v_div_scale_f64 v[217:218], null, v[202:203], v[202:203], v[204:205]
	v_div_scale_f64 v[223:224], vcc_lo, v[204:205], v[202:203], v[204:205]
	v_rcp_f64_e32 v[219:220], v[217:218]
	v_fma_f64 v[221:222], -v[217:218], v[219:220], 1.0
	v_fma_f64 v[219:220], v[219:220], v[221:222], v[219:220]
	v_fma_f64 v[221:222], -v[217:218], v[219:220], 1.0
	v_fma_f64 v[219:220], v[219:220], v[221:222], v[219:220]
	v_mul_f64 v[221:222], v[223:224], v[219:220]
	v_fma_f64 v[217:218], -v[217:218], v[221:222], v[223:224]
	v_div_fmas_f64 v[217:218], v[217:218], v[219:220], v[221:222]
	v_div_fixup_f64 v[217:218], v[217:218], v[202:203], v[204:205]
	v_fma_f64 v[202:203], v[204:205], v[217:218], v[202:203]
	v_div_scale_f64 v[204:205], null, v[202:203], v[202:203], 1.0
	v_rcp_f64_e32 v[219:220], v[204:205]
	v_fma_f64 v[221:222], -v[204:205], v[219:220], 1.0
	v_fma_f64 v[219:220], v[219:220], v[221:222], v[219:220]
	v_fma_f64 v[221:222], -v[204:205], v[219:220], 1.0
	v_fma_f64 v[219:220], v[219:220], v[221:222], v[219:220]
	v_div_scale_f64 v[221:222], vcc_lo, 1.0, v[202:203], 1.0
	v_mul_f64 v[223:224], v[221:222], v[219:220]
	v_fma_f64 v[204:205], -v[204:205], v[223:224], v[221:222]
	v_div_fmas_f64 v[204:205], v[204:205], v[219:220], v[223:224]
	v_div_fixup_f64 v[202:203], v[204:205], v[202:203], 1.0
	v_mul_f64 v[204:205], v[217:218], -v[202:203]
.LBB98_198:
	s_or_b32 exec_lo, exec_lo, s7
.LBB98_199:
	s_or_b32 exec_lo, exec_lo, s0
	s_mov_b32 s0, exec_lo
	v_cmpx_ne_u32_e64 v216, v210
	s_xor_b32 s0, exec_lo, s0
	s_cbranch_execz .LBB98_205
; %bb.200:
	s_mov_b32 s7, exec_lo
	v_cmpx_eq_u32_e32 9, v216
	s_cbranch_execz .LBB98_204
; %bb.201:
	v_cmp_ne_u32_e32 vcc_lo, 9, v210
	s_xor_b32 s8, s16, -1
	s_and_b32 s9, s8, vcc_lo
	s_and_saveexec_b32 s8, s9
	s_cbranch_execz .LBB98_203
; %bb.202:
	v_ashrrev_i32_e32 v211, 31, v210
	v_lshlrev_b64 v[216:217], 2, v[210:211]
	v_add_co_u32 v216, vcc_lo, v208, v216
	v_add_co_ci_u32_e64 v217, null, v209, v217, vcc_lo
	s_clause 0x1
	global_load_dword v0, v[216:217], off
	global_load_dword v211, v[208:209], off offset:36
	s_waitcnt vmcnt(1)
	global_store_dword v[208:209], v0, off offset:36
	s_waitcnt vmcnt(0)
	global_store_dword v[216:217], v211, off
.LBB98_203:
	s_or_b32 exec_lo, exec_lo, s8
	v_mov_b32_e32 v216, v210
	v_mov_b32_e32 v0, v210
.LBB98_204:
	s_or_b32 exec_lo, exec_lo, s7
.LBB98_205:
	s_andn2_saveexec_b32 s0, s0
	s_cbranch_execz .LBB98_207
; %bb.206:
	v_mov_b32_e32 v216, 9
	ds_write2_b64 v1, v[174:175], v[176:177] offset0:20 offset1:21
	ds_write2_b64 v1, v[170:171], v[172:173] offset0:22 offset1:23
	;; [unrolled: 1-line block ×40, first 2 shown]
.LBB98_207:
	s_or_b32 exec_lo, exec_lo, s0
	s_mov_b32 s0, exec_lo
	s_waitcnt lgkmcnt(0)
	s_waitcnt_vscnt null, 0x0
	s_barrier
	buffer_gl0_inv
	v_cmpx_lt_i32_e32 9, v216
	s_cbranch_execz .LBB98_209
; %bb.208:
	v_mul_f64 v[210:211], v[204:205], v[180:181]
	v_mul_f64 v[180:181], v[202:203], v[180:181]
	v_fma_f64 v[210:211], v[202:203], v[178:179], -v[210:211]
	v_fma_f64 v[180:181], v[204:205], v[178:179], v[180:181]
	ds_read2_b64 v[202:205], v1 offset0:20 offset1:21
	s_waitcnt lgkmcnt(0)
	v_mul_f64 v[178:179], v[204:205], v[180:181]
	v_fma_f64 v[178:179], v[202:203], v[210:211], -v[178:179]
	v_mul_f64 v[202:203], v[202:203], v[180:181]
	v_add_f64 v[174:175], v[174:175], -v[178:179]
	v_fma_f64 v[202:203], v[204:205], v[210:211], v[202:203]
	v_add_f64 v[176:177], v[176:177], -v[202:203]
	ds_read2_b64 v[202:205], v1 offset0:22 offset1:23
	s_waitcnt lgkmcnt(0)
	v_mul_f64 v[178:179], v[204:205], v[180:181]
	v_fma_f64 v[178:179], v[202:203], v[210:211], -v[178:179]
	v_mul_f64 v[202:203], v[202:203], v[180:181]
	v_add_f64 v[170:171], v[170:171], -v[178:179]
	v_fma_f64 v[202:203], v[204:205], v[210:211], v[202:203]
	v_add_f64 v[172:173], v[172:173], -v[202:203]
	;; [unrolled: 8-line block ×39, first 2 shown]
	ds_read2_b64 v[202:205], v1 offset0:98 offset1:99
	s_waitcnt lgkmcnt(0)
	v_mul_f64 v[178:179], v[204:205], v[180:181]
	v_fma_f64 v[178:179], v[202:203], v[210:211], -v[178:179]
	v_mul_f64 v[202:203], v[202:203], v[180:181]
	v_add_f64 v[2:3], v[2:3], -v[178:179]
	v_fma_f64 v[202:203], v[204:205], v[210:211], v[202:203]
	v_mov_b32_e32 v178, v210
	v_mov_b32_e32 v179, v211
	v_add_f64 v[4:5], v[4:5], -v[202:203]
.LBB98_209:
	s_or_b32 exec_lo, exec_lo, s0
	v_lshl_add_u32 v202, v216, 4, v1
	s_barrier
	buffer_gl0_inv
	v_mov_b32_e32 v210, 10
	ds_write2_b64 v202, v[174:175], v[176:177] offset1:1
	s_waitcnt lgkmcnt(0)
	s_barrier
	buffer_gl0_inv
	ds_read2_b64 v[202:205], v1 offset0:20 offset1:21
	s_cmp_lt_i32 s1, 12
	s_cbranch_scc1 .LBB98_212
; %bb.210:
	v_add3_u32 v211, v212, 0, 0xb0
	v_mov_b32_e32 v210, 10
	s_mov_b32 s7, 11
	s_inst_prefetch 0x1
	.p2align	6
.LBB98_211:                             ; =>This Inner Loop Header: Depth=1
	s_waitcnt lgkmcnt(0)
	v_cmp_gt_f64_e32 vcc_lo, 0, v[204:205]
	v_cmp_gt_f64_e64 s0, 0, v[202:203]
	ds_read2_b64 v[217:220], v211 offset1:1
	v_xor_b32_e32 v222, 0x80000000, v203
	v_xor_b32_e32 v224, 0x80000000, v205
	v_mov_b32_e32 v221, v202
	v_mov_b32_e32 v223, v204
	v_add_nc_u32_e32 v211, 16, v211
	s_waitcnt lgkmcnt(0)
	v_xor_b32_e32 v226, 0x80000000, v220
	v_cndmask_b32_e64 v222, v203, v222, s0
	v_cndmask_b32_e32 v224, v205, v224, vcc_lo
	v_cmp_gt_f64_e32 vcc_lo, 0, v[219:220]
	v_cmp_gt_f64_e64 s0, 0, v[217:218]
	v_mov_b32_e32 v225, v219
	v_add_f64 v[221:222], v[221:222], v[223:224]
	v_xor_b32_e32 v224, 0x80000000, v218
	v_mov_b32_e32 v223, v217
	v_cndmask_b32_e32 v226, v220, v226, vcc_lo
	v_cndmask_b32_e64 v224, v218, v224, s0
	v_add_f64 v[223:224], v[223:224], v[225:226]
	v_cmp_lt_f64_e32 vcc_lo, v[221:222], v[223:224]
	v_cndmask_b32_e32 v203, v203, v218, vcc_lo
	v_cndmask_b32_e32 v202, v202, v217, vcc_lo
	;; [unrolled: 1-line block ×4, first 2 shown]
	v_cndmask_b32_e64 v210, v210, s7, vcc_lo
	s_add_i32 s7, s7, 1
	s_cmp_lg_u32 s1, s7
	s_cbranch_scc1 .LBB98_211
.LBB98_212:
	s_inst_prefetch 0x2
	s_waitcnt lgkmcnt(0)
	v_cmp_eq_f64_e32 vcc_lo, 0, v[202:203]
	v_cmp_eq_f64_e64 s0, 0, v[204:205]
	s_and_b32 s0, vcc_lo, s0
	s_and_saveexec_b32 s7, s0
	s_xor_b32 s0, exec_lo, s7
; %bb.213:
	v_cmp_ne_u32_e32 vcc_lo, 0, v215
	v_cndmask_b32_e32 v215, 11, v215, vcc_lo
; %bb.214:
	s_andn2_saveexec_b32 s0, s0
	s_cbranch_execz .LBB98_220
; %bb.215:
	v_cmp_ngt_f64_e64 s7, |v[202:203]|, |v[204:205]|
	s_and_saveexec_b32 s8, s7
	s_xor_b32 s7, exec_lo, s8
	s_cbranch_execz .LBB98_217
; %bb.216:
	v_div_scale_f64 v[217:218], null, v[204:205], v[204:205], v[202:203]
	v_div_scale_f64 v[223:224], vcc_lo, v[202:203], v[204:205], v[202:203]
	v_rcp_f64_e32 v[219:220], v[217:218]
	v_fma_f64 v[221:222], -v[217:218], v[219:220], 1.0
	v_fma_f64 v[219:220], v[219:220], v[221:222], v[219:220]
	v_fma_f64 v[221:222], -v[217:218], v[219:220], 1.0
	v_fma_f64 v[219:220], v[219:220], v[221:222], v[219:220]
	v_mul_f64 v[221:222], v[223:224], v[219:220]
	v_fma_f64 v[217:218], -v[217:218], v[221:222], v[223:224]
	v_div_fmas_f64 v[217:218], v[217:218], v[219:220], v[221:222]
	v_div_fixup_f64 v[217:218], v[217:218], v[204:205], v[202:203]
	v_fma_f64 v[202:203], v[202:203], v[217:218], v[204:205]
	v_div_scale_f64 v[204:205], null, v[202:203], v[202:203], 1.0
	v_rcp_f64_e32 v[219:220], v[204:205]
	v_fma_f64 v[221:222], -v[204:205], v[219:220], 1.0
	v_fma_f64 v[219:220], v[219:220], v[221:222], v[219:220]
	v_fma_f64 v[221:222], -v[204:205], v[219:220], 1.0
	v_fma_f64 v[219:220], v[219:220], v[221:222], v[219:220]
	v_div_scale_f64 v[221:222], vcc_lo, 1.0, v[202:203], 1.0
	v_mul_f64 v[223:224], v[221:222], v[219:220]
	v_fma_f64 v[204:205], -v[204:205], v[223:224], v[221:222]
	v_div_fmas_f64 v[204:205], v[204:205], v[219:220], v[223:224]
	v_div_fixup_f64 v[204:205], v[204:205], v[202:203], 1.0
	v_mul_f64 v[202:203], v[217:218], v[204:205]
	v_xor_b32_e32 v205, 0x80000000, v205
.LBB98_217:
	s_andn2_saveexec_b32 s7, s7
	s_cbranch_execz .LBB98_219
; %bb.218:
	v_div_scale_f64 v[217:218], null, v[202:203], v[202:203], v[204:205]
	v_div_scale_f64 v[223:224], vcc_lo, v[204:205], v[202:203], v[204:205]
	v_rcp_f64_e32 v[219:220], v[217:218]
	v_fma_f64 v[221:222], -v[217:218], v[219:220], 1.0
	v_fma_f64 v[219:220], v[219:220], v[221:222], v[219:220]
	v_fma_f64 v[221:222], -v[217:218], v[219:220], 1.0
	v_fma_f64 v[219:220], v[219:220], v[221:222], v[219:220]
	v_mul_f64 v[221:222], v[223:224], v[219:220]
	v_fma_f64 v[217:218], -v[217:218], v[221:222], v[223:224]
	v_div_fmas_f64 v[217:218], v[217:218], v[219:220], v[221:222]
	v_div_fixup_f64 v[217:218], v[217:218], v[202:203], v[204:205]
	v_fma_f64 v[202:203], v[204:205], v[217:218], v[202:203]
	v_div_scale_f64 v[204:205], null, v[202:203], v[202:203], 1.0
	v_rcp_f64_e32 v[219:220], v[204:205]
	v_fma_f64 v[221:222], -v[204:205], v[219:220], 1.0
	v_fma_f64 v[219:220], v[219:220], v[221:222], v[219:220]
	v_fma_f64 v[221:222], -v[204:205], v[219:220], 1.0
	v_fma_f64 v[219:220], v[219:220], v[221:222], v[219:220]
	v_div_scale_f64 v[221:222], vcc_lo, 1.0, v[202:203], 1.0
	v_mul_f64 v[223:224], v[221:222], v[219:220]
	v_fma_f64 v[204:205], -v[204:205], v[223:224], v[221:222]
	v_div_fmas_f64 v[204:205], v[204:205], v[219:220], v[223:224]
	v_div_fixup_f64 v[202:203], v[204:205], v[202:203], 1.0
	v_mul_f64 v[204:205], v[217:218], -v[202:203]
.LBB98_219:
	s_or_b32 exec_lo, exec_lo, s7
.LBB98_220:
	s_or_b32 exec_lo, exec_lo, s0
	s_mov_b32 s0, exec_lo
	v_cmpx_ne_u32_e64 v216, v210
	s_xor_b32 s0, exec_lo, s0
	s_cbranch_execz .LBB98_226
; %bb.221:
	s_mov_b32 s7, exec_lo
	v_cmpx_eq_u32_e32 10, v216
	s_cbranch_execz .LBB98_225
; %bb.222:
	v_cmp_ne_u32_e32 vcc_lo, 10, v210
	s_xor_b32 s8, s16, -1
	s_and_b32 s9, s8, vcc_lo
	s_and_saveexec_b32 s8, s9
	s_cbranch_execz .LBB98_224
; %bb.223:
	v_ashrrev_i32_e32 v211, 31, v210
	v_lshlrev_b64 v[216:217], 2, v[210:211]
	v_add_co_u32 v216, vcc_lo, v208, v216
	v_add_co_ci_u32_e64 v217, null, v209, v217, vcc_lo
	s_clause 0x1
	global_load_dword v0, v[216:217], off
	global_load_dword v211, v[208:209], off offset:40
	s_waitcnt vmcnt(1)
	global_store_dword v[208:209], v0, off offset:40
	s_waitcnt vmcnt(0)
	global_store_dword v[216:217], v211, off
.LBB98_224:
	s_or_b32 exec_lo, exec_lo, s8
	v_mov_b32_e32 v216, v210
	v_mov_b32_e32 v0, v210
.LBB98_225:
	s_or_b32 exec_lo, exec_lo, s7
.LBB98_226:
	s_andn2_saveexec_b32 s0, s0
	s_cbranch_execz .LBB98_228
; %bb.227:
	v_mov_b32_e32 v216, 10
	ds_write2_b64 v1, v[170:171], v[172:173] offset0:22 offset1:23
	ds_write2_b64 v1, v[166:167], v[168:169] offset0:24 offset1:25
	;; [unrolled: 1-line block ×39, first 2 shown]
.LBB98_228:
	s_or_b32 exec_lo, exec_lo, s0
	s_mov_b32 s0, exec_lo
	s_waitcnt lgkmcnt(0)
	s_waitcnt_vscnt null, 0x0
	s_barrier
	buffer_gl0_inv
	v_cmpx_lt_i32_e32 10, v216
	s_cbranch_execz .LBB98_230
; %bb.229:
	v_mul_f64 v[210:211], v[204:205], v[176:177]
	v_mul_f64 v[176:177], v[202:203], v[176:177]
	v_fma_f64 v[210:211], v[202:203], v[174:175], -v[210:211]
	v_fma_f64 v[176:177], v[204:205], v[174:175], v[176:177]
	ds_read2_b64 v[202:205], v1 offset0:22 offset1:23
	s_waitcnt lgkmcnt(0)
	v_mul_f64 v[174:175], v[204:205], v[176:177]
	v_fma_f64 v[174:175], v[202:203], v[210:211], -v[174:175]
	v_mul_f64 v[202:203], v[202:203], v[176:177]
	v_add_f64 v[170:171], v[170:171], -v[174:175]
	v_fma_f64 v[202:203], v[204:205], v[210:211], v[202:203]
	v_add_f64 v[172:173], v[172:173], -v[202:203]
	ds_read2_b64 v[202:205], v1 offset0:24 offset1:25
	s_waitcnt lgkmcnt(0)
	v_mul_f64 v[174:175], v[204:205], v[176:177]
	v_fma_f64 v[174:175], v[202:203], v[210:211], -v[174:175]
	v_mul_f64 v[202:203], v[202:203], v[176:177]
	v_add_f64 v[166:167], v[166:167], -v[174:175]
	v_fma_f64 v[202:203], v[204:205], v[210:211], v[202:203]
	v_add_f64 v[168:169], v[168:169], -v[202:203]
	;; [unrolled: 8-line block ×38, first 2 shown]
	ds_read2_b64 v[202:205], v1 offset0:98 offset1:99
	s_waitcnt lgkmcnt(0)
	v_mul_f64 v[174:175], v[204:205], v[176:177]
	v_fma_f64 v[174:175], v[202:203], v[210:211], -v[174:175]
	v_mul_f64 v[202:203], v[202:203], v[176:177]
	v_add_f64 v[2:3], v[2:3], -v[174:175]
	v_fma_f64 v[202:203], v[204:205], v[210:211], v[202:203]
	v_mov_b32_e32 v174, v210
	v_mov_b32_e32 v175, v211
	v_add_f64 v[4:5], v[4:5], -v[202:203]
.LBB98_230:
	s_or_b32 exec_lo, exec_lo, s0
	v_lshl_add_u32 v202, v216, 4, v1
	s_barrier
	buffer_gl0_inv
	v_mov_b32_e32 v210, 11
	ds_write2_b64 v202, v[170:171], v[172:173] offset1:1
	s_waitcnt lgkmcnt(0)
	s_barrier
	buffer_gl0_inv
	ds_read2_b64 v[202:205], v1 offset0:22 offset1:23
	s_cmp_lt_i32 s1, 13
	s_cbranch_scc1 .LBB98_233
; %bb.231:
	v_add3_u32 v211, v212, 0, 0xc0
	v_mov_b32_e32 v210, 11
	s_mov_b32 s7, 12
	s_inst_prefetch 0x1
	.p2align	6
.LBB98_232:                             ; =>This Inner Loop Header: Depth=1
	s_waitcnt lgkmcnt(0)
	v_cmp_gt_f64_e32 vcc_lo, 0, v[204:205]
	v_cmp_gt_f64_e64 s0, 0, v[202:203]
	ds_read2_b64 v[217:220], v211 offset1:1
	v_xor_b32_e32 v222, 0x80000000, v203
	v_xor_b32_e32 v224, 0x80000000, v205
	v_mov_b32_e32 v221, v202
	v_mov_b32_e32 v223, v204
	v_add_nc_u32_e32 v211, 16, v211
	s_waitcnt lgkmcnt(0)
	v_xor_b32_e32 v226, 0x80000000, v220
	v_cndmask_b32_e64 v222, v203, v222, s0
	v_cndmask_b32_e32 v224, v205, v224, vcc_lo
	v_cmp_gt_f64_e32 vcc_lo, 0, v[219:220]
	v_cmp_gt_f64_e64 s0, 0, v[217:218]
	v_mov_b32_e32 v225, v219
	v_add_f64 v[221:222], v[221:222], v[223:224]
	v_xor_b32_e32 v224, 0x80000000, v218
	v_mov_b32_e32 v223, v217
	v_cndmask_b32_e32 v226, v220, v226, vcc_lo
	v_cndmask_b32_e64 v224, v218, v224, s0
	v_add_f64 v[223:224], v[223:224], v[225:226]
	v_cmp_lt_f64_e32 vcc_lo, v[221:222], v[223:224]
	v_cndmask_b32_e32 v203, v203, v218, vcc_lo
	v_cndmask_b32_e32 v202, v202, v217, vcc_lo
	;; [unrolled: 1-line block ×4, first 2 shown]
	v_cndmask_b32_e64 v210, v210, s7, vcc_lo
	s_add_i32 s7, s7, 1
	s_cmp_lg_u32 s1, s7
	s_cbranch_scc1 .LBB98_232
.LBB98_233:
	s_inst_prefetch 0x2
	s_waitcnt lgkmcnt(0)
	v_cmp_eq_f64_e32 vcc_lo, 0, v[202:203]
	v_cmp_eq_f64_e64 s0, 0, v[204:205]
	s_and_b32 s0, vcc_lo, s0
	s_and_saveexec_b32 s7, s0
	s_xor_b32 s0, exec_lo, s7
; %bb.234:
	v_cmp_ne_u32_e32 vcc_lo, 0, v215
	v_cndmask_b32_e32 v215, 12, v215, vcc_lo
; %bb.235:
	s_andn2_saveexec_b32 s0, s0
	s_cbranch_execz .LBB98_241
; %bb.236:
	v_cmp_ngt_f64_e64 s7, |v[202:203]|, |v[204:205]|
	s_and_saveexec_b32 s8, s7
	s_xor_b32 s7, exec_lo, s8
	s_cbranch_execz .LBB98_238
; %bb.237:
	v_div_scale_f64 v[217:218], null, v[204:205], v[204:205], v[202:203]
	v_div_scale_f64 v[223:224], vcc_lo, v[202:203], v[204:205], v[202:203]
	v_rcp_f64_e32 v[219:220], v[217:218]
	v_fma_f64 v[221:222], -v[217:218], v[219:220], 1.0
	v_fma_f64 v[219:220], v[219:220], v[221:222], v[219:220]
	v_fma_f64 v[221:222], -v[217:218], v[219:220], 1.0
	v_fma_f64 v[219:220], v[219:220], v[221:222], v[219:220]
	v_mul_f64 v[221:222], v[223:224], v[219:220]
	v_fma_f64 v[217:218], -v[217:218], v[221:222], v[223:224]
	v_div_fmas_f64 v[217:218], v[217:218], v[219:220], v[221:222]
	v_div_fixup_f64 v[217:218], v[217:218], v[204:205], v[202:203]
	v_fma_f64 v[202:203], v[202:203], v[217:218], v[204:205]
	v_div_scale_f64 v[204:205], null, v[202:203], v[202:203], 1.0
	v_rcp_f64_e32 v[219:220], v[204:205]
	v_fma_f64 v[221:222], -v[204:205], v[219:220], 1.0
	v_fma_f64 v[219:220], v[219:220], v[221:222], v[219:220]
	v_fma_f64 v[221:222], -v[204:205], v[219:220], 1.0
	v_fma_f64 v[219:220], v[219:220], v[221:222], v[219:220]
	v_div_scale_f64 v[221:222], vcc_lo, 1.0, v[202:203], 1.0
	v_mul_f64 v[223:224], v[221:222], v[219:220]
	v_fma_f64 v[204:205], -v[204:205], v[223:224], v[221:222]
	v_div_fmas_f64 v[204:205], v[204:205], v[219:220], v[223:224]
	v_div_fixup_f64 v[204:205], v[204:205], v[202:203], 1.0
	v_mul_f64 v[202:203], v[217:218], v[204:205]
	v_xor_b32_e32 v205, 0x80000000, v205
.LBB98_238:
	s_andn2_saveexec_b32 s7, s7
	s_cbranch_execz .LBB98_240
; %bb.239:
	v_div_scale_f64 v[217:218], null, v[202:203], v[202:203], v[204:205]
	v_div_scale_f64 v[223:224], vcc_lo, v[204:205], v[202:203], v[204:205]
	v_rcp_f64_e32 v[219:220], v[217:218]
	v_fma_f64 v[221:222], -v[217:218], v[219:220], 1.0
	v_fma_f64 v[219:220], v[219:220], v[221:222], v[219:220]
	v_fma_f64 v[221:222], -v[217:218], v[219:220], 1.0
	v_fma_f64 v[219:220], v[219:220], v[221:222], v[219:220]
	v_mul_f64 v[221:222], v[223:224], v[219:220]
	v_fma_f64 v[217:218], -v[217:218], v[221:222], v[223:224]
	v_div_fmas_f64 v[217:218], v[217:218], v[219:220], v[221:222]
	v_div_fixup_f64 v[217:218], v[217:218], v[202:203], v[204:205]
	v_fma_f64 v[202:203], v[204:205], v[217:218], v[202:203]
	v_div_scale_f64 v[204:205], null, v[202:203], v[202:203], 1.0
	v_rcp_f64_e32 v[219:220], v[204:205]
	v_fma_f64 v[221:222], -v[204:205], v[219:220], 1.0
	v_fma_f64 v[219:220], v[219:220], v[221:222], v[219:220]
	v_fma_f64 v[221:222], -v[204:205], v[219:220], 1.0
	v_fma_f64 v[219:220], v[219:220], v[221:222], v[219:220]
	v_div_scale_f64 v[221:222], vcc_lo, 1.0, v[202:203], 1.0
	v_mul_f64 v[223:224], v[221:222], v[219:220]
	v_fma_f64 v[204:205], -v[204:205], v[223:224], v[221:222]
	v_div_fmas_f64 v[204:205], v[204:205], v[219:220], v[223:224]
	v_div_fixup_f64 v[202:203], v[204:205], v[202:203], 1.0
	v_mul_f64 v[204:205], v[217:218], -v[202:203]
.LBB98_240:
	s_or_b32 exec_lo, exec_lo, s7
.LBB98_241:
	s_or_b32 exec_lo, exec_lo, s0
	s_mov_b32 s0, exec_lo
	v_cmpx_ne_u32_e64 v216, v210
	s_xor_b32 s0, exec_lo, s0
	s_cbranch_execz .LBB98_247
; %bb.242:
	s_mov_b32 s7, exec_lo
	v_cmpx_eq_u32_e32 11, v216
	s_cbranch_execz .LBB98_246
; %bb.243:
	v_cmp_ne_u32_e32 vcc_lo, 11, v210
	s_xor_b32 s8, s16, -1
	s_and_b32 s9, s8, vcc_lo
	s_and_saveexec_b32 s8, s9
	s_cbranch_execz .LBB98_245
; %bb.244:
	v_ashrrev_i32_e32 v211, 31, v210
	v_lshlrev_b64 v[216:217], 2, v[210:211]
	v_add_co_u32 v216, vcc_lo, v208, v216
	v_add_co_ci_u32_e64 v217, null, v209, v217, vcc_lo
	s_clause 0x1
	global_load_dword v0, v[216:217], off
	global_load_dword v211, v[208:209], off offset:44
	s_waitcnt vmcnt(1)
	global_store_dword v[208:209], v0, off offset:44
	s_waitcnt vmcnt(0)
	global_store_dword v[216:217], v211, off
.LBB98_245:
	s_or_b32 exec_lo, exec_lo, s8
	v_mov_b32_e32 v216, v210
	v_mov_b32_e32 v0, v210
.LBB98_246:
	s_or_b32 exec_lo, exec_lo, s7
.LBB98_247:
	s_andn2_saveexec_b32 s0, s0
	s_cbranch_execz .LBB98_249
; %bb.248:
	v_mov_b32_e32 v216, 11
	ds_write2_b64 v1, v[166:167], v[168:169] offset0:24 offset1:25
	ds_write2_b64 v1, v[154:155], v[156:157] offset0:26 offset1:27
	;; [unrolled: 1-line block ×38, first 2 shown]
.LBB98_249:
	s_or_b32 exec_lo, exec_lo, s0
	s_mov_b32 s0, exec_lo
	s_waitcnt lgkmcnt(0)
	s_waitcnt_vscnt null, 0x0
	s_barrier
	buffer_gl0_inv
	v_cmpx_lt_i32_e32 11, v216
	s_cbranch_execz .LBB98_251
; %bb.250:
	v_mul_f64 v[210:211], v[204:205], v[172:173]
	v_mul_f64 v[172:173], v[202:203], v[172:173]
	v_fma_f64 v[210:211], v[202:203], v[170:171], -v[210:211]
	v_fma_f64 v[172:173], v[204:205], v[170:171], v[172:173]
	ds_read2_b64 v[202:205], v1 offset0:24 offset1:25
	s_waitcnt lgkmcnt(0)
	v_mul_f64 v[170:171], v[204:205], v[172:173]
	v_fma_f64 v[170:171], v[202:203], v[210:211], -v[170:171]
	v_mul_f64 v[202:203], v[202:203], v[172:173]
	v_add_f64 v[166:167], v[166:167], -v[170:171]
	v_fma_f64 v[202:203], v[204:205], v[210:211], v[202:203]
	v_add_f64 v[168:169], v[168:169], -v[202:203]
	ds_read2_b64 v[202:205], v1 offset0:26 offset1:27
	s_waitcnt lgkmcnt(0)
	v_mul_f64 v[170:171], v[204:205], v[172:173]
	v_fma_f64 v[170:171], v[202:203], v[210:211], -v[170:171]
	v_mul_f64 v[202:203], v[202:203], v[172:173]
	v_add_f64 v[154:155], v[154:155], -v[170:171]
	v_fma_f64 v[202:203], v[204:205], v[210:211], v[202:203]
	v_add_f64 v[156:157], v[156:157], -v[202:203]
	ds_read2_b64 v[202:205], v1 offset0:28 offset1:29
	s_waitcnt lgkmcnt(0)
	v_mul_f64 v[170:171], v[204:205], v[172:173]
	v_fma_f64 v[170:171], v[202:203], v[210:211], -v[170:171]
	v_mul_f64 v[202:203], v[202:203], v[172:173]
	v_add_f64 v[150:151], v[150:151], -v[170:171]
	v_fma_f64 v[202:203], v[204:205], v[210:211], v[202:203]
	v_add_f64 v[152:153], v[152:153], -v[202:203]
	ds_read2_b64 v[202:205], v1 offset0:30 offset1:31
	s_waitcnt lgkmcnt(0)
	v_mul_f64 v[170:171], v[204:205], v[172:173]
	v_fma_f64 v[170:171], v[202:203], v[210:211], -v[170:171]
	v_mul_f64 v[202:203], v[202:203], v[172:173]
	v_add_f64 v[142:143], v[142:143], -v[170:171]
	v_fma_f64 v[202:203], v[204:205], v[210:211], v[202:203]
	v_add_f64 v[144:145], v[144:145], -v[202:203]
	ds_read2_b64 v[202:205], v1 offset0:32 offset1:33
	s_waitcnt lgkmcnt(0)
	v_mul_f64 v[170:171], v[204:205], v[172:173]
	v_fma_f64 v[170:171], v[202:203], v[210:211], -v[170:171]
	v_mul_f64 v[202:203], v[202:203], v[172:173]
	v_add_f64 v[138:139], v[138:139], -v[170:171]
	v_fma_f64 v[202:203], v[204:205], v[210:211], v[202:203]
	v_add_f64 v[140:141], v[140:141], -v[202:203]
	ds_read2_b64 v[202:205], v1 offset0:34 offset1:35
	s_waitcnt lgkmcnt(0)
	v_mul_f64 v[170:171], v[204:205], v[172:173]
	v_fma_f64 v[170:171], v[202:203], v[210:211], -v[170:171]
	v_mul_f64 v[202:203], v[202:203], v[172:173]
	v_add_f64 v[134:135], v[134:135], -v[170:171]
	v_fma_f64 v[202:203], v[204:205], v[210:211], v[202:203]
	v_add_f64 v[136:137], v[136:137], -v[202:203]
	ds_read2_b64 v[202:205], v1 offset0:36 offset1:37
	s_waitcnt lgkmcnt(0)
	v_mul_f64 v[170:171], v[204:205], v[172:173]
	v_fma_f64 v[170:171], v[202:203], v[210:211], -v[170:171]
	v_mul_f64 v[202:203], v[202:203], v[172:173]
	v_add_f64 v[126:127], v[126:127], -v[170:171]
	v_fma_f64 v[202:203], v[204:205], v[210:211], v[202:203]
	v_add_f64 v[128:129], v[128:129], -v[202:203]
	ds_read2_b64 v[202:205], v1 offset0:38 offset1:39
	s_waitcnt lgkmcnt(0)
	v_mul_f64 v[170:171], v[204:205], v[172:173]
	v_fma_f64 v[170:171], v[202:203], v[210:211], -v[170:171]
	v_mul_f64 v[202:203], v[202:203], v[172:173]
	v_add_f64 v[122:123], v[122:123], -v[170:171]
	v_fma_f64 v[202:203], v[204:205], v[210:211], v[202:203]
	v_add_f64 v[124:125], v[124:125], -v[202:203]
	ds_read2_b64 v[202:205], v1 offset0:40 offset1:41
	s_waitcnt lgkmcnt(0)
	v_mul_f64 v[170:171], v[204:205], v[172:173]
	v_fma_f64 v[170:171], v[202:203], v[210:211], -v[170:171]
	v_mul_f64 v[202:203], v[202:203], v[172:173]
	v_add_f64 v[118:119], v[118:119], -v[170:171]
	v_fma_f64 v[202:203], v[204:205], v[210:211], v[202:203]
	v_add_f64 v[120:121], v[120:121], -v[202:203]
	ds_read2_b64 v[202:205], v1 offset0:42 offset1:43
	s_waitcnt lgkmcnt(0)
	v_mul_f64 v[170:171], v[204:205], v[172:173]
	v_fma_f64 v[170:171], v[202:203], v[210:211], -v[170:171]
	v_mul_f64 v[202:203], v[202:203], v[172:173]
	v_add_f64 v[114:115], v[114:115], -v[170:171]
	v_fma_f64 v[202:203], v[204:205], v[210:211], v[202:203]
	v_add_f64 v[116:117], v[116:117], -v[202:203]
	ds_read2_b64 v[202:205], v1 offset0:44 offset1:45
	s_waitcnt lgkmcnt(0)
	v_mul_f64 v[170:171], v[204:205], v[172:173]
	v_fma_f64 v[170:171], v[202:203], v[210:211], -v[170:171]
	v_mul_f64 v[202:203], v[202:203], v[172:173]
	v_add_f64 v[110:111], v[110:111], -v[170:171]
	v_fma_f64 v[202:203], v[204:205], v[210:211], v[202:203]
	v_add_f64 v[112:113], v[112:113], -v[202:203]
	ds_read2_b64 v[202:205], v1 offset0:46 offset1:47
	s_waitcnt lgkmcnt(0)
	v_mul_f64 v[170:171], v[204:205], v[172:173]
	v_fma_f64 v[170:171], v[202:203], v[210:211], -v[170:171]
	v_mul_f64 v[202:203], v[202:203], v[172:173]
	v_add_f64 v[106:107], v[106:107], -v[170:171]
	v_fma_f64 v[202:203], v[204:205], v[210:211], v[202:203]
	v_add_f64 v[108:109], v[108:109], -v[202:203]
	ds_read2_b64 v[202:205], v1 offset0:48 offset1:49
	s_waitcnt lgkmcnt(0)
	v_mul_f64 v[170:171], v[204:205], v[172:173]
	v_fma_f64 v[170:171], v[202:203], v[210:211], -v[170:171]
	v_mul_f64 v[202:203], v[202:203], v[172:173]
	v_add_f64 v[102:103], v[102:103], -v[170:171]
	v_fma_f64 v[202:203], v[204:205], v[210:211], v[202:203]
	v_add_f64 v[104:105], v[104:105], -v[202:203]
	ds_read2_b64 v[202:205], v1 offset0:50 offset1:51
	s_waitcnt lgkmcnt(0)
	v_mul_f64 v[170:171], v[204:205], v[172:173]
	v_fma_f64 v[170:171], v[202:203], v[210:211], -v[170:171]
	v_mul_f64 v[202:203], v[202:203], v[172:173]
	v_add_f64 v[98:99], v[98:99], -v[170:171]
	v_fma_f64 v[202:203], v[204:205], v[210:211], v[202:203]
	v_add_f64 v[100:101], v[100:101], -v[202:203]
	ds_read2_b64 v[202:205], v1 offset0:52 offset1:53
	s_waitcnt lgkmcnt(0)
	v_mul_f64 v[170:171], v[204:205], v[172:173]
	v_fma_f64 v[170:171], v[202:203], v[210:211], -v[170:171]
	v_mul_f64 v[202:203], v[202:203], v[172:173]
	v_add_f64 v[94:95], v[94:95], -v[170:171]
	v_fma_f64 v[202:203], v[204:205], v[210:211], v[202:203]
	v_add_f64 v[96:97], v[96:97], -v[202:203]
	ds_read2_b64 v[202:205], v1 offset0:54 offset1:55
	s_waitcnt lgkmcnt(0)
	v_mul_f64 v[170:171], v[204:205], v[172:173]
	v_fma_f64 v[170:171], v[202:203], v[210:211], -v[170:171]
	v_mul_f64 v[202:203], v[202:203], v[172:173]
	v_add_f64 v[90:91], v[90:91], -v[170:171]
	v_fma_f64 v[202:203], v[204:205], v[210:211], v[202:203]
	v_add_f64 v[92:93], v[92:93], -v[202:203]
	ds_read2_b64 v[202:205], v1 offset0:56 offset1:57
	s_waitcnt lgkmcnt(0)
	v_mul_f64 v[170:171], v[204:205], v[172:173]
	v_fma_f64 v[170:171], v[202:203], v[210:211], -v[170:171]
	v_mul_f64 v[202:203], v[202:203], v[172:173]
	v_add_f64 v[86:87], v[86:87], -v[170:171]
	v_fma_f64 v[202:203], v[204:205], v[210:211], v[202:203]
	v_add_f64 v[88:89], v[88:89], -v[202:203]
	ds_read2_b64 v[202:205], v1 offset0:58 offset1:59
	s_waitcnt lgkmcnt(0)
	v_mul_f64 v[170:171], v[204:205], v[172:173]
	v_fma_f64 v[170:171], v[202:203], v[210:211], -v[170:171]
	v_mul_f64 v[202:203], v[202:203], v[172:173]
	v_add_f64 v[82:83], v[82:83], -v[170:171]
	v_fma_f64 v[202:203], v[204:205], v[210:211], v[202:203]
	v_add_f64 v[84:85], v[84:85], -v[202:203]
	ds_read2_b64 v[202:205], v1 offset0:60 offset1:61
	s_waitcnt lgkmcnt(0)
	v_mul_f64 v[170:171], v[204:205], v[172:173]
	v_fma_f64 v[170:171], v[202:203], v[210:211], -v[170:171]
	v_mul_f64 v[202:203], v[202:203], v[172:173]
	v_add_f64 v[78:79], v[78:79], -v[170:171]
	v_fma_f64 v[202:203], v[204:205], v[210:211], v[202:203]
	v_add_f64 v[80:81], v[80:81], -v[202:203]
	ds_read2_b64 v[202:205], v1 offset0:62 offset1:63
	s_waitcnt lgkmcnt(0)
	v_mul_f64 v[170:171], v[204:205], v[172:173]
	v_fma_f64 v[170:171], v[202:203], v[210:211], -v[170:171]
	v_mul_f64 v[202:203], v[202:203], v[172:173]
	v_add_f64 v[74:75], v[74:75], -v[170:171]
	v_fma_f64 v[202:203], v[204:205], v[210:211], v[202:203]
	v_add_f64 v[76:77], v[76:77], -v[202:203]
	ds_read2_b64 v[202:205], v1 offset0:64 offset1:65
	s_waitcnt lgkmcnt(0)
	v_mul_f64 v[170:171], v[204:205], v[172:173]
	v_fma_f64 v[170:171], v[202:203], v[210:211], -v[170:171]
	v_mul_f64 v[202:203], v[202:203], v[172:173]
	v_add_f64 v[70:71], v[70:71], -v[170:171]
	v_fma_f64 v[202:203], v[204:205], v[210:211], v[202:203]
	v_add_f64 v[72:73], v[72:73], -v[202:203]
	ds_read2_b64 v[202:205], v1 offset0:66 offset1:67
	s_waitcnt lgkmcnt(0)
	v_mul_f64 v[170:171], v[204:205], v[172:173]
	v_fma_f64 v[170:171], v[202:203], v[210:211], -v[170:171]
	v_mul_f64 v[202:203], v[202:203], v[172:173]
	v_add_f64 v[66:67], v[66:67], -v[170:171]
	v_fma_f64 v[202:203], v[204:205], v[210:211], v[202:203]
	v_add_f64 v[68:69], v[68:69], -v[202:203]
	ds_read2_b64 v[202:205], v1 offset0:68 offset1:69
	s_waitcnt lgkmcnt(0)
	v_mul_f64 v[170:171], v[204:205], v[172:173]
	v_fma_f64 v[170:171], v[202:203], v[210:211], -v[170:171]
	v_mul_f64 v[202:203], v[202:203], v[172:173]
	v_add_f64 v[62:63], v[62:63], -v[170:171]
	v_fma_f64 v[202:203], v[204:205], v[210:211], v[202:203]
	v_add_f64 v[64:65], v[64:65], -v[202:203]
	ds_read2_b64 v[202:205], v1 offset0:70 offset1:71
	s_waitcnt lgkmcnt(0)
	v_mul_f64 v[170:171], v[204:205], v[172:173]
	v_fma_f64 v[170:171], v[202:203], v[210:211], -v[170:171]
	v_mul_f64 v[202:203], v[202:203], v[172:173]
	v_add_f64 v[58:59], v[58:59], -v[170:171]
	v_fma_f64 v[202:203], v[204:205], v[210:211], v[202:203]
	v_add_f64 v[60:61], v[60:61], -v[202:203]
	ds_read2_b64 v[202:205], v1 offset0:72 offset1:73
	s_waitcnt lgkmcnt(0)
	v_mul_f64 v[170:171], v[204:205], v[172:173]
	v_fma_f64 v[170:171], v[202:203], v[210:211], -v[170:171]
	v_mul_f64 v[202:203], v[202:203], v[172:173]
	v_add_f64 v[54:55], v[54:55], -v[170:171]
	v_fma_f64 v[202:203], v[204:205], v[210:211], v[202:203]
	v_add_f64 v[56:57], v[56:57], -v[202:203]
	ds_read2_b64 v[202:205], v1 offset0:74 offset1:75
	s_waitcnt lgkmcnt(0)
	v_mul_f64 v[170:171], v[204:205], v[172:173]
	v_fma_f64 v[170:171], v[202:203], v[210:211], -v[170:171]
	v_mul_f64 v[202:203], v[202:203], v[172:173]
	v_add_f64 v[50:51], v[50:51], -v[170:171]
	v_fma_f64 v[202:203], v[204:205], v[210:211], v[202:203]
	v_add_f64 v[52:53], v[52:53], -v[202:203]
	ds_read2_b64 v[202:205], v1 offset0:76 offset1:77
	s_waitcnt lgkmcnt(0)
	v_mul_f64 v[170:171], v[204:205], v[172:173]
	v_fma_f64 v[170:171], v[202:203], v[210:211], -v[170:171]
	v_mul_f64 v[202:203], v[202:203], v[172:173]
	v_add_f64 v[46:47], v[46:47], -v[170:171]
	v_fma_f64 v[202:203], v[204:205], v[210:211], v[202:203]
	v_add_f64 v[48:49], v[48:49], -v[202:203]
	ds_read2_b64 v[202:205], v1 offset0:78 offset1:79
	s_waitcnt lgkmcnt(0)
	v_mul_f64 v[170:171], v[204:205], v[172:173]
	v_fma_f64 v[170:171], v[202:203], v[210:211], -v[170:171]
	v_mul_f64 v[202:203], v[202:203], v[172:173]
	v_add_f64 v[42:43], v[42:43], -v[170:171]
	v_fma_f64 v[202:203], v[204:205], v[210:211], v[202:203]
	v_add_f64 v[44:45], v[44:45], -v[202:203]
	ds_read2_b64 v[202:205], v1 offset0:80 offset1:81
	s_waitcnt lgkmcnt(0)
	v_mul_f64 v[170:171], v[204:205], v[172:173]
	v_fma_f64 v[170:171], v[202:203], v[210:211], -v[170:171]
	v_mul_f64 v[202:203], v[202:203], v[172:173]
	v_add_f64 v[38:39], v[38:39], -v[170:171]
	v_fma_f64 v[202:203], v[204:205], v[210:211], v[202:203]
	v_add_f64 v[40:41], v[40:41], -v[202:203]
	ds_read2_b64 v[202:205], v1 offset0:82 offset1:83
	s_waitcnt lgkmcnt(0)
	v_mul_f64 v[170:171], v[204:205], v[172:173]
	v_fma_f64 v[170:171], v[202:203], v[210:211], -v[170:171]
	v_mul_f64 v[202:203], v[202:203], v[172:173]
	v_add_f64 v[34:35], v[34:35], -v[170:171]
	v_fma_f64 v[202:203], v[204:205], v[210:211], v[202:203]
	v_add_f64 v[36:37], v[36:37], -v[202:203]
	ds_read2_b64 v[202:205], v1 offset0:84 offset1:85
	s_waitcnt lgkmcnt(0)
	v_mul_f64 v[170:171], v[204:205], v[172:173]
	v_fma_f64 v[170:171], v[202:203], v[210:211], -v[170:171]
	v_mul_f64 v[202:203], v[202:203], v[172:173]
	v_add_f64 v[30:31], v[30:31], -v[170:171]
	v_fma_f64 v[202:203], v[204:205], v[210:211], v[202:203]
	v_add_f64 v[32:33], v[32:33], -v[202:203]
	ds_read2_b64 v[202:205], v1 offset0:86 offset1:87
	s_waitcnt lgkmcnt(0)
	v_mul_f64 v[170:171], v[204:205], v[172:173]
	v_fma_f64 v[170:171], v[202:203], v[210:211], -v[170:171]
	v_mul_f64 v[202:203], v[202:203], v[172:173]
	v_add_f64 v[26:27], v[26:27], -v[170:171]
	v_fma_f64 v[202:203], v[204:205], v[210:211], v[202:203]
	v_add_f64 v[28:29], v[28:29], -v[202:203]
	ds_read2_b64 v[202:205], v1 offset0:88 offset1:89
	s_waitcnt lgkmcnt(0)
	v_mul_f64 v[170:171], v[204:205], v[172:173]
	v_fma_f64 v[170:171], v[202:203], v[210:211], -v[170:171]
	v_mul_f64 v[202:203], v[202:203], v[172:173]
	v_add_f64 v[22:23], v[22:23], -v[170:171]
	v_fma_f64 v[202:203], v[204:205], v[210:211], v[202:203]
	v_add_f64 v[24:25], v[24:25], -v[202:203]
	ds_read2_b64 v[202:205], v1 offset0:90 offset1:91
	s_waitcnt lgkmcnt(0)
	v_mul_f64 v[170:171], v[204:205], v[172:173]
	v_fma_f64 v[170:171], v[202:203], v[210:211], -v[170:171]
	v_mul_f64 v[202:203], v[202:203], v[172:173]
	v_add_f64 v[18:19], v[18:19], -v[170:171]
	v_fma_f64 v[202:203], v[204:205], v[210:211], v[202:203]
	v_add_f64 v[20:21], v[20:21], -v[202:203]
	ds_read2_b64 v[202:205], v1 offset0:92 offset1:93
	s_waitcnt lgkmcnt(0)
	v_mul_f64 v[170:171], v[204:205], v[172:173]
	v_fma_f64 v[170:171], v[202:203], v[210:211], -v[170:171]
	v_mul_f64 v[202:203], v[202:203], v[172:173]
	v_add_f64 v[14:15], v[14:15], -v[170:171]
	v_fma_f64 v[202:203], v[204:205], v[210:211], v[202:203]
	v_add_f64 v[16:17], v[16:17], -v[202:203]
	ds_read2_b64 v[202:205], v1 offset0:94 offset1:95
	s_waitcnt lgkmcnt(0)
	v_mul_f64 v[170:171], v[204:205], v[172:173]
	v_fma_f64 v[170:171], v[202:203], v[210:211], -v[170:171]
	v_mul_f64 v[202:203], v[202:203], v[172:173]
	v_add_f64 v[10:11], v[10:11], -v[170:171]
	v_fma_f64 v[202:203], v[204:205], v[210:211], v[202:203]
	v_add_f64 v[12:13], v[12:13], -v[202:203]
	ds_read2_b64 v[202:205], v1 offset0:96 offset1:97
	s_waitcnt lgkmcnt(0)
	v_mul_f64 v[170:171], v[204:205], v[172:173]
	v_fma_f64 v[170:171], v[202:203], v[210:211], -v[170:171]
	v_mul_f64 v[202:203], v[202:203], v[172:173]
	v_add_f64 v[6:7], v[6:7], -v[170:171]
	v_fma_f64 v[202:203], v[204:205], v[210:211], v[202:203]
	v_add_f64 v[8:9], v[8:9], -v[202:203]
	ds_read2_b64 v[202:205], v1 offset0:98 offset1:99
	s_waitcnt lgkmcnt(0)
	v_mul_f64 v[170:171], v[204:205], v[172:173]
	v_fma_f64 v[170:171], v[202:203], v[210:211], -v[170:171]
	v_mul_f64 v[202:203], v[202:203], v[172:173]
	v_add_f64 v[2:3], v[2:3], -v[170:171]
	v_fma_f64 v[202:203], v[204:205], v[210:211], v[202:203]
	v_mov_b32_e32 v170, v210
	v_mov_b32_e32 v171, v211
	v_add_f64 v[4:5], v[4:5], -v[202:203]
.LBB98_251:
	s_or_b32 exec_lo, exec_lo, s0
	v_lshl_add_u32 v202, v216, 4, v1
	s_barrier
	buffer_gl0_inv
	v_mov_b32_e32 v210, 12
	ds_write2_b64 v202, v[166:167], v[168:169] offset1:1
	s_waitcnt lgkmcnt(0)
	s_barrier
	buffer_gl0_inv
	ds_read2_b64 v[202:205], v1 offset0:24 offset1:25
	s_cmp_lt_i32 s1, 14
	s_cbranch_scc1 .LBB98_254
; %bb.252:
	v_add3_u32 v211, v212, 0, 0xd0
	v_mov_b32_e32 v210, 12
	s_mov_b32 s7, 13
	s_inst_prefetch 0x1
	.p2align	6
.LBB98_253:                             ; =>This Inner Loop Header: Depth=1
	s_waitcnt lgkmcnt(0)
	v_cmp_gt_f64_e32 vcc_lo, 0, v[204:205]
	v_cmp_gt_f64_e64 s0, 0, v[202:203]
	ds_read2_b64 v[217:220], v211 offset1:1
	v_xor_b32_e32 v222, 0x80000000, v203
	v_xor_b32_e32 v224, 0x80000000, v205
	v_mov_b32_e32 v221, v202
	v_mov_b32_e32 v223, v204
	v_add_nc_u32_e32 v211, 16, v211
	s_waitcnt lgkmcnt(0)
	v_xor_b32_e32 v226, 0x80000000, v220
	v_cndmask_b32_e64 v222, v203, v222, s0
	v_cndmask_b32_e32 v224, v205, v224, vcc_lo
	v_cmp_gt_f64_e32 vcc_lo, 0, v[219:220]
	v_cmp_gt_f64_e64 s0, 0, v[217:218]
	v_mov_b32_e32 v225, v219
	v_add_f64 v[221:222], v[221:222], v[223:224]
	v_xor_b32_e32 v224, 0x80000000, v218
	v_mov_b32_e32 v223, v217
	v_cndmask_b32_e32 v226, v220, v226, vcc_lo
	v_cndmask_b32_e64 v224, v218, v224, s0
	v_add_f64 v[223:224], v[223:224], v[225:226]
	v_cmp_lt_f64_e32 vcc_lo, v[221:222], v[223:224]
	v_cndmask_b32_e32 v203, v203, v218, vcc_lo
	v_cndmask_b32_e32 v202, v202, v217, vcc_lo
	;; [unrolled: 1-line block ×4, first 2 shown]
	v_cndmask_b32_e64 v210, v210, s7, vcc_lo
	s_add_i32 s7, s7, 1
	s_cmp_lg_u32 s1, s7
	s_cbranch_scc1 .LBB98_253
.LBB98_254:
	s_inst_prefetch 0x2
	s_waitcnt lgkmcnt(0)
	v_cmp_eq_f64_e32 vcc_lo, 0, v[202:203]
	v_cmp_eq_f64_e64 s0, 0, v[204:205]
	s_and_b32 s0, vcc_lo, s0
	s_and_saveexec_b32 s7, s0
	s_xor_b32 s0, exec_lo, s7
; %bb.255:
	v_cmp_ne_u32_e32 vcc_lo, 0, v215
	v_cndmask_b32_e32 v215, 13, v215, vcc_lo
; %bb.256:
	s_andn2_saveexec_b32 s0, s0
	s_cbranch_execz .LBB98_262
; %bb.257:
	v_cmp_ngt_f64_e64 s7, |v[202:203]|, |v[204:205]|
	s_and_saveexec_b32 s8, s7
	s_xor_b32 s7, exec_lo, s8
	s_cbranch_execz .LBB98_259
; %bb.258:
	v_div_scale_f64 v[217:218], null, v[204:205], v[204:205], v[202:203]
	v_div_scale_f64 v[223:224], vcc_lo, v[202:203], v[204:205], v[202:203]
	v_rcp_f64_e32 v[219:220], v[217:218]
	v_fma_f64 v[221:222], -v[217:218], v[219:220], 1.0
	v_fma_f64 v[219:220], v[219:220], v[221:222], v[219:220]
	v_fma_f64 v[221:222], -v[217:218], v[219:220], 1.0
	v_fma_f64 v[219:220], v[219:220], v[221:222], v[219:220]
	v_mul_f64 v[221:222], v[223:224], v[219:220]
	v_fma_f64 v[217:218], -v[217:218], v[221:222], v[223:224]
	v_div_fmas_f64 v[217:218], v[217:218], v[219:220], v[221:222]
	v_div_fixup_f64 v[217:218], v[217:218], v[204:205], v[202:203]
	v_fma_f64 v[202:203], v[202:203], v[217:218], v[204:205]
	v_div_scale_f64 v[204:205], null, v[202:203], v[202:203], 1.0
	v_rcp_f64_e32 v[219:220], v[204:205]
	v_fma_f64 v[221:222], -v[204:205], v[219:220], 1.0
	v_fma_f64 v[219:220], v[219:220], v[221:222], v[219:220]
	v_fma_f64 v[221:222], -v[204:205], v[219:220], 1.0
	v_fma_f64 v[219:220], v[219:220], v[221:222], v[219:220]
	v_div_scale_f64 v[221:222], vcc_lo, 1.0, v[202:203], 1.0
	v_mul_f64 v[223:224], v[221:222], v[219:220]
	v_fma_f64 v[204:205], -v[204:205], v[223:224], v[221:222]
	v_div_fmas_f64 v[204:205], v[204:205], v[219:220], v[223:224]
	v_div_fixup_f64 v[204:205], v[204:205], v[202:203], 1.0
	v_mul_f64 v[202:203], v[217:218], v[204:205]
	v_xor_b32_e32 v205, 0x80000000, v205
.LBB98_259:
	s_andn2_saveexec_b32 s7, s7
	s_cbranch_execz .LBB98_261
; %bb.260:
	v_div_scale_f64 v[217:218], null, v[202:203], v[202:203], v[204:205]
	v_div_scale_f64 v[223:224], vcc_lo, v[204:205], v[202:203], v[204:205]
	v_rcp_f64_e32 v[219:220], v[217:218]
	v_fma_f64 v[221:222], -v[217:218], v[219:220], 1.0
	v_fma_f64 v[219:220], v[219:220], v[221:222], v[219:220]
	v_fma_f64 v[221:222], -v[217:218], v[219:220], 1.0
	v_fma_f64 v[219:220], v[219:220], v[221:222], v[219:220]
	v_mul_f64 v[221:222], v[223:224], v[219:220]
	v_fma_f64 v[217:218], -v[217:218], v[221:222], v[223:224]
	v_div_fmas_f64 v[217:218], v[217:218], v[219:220], v[221:222]
	v_div_fixup_f64 v[217:218], v[217:218], v[202:203], v[204:205]
	v_fma_f64 v[202:203], v[204:205], v[217:218], v[202:203]
	v_div_scale_f64 v[204:205], null, v[202:203], v[202:203], 1.0
	v_rcp_f64_e32 v[219:220], v[204:205]
	v_fma_f64 v[221:222], -v[204:205], v[219:220], 1.0
	v_fma_f64 v[219:220], v[219:220], v[221:222], v[219:220]
	v_fma_f64 v[221:222], -v[204:205], v[219:220], 1.0
	v_fma_f64 v[219:220], v[219:220], v[221:222], v[219:220]
	v_div_scale_f64 v[221:222], vcc_lo, 1.0, v[202:203], 1.0
	v_mul_f64 v[223:224], v[221:222], v[219:220]
	v_fma_f64 v[204:205], -v[204:205], v[223:224], v[221:222]
	v_div_fmas_f64 v[204:205], v[204:205], v[219:220], v[223:224]
	v_div_fixup_f64 v[202:203], v[204:205], v[202:203], 1.0
	v_mul_f64 v[204:205], v[217:218], -v[202:203]
.LBB98_261:
	s_or_b32 exec_lo, exec_lo, s7
.LBB98_262:
	s_or_b32 exec_lo, exec_lo, s0
	s_mov_b32 s0, exec_lo
	v_cmpx_ne_u32_e64 v216, v210
	s_xor_b32 s0, exec_lo, s0
	s_cbranch_execz .LBB98_268
; %bb.263:
	s_mov_b32 s7, exec_lo
	v_cmpx_eq_u32_e32 12, v216
	s_cbranch_execz .LBB98_267
; %bb.264:
	v_cmp_ne_u32_e32 vcc_lo, 12, v210
	s_xor_b32 s8, s16, -1
	s_and_b32 s9, s8, vcc_lo
	s_and_saveexec_b32 s8, s9
	s_cbranch_execz .LBB98_266
; %bb.265:
	v_ashrrev_i32_e32 v211, 31, v210
	v_lshlrev_b64 v[216:217], 2, v[210:211]
	v_add_co_u32 v216, vcc_lo, v208, v216
	v_add_co_ci_u32_e64 v217, null, v209, v217, vcc_lo
	s_clause 0x1
	global_load_dword v0, v[216:217], off
	global_load_dword v211, v[208:209], off offset:48
	s_waitcnt vmcnt(1)
	global_store_dword v[208:209], v0, off offset:48
	s_waitcnt vmcnt(0)
	global_store_dword v[216:217], v211, off
.LBB98_266:
	s_or_b32 exec_lo, exec_lo, s8
	v_mov_b32_e32 v216, v210
	v_mov_b32_e32 v0, v210
.LBB98_267:
	s_or_b32 exec_lo, exec_lo, s7
.LBB98_268:
	s_andn2_saveexec_b32 s0, s0
	s_cbranch_execz .LBB98_270
; %bb.269:
	v_mov_b32_e32 v216, 12
	ds_write2_b64 v1, v[154:155], v[156:157] offset0:26 offset1:27
	ds_write2_b64 v1, v[150:151], v[152:153] offset0:28 offset1:29
	;; [unrolled: 1-line block ×37, first 2 shown]
.LBB98_270:
	s_or_b32 exec_lo, exec_lo, s0
	s_mov_b32 s0, exec_lo
	s_waitcnt lgkmcnt(0)
	s_waitcnt_vscnt null, 0x0
	s_barrier
	buffer_gl0_inv
	v_cmpx_lt_i32_e32 12, v216
	s_cbranch_execz .LBB98_272
; %bb.271:
	v_mul_f64 v[210:211], v[204:205], v[168:169]
	v_mul_f64 v[168:169], v[202:203], v[168:169]
	v_fma_f64 v[210:211], v[202:203], v[166:167], -v[210:211]
	v_fma_f64 v[168:169], v[204:205], v[166:167], v[168:169]
	ds_read2_b64 v[202:205], v1 offset0:26 offset1:27
	s_waitcnt lgkmcnt(0)
	v_mul_f64 v[166:167], v[204:205], v[168:169]
	v_fma_f64 v[166:167], v[202:203], v[210:211], -v[166:167]
	v_mul_f64 v[202:203], v[202:203], v[168:169]
	v_add_f64 v[154:155], v[154:155], -v[166:167]
	v_fma_f64 v[202:203], v[204:205], v[210:211], v[202:203]
	v_add_f64 v[156:157], v[156:157], -v[202:203]
	ds_read2_b64 v[202:205], v1 offset0:28 offset1:29
	s_waitcnt lgkmcnt(0)
	v_mul_f64 v[166:167], v[204:205], v[168:169]
	v_fma_f64 v[166:167], v[202:203], v[210:211], -v[166:167]
	v_mul_f64 v[202:203], v[202:203], v[168:169]
	v_add_f64 v[150:151], v[150:151], -v[166:167]
	v_fma_f64 v[202:203], v[204:205], v[210:211], v[202:203]
	v_add_f64 v[152:153], v[152:153], -v[202:203]
	;; [unrolled: 8-line block ×36, first 2 shown]
	ds_read2_b64 v[202:205], v1 offset0:98 offset1:99
	s_waitcnt lgkmcnt(0)
	v_mul_f64 v[166:167], v[204:205], v[168:169]
	v_fma_f64 v[166:167], v[202:203], v[210:211], -v[166:167]
	v_mul_f64 v[202:203], v[202:203], v[168:169]
	v_add_f64 v[2:3], v[2:3], -v[166:167]
	v_fma_f64 v[202:203], v[204:205], v[210:211], v[202:203]
	v_mov_b32_e32 v166, v210
	v_mov_b32_e32 v167, v211
	v_add_f64 v[4:5], v[4:5], -v[202:203]
.LBB98_272:
	s_or_b32 exec_lo, exec_lo, s0
	v_lshl_add_u32 v202, v216, 4, v1
	s_barrier
	buffer_gl0_inv
	v_mov_b32_e32 v210, 13
	ds_write2_b64 v202, v[154:155], v[156:157] offset1:1
	s_waitcnt lgkmcnt(0)
	s_barrier
	buffer_gl0_inv
	ds_read2_b64 v[202:205], v1 offset0:26 offset1:27
	s_cmp_lt_i32 s1, 15
	s_cbranch_scc1 .LBB98_275
; %bb.273:
	v_add3_u32 v211, v212, 0, 0xe0
	v_mov_b32_e32 v210, 13
	s_mov_b32 s7, 14
	s_inst_prefetch 0x1
	.p2align	6
.LBB98_274:                             ; =>This Inner Loop Header: Depth=1
	s_waitcnt lgkmcnt(0)
	v_cmp_gt_f64_e32 vcc_lo, 0, v[204:205]
	v_cmp_gt_f64_e64 s0, 0, v[202:203]
	ds_read2_b64 v[217:220], v211 offset1:1
	v_xor_b32_e32 v222, 0x80000000, v203
	v_xor_b32_e32 v224, 0x80000000, v205
	v_mov_b32_e32 v221, v202
	v_mov_b32_e32 v223, v204
	v_add_nc_u32_e32 v211, 16, v211
	s_waitcnt lgkmcnt(0)
	v_xor_b32_e32 v226, 0x80000000, v220
	v_cndmask_b32_e64 v222, v203, v222, s0
	v_cndmask_b32_e32 v224, v205, v224, vcc_lo
	v_cmp_gt_f64_e32 vcc_lo, 0, v[219:220]
	v_cmp_gt_f64_e64 s0, 0, v[217:218]
	v_mov_b32_e32 v225, v219
	v_add_f64 v[221:222], v[221:222], v[223:224]
	v_xor_b32_e32 v224, 0x80000000, v218
	v_mov_b32_e32 v223, v217
	v_cndmask_b32_e32 v226, v220, v226, vcc_lo
	v_cndmask_b32_e64 v224, v218, v224, s0
	v_add_f64 v[223:224], v[223:224], v[225:226]
	v_cmp_lt_f64_e32 vcc_lo, v[221:222], v[223:224]
	v_cndmask_b32_e32 v203, v203, v218, vcc_lo
	v_cndmask_b32_e32 v202, v202, v217, vcc_lo
	;; [unrolled: 1-line block ×4, first 2 shown]
	v_cndmask_b32_e64 v210, v210, s7, vcc_lo
	s_add_i32 s7, s7, 1
	s_cmp_lg_u32 s1, s7
	s_cbranch_scc1 .LBB98_274
.LBB98_275:
	s_inst_prefetch 0x2
	s_waitcnt lgkmcnt(0)
	v_cmp_eq_f64_e32 vcc_lo, 0, v[202:203]
	v_cmp_eq_f64_e64 s0, 0, v[204:205]
	s_and_b32 s0, vcc_lo, s0
	s_and_saveexec_b32 s7, s0
	s_xor_b32 s0, exec_lo, s7
; %bb.276:
	v_cmp_ne_u32_e32 vcc_lo, 0, v215
	v_cndmask_b32_e32 v215, 14, v215, vcc_lo
; %bb.277:
	s_andn2_saveexec_b32 s0, s0
	s_cbranch_execz .LBB98_283
; %bb.278:
	v_cmp_ngt_f64_e64 s7, |v[202:203]|, |v[204:205]|
	s_and_saveexec_b32 s8, s7
	s_xor_b32 s7, exec_lo, s8
	s_cbranch_execz .LBB98_280
; %bb.279:
	v_div_scale_f64 v[217:218], null, v[204:205], v[204:205], v[202:203]
	v_div_scale_f64 v[223:224], vcc_lo, v[202:203], v[204:205], v[202:203]
	v_rcp_f64_e32 v[219:220], v[217:218]
	v_fma_f64 v[221:222], -v[217:218], v[219:220], 1.0
	v_fma_f64 v[219:220], v[219:220], v[221:222], v[219:220]
	v_fma_f64 v[221:222], -v[217:218], v[219:220], 1.0
	v_fma_f64 v[219:220], v[219:220], v[221:222], v[219:220]
	v_mul_f64 v[221:222], v[223:224], v[219:220]
	v_fma_f64 v[217:218], -v[217:218], v[221:222], v[223:224]
	v_div_fmas_f64 v[217:218], v[217:218], v[219:220], v[221:222]
	v_div_fixup_f64 v[217:218], v[217:218], v[204:205], v[202:203]
	v_fma_f64 v[202:203], v[202:203], v[217:218], v[204:205]
	v_div_scale_f64 v[204:205], null, v[202:203], v[202:203], 1.0
	v_rcp_f64_e32 v[219:220], v[204:205]
	v_fma_f64 v[221:222], -v[204:205], v[219:220], 1.0
	v_fma_f64 v[219:220], v[219:220], v[221:222], v[219:220]
	v_fma_f64 v[221:222], -v[204:205], v[219:220], 1.0
	v_fma_f64 v[219:220], v[219:220], v[221:222], v[219:220]
	v_div_scale_f64 v[221:222], vcc_lo, 1.0, v[202:203], 1.0
	v_mul_f64 v[223:224], v[221:222], v[219:220]
	v_fma_f64 v[204:205], -v[204:205], v[223:224], v[221:222]
	v_div_fmas_f64 v[204:205], v[204:205], v[219:220], v[223:224]
	v_div_fixup_f64 v[204:205], v[204:205], v[202:203], 1.0
	v_mul_f64 v[202:203], v[217:218], v[204:205]
	v_xor_b32_e32 v205, 0x80000000, v205
.LBB98_280:
	s_andn2_saveexec_b32 s7, s7
	s_cbranch_execz .LBB98_282
; %bb.281:
	v_div_scale_f64 v[217:218], null, v[202:203], v[202:203], v[204:205]
	v_div_scale_f64 v[223:224], vcc_lo, v[204:205], v[202:203], v[204:205]
	v_rcp_f64_e32 v[219:220], v[217:218]
	v_fma_f64 v[221:222], -v[217:218], v[219:220], 1.0
	v_fma_f64 v[219:220], v[219:220], v[221:222], v[219:220]
	v_fma_f64 v[221:222], -v[217:218], v[219:220], 1.0
	v_fma_f64 v[219:220], v[219:220], v[221:222], v[219:220]
	v_mul_f64 v[221:222], v[223:224], v[219:220]
	v_fma_f64 v[217:218], -v[217:218], v[221:222], v[223:224]
	v_div_fmas_f64 v[217:218], v[217:218], v[219:220], v[221:222]
	v_div_fixup_f64 v[217:218], v[217:218], v[202:203], v[204:205]
	v_fma_f64 v[202:203], v[204:205], v[217:218], v[202:203]
	v_div_scale_f64 v[204:205], null, v[202:203], v[202:203], 1.0
	v_rcp_f64_e32 v[219:220], v[204:205]
	v_fma_f64 v[221:222], -v[204:205], v[219:220], 1.0
	v_fma_f64 v[219:220], v[219:220], v[221:222], v[219:220]
	v_fma_f64 v[221:222], -v[204:205], v[219:220], 1.0
	v_fma_f64 v[219:220], v[219:220], v[221:222], v[219:220]
	v_div_scale_f64 v[221:222], vcc_lo, 1.0, v[202:203], 1.0
	v_mul_f64 v[223:224], v[221:222], v[219:220]
	v_fma_f64 v[204:205], -v[204:205], v[223:224], v[221:222]
	v_div_fmas_f64 v[204:205], v[204:205], v[219:220], v[223:224]
	v_div_fixup_f64 v[202:203], v[204:205], v[202:203], 1.0
	v_mul_f64 v[204:205], v[217:218], -v[202:203]
.LBB98_282:
	s_or_b32 exec_lo, exec_lo, s7
.LBB98_283:
	s_or_b32 exec_lo, exec_lo, s0
	s_mov_b32 s0, exec_lo
	v_cmpx_ne_u32_e64 v216, v210
	s_xor_b32 s0, exec_lo, s0
	s_cbranch_execz .LBB98_289
; %bb.284:
	s_mov_b32 s7, exec_lo
	v_cmpx_eq_u32_e32 13, v216
	s_cbranch_execz .LBB98_288
; %bb.285:
	v_cmp_ne_u32_e32 vcc_lo, 13, v210
	s_xor_b32 s8, s16, -1
	s_and_b32 s9, s8, vcc_lo
	s_and_saveexec_b32 s8, s9
	s_cbranch_execz .LBB98_287
; %bb.286:
	v_ashrrev_i32_e32 v211, 31, v210
	v_lshlrev_b64 v[216:217], 2, v[210:211]
	v_add_co_u32 v216, vcc_lo, v208, v216
	v_add_co_ci_u32_e64 v217, null, v209, v217, vcc_lo
	s_clause 0x1
	global_load_dword v0, v[216:217], off
	global_load_dword v211, v[208:209], off offset:52
	s_waitcnt vmcnt(1)
	global_store_dword v[208:209], v0, off offset:52
	s_waitcnt vmcnt(0)
	global_store_dword v[216:217], v211, off
.LBB98_287:
	s_or_b32 exec_lo, exec_lo, s8
	v_mov_b32_e32 v216, v210
	v_mov_b32_e32 v0, v210
.LBB98_288:
	s_or_b32 exec_lo, exec_lo, s7
.LBB98_289:
	s_andn2_saveexec_b32 s0, s0
	s_cbranch_execz .LBB98_291
; %bb.290:
	v_mov_b32_e32 v216, 13
	ds_write2_b64 v1, v[150:151], v[152:153] offset0:28 offset1:29
	ds_write2_b64 v1, v[142:143], v[144:145] offset0:30 offset1:31
	;; [unrolled: 1-line block ×36, first 2 shown]
.LBB98_291:
	s_or_b32 exec_lo, exec_lo, s0
	s_mov_b32 s0, exec_lo
	s_waitcnt lgkmcnt(0)
	s_waitcnt_vscnt null, 0x0
	s_barrier
	buffer_gl0_inv
	v_cmpx_lt_i32_e32 13, v216
	s_cbranch_execz .LBB98_293
; %bb.292:
	v_mul_f64 v[210:211], v[204:205], v[156:157]
	v_mul_f64 v[156:157], v[202:203], v[156:157]
	v_fma_f64 v[210:211], v[202:203], v[154:155], -v[210:211]
	v_fma_f64 v[156:157], v[204:205], v[154:155], v[156:157]
	ds_read2_b64 v[202:205], v1 offset0:28 offset1:29
	s_waitcnt lgkmcnt(0)
	v_mul_f64 v[154:155], v[204:205], v[156:157]
	v_fma_f64 v[154:155], v[202:203], v[210:211], -v[154:155]
	v_mul_f64 v[202:203], v[202:203], v[156:157]
	v_add_f64 v[150:151], v[150:151], -v[154:155]
	v_fma_f64 v[202:203], v[204:205], v[210:211], v[202:203]
	v_add_f64 v[152:153], v[152:153], -v[202:203]
	ds_read2_b64 v[202:205], v1 offset0:30 offset1:31
	s_waitcnt lgkmcnt(0)
	v_mul_f64 v[154:155], v[204:205], v[156:157]
	v_fma_f64 v[154:155], v[202:203], v[210:211], -v[154:155]
	v_mul_f64 v[202:203], v[202:203], v[156:157]
	v_add_f64 v[142:143], v[142:143], -v[154:155]
	v_fma_f64 v[202:203], v[204:205], v[210:211], v[202:203]
	v_add_f64 v[144:145], v[144:145], -v[202:203]
	;; [unrolled: 8-line block ×35, first 2 shown]
	ds_read2_b64 v[202:205], v1 offset0:98 offset1:99
	s_waitcnt lgkmcnt(0)
	v_mul_f64 v[154:155], v[204:205], v[156:157]
	v_fma_f64 v[154:155], v[202:203], v[210:211], -v[154:155]
	v_mul_f64 v[202:203], v[202:203], v[156:157]
	v_add_f64 v[2:3], v[2:3], -v[154:155]
	v_fma_f64 v[202:203], v[204:205], v[210:211], v[202:203]
	v_mov_b32_e32 v154, v210
	v_mov_b32_e32 v155, v211
	v_add_f64 v[4:5], v[4:5], -v[202:203]
.LBB98_293:
	s_or_b32 exec_lo, exec_lo, s0
	v_lshl_add_u32 v202, v216, 4, v1
	s_barrier
	buffer_gl0_inv
	v_mov_b32_e32 v210, 14
	ds_write2_b64 v202, v[150:151], v[152:153] offset1:1
	s_waitcnt lgkmcnt(0)
	s_barrier
	buffer_gl0_inv
	ds_read2_b64 v[202:205], v1 offset0:28 offset1:29
	s_cmp_lt_i32 s1, 16
	s_cbranch_scc1 .LBB98_296
; %bb.294:
	v_add3_u32 v211, v212, 0, 0xf0
	v_mov_b32_e32 v210, 14
	s_mov_b32 s7, 15
	s_inst_prefetch 0x1
	.p2align	6
.LBB98_295:                             ; =>This Inner Loop Header: Depth=1
	s_waitcnt lgkmcnt(0)
	v_cmp_gt_f64_e32 vcc_lo, 0, v[204:205]
	v_cmp_gt_f64_e64 s0, 0, v[202:203]
	ds_read2_b64 v[217:220], v211 offset1:1
	v_xor_b32_e32 v222, 0x80000000, v203
	v_xor_b32_e32 v224, 0x80000000, v205
	v_mov_b32_e32 v221, v202
	v_mov_b32_e32 v223, v204
	v_add_nc_u32_e32 v211, 16, v211
	s_waitcnt lgkmcnt(0)
	v_xor_b32_e32 v226, 0x80000000, v220
	v_cndmask_b32_e64 v222, v203, v222, s0
	v_cndmask_b32_e32 v224, v205, v224, vcc_lo
	v_cmp_gt_f64_e32 vcc_lo, 0, v[219:220]
	v_cmp_gt_f64_e64 s0, 0, v[217:218]
	v_mov_b32_e32 v225, v219
	v_add_f64 v[221:222], v[221:222], v[223:224]
	v_xor_b32_e32 v224, 0x80000000, v218
	v_mov_b32_e32 v223, v217
	v_cndmask_b32_e32 v226, v220, v226, vcc_lo
	v_cndmask_b32_e64 v224, v218, v224, s0
	v_add_f64 v[223:224], v[223:224], v[225:226]
	v_cmp_lt_f64_e32 vcc_lo, v[221:222], v[223:224]
	v_cndmask_b32_e32 v203, v203, v218, vcc_lo
	v_cndmask_b32_e32 v202, v202, v217, vcc_lo
	;; [unrolled: 1-line block ×4, first 2 shown]
	v_cndmask_b32_e64 v210, v210, s7, vcc_lo
	s_add_i32 s7, s7, 1
	s_cmp_lg_u32 s1, s7
	s_cbranch_scc1 .LBB98_295
.LBB98_296:
	s_inst_prefetch 0x2
	s_waitcnt lgkmcnt(0)
	v_cmp_eq_f64_e32 vcc_lo, 0, v[202:203]
	v_cmp_eq_f64_e64 s0, 0, v[204:205]
	s_and_b32 s0, vcc_lo, s0
	s_and_saveexec_b32 s7, s0
	s_xor_b32 s0, exec_lo, s7
; %bb.297:
	v_cmp_ne_u32_e32 vcc_lo, 0, v215
	v_cndmask_b32_e32 v215, 15, v215, vcc_lo
; %bb.298:
	s_andn2_saveexec_b32 s0, s0
	s_cbranch_execz .LBB98_304
; %bb.299:
	v_cmp_ngt_f64_e64 s7, |v[202:203]|, |v[204:205]|
	s_and_saveexec_b32 s8, s7
	s_xor_b32 s7, exec_lo, s8
	s_cbranch_execz .LBB98_301
; %bb.300:
	v_div_scale_f64 v[217:218], null, v[204:205], v[204:205], v[202:203]
	v_div_scale_f64 v[223:224], vcc_lo, v[202:203], v[204:205], v[202:203]
	v_rcp_f64_e32 v[219:220], v[217:218]
	v_fma_f64 v[221:222], -v[217:218], v[219:220], 1.0
	v_fma_f64 v[219:220], v[219:220], v[221:222], v[219:220]
	v_fma_f64 v[221:222], -v[217:218], v[219:220], 1.0
	v_fma_f64 v[219:220], v[219:220], v[221:222], v[219:220]
	v_mul_f64 v[221:222], v[223:224], v[219:220]
	v_fma_f64 v[217:218], -v[217:218], v[221:222], v[223:224]
	v_div_fmas_f64 v[217:218], v[217:218], v[219:220], v[221:222]
	v_div_fixup_f64 v[217:218], v[217:218], v[204:205], v[202:203]
	v_fma_f64 v[202:203], v[202:203], v[217:218], v[204:205]
	v_div_scale_f64 v[204:205], null, v[202:203], v[202:203], 1.0
	v_rcp_f64_e32 v[219:220], v[204:205]
	v_fma_f64 v[221:222], -v[204:205], v[219:220], 1.0
	v_fma_f64 v[219:220], v[219:220], v[221:222], v[219:220]
	v_fma_f64 v[221:222], -v[204:205], v[219:220], 1.0
	v_fma_f64 v[219:220], v[219:220], v[221:222], v[219:220]
	v_div_scale_f64 v[221:222], vcc_lo, 1.0, v[202:203], 1.0
	v_mul_f64 v[223:224], v[221:222], v[219:220]
	v_fma_f64 v[204:205], -v[204:205], v[223:224], v[221:222]
	v_div_fmas_f64 v[204:205], v[204:205], v[219:220], v[223:224]
	v_div_fixup_f64 v[204:205], v[204:205], v[202:203], 1.0
	v_mul_f64 v[202:203], v[217:218], v[204:205]
	v_xor_b32_e32 v205, 0x80000000, v205
.LBB98_301:
	s_andn2_saveexec_b32 s7, s7
	s_cbranch_execz .LBB98_303
; %bb.302:
	v_div_scale_f64 v[217:218], null, v[202:203], v[202:203], v[204:205]
	v_div_scale_f64 v[223:224], vcc_lo, v[204:205], v[202:203], v[204:205]
	v_rcp_f64_e32 v[219:220], v[217:218]
	v_fma_f64 v[221:222], -v[217:218], v[219:220], 1.0
	v_fma_f64 v[219:220], v[219:220], v[221:222], v[219:220]
	v_fma_f64 v[221:222], -v[217:218], v[219:220], 1.0
	v_fma_f64 v[219:220], v[219:220], v[221:222], v[219:220]
	v_mul_f64 v[221:222], v[223:224], v[219:220]
	v_fma_f64 v[217:218], -v[217:218], v[221:222], v[223:224]
	v_div_fmas_f64 v[217:218], v[217:218], v[219:220], v[221:222]
	v_div_fixup_f64 v[217:218], v[217:218], v[202:203], v[204:205]
	v_fma_f64 v[202:203], v[204:205], v[217:218], v[202:203]
	v_div_scale_f64 v[204:205], null, v[202:203], v[202:203], 1.0
	v_rcp_f64_e32 v[219:220], v[204:205]
	v_fma_f64 v[221:222], -v[204:205], v[219:220], 1.0
	v_fma_f64 v[219:220], v[219:220], v[221:222], v[219:220]
	v_fma_f64 v[221:222], -v[204:205], v[219:220], 1.0
	v_fma_f64 v[219:220], v[219:220], v[221:222], v[219:220]
	v_div_scale_f64 v[221:222], vcc_lo, 1.0, v[202:203], 1.0
	v_mul_f64 v[223:224], v[221:222], v[219:220]
	v_fma_f64 v[204:205], -v[204:205], v[223:224], v[221:222]
	v_div_fmas_f64 v[204:205], v[204:205], v[219:220], v[223:224]
	v_div_fixup_f64 v[202:203], v[204:205], v[202:203], 1.0
	v_mul_f64 v[204:205], v[217:218], -v[202:203]
.LBB98_303:
	s_or_b32 exec_lo, exec_lo, s7
.LBB98_304:
	s_or_b32 exec_lo, exec_lo, s0
	s_mov_b32 s0, exec_lo
	v_cmpx_ne_u32_e64 v216, v210
	s_xor_b32 s0, exec_lo, s0
	s_cbranch_execz .LBB98_310
; %bb.305:
	s_mov_b32 s7, exec_lo
	v_cmpx_eq_u32_e32 14, v216
	s_cbranch_execz .LBB98_309
; %bb.306:
	v_cmp_ne_u32_e32 vcc_lo, 14, v210
	s_xor_b32 s8, s16, -1
	s_and_b32 s9, s8, vcc_lo
	s_and_saveexec_b32 s8, s9
	s_cbranch_execz .LBB98_308
; %bb.307:
	v_ashrrev_i32_e32 v211, 31, v210
	v_lshlrev_b64 v[216:217], 2, v[210:211]
	v_add_co_u32 v216, vcc_lo, v208, v216
	v_add_co_ci_u32_e64 v217, null, v209, v217, vcc_lo
	s_clause 0x1
	global_load_dword v0, v[216:217], off
	global_load_dword v211, v[208:209], off offset:56
	s_waitcnt vmcnt(1)
	global_store_dword v[208:209], v0, off offset:56
	s_waitcnt vmcnt(0)
	global_store_dword v[216:217], v211, off
.LBB98_308:
	s_or_b32 exec_lo, exec_lo, s8
	v_mov_b32_e32 v216, v210
	v_mov_b32_e32 v0, v210
.LBB98_309:
	s_or_b32 exec_lo, exec_lo, s7
.LBB98_310:
	s_andn2_saveexec_b32 s0, s0
	s_cbranch_execz .LBB98_312
; %bb.311:
	v_mov_b32_e32 v216, 14
	ds_write2_b64 v1, v[142:143], v[144:145] offset0:30 offset1:31
	ds_write2_b64 v1, v[138:139], v[140:141] offset0:32 offset1:33
	;; [unrolled: 1-line block ×35, first 2 shown]
.LBB98_312:
	s_or_b32 exec_lo, exec_lo, s0
	s_mov_b32 s0, exec_lo
	s_waitcnt lgkmcnt(0)
	s_waitcnt_vscnt null, 0x0
	s_barrier
	buffer_gl0_inv
	v_cmpx_lt_i32_e32 14, v216
	s_cbranch_execz .LBB98_314
; %bb.313:
	v_mul_f64 v[210:211], v[204:205], v[152:153]
	v_mul_f64 v[152:153], v[202:203], v[152:153]
	v_fma_f64 v[210:211], v[202:203], v[150:151], -v[210:211]
	v_fma_f64 v[152:153], v[204:205], v[150:151], v[152:153]
	ds_read2_b64 v[202:205], v1 offset0:30 offset1:31
	s_waitcnt lgkmcnt(0)
	v_mul_f64 v[150:151], v[204:205], v[152:153]
	v_fma_f64 v[150:151], v[202:203], v[210:211], -v[150:151]
	v_mul_f64 v[202:203], v[202:203], v[152:153]
	v_add_f64 v[142:143], v[142:143], -v[150:151]
	v_fma_f64 v[202:203], v[204:205], v[210:211], v[202:203]
	v_add_f64 v[144:145], v[144:145], -v[202:203]
	ds_read2_b64 v[202:205], v1 offset0:32 offset1:33
	s_waitcnt lgkmcnt(0)
	v_mul_f64 v[150:151], v[204:205], v[152:153]
	v_fma_f64 v[150:151], v[202:203], v[210:211], -v[150:151]
	v_mul_f64 v[202:203], v[202:203], v[152:153]
	v_add_f64 v[138:139], v[138:139], -v[150:151]
	v_fma_f64 v[202:203], v[204:205], v[210:211], v[202:203]
	v_add_f64 v[140:141], v[140:141], -v[202:203]
	;; [unrolled: 8-line block ×34, first 2 shown]
	ds_read2_b64 v[202:205], v1 offset0:98 offset1:99
	s_waitcnt lgkmcnt(0)
	v_mul_f64 v[150:151], v[204:205], v[152:153]
	v_fma_f64 v[150:151], v[202:203], v[210:211], -v[150:151]
	v_mul_f64 v[202:203], v[202:203], v[152:153]
	v_add_f64 v[2:3], v[2:3], -v[150:151]
	v_fma_f64 v[202:203], v[204:205], v[210:211], v[202:203]
	v_mov_b32_e32 v150, v210
	v_mov_b32_e32 v151, v211
	v_add_f64 v[4:5], v[4:5], -v[202:203]
.LBB98_314:
	s_or_b32 exec_lo, exec_lo, s0
	v_lshl_add_u32 v202, v216, 4, v1
	s_barrier
	buffer_gl0_inv
	v_mov_b32_e32 v210, 15
	ds_write2_b64 v202, v[142:143], v[144:145] offset1:1
	s_waitcnt lgkmcnt(0)
	s_barrier
	buffer_gl0_inv
	ds_read2_b64 v[202:205], v1 offset0:30 offset1:31
	s_cmp_lt_i32 s1, 17
	s_cbranch_scc1 .LBB98_317
; %bb.315:
	v_add3_u32 v211, v212, 0, 0x100
	v_mov_b32_e32 v210, 15
	s_mov_b32 s7, 16
	s_inst_prefetch 0x1
	.p2align	6
.LBB98_316:                             ; =>This Inner Loop Header: Depth=1
	s_waitcnt lgkmcnt(0)
	v_cmp_gt_f64_e32 vcc_lo, 0, v[204:205]
	v_cmp_gt_f64_e64 s0, 0, v[202:203]
	ds_read2_b64 v[217:220], v211 offset1:1
	v_xor_b32_e32 v222, 0x80000000, v203
	v_xor_b32_e32 v224, 0x80000000, v205
	v_mov_b32_e32 v221, v202
	v_mov_b32_e32 v223, v204
	v_add_nc_u32_e32 v211, 16, v211
	s_waitcnt lgkmcnt(0)
	v_xor_b32_e32 v226, 0x80000000, v220
	v_cndmask_b32_e64 v222, v203, v222, s0
	v_cndmask_b32_e32 v224, v205, v224, vcc_lo
	v_cmp_gt_f64_e32 vcc_lo, 0, v[219:220]
	v_cmp_gt_f64_e64 s0, 0, v[217:218]
	v_mov_b32_e32 v225, v219
	v_add_f64 v[221:222], v[221:222], v[223:224]
	v_xor_b32_e32 v224, 0x80000000, v218
	v_mov_b32_e32 v223, v217
	v_cndmask_b32_e32 v226, v220, v226, vcc_lo
	v_cndmask_b32_e64 v224, v218, v224, s0
	v_add_f64 v[223:224], v[223:224], v[225:226]
	v_cmp_lt_f64_e32 vcc_lo, v[221:222], v[223:224]
	v_cndmask_b32_e32 v203, v203, v218, vcc_lo
	v_cndmask_b32_e32 v202, v202, v217, vcc_lo
	;; [unrolled: 1-line block ×4, first 2 shown]
	v_cndmask_b32_e64 v210, v210, s7, vcc_lo
	s_add_i32 s7, s7, 1
	s_cmp_lg_u32 s1, s7
	s_cbranch_scc1 .LBB98_316
.LBB98_317:
	s_inst_prefetch 0x2
	s_waitcnt lgkmcnt(0)
	v_cmp_eq_f64_e32 vcc_lo, 0, v[202:203]
	v_cmp_eq_f64_e64 s0, 0, v[204:205]
	s_and_b32 s0, vcc_lo, s0
	s_and_saveexec_b32 s7, s0
	s_xor_b32 s0, exec_lo, s7
; %bb.318:
	v_cmp_ne_u32_e32 vcc_lo, 0, v215
	v_cndmask_b32_e32 v215, 16, v215, vcc_lo
; %bb.319:
	s_andn2_saveexec_b32 s0, s0
	s_cbranch_execz .LBB98_325
; %bb.320:
	v_cmp_ngt_f64_e64 s7, |v[202:203]|, |v[204:205]|
	s_and_saveexec_b32 s8, s7
	s_xor_b32 s7, exec_lo, s8
	s_cbranch_execz .LBB98_322
; %bb.321:
	v_div_scale_f64 v[217:218], null, v[204:205], v[204:205], v[202:203]
	v_div_scale_f64 v[223:224], vcc_lo, v[202:203], v[204:205], v[202:203]
	v_rcp_f64_e32 v[219:220], v[217:218]
	v_fma_f64 v[221:222], -v[217:218], v[219:220], 1.0
	v_fma_f64 v[219:220], v[219:220], v[221:222], v[219:220]
	v_fma_f64 v[221:222], -v[217:218], v[219:220], 1.0
	v_fma_f64 v[219:220], v[219:220], v[221:222], v[219:220]
	v_mul_f64 v[221:222], v[223:224], v[219:220]
	v_fma_f64 v[217:218], -v[217:218], v[221:222], v[223:224]
	v_div_fmas_f64 v[217:218], v[217:218], v[219:220], v[221:222]
	v_div_fixup_f64 v[217:218], v[217:218], v[204:205], v[202:203]
	v_fma_f64 v[202:203], v[202:203], v[217:218], v[204:205]
	v_div_scale_f64 v[204:205], null, v[202:203], v[202:203], 1.0
	v_rcp_f64_e32 v[219:220], v[204:205]
	v_fma_f64 v[221:222], -v[204:205], v[219:220], 1.0
	v_fma_f64 v[219:220], v[219:220], v[221:222], v[219:220]
	v_fma_f64 v[221:222], -v[204:205], v[219:220], 1.0
	v_fma_f64 v[219:220], v[219:220], v[221:222], v[219:220]
	v_div_scale_f64 v[221:222], vcc_lo, 1.0, v[202:203], 1.0
	v_mul_f64 v[223:224], v[221:222], v[219:220]
	v_fma_f64 v[204:205], -v[204:205], v[223:224], v[221:222]
	v_div_fmas_f64 v[204:205], v[204:205], v[219:220], v[223:224]
	v_div_fixup_f64 v[204:205], v[204:205], v[202:203], 1.0
	v_mul_f64 v[202:203], v[217:218], v[204:205]
	v_xor_b32_e32 v205, 0x80000000, v205
.LBB98_322:
	s_andn2_saveexec_b32 s7, s7
	s_cbranch_execz .LBB98_324
; %bb.323:
	v_div_scale_f64 v[217:218], null, v[202:203], v[202:203], v[204:205]
	v_div_scale_f64 v[223:224], vcc_lo, v[204:205], v[202:203], v[204:205]
	v_rcp_f64_e32 v[219:220], v[217:218]
	v_fma_f64 v[221:222], -v[217:218], v[219:220], 1.0
	v_fma_f64 v[219:220], v[219:220], v[221:222], v[219:220]
	v_fma_f64 v[221:222], -v[217:218], v[219:220], 1.0
	v_fma_f64 v[219:220], v[219:220], v[221:222], v[219:220]
	v_mul_f64 v[221:222], v[223:224], v[219:220]
	v_fma_f64 v[217:218], -v[217:218], v[221:222], v[223:224]
	v_div_fmas_f64 v[217:218], v[217:218], v[219:220], v[221:222]
	v_div_fixup_f64 v[217:218], v[217:218], v[202:203], v[204:205]
	v_fma_f64 v[202:203], v[204:205], v[217:218], v[202:203]
	v_div_scale_f64 v[204:205], null, v[202:203], v[202:203], 1.0
	v_rcp_f64_e32 v[219:220], v[204:205]
	v_fma_f64 v[221:222], -v[204:205], v[219:220], 1.0
	v_fma_f64 v[219:220], v[219:220], v[221:222], v[219:220]
	v_fma_f64 v[221:222], -v[204:205], v[219:220], 1.0
	v_fma_f64 v[219:220], v[219:220], v[221:222], v[219:220]
	v_div_scale_f64 v[221:222], vcc_lo, 1.0, v[202:203], 1.0
	v_mul_f64 v[223:224], v[221:222], v[219:220]
	v_fma_f64 v[204:205], -v[204:205], v[223:224], v[221:222]
	v_div_fmas_f64 v[204:205], v[204:205], v[219:220], v[223:224]
	v_div_fixup_f64 v[202:203], v[204:205], v[202:203], 1.0
	v_mul_f64 v[204:205], v[217:218], -v[202:203]
.LBB98_324:
	s_or_b32 exec_lo, exec_lo, s7
.LBB98_325:
	s_or_b32 exec_lo, exec_lo, s0
	s_mov_b32 s0, exec_lo
	v_cmpx_ne_u32_e64 v216, v210
	s_xor_b32 s0, exec_lo, s0
	s_cbranch_execz .LBB98_331
; %bb.326:
	s_mov_b32 s7, exec_lo
	v_cmpx_eq_u32_e32 15, v216
	s_cbranch_execz .LBB98_330
; %bb.327:
	v_cmp_ne_u32_e32 vcc_lo, 15, v210
	s_xor_b32 s8, s16, -1
	s_and_b32 s9, s8, vcc_lo
	s_and_saveexec_b32 s8, s9
	s_cbranch_execz .LBB98_329
; %bb.328:
	v_ashrrev_i32_e32 v211, 31, v210
	v_lshlrev_b64 v[216:217], 2, v[210:211]
	v_add_co_u32 v216, vcc_lo, v208, v216
	v_add_co_ci_u32_e64 v217, null, v209, v217, vcc_lo
	s_clause 0x1
	global_load_dword v0, v[216:217], off
	global_load_dword v211, v[208:209], off offset:60
	s_waitcnt vmcnt(1)
	global_store_dword v[208:209], v0, off offset:60
	s_waitcnt vmcnt(0)
	global_store_dword v[216:217], v211, off
.LBB98_329:
	s_or_b32 exec_lo, exec_lo, s8
	v_mov_b32_e32 v216, v210
	v_mov_b32_e32 v0, v210
.LBB98_330:
	s_or_b32 exec_lo, exec_lo, s7
.LBB98_331:
	s_andn2_saveexec_b32 s0, s0
	s_cbranch_execz .LBB98_333
; %bb.332:
	v_mov_b32_e32 v216, 15
	ds_write2_b64 v1, v[138:139], v[140:141] offset0:32 offset1:33
	ds_write2_b64 v1, v[134:135], v[136:137] offset0:34 offset1:35
	;; [unrolled: 1-line block ×34, first 2 shown]
.LBB98_333:
	s_or_b32 exec_lo, exec_lo, s0
	s_mov_b32 s0, exec_lo
	s_waitcnt lgkmcnt(0)
	s_waitcnt_vscnt null, 0x0
	s_barrier
	buffer_gl0_inv
	v_cmpx_lt_i32_e32 15, v216
	s_cbranch_execz .LBB98_335
; %bb.334:
	v_mul_f64 v[210:211], v[204:205], v[144:145]
	v_mul_f64 v[144:145], v[202:203], v[144:145]
	v_fma_f64 v[210:211], v[202:203], v[142:143], -v[210:211]
	v_fma_f64 v[144:145], v[204:205], v[142:143], v[144:145]
	ds_read2_b64 v[202:205], v1 offset0:32 offset1:33
	s_waitcnt lgkmcnt(0)
	v_mul_f64 v[142:143], v[204:205], v[144:145]
	v_fma_f64 v[142:143], v[202:203], v[210:211], -v[142:143]
	v_mul_f64 v[202:203], v[202:203], v[144:145]
	v_add_f64 v[138:139], v[138:139], -v[142:143]
	v_fma_f64 v[202:203], v[204:205], v[210:211], v[202:203]
	v_add_f64 v[140:141], v[140:141], -v[202:203]
	ds_read2_b64 v[202:205], v1 offset0:34 offset1:35
	s_waitcnt lgkmcnt(0)
	v_mul_f64 v[142:143], v[204:205], v[144:145]
	v_fma_f64 v[142:143], v[202:203], v[210:211], -v[142:143]
	v_mul_f64 v[202:203], v[202:203], v[144:145]
	v_add_f64 v[134:135], v[134:135], -v[142:143]
	v_fma_f64 v[202:203], v[204:205], v[210:211], v[202:203]
	v_add_f64 v[136:137], v[136:137], -v[202:203]
	;; [unrolled: 8-line block ×33, first 2 shown]
	ds_read2_b64 v[202:205], v1 offset0:98 offset1:99
	s_waitcnt lgkmcnt(0)
	v_mul_f64 v[142:143], v[204:205], v[144:145]
	v_fma_f64 v[142:143], v[202:203], v[210:211], -v[142:143]
	v_mul_f64 v[202:203], v[202:203], v[144:145]
	v_add_f64 v[2:3], v[2:3], -v[142:143]
	v_fma_f64 v[202:203], v[204:205], v[210:211], v[202:203]
	v_mov_b32_e32 v142, v210
	v_mov_b32_e32 v143, v211
	v_add_f64 v[4:5], v[4:5], -v[202:203]
.LBB98_335:
	s_or_b32 exec_lo, exec_lo, s0
	v_lshl_add_u32 v202, v216, 4, v1
	s_barrier
	buffer_gl0_inv
	v_mov_b32_e32 v210, 16
	ds_write2_b64 v202, v[138:139], v[140:141] offset1:1
	s_waitcnt lgkmcnt(0)
	s_barrier
	buffer_gl0_inv
	ds_read2_b64 v[202:205], v1 offset0:32 offset1:33
	s_cmp_lt_i32 s1, 18
	s_cbranch_scc1 .LBB98_338
; %bb.336:
	v_add3_u32 v211, v212, 0, 0x110
	v_mov_b32_e32 v210, 16
	s_mov_b32 s7, 17
	s_inst_prefetch 0x1
	.p2align	6
.LBB98_337:                             ; =>This Inner Loop Header: Depth=1
	s_waitcnt lgkmcnt(0)
	v_cmp_gt_f64_e32 vcc_lo, 0, v[204:205]
	v_cmp_gt_f64_e64 s0, 0, v[202:203]
	ds_read2_b64 v[217:220], v211 offset1:1
	v_xor_b32_e32 v222, 0x80000000, v203
	v_xor_b32_e32 v224, 0x80000000, v205
	v_mov_b32_e32 v221, v202
	v_mov_b32_e32 v223, v204
	v_add_nc_u32_e32 v211, 16, v211
	s_waitcnt lgkmcnt(0)
	v_xor_b32_e32 v226, 0x80000000, v220
	v_cndmask_b32_e64 v222, v203, v222, s0
	v_cndmask_b32_e32 v224, v205, v224, vcc_lo
	v_cmp_gt_f64_e32 vcc_lo, 0, v[219:220]
	v_cmp_gt_f64_e64 s0, 0, v[217:218]
	v_mov_b32_e32 v225, v219
	v_add_f64 v[221:222], v[221:222], v[223:224]
	v_xor_b32_e32 v224, 0x80000000, v218
	v_mov_b32_e32 v223, v217
	v_cndmask_b32_e32 v226, v220, v226, vcc_lo
	v_cndmask_b32_e64 v224, v218, v224, s0
	v_add_f64 v[223:224], v[223:224], v[225:226]
	v_cmp_lt_f64_e32 vcc_lo, v[221:222], v[223:224]
	v_cndmask_b32_e32 v203, v203, v218, vcc_lo
	v_cndmask_b32_e32 v202, v202, v217, vcc_lo
	;; [unrolled: 1-line block ×4, first 2 shown]
	v_cndmask_b32_e64 v210, v210, s7, vcc_lo
	s_add_i32 s7, s7, 1
	s_cmp_lg_u32 s1, s7
	s_cbranch_scc1 .LBB98_337
.LBB98_338:
	s_inst_prefetch 0x2
	s_waitcnt lgkmcnt(0)
	v_cmp_eq_f64_e32 vcc_lo, 0, v[202:203]
	v_cmp_eq_f64_e64 s0, 0, v[204:205]
	s_and_b32 s0, vcc_lo, s0
	s_and_saveexec_b32 s7, s0
	s_xor_b32 s0, exec_lo, s7
; %bb.339:
	v_cmp_ne_u32_e32 vcc_lo, 0, v215
	v_cndmask_b32_e32 v215, 17, v215, vcc_lo
; %bb.340:
	s_andn2_saveexec_b32 s0, s0
	s_cbranch_execz .LBB98_346
; %bb.341:
	v_cmp_ngt_f64_e64 s7, |v[202:203]|, |v[204:205]|
	s_and_saveexec_b32 s8, s7
	s_xor_b32 s7, exec_lo, s8
	s_cbranch_execz .LBB98_343
; %bb.342:
	v_div_scale_f64 v[217:218], null, v[204:205], v[204:205], v[202:203]
	v_div_scale_f64 v[223:224], vcc_lo, v[202:203], v[204:205], v[202:203]
	v_rcp_f64_e32 v[219:220], v[217:218]
	v_fma_f64 v[221:222], -v[217:218], v[219:220], 1.0
	v_fma_f64 v[219:220], v[219:220], v[221:222], v[219:220]
	v_fma_f64 v[221:222], -v[217:218], v[219:220], 1.0
	v_fma_f64 v[219:220], v[219:220], v[221:222], v[219:220]
	v_mul_f64 v[221:222], v[223:224], v[219:220]
	v_fma_f64 v[217:218], -v[217:218], v[221:222], v[223:224]
	v_div_fmas_f64 v[217:218], v[217:218], v[219:220], v[221:222]
	v_div_fixup_f64 v[217:218], v[217:218], v[204:205], v[202:203]
	v_fma_f64 v[202:203], v[202:203], v[217:218], v[204:205]
	v_div_scale_f64 v[204:205], null, v[202:203], v[202:203], 1.0
	v_rcp_f64_e32 v[219:220], v[204:205]
	v_fma_f64 v[221:222], -v[204:205], v[219:220], 1.0
	v_fma_f64 v[219:220], v[219:220], v[221:222], v[219:220]
	v_fma_f64 v[221:222], -v[204:205], v[219:220], 1.0
	v_fma_f64 v[219:220], v[219:220], v[221:222], v[219:220]
	v_div_scale_f64 v[221:222], vcc_lo, 1.0, v[202:203], 1.0
	v_mul_f64 v[223:224], v[221:222], v[219:220]
	v_fma_f64 v[204:205], -v[204:205], v[223:224], v[221:222]
	v_div_fmas_f64 v[204:205], v[204:205], v[219:220], v[223:224]
	v_div_fixup_f64 v[204:205], v[204:205], v[202:203], 1.0
	v_mul_f64 v[202:203], v[217:218], v[204:205]
	v_xor_b32_e32 v205, 0x80000000, v205
.LBB98_343:
	s_andn2_saveexec_b32 s7, s7
	s_cbranch_execz .LBB98_345
; %bb.344:
	v_div_scale_f64 v[217:218], null, v[202:203], v[202:203], v[204:205]
	v_div_scale_f64 v[223:224], vcc_lo, v[204:205], v[202:203], v[204:205]
	v_rcp_f64_e32 v[219:220], v[217:218]
	v_fma_f64 v[221:222], -v[217:218], v[219:220], 1.0
	v_fma_f64 v[219:220], v[219:220], v[221:222], v[219:220]
	v_fma_f64 v[221:222], -v[217:218], v[219:220], 1.0
	v_fma_f64 v[219:220], v[219:220], v[221:222], v[219:220]
	v_mul_f64 v[221:222], v[223:224], v[219:220]
	v_fma_f64 v[217:218], -v[217:218], v[221:222], v[223:224]
	v_div_fmas_f64 v[217:218], v[217:218], v[219:220], v[221:222]
	v_div_fixup_f64 v[217:218], v[217:218], v[202:203], v[204:205]
	v_fma_f64 v[202:203], v[204:205], v[217:218], v[202:203]
	v_div_scale_f64 v[204:205], null, v[202:203], v[202:203], 1.0
	v_rcp_f64_e32 v[219:220], v[204:205]
	v_fma_f64 v[221:222], -v[204:205], v[219:220], 1.0
	v_fma_f64 v[219:220], v[219:220], v[221:222], v[219:220]
	v_fma_f64 v[221:222], -v[204:205], v[219:220], 1.0
	v_fma_f64 v[219:220], v[219:220], v[221:222], v[219:220]
	v_div_scale_f64 v[221:222], vcc_lo, 1.0, v[202:203], 1.0
	v_mul_f64 v[223:224], v[221:222], v[219:220]
	v_fma_f64 v[204:205], -v[204:205], v[223:224], v[221:222]
	v_div_fmas_f64 v[204:205], v[204:205], v[219:220], v[223:224]
	v_div_fixup_f64 v[202:203], v[204:205], v[202:203], 1.0
	v_mul_f64 v[204:205], v[217:218], -v[202:203]
.LBB98_345:
	s_or_b32 exec_lo, exec_lo, s7
.LBB98_346:
	s_or_b32 exec_lo, exec_lo, s0
	s_mov_b32 s0, exec_lo
	v_cmpx_ne_u32_e64 v216, v210
	s_xor_b32 s0, exec_lo, s0
	s_cbranch_execz .LBB98_352
; %bb.347:
	s_mov_b32 s7, exec_lo
	v_cmpx_eq_u32_e32 16, v216
	s_cbranch_execz .LBB98_351
; %bb.348:
	v_cmp_ne_u32_e32 vcc_lo, 16, v210
	s_xor_b32 s8, s16, -1
	s_and_b32 s9, s8, vcc_lo
	s_and_saveexec_b32 s8, s9
	s_cbranch_execz .LBB98_350
; %bb.349:
	v_ashrrev_i32_e32 v211, 31, v210
	v_lshlrev_b64 v[216:217], 2, v[210:211]
	v_add_co_u32 v216, vcc_lo, v208, v216
	v_add_co_ci_u32_e64 v217, null, v209, v217, vcc_lo
	s_clause 0x1
	global_load_dword v0, v[216:217], off
	global_load_dword v211, v[208:209], off offset:64
	s_waitcnt vmcnt(1)
	global_store_dword v[208:209], v0, off offset:64
	s_waitcnt vmcnt(0)
	global_store_dword v[216:217], v211, off
.LBB98_350:
	s_or_b32 exec_lo, exec_lo, s8
	v_mov_b32_e32 v216, v210
	v_mov_b32_e32 v0, v210
.LBB98_351:
	s_or_b32 exec_lo, exec_lo, s7
.LBB98_352:
	s_andn2_saveexec_b32 s0, s0
	s_cbranch_execz .LBB98_354
; %bb.353:
	v_mov_b32_e32 v216, 16
	ds_write2_b64 v1, v[134:135], v[136:137] offset0:34 offset1:35
	ds_write2_b64 v1, v[126:127], v[128:129] offset0:36 offset1:37
	;; [unrolled: 1-line block ×33, first 2 shown]
.LBB98_354:
	s_or_b32 exec_lo, exec_lo, s0
	s_mov_b32 s0, exec_lo
	s_waitcnt lgkmcnt(0)
	s_waitcnt_vscnt null, 0x0
	s_barrier
	buffer_gl0_inv
	v_cmpx_lt_i32_e32 16, v216
	s_cbranch_execz .LBB98_356
; %bb.355:
	v_mul_f64 v[210:211], v[204:205], v[140:141]
	v_mul_f64 v[140:141], v[202:203], v[140:141]
	v_fma_f64 v[210:211], v[202:203], v[138:139], -v[210:211]
	v_fma_f64 v[140:141], v[204:205], v[138:139], v[140:141]
	ds_read2_b64 v[202:205], v1 offset0:34 offset1:35
	s_waitcnt lgkmcnt(0)
	v_mul_f64 v[138:139], v[204:205], v[140:141]
	v_fma_f64 v[138:139], v[202:203], v[210:211], -v[138:139]
	v_mul_f64 v[202:203], v[202:203], v[140:141]
	v_add_f64 v[134:135], v[134:135], -v[138:139]
	v_fma_f64 v[202:203], v[204:205], v[210:211], v[202:203]
	v_add_f64 v[136:137], v[136:137], -v[202:203]
	ds_read2_b64 v[202:205], v1 offset0:36 offset1:37
	s_waitcnt lgkmcnt(0)
	v_mul_f64 v[138:139], v[204:205], v[140:141]
	v_fma_f64 v[138:139], v[202:203], v[210:211], -v[138:139]
	v_mul_f64 v[202:203], v[202:203], v[140:141]
	v_add_f64 v[126:127], v[126:127], -v[138:139]
	v_fma_f64 v[202:203], v[204:205], v[210:211], v[202:203]
	v_add_f64 v[128:129], v[128:129], -v[202:203]
	;; [unrolled: 8-line block ×32, first 2 shown]
	ds_read2_b64 v[202:205], v1 offset0:98 offset1:99
	s_waitcnt lgkmcnt(0)
	v_mul_f64 v[138:139], v[204:205], v[140:141]
	v_fma_f64 v[138:139], v[202:203], v[210:211], -v[138:139]
	v_mul_f64 v[202:203], v[202:203], v[140:141]
	v_add_f64 v[2:3], v[2:3], -v[138:139]
	v_fma_f64 v[202:203], v[204:205], v[210:211], v[202:203]
	v_mov_b32_e32 v138, v210
	v_mov_b32_e32 v139, v211
	v_add_f64 v[4:5], v[4:5], -v[202:203]
.LBB98_356:
	s_or_b32 exec_lo, exec_lo, s0
	v_lshl_add_u32 v202, v216, 4, v1
	s_barrier
	buffer_gl0_inv
	v_mov_b32_e32 v210, 17
	ds_write2_b64 v202, v[134:135], v[136:137] offset1:1
	s_waitcnt lgkmcnt(0)
	s_barrier
	buffer_gl0_inv
	ds_read2_b64 v[202:205], v1 offset0:34 offset1:35
	s_cmp_lt_i32 s1, 19
	s_cbranch_scc1 .LBB98_359
; %bb.357:
	v_add3_u32 v211, v212, 0, 0x120
	v_mov_b32_e32 v210, 17
	s_mov_b32 s7, 18
	s_inst_prefetch 0x1
	.p2align	6
.LBB98_358:                             ; =>This Inner Loop Header: Depth=1
	s_waitcnt lgkmcnt(0)
	v_cmp_gt_f64_e32 vcc_lo, 0, v[204:205]
	v_cmp_gt_f64_e64 s0, 0, v[202:203]
	ds_read2_b64 v[217:220], v211 offset1:1
	v_xor_b32_e32 v222, 0x80000000, v203
	v_xor_b32_e32 v224, 0x80000000, v205
	v_mov_b32_e32 v221, v202
	v_mov_b32_e32 v223, v204
	v_add_nc_u32_e32 v211, 16, v211
	s_waitcnt lgkmcnt(0)
	v_xor_b32_e32 v226, 0x80000000, v220
	v_cndmask_b32_e64 v222, v203, v222, s0
	v_cndmask_b32_e32 v224, v205, v224, vcc_lo
	v_cmp_gt_f64_e32 vcc_lo, 0, v[219:220]
	v_cmp_gt_f64_e64 s0, 0, v[217:218]
	v_mov_b32_e32 v225, v219
	v_add_f64 v[221:222], v[221:222], v[223:224]
	v_xor_b32_e32 v224, 0x80000000, v218
	v_mov_b32_e32 v223, v217
	v_cndmask_b32_e32 v226, v220, v226, vcc_lo
	v_cndmask_b32_e64 v224, v218, v224, s0
	v_add_f64 v[223:224], v[223:224], v[225:226]
	v_cmp_lt_f64_e32 vcc_lo, v[221:222], v[223:224]
	v_cndmask_b32_e32 v203, v203, v218, vcc_lo
	v_cndmask_b32_e32 v202, v202, v217, vcc_lo
	v_cndmask_b32_e32 v205, v205, v220, vcc_lo
	v_cndmask_b32_e32 v204, v204, v219, vcc_lo
	v_cndmask_b32_e64 v210, v210, s7, vcc_lo
	s_add_i32 s7, s7, 1
	s_cmp_lg_u32 s1, s7
	s_cbranch_scc1 .LBB98_358
.LBB98_359:
	s_inst_prefetch 0x2
	s_waitcnt lgkmcnt(0)
	v_cmp_eq_f64_e32 vcc_lo, 0, v[202:203]
	v_cmp_eq_f64_e64 s0, 0, v[204:205]
	s_and_b32 s0, vcc_lo, s0
	s_and_saveexec_b32 s7, s0
	s_xor_b32 s0, exec_lo, s7
; %bb.360:
	v_cmp_ne_u32_e32 vcc_lo, 0, v215
	v_cndmask_b32_e32 v215, 18, v215, vcc_lo
; %bb.361:
	s_andn2_saveexec_b32 s0, s0
	s_cbranch_execz .LBB98_367
; %bb.362:
	v_cmp_ngt_f64_e64 s7, |v[202:203]|, |v[204:205]|
	s_and_saveexec_b32 s8, s7
	s_xor_b32 s7, exec_lo, s8
	s_cbranch_execz .LBB98_364
; %bb.363:
	v_div_scale_f64 v[217:218], null, v[204:205], v[204:205], v[202:203]
	v_div_scale_f64 v[223:224], vcc_lo, v[202:203], v[204:205], v[202:203]
	v_rcp_f64_e32 v[219:220], v[217:218]
	v_fma_f64 v[221:222], -v[217:218], v[219:220], 1.0
	v_fma_f64 v[219:220], v[219:220], v[221:222], v[219:220]
	v_fma_f64 v[221:222], -v[217:218], v[219:220], 1.0
	v_fma_f64 v[219:220], v[219:220], v[221:222], v[219:220]
	v_mul_f64 v[221:222], v[223:224], v[219:220]
	v_fma_f64 v[217:218], -v[217:218], v[221:222], v[223:224]
	v_div_fmas_f64 v[217:218], v[217:218], v[219:220], v[221:222]
	v_div_fixup_f64 v[217:218], v[217:218], v[204:205], v[202:203]
	v_fma_f64 v[202:203], v[202:203], v[217:218], v[204:205]
	v_div_scale_f64 v[204:205], null, v[202:203], v[202:203], 1.0
	v_rcp_f64_e32 v[219:220], v[204:205]
	v_fma_f64 v[221:222], -v[204:205], v[219:220], 1.0
	v_fma_f64 v[219:220], v[219:220], v[221:222], v[219:220]
	v_fma_f64 v[221:222], -v[204:205], v[219:220], 1.0
	v_fma_f64 v[219:220], v[219:220], v[221:222], v[219:220]
	v_div_scale_f64 v[221:222], vcc_lo, 1.0, v[202:203], 1.0
	v_mul_f64 v[223:224], v[221:222], v[219:220]
	v_fma_f64 v[204:205], -v[204:205], v[223:224], v[221:222]
	v_div_fmas_f64 v[204:205], v[204:205], v[219:220], v[223:224]
	v_div_fixup_f64 v[204:205], v[204:205], v[202:203], 1.0
	v_mul_f64 v[202:203], v[217:218], v[204:205]
	v_xor_b32_e32 v205, 0x80000000, v205
.LBB98_364:
	s_andn2_saveexec_b32 s7, s7
	s_cbranch_execz .LBB98_366
; %bb.365:
	v_div_scale_f64 v[217:218], null, v[202:203], v[202:203], v[204:205]
	v_div_scale_f64 v[223:224], vcc_lo, v[204:205], v[202:203], v[204:205]
	v_rcp_f64_e32 v[219:220], v[217:218]
	v_fma_f64 v[221:222], -v[217:218], v[219:220], 1.0
	v_fma_f64 v[219:220], v[219:220], v[221:222], v[219:220]
	v_fma_f64 v[221:222], -v[217:218], v[219:220], 1.0
	v_fma_f64 v[219:220], v[219:220], v[221:222], v[219:220]
	v_mul_f64 v[221:222], v[223:224], v[219:220]
	v_fma_f64 v[217:218], -v[217:218], v[221:222], v[223:224]
	v_div_fmas_f64 v[217:218], v[217:218], v[219:220], v[221:222]
	v_div_fixup_f64 v[217:218], v[217:218], v[202:203], v[204:205]
	v_fma_f64 v[202:203], v[204:205], v[217:218], v[202:203]
	v_div_scale_f64 v[204:205], null, v[202:203], v[202:203], 1.0
	v_rcp_f64_e32 v[219:220], v[204:205]
	v_fma_f64 v[221:222], -v[204:205], v[219:220], 1.0
	v_fma_f64 v[219:220], v[219:220], v[221:222], v[219:220]
	v_fma_f64 v[221:222], -v[204:205], v[219:220], 1.0
	v_fma_f64 v[219:220], v[219:220], v[221:222], v[219:220]
	v_div_scale_f64 v[221:222], vcc_lo, 1.0, v[202:203], 1.0
	v_mul_f64 v[223:224], v[221:222], v[219:220]
	v_fma_f64 v[204:205], -v[204:205], v[223:224], v[221:222]
	v_div_fmas_f64 v[204:205], v[204:205], v[219:220], v[223:224]
	v_div_fixup_f64 v[202:203], v[204:205], v[202:203], 1.0
	v_mul_f64 v[204:205], v[217:218], -v[202:203]
.LBB98_366:
	s_or_b32 exec_lo, exec_lo, s7
.LBB98_367:
	s_or_b32 exec_lo, exec_lo, s0
	s_mov_b32 s0, exec_lo
	v_cmpx_ne_u32_e64 v216, v210
	s_xor_b32 s0, exec_lo, s0
	s_cbranch_execz .LBB98_373
; %bb.368:
	s_mov_b32 s7, exec_lo
	v_cmpx_eq_u32_e32 17, v216
	s_cbranch_execz .LBB98_372
; %bb.369:
	v_cmp_ne_u32_e32 vcc_lo, 17, v210
	s_xor_b32 s8, s16, -1
	s_and_b32 s9, s8, vcc_lo
	s_and_saveexec_b32 s8, s9
	s_cbranch_execz .LBB98_371
; %bb.370:
	v_ashrrev_i32_e32 v211, 31, v210
	v_lshlrev_b64 v[216:217], 2, v[210:211]
	v_add_co_u32 v216, vcc_lo, v208, v216
	v_add_co_ci_u32_e64 v217, null, v209, v217, vcc_lo
	s_clause 0x1
	global_load_dword v0, v[216:217], off
	global_load_dword v211, v[208:209], off offset:68
	s_waitcnt vmcnt(1)
	global_store_dword v[208:209], v0, off offset:68
	s_waitcnt vmcnt(0)
	global_store_dword v[216:217], v211, off
.LBB98_371:
	s_or_b32 exec_lo, exec_lo, s8
	v_mov_b32_e32 v216, v210
	v_mov_b32_e32 v0, v210
.LBB98_372:
	s_or_b32 exec_lo, exec_lo, s7
.LBB98_373:
	s_andn2_saveexec_b32 s0, s0
	s_cbranch_execz .LBB98_375
; %bb.374:
	v_mov_b32_e32 v216, 17
	ds_write2_b64 v1, v[126:127], v[128:129] offset0:36 offset1:37
	ds_write2_b64 v1, v[122:123], v[124:125] offset0:38 offset1:39
	;; [unrolled: 1-line block ×32, first 2 shown]
.LBB98_375:
	s_or_b32 exec_lo, exec_lo, s0
	s_mov_b32 s0, exec_lo
	s_waitcnt lgkmcnt(0)
	s_waitcnt_vscnt null, 0x0
	s_barrier
	buffer_gl0_inv
	v_cmpx_lt_i32_e32 17, v216
	s_cbranch_execz .LBB98_377
; %bb.376:
	v_mul_f64 v[210:211], v[204:205], v[136:137]
	v_mul_f64 v[136:137], v[202:203], v[136:137]
	v_fma_f64 v[210:211], v[202:203], v[134:135], -v[210:211]
	v_fma_f64 v[136:137], v[204:205], v[134:135], v[136:137]
	ds_read2_b64 v[202:205], v1 offset0:36 offset1:37
	s_waitcnt lgkmcnt(0)
	v_mul_f64 v[134:135], v[204:205], v[136:137]
	v_fma_f64 v[134:135], v[202:203], v[210:211], -v[134:135]
	v_mul_f64 v[202:203], v[202:203], v[136:137]
	v_add_f64 v[126:127], v[126:127], -v[134:135]
	v_fma_f64 v[202:203], v[204:205], v[210:211], v[202:203]
	v_add_f64 v[128:129], v[128:129], -v[202:203]
	ds_read2_b64 v[202:205], v1 offset0:38 offset1:39
	s_waitcnt lgkmcnt(0)
	v_mul_f64 v[134:135], v[204:205], v[136:137]
	v_fma_f64 v[134:135], v[202:203], v[210:211], -v[134:135]
	v_mul_f64 v[202:203], v[202:203], v[136:137]
	v_add_f64 v[122:123], v[122:123], -v[134:135]
	v_fma_f64 v[202:203], v[204:205], v[210:211], v[202:203]
	v_add_f64 v[124:125], v[124:125], -v[202:203]
	;; [unrolled: 8-line block ×31, first 2 shown]
	ds_read2_b64 v[202:205], v1 offset0:98 offset1:99
	s_waitcnt lgkmcnt(0)
	v_mul_f64 v[134:135], v[204:205], v[136:137]
	v_fma_f64 v[134:135], v[202:203], v[210:211], -v[134:135]
	v_mul_f64 v[202:203], v[202:203], v[136:137]
	v_add_f64 v[2:3], v[2:3], -v[134:135]
	v_fma_f64 v[202:203], v[204:205], v[210:211], v[202:203]
	v_mov_b32_e32 v134, v210
	v_mov_b32_e32 v135, v211
	v_add_f64 v[4:5], v[4:5], -v[202:203]
.LBB98_377:
	s_or_b32 exec_lo, exec_lo, s0
	v_lshl_add_u32 v202, v216, 4, v1
	s_barrier
	buffer_gl0_inv
	v_mov_b32_e32 v210, 18
	ds_write2_b64 v202, v[126:127], v[128:129] offset1:1
	s_waitcnt lgkmcnt(0)
	s_barrier
	buffer_gl0_inv
	ds_read2_b64 v[202:205], v1 offset0:36 offset1:37
	s_cmp_lt_i32 s1, 20
	s_cbranch_scc1 .LBB98_380
; %bb.378:
	v_add3_u32 v211, v212, 0, 0x130
	v_mov_b32_e32 v210, 18
	s_mov_b32 s7, 19
	s_inst_prefetch 0x1
	.p2align	6
.LBB98_379:                             ; =>This Inner Loop Header: Depth=1
	s_waitcnt lgkmcnt(0)
	v_cmp_gt_f64_e32 vcc_lo, 0, v[204:205]
	v_cmp_gt_f64_e64 s0, 0, v[202:203]
	ds_read2_b64 v[217:220], v211 offset1:1
	v_xor_b32_e32 v222, 0x80000000, v203
	v_xor_b32_e32 v224, 0x80000000, v205
	v_mov_b32_e32 v221, v202
	v_mov_b32_e32 v223, v204
	v_add_nc_u32_e32 v211, 16, v211
	s_waitcnt lgkmcnt(0)
	v_xor_b32_e32 v226, 0x80000000, v220
	v_cndmask_b32_e64 v222, v203, v222, s0
	v_cndmask_b32_e32 v224, v205, v224, vcc_lo
	v_cmp_gt_f64_e32 vcc_lo, 0, v[219:220]
	v_cmp_gt_f64_e64 s0, 0, v[217:218]
	v_mov_b32_e32 v225, v219
	v_add_f64 v[221:222], v[221:222], v[223:224]
	v_xor_b32_e32 v224, 0x80000000, v218
	v_mov_b32_e32 v223, v217
	v_cndmask_b32_e32 v226, v220, v226, vcc_lo
	v_cndmask_b32_e64 v224, v218, v224, s0
	v_add_f64 v[223:224], v[223:224], v[225:226]
	v_cmp_lt_f64_e32 vcc_lo, v[221:222], v[223:224]
	v_cndmask_b32_e32 v203, v203, v218, vcc_lo
	v_cndmask_b32_e32 v202, v202, v217, vcc_lo
	;; [unrolled: 1-line block ×4, first 2 shown]
	v_cndmask_b32_e64 v210, v210, s7, vcc_lo
	s_add_i32 s7, s7, 1
	s_cmp_lg_u32 s1, s7
	s_cbranch_scc1 .LBB98_379
.LBB98_380:
	s_inst_prefetch 0x2
	s_waitcnt lgkmcnt(0)
	v_cmp_eq_f64_e32 vcc_lo, 0, v[202:203]
	v_cmp_eq_f64_e64 s0, 0, v[204:205]
	s_and_b32 s0, vcc_lo, s0
	s_and_saveexec_b32 s7, s0
	s_xor_b32 s0, exec_lo, s7
; %bb.381:
	v_cmp_ne_u32_e32 vcc_lo, 0, v215
	v_cndmask_b32_e32 v215, 19, v215, vcc_lo
; %bb.382:
	s_andn2_saveexec_b32 s0, s0
	s_cbranch_execz .LBB98_388
; %bb.383:
	v_cmp_ngt_f64_e64 s7, |v[202:203]|, |v[204:205]|
	s_and_saveexec_b32 s8, s7
	s_xor_b32 s7, exec_lo, s8
	s_cbranch_execz .LBB98_385
; %bb.384:
	v_div_scale_f64 v[217:218], null, v[204:205], v[204:205], v[202:203]
	v_div_scale_f64 v[223:224], vcc_lo, v[202:203], v[204:205], v[202:203]
	v_rcp_f64_e32 v[219:220], v[217:218]
	v_fma_f64 v[221:222], -v[217:218], v[219:220], 1.0
	v_fma_f64 v[219:220], v[219:220], v[221:222], v[219:220]
	v_fma_f64 v[221:222], -v[217:218], v[219:220], 1.0
	v_fma_f64 v[219:220], v[219:220], v[221:222], v[219:220]
	v_mul_f64 v[221:222], v[223:224], v[219:220]
	v_fma_f64 v[217:218], -v[217:218], v[221:222], v[223:224]
	v_div_fmas_f64 v[217:218], v[217:218], v[219:220], v[221:222]
	v_div_fixup_f64 v[217:218], v[217:218], v[204:205], v[202:203]
	v_fma_f64 v[202:203], v[202:203], v[217:218], v[204:205]
	v_div_scale_f64 v[204:205], null, v[202:203], v[202:203], 1.0
	v_rcp_f64_e32 v[219:220], v[204:205]
	v_fma_f64 v[221:222], -v[204:205], v[219:220], 1.0
	v_fma_f64 v[219:220], v[219:220], v[221:222], v[219:220]
	v_fma_f64 v[221:222], -v[204:205], v[219:220], 1.0
	v_fma_f64 v[219:220], v[219:220], v[221:222], v[219:220]
	v_div_scale_f64 v[221:222], vcc_lo, 1.0, v[202:203], 1.0
	v_mul_f64 v[223:224], v[221:222], v[219:220]
	v_fma_f64 v[204:205], -v[204:205], v[223:224], v[221:222]
	v_div_fmas_f64 v[204:205], v[204:205], v[219:220], v[223:224]
	v_div_fixup_f64 v[204:205], v[204:205], v[202:203], 1.0
	v_mul_f64 v[202:203], v[217:218], v[204:205]
	v_xor_b32_e32 v205, 0x80000000, v205
.LBB98_385:
	s_andn2_saveexec_b32 s7, s7
	s_cbranch_execz .LBB98_387
; %bb.386:
	v_div_scale_f64 v[217:218], null, v[202:203], v[202:203], v[204:205]
	v_div_scale_f64 v[223:224], vcc_lo, v[204:205], v[202:203], v[204:205]
	v_rcp_f64_e32 v[219:220], v[217:218]
	v_fma_f64 v[221:222], -v[217:218], v[219:220], 1.0
	v_fma_f64 v[219:220], v[219:220], v[221:222], v[219:220]
	v_fma_f64 v[221:222], -v[217:218], v[219:220], 1.0
	v_fma_f64 v[219:220], v[219:220], v[221:222], v[219:220]
	v_mul_f64 v[221:222], v[223:224], v[219:220]
	v_fma_f64 v[217:218], -v[217:218], v[221:222], v[223:224]
	v_div_fmas_f64 v[217:218], v[217:218], v[219:220], v[221:222]
	v_div_fixup_f64 v[217:218], v[217:218], v[202:203], v[204:205]
	v_fma_f64 v[202:203], v[204:205], v[217:218], v[202:203]
	v_div_scale_f64 v[204:205], null, v[202:203], v[202:203], 1.0
	v_rcp_f64_e32 v[219:220], v[204:205]
	v_fma_f64 v[221:222], -v[204:205], v[219:220], 1.0
	v_fma_f64 v[219:220], v[219:220], v[221:222], v[219:220]
	v_fma_f64 v[221:222], -v[204:205], v[219:220], 1.0
	v_fma_f64 v[219:220], v[219:220], v[221:222], v[219:220]
	v_div_scale_f64 v[221:222], vcc_lo, 1.0, v[202:203], 1.0
	v_mul_f64 v[223:224], v[221:222], v[219:220]
	v_fma_f64 v[204:205], -v[204:205], v[223:224], v[221:222]
	v_div_fmas_f64 v[204:205], v[204:205], v[219:220], v[223:224]
	v_div_fixup_f64 v[202:203], v[204:205], v[202:203], 1.0
	v_mul_f64 v[204:205], v[217:218], -v[202:203]
.LBB98_387:
	s_or_b32 exec_lo, exec_lo, s7
.LBB98_388:
	s_or_b32 exec_lo, exec_lo, s0
	s_mov_b32 s0, exec_lo
	v_cmpx_ne_u32_e64 v216, v210
	s_xor_b32 s0, exec_lo, s0
	s_cbranch_execz .LBB98_394
; %bb.389:
	s_mov_b32 s7, exec_lo
	v_cmpx_eq_u32_e32 18, v216
	s_cbranch_execz .LBB98_393
; %bb.390:
	v_cmp_ne_u32_e32 vcc_lo, 18, v210
	s_xor_b32 s8, s16, -1
	s_and_b32 s9, s8, vcc_lo
	s_and_saveexec_b32 s8, s9
	s_cbranch_execz .LBB98_392
; %bb.391:
	v_ashrrev_i32_e32 v211, 31, v210
	v_lshlrev_b64 v[216:217], 2, v[210:211]
	v_add_co_u32 v216, vcc_lo, v208, v216
	v_add_co_ci_u32_e64 v217, null, v209, v217, vcc_lo
	s_clause 0x1
	global_load_dword v0, v[216:217], off
	global_load_dword v211, v[208:209], off offset:72
	s_waitcnt vmcnt(1)
	global_store_dword v[208:209], v0, off offset:72
	s_waitcnt vmcnt(0)
	global_store_dword v[216:217], v211, off
.LBB98_392:
	s_or_b32 exec_lo, exec_lo, s8
	v_mov_b32_e32 v216, v210
	v_mov_b32_e32 v0, v210
.LBB98_393:
	s_or_b32 exec_lo, exec_lo, s7
.LBB98_394:
	s_andn2_saveexec_b32 s0, s0
	s_cbranch_execz .LBB98_396
; %bb.395:
	v_mov_b32_e32 v216, 18
	ds_write2_b64 v1, v[122:123], v[124:125] offset0:38 offset1:39
	ds_write2_b64 v1, v[118:119], v[120:121] offset0:40 offset1:41
	;; [unrolled: 1-line block ×31, first 2 shown]
.LBB98_396:
	s_or_b32 exec_lo, exec_lo, s0
	s_mov_b32 s0, exec_lo
	s_waitcnt lgkmcnt(0)
	s_waitcnt_vscnt null, 0x0
	s_barrier
	buffer_gl0_inv
	v_cmpx_lt_i32_e32 18, v216
	s_cbranch_execz .LBB98_398
; %bb.397:
	v_mul_f64 v[210:211], v[204:205], v[128:129]
	v_mul_f64 v[128:129], v[202:203], v[128:129]
	v_fma_f64 v[210:211], v[202:203], v[126:127], -v[210:211]
	v_fma_f64 v[128:129], v[204:205], v[126:127], v[128:129]
	ds_read2_b64 v[202:205], v1 offset0:38 offset1:39
	s_waitcnt lgkmcnt(0)
	v_mul_f64 v[126:127], v[204:205], v[128:129]
	v_fma_f64 v[126:127], v[202:203], v[210:211], -v[126:127]
	v_mul_f64 v[202:203], v[202:203], v[128:129]
	v_add_f64 v[122:123], v[122:123], -v[126:127]
	v_fma_f64 v[202:203], v[204:205], v[210:211], v[202:203]
	v_add_f64 v[124:125], v[124:125], -v[202:203]
	ds_read2_b64 v[202:205], v1 offset0:40 offset1:41
	s_waitcnt lgkmcnt(0)
	v_mul_f64 v[126:127], v[204:205], v[128:129]
	v_fma_f64 v[126:127], v[202:203], v[210:211], -v[126:127]
	v_mul_f64 v[202:203], v[202:203], v[128:129]
	v_add_f64 v[118:119], v[118:119], -v[126:127]
	v_fma_f64 v[202:203], v[204:205], v[210:211], v[202:203]
	v_add_f64 v[120:121], v[120:121], -v[202:203]
	;; [unrolled: 8-line block ×30, first 2 shown]
	ds_read2_b64 v[202:205], v1 offset0:98 offset1:99
	s_waitcnt lgkmcnt(0)
	v_mul_f64 v[126:127], v[204:205], v[128:129]
	v_fma_f64 v[126:127], v[202:203], v[210:211], -v[126:127]
	v_mul_f64 v[202:203], v[202:203], v[128:129]
	v_add_f64 v[2:3], v[2:3], -v[126:127]
	v_fma_f64 v[202:203], v[204:205], v[210:211], v[202:203]
	v_mov_b32_e32 v126, v210
	v_mov_b32_e32 v127, v211
	v_add_f64 v[4:5], v[4:5], -v[202:203]
.LBB98_398:
	s_or_b32 exec_lo, exec_lo, s0
	v_lshl_add_u32 v202, v216, 4, v1
	s_barrier
	buffer_gl0_inv
	v_mov_b32_e32 v210, 19
	ds_write2_b64 v202, v[122:123], v[124:125] offset1:1
	s_waitcnt lgkmcnt(0)
	s_barrier
	buffer_gl0_inv
	ds_read2_b64 v[202:205], v1 offset0:38 offset1:39
	s_cmp_lt_i32 s1, 21
	s_cbranch_scc1 .LBB98_401
; %bb.399:
	v_add3_u32 v211, v212, 0, 0x140
	v_mov_b32_e32 v210, 19
	s_mov_b32 s7, 20
	s_inst_prefetch 0x1
	.p2align	6
.LBB98_400:                             ; =>This Inner Loop Header: Depth=1
	s_waitcnt lgkmcnt(0)
	v_cmp_gt_f64_e32 vcc_lo, 0, v[204:205]
	v_cmp_gt_f64_e64 s0, 0, v[202:203]
	ds_read2_b64 v[217:220], v211 offset1:1
	v_xor_b32_e32 v222, 0x80000000, v203
	v_xor_b32_e32 v224, 0x80000000, v205
	v_mov_b32_e32 v221, v202
	v_mov_b32_e32 v223, v204
	v_add_nc_u32_e32 v211, 16, v211
	s_waitcnt lgkmcnt(0)
	v_xor_b32_e32 v226, 0x80000000, v220
	v_cndmask_b32_e64 v222, v203, v222, s0
	v_cndmask_b32_e32 v224, v205, v224, vcc_lo
	v_cmp_gt_f64_e32 vcc_lo, 0, v[219:220]
	v_cmp_gt_f64_e64 s0, 0, v[217:218]
	v_mov_b32_e32 v225, v219
	v_add_f64 v[221:222], v[221:222], v[223:224]
	v_xor_b32_e32 v224, 0x80000000, v218
	v_mov_b32_e32 v223, v217
	v_cndmask_b32_e32 v226, v220, v226, vcc_lo
	v_cndmask_b32_e64 v224, v218, v224, s0
	v_add_f64 v[223:224], v[223:224], v[225:226]
	v_cmp_lt_f64_e32 vcc_lo, v[221:222], v[223:224]
	v_cndmask_b32_e32 v203, v203, v218, vcc_lo
	v_cndmask_b32_e32 v202, v202, v217, vcc_lo
	;; [unrolled: 1-line block ×4, first 2 shown]
	v_cndmask_b32_e64 v210, v210, s7, vcc_lo
	s_add_i32 s7, s7, 1
	s_cmp_lg_u32 s1, s7
	s_cbranch_scc1 .LBB98_400
.LBB98_401:
	s_inst_prefetch 0x2
	s_waitcnt lgkmcnt(0)
	v_cmp_eq_f64_e32 vcc_lo, 0, v[202:203]
	v_cmp_eq_f64_e64 s0, 0, v[204:205]
	s_and_b32 s0, vcc_lo, s0
	s_and_saveexec_b32 s7, s0
	s_xor_b32 s0, exec_lo, s7
; %bb.402:
	v_cmp_ne_u32_e32 vcc_lo, 0, v215
	v_cndmask_b32_e32 v215, 20, v215, vcc_lo
; %bb.403:
	s_andn2_saveexec_b32 s0, s0
	s_cbranch_execz .LBB98_409
; %bb.404:
	v_cmp_ngt_f64_e64 s7, |v[202:203]|, |v[204:205]|
	s_and_saveexec_b32 s8, s7
	s_xor_b32 s7, exec_lo, s8
	s_cbranch_execz .LBB98_406
; %bb.405:
	v_div_scale_f64 v[217:218], null, v[204:205], v[204:205], v[202:203]
	v_div_scale_f64 v[223:224], vcc_lo, v[202:203], v[204:205], v[202:203]
	v_rcp_f64_e32 v[219:220], v[217:218]
	v_fma_f64 v[221:222], -v[217:218], v[219:220], 1.0
	v_fma_f64 v[219:220], v[219:220], v[221:222], v[219:220]
	v_fma_f64 v[221:222], -v[217:218], v[219:220], 1.0
	v_fma_f64 v[219:220], v[219:220], v[221:222], v[219:220]
	v_mul_f64 v[221:222], v[223:224], v[219:220]
	v_fma_f64 v[217:218], -v[217:218], v[221:222], v[223:224]
	v_div_fmas_f64 v[217:218], v[217:218], v[219:220], v[221:222]
	v_div_fixup_f64 v[217:218], v[217:218], v[204:205], v[202:203]
	v_fma_f64 v[202:203], v[202:203], v[217:218], v[204:205]
	v_div_scale_f64 v[204:205], null, v[202:203], v[202:203], 1.0
	v_rcp_f64_e32 v[219:220], v[204:205]
	v_fma_f64 v[221:222], -v[204:205], v[219:220], 1.0
	v_fma_f64 v[219:220], v[219:220], v[221:222], v[219:220]
	v_fma_f64 v[221:222], -v[204:205], v[219:220], 1.0
	v_fma_f64 v[219:220], v[219:220], v[221:222], v[219:220]
	v_div_scale_f64 v[221:222], vcc_lo, 1.0, v[202:203], 1.0
	v_mul_f64 v[223:224], v[221:222], v[219:220]
	v_fma_f64 v[204:205], -v[204:205], v[223:224], v[221:222]
	v_div_fmas_f64 v[204:205], v[204:205], v[219:220], v[223:224]
	v_div_fixup_f64 v[204:205], v[204:205], v[202:203], 1.0
	v_mul_f64 v[202:203], v[217:218], v[204:205]
	v_xor_b32_e32 v205, 0x80000000, v205
.LBB98_406:
	s_andn2_saveexec_b32 s7, s7
	s_cbranch_execz .LBB98_408
; %bb.407:
	v_div_scale_f64 v[217:218], null, v[202:203], v[202:203], v[204:205]
	v_div_scale_f64 v[223:224], vcc_lo, v[204:205], v[202:203], v[204:205]
	v_rcp_f64_e32 v[219:220], v[217:218]
	v_fma_f64 v[221:222], -v[217:218], v[219:220], 1.0
	v_fma_f64 v[219:220], v[219:220], v[221:222], v[219:220]
	v_fma_f64 v[221:222], -v[217:218], v[219:220], 1.0
	v_fma_f64 v[219:220], v[219:220], v[221:222], v[219:220]
	v_mul_f64 v[221:222], v[223:224], v[219:220]
	v_fma_f64 v[217:218], -v[217:218], v[221:222], v[223:224]
	v_div_fmas_f64 v[217:218], v[217:218], v[219:220], v[221:222]
	v_div_fixup_f64 v[217:218], v[217:218], v[202:203], v[204:205]
	v_fma_f64 v[202:203], v[204:205], v[217:218], v[202:203]
	v_div_scale_f64 v[204:205], null, v[202:203], v[202:203], 1.0
	v_rcp_f64_e32 v[219:220], v[204:205]
	v_fma_f64 v[221:222], -v[204:205], v[219:220], 1.0
	v_fma_f64 v[219:220], v[219:220], v[221:222], v[219:220]
	v_fma_f64 v[221:222], -v[204:205], v[219:220], 1.0
	v_fma_f64 v[219:220], v[219:220], v[221:222], v[219:220]
	v_div_scale_f64 v[221:222], vcc_lo, 1.0, v[202:203], 1.0
	v_mul_f64 v[223:224], v[221:222], v[219:220]
	v_fma_f64 v[204:205], -v[204:205], v[223:224], v[221:222]
	v_div_fmas_f64 v[204:205], v[204:205], v[219:220], v[223:224]
	v_div_fixup_f64 v[202:203], v[204:205], v[202:203], 1.0
	v_mul_f64 v[204:205], v[217:218], -v[202:203]
.LBB98_408:
	s_or_b32 exec_lo, exec_lo, s7
.LBB98_409:
	s_or_b32 exec_lo, exec_lo, s0
	s_mov_b32 s0, exec_lo
	v_cmpx_ne_u32_e64 v216, v210
	s_xor_b32 s0, exec_lo, s0
	s_cbranch_execz .LBB98_415
; %bb.410:
	s_mov_b32 s7, exec_lo
	v_cmpx_eq_u32_e32 19, v216
	s_cbranch_execz .LBB98_414
; %bb.411:
	v_cmp_ne_u32_e32 vcc_lo, 19, v210
	s_xor_b32 s8, s16, -1
	s_and_b32 s9, s8, vcc_lo
	s_and_saveexec_b32 s8, s9
	s_cbranch_execz .LBB98_413
; %bb.412:
	v_ashrrev_i32_e32 v211, 31, v210
	v_lshlrev_b64 v[216:217], 2, v[210:211]
	v_add_co_u32 v216, vcc_lo, v208, v216
	v_add_co_ci_u32_e64 v217, null, v209, v217, vcc_lo
	s_clause 0x1
	global_load_dword v0, v[216:217], off
	global_load_dword v211, v[208:209], off offset:76
	s_waitcnt vmcnt(1)
	global_store_dword v[208:209], v0, off offset:76
	s_waitcnt vmcnt(0)
	global_store_dword v[216:217], v211, off
.LBB98_413:
	s_or_b32 exec_lo, exec_lo, s8
	v_mov_b32_e32 v216, v210
	v_mov_b32_e32 v0, v210
.LBB98_414:
	s_or_b32 exec_lo, exec_lo, s7
.LBB98_415:
	s_andn2_saveexec_b32 s0, s0
	s_cbranch_execz .LBB98_417
; %bb.416:
	v_mov_b32_e32 v216, 19
	ds_write2_b64 v1, v[118:119], v[120:121] offset0:40 offset1:41
	ds_write2_b64 v1, v[114:115], v[116:117] offset0:42 offset1:43
	;; [unrolled: 1-line block ×30, first 2 shown]
.LBB98_417:
	s_or_b32 exec_lo, exec_lo, s0
	s_mov_b32 s0, exec_lo
	s_waitcnt lgkmcnt(0)
	s_waitcnt_vscnt null, 0x0
	s_barrier
	buffer_gl0_inv
	v_cmpx_lt_i32_e32 19, v216
	s_cbranch_execz .LBB98_419
; %bb.418:
	v_mul_f64 v[210:211], v[204:205], v[124:125]
	v_mul_f64 v[124:125], v[202:203], v[124:125]
	v_fma_f64 v[210:211], v[202:203], v[122:123], -v[210:211]
	v_fma_f64 v[124:125], v[204:205], v[122:123], v[124:125]
	ds_read2_b64 v[202:205], v1 offset0:40 offset1:41
	s_waitcnt lgkmcnt(0)
	v_mul_f64 v[122:123], v[204:205], v[124:125]
	v_fma_f64 v[122:123], v[202:203], v[210:211], -v[122:123]
	v_mul_f64 v[202:203], v[202:203], v[124:125]
	v_add_f64 v[118:119], v[118:119], -v[122:123]
	v_fma_f64 v[202:203], v[204:205], v[210:211], v[202:203]
	v_add_f64 v[120:121], v[120:121], -v[202:203]
	ds_read2_b64 v[202:205], v1 offset0:42 offset1:43
	s_waitcnt lgkmcnt(0)
	v_mul_f64 v[122:123], v[204:205], v[124:125]
	v_fma_f64 v[122:123], v[202:203], v[210:211], -v[122:123]
	v_mul_f64 v[202:203], v[202:203], v[124:125]
	v_add_f64 v[114:115], v[114:115], -v[122:123]
	v_fma_f64 v[202:203], v[204:205], v[210:211], v[202:203]
	v_add_f64 v[116:117], v[116:117], -v[202:203]
	ds_read2_b64 v[202:205], v1 offset0:44 offset1:45
	s_waitcnt lgkmcnt(0)
	v_mul_f64 v[122:123], v[204:205], v[124:125]
	v_fma_f64 v[122:123], v[202:203], v[210:211], -v[122:123]
	v_mul_f64 v[202:203], v[202:203], v[124:125]
	v_add_f64 v[110:111], v[110:111], -v[122:123]
	v_fma_f64 v[202:203], v[204:205], v[210:211], v[202:203]
	v_add_f64 v[112:113], v[112:113], -v[202:203]
	ds_read2_b64 v[202:205], v1 offset0:46 offset1:47
	s_waitcnt lgkmcnt(0)
	v_mul_f64 v[122:123], v[204:205], v[124:125]
	v_fma_f64 v[122:123], v[202:203], v[210:211], -v[122:123]
	v_mul_f64 v[202:203], v[202:203], v[124:125]
	v_add_f64 v[106:107], v[106:107], -v[122:123]
	v_fma_f64 v[202:203], v[204:205], v[210:211], v[202:203]
	v_add_f64 v[108:109], v[108:109], -v[202:203]
	ds_read2_b64 v[202:205], v1 offset0:48 offset1:49
	s_waitcnt lgkmcnt(0)
	v_mul_f64 v[122:123], v[204:205], v[124:125]
	v_fma_f64 v[122:123], v[202:203], v[210:211], -v[122:123]
	v_mul_f64 v[202:203], v[202:203], v[124:125]
	v_add_f64 v[102:103], v[102:103], -v[122:123]
	v_fma_f64 v[202:203], v[204:205], v[210:211], v[202:203]
	v_add_f64 v[104:105], v[104:105], -v[202:203]
	ds_read2_b64 v[202:205], v1 offset0:50 offset1:51
	s_waitcnt lgkmcnt(0)
	v_mul_f64 v[122:123], v[204:205], v[124:125]
	v_fma_f64 v[122:123], v[202:203], v[210:211], -v[122:123]
	v_mul_f64 v[202:203], v[202:203], v[124:125]
	v_add_f64 v[98:99], v[98:99], -v[122:123]
	v_fma_f64 v[202:203], v[204:205], v[210:211], v[202:203]
	v_add_f64 v[100:101], v[100:101], -v[202:203]
	ds_read2_b64 v[202:205], v1 offset0:52 offset1:53
	s_waitcnt lgkmcnt(0)
	v_mul_f64 v[122:123], v[204:205], v[124:125]
	v_fma_f64 v[122:123], v[202:203], v[210:211], -v[122:123]
	v_mul_f64 v[202:203], v[202:203], v[124:125]
	v_add_f64 v[94:95], v[94:95], -v[122:123]
	v_fma_f64 v[202:203], v[204:205], v[210:211], v[202:203]
	v_add_f64 v[96:97], v[96:97], -v[202:203]
	ds_read2_b64 v[202:205], v1 offset0:54 offset1:55
	s_waitcnt lgkmcnt(0)
	v_mul_f64 v[122:123], v[204:205], v[124:125]
	v_fma_f64 v[122:123], v[202:203], v[210:211], -v[122:123]
	v_mul_f64 v[202:203], v[202:203], v[124:125]
	v_add_f64 v[90:91], v[90:91], -v[122:123]
	v_fma_f64 v[202:203], v[204:205], v[210:211], v[202:203]
	v_add_f64 v[92:93], v[92:93], -v[202:203]
	ds_read2_b64 v[202:205], v1 offset0:56 offset1:57
	s_waitcnt lgkmcnt(0)
	v_mul_f64 v[122:123], v[204:205], v[124:125]
	v_fma_f64 v[122:123], v[202:203], v[210:211], -v[122:123]
	v_mul_f64 v[202:203], v[202:203], v[124:125]
	v_add_f64 v[86:87], v[86:87], -v[122:123]
	v_fma_f64 v[202:203], v[204:205], v[210:211], v[202:203]
	v_add_f64 v[88:89], v[88:89], -v[202:203]
	ds_read2_b64 v[202:205], v1 offset0:58 offset1:59
	s_waitcnt lgkmcnt(0)
	v_mul_f64 v[122:123], v[204:205], v[124:125]
	v_fma_f64 v[122:123], v[202:203], v[210:211], -v[122:123]
	v_mul_f64 v[202:203], v[202:203], v[124:125]
	v_add_f64 v[82:83], v[82:83], -v[122:123]
	v_fma_f64 v[202:203], v[204:205], v[210:211], v[202:203]
	v_add_f64 v[84:85], v[84:85], -v[202:203]
	ds_read2_b64 v[202:205], v1 offset0:60 offset1:61
	s_waitcnt lgkmcnt(0)
	v_mul_f64 v[122:123], v[204:205], v[124:125]
	v_fma_f64 v[122:123], v[202:203], v[210:211], -v[122:123]
	v_mul_f64 v[202:203], v[202:203], v[124:125]
	v_add_f64 v[78:79], v[78:79], -v[122:123]
	v_fma_f64 v[202:203], v[204:205], v[210:211], v[202:203]
	v_add_f64 v[80:81], v[80:81], -v[202:203]
	ds_read2_b64 v[202:205], v1 offset0:62 offset1:63
	s_waitcnt lgkmcnt(0)
	v_mul_f64 v[122:123], v[204:205], v[124:125]
	v_fma_f64 v[122:123], v[202:203], v[210:211], -v[122:123]
	v_mul_f64 v[202:203], v[202:203], v[124:125]
	v_add_f64 v[74:75], v[74:75], -v[122:123]
	v_fma_f64 v[202:203], v[204:205], v[210:211], v[202:203]
	v_add_f64 v[76:77], v[76:77], -v[202:203]
	ds_read2_b64 v[202:205], v1 offset0:64 offset1:65
	s_waitcnt lgkmcnt(0)
	v_mul_f64 v[122:123], v[204:205], v[124:125]
	v_fma_f64 v[122:123], v[202:203], v[210:211], -v[122:123]
	v_mul_f64 v[202:203], v[202:203], v[124:125]
	v_add_f64 v[70:71], v[70:71], -v[122:123]
	v_fma_f64 v[202:203], v[204:205], v[210:211], v[202:203]
	v_add_f64 v[72:73], v[72:73], -v[202:203]
	ds_read2_b64 v[202:205], v1 offset0:66 offset1:67
	s_waitcnt lgkmcnt(0)
	v_mul_f64 v[122:123], v[204:205], v[124:125]
	v_fma_f64 v[122:123], v[202:203], v[210:211], -v[122:123]
	v_mul_f64 v[202:203], v[202:203], v[124:125]
	v_add_f64 v[66:67], v[66:67], -v[122:123]
	v_fma_f64 v[202:203], v[204:205], v[210:211], v[202:203]
	v_add_f64 v[68:69], v[68:69], -v[202:203]
	ds_read2_b64 v[202:205], v1 offset0:68 offset1:69
	s_waitcnt lgkmcnt(0)
	v_mul_f64 v[122:123], v[204:205], v[124:125]
	v_fma_f64 v[122:123], v[202:203], v[210:211], -v[122:123]
	v_mul_f64 v[202:203], v[202:203], v[124:125]
	v_add_f64 v[62:63], v[62:63], -v[122:123]
	v_fma_f64 v[202:203], v[204:205], v[210:211], v[202:203]
	v_add_f64 v[64:65], v[64:65], -v[202:203]
	ds_read2_b64 v[202:205], v1 offset0:70 offset1:71
	s_waitcnt lgkmcnt(0)
	v_mul_f64 v[122:123], v[204:205], v[124:125]
	v_fma_f64 v[122:123], v[202:203], v[210:211], -v[122:123]
	v_mul_f64 v[202:203], v[202:203], v[124:125]
	v_add_f64 v[58:59], v[58:59], -v[122:123]
	v_fma_f64 v[202:203], v[204:205], v[210:211], v[202:203]
	v_add_f64 v[60:61], v[60:61], -v[202:203]
	ds_read2_b64 v[202:205], v1 offset0:72 offset1:73
	s_waitcnt lgkmcnt(0)
	v_mul_f64 v[122:123], v[204:205], v[124:125]
	v_fma_f64 v[122:123], v[202:203], v[210:211], -v[122:123]
	v_mul_f64 v[202:203], v[202:203], v[124:125]
	v_add_f64 v[54:55], v[54:55], -v[122:123]
	v_fma_f64 v[202:203], v[204:205], v[210:211], v[202:203]
	v_add_f64 v[56:57], v[56:57], -v[202:203]
	ds_read2_b64 v[202:205], v1 offset0:74 offset1:75
	s_waitcnt lgkmcnt(0)
	v_mul_f64 v[122:123], v[204:205], v[124:125]
	v_fma_f64 v[122:123], v[202:203], v[210:211], -v[122:123]
	v_mul_f64 v[202:203], v[202:203], v[124:125]
	v_add_f64 v[50:51], v[50:51], -v[122:123]
	v_fma_f64 v[202:203], v[204:205], v[210:211], v[202:203]
	v_add_f64 v[52:53], v[52:53], -v[202:203]
	ds_read2_b64 v[202:205], v1 offset0:76 offset1:77
	s_waitcnt lgkmcnt(0)
	v_mul_f64 v[122:123], v[204:205], v[124:125]
	v_fma_f64 v[122:123], v[202:203], v[210:211], -v[122:123]
	v_mul_f64 v[202:203], v[202:203], v[124:125]
	v_add_f64 v[46:47], v[46:47], -v[122:123]
	v_fma_f64 v[202:203], v[204:205], v[210:211], v[202:203]
	v_add_f64 v[48:49], v[48:49], -v[202:203]
	ds_read2_b64 v[202:205], v1 offset0:78 offset1:79
	s_waitcnt lgkmcnt(0)
	v_mul_f64 v[122:123], v[204:205], v[124:125]
	v_fma_f64 v[122:123], v[202:203], v[210:211], -v[122:123]
	v_mul_f64 v[202:203], v[202:203], v[124:125]
	v_add_f64 v[42:43], v[42:43], -v[122:123]
	v_fma_f64 v[202:203], v[204:205], v[210:211], v[202:203]
	v_add_f64 v[44:45], v[44:45], -v[202:203]
	ds_read2_b64 v[202:205], v1 offset0:80 offset1:81
	s_waitcnt lgkmcnt(0)
	v_mul_f64 v[122:123], v[204:205], v[124:125]
	v_fma_f64 v[122:123], v[202:203], v[210:211], -v[122:123]
	v_mul_f64 v[202:203], v[202:203], v[124:125]
	v_add_f64 v[38:39], v[38:39], -v[122:123]
	v_fma_f64 v[202:203], v[204:205], v[210:211], v[202:203]
	v_add_f64 v[40:41], v[40:41], -v[202:203]
	ds_read2_b64 v[202:205], v1 offset0:82 offset1:83
	s_waitcnt lgkmcnt(0)
	v_mul_f64 v[122:123], v[204:205], v[124:125]
	v_fma_f64 v[122:123], v[202:203], v[210:211], -v[122:123]
	v_mul_f64 v[202:203], v[202:203], v[124:125]
	v_add_f64 v[34:35], v[34:35], -v[122:123]
	v_fma_f64 v[202:203], v[204:205], v[210:211], v[202:203]
	v_add_f64 v[36:37], v[36:37], -v[202:203]
	ds_read2_b64 v[202:205], v1 offset0:84 offset1:85
	s_waitcnt lgkmcnt(0)
	v_mul_f64 v[122:123], v[204:205], v[124:125]
	v_fma_f64 v[122:123], v[202:203], v[210:211], -v[122:123]
	v_mul_f64 v[202:203], v[202:203], v[124:125]
	v_add_f64 v[30:31], v[30:31], -v[122:123]
	v_fma_f64 v[202:203], v[204:205], v[210:211], v[202:203]
	v_add_f64 v[32:33], v[32:33], -v[202:203]
	ds_read2_b64 v[202:205], v1 offset0:86 offset1:87
	s_waitcnt lgkmcnt(0)
	v_mul_f64 v[122:123], v[204:205], v[124:125]
	v_fma_f64 v[122:123], v[202:203], v[210:211], -v[122:123]
	v_mul_f64 v[202:203], v[202:203], v[124:125]
	v_add_f64 v[26:27], v[26:27], -v[122:123]
	v_fma_f64 v[202:203], v[204:205], v[210:211], v[202:203]
	v_add_f64 v[28:29], v[28:29], -v[202:203]
	ds_read2_b64 v[202:205], v1 offset0:88 offset1:89
	s_waitcnt lgkmcnt(0)
	v_mul_f64 v[122:123], v[204:205], v[124:125]
	v_fma_f64 v[122:123], v[202:203], v[210:211], -v[122:123]
	v_mul_f64 v[202:203], v[202:203], v[124:125]
	v_add_f64 v[22:23], v[22:23], -v[122:123]
	v_fma_f64 v[202:203], v[204:205], v[210:211], v[202:203]
	v_add_f64 v[24:25], v[24:25], -v[202:203]
	ds_read2_b64 v[202:205], v1 offset0:90 offset1:91
	s_waitcnt lgkmcnt(0)
	v_mul_f64 v[122:123], v[204:205], v[124:125]
	v_fma_f64 v[122:123], v[202:203], v[210:211], -v[122:123]
	v_mul_f64 v[202:203], v[202:203], v[124:125]
	v_add_f64 v[18:19], v[18:19], -v[122:123]
	v_fma_f64 v[202:203], v[204:205], v[210:211], v[202:203]
	v_add_f64 v[20:21], v[20:21], -v[202:203]
	ds_read2_b64 v[202:205], v1 offset0:92 offset1:93
	s_waitcnt lgkmcnt(0)
	v_mul_f64 v[122:123], v[204:205], v[124:125]
	v_fma_f64 v[122:123], v[202:203], v[210:211], -v[122:123]
	v_mul_f64 v[202:203], v[202:203], v[124:125]
	v_add_f64 v[14:15], v[14:15], -v[122:123]
	v_fma_f64 v[202:203], v[204:205], v[210:211], v[202:203]
	v_add_f64 v[16:17], v[16:17], -v[202:203]
	ds_read2_b64 v[202:205], v1 offset0:94 offset1:95
	s_waitcnt lgkmcnt(0)
	v_mul_f64 v[122:123], v[204:205], v[124:125]
	v_fma_f64 v[122:123], v[202:203], v[210:211], -v[122:123]
	v_mul_f64 v[202:203], v[202:203], v[124:125]
	v_add_f64 v[10:11], v[10:11], -v[122:123]
	v_fma_f64 v[202:203], v[204:205], v[210:211], v[202:203]
	v_add_f64 v[12:13], v[12:13], -v[202:203]
	ds_read2_b64 v[202:205], v1 offset0:96 offset1:97
	s_waitcnt lgkmcnt(0)
	v_mul_f64 v[122:123], v[204:205], v[124:125]
	v_fma_f64 v[122:123], v[202:203], v[210:211], -v[122:123]
	v_mul_f64 v[202:203], v[202:203], v[124:125]
	v_add_f64 v[6:7], v[6:7], -v[122:123]
	v_fma_f64 v[202:203], v[204:205], v[210:211], v[202:203]
	v_add_f64 v[8:9], v[8:9], -v[202:203]
	ds_read2_b64 v[202:205], v1 offset0:98 offset1:99
	s_waitcnt lgkmcnt(0)
	v_mul_f64 v[122:123], v[204:205], v[124:125]
	v_fma_f64 v[122:123], v[202:203], v[210:211], -v[122:123]
	v_mul_f64 v[202:203], v[202:203], v[124:125]
	v_add_f64 v[2:3], v[2:3], -v[122:123]
	v_fma_f64 v[202:203], v[204:205], v[210:211], v[202:203]
	v_mov_b32_e32 v122, v210
	v_mov_b32_e32 v123, v211
	v_add_f64 v[4:5], v[4:5], -v[202:203]
.LBB98_419:
	s_or_b32 exec_lo, exec_lo, s0
	v_lshl_add_u32 v202, v216, 4, v1
	s_barrier
	buffer_gl0_inv
	v_mov_b32_e32 v210, 20
	ds_write2_b64 v202, v[118:119], v[120:121] offset1:1
	s_waitcnt lgkmcnt(0)
	s_barrier
	buffer_gl0_inv
	ds_read2_b64 v[202:205], v1 offset0:40 offset1:41
	s_cmp_lt_i32 s1, 22
	s_cbranch_scc1 .LBB98_422
; %bb.420:
	v_add3_u32 v211, v212, 0, 0x150
	v_mov_b32_e32 v210, 20
	s_mov_b32 s7, 21
	s_inst_prefetch 0x1
	.p2align	6
.LBB98_421:                             ; =>This Inner Loop Header: Depth=1
	s_waitcnt lgkmcnt(0)
	v_cmp_gt_f64_e32 vcc_lo, 0, v[204:205]
	v_cmp_gt_f64_e64 s0, 0, v[202:203]
	ds_read2_b64 v[217:220], v211 offset1:1
	v_xor_b32_e32 v222, 0x80000000, v203
	v_xor_b32_e32 v224, 0x80000000, v205
	v_mov_b32_e32 v221, v202
	v_mov_b32_e32 v223, v204
	v_add_nc_u32_e32 v211, 16, v211
	s_waitcnt lgkmcnt(0)
	v_xor_b32_e32 v226, 0x80000000, v220
	v_cndmask_b32_e64 v222, v203, v222, s0
	v_cndmask_b32_e32 v224, v205, v224, vcc_lo
	v_cmp_gt_f64_e32 vcc_lo, 0, v[219:220]
	v_cmp_gt_f64_e64 s0, 0, v[217:218]
	v_mov_b32_e32 v225, v219
	v_add_f64 v[221:222], v[221:222], v[223:224]
	v_xor_b32_e32 v224, 0x80000000, v218
	v_mov_b32_e32 v223, v217
	v_cndmask_b32_e32 v226, v220, v226, vcc_lo
	v_cndmask_b32_e64 v224, v218, v224, s0
	v_add_f64 v[223:224], v[223:224], v[225:226]
	v_cmp_lt_f64_e32 vcc_lo, v[221:222], v[223:224]
	v_cndmask_b32_e32 v203, v203, v218, vcc_lo
	v_cndmask_b32_e32 v202, v202, v217, vcc_lo
	;; [unrolled: 1-line block ×4, first 2 shown]
	v_cndmask_b32_e64 v210, v210, s7, vcc_lo
	s_add_i32 s7, s7, 1
	s_cmp_lg_u32 s1, s7
	s_cbranch_scc1 .LBB98_421
.LBB98_422:
	s_inst_prefetch 0x2
	s_waitcnt lgkmcnt(0)
	v_cmp_eq_f64_e32 vcc_lo, 0, v[202:203]
	v_cmp_eq_f64_e64 s0, 0, v[204:205]
	s_and_b32 s0, vcc_lo, s0
	s_and_saveexec_b32 s7, s0
	s_xor_b32 s0, exec_lo, s7
; %bb.423:
	v_cmp_ne_u32_e32 vcc_lo, 0, v215
	v_cndmask_b32_e32 v215, 21, v215, vcc_lo
; %bb.424:
	s_andn2_saveexec_b32 s0, s0
	s_cbranch_execz .LBB98_430
; %bb.425:
	v_cmp_ngt_f64_e64 s7, |v[202:203]|, |v[204:205]|
	s_and_saveexec_b32 s8, s7
	s_xor_b32 s7, exec_lo, s8
	s_cbranch_execz .LBB98_427
; %bb.426:
	v_div_scale_f64 v[217:218], null, v[204:205], v[204:205], v[202:203]
	v_div_scale_f64 v[223:224], vcc_lo, v[202:203], v[204:205], v[202:203]
	v_rcp_f64_e32 v[219:220], v[217:218]
	v_fma_f64 v[221:222], -v[217:218], v[219:220], 1.0
	v_fma_f64 v[219:220], v[219:220], v[221:222], v[219:220]
	v_fma_f64 v[221:222], -v[217:218], v[219:220], 1.0
	v_fma_f64 v[219:220], v[219:220], v[221:222], v[219:220]
	v_mul_f64 v[221:222], v[223:224], v[219:220]
	v_fma_f64 v[217:218], -v[217:218], v[221:222], v[223:224]
	v_div_fmas_f64 v[217:218], v[217:218], v[219:220], v[221:222]
	v_div_fixup_f64 v[217:218], v[217:218], v[204:205], v[202:203]
	v_fma_f64 v[202:203], v[202:203], v[217:218], v[204:205]
	v_div_scale_f64 v[204:205], null, v[202:203], v[202:203], 1.0
	v_rcp_f64_e32 v[219:220], v[204:205]
	v_fma_f64 v[221:222], -v[204:205], v[219:220], 1.0
	v_fma_f64 v[219:220], v[219:220], v[221:222], v[219:220]
	v_fma_f64 v[221:222], -v[204:205], v[219:220], 1.0
	v_fma_f64 v[219:220], v[219:220], v[221:222], v[219:220]
	v_div_scale_f64 v[221:222], vcc_lo, 1.0, v[202:203], 1.0
	v_mul_f64 v[223:224], v[221:222], v[219:220]
	v_fma_f64 v[204:205], -v[204:205], v[223:224], v[221:222]
	v_div_fmas_f64 v[204:205], v[204:205], v[219:220], v[223:224]
	v_div_fixup_f64 v[204:205], v[204:205], v[202:203], 1.0
	v_mul_f64 v[202:203], v[217:218], v[204:205]
	v_xor_b32_e32 v205, 0x80000000, v205
.LBB98_427:
	s_andn2_saveexec_b32 s7, s7
	s_cbranch_execz .LBB98_429
; %bb.428:
	v_div_scale_f64 v[217:218], null, v[202:203], v[202:203], v[204:205]
	v_div_scale_f64 v[223:224], vcc_lo, v[204:205], v[202:203], v[204:205]
	v_rcp_f64_e32 v[219:220], v[217:218]
	v_fma_f64 v[221:222], -v[217:218], v[219:220], 1.0
	v_fma_f64 v[219:220], v[219:220], v[221:222], v[219:220]
	v_fma_f64 v[221:222], -v[217:218], v[219:220], 1.0
	v_fma_f64 v[219:220], v[219:220], v[221:222], v[219:220]
	v_mul_f64 v[221:222], v[223:224], v[219:220]
	v_fma_f64 v[217:218], -v[217:218], v[221:222], v[223:224]
	v_div_fmas_f64 v[217:218], v[217:218], v[219:220], v[221:222]
	v_div_fixup_f64 v[217:218], v[217:218], v[202:203], v[204:205]
	v_fma_f64 v[202:203], v[204:205], v[217:218], v[202:203]
	v_div_scale_f64 v[204:205], null, v[202:203], v[202:203], 1.0
	v_rcp_f64_e32 v[219:220], v[204:205]
	v_fma_f64 v[221:222], -v[204:205], v[219:220], 1.0
	v_fma_f64 v[219:220], v[219:220], v[221:222], v[219:220]
	v_fma_f64 v[221:222], -v[204:205], v[219:220], 1.0
	v_fma_f64 v[219:220], v[219:220], v[221:222], v[219:220]
	v_div_scale_f64 v[221:222], vcc_lo, 1.0, v[202:203], 1.0
	v_mul_f64 v[223:224], v[221:222], v[219:220]
	v_fma_f64 v[204:205], -v[204:205], v[223:224], v[221:222]
	v_div_fmas_f64 v[204:205], v[204:205], v[219:220], v[223:224]
	v_div_fixup_f64 v[202:203], v[204:205], v[202:203], 1.0
	v_mul_f64 v[204:205], v[217:218], -v[202:203]
.LBB98_429:
	s_or_b32 exec_lo, exec_lo, s7
.LBB98_430:
	s_or_b32 exec_lo, exec_lo, s0
	s_mov_b32 s0, exec_lo
	v_cmpx_ne_u32_e64 v216, v210
	s_xor_b32 s0, exec_lo, s0
	s_cbranch_execz .LBB98_436
; %bb.431:
	s_mov_b32 s7, exec_lo
	v_cmpx_eq_u32_e32 20, v216
	s_cbranch_execz .LBB98_435
; %bb.432:
	v_cmp_ne_u32_e32 vcc_lo, 20, v210
	s_xor_b32 s8, s16, -1
	s_and_b32 s9, s8, vcc_lo
	s_and_saveexec_b32 s8, s9
	s_cbranch_execz .LBB98_434
; %bb.433:
	v_ashrrev_i32_e32 v211, 31, v210
	v_lshlrev_b64 v[216:217], 2, v[210:211]
	v_add_co_u32 v216, vcc_lo, v208, v216
	v_add_co_ci_u32_e64 v217, null, v209, v217, vcc_lo
	s_clause 0x1
	global_load_dword v0, v[216:217], off
	global_load_dword v211, v[208:209], off offset:80
	s_waitcnt vmcnt(1)
	global_store_dword v[208:209], v0, off offset:80
	s_waitcnt vmcnt(0)
	global_store_dword v[216:217], v211, off
.LBB98_434:
	s_or_b32 exec_lo, exec_lo, s8
	v_mov_b32_e32 v216, v210
	v_mov_b32_e32 v0, v210
.LBB98_435:
	s_or_b32 exec_lo, exec_lo, s7
.LBB98_436:
	s_andn2_saveexec_b32 s0, s0
	s_cbranch_execz .LBB98_438
; %bb.437:
	v_mov_b32_e32 v216, 20
	ds_write2_b64 v1, v[114:115], v[116:117] offset0:42 offset1:43
	ds_write2_b64 v1, v[110:111], v[112:113] offset0:44 offset1:45
	;; [unrolled: 1-line block ×29, first 2 shown]
.LBB98_438:
	s_or_b32 exec_lo, exec_lo, s0
	s_mov_b32 s0, exec_lo
	s_waitcnt lgkmcnt(0)
	s_waitcnt_vscnt null, 0x0
	s_barrier
	buffer_gl0_inv
	v_cmpx_lt_i32_e32 20, v216
	s_cbranch_execz .LBB98_440
; %bb.439:
	v_mul_f64 v[210:211], v[204:205], v[120:121]
	v_mul_f64 v[120:121], v[202:203], v[120:121]
	v_fma_f64 v[210:211], v[202:203], v[118:119], -v[210:211]
	v_fma_f64 v[120:121], v[204:205], v[118:119], v[120:121]
	ds_read2_b64 v[202:205], v1 offset0:42 offset1:43
	s_waitcnt lgkmcnt(0)
	v_mul_f64 v[118:119], v[204:205], v[120:121]
	v_fma_f64 v[118:119], v[202:203], v[210:211], -v[118:119]
	v_mul_f64 v[202:203], v[202:203], v[120:121]
	v_add_f64 v[114:115], v[114:115], -v[118:119]
	v_fma_f64 v[202:203], v[204:205], v[210:211], v[202:203]
	v_add_f64 v[116:117], v[116:117], -v[202:203]
	ds_read2_b64 v[202:205], v1 offset0:44 offset1:45
	s_waitcnt lgkmcnt(0)
	v_mul_f64 v[118:119], v[204:205], v[120:121]
	v_fma_f64 v[118:119], v[202:203], v[210:211], -v[118:119]
	v_mul_f64 v[202:203], v[202:203], v[120:121]
	v_add_f64 v[110:111], v[110:111], -v[118:119]
	v_fma_f64 v[202:203], v[204:205], v[210:211], v[202:203]
	v_add_f64 v[112:113], v[112:113], -v[202:203]
	;; [unrolled: 8-line block ×28, first 2 shown]
	ds_read2_b64 v[202:205], v1 offset0:98 offset1:99
	s_waitcnt lgkmcnt(0)
	v_mul_f64 v[118:119], v[204:205], v[120:121]
	v_fma_f64 v[118:119], v[202:203], v[210:211], -v[118:119]
	v_mul_f64 v[202:203], v[202:203], v[120:121]
	v_add_f64 v[2:3], v[2:3], -v[118:119]
	v_fma_f64 v[202:203], v[204:205], v[210:211], v[202:203]
	v_mov_b32_e32 v118, v210
	v_mov_b32_e32 v119, v211
	v_add_f64 v[4:5], v[4:5], -v[202:203]
.LBB98_440:
	s_or_b32 exec_lo, exec_lo, s0
	v_lshl_add_u32 v202, v216, 4, v1
	s_barrier
	buffer_gl0_inv
	v_mov_b32_e32 v210, 21
	ds_write2_b64 v202, v[114:115], v[116:117] offset1:1
	s_waitcnt lgkmcnt(0)
	s_barrier
	buffer_gl0_inv
	ds_read2_b64 v[202:205], v1 offset0:42 offset1:43
	s_cmp_lt_i32 s1, 23
	s_cbranch_scc1 .LBB98_443
; %bb.441:
	v_add3_u32 v211, v212, 0, 0x160
	v_mov_b32_e32 v210, 21
	s_mov_b32 s7, 22
	s_inst_prefetch 0x1
	.p2align	6
.LBB98_442:                             ; =>This Inner Loop Header: Depth=1
	s_waitcnt lgkmcnt(0)
	v_cmp_gt_f64_e32 vcc_lo, 0, v[204:205]
	v_cmp_gt_f64_e64 s0, 0, v[202:203]
	ds_read2_b64 v[217:220], v211 offset1:1
	v_xor_b32_e32 v222, 0x80000000, v203
	v_xor_b32_e32 v224, 0x80000000, v205
	v_mov_b32_e32 v221, v202
	v_mov_b32_e32 v223, v204
	v_add_nc_u32_e32 v211, 16, v211
	s_waitcnt lgkmcnt(0)
	v_xor_b32_e32 v226, 0x80000000, v220
	v_cndmask_b32_e64 v222, v203, v222, s0
	v_cndmask_b32_e32 v224, v205, v224, vcc_lo
	v_cmp_gt_f64_e32 vcc_lo, 0, v[219:220]
	v_cmp_gt_f64_e64 s0, 0, v[217:218]
	v_mov_b32_e32 v225, v219
	v_add_f64 v[221:222], v[221:222], v[223:224]
	v_xor_b32_e32 v224, 0x80000000, v218
	v_mov_b32_e32 v223, v217
	v_cndmask_b32_e32 v226, v220, v226, vcc_lo
	v_cndmask_b32_e64 v224, v218, v224, s0
	v_add_f64 v[223:224], v[223:224], v[225:226]
	v_cmp_lt_f64_e32 vcc_lo, v[221:222], v[223:224]
	v_cndmask_b32_e32 v203, v203, v218, vcc_lo
	v_cndmask_b32_e32 v202, v202, v217, vcc_lo
	;; [unrolled: 1-line block ×4, first 2 shown]
	v_cndmask_b32_e64 v210, v210, s7, vcc_lo
	s_add_i32 s7, s7, 1
	s_cmp_lg_u32 s1, s7
	s_cbranch_scc1 .LBB98_442
.LBB98_443:
	s_inst_prefetch 0x2
	s_waitcnt lgkmcnt(0)
	v_cmp_eq_f64_e32 vcc_lo, 0, v[202:203]
	v_cmp_eq_f64_e64 s0, 0, v[204:205]
	s_and_b32 s0, vcc_lo, s0
	s_and_saveexec_b32 s7, s0
	s_xor_b32 s0, exec_lo, s7
; %bb.444:
	v_cmp_ne_u32_e32 vcc_lo, 0, v215
	v_cndmask_b32_e32 v215, 22, v215, vcc_lo
; %bb.445:
	s_andn2_saveexec_b32 s0, s0
	s_cbranch_execz .LBB98_451
; %bb.446:
	v_cmp_ngt_f64_e64 s7, |v[202:203]|, |v[204:205]|
	s_and_saveexec_b32 s8, s7
	s_xor_b32 s7, exec_lo, s8
	s_cbranch_execz .LBB98_448
; %bb.447:
	v_div_scale_f64 v[217:218], null, v[204:205], v[204:205], v[202:203]
	v_div_scale_f64 v[223:224], vcc_lo, v[202:203], v[204:205], v[202:203]
	v_rcp_f64_e32 v[219:220], v[217:218]
	v_fma_f64 v[221:222], -v[217:218], v[219:220], 1.0
	v_fma_f64 v[219:220], v[219:220], v[221:222], v[219:220]
	v_fma_f64 v[221:222], -v[217:218], v[219:220], 1.0
	v_fma_f64 v[219:220], v[219:220], v[221:222], v[219:220]
	v_mul_f64 v[221:222], v[223:224], v[219:220]
	v_fma_f64 v[217:218], -v[217:218], v[221:222], v[223:224]
	v_div_fmas_f64 v[217:218], v[217:218], v[219:220], v[221:222]
	v_div_fixup_f64 v[217:218], v[217:218], v[204:205], v[202:203]
	v_fma_f64 v[202:203], v[202:203], v[217:218], v[204:205]
	v_div_scale_f64 v[204:205], null, v[202:203], v[202:203], 1.0
	v_rcp_f64_e32 v[219:220], v[204:205]
	v_fma_f64 v[221:222], -v[204:205], v[219:220], 1.0
	v_fma_f64 v[219:220], v[219:220], v[221:222], v[219:220]
	v_fma_f64 v[221:222], -v[204:205], v[219:220], 1.0
	v_fma_f64 v[219:220], v[219:220], v[221:222], v[219:220]
	v_div_scale_f64 v[221:222], vcc_lo, 1.0, v[202:203], 1.0
	v_mul_f64 v[223:224], v[221:222], v[219:220]
	v_fma_f64 v[204:205], -v[204:205], v[223:224], v[221:222]
	v_div_fmas_f64 v[204:205], v[204:205], v[219:220], v[223:224]
	v_div_fixup_f64 v[204:205], v[204:205], v[202:203], 1.0
	v_mul_f64 v[202:203], v[217:218], v[204:205]
	v_xor_b32_e32 v205, 0x80000000, v205
.LBB98_448:
	s_andn2_saveexec_b32 s7, s7
	s_cbranch_execz .LBB98_450
; %bb.449:
	v_div_scale_f64 v[217:218], null, v[202:203], v[202:203], v[204:205]
	v_div_scale_f64 v[223:224], vcc_lo, v[204:205], v[202:203], v[204:205]
	v_rcp_f64_e32 v[219:220], v[217:218]
	v_fma_f64 v[221:222], -v[217:218], v[219:220], 1.0
	v_fma_f64 v[219:220], v[219:220], v[221:222], v[219:220]
	v_fma_f64 v[221:222], -v[217:218], v[219:220], 1.0
	v_fma_f64 v[219:220], v[219:220], v[221:222], v[219:220]
	v_mul_f64 v[221:222], v[223:224], v[219:220]
	v_fma_f64 v[217:218], -v[217:218], v[221:222], v[223:224]
	v_div_fmas_f64 v[217:218], v[217:218], v[219:220], v[221:222]
	v_div_fixup_f64 v[217:218], v[217:218], v[202:203], v[204:205]
	v_fma_f64 v[202:203], v[204:205], v[217:218], v[202:203]
	v_div_scale_f64 v[204:205], null, v[202:203], v[202:203], 1.0
	v_rcp_f64_e32 v[219:220], v[204:205]
	v_fma_f64 v[221:222], -v[204:205], v[219:220], 1.0
	v_fma_f64 v[219:220], v[219:220], v[221:222], v[219:220]
	v_fma_f64 v[221:222], -v[204:205], v[219:220], 1.0
	v_fma_f64 v[219:220], v[219:220], v[221:222], v[219:220]
	v_div_scale_f64 v[221:222], vcc_lo, 1.0, v[202:203], 1.0
	v_mul_f64 v[223:224], v[221:222], v[219:220]
	v_fma_f64 v[204:205], -v[204:205], v[223:224], v[221:222]
	v_div_fmas_f64 v[204:205], v[204:205], v[219:220], v[223:224]
	v_div_fixup_f64 v[202:203], v[204:205], v[202:203], 1.0
	v_mul_f64 v[204:205], v[217:218], -v[202:203]
.LBB98_450:
	s_or_b32 exec_lo, exec_lo, s7
.LBB98_451:
	s_or_b32 exec_lo, exec_lo, s0
	s_mov_b32 s0, exec_lo
	v_cmpx_ne_u32_e64 v216, v210
	s_xor_b32 s0, exec_lo, s0
	s_cbranch_execz .LBB98_457
; %bb.452:
	s_mov_b32 s7, exec_lo
	v_cmpx_eq_u32_e32 21, v216
	s_cbranch_execz .LBB98_456
; %bb.453:
	v_cmp_ne_u32_e32 vcc_lo, 21, v210
	s_xor_b32 s8, s16, -1
	s_and_b32 s9, s8, vcc_lo
	s_and_saveexec_b32 s8, s9
	s_cbranch_execz .LBB98_455
; %bb.454:
	v_ashrrev_i32_e32 v211, 31, v210
	v_lshlrev_b64 v[216:217], 2, v[210:211]
	v_add_co_u32 v216, vcc_lo, v208, v216
	v_add_co_ci_u32_e64 v217, null, v209, v217, vcc_lo
	s_clause 0x1
	global_load_dword v0, v[216:217], off
	global_load_dword v211, v[208:209], off offset:84
	s_waitcnt vmcnt(1)
	global_store_dword v[208:209], v0, off offset:84
	s_waitcnt vmcnt(0)
	global_store_dword v[216:217], v211, off
.LBB98_455:
	s_or_b32 exec_lo, exec_lo, s8
	v_mov_b32_e32 v216, v210
	v_mov_b32_e32 v0, v210
.LBB98_456:
	s_or_b32 exec_lo, exec_lo, s7
.LBB98_457:
	s_andn2_saveexec_b32 s0, s0
	s_cbranch_execz .LBB98_459
; %bb.458:
	v_mov_b32_e32 v216, 21
	ds_write2_b64 v1, v[110:111], v[112:113] offset0:44 offset1:45
	ds_write2_b64 v1, v[106:107], v[108:109] offset0:46 offset1:47
	;; [unrolled: 1-line block ×28, first 2 shown]
.LBB98_459:
	s_or_b32 exec_lo, exec_lo, s0
	s_mov_b32 s0, exec_lo
	s_waitcnt lgkmcnt(0)
	s_waitcnt_vscnt null, 0x0
	s_barrier
	buffer_gl0_inv
	v_cmpx_lt_i32_e32 21, v216
	s_cbranch_execz .LBB98_461
; %bb.460:
	v_mul_f64 v[210:211], v[204:205], v[116:117]
	v_mul_f64 v[116:117], v[202:203], v[116:117]
	v_fma_f64 v[210:211], v[202:203], v[114:115], -v[210:211]
	v_fma_f64 v[116:117], v[204:205], v[114:115], v[116:117]
	ds_read2_b64 v[202:205], v1 offset0:44 offset1:45
	s_waitcnt lgkmcnt(0)
	v_mul_f64 v[114:115], v[204:205], v[116:117]
	v_fma_f64 v[114:115], v[202:203], v[210:211], -v[114:115]
	v_mul_f64 v[202:203], v[202:203], v[116:117]
	v_add_f64 v[110:111], v[110:111], -v[114:115]
	v_fma_f64 v[202:203], v[204:205], v[210:211], v[202:203]
	v_add_f64 v[112:113], v[112:113], -v[202:203]
	ds_read2_b64 v[202:205], v1 offset0:46 offset1:47
	s_waitcnt lgkmcnt(0)
	v_mul_f64 v[114:115], v[204:205], v[116:117]
	v_fma_f64 v[114:115], v[202:203], v[210:211], -v[114:115]
	v_mul_f64 v[202:203], v[202:203], v[116:117]
	v_add_f64 v[106:107], v[106:107], -v[114:115]
	v_fma_f64 v[202:203], v[204:205], v[210:211], v[202:203]
	v_add_f64 v[108:109], v[108:109], -v[202:203]
	;; [unrolled: 8-line block ×27, first 2 shown]
	ds_read2_b64 v[202:205], v1 offset0:98 offset1:99
	s_waitcnt lgkmcnt(0)
	v_mul_f64 v[114:115], v[204:205], v[116:117]
	v_fma_f64 v[114:115], v[202:203], v[210:211], -v[114:115]
	v_mul_f64 v[202:203], v[202:203], v[116:117]
	v_add_f64 v[2:3], v[2:3], -v[114:115]
	v_fma_f64 v[202:203], v[204:205], v[210:211], v[202:203]
	v_mov_b32_e32 v114, v210
	v_mov_b32_e32 v115, v211
	v_add_f64 v[4:5], v[4:5], -v[202:203]
.LBB98_461:
	s_or_b32 exec_lo, exec_lo, s0
	v_lshl_add_u32 v202, v216, 4, v1
	s_barrier
	buffer_gl0_inv
	v_mov_b32_e32 v210, 22
	ds_write2_b64 v202, v[110:111], v[112:113] offset1:1
	s_waitcnt lgkmcnt(0)
	s_barrier
	buffer_gl0_inv
	ds_read2_b64 v[202:205], v1 offset0:44 offset1:45
	s_cmp_lt_i32 s1, 24
	s_cbranch_scc1 .LBB98_464
; %bb.462:
	v_add3_u32 v211, v212, 0, 0x170
	v_mov_b32_e32 v210, 22
	s_mov_b32 s7, 23
	s_inst_prefetch 0x1
	.p2align	6
.LBB98_463:                             ; =>This Inner Loop Header: Depth=1
	s_waitcnt lgkmcnt(0)
	v_cmp_gt_f64_e32 vcc_lo, 0, v[204:205]
	v_cmp_gt_f64_e64 s0, 0, v[202:203]
	ds_read2_b64 v[217:220], v211 offset1:1
	v_xor_b32_e32 v222, 0x80000000, v203
	v_xor_b32_e32 v224, 0x80000000, v205
	v_mov_b32_e32 v221, v202
	v_mov_b32_e32 v223, v204
	v_add_nc_u32_e32 v211, 16, v211
	s_waitcnt lgkmcnt(0)
	v_xor_b32_e32 v226, 0x80000000, v220
	v_cndmask_b32_e64 v222, v203, v222, s0
	v_cndmask_b32_e32 v224, v205, v224, vcc_lo
	v_cmp_gt_f64_e32 vcc_lo, 0, v[219:220]
	v_cmp_gt_f64_e64 s0, 0, v[217:218]
	v_mov_b32_e32 v225, v219
	v_add_f64 v[221:222], v[221:222], v[223:224]
	v_xor_b32_e32 v224, 0x80000000, v218
	v_mov_b32_e32 v223, v217
	v_cndmask_b32_e32 v226, v220, v226, vcc_lo
	v_cndmask_b32_e64 v224, v218, v224, s0
	v_add_f64 v[223:224], v[223:224], v[225:226]
	v_cmp_lt_f64_e32 vcc_lo, v[221:222], v[223:224]
	v_cndmask_b32_e32 v203, v203, v218, vcc_lo
	v_cndmask_b32_e32 v202, v202, v217, vcc_lo
	;; [unrolled: 1-line block ×4, first 2 shown]
	v_cndmask_b32_e64 v210, v210, s7, vcc_lo
	s_add_i32 s7, s7, 1
	s_cmp_lg_u32 s1, s7
	s_cbranch_scc1 .LBB98_463
.LBB98_464:
	s_inst_prefetch 0x2
	s_waitcnt lgkmcnt(0)
	v_cmp_eq_f64_e32 vcc_lo, 0, v[202:203]
	v_cmp_eq_f64_e64 s0, 0, v[204:205]
	s_and_b32 s0, vcc_lo, s0
	s_and_saveexec_b32 s7, s0
	s_xor_b32 s0, exec_lo, s7
; %bb.465:
	v_cmp_ne_u32_e32 vcc_lo, 0, v215
	v_cndmask_b32_e32 v215, 23, v215, vcc_lo
; %bb.466:
	s_andn2_saveexec_b32 s0, s0
	s_cbranch_execz .LBB98_472
; %bb.467:
	v_cmp_ngt_f64_e64 s7, |v[202:203]|, |v[204:205]|
	s_and_saveexec_b32 s8, s7
	s_xor_b32 s7, exec_lo, s8
	s_cbranch_execz .LBB98_469
; %bb.468:
	v_div_scale_f64 v[217:218], null, v[204:205], v[204:205], v[202:203]
	v_div_scale_f64 v[223:224], vcc_lo, v[202:203], v[204:205], v[202:203]
	v_rcp_f64_e32 v[219:220], v[217:218]
	v_fma_f64 v[221:222], -v[217:218], v[219:220], 1.0
	v_fma_f64 v[219:220], v[219:220], v[221:222], v[219:220]
	v_fma_f64 v[221:222], -v[217:218], v[219:220], 1.0
	v_fma_f64 v[219:220], v[219:220], v[221:222], v[219:220]
	v_mul_f64 v[221:222], v[223:224], v[219:220]
	v_fma_f64 v[217:218], -v[217:218], v[221:222], v[223:224]
	v_div_fmas_f64 v[217:218], v[217:218], v[219:220], v[221:222]
	v_div_fixup_f64 v[217:218], v[217:218], v[204:205], v[202:203]
	v_fma_f64 v[202:203], v[202:203], v[217:218], v[204:205]
	v_div_scale_f64 v[204:205], null, v[202:203], v[202:203], 1.0
	v_rcp_f64_e32 v[219:220], v[204:205]
	v_fma_f64 v[221:222], -v[204:205], v[219:220], 1.0
	v_fma_f64 v[219:220], v[219:220], v[221:222], v[219:220]
	v_fma_f64 v[221:222], -v[204:205], v[219:220], 1.0
	v_fma_f64 v[219:220], v[219:220], v[221:222], v[219:220]
	v_div_scale_f64 v[221:222], vcc_lo, 1.0, v[202:203], 1.0
	v_mul_f64 v[223:224], v[221:222], v[219:220]
	v_fma_f64 v[204:205], -v[204:205], v[223:224], v[221:222]
	v_div_fmas_f64 v[204:205], v[204:205], v[219:220], v[223:224]
	v_div_fixup_f64 v[204:205], v[204:205], v[202:203], 1.0
	v_mul_f64 v[202:203], v[217:218], v[204:205]
	v_xor_b32_e32 v205, 0x80000000, v205
.LBB98_469:
	s_andn2_saveexec_b32 s7, s7
	s_cbranch_execz .LBB98_471
; %bb.470:
	v_div_scale_f64 v[217:218], null, v[202:203], v[202:203], v[204:205]
	v_div_scale_f64 v[223:224], vcc_lo, v[204:205], v[202:203], v[204:205]
	v_rcp_f64_e32 v[219:220], v[217:218]
	v_fma_f64 v[221:222], -v[217:218], v[219:220], 1.0
	v_fma_f64 v[219:220], v[219:220], v[221:222], v[219:220]
	v_fma_f64 v[221:222], -v[217:218], v[219:220], 1.0
	v_fma_f64 v[219:220], v[219:220], v[221:222], v[219:220]
	v_mul_f64 v[221:222], v[223:224], v[219:220]
	v_fma_f64 v[217:218], -v[217:218], v[221:222], v[223:224]
	v_div_fmas_f64 v[217:218], v[217:218], v[219:220], v[221:222]
	v_div_fixup_f64 v[217:218], v[217:218], v[202:203], v[204:205]
	v_fma_f64 v[202:203], v[204:205], v[217:218], v[202:203]
	v_div_scale_f64 v[204:205], null, v[202:203], v[202:203], 1.0
	v_rcp_f64_e32 v[219:220], v[204:205]
	v_fma_f64 v[221:222], -v[204:205], v[219:220], 1.0
	v_fma_f64 v[219:220], v[219:220], v[221:222], v[219:220]
	v_fma_f64 v[221:222], -v[204:205], v[219:220], 1.0
	v_fma_f64 v[219:220], v[219:220], v[221:222], v[219:220]
	v_div_scale_f64 v[221:222], vcc_lo, 1.0, v[202:203], 1.0
	v_mul_f64 v[223:224], v[221:222], v[219:220]
	v_fma_f64 v[204:205], -v[204:205], v[223:224], v[221:222]
	v_div_fmas_f64 v[204:205], v[204:205], v[219:220], v[223:224]
	v_div_fixup_f64 v[202:203], v[204:205], v[202:203], 1.0
	v_mul_f64 v[204:205], v[217:218], -v[202:203]
.LBB98_471:
	s_or_b32 exec_lo, exec_lo, s7
.LBB98_472:
	s_or_b32 exec_lo, exec_lo, s0
	s_mov_b32 s0, exec_lo
	v_cmpx_ne_u32_e64 v216, v210
	s_xor_b32 s0, exec_lo, s0
	s_cbranch_execz .LBB98_478
; %bb.473:
	s_mov_b32 s7, exec_lo
	v_cmpx_eq_u32_e32 22, v216
	s_cbranch_execz .LBB98_477
; %bb.474:
	v_cmp_ne_u32_e32 vcc_lo, 22, v210
	s_xor_b32 s8, s16, -1
	s_and_b32 s9, s8, vcc_lo
	s_and_saveexec_b32 s8, s9
	s_cbranch_execz .LBB98_476
; %bb.475:
	v_ashrrev_i32_e32 v211, 31, v210
	v_lshlrev_b64 v[216:217], 2, v[210:211]
	v_add_co_u32 v216, vcc_lo, v208, v216
	v_add_co_ci_u32_e64 v217, null, v209, v217, vcc_lo
	s_clause 0x1
	global_load_dword v0, v[216:217], off
	global_load_dword v211, v[208:209], off offset:88
	s_waitcnt vmcnt(1)
	global_store_dword v[208:209], v0, off offset:88
	s_waitcnt vmcnt(0)
	global_store_dword v[216:217], v211, off
.LBB98_476:
	s_or_b32 exec_lo, exec_lo, s8
	v_mov_b32_e32 v216, v210
	v_mov_b32_e32 v0, v210
.LBB98_477:
	s_or_b32 exec_lo, exec_lo, s7
.LBB98_478:
	s_andn2_saveexec_b32 s0, s0
	s_cbranch_execz .LBB98_480
; %bb.479:
	v_mov_b32_e32 v216, 22
	ds_write2_b64 v1, v[106:107], v[108:109] offset0:46 offset1:47
	ds_write2_b64 v1, v[102:103], v[104:105] offset0:48 offset1:49
	ds_write2_b64 v1, v[98:99], v[100:101] offset0:50 offset1:51
	ds_write2_b64 v1, v[94:95], v[96:97] offset0:52 offset1:53
	ds_write2_b64 v1, v[90:91], v[92:93] offset0:54 offset1:55
	ds_write2_b64 v1, v[86:87], v[88:89] offset0:56 offset1:57
	ds_write2_b64 v1, v[82:83], v[84:85] offset0:58 offset1:59
	ds_write2_b64 v1, v[78:79], v[80:81] offset0:60 offset1:61
	ds_write2_b64 v1, v[74:75], v[76:77] offset0:62 offset1:63
	ds_write2_b64 v1, v[70:71], v[72:73] offset0:64 offset1:65
	ds_write2_b64 v1, v[66:67], v[68:69] offset0:66 offset1:67
	ds_write2_b64 v1, v[62:63], v[64:65] offset0:68 offset1:69
	ds_write2_b64 v1, v[58:59], v[60:61] offset0:70 offset1:71
	ds_write2_b64 v1, v[54:55], v[56:57] offset0:72 offset1:73
	ds_write2_b64 v1, v[50:51], v[52:53] offset0:74 offset1:75
	ds_write2_b64 v1, v[46:47], v[48:49] offset0:76 offset1:77
	ds_write2_b64 v1, v[42:43], v[44:45] offset0:78 offset1:79
	ds_write2_b64 v1, v[38:39], v[40:41] offset0:80 offset1:81
	ds_write2_b64 v1, v[34:35], v[36:37] offset0:82 offset1:83
	ds_write2_b64 v1, v[30:31], v[32:33] offset0:84 offset1:85
	ds_write2_b64 v1, v[26:27], v[28:29] offset0:86 offset1:87
	ds_write2_b64 v1, v[22:23], v[24:25] offset0:88 offset1:89
	ds_write2_b64 v1, v[18:19], v[20:21] offset0:90 offset1:91
	ds_write2_b64 v1, v[14:15], v[16:17] offset0:92 offset1:93
	ds_write2_b64 v1, v[10:11], v[12:13] offset0:94 offset1:95
	ds_write2_b64 v1, v[6:7], v[8:9] offset0:96 offset1:97
	ds_write2_b64 v1, v[2:3], v[4:5] offset0:98 offset1:99
.LBB98_480:
	s_or_b32 exec_lo, exec_lo, s0
	s_mov_b32 s0, exec_lo
	s_waitcnt lgkmcnt(0)
	s_waitcnt_vscnt null, 0x0
	s_barrier
	buffer_gl0_inv
	v_cmpx_lt_i32_e32 22, v216
	s_cbranch_execz .LBB98_482
; %bb.481:
	v_mul_f64 v[210:211], v[204:205], v[112:113]
	v_mul_f64 v[112:113], v[202:203], v[112:113]
	v_fma_f64 v[210:211], v[202:203], v[110:111], -v[210:211]
	v_fma_f64 v[112:113], v[204:205], v[110:111], v[112:113]
	ds_read2_b64 v[202:205], v1 offset0:46 offset1:47
	s_waitcnt lgkmcnt(0)
	v_mul_f64 v[110:111], v[204:205], v[112:113]
	v_fma_f64 v[110:111], v[202:203], v[210:211], -v[110:111]
	v_mul_f64 v[202:203], v[202:203], v[112:113]
	v_add_f64 v[106:107], v[106:107], -v[110:111]
	v_fma_f64 v[202:203], v[204:205], v[210:211], v[202:203]
	v_add_f64 v[108:109], v[108:109], -v[202:203]
	ds_read2_b64 v[202:205], v1 offset0:48 offset1:49
	s_waitcnt lgkmcnt(0)
	v_mul_f64 v[110:111], v[204:205], v[112:113]
	v_fma_f64 v[110:111], v[202:203], v[210:211], -v[110:111]
	v_mul_f64 v[202:203], v[202:203], v[112:113]
	v_add_f64 v[102:103], v[102:103], -v[110:111]
	v_fma_f64 v[202:203], v[204:205], v[210:211], v[202:203]
	v_add_f64 v[104:105], v[104:105], -v[202:203]
	;; [unrolled: 8-line block ×26, first 2 shown]
	ds_read2_b64 v[202:205], v1 offset0:98 offset1:99
	s_waitcnt lgkmcnt(0)
	v_mul_f64 v[110:111], v[204:205], v[112:113]
	v_fma_f64 v[110:111], v[202:203], v[210:211], -v[110:111]
	v_mul_f64 v[202:203], v[202:203], v[112:113]
	v_add_f64 v[2:3], v[2:3], -v[110:111]
	v_fma_f64 v[202:203], v[204:205], v[210:211], v[202:203]
	v_mov_b32_e32 v110, v210
	v_mov_b32_e32 v111, v211
	v_add_f64 v[4:5], v[4:5], -v[202:203]
.LBB98_482:
	s_or_b32 exec_lo, exec_lo, s0
	v_lshl_add_u32 v202, v216, 4, v1
	s_barrier
	buffer_gl0_inv
	v_mov_b32_e32 v210, 23
	ds_write2_b64 v202, v[106:107], v[108:109] offset1:1
	s_waitcnt lgkmcnt(0)
	s_barrier
	buffer_gl0_inv
	ds_read2_b64 v[202:205], v1 offset0:46 offset1:47
	s_cmp_lt_i32 s1, 25
	s_cbranch_scc1 .LBB98_485
; %bb.483:
	v_add3_u32 v211, v212, 0, 0x180
	v_mov_b32_e32 v210, 23
	s_mov_b32 s7, 24
	s_inst_prefetch 0x1
	.p2align	6
.LBB98_484:                             ; =>This Inner Loop Header: Depth=1
	s_waitcnt lgkmcnt(0)
	v_cmp_gt_f64_e32 vcc_lo, 0, v[204:205]
	v_cmp_gt_f64_e64 s0, 0, v[202:203]
	ds_read2_b64 v[217:220], v211 offset1:1
	v_xor_b32_e32 v222, 0x80000000, v203
	v_xor_b32_e32 v224, 0x80000000, v205
	v_mov_b32_e32 v221, v202
	v_mov_b32_e32 v223, v204
	v_add_nc_u32_e32 v211, 16, v211
	s_waitcnt lgkmcnt(0)
	v_xor_b32_e32 v226, 0x80000000, v220
	v_cndmask_b32_e64 v222, v203, v222, s0
	v_cndmask_b32_e32 v224, v205, v224, vcc_lo
	v_cmp_gt_f64_e32 vcc_lo, 0, v[219:220]
	v_cmp_gt_f64_e64 s0, 0, v[217:218]
	v_mov_b32_e32 v225, v219
	v_add_f64 v[221:222], v[221:222], v[223:224]
	v_xor_b32_e32 v224, 0x80000000, v218
	v_mov_b32_e32 v223, v217
	v_cndmask_b32_e32 v226, v220, v226, vcc_lo
	v_cndmask_b32_e64 v224, v218, v224, s0
	v_add_f64 v[223:224], v[223:224], v[225:226]
	v_cmp_lt_f64_e32 vcc_lo, v[221:222], v[223:224]
	v_cndmask_b32_e32 v203, v203, v218, vcc_lo
	v_cndmask_b32_e32 v202, v202, v217, vcc_lo
	;; [unrolled: 1-line block ×4, first 2 shown]
	v_cndmask_b32_e64 v210, v210, s7, vcc_lo
	s_add_i32 s7, s7, 1
	s_cmp_lg_u32 s1, s7
	s_cbranch_scc1 .LBB98_484
.LBB98_485:
	s_inst_prefetch 0x2
	s_waitcnt lgkmcnt(0)
	v_cmp_eq_f64_e32 vcc_lo, 0, v[202:203]
	v_cmp_eq_f64_e64 s0, 0, v[204:205]
	s_and_b32 s0, vcc_lo, s0
	s_and_saveexec_b32 s7, s0
	s_xor_b32 s0, exec_lo, s7
; %bb.486:
	v_cmp_ne_u32_e32 vcc_lo, 0, v215
	v_cndmask_b32_e32 v215, 24, v215, vcc_lo
; %bb.487:
	s_andn2_saveexec_b32 s0, s0
	s_cbranch_execz .LBB98_493
; %bb.488:
	v_cmp_ngt_f64_e64 s7, |v[202:203]|, |v[204:205]|
	s_and_saveexec_b32 s8, s7
	s_xor_b32 s7, exec_lo, s8
	s_cbranch_execz .LBB98_490
; %bb.489:
	v_div_scale_f64 v[217:218], null, v[204:205], v[204:205], v[202:203]
	v_div_scale_f64 v[223:224], vcc_lo, v[202:203], v[204:205], v[202:203]
	v_rcp_f64_e32 v[219:220], v[217:218]
	v_fma_f64 v[221:222], -v[217:218], v[219:220], 1.0
	v_fma_f64 v[219:220], v[219:220], v[221:222], v[219:220]
	v_fma_f64 v[221:222], -v[217:218], v[219:220], 1.0
	v_fma_f64 v[219:220], v[219:220], v[221:222], v[219:220]
	v_mul_f64 v[221:222], v[223:224], v[219:220]
	v_fma_f64 v[217:218], -v[217:218], v[221:222], v[223:224]
	v_div_fmas_f64 v[217:218], v[217:218], v[219:220], v[221:222]
	v_div_fixup_f64 v[217:218], v[217:218], v[204:205], v[202:203]
	v_fma_f64 v[202:203], v[202:203], v[217:218], v[204:205]
	v_div_scale_f64 v[204:205], null, v[202:203], v[202:203], 1.0
	v_rcp_f64_e32 v[219:220], v[204:205]
	v_fma_f64 v[221:222], -v[204:205], v[219:220], 1.0
	v_fma_f64 v[219:220], v[219:220], v[221:222], v[219:220]
	v_fma_f64 v[221:222], -v[204:205], v[219:220], 1.0
	v_fma_f64 v[219:220], v[219:220], v[221:222], v[219:220]
	v_div_scale_f64 v[221:222], vcc_lo, 1.0, v[202:203], 1.0
	v_mul_f64 v[223:224], v[221:222], v[219:220]
	v_fma_f64 v[204:205], -v[204:205], v[223:224], v[221:222]
	v_div_fmas_f64 v[204:205], v[204:205], v[219:220], v[223:224]
	v_div_fixup_f64 v[204:205], v[204:205], v[202:203], 1.0
	v_mul_f64 v[202:203], v[217:218], v[204:205]
	v_xor_b32_e32 v205, 0x80000000, v205
.LBB98_490:
	s_andn2_saveexec_b32 s7, s7
	s_cbranch_execz .LBB98_492
; %bb.491:
	v_div_scale_f64 v[217:218], null, v[202:203], v[202:203], v[204:205]
	v_div_scale_f64 v[223:224], vcc_lo, v[204:205], v[202:203], v[204:205]
	v_rcp_f64_e32 v[219:220], v[217:218]
	v_fma_f64 v[221:222], -v[217:218], v[219:220], 1.0
	v_fma_f64 v[219:220], v[219:220], v[221:222], v[219:220]
	v_fma_f64 v[221:222], -v[217:218], v[219:220], 1.0
	v_fma_f64 v[219:220], v[219:220], v[221:222], v[219:220]
	v_mul_f64 v[221:222], v[223:224], v[219:220]
	v_fma_f64 v[217:218], -v[217:218], v[221:222], v[223:224]
	v_div_fmas_f64 v[217:218], v[217:218], v[219:220], v[221:222]
	v_div_fixup_f64 v[217:218], v[217:218], v[202:203], v[204:205]
	v_fma_f64 v[202:203], v[204:205], v[217:218], v[202:203]
	v_div_scale_f64 v[204:205], null, v[202:203], v[202:203], 1.0
	v_rcp_f64_e32 v[219:220], v[204:205]
	v_fma_f64 v[221:222], -v[204:205], v[219:220], 1.0
	v_fma_f64 v[219:220], v[219:220], v[221:222], v[219:220]
	v_fma_f64 v[221:222], -v[204:205], v[219:220], 1.0
	v_fma_f64 v[219:220], v[219:220], v[221:222], v[219:220]
	v_div_scale_f64 v[221:222], vcc_lo, 1.0, v[202:203], 1.0
	v_mul_f64 v[223:224], v[221:222], v[219:220]
	v_fma_f64 v[204:205], -v[204:205], v[223:224], v[221:222]
	v_div_fmas_f64 v[204:205], v[204:205], v[219:220], v[223:224]
	v_div_fixup_f64 v[202:203], v[204:205], v[202:203], 1.0
	v_mul_f64 v[204:205], v[217:218], -v[202:203]
.LBB98_492:
	s_or_b32 exec_lo, exec_lo, s7
.LBB98_493:
	s_or_b32 exec_lo, exec_lo, s0
	s_mov_b32 s0, exec_lo
	v_cmpx_ne_u32_e64 v216, v210
	s_xor_b32 s0, exec_lo, s0
	s_cbranch_execz .LBB98_499
; %bb.494:
	s_mov_b32 s7, exec_lo
	v_cmpx_eq_u32_e32 23, v216
	s_cbranch_execz .LBB98_498
; %bb.495:
	v_cmp_ne_u32_e32 vcc_lo, 23, v210
	s_xor_b32 s8, s16, -1
	s_and_b32 s9, s8, vcc_lo
	s_and_saveexec_b32 s8, s9
	s_cbranch_execz .LBB98_497
; %bb.496:
	v_ashrrev_i32_e32 v211, 31, v210
	v_lshlrev_b64 v[216:217], 2, v[210:211]
	v_add_co_u32 v216, vcc_lo, v208, v216
	v_add_co_ci_u32_e64 v217, null, v209, v217, vcc_lo
	s_clause 0x1
	global_load_dword v0, v[216:217], off
	global_load_dword v211, v[208:209], off offset:92
	s_waitcnt vmcnt(1)
	global_store_dword v[208:209], v0, off offset:92
	s_waitcnt vmcnt(0)
	global_store_dword v[216:217], v211, off
.LBB98_497:
	s_or_b32 exec_lo, exec_lo, s8
	v_mov_b32_e32 v216, v210
	v_mov_b32_e32 v0, v210
.LBB98_498:
	s_or_b32 exec_lo, exec_lo, s7
.LBB98_499:
	s_andn2_saveexec_b32 s0, s0
	s_cbranch_execz .LBB98_501
; %bb.500:
	v_mov_b32_e32 v216, 23
	ds_write2_b64 v1, v[102:103], v[104:105] offset0:48 offset1:49
	ds_write2_b64 v1, v[98:99], v[100:101] offset0:50 offset1:51
	;; [unrolled: 1-line block ×26, first 2 shown]
.LBB98_501:
	s_or_b32 exec_lo, exec_lo, s0
	s_mov_b32 s0, exec_lo
	s_waitcnt lgkmcnt(0)
	s_waitcnt_vscnt null, 0x0
	s_barrier
	buffer_gl0_inv
	v_cmpx_lt_i32_e32 23, v216
	s_cbranch_execz .LBB98_503
; %bb.502:
	v_mul_f64 v[210:211], v[204:205], v[108:109]
	v_mul_f64 v[108:109], v[202:203], v[108:109]
	v_fma_f64 v[210:211], v[202:203], v[106:107], -v[210:211]
	v_fma_f64 v[108:109], v[204:205], v[106:107], v[108:109]
	ds_read2_b64 v[202:205], v1 offset0:48 offset1:49
	s_waitcnt lgkmcnt(0)
	v_mul_f64 v[106:107], v[204:205], v[108:109]
	v_fma_f64 v[106:107], v[202:203], v[210:211], -v[106:107]
	v_mul_f64 v[202:203], v[202:203], v[108:109]
	v_add_f64 v[102:103], v[102:103], -v[106:107]
	v_fma_f64 v[202:203], v[204:205], v[210:211], v[202:203]
	v_add_f64 v[104:105], v[104:105], -v[202:203]
	ds_read2_b64 v[202:205], v1 offset0:50 offset1:51
	s_waitcnt lgkmcnt(0)
	v_mul_f64 v[106:107], v[204:205], v[108:109]
	v_fma_f64 v[106:107], v[202:203], v[210:211], -v[106:107]
	v_mul_f64 v[202:203], v[202:203], v[108:109]
	v_add_f64 v[98:99], v[98:99], -v[106:107]
	v_fma_f64 v[202:203], v[204:205], v[210:211], v[202:203]
	v_add_f64 v[100:101], v[100:101], -v[202:203]
	;; [unrolled: 8-line block ×25, first 2 shown]
	ds_read2_b64 v[202:205], v1 offset0:98 offset1:99
	s_waitcnt lgkmcnt(0)
	v_mul_f64 v[106:107], v[204:205], v[108:109]
	v_fma_f64 v[106:107], v[202:203], v[210:211], -v[106:107]
	v_mul_f64 v[202:203], v[202:203], v[108:109]
	v_add_f64 v[2:3], v[2:3], -v[106:107]
	v_fma_f64 v[202:203], v[204:205], v[210:211], v[202:203]
	v_mov_b32_e32 v106, v210
	v_mov_b32_e32 v107, v211
	v_add_f64 v[4:5], v[4:5], -v[202:203]
.LBB98_503:
	s_or_b32 exec_lo, exec_lo, s0
	v_lshl_add_u32 v202, v216, 4, v1
	s_barrier
	buffer_gl0_inv
	v_mov_b32_e32 v210, 24
	ds_write2_b64 v202, v[102:103], v[104:105] offset1:1
	s_waitcnt lgkmcnt(0)
	s_barrier
	buffer_gl0_inv
	ds_read2_b64 v[202:205], v1 offset0:48 offset1:49
	s_cmp_lt_i32 s1, 26
	s_cbranch_scc1 .LBB98_506
; %bb.504:
	v_add3_u32 v211, v212, 0, 0x190
	v_mov_b32_e32 v210, 24
	s_mov_b32 s7, 25
	s_inst_prefetch 0x1
	.p2align	6
.LBB98_505:                             ; =>This Inner Loop Header: Depth=1
	s_waitcnt lgkmcnt(0)
	v_cmp_gt_f64_e32 vcc_lo, 0, v[204:205]
	v_cmp_gt_f64_e64 s0, 0, v[202:203]
	ds_read2_b64 v[217:220], v211 offset1:1
	v_xor_b32_e32 v222, 0x80000000, v203
	v_xor_b32_e32 v224, 0x80000000, v205
	v_mov_b32_e32 v221, v202
	v_mov_b32_e32 v223, v204
	v_add_nc_u32_e32 v211, 16, v211
	s_waitcnt lgkmcnt(0)
	v_xor_b32_e32 v226, 0x80000000, v220
	v_cndmask_b32_e64 v222, v203, v222, s0
	v_cndmask_b32_e32 v224, v205, v224, vcc_lo
	v_cmp_gt_f64_e32 vcc_lo, 0, v[219:220]
	v_cmp_gt_f64_e64 s0, 0, v[217:218]
	v_mov_b32_e32 v225, v219
	v_add_f64 v[221:222], v[221:222], v[223:224]
	v_xor_b32_e32 v224, 0x80000000, v218
	v_mov_b32_e32 v223, v217
	v_cndmask_b32_e32 v226, v220, v226, vcc_lo
	v_cndmask_b32_e64 v224, v218, v224, s0
	v_add_f64 v[223:224], v[223:224], v[225:226]
	v_cmp_lt_f64_e32 vcc_lo, v[221:222], v[223:224]
	v_cndmask_b32_e32 v203, v203, v218, vcc_lo
	v_cndmask_b32_e32 v202, v202, v217, vcc_lo
	;; [unrolled: 1-line block ×4, first 2 shown]
	v_cndmask_b32_e64 v210, v210, s7, vcc_lo
	s_add_i32 s7, s7, 1
	s_cmp_lg_u32 s1, s7
	s_cbranch_scc1 .LBB98_505
.LBB98_506:
	s_inst_prefetch 0x2
	s_waitcnt lgkmcnt(0)
	v_cmp_eq_f64_e32 vcc_lo, 0, v[202:203]
	v_cmp_eq_f64_e64 s0, 0, v[204:205]
	s_and_b32 s0, vcc_lo, s0
	s_and_saveexec_b32 s7, s0
	s_xor_b32 s0, exec_lo, s7
; %bb.507:
	v_cmp_ne_u32_e32 vcc_lo, 0, v215
	v_cndmask_b32_e32 v215, 25, v215, vcc_lo
; %bb.508:
	s_andn2_saveexec_b32 s0, s0
	s_cbranch_execz .LBB98_514
; %bb.509:
	v_cmp_ngt_f64_e64 s7, |v[202:203]|, |v[204:205]|
	s_and_saveexec_b32 s8, s7
	s_xor_b32 s7, exec_lo, s8
	s_cbranch_execz .LBB98_511
; %bb.510:
	v_div_scale_f64 v[217:218], null, v[204:205], v[204:205], v[202:203]
	v_div_scale_f64 v[223:224], vcc_lo, v[202:203], v[204:205], v[202:203]
	v_rcp_f64_e32 v[219:220], v[217:218]
	v_fma_f64 v[221:222], -v[217:218], v[219:220], 1.0
	v_fma_f64 v[219:220], v[219:220], v[221:222], v[219:220]
	v_fma_f64 v[221:222], -v[217:218], v[219:220], 1.0
	v_fma_f64 v[219:220], v[219:220], v[221:222], v[219:220]
	v_mul_f64 v[221:222], v[223:224], v[219:220]
	v_fma_f64 v[217:218], -v[217:218], v[221:222], v[223:224]
	v_div_fmas_f64 v[217:218], v[217:218], v[219:220], v[221:222]
	v_div_fixup_f64 v[217:218], v[217:218], v[204:205], v[202:203]
	v_fma_f64 v[202:203], v[202:203], v[217:218], v[204:205]
	v_div_scale_f64 v[204:205], null, v[202:203], v[202:203], 1.0
	v_rcp_f64_e32 v[219:220], v[204:205]
	v_fma_f64 v[221:222], -v[204:205], v[219:220], 1.0
	v_fma_f64 v[219:220], v[219:220], v[221:222], v[219:220]
	v_fma_f64 v[221:222], -v[204:205], v[219:220], 1.0
	v_fma_f64 v[219:220], v[219:220], v[221:222], v[219:220]
	v_div_scale_f64 v[221:222], vcc_lo, 1.0, v[202:203], 1.0
	v_mul_f64 v[223:224], v[221:222], v[219:220]
	v_fma_f64 v[204:205], -v[204:205], v[223:224], v[221:222]
	v_div_fmas_f64 v[204:205], v[204:205], v[219:220], v[223:224]
	v_div_fixup_f64 v[204:205], v[204:205], v[202:203], 1.0
	v_mul_f64 v[202:203], v[217:218], v[204:205]
	v_xor_b32_e32 v205, 0x80000000, v205
.LBB98_511:
	s_andn2_saveexec_b32 s7, s7
	s_cbranch_execz .LBB98_513
; %bb.512:
	v_div_scale_f64 v[217:218], null, v[202:203], v[202:203], v[204:205]
	v_div_scale_f64 v[223:224], vcc_lo, v[204:205], v[202:203], v[204:205]
	v_rcp_f64_e32 v[219:220], v[217:218]
	v_fma_f64 v[221:222], -v[217:218], v[219:220], 1.0
	v_fma_f64 v[219:220], v[219:220], v[221:222], v[219:220]
	v_fma_f64 v[221:222], -v[217:218], v[219:220], 1.0
	v_fma_f64 v[219:220], v[219:220], v[221:222], v[219:220]
	v_mul_f64 v[221:222], v[223:224], v[219:220]
	v_fma_f64 v[217:218], -v[217:218], v[221:222], v[223:224]
	v_div_fmas_f64 v[217:218], v[217:218], v[219:220], v[221:222]
	v_div_fixup_f64 v[217:218], v[217:218], v[202:203], v[204:205]
	v_fma_f64 v[202:203], v[204:205], v[217:218], v[202:203]
	v_div_scale_f64 v[204:205], null, v[202:203], v[202:203], 1.0
	v_rcp_f64_e32 v[219:220], v[204:205]
	v_fma_f64 v[221:222], -v[204:205], v[219:220], 1.0
	v_fma_f64 v[219:220], v[219:220], v[221:222], v[219:220]
	v_fma_f64 v[221:222], -v[204:205], v[219:220], 1.0
	v_fma_f64 v[219:220], v[219:220], v[221:222], v[219:220]
	v_div_scale_f64 v[221:222], vcc_lo, 1.0, v[202:203], 1.0
	v_mul_f64 v[223:224], v[221:222], v[219:220]
	v_fma_f64 v[204:205], -v[204:205], v[223:224], v[221:222]
	v_div_fmas_f64 v[204:205], v[204:205], v[219:220], v[223:224]
	v_div_fixup_f64 v[202:203], v[204:205], v[202:203], 1.0
	v_mul_f64 v[204:205], v[217:218], -v[202:203]
.LBB98_513:
	s_or_b32 exec_lo, exec_lo, s7
.LBB98_514:
	s_or_b32 exec_lo, exec_lo, s0
	s_mov_b32 s0, exec_lo
	v_cmpx_ne_u32_e64 v216, v210
	s_xor_b32 s0, exec_lo, s0
	s_cbranch_execz .LBB98_520
; %bb.515:
	s_mov_b32 s7, exec_lo
	v_cmpx_eq_u32_e32 24, v216
	s_cbranch_execz .LBB98_519
; %bb.516:
	v_cmp_ne_u32_e32 vcc_lo, 24, v210
	s_xor_b32 s8, s16, -1
	s_and_b32 s9, s8, vcc_lo
	s_and_saveexec_b32 s8, s9
	s_cbranch_execz .LBB98_518
; %bb.517:
	v_ashrrev_i32_e32 v211, 31, v210
	v_lshlrev_b64 v[216:217], 2, v[210:211]
	v_add_co_u32 v216, vcc_lo, v208, v216
	v_add_co_ci_u32_e64 v217, null, v209, v217, vcc_lo
	s_clause 0x1
	global_load_dword v0, v[216:217], off
	global_load_dword v211, v[208:209], off offset:96
	s_waitcnt vmcnt(1)
	global_store_dword v[208:209], v0, off offset:96
	s_waitcnt vmcnt(0)
	global_store_dword v[216:217], v211, off
.LBB98_518:
	s_or_b32 exec_lo, exec_lo, s8
	v_mov_b32_e32 v216, v210
	v_mov_b32_e32 v0, v210
.LBB98_519:
	s_or_b32 exec_lo, exec_lo, s7
.LBB98_520:
	s_andn2_saveexec_b32 s0, s0
	s_cbranch_execz .LBB98_522
; %bb.521:
	v_mov_b32_e32 v216, 24
	ds_write2_b64 v1, v[98:99], v[100:101] offset0:50 offset1:51
	ds_write2_b64 v1, v[94:95], v[96:97] offset0:52 offset1:53
	;; [unrolled: 1-line block ×25, first 2 shown]
.LBB98_522:
	s_or_b32 exec_lo, exec_lo, s0
	s_mov_b32 s0, exec_lo
	s_waitcnt lgkmcnt(0)
	s_waitcnt_vscnt null, 0x0
	s_barrier
	buffer_gl0_inv
	v_cmpx_lt_i32_e32 24, v216
	s_cbranch_execz .LBB98_524
; %bb.523:
	v_mul_f64 v[210:211], v[204:205], v[104:105]
	v_mul_f64 v[104:105], v[202:203], v[104:105]
	v_fma_f64 v[210:211], v[202:203], v[102:103], -v[210:211]
	v_fma_f64 v[104:105], v[204:205], v[102:103], v[104:105]
	ds_read2_b64 v[202:205], v1 offset0:50 offset1:51
	s_waitcnt lgkmcnt(0)
	v_mul_f64 v[102:103], v[204:205], v[104:105]
	v_fma_f64 v[102:103], v[202:203], v[210:211], -v[102:103]
	v_mul_f64 v[202:203], v[202:203], v[104:105]
	v_add_f64 v[98:99], v[98:99], -v[102:103]
	v_fma_f64 v[202:203], v[204:205], v[210:211], v[202:203]
	v_add_f64 v[100:101], v[100:101], -v[202:203]
	ds_read2_b64 v[202:205], v1 offset0:52 offset1:53
	s_waitcnt lgkmcnt(0)
	v_mul_f64 v[102:103], v[204:205], v[104:105]
	v_fma_f64 v[102:103], v[202:203], v[210:211], -v[102:103]
	v_mul_f64 v[202:203], v[202:203], v[104:105]
	v_add_f64 v[94:95], v[94:95], -v[102:103]
	v_fma_f64 v[202:203], v[204:205], v[210:211], v[202:203]
	v_add_f64 v[96:97], v[96:97], -v[202:203]
	;; [unrolled: 8-line block ×24, first 2 shown]
	ds_read2_b64 v[202:205], v1 offset0:98 offset1:99
	s_waitcnt lgkmcnt(0)
	v_mul_f64 v[102:103], v[204:205], v[104:105]
	v_fma_f64 v[102:103], v[202:203], v[210:211], -v[102:103]
	v_mul_f64 v[202:203], v[202:203], v[104:105]
	v_add_f64 v[2:3], v[2:3], -v[102:103]
	v_fma_f64 v[202:203], v[204:205], v[210:211], v[202:203]
	v_mov_b32_e32 v102, v210
	v_mov_b32_e32 v103, v211
	v_add_f64 v[4:5], v[4:5], -v[202:203]
.LBB98_524:
	s_or_b32 exec_lo, exec_lo, s0
	v_lshl_add_u32 v202, v216, 4, v1
	s_barrier
	buffer_gl0_inv
	v_mov_b32_e32 v210, 25
	ds_write2_b64 v202, v[98:99], v[100:101] offset1:1
	s_waitcnt lgkmcnt(0)
	s_barrier
	buffer_gl0_inv
	ds_read2_b64 v[202:205], v1 offset0:50 offset1:51
	s_cmp_lt_i32 s1, 27
	s_cbranch_scc1 .LBB98_527
; %bb.525:
	v_add3_u32 v211, v212, 0, 0x1a0
	v_mov_b32_e32 v210, 25
	s_mov_b32 s7, 26
	s_inst_prefetch 0x1
	.p2align	6
.LBB98_526:                             ; =>This Inner Loop Header: Depth=1
	s_waitcnt lgkmcnt(0)
	v_cmp_gt_f64_e32 vcc_lo, 0, v[204:205]
	v_cmp_gt_f64_e64 s0, 0, v[202:203]
	ds_read2_b64 v[217:220], v211 offset1:1
	v_xor_b32_e32 v222, 0x80000000, v203
	v_xor_b32_e32 v224, 0x80000000, v205
	v_mov_b32_e32 v221, v202
	v_mov_b32_e32 v223, v204
	v_add_nc_u32_e32 v211, 16, v211
	s_waitcnt lgkmcnt(0)
	v_xor_b32_e32 v226, 0x80000000, v220
	v_cndmask_b32_e64 v222, v203, v222, s0
	v_cndmask_b32_e32 v224, v205, v224, vcc_lo
	v_cmp_gt_f64_e32 vcc_lo, 0, v[219:220]
	v_cmp_gt_f64_e64 s0, 0, v[217:218]
	v_mov_b32_e32 v225, v219
	v_add_f64 v[221:222], v[221:222], v[223:224]
	v_xor_b32_e32 v224, 0x80000000, v218
	v_mov_b32_e32 v223, v217
	v_cndmask_b32_e32 v226, v220, v226, vcc_lo
	v_cndmask_b32_e64 v224, v218, v224, s0
	v_add_f64 v[223:224], v[223:224], v[225:226]
	v_cmp_lt_f64_e32 vcc_lo, v[221:222], v[223:224]
	v_cndmask_b32_e32 v203, v203, v218, vcc_lo
	v_cndmask_b32_e32 v202, v202, v217, vcc_lo
	;; [unrolled: 1-line block ×4, first 2 shown]
	v_cndmask_b32_e64 v210, v210, s7, vcc_lo
	s_add_i32 s7, s7, 1
	s_cmp_lg_u32 s1, s7
	s_cbranch_scc1 .LBB98_526
.LBB98_527:
	s_inst_prefetch 0x2
	s_waitcnt lgkmcnt(0)
	v_cmp_eq_f64_e32 vcc_lo, 0, v[202:203]
	v_cmp_eq_f64_e64 s0, 0, v[204:205]
	s_and_b32 s0, vcc_lo, s0
	s_and_saveexec_b32 s7, s0
	s_xor_b32 s0, exec_lo, s7
; %bb.528:
	v_cmp_ne_u32_e32 vcc_lo, 0, v215
	v_cndmask_b32_e32 v215, 26, v215, vcc_lo
; %bb.529:
	s_andn2_saveexec_b32 s0, s0
	s_cbranch_execz .LBB98_535
; %bb.530:
	v_cmp_ngt_f64_e64 s7, |v[202:203]|, |v[204:205]|
	s_and_saveexec_b32 s8, s7
	s_xor_b32 s7, exec_lo, s8
	s_cbranch_execz .LBB98_532
; %bb.531:
	v_div_scale_f64 v[217:218], null, v[204:205], v[204:205], v[202:203]
	v_div_scale_f64 v[223:224], vcc_lo, v[202:203], v[204:205], v[202:203]
	v_rcp_f64_e32 v[219:220], v[217:218]
	v_fma_f64 v[221:222], -v[217:218], v[219:220], 1.0
	v_fma_f64 v[219:220], v[219:220], v[221:222], v[219:220]
	v_fma_f64 v[221:222], -v[217:218], v[219:220], 1.0
	v_fma_f64 v[219:220], v[219:220], v[221:222], v[219:220]
	v_mul_f64 v[221:222], v[223:224], v[219:220]
	v_fma_f64 v[217:218], -v[217:218], v[221:222], v[223:224]
	v_div_fmas_f64 v[217:218], v[217:218], v[219:220], v[221:222]
	v_div_fixup_f64 v[217:218], v[217:218], v[204:205], v[202:203]
	v_fma_f64 v[202:203], v[202:203], v[217:218], v[204:205]
	v_div_scale_f64 v[204:205], null, v[202:203], v[202:203], 1.0
	v_rcp_f64_e32 v[219:220], v[204:205]
	v_fma_f64 v[221:222], -v[204:205], v[219:220], 1.0
	v_fma_f64 v[219:220], v[219:220], v[221:222], v[219:220]
	v_fma_f64 v[221:222], -v[204:205], v[219:220], 1.0
	v_fma_f64 v[219:220], v[219:220], v[221:222], v[219:220]
	v_div_scale_f64 v[221:222], vcc_lo, 1.0, v[202:203], 1.0
	v_mul_f64 v[223:224], v[221:222], v[219:220]
	v_fma_f64 v[204:205], -v[204:205], v[223:224], v[221:222]
	v_div_fmas_f64 v[204:205], v[204:205], v[219:220], v[223:224]
	v_div_fixup_f64 v[204:205], v[204:205], v[202:203], 1.0
	v_mul_f64 v[202:203], v[217:218], v[204:205]
	v_xor_b32_e32 v205, 0x80000000, v205
.LBB98_532:
	s_andn2_saveexec_b32 s7, s7
	s_cbranch_execz .LBB98_534
; %bb.533:
	v_div_scale_f64 v[217:218], null, v[202:203], v[202:203], v[204:205]
	v_div_scale_f64 v[223:224], vcc_lo, v[204:205], v[202:203], v[204:205]
	v_rcp_f64_e32 v[219:220], v[217:218]
	v_fma_f64 v[221:222], -v[217:218], v[219:220], 1.0
	v_fma_f64 v[219:220], v[219:220], v[221:222], v[219:220]
	v_fma_f64 v[221:222], -v[217:218], v[219:220], 1.0
	v_fma_f64 v[219:220], v[219:220], v[221:222], v[219:220]
	v_mul_f64 v[221:222], v[223:224], v[219:220]
	v_fma_f64 v[217:218], -v[217:218], v[221:222], v[223:224]
	v_div_fmas_f64 v[217:218], v[217:218], v[219:220], v[221:222]
	v_div_fixup_f64 v[217:218], v[217:218], v[202:203], v[204:205]
	v_fma_f64 v[202:203], v[204:205], v[217:218], v[202:203]
	v_div_scale_f64 v[204:205], null, v[202:203], v[202:203], 1.0
	v_rcp_f64_e32 v[219:220], v[204:205]
	v_fma_f64 v[221:222], -v[204:205], v[219:220], 1.0
	v_fma_f64 v[219:220], v[219:220], v[221:222], v[219:220]
	v_fma_f64 v[221:222], -v[204:205], v[219:220], 1.0
	v_fma_f64 v[219:220], v[219:220], v[221:222], v[219:220]
	v_div_scale_f64 v[221:222], vcc_lo, 1.0, v[202:203], 1.0
	v_mul_f64 v[223:224], v[221:222], v[219:220]
	v_fma_f64 v[204:205], -v[204:205], v[223:224], v[221:222]
	v_div_fmas_f64 v[204:205], v[204:205], v[219:220], v[223:224]
	v_div_fixup_f64 v[202:203], v[204:205], v[202:203], 1.0
	v_mul_f64 v[204:205], v[217:218], -v[202:203]
.LBB98_534:
	s_or_b32 exec_lo, exec_lo, s7
.LBB98_535:
	s_or_b32 exec_lo, exec_lo, s0
	s_mov_b32 s0, exec_lo
	v_cmpx_ne_u32_e64 v216, v210
	s_xor_b32 s0, exec_lo, s0
	s_cbranch_execz .LBB98_541
; %bb.536:
	s_mov_b32 s7, exec_lo
	v_cmpx_eq_u32_e32 25, v216
	s_cbranch_execz .LBB98_540
; %bb.537:
	v_cmp_ne_u32_e32 vcc_lo, 25, v210
	s_xor_b32 s8, s16, -1
	s_and_b32 s9, s8, vcc_lo
	s_and_saveexec_b32 s8, s9
	s_cbranch_execz .LBB98_539
; %bb.538:
	v_ashrrev_i32_e32 v211, 31, v210
	v_lshlrev_b64 v[216:217], 2, v[210:211]
	v_add_co_u32 v216, vcc_lo, v208, v216
	v_add_co_ci_u32_e64 v217, null, v209, v217, vcc_lo
	s_clause 0x1
	global_load_dword v0, v[216:217], off
	global_load_dword v211, v[208:209], off offset:100
	s_waitcnt vmcnt(1)
	global_store_dword v[208:209], v0, off offset:100
	s_waitcnt vmcnt(0)
	global_store_dword v[216:217], v211, off
.LBB98_539:
	s_or_b32 exec_lo, exec_lo, s8
	v_mov_b32_e32 v216, v210
	v_mov_b32_e32 v0, v210
.LBB98_540:
	s_or_b32 exec_lo, exec_lo, s7
.LBB98_541:
	s_andn2_saveexec_b32 s0, s0
	s_cbranch_execz .LBB98_543
; %bb.542:
	v_mov_b32_e32 v216, 25
	ds_write2_b64 v1, v[94:95], v[96:97] offset0:52 offset1:53
	ds_write2_b64 v1, v[90:91], v[92:93] offset0:54 offset1:55
	;; [unrolled: 1-line block ×24, first 2 shown]
.LBB98_543:
	s_or_b32 exec_lo, exec_lo, s0
	s_mov_b32 s0, exec_lo
	s_waitcnt lgkmcnt(0)
	s_waitcnt_vscnt null, 0x0
	s_barrier
	buffer_gl0_inv
	v_cmpx_lt_i32_e32 25, v216
	s_cbranch_execz .LBB98_545
; %bb.544:
	v_mul_f64 v[210:211], v[204:205], v[100:101]
	v_mul_f64 v[100:101], v[202:203], v[100:101]
	v_fma_f64 v[210:211], v[202:203], v[98:99], -v[210:211]
	v_fma_f64 v[100:101], v[204:205], v[98:99], v[100:101]
	ds_read2_b64 v[202:205], v1 offset0:52 offset1:53
	s_waitcnt lgkmcnt(0)
	v_mul_f64 v[98:99], v[204:205], v[100:101]
	v_fma_f64 v[98:99], v[202:203], v[210:211], -v[98:99]
	v_mul_f64 v[202:203], v[202:203], v[100:101]
	v_add_f64 v[94:95], v[94:95], -v[98:99]
	v_fma_f64 v[202:203], v[204:205], v[210:211], v[202:203]
	v_add_f64 v[96:97], v[96:97], -v[202:203]
	ds_read2_b64 v[202:205], v1 offset0:54 offset1:55
	s_waitcnt lgkmcnt(0)
	v_mul_f64 v[98:99], v[204:205], v[100:101]
	v_fma_f64 v[98:99], v[202:203], v[210:211], -v[98:99]
	v_mul_f64 v[202:203], v[202:203], v[100:101]
	v_add_f64 v[90:91], v[90:91], -v[98:99]
	v_fma_f64 v[202:203], v[204:205], v[210:211], v[202:203]
	v_add_f64 v[92:93], v[92:93], -v[202:203]
	ds_read2_b64 v[202:205], v1 offset0:56 offset1:57
	s_waitcnt lgkmcnt(0)
	v_mul_f64 v[98:99], v[204:205], v[100:101]
	v_fma_f64 v[98:99], v[202:203], v[210:211], -v[98:99]
	v_mul_f64 v[202:203], v[202:203], v[100:101]
	v_add_f64 v[86:87], v[86:87], -v[98:99]
	v_fma_f64 v[202:203], v[204:205], v[210:211], v[202:203]
	v_add_f64 v[88:89], v[88:89], -v[202:203]
	ds_read2_b64 v[202:205], v1 offset0:58 offset1:59
	s_waitcnt lgkmcnt(0)
	v_mul_f64 v[98:99], v[204:205], v[100:101]
	v_fma_f64 v[98:99], v[202:203], v[210:211], -v[98:99]
	v_mul_f64 v[202:203], v[202:203], v[100:101]
	v_add_f64 v[82:83], v[82:83], -v[98:99]
	v_fma_f64 v[202:203], v[204:205], v[210:211], v[202:203]
	v_add_f64 v[84:85], v[84:85], -v[202:203]
	ds_read2_b64 v[202:205], v1 offset0:60 offset1:61
	s_waitcnt lgkmcnt(0)
	v_mul_f64 v[98:99], v[204:205], v[100:101]
	v_fma_f64 v[98:99], v[202:203], v[210:211], -v[98:99]
	v_mul_f64 v[202:203], v[202:203], v[100:101]
	v_add_f64 v[78:79], v[78:79], -v[98:99]
	v_fma_f64 v[202:203], v[204:205], v[210:211], v[202:203]
	v_add_f64 v[80:81], v[80:81], -v[202:203]
	ds_read2_b64 v[202:205], v1 offset0:62 offset1:63
	s_waitcnt lgkmcnt(0)
	v_mul_f64 v[98:99], v[204:205], v[100:101]
	v_fma_f64 v[98:99], v[202:203], v[210:211], -v[98:99]
	v_mul_f64 v[202:203], v[202:203], v[100:101]
	v_add_f64 v[74:75], v[74:75], -v[98:99]
	v_fma_f64 v[202:203], v[204:205], v[210:211], v[202:203]
	v_add_f64 v[76:77], v[76:77], -v[202:203]
	ds_read2_b64 v[202:205], v1 offset0:64 offset1:65
	s_waitcnt lgkmcnt(0)
	v_mul_f64 v[98:99], v[204:205], v[100:101]
	v_fma_f64 v[98:99], v[202:203], v[210:211], -v[98:99]
	v_mul_f64 v[202:203], v[202:203], v[100:101]
	v_add_f64 v[70:71], v[70:71], -v[98:99]
	v_fma_f64 v[202:203], v[204:205], v[210:211], v[202:203]
	v_add_f64 v[72:73], v[72:73], -v[202:203]
	ds_read2_b64 v[202:205], v1 offset0:66 offset1:67
	s_waitcnt lgkmcnt(0)
	v_mul_f64 v[98:99], v[204:205], v[100:101]
	v_fma_f64 v[98:99], v[202:203], v[210:211], -v[98:99]
	v_mul_f64 v[202:203], v[202:203], v[100:101]
	v_add_f64 v[66:67], v[66:67], -v[98:99]
	v_fma_f64 v[202:203], v[204:205], v[210:211], v[202:203]
	v_add_f64 v[68:69], v[68:69], -v[202:203]
	ds_read2_b64 v[202:205], v1 offset0:68 offset1:69
	s_waitcnt lgkmcnt(0)
	v_mul_f64 v[98:99], v[204:205], v[100:101]
	v_fma_f64 v[98:99], v[202:203], v[210:211], -v[98:99]
	v_mul_f64 v[202:203], v[202:203], v[100:101]
	v_add_f64 v[62:63], v[62:63], -v[98:99]
	v_fma_f64 v[202:203], v[204:205], v[210:211], v[202:203]
	v_add_f64 v[64:65], v[64:65], -v[202:203]
	ds_read2_b64 v[202:205], v1 offset0:70 offset1:71
	s_waitcnt lgkmcnt(0)
	v_mul_f64 v[98:99], v[204:205], v[100:101]
	v_fma_f64 v[98:99], v[202:203], v[210:211], -v[98:99]
	v_mul_f64 v[202:203], v[202:203], v[100:101]
	v_add_f64 v[58:59], v[58:59], -v[98:99]
	v_fma_f64 v[202:203], v[204:205], v[210:211], v[202:203]
	v_add_f64 v[60:61], v[60:61], -v[202:203]
	ds_read2_b64 v[202:205], v1 offset0:72 offset1:73
	s_waitcnt lgkmcnt(0)
	v_mul_f64 v[98:99], v[204:205], v[100:101]
	v_fma_f64 v[98:99], v[202:203], v[210:211], -v[98:99]
	v_mul_f64 v[202:203], v[202:203], v[100:101]
	v_add_f64 v[54:55], v[54:55], -v[98:99]
	v_fma_f64 v[202:203], v[204:205], v[210:211], v[202:203]
	v_add_f64 v[56:57], v[56:57], -v[202:203]
	ds_read2_b64 v[202:205], v1 offset0:74 offset1:75
	s_waitcnt lgkmcnt(0)
	v_mul_f64 v[98:99], v[204:205], v[100:101]
	v_fma_f64 v[98:99], v[202:203], v[210:211], -v[98:99]
	v_mul_f64 v[202:203], v[202:203], v[100:101]
	v_add_f64 v[50:51], v[50:51], -v[98:99]
	v_fma_f64 v[202:203], v[204:205], v[210:211], v[202:203]
	v_add_f64 v[52:53], v[52:53], -v[202:203]
	ds_read2_b64 v[202:205], v1 offset0:76 offset1:77
	s_waitcnt lgkmcnt(0)
	v_mul_f64 v[98:99], v[204:205], v[100:101]
	v_fma_f64 v[98:99], v[202:203], v[210:211], -v[98:99]
	v_mul_f64 v[202:203], v[202:203], v[100:101]
	v_add_f64 v[46:47], v[46:47], -v[98:99]
	v_fma_f64 v[202:203], v[204:205], v[210:211], v[202:203]
	v_add_f64 v[48:49], v[48:49], -v[202:203]
	ds_read2_b64 v[202:205], v1 offset0:78 offset1:79
	s_waitcnt lgkmcnt(0)
	v_mul_f64 v[98:99], v[204:205], v[100:101]
	v_fma_f64 v[98:99], v[202:203], v[210:211], -v[98:99]
	v_mul_f64 v[202:203], v[202:203], v[100:101]
	v_add_f64 v[42:43], v[42:43], -v[98:99]
	v_fma_f64 v[202:203], v[204:205], v[210:211], v[202:203]
	v_add_f64 v[44:45], v[44:45], -v[202:203]
	ds_read2_b64 v[202:205], v1 offset0:80 offset1:81
	s_waitcnt lgkmcnt(0)
	v_mul_f64 v[98:99], v[204:205], v[100:101]
	v_fma_f64 v[98:99], v[202:203], v[210:211], -v[98:99]
	v_mul_f64 v[202:203], v[202:203], v[100:101]
	v_add_f64 v[38:39], v[38:39], -v[98:99]
	v_fma_f64 v[202:203], v[204:205], v[210:211], v[202:203]
	v_add_f64 v[40:41], v[40:41], -v[202:203]
	ds_read2_b64 v[202:205], v1 offset0:82 offset1:83
	s_waitcnt lgkmcnt(0)
	v_mul_f64 v[98:99], v[204:205], v[100:101]
	v_fma_f64 v[98:99], v[202:203], v[210:211], -v[98:99]
	v_mul_f64 v[202:203], v[202:203], v[100:101]
	v_add_f64 v[34:35], v[34:35], -v[98:99]
	v_fma_f64 v[202:203], v[204:205], v[210:211], v[202:203]
	v_add_f64 v[36:37], v[36:37], -v[202:203]
	ds_read2_b64 v[202:205], v1 offset0:84 offset1:85
	s_waitcnt lgkmcnt(0)
	v_mul_f64 v[98:99], v[204:205], v[100:101]
	v_fma_f64 v[98:99], v[202:203], v[210:211], -v[98:99]
	v_mul_f64 v[202:203], v[202:203], v[100:101]
	v_add_f64 v[30:31], v[30:31], -v[98:99]
	v_fma_f64 v[202:203], v[204:205], v[210:211], v[202:203]
	v_add_f64 v[32:33], v[32:33], -v[202:203]
	ds_read2_b64 v[202:205], v1 offset0:86 offset1:87
	s_waitcnt lgkmcnt(0)
	v_mul_f64 v[98:99], v[204:205], v[100:101]
	v_fma_f64 v[98:99], v[202:203], v[210:211], -v[98:99]
	v_mul_f64 v[202:203], v[202:203], v[100:101]
	v_add_f64 v[26:27], v[26:27], -v[98:99]
	v_fma_f64 v[202:203], v[204:205], v[210:211], v[202:203]
	v_add_f64 v[28:29], v[28:29], -v[202:203]
	ds_read2_b64 v[202:205], v1 offset0:88 offset1:89
	s_waitcnt lgkmcnt(0)
	v_mul_f64 v[98:99], v[204:205], v[100:101]
	v_fma_f64 v[98:99], v[202:203], v[210:211], -v[98:99]
	v_mul_f64 v[202:203], v[202:203], v[100:101]
	v_add_f64 v[22:23], v[22:23], -v[98:99]
	v_fma_f64 v[202:203], v[204:205], v[210:211], v[202:203]
	v_add_f64 v[24:25], v[24:25], -v[202:203]
	ds_read2_b64 v[202:205], v1 offset0:90 offset1:91
	s_waitcnt lgkmcnt(0)
	v_mul_f64 v[98:99], v[204:205], v[100:101]
	v_fma_f64 v[98:99], v[202:203], v[210:211], -v[98:99]
	v_mul_f64 v[202:203], v[202:203], v[100:101]
	v_add_f64 v[18:19], v[18:19], -v[98:99]
	v_fma_f64 v[202:203], v[204:205], v[210:211], v[202:203]
	v_add_f64 v[20:21], v[20:21], -v[202:203]
	ds_read2_b64 v[202:205], v1 offset0:92 offset1:93
	s_waitcnt lgkmcnt(0)
	v_mul_f64 v[98:99], v[204:205], v[100:101]
	v_fma_f64 v[98:99], v[202:203], v[210:211], -v[98:99]
	v_mul_f64 v[202:203], v[202:203], v[100:101]
	v_add_f64 v[14:15], v[14:15], -v[98:99]
	v_fma_f64 v[202:203], v[204:205], v[210:211], v[202:203]
	v_add_f64 v[16:17], v[16:17], -v[202:203]
	ds_read2_b64 v[202:205], v1 offset0:94 offset1:95
	s_waitcnt lgkmcnt(0)
	v_mul_f64 v[98:99], v[204:205], v[100:101]
	v_fma_f64 v[98:99], v[202:203], v[210:211], -v[98:99]
	v_mul_f64 v[202:203], v[202:203], v[100:101]
	v_add_f64 v[10:11], v[10:11], -v[98:99]
	v_fma_f64 v[202:203], v[204:205], v[210:211], v[202:203]
	v_add_f64 v[12:13], v[12:13], -v[202:203]
	ds_read2_b64 v[202:205], v1 offset0:96 offset1:97
	s_waitcnt lgkmcnt(0)
	v_mul_f64 v[98:99], v[204:205], v[100:101]
	v_fma_f64 v[98:99], v[202:203], v[210:211], -v[98:99]
	v_mul_f64 v[202:203], v[202:203], v[100:101]
	v_add_f64 v[6:7], v[6:7], -v[98:99]
	v_fma_f64 v[202:203], v[204:205], v[210:211], v[202:203]
	v_add_f64 v[8:9], v[8:9], -v[202:203]
	ds_read2_b64 v[202:205], v1 offset0:98 offset1:99
	s_waitcnt lgkmcnt(0)
	v_mul_f64 v[98:99], v[204:205], v[100:101]
	v_fma_f64 v[98:99], v[202:203], v[210:211], -v[98:99]
	v_mul_f64 v[202:203], v[202:203], v[100:101]
	v_add_f64 v[2:3], v[2:3], -v[98:99]
	v_fma_f64 v[202:203], v[204:205], v[210:211], v[202:203]
	v_mov_b32_e32 v98, v210
	v_mov_b32_e32 v99, v211
	v_add_f64 v[4:5], v[4:5], -v[202:203]
.LBB98_545:
	s_or_b32 exec_lo, exec_lo, s0
	v_lshl_add_u32 v202, v216, 4, v1
	s_barrier
	buffer_gl0_inv
	v_mov_b32_e32 v210, 26
	ds_write2_b64 v202, v[94:95], v[96:97] offset1:1
	s_waitcnt lgkmcnt(0)
	s_barrier
	buffer_gl0_inv
	ds_read2_b64 v[202:205], v1 offset0:52 offset1:53
	s_cmp_lt_i32 s1, 28
	s_cbranch_scc1 .LBB98_548
; %bb.546:
	v_add3_u32 v211, v212, 0, 0x1b0
	v_mov_b32_e32 v210, 26
	s_mov_b32 s7, 27
	s_inst_prefetch 0x1
	.p2align	6
.LBB98_547:                             ; =>This Inner Loop Header: Depth=1
	s_waitcnt lgkmcnt(0)
	v_cmp_gt_f64_e32 vcc_lo, 0, v[204:205]
	v_cmp_gt_f64_e64 s0, 0, v[202:203]
	ds_read2_b64 v[217:220], v211 offset1:1
	v_xor_b32_e32 v222, 0x80000000, v203
	v_xor_b32_e32 v224, 0x80000000, v205
	v_mov_b32_e32 v221, v202
	v_mov_b32_e32 v223, v204
	v_add_nc_u32_e32 v211, 16, v211
	s_waitcnt lgkmcnt(0)
	v_xor_b32_e32 v226, 0x80000000, v220
	v_cndmask_b32_e64 v222, v203, v222, s0
	v_cndmask_b32_e32 v224, v205, v224, vcc_lo
	v_cmp_gt_f64_e32 vcc_lo, 0, v[219:220]
	v_cmp_gt_f64_e64 s0, 0, v[217:218]
	v_mov_b32_e32 v225, v219
	v_add_f64 v[221:222], v[221:222], v[223:224]
	v_xor_b32_e32 v224, 0x80000000, v218
	v_mov_b32_e32 v223, v217
	v_cndmask_b32_e32 v226, v220, v226, vcc_lo
	v_cndmask_b32_e64 v224, v218, v224, s0
	v_add_f64 v[223:224], v[223:224], v[225:226]
	v_cmp_lt_f64_e32 vcc_lo, v[221:222], v[223:224]
	v_cndmask_b32_e32 v203, v203, v218, vcc_lo
	v_cndmask_b32_e32 v202, v202, v217, vcc_lo
	;; [unrolled: 1-line block ×4, first 2 shown]
	v_cndmask_b32_e64 v210, v210, s7, vcc_lo
	s_add_i32 s7, s7, 1
	s_cmp_lg_u32 s1, s7
	s_cbranch_scc1 .LBB98_547
.LBB98_548:
	s_inst_prefetch 0x2
	s_waitcnt lgkmcnt(0)
	v_cmp_eq_f64_e32 vcc_lo, 0, v[202:203]
	v_cmp_eq_f64_e64 s0, 0, v[204:205]
	s_and_b32 s0, vcc_lo, s0
	s_and_saveexec_b32 s7, s0
	s_xor_b32 s0, exec_lo, s7
; %bb.549:
	v_cmp_ne_u32_e32 vcc_lo, 0, v215
	v_cndmask_b32_e32 v215, 27, v215, vcc_lo
; %bb.550:
	s_andn2_saveexec_b32 s0, s0
	s_cbranch_execz .LBB98_556
; %bb.551:
	v_cmp_ngt_f64_e64 s7, |v[202:203]|, |v[204:205]|
	s_and_saveexec_b32 s8, s7
	s_xor_b32 s7, exec_lo, s8
	s_cbranch_execz .LBB98_553
; %bb.552:
	v_div_scale_f64 v[217:218], null, v[204:205], v[204:205], v[202:203]
	v_div_scale_f64 v[223:224], vcc_lo, v[202:203], v[204:205], v[202:203]
	v_rcp_f64_e32 v[219:220], v[217:218]
	v_fma_f64 v[221:222], -v[217:218], v[219:220], 1.0
	v_fma_f64 v[219:220], v[219:220], v[221:222], v[219:220]
	v_fma_f64 v[221:222], -v[217:218], v[219:220], 1.0
	v_fma_f64 v[219:220], v[219:220], v[221:222], v[219:220]
	v_mul_f64 v[221:222], v[223:224], v[219:220]
	v_fma_f64 v[217:218], -v[217:218], v[221:222], v[223:224]
	v_div_fmas_f64 v[217:218], v[217:218], v[219:220], v[221:222]
	v_div_fixup_f64 v[217:218], v[217:218], v[204:205], v[202:203]
	v_fma_f64 v[202:203], v[202:203], v[217:218], v[204:205]
	v_div_scale_f64 v[204:205], null, v[202:203], v[202:203], 1.0
	v_rcp_f64_e32 v[219:220], v[204:205]
	v_fma_f64 v[221:222], -v[204:205], v[219:220], 1.0
	v_fma_f64 v[219:220], v[219:220], v[221:222], v[219:220]
	v_fma_f64 v[221:222], -v[204:205], v[219:220], 1.0
	v_fma_f64 v[219:220], v[219:220], v[221:222], v[219:220]
	v_div_scale_f64 v[221:222], vcc_lo, 1.0, v[202:203], 1.0
	v_mul_f64 v[223:224], v[221:222], v[219:220]
	v_fma_f64 v[204:205], -v[204:205], v[223:224], v[221:222]
	v_div_fmas_f64 v[204:205], v[204:205], v[219:220], v[223:224]
	v_div_fixup_f64 v[204:205], v[204:205], v[202:203], 1.0
	v_mul_f64 v[202:203], v[217:218], v[204:205]
	v_xor_b32_e32 v205, 0x80000000, v205
.LBB98_553:
	s_andn2_saveexec_b32 s7, s7
	s_cbranch_execz .LBB98_555
; %bb.554:
	v_div_scale_f64 v[217:218], null, v[202:203], v[202:203], v[204:205]
	v_div_scale_f64 v[223:224], vcc_lo, v[204:205], v[202:203], v[204:205]
	v_rcp_f64_e32 v[219:220], v[217:218]
	v_fma_f64 v[221:222], -v[217:218], v[219:220], 1.0
	v_fma_f64 v[219:220], v[219:220], v[221:222], v[219:220]
	v_fma_f64 v[221:222], -v[217:218], v[219:220], 1.0
	v_fma_f64 v[219:220], v[219:220], v[221:222], v[219:220]
	v_mul_f64 v[221:222], v[223:224], v[219:220]
	v_fma_f64 v[217:218], -v[217:218], v[221:222], v[223:224]
	v_div_fmas_f64 v[217:218], v[217:218], v[219:220], v[221:222]
	v_div_fixup_f64 v[217:218], v[217:218], v[202:203], v[204:205]
	v_fma_f64 v[202:203], v[204:205], v[217:218], v[202:203]
	v_div_scale_f64 v[204:205], null, v[202:203], v[202:203], 1.0
	v_rcp_f64_e32 v[219:220], v[204:205]
	v_fma_f64 v[221:222], -v[204:205], v[219:220], 1.0
	v_fma_f64 v[219:220], v[219:220], v[221:222], v[219:220]
	v_fma_f64 v[221:222], -v[204:205], v[219:220], 1.0
	v_fma_f64 v[219:220], v[219:220], v[221:222], v[219:220]
	v_div_scale_f64 v[221:222], vcc_lo, 1.0, v[202:203], 1.0
	v_mul_f64 v[223:224], v[221:222], v[219:220]
	v_fma_f64 v[204:205], -v[204:205], v[223:224], v[221:222]
	v_div_fmas_f64 v[204:205], v[204:205], v[219:220], v[223:224]
	v_div_fixup_f64 v[202:203], v[204:205], v[202:203], 1.0
	v_mul_f64 v[204:205], v[217:218], -v[202:203]
.LBB98_555:
	s_or_b32 exec_lo, exec_lo, s7
.LBB98_556:
	s_or_b32 exec_lo, exec_lo, s0
	s_mov_b32 s0, exec_lo
	v_cmpx_ne_u32_e64 v216, v210
	s_xor_b32 s0, exec_lo, s0
	s_cbranch_execz .LBB98_562
; %bb.557:
	s_mov_b32 s7, exec_lo
	v_cmpx_eq_u32_e32 26, v216
	s_cbranch_execz .LBB98_561
; %bb.558:
	v_cmp_ne_u32_e32 vcc_lo, 26, v210
	s_xor_b32 s8, s16, -1
	s_and_b32 s9, s8, vcc_lo
	s_and_saveexec_b32 s8, s9
	s_cbranch_execz .LBB98_560
; %bb.559:
	v_ashrrev_i32_e32 v211, 31, v210
	v_lshlrev_b64 v[216:217], 2, v[210:211]
	v_add_co_u32 v216, vcc_lo, v208, v216
	v_add_co_ci_u32_e64 v217, null, v209, v217, vcc_lo
	s_clause 0x1
	global_load_dword v0, v[216:217], off
	global_load_dword v211, v[208:209], off offset:104
	s_waitcnt vmcnt(1)
	global_store_dword v[208:209], v0, off offset:104
	s_waitcnt vmcnt(0)
	global_store_dword v[216:217], v211, off
.LBB98_560:
	s_or_b32 exec_lo, exec_lo, s8
	v_mov_b32_e32 v216, v210
	v_mov_b32_e32 v0, v210
.LBB98_561:
	s_or_b32 exec_lo, exec_lo, s7
.LBB98_562:
	s_andn2_saveexec_b32 s0, s0
	s_cbranch_execz .LBB98_564
; %bb.563:
	v_mov_b32_e32 v216, 26
	ds_write2_b64 v1, v[90:91], v[92:93] offset0:54 offset1:55
	ds_write2_b64 v1, v[86:87], v[88:89] offset0:56 offset1:57
	;; [unrolled: 1-line block ×23, first 2 shown]
.LBB98_564:
	s_or_b32 exec_lo, exec_lo, s0
	s_mov_b32 s0, exec_lo
	s_waitcnt lgkmcnt(0)
	s_waitcnt_vscnt null, 0x0
	s_barrier
	buffer_gl0_inv
	v_cmpx_lt_i32_e32 26, v216
	s_cbranch_execz .LBB98_566
; %bb.565:
	v_mul_f64 v[210:211], v[204:205], v[96:97]
	v_mul_f64 v[96:97], v[202:203], v[96:97]
	v_fma_f64 v[210:211], v[202:203], v[94:95], -v[210:211]
	v_fma_f64 v[96:97], v[204:205], v[94:95], v[96:97]
	ds_read2_b64 v[202:205], v1 offset0:54 offset1:55
	s_waitcnt lgkmcnt(0)
	v_mul_f64 v[94:95], v[204:205], v[96:97]
	v_fma_f64 v[94:95], v[202:203], v[210:211], -v[94:95]
	v_mul_f64 v[202:203], v[202:203], v[96:97]
	v_add_f64 v[90:91], v[90:91], -v[94:95]
	v_fma_f64 v[202:203], v[204:205], v[210:211], v[202:203]
	v_add_f64 v[92:93], v[92:93], -v[202:203]
	ds_read2_b64 v[202:205], v1 offset0:56 offset1:57
	s_waitcnt lgkmcnt(0)
	v_mul_f64 v[94:95], v[204:205], v[96:97]
	v_fma_f64 v[94:95], v[202:203], v[210:211], -v[94:95]
	v_mul_f64 v[202:203], v[202:203], v[96:97]
	v_add_f64 v[86:87], v[86:87], -v[94:95]
	v_fma_f64 v[202:203], v[204:205], v[210:211], v[202:203]
	v_add_f64 v[88:89], v[88:89], -v[202:203]
	ds_read2_b64 v[202:205], v1 offset0:58 offset1:59
	s_waitcnt lgkmcnt(0)
	v_mul_f64 v[94:95], v[204:205], v[96:97]
	v_fma_f64 v[94:95], v[202:203], v[210:211], -v[94:95]
	v_mul_f64 v[202:203], v[202:203], v[96:97]
	v_add_f64 v[82:83], v[82:83], -v[94:95]
	v_fma_f64 v[202:203], v[204:205], v[210:211], v[202:203]
	v_add_f64 v[84:85], v[84:85], -v[202:203]
	ds_read2_b64 v[202:205], v1 offset0:60 offset1:61
	s_waitcnt lgkmcnt(0)
	v_mul_f64 v[94:95], v[204:205], v[96:97]
	v_fma_f64 v[94:95], v[202:203], v[210:211], -v[94:95]
	v_mul_f64 v[202:203], v[202:203], v[96:97]
	v_add_f64 v[78:79], v[78:79], -v[94:95]
	v_fma_f64 v[202:203], v[204:205], v[210:211], v[202:203]
	v_add_f64 v[80:81], v[80:81], -v[202:203]
	ds_read2_b64 v[202:205], v1 offset0:62 offset1:63
	s_waitcnt lgkmcnt(0)
	v_mul_f64 v[94:95], v[204:205], v[96:97]
	v_fma_f64 v[94:95], v[202:203], v[210:211], -v[94:95]
	v_mul_f64 v[202:203], v[202:203], v[96:97]
	v_add_f64 v[74:75], v[74:75], -v[94:95]
	v_fma_f64 v[202:203], v[204:205], v[210:211], v[202:203]
	v_add_f64 v[76:77], v[76:77], -v[202:203]
	ds_read2_b64 v[202:205], v1 offset0:64 offset1:65
	s_waitcnt lgkmcnt(0)
	v_mul_f64 v[94:95], v[204:205], v[96:97]
	v_fma_f64 v[94:95], v[202:203], v[210:211], -v[94:95]
	v_mul_f64 v[202:203], v[202:203], v[96:97]
	v_add_f64 v[70:71], v[70:71], -v[94:95]
	v_fma_f64 v[202:203], v[204:205], v[210:211], v[202:203]
	v_add_f64 v[72:73], v[72:73], -v[202:203]
	ds_read2_b64 v[202:205], v1 offset0:66 offset1:67
	s_waitcnt lgkmcnt(0)
	v_mul_f64 v[94:95], v[204:205], v[96:97]
	v_fma_f64 v[94:95], v[202:203], v[210:211], -v[94:95]
	v_mul_f64 v[202:203], v[202:203], v[96:97]
	v_add_f64 v[66:67], v[66:67], -v[94:95]
	v_fma_f64 v[202:203], v[204:205], v[210:211], v[202:203]
	v_add_f64 v[68:69], v[68:69], -v[202:203]
	ds_read2_b64 v[202:205], v1 offset0:68 offset1:69
	s_waitcnt lgkmcnt(0)
	v_mul_f64 v[94:95], v[204:205], v[96:97]
	v_fma_f64 v[94:95], v[202:203], v[210:211], -v[94:95]
	v_mul_f64 v[202:203], v[202:203], v[96:97]
	v_add_f64 v[62:63], v[62:63], -v[94:95]
	v_fma_f64 v[202:203], v[204:205], v[210:211], v[202:203]
	v_add_f64 v[64:65], v[64:65], -v[202:203]
	ds_read2_b64 v[202:205], v1 offset0:70 offset1:71
	s_waitcnt lgkmcnt(0)
	v_mul_f64 v[94:95], v[204:205], v[96:97]
	v_fma_f64 v[94:95], v[202:203], v[210:211], -v[94:95]
	v_mul_f64 v[202:203], v[202:203], v[96:97]
	v_add_f64 v[58:59], v[58:59], -v[94:95]
	v_fma_f64 v[202:203], v[204:205], v[210:211], v[202:203]
	v_add_f64 v[60:61], v[60:61], -v[202:203]
	ds_read2_b64 v[202:205], v1 offset0:72 offset1:73
	s_waitcnt lgkmcnt(0)
	v_mul_f64 v[94:95], v[204:205], v[96:97]
	v_fma_f64 v[94:95], v[202:203], v[210:211], -v[94:95]
	v_mul_f64 v[202:203], v[202:203], v[96:97]
	v_add_f64 v[54:55], v[54:55], -v[94:95]
	v_fma_f64 v[202:203], v[204:205], v[210:211], v[202:203]
	v_add_f64 v[56:57], v[56:57], -v[202:203]
	ds_read2_b64 v[202:205], v1 offset0:74 offset1:75
	s_waitcnt lgkmcnt(0)
	v_mul_f64 v[94:95], v[204:205], v[96:97]
	v_fma_f64 v[94:95], v[202:203], v[210:211], -v[94:95]
	v_mul_f64 v[202:203], v[202:203], v[96:97]
	v_add_f64 v[50:51], v[50:51], -v[94:95]
	v_fma_f64 v[202:203], v[204:205], v[210:211], v[202:203]
	v_add_f64 v[52:53], v[52:53], -v[202:203]
	ds_read2_b64 v[202:205], v1 offset0:76 offset1:77
	s_waitcnt lgkmcnt(0)
	v_mul_f64 v[94:95], v[204:205], v[96:97]
	v_fma_f64 v[94:95], v[202:203], v[210:211], -v[94:95]
	v_mul_f64 v[202:203], v[202:203], v[96:97]
	v_add_f64 v[46:47], v[46:47], -v[94:95]
	v_fma_f64 v[202:203], v[204:205], v[210:211], v[202:203]
	v_add_f64 v[48:49], v[48:49], -v[202:203]
	ds_read2_b64 v[202:205], v1 offset0:78 offset1:79
	s_waitcnt lgkmcnt(0)
	v_mul_f64 v[94:95], v[204:205], v[96:97]
	v_fma_f64 v[94:95], v[202:203], v[210:211], -v[94:95]
	v_mul_f64 v[202:203], v[202:203], v[96:97]
	v_add_f64 v[42:43], v[42:43], -v[94:95]
	v_fma_f64 v[202:203], v[204:205], v[210:211], v[202:203]
	v_add_f64 v[44:45], v[44:45], -v[202:203]
	ds_read2_b64 v[202:205], v1 offset0:80 offset1:81
	s_waitcnt lgkmcnt(0)
	v_mul_f64 v[94:95], v[204:205], v[96:97]
	v_fma_f64 v[94:95], v[202:203], v[210:211], -v[94:95]
	v_mul_f64 v[202:203], v[202:203], v[96:97]
	v_add_f64 v[38:39], v[38:39], -v[94:95]
	v_fma_f64 v[202:203], v[204:205], v[210:211], v[202:203]
	v_add_f64 v[40:41], v[40:41], -v[202:203]
	ds_read2_b64 v[202:205], v1 offset0:82 offset1:83
	s_waitcnt lgkmcnt(0)
	v_mul_f64 v[94:95], v[204:205], v[96:97]
	v_fma_f64 v[94:95], v[202:203], v[210:211], -v[94:95]
	v_mul_f64 v[202:203], v[202:203], v[96:97]
	v_add_f64 v[34:35], v[34:35], -v[94:95]
	v_fma_f64 v[202:203], v[204:205], v[210:211], v[202:203]
	v_add_f64 v[36:37], v[36:37], -v[202:203]
	ds_read2_b64 v[202:205], v1 offset0:84 offset1:85
	s_waitcnt lgkmcnt(0)
	v_mul_f64 v[94:95], v[204:205], v[96:97]
	v_fma_f64 v[94:95], v[202:203], v[210:211], -v[94:95]
	v_mul_f64 v[202:203], v[202:203], v[96:97]
	v_add_f64 v[30:31], v[30:31], -v[94:95]
	v_fma_f64 v[202:203], v[204:205], v[210:211], v[202:203]
	v_add_f64 v[32:33], v[32:33], -v[202:203]
	ds_read2_b64 v[202:205], v1 offset0:86 offset1:87
	s_waitcnt lgkmcnt(0)
	v_mul_f64 v[94:95], v[204:205], v[96:97]
	v_fma_f64 v[94:95], v[202:203], v[210:211], -v[94:95]
	v_mul_f64 v[202:203], v[202:203], v[96:97]
	v_add_f64 v[26:27], v[26:27], -v[94:95]
	v_fma_f64 v[202:203], v[204:205], v[210:211], v[202:203]
	v_add_f64 v[28:29], v[28:29], -v[202:203]
	ds_read2_b64 v[202:205], v1 offset0:88 offset1:89
	s_waitcnt lgkmcnt(0)
	v_mul_f64 v[94:95], v[204:205], v[96:97]
	v_fma_f64 v[94:95], v[202:203], v[210:211], -v[94:95]
	v_mul_f64 v[202:203], v[202:203], v[96:97]
	v_add_f64 v[22:23], v[22:23], -v[94:95]
	v_fma_f64 v[202:203], v[204:205], v[210:211], v[202:203]
	v_add_f64 v[24:25], v[24:25], -v[202:203]
	ds_read2_b64 v[202:205], v1 offset0:90 offset1:91
	s_waitcnt lgkmcnt(0)
	v_mul_f64 v[94:95], v[204:205], v[96:97]
	v_fma_f64 v[94:95], v[202:203], v[210:211], -v[94:95]
	v_mul_f64 v[202:203], v[202:203], v[96:97]
	v_add_f64 v[18:19], v[18:19], -v[94:95]
	v_fma_f64 v[202:203], v[204:205], v[210:211], v[202:203]
	v_add_f64 v[20:21], v[20:21], -v[202:203]
	ds_read2_b64 v[202:205], v1 offset0:92 offset1:93
	s_waitcnt lgkmcnt(0)
	v_mul_f64 v[94:95], v[204:205], v[96:97]
	v_fma_f64 v[94:95], v[202:203], v[210:211], -v[94:95]
	v_mul_f64 v[202:203], v[202:203], v[96:97]
	v_add_f64 v[14:15], v[14:15], -v[94:95]
	v_fma_f64 v[202:203], v[204:205], v[210:211], v[202:203]
	v_add_f64 v[16:17], v[16:17], -v[202:203]
	ds_read2_b64 v[202:205], v1 offset0:94 offset1:95
	s_waitcnt lgkmcnt(0)
	v_mul_f64 v[94:95], v[204:205], v[96:97]
	v_fma_f64 v[94:95], v[202:203], v[210:211], -v[94:95]
	v_mul_f64 v[202:203], v[202:203], v[96:97]
	v_add_f64 v[10:11], v[10:11], -v[94:95]
	v_fma_f64 v[202:203], v[204:205], v[210:211], v[202:203]
	v_add_f64 v[12:13], v[12:13], -v[202:203]
	ds_read2_b64 v[202:205], v1 offset0:96 offset1:97
	s_waitcnt lgkmcnt(0)
	v_mul_f64 v[94:95], v[204:205], v[96:97]
	v_fma_f64 v[94:95], v[202:203], v[210:211], -v[94:95]
	v_mul_f64 v[202:203], v[202:203], v[96:97]
	v_add_f64 v[6:7], v[6:7], -v[94:95]
	v_fma_f64 v[202:203], v[204:205], v[210:211], v[202:203]
	v_add_f64 v[8:9], v[8:9], -v[202:203]
	ds_read2_b64 v[202:205], v1 offset0:98 offset1:99
	s_waitcnt lgkmcnt(0)
	v_mul_f64 v[94:95], v[204:205], v[96:97]
	v_fma_f64 v[94:95], v[202:203], v[210:211], -v[94:95]
	v_mul_f64 v[202:203], v[202:203], v[96:97]
	v_add_f64 v[2:3], v[2:3], -v[94:95]
	v_fma_f64 v[202:203], v[204:205], v[210:211], v[202:203]
	v_mov_b32_e32 v94, v210
	v_mov_b32_e32 v95, v211
	v_add_f64 v[4:5], v[4:5], -v[202:203]
.LBB98_566:
	s_or_b32 exec_lo, exec_lo, s0
	v_lshl_add_u32 v202, v216, 4, v1
	s_barrier
	buffer_gl0_inv
	v_mov_b32_e32 v210, 27
	ds_write2_b64 v202, v[90:91], v[92:93] offset1:1
	s_waitcnt lgkmcnt(0)
	s_barrier
	buffer_gl0_inv
	ds_read2_b64 v[202:205], v1 offset0:54 offset1:55
	s_cmp_lt_i32 s1, 29
	s_cbranch_scc1 .LBB98_569
; %bb.567:
	v_add3_u32 v211, v212, 0, 0x1c0
	v_mov_b32_e32 v210, 27
	s_mov_b32 s7, 28
	s_inst_prefetch 0x1
	.p2align	6
.LBB98_568:                             ; =>This Inner Loop Header: Depth=1
	s_waitcnt lgkmcnt(0)
	v_cmp_gt_f64_e32 vcc_lo, 0, v[204:205]
	v_cmp_gt_f64_e64 s0, 0, v[202:203]
	ds_read2_b64 v[217:220], v211 offset1:1
	v_xor_b32_e32 v222, 0x80000000, v203
	v_xor_b32_e32 v224, 0x80000000, v205
	v_mov_b32_e32 v221, v202
	v_mov_b32_e32 v223, v204
	v_add_nc_u32_e32 v211, 16, v211
	s_waitcnt lgkmcnt(0)
	v_xor_b32_e32 v226, 0x80000000, v220
	v_cndmask_b32_e64 v222, v203, v222, s0
	v_cndmask_b32_e32 v224, v205, v224, vcc_lo
	v_cmp_gt_f64_e32 vcc_lo, 0, v[219:220]
	v_cmp_gt_f64_e64 s0, 0, v[217:218]
	v_mov_b32_e32 v225, v219
	v_add_f64 v[221:222], v[221:222], v[223:224]
	v_xor_b32_e32 v224, 0x80000000, v218
	v_mov_b32_e32 v223, v217
	v_cndmask_b32_e32 v226, v220, v226, vcc_lo
	v_cndmask_b32_e64 v224, v218, v224, s0
	v_add_f64 v[223:224], v[223:224], v[225:226]
	v_cmp_lt_f64_e32 vcc_lo, v[221:222], v[223:224]
	v_cndmask_b32_e32 v203, v203, v218, vcc_lo
	v_cndmask_b32_e32 v202, v202, v217, vcc_lo
	;; [unrolled: 1-line block ×4, first 2 shown]
	v_cndmask_b32_e64 v210, v210, s7, vcc_lo
	s_add_i32 s7, s7, 1
	s_cmp_lg_u32 s1, s7
	s_cbranch_scc1 .LBB98_568
.LBB98_569:
	s_inst_prefetch 0x2
	s_waitcnt lgkmcnt(0)
	v_cmp_eq_f64_e32 vcc_lo, 0, v[202:203]
	v_cmp_eq_f64_e64 s0, 0, v[204:205]
	s_and_b32 s0, vcc_lo, s0
	s_and_saveexec_b32 s7, s0
	s_xor_b32 s0, exec_lo, s7
; %bb.570:
	v_cmp_ne_u32_e32 vcc_lo, 0, v215
	v_cndmask_b32_e32 v215, 28, v215, vcc_lo
; %bb.571:
	s_andn2_saveexec_b32 s0, s0
	s_cbranch_execz .LBB98_577
; %bb.572:
	v_cmp_ngt_f64_e64 s7, |v[202:203]|, |v[204:205]|
	s_and_saveexec_b32 s8, s7
	s_xor_b32 s7, exec_lo, s8
	s_cbranch_execz .LBB98_574
; %bb.573:
	v_div_scale_f64 v[217:218], null, v[204:205], v[204:205], v[202:203]
	v_div_scale_f64 v[223:224], vcc_lo, v[202:203], v[204:205], v[202:203]
	v_rcp_f64_e32 v[219:220], v[217:218]
	v_fma_f64 v[221:222], -v[217:218], v[219:220], 1.0
	v_fma_f64 v[219:220], v[219:220], v[221:222], v[219:220]
	v_fma_f64 v[221:222], -v[217:218], v[219:220], 1.0
	v_fma_f64 v[219:220], v[219:220], v[221:222], v[219:220]
	v_mul_f64 v[221:222], v[223:224], v[219:220]
	v_fma_f64 v[217:218], -v[217:218], v[221:222], v[223:224]
	v_div_fmas_f64 v[217:218], v[217:218], v[219:220], v[221:222]
	v_div_fixup_f64 v[217:218], v[217:218], v[204:205], v[202:203]
	v_fma_f64 v[202:203], v[202:203], v[217:218], v[204:205]
	v_div_scale_f64 v[204:205], null, v[202:203], v[202:203], 1.0
	v_rcp_f64_e32 v[219:220], v[204:205]
	v_fma_f64 v[221:222], -v[204:205], v[219:220], 1.0
	v_fma_f64 v[219:220], v[219:220], v[221:222], v[219:220]
	v_fma_f64 v[221:222], -v[204:205], v[219:220], 1.0
	v_fma_f64 v[219:220], v[219:220], v[221:222], v[219:220]
	v_div_scale_f64 v[221:222], vcc_lo, 1.0, v[202:203], 1.0
	v_mul_f64 v[223:224], v[221:222], v[219:220]
	v_fma_f64 v[204:205], -v[204:205], v[223:224], v[221:222]
	v_div_fmas_f64 v[204:205], v[204:205], v[219:220], v[223:224]
	v_div_fixup_f64 v[204:205], v[204:205], v[202:203], 1.0
	v_mul_f64 v[202:203], v[217:218], v[204:205]
	v_xor_b32_e32 v205, 0x80000000, v205
.LBB98_574:
	s_andn2_saveexec_b32 s7, s7
	s_cbranch_execz .LBB98_576
; %bb.575:
	v_div_scale_f64 v[217:218], null, v[202:203], v[202:203], v[204:205]
	v_div_scale_f64 v[223:224], vcc_lo, v[204:205], v[202:203], v[204:205]
	v_rcp_f64_e32 v[219:220], v[217:218]
	v_fma_f64 v[221:222], -v[217:218], v[219:220], 1.0
	v_fma_f64 v[219:220], v[219:220], v[221:222], v[219:220]
	v_fma_f64 v[221:222], -v[217:218], v[219:220], 1.0
	v_fma_f64 v[219:220], v[219:220], v[221:222], v[219:220]
	v_mul_f64 v[221:222], v[223:224], v[219:220]
	v_fma_f64 v[217:218], -v[217:218], v[221:222], v[223:224]
	v_div_fmas_f64 v[217:218], v[217:218], v[219:220], v[221:222]
	v_div_fixup_f64 v[217:218], v[217:218], v[202:203], v[204:205]
	v_fma_f64 v[202:203], v[204:205], v[217:218], v[202:203]
	v_div_scale_f64 v[204:205], null, v[202:203], v[202:203], 1.0
	v_rcp_f64_e32 v[219:220], v[204:205]
	v_fma_f64 v[221:222], -v[204:205], v[219:220], 1.0
	v_fma_f64 v[219:220], v[219:220], v[221:222], v[219:220]
	v_fma_f64 v[221:222], -v[204:205], v[219:220], 1.0
	v_fma_f64 v[219:220], v[219:220], v[221:222], v[219:220]
	v_div_scale_f64 v[221:222], vcc_lo, 1.0, v[202:203], 1.0
	v_mul_f64 v[223:224], v[221:222], v[219:220]
	v_fma_f64 v[204:205], -v[204:205], v[223:224], v[221:222]
	v_div_fmas_f64 v[204:205], v[204:205], v[219:220], v[223:224]
	v_div_fixup_f64 v[202:203], v[204:205], v[202:203], 1.0
	v_mul_f64 v[204:205], v[217:218], -v[202:203]
.LBB98_576:
	s_or_b32 exec_lo, exec_lo, s7
.LBB98_577:
	s_or_b32 exec_lo, exec_lo, s0
	s_mov_b32 s0, exec_lo
	v_cmpx_ne_u32_e64 v216, v210
	s_xor_b32 s0, exec_lo, s0
	s_cbranch_execz .LBB98_583
; %bb.578:
	s_mov_b32 s7, exec_lo
	v_cmpx_eq_u32_e32 27, v216
	s_cbranch_execz .LBB98_582
; %bb.579:
	v_cmp_ne_u32_e32 vcc_lo, 27, v210
	s_xor_b32 s8, s16, -1
	s_and_b32 s9, s8, vcc_lo
	s_and_saveexec_b32 s8, s9
	s_cbranch_execz .LBB98_581
; %bb.580:
	v_ashrrev_i32_e32 v211, 31, v210
	v_lshlrev_b64 v[216:217], 2, v[210:211]
	v_add_co_u32 v216, vcc_lo, v208, v216
	v_add_co_ci_u32_e64 v217, null, v209, v217, vcc_lo
	s_clause 0x1
	global_load_dword v0, v[216:217], off
	global_load_dword v211, v[208:209], off offset:108
	s_waitcnt vmcnt(1)
	global_store_dword v[208:209], v0, off offset:108
	s_waitcnt vmcnt(0)
	global_store_dword v[216:217], v211, off
.LBB98_581:
	s_or_b32 exec_lo, exec_lo, s8
	v_mov_b32_e32 v216, v210
	v_mov_b32_e32 v0, v210
.LBB98_582:
	s_or_b32 exec_lo, exec_lo, s7
.LBB98_583:
	s_andn2_saveexec_b32 s0, s0
	s_cbranch_execz .LBB98_585
; %bb.584:
	v_mov_b32_e32 v216, 27
	ds_write2_b64 v1, v[86:87], v[88:89] offset0:56 offset1:57
	ds_write2_b64 v1, v[82:83], v[84:85] offset0:58 offset1:59
	;; [unrolled: 1-line block ×22, first 2 shown]
.LBB98_585:
	s_or_b32 exec_lo, exec_lo, s0
	s_mov_b32 s0, exec_lo
	s_waitcnt lgkmcnt(0)
	s_waitcnt_vscnt null, 0x0
	s_barrier
	buffer_gl0_inv
	v_cmpx_lt_i32_e32 27, v216
	s_cbranch_execz .LBB98_587
; %bb.586:
	v_mul_f64 v[210:211], v[204:205], v[92:93]
	v_mul_f64 v[92:93], v[202:203], v[92:93]
	v_fma_f64 v[210:211], v[202:203], v[90:91], -v[210:211]
	v_fma_f64 v[92:93], v[204:205], v[90:91], v[92:93]
	ds_read2_b64 v[202:205], v1 offset0:56 offset1:57
	s_waitcnt lgkmcnt(0)
	v_mul_f64 v[90:91], v[204:205], v[92:93]
	v_fma_f64 v[90:91], v[202:203], v[210:211], -v[90:91]
	v_mul_f64 v[202:203], v[202:203], v[92:93]
	v_add_f64 v[86:87], v[86:87], -v[90:91]
	v_fma_f64 v[202:203], v[204:205], v[210:211], v[202:203]
	v_add_f64 v[88:89], v[88:89], -v[202:203]
	ds_read2_b64 v[202:205], v1 offset0:58 offset1:59
	s_waitcnt lgkmcnt(0)
	v_mul_f64 v[90:91], v[204:205], v[92:93]
	v_fma_f64 v[90:91], v[202:203], v[210:211], -v[90:91]
	v_mul_f64 v[202:203], v[202:203], v[92:93]
	v_add_f64 v[82:83], v[82:83], -v[90:91]
	v_fma_f64 v[202:203], v[204:205], v[210:211], v[202:203]
	v_add_f64 v[84:85], v[84:85], -v[202:203]
	;; [unrolled: 8-line block ×21, first 2 shown]
	ds_read2_b64 v[202:205], v1 offset0:98 offset1:99
	s_waitcnt lgkmcnt(0)
	v_mul_f64 v[90:91], v[204:205], v[92:93]
	v_fma_f64 v[90:91], v[202:203], v[210:211], -v[90:91]
	v_mul_f64 v[202:203], v[202:203], v[92:93]
	v_add_f64 v[2:3], v[2:3], -v[90:91]
	v_fma_f64 v[202:203], v[204:205], v[210:211], v[202:203]
	v_mov_b32_e32 v90, v210
	v_mov_b32_e32 v91, v211
	v_add_f64 v[4:5], v[4:5], -v[202:203]
.LBB98_587:
	s_or_b32 exec_lo, exec_lo, s0
	v_lshl_add_u32 v202, v216, 4, v1
	s_barrier
	buffer_gl0_inv
	v_mov_b32_e32 v210, 28
	ds_write2_b64 v202, v[86:87], v[88:89] offset1:1
	s_waitcnt lgkmcnt(0)
	s_barrier
	buffer_gl0_inv
	ds_read2_b64 v[202:205], v1 offset0:56 offset1:57
	s_cmp_lt_i32 s1, 30
	s_cbranch_scc1 .LBB98_590
; %bb.588:
	v_add3_u32 v211, v212, 0, 0x1d0
	v_mov_b32_e32 v210, 28
	s_mov_b32 s7, 29
	s_inst_prefetch 0x1
	.p2align	6
.LBB98_589:                             ; =>This Inner Loop Header: Depth=1
	s_waitcnt lgkmcnt(0)
	v_cmp_gt_f64_e32 vcc_lo, 0, v[204:205]
	v_cmp_gt_f64_e64 s0, 0, v[202:203]
	ds_read2_b64 v[217:220], v211 offset1:1
	v_xor_b32_e32 v222, 0x80000000, v203
	v_xor_b32_e32 v224, 0x80000000, v205
	v_mov_b32_e32 v221, v202
	v_mov_b32_e32 v223, v204
	v_add_nc_u32_e32 v211, 16, v211
	s_waitcnt lgkmcnt(0)
	v_xor_b32_e32 v226, 0x80000000, v220
	v_cndmask_b32_e64 v222, v203, v222, s0
	v_cndmask_b32_e32 v224, v205, v224, vcc_lo
	v_cmp_gt_f64_e32 vcc_lo, 0, v[219:220]
	v_cmp_gt_f64_e64 s0, 0, v[217:218]
	v_mov_b32_e32 v225, v219
	v_add_f64 v[221:222], v[221:222], v[223:224]
	v_xor_b32_e32 v224, 0x80000000, v218
	v_mov_b32_e32 v223, v217
	v_cndmask_b32_e32 v226, v220, v226, vcc_lo
	v_cndmask_b32_e64 v224, v218, v224, s0
	v_add_f64 v[223:224], v[223:224], v[225:226]
	v_cmp_lt_f64_e32 vcc_lo, v[221:222], v[223:224]
	v_cndmask_b32_e32 v203, v203, v218, vcc_lo
	v_cndmask_b32_e32 v202, v202, v217, vcc_lo
	;; [unrolled: 1-line block ×4, first 2 shown]
	v_cndmask_b32_e64 v210, v210, s7, vcc_lo
	s_add_i32 s7, s7, 1
	s_cmp_lg_u32 s1, s7
	s_cbranch_scc1 .LBB98_589
.LBB98_590:
	s_inst_prefetch 0x2
	s_waitcnt lgkmcnt(0)
	v_cmp_eq_f64_e32 vcc_lo, 0, v[202:203]
	v_cmp_eq_f64_e64 s0, 0, v[204:205]
	s_and_b32 s0, vcc_lo, s0
	s_and_saveexec_b32 s7, s0
	s_xor_b32 s0, exec_lo, s7
; %bb.591:
	v_cmp_ne_u32_e32 vcc_lo, 0, v215
	v_cndmask_b32_e32 v215, 29, v215, vcc_lo
; %bb.592:
	s_andn2_saveexec_b32 s0, s0
	s_cbranch_execz .LBB98_598
; %bb.593:
	v_cmp_ngt_f64_e64 s7, |v[202:203]|, |v[204:205]|
	s_and_saveexec_b32 s8, s7
	s_xor_b32 s7, exec_lo, s8
	s_cbranch_execz .LBB98_595
; %bb.594:
	v_div_scale_f64 v[217:218], null, v[204:205], v[204:205], v[202:203]
	v_div_scale_f64 v[223:224], vcc_lo, v[202:203], v[204:205], v[202:203]
	v_rcp_f64_e32 v[219:220], v[217:218]
	v_fma_f64 v[221:222], -v[217:218], v[219:220], 1.0
	v_fma_f64 v[219:220], v[219:220], v[221:222], v[219:220]
	v_fma_f64 v[221:222], -v[217:218], v[219:220], 1.0
	v_fma_f64 v[219:220], v[219:220], v[221:222], v[219:220]
	v_mul_f64 v[221:222], v[223:224], v[219:220]
	v_fma_f64 v[217:218], -v[217:218], v[221:222], v[223:224]
	v_div_fmas_f64 v[217:218], v[217:218], v[219:220], v[221:222]
	v_div_fixup_f64 v[217:218], v[217:218], v[204:205], v[202:203]
	v_fma_f64 v[202:203], v[202:203], v[217:218], v[204:205]
	v_div_scale_f64 v[204:205], null, v[202:203], v[202:203], 1.0
	v_rcp_f64_e32 v[219:220], v[204:205]
	v_fma_f64 v[221:222], -v[204:205], v[219:220], 1.0
	v_fma_f64 v[219:220], v[219:220], v[221:222], v[219:220]
	v_fma_f64 v[221:222], -v[204:205], v[219:220], 1.0
	v_fma_f64 v[219:220], v[219:220], v[221:222], v[219:220]
	v_div_scale_f64 v[221:222], vcc_lo, 1.0, v[202:203], 1.0
	v_mul_f64 v[223:224], v[221:222], v[219:220]
	v_fma_f64 v[204:205], -v[204:205], v[223:224], v[221:222]
	v_div_fmas_f64 v[204:205], v[204:205], v[219:220], v[223:224]
	v_div_fixup_f64 v[204:205], v[204:205], v[202:203], 1.0
	v_mul_f64 v[202:203], v[217:218], v[204:205]
	v_xor_b32_e32 v205, 0x80000000, v205
.LBB98_595:
	s_andn2_saveexec_b32 s7, s7
	s_cbranch_execz .LBB98_597
; %bb.596:
	v_div_scale_f64 v[217:218], null, v[202:203], v[202:203], v[204:205]
	v_div_scale_f64 v[223:224], vcc_lo, v[204:205], v[202:203], v[204:205]
	v_rcp_f64_e32 v[219:220], v[217:218]
	v_fma_f64 v[221:222], -v[217:218], v[219:220], 1.0
	v_fma_f64 v[219:220], v[219:220], v[221:222], v[219:220]
	v_fma_f64 v[221:222], -v[217:218], v[219:220], 1.0
	v_fma_f64 v[219:220], v[219:220], v[221:222], v[219:220]
	v_mul_f64 v[221:222], v[223:224], v[219:220]
	v_fma_f64 v[217:218], -v[217:218], v[221:222], v[223:224]
	v_div_fmas_f64 v[217:218], v[217:218], v[219:220], v[221:222]
	v_div_fixup_f64 v[217:218], v[217:218], v[202:203], v[204:205]
	v_fma_f64 v[202:203], v[204:205], v[217:218], v[202:203]
	v_div_scale_f64 v[204:205], null, v[202:203], v[202:203], 1.0
	v_rcp_f64_e32 v[219:220], v[204:205]
	v_fma_f64 v[221:222], -v[204:205], v[219:220], 1.0
	v_fma_f64 v[219:220], v[219:220], v[221:222], v[219:220]
	v_fma_f64 v[221:222], -v[204:205], v[219:220], 1.0
	v_fma_f64 v[219:220], v[219:220], v[221:222], v[219:220]
	v_div_scale_f64 v[221:222], vcc_lo, 1.0, v[202:203], 1.0
	v_mul_f64 v[223:224], v[221:222], v[219:220]
	v_fma_f64 v[204:205], -v[204:205], v[223:224], v[221:222]
	v_div_fmas_f64 v[204:205], v[204:205], v[219:220], v[223:224]
	v_div_fixup_f64 v[202:203], v[204:205], v[202:203], 1.0
	v_mul_f64 v[204:205], v[217:218], -v[202:203]
.LBB98_597:
	s_or_b32 exec_lo, exec_lo, s7
.LBB98_598:
	s_or_b32 exec_lo, exec_lo, s0
	s_mov_b32 s0, exec_lo
	v_cmpx_ne_u32_e64 v216, v210
	s_xor_b32 s0, exec_lo, s0
	s_cbranch_execz .LBB98_604
; %bb.599:
	s_mov_b32 s7, exec_lo
	v_cmpx_eq_u32_e32 28, v216
	s_cbranch_execz .LBB98_603
; %bb.600:
	v_cmp_ne_u32_e32 vcc_lo, 28, v210
	s_xor_b32 s8, s16, -1
	s_and_b32 s9, s8, vcc_lo
	s_and_saveexec_b32 s8, s9
	s_cbranch_execz .LBB98_602
; %bb.601:
	v_ashrrev_i32_e32 v211, 31, v210
	v_lshlrev_b64 v[216:217], 2, v[210:211]
	v_add_co_u32 v216, vcc_lo, v208, v216
	v_add_co_ci_u32_e64 v217, null, v209, v217, vcc_lo
	s_clause 0x1
	global_load_dword v0, v[216:217], off
	global_load_dword v211, v[208:209], off offset:112
	s_waitcnt vmcnt(1)
	global_store_dword v[208:209], v0, off offset:112
	s_waitcnt vmcnt(0)
	global_store_dword v[216:217], v211, off
.LBB98_602:
	s_or_b32 exec_lo, exec_lo, s8
	v_mov_b32_e32 v216, v210
	v_mov_b32_e32 v0, v210
.LBB98_603:
	s_or_b32 exec_lo, exec_lo, s7
.LBB98_604:
	s_andn2_saveexec_b32 s0, s0
	s_cbranch_execz .LBB98_606
; %bb.605:
	v_mov_b32_e32 v216, 28
	ds_write2_b64 v1, v[82:83], v[84:85] offset0:58 offset1:59
	ds_write2_b64 v1, v[78:79], v[80:81] offset0:60 offset1:61
	;; [unrolled: 1-line block ×21, first 2 shown]
.LBB98_606:
	s_or_b32 exec_lo, exec_lo, s0
	s_mov_b32 s0, exec_lo
	s_waitcnt lgkmcnt(0)
	s_waitcnt_vscnt null, 0x0
	s_barrier
	buffer_gl0_inv
	v_cmpx_lt_i32_e32 28, v216
	s_cbranch_execz .LBB98_608
; %bb.607:
	v_mul_f64 v[210:211], v[204:205], v[88:89]
	v_mul_f64 v[88:89], v[202:203], v[88:89]
	v_fma_f64 v[210:211], v[202:203], v[86:87], -v[210:211]
	v_fma_f64 v[88:89], v[204:205], v[86:87], v[88:89]
	ds_read2_b64 v[202:205], v1 offset0:58 offset1:59
	s_waitcnt lgkmcnt(0)
	v_mul_f64 v[86:87], v[204:205], v[88:89]
	v_fma_f64 v[86:87], v[202:203], v[210:211], -v[86:87]
	v_mul_f64 v[202:203], v[202:203], v[88:89]
	v_add_f64 v[82:83], v[82:83], -v[86:87]
	v_fma_f64 v[202:203], v[204:205], v[210:211], v[202:203]
	v_add_f64 v[84:85], v[84:85], -v[202:203]
	ds_read2_b64 v[202:205], v1 offset0:60 offset1:61
	s_waitcnt lgkmcnt(0)
	v_mul_f64 v[86:87], v[204:205], v[88:89]
	v_fma_f64 v[86:87], v[202:203], v[210:211], -v[86:87]
	v_mul_f64 v[202:203], v[202:203], v[88:89]
	v_add_f64 v[78:79], v[78:79], -v[86:87]
	v_fma_f64 v[202:203], v[204:205], v[210:211], v[202:203]
	v_add_f64 v[80:81], v[80:81], -v[202:203]
	;; [unrolled: 8-line block ×20, first 2 shown]
	ds_read2_b64 v[202:205], v1 offset0:98 offset1:99
	s_waitcnt lgkmcnt(0)
	v_mul_f64 v[86:87], v[204:205], v[88:89]
	v_fma_f64 v[86:87], v[202:203], v[210:211], -v[86:87]
	v_mul_f64 v[202:203], v[202:203], v[88:89]
	v_add_f64 v[2:3], v[2:3], -v[86:87]
	v_fma_f64 v[202:203], v[204:205], v[210:211], v[202:203]
	v_mov_b32_e32 v86, v210
	v_mov_b32_e32 v87, v211
	v_add_f64 v[4:5], v[4:5], -v[202:203]
.LBB98_608:
	s_or_b32 exec_lo, exec_lo, s0
	v_lshl_add_u32 v202, v216, 4, v1
	s_barrier
	buffer_gl0_inv
	v_mov_b32_e32 v210, 29
	ds_write2_b64 v202, v[82:83], v[84:85] offset1:1
	s_waitcnt lgkmcnt(0)
	s_barrier
	buffer_gl0_inv
	ds_read2_b64 v[202:205], v1 offset0:58 offset1:59
	s_cmp_lt_i32 s1, 31
	s_cbranch_scc1 .LBB98_611
; %bb.609:
	v_add3_u32 v211, v212, 0, 0x1e0
	v_mov_b32_e32 v210, 29
	s_mov_b32 s7, 30
	s_inst_prefetch 0x1
	.p2align	6
.LBB98_610:                             ; =>This Inner Loop Header: Depth=1
	s_waitcnt lgkmcnt(0)
	v_cmp_gt_f64_e32 vcc_lo, 0, v[204:205]
	v_cmp_gt_f64_e64 s0, 0, v[202:203]
	ds_read2_b64 v[217:220], v211 offset1:1
	v_xor_b32_e32 v222, 0x80000000, v203
	v_xor_b32_e32 v224, 0x80000000, v205
	v_mov_b32_e32 v221, v202
	v_mov_b32_e32 v223, v204
	v_add_nc_u32_e32 v211, 16, v211
	s_waitcnt lgkmcnt(0)
	v_xor_b32_e32 v226, 0x80000000, v220
	v_cndmask_b32_e64 v222, v203, v222, s0
	v_cndmask_b32_e32 v224, v205, v224, vcc_lo
	v_cmp_gt_f64_e32 vcc_lo, 0, v[219:220]
	v_cmp_gt_f64_e64 s0, 0, v[217:218]
	v_mov_b32_e32 v225, v219
	v_add_f64 v[221:222], v[221:222], v[223:224]
	v_xor_b32_e32 v224, 0x80000000, v218
	v_mov_b32_e32 v223, v217
	v_cndmask_b32_e32 v226, v220, v226, vcc_lo
	v_cndmask_b32_e64 v224, v218, v224, s0
	v_add_f64 v[223:224], v[223:224], v[225:226]
	v_cmp_lt_f64_e32 vcc_lo, v[221:222], v[223:224]
	v_cndmask_b32_e32 v203, v203, v218, vcc_lo
	v_cndmask_b32_e32 v202, v202, v217, vcc_lo
	;; [unrolled: 1-line block ×4, first 2 shown]
	v_cndmask_b32_e64 v210, v210, s7, vcc_lo
	s_add_i32 s7, s7, 1
	s_cmp_lg_u32 s1, s7
	s_cbranch_scc1 .LBB98_610
.LBB98_611:
	s_inst_prefetch 0x2
	s_waitcnt lgkmcnt(0)
	v_cmp_eq_f64_e32 vcc_lo, 0, v[202:203]
	v_cmp_eq_f64_e64 s0, 0, v[204:205]
	s_and_b32 s0, vcc_lo, s0
	s_and_saveexec_b32 s7, s0
	s_xor_b32 s0, exec_lo, s7
; %bb.612:
	v_cmp_ne_u32_e32 vcc_lo, 0, v215
	v_cndmask_b32_e32 v215, 30, v215, vcc_lo
; %bb.613:
	s_andn2_saveexec_b32 s0, s0
	s_cbranch_execz .LBB98_619
; %bb.614:
	v_cmp_ngt_f64_e64 s7, |v[202:203]|, |v[204:205]|
	s_and_saveexec_b32 s8, s7
	s_xor_b32 s7, exec_lo, s8
	s_cbranch_execz .LBB98_616
; %bb.615:
	v_div_scale_f64 v[217:218], null, v[204:205], v[204:205], v[202:203]
	v_div_scale_f64 v[223:224], vcc_lo, v[202:203], v[204:205], v[202:203]
	v_rcp_f64_e32 v[219:220], v[217:218]
	v_fma_f64 v[221:222], -v[217:218], v[219:220], 1.0
	v_fma_f64 v[219:220], v[219:220], v[221:222], v[219:220]
	v_fma_f64 v[221:222], -v[217:218], v[219:220], 1.0
	v_fma_f64 v[219:220], v[219:220], v[221:222], v[219:220]
	v_mul_f64 v[221:222], v[223:224], v[219:220]
	v_fma_f64 v[217:218], -v[217:218], v[221:222], v[223:224]
	v_div_fmas_f64 v[217:218], v[217:218], v[219:220], v[221:222]
	v_div_fixup_f64 v[217:218], v[217:218], v[204:205], v[202:203]
	v_fma_f64 v[202:203], v[202:203], v[217:218], v[204:205]
	v_div_scale_f64 v[204:205], null, v[202:203], v[202:203], 1.0
	v_rcp_f64_e32 v[219:220], v[204:205]
	v_fma_f64 v[221:222], -v[204:205], v[219:220], 1.0
	v_fma_f64 v[219:220], v[219:220], v[221:222], v[219:220]
	v_fma_f64 v[221:222], -v[204:205], v[219:220], 1.0
	v_fma_f64 v[219:220], v[219:220], v[221:222], v[219:220]
	v_div_scale_f64 v[221:222], vcc_lo, 1.0, v[202:203], 1.0
	v_mul_f64 v[223:224], v[221:222], v[219:220]
	v_fma_f64 v[204:205], -v[204:205], v[223:224], v[221:222]
	v_div_fmas_f64 v[204:205], v[204:205], v[219:220], v[223:224]
	v_div_fixup_f64 v[204:205], v[204:205], v[202:203], 1.0
	v_mul_f64 v[202:203], v[217:218], v[204:205]
	v_xor_b32_e32 v205, 0x80000000, v205
.LBB98_616:
	s_andn2_saveexec_b32 s7, s7
	s_cbranch_execz .LBB98_618
; %bb.617:
	v_div_scale_f64 v[217:218], null, v[202:203], v[202:203], v[204:205]
	v_div_scale_f64 v[223:224], vcc_lo, v[204:205], v[202:203], v[204:205]
	v_rcp_f64_e32 v[219:220], v[217:218]
	v_fma_f64 v[221:222], -v[217:218], v[219:220], 1.0
	v_fma_f64 v[219:220], v[219:220], v[221:222], v[219:220]
	v_fma_f64 v[221:222], -v[217:218], v[219:220], 1.0
	v_fma_f64 v[219:220], v[219:220], v[221:222], v[219:220]
	v_mul_f64 v[221:222], v[223:224], v[219:220]
	v_fma_f64 v[217:218], -v[217:218], v[221:222], v[223:224]
	v_div_fmas_f64 v[217:218], v[217:218], v[219:220], v[221:222]
	v_div_fixup_f64 v[217:218], v[217:218], v[202:203], v[204:205]
	v_fma_f64 v[202:203], v[204:205], v[217:218], v[202:203]
	v_div_scale_f64 v[204:205], null, v[202:203], v[202:203], 1.0
	v_rcp_f64_e32 v[219:220], v[204:205]
	v_fma_f64 v[221:222], -v[204:205], v[219:220], 1.0
	v_fma_f64 v[219:220], v[219:220], v[221:222], v[219:220]
	v_fma_f64 v[221:222], -v[204:205], v[219:220], 1.0
	v_fma_f64 v[219:220], v[219:220], v[221:222], v[219:220]
	v_div_scale_f64 v[221:222], vcc_lo, 1.0, v[202:203], 1.0
	v_mul_f64 v[223:224], v[221:222], v[219:220]
	v_fma_f64 v[204:205], -v[204:205], v[223:224], v[221:222]
	v_div_fmas_f64 v[204:205], v[204:205], v[219:220], v[223:224]
	v_div_fixup_f64 v[202:203], v[204:205], v[202:203], 1.0
	v_mul_f64 v[204:205], v[217:218], -v[202:203]
.LBB98_618:
	s_or_b32 exec_lo, exec_lo, s7
.LBB98_619:
	s_or_b32 exec_lo, exec_lo, s0
	s_mov_b32 s0, exec_lo
	v_cmpx_ne_u32_e64 v216, v210
	s_xor_b32 s0, exec_lo, s0
	s_cbranch_execz .LBB98_625
; %bb.620:
	s_mov_b32 s7, exec_lo
	v_cmpx_eq_u32_e32 29, v216
	s_cbranch_execz .LBB98_624
; %bb.621:
	v_cmp_ne_u32_e32 vcc_lo, 29, v210
	s_xor_b32 s8, s16, -1
	s_and_b32 s9, s8, vcc_lo
	s_and_saveexec_b32 s8, s9
	s_cbranch_execz .LBB98_623
; %bb.622:
	v_ashrrev_i32_e32 v211, 31, v210
	v_lshlrev_b64 v[216:217], 2, v[210:211]
	v_add_co_u32 v216, vcc_lo, v208, v216
	v_add_co_ci_u32_e64 v217, null, v209, v217, vcc_lo
	s_clause 0x1
	global_load_dword v0, v[216:217], off
	global_load_dword v211, v[208:209], off offset:116
	s_waitcnt vmcnt(1)
	global_store_dword v[208:209], v0, off offset:116
	s_waitcnt vmcnt(0)
	global_store_dword v[216:217], v211, off
.LBB98_623:
	s_or_b32 exec_lo, exec_lo, s8
	v_mov_b32_e32 v216, v210
	v_mov_b32_e32 v0, v210
.LBB98_624:
	s_or_b32 exec_lo, exec_lo, s7
.LBB98_625:
	s_andn2_saveexec_b32 s0, s0
	s_cbranch_execz .LBB98_627
; %bb.626:
	v_mov_b32_e32 v216, 29
	ds_write2_b64 v1, v[78:79], v[80:81] offset0:60 offset1:61
	ds_write2_b64 v1, v[74:75], v[76:77] offset0:62 offset1:63
	;; [unrolled: 1-line block ×20, first 2 shown]
.LBB98_627:
	s_or_b32 exec_lo, exec_lo, s0
	s_mov_b32 s0, exec_lo
	s_waitcnt lgkmcnt(0)
	s_waitcnt_vscnt null, 0x0
	s_barrier
	buffer_gl0_inv
	v_cmpx_lt_i32_e32 29, v216
	s_cbranch_execz .LBB98_629
; %bb.628:
	v_mul_f64 v[210:211], v[204:205], v[84:85]
	v_mul_f64 v[84:85], v[202:203], v[84:85]
	v_fma_f64 v[210:211], v[202:203], v[82:83], -v[210:211]
	v_fma_f64 v[84:85], v[204:205], v[82:83], v[84:85]
	ds_read2_b64 v[202:205], v1 offset0:60 offset1:61
	s_waitcnt lgkmcnt(0)
	v_mul_f64 v[82:83], v[204:205], v[84:85]
	v_fma_f64 v[82:83], v[202:203], v[210:211], -v[82:83]
	v_mul_f64 v[202:203], v[202:203], v[84:85]
	v_add_f64 v[78:79], v[78:79], -v[82:83]
	v_fma_f64 v[202:203], v[204:205], v[210:211], v[202:203]
	v_add_f64 v[80:81], v[80:81], -v[202:203]
	ds_read2_b64 v[202:205], v1 offset0:62 offset1:63
	s_waitcnt lgkmcnt(0)
	v_mul_f64 v[82:83], v[204:205], v[84:85]
	v_fma_f64 v[82:83], v[202:203], v[210:211], -v[82:83]
	v_mul_f64 v[202:203], v[202:203], v[84:85]
	v_add_f64 v[74:75], v[74:75], -v[82:83]
	v_fma_f64 v[202:203], v[204:205], v[210:211], v[202:203]
	v_add_f64 v[76:77], v[76:77], -v[202:203]
	;; [unrolled: 8-line block ×19, first 2 shown]
	ds_read2_b64 v[202:205], v1 offset0:98 offset1:99
	s_waitcnt lgkmcnt(0)
	v_mul_f64 v[82:83], v[204:205], v[84:85]
	v_fma_f64 v[82:83], v[202:203], v[210:211], -v[82:83]
	v_mul_f64 v[202:203], v[202:203], v[84:85]
	v_add_f64 v[2:3], v[2:3], -v[82:83]
	v_fma_f64 v[202:203], v[204:205], v[210:211], v[202:203]
	v_mov_b32_e32 v82, v210
	v_mov_b32_e32 v83, v211
	v_add_f64 v[4:5], v[4:5], -v[202:203]
.LBB98_629:
	s_or_b32 exec_lo, exec_lo, s0
	v_lshl_add_u32 v202, v216, 4, v1
	s_barrier
	buffer_gl0_inv
	v_mov_b32_e32 v210, 30
	ds_write2_b64 v202, v[78:79], v[80:81] offset1:1
	s_waitcnt lgkmcnt(0)
	s_barrier
	buffer_gl0_inv
	ds_read2_b64 v[202:205], v1 offset0:60 offset1:61
	s_cmp_lt_i32 s1, 32
	s_cbranch_scc1 .LBB98_632
; %bb.630:
	v_add3_u32 v211, v212, 0, 0x1f0
	v_mov_b32_e32 v210, 30
	s_mov_b32 s7, 31
	s_inst_prefetch 0x1
	.p2align	6
.LBB98_631:                             ; =>This Inner Loop Header: Depth=1
	s_waitcnt lgkmcnt(0)
	v_cmp_gt_f64_e32 vcc_lo, 0, v[204:205]
	v_cmp_gt_f64_e64 s0, 0, v[202:203]
	ds_read2_b64 v[217:220], v211 offset1:1
	v_xor_b32_e32 v222, 0x80000000, v203
	v_xor_b32_e32 v224, 0x80000000, v205
	v_mov_b32_e32 v221, v202
	v_mov_b32_e32 v223, v204
	v_add_nc_u32_e32 v211, 16, v211
	s_waitcnt lgkmcnt(0)
	v_xor_b32_e32 v226, 0x80000000, v220
	v_cndmask_b32_e64 v222, v203, v222, s0
	v_cndmask_b32_e32 v224, v205, v224, vcc_lo
	v_cmp_gt_f64_e32 vcc_lo, 0, v[219:220]
	v_cmp_gt_f64_e64 s0, 0, v[217:218]
	v_mov_b32_e32 v225, v219
	v_add_f64 v[221:222], v[221:222], v[223:224]
	v_xor_b32_e32 v224, 0x80000000, v218
	v_mov_b32_e32 v223, v217
	v_cndmask_b32_e32 v226, v220, v226, vcc_lo
	v_cndmask_b32_e64 v224, v218, v224, s0
	v_add_f64 v[223:224], v[223:224], v[225:226]
	v_cmp_lt_f64_e32 vcc_lo, v[221:222], v[223:224]
	v_cndmask_b32_e32 v203, v203, v218, vcc_lo
	v_cndmask_b32_e32 v202, v202, v217, vcc_lo
	;; [unrolled: 1-line block ×4, first 2 shown]
	v_cndmask_b32_e64 v210, v210, s7, vcc_lo
	s_add_i32 s7, s7, 1
	s_cmp_lg_u32 s1, s7
	s_cbranch_scc1 .LBB98_631
.LBB98_632:
	s_inst_prefetch 0x2
	s_waitcnt lgkmcnt(0)
	v_cmp_eq_f64_e32 vcc_lo, 0, v[202:203]
	v_cmp_eq_f64_e64 s0, 0, v[204:205]
	s_and_b32 s0, vcc_lo, s0
	s_and_saveexec_b32 s7, s0
	s_xor_b32 s0, exec_lo, s7
; %bb.633:
	v_cmp_ne_u32_e32 vcc_lo, 0, v215
	v_cndmask_b32_e32 v215, 31, v215, vcc_lo
; %bb.634:
	s_andn2_saveexec_b32 s0, s0
	s_cbranch_execz .LBB98_640
; %bb.635:
	v_cmp_ngt_f64_e64 s7, |v[202:203]|, |v[204:205]|
	s_and_saveexec_b32 s8, s7
	s_xor_b32 s7, exec_lo, s8
	s_cbranch_execz .LBB98_637
; %bb.636:
	v_div_scale_f64 v[217:218], null, v[204:205], v[204:205], v[202:203]
	v_div_scale_f64 v[223:224], vcc_lo, v[202:203], v[204:205], v[202:203]
	v_rcp_f64_e32 v[219:220], v[217:218]
	v_fma_f64 v[221:222], -v[217:218], v[219:220], 1.0
	v_fma_f64 v[219:220], v[219:220], v[221:222], v[219:220]
	v_fma_f64 v[221:222], -v[217:218], v[219:220], 1.0
	v_fma_f64 v[219:220], v[219:220], v[221:222], v[219:220]
	v_mul_f64 v[221:222], v[223:224], v[219:220]
	v_fma_f64 v[217:218], -v[217:218], v[221:222], v[223:224]
	v_div_fmas_f64 v[217:218], v[217:218], v[219:220], v[221:222]
	v_div_fixup_f64 v[217:218], v[217:218], v[204:205], v[202:203]
	v_fma_f64 v[202:203], v[202:203], v[217:218], v[204:205]
	v_div_scale_f64 v[204:205], null, v[202:203], v[202:203], 1.0
	v_rcp_f64_e32 v[219:220], v[204:205]
	v_fma_f64 v[221:222], -v[204:205], v[219:220], 1.0
	v_fma_f64 v[219:220], v[219:220], v[221:222], v[219:220]
	v_fma_f64 v[221:222], -v[204:205], v[219:220], 1.0
	v_fma_f64 v[219:220], v[219:220], v[221:222], v[219:220]
	v_div_scale_f64 v[221:222], vcc_lo, 1.0, v[202:203], 1.0
	v_mul_f64 v[223:224], v[221:222], v[219:220]
	v_fma_f64 v[204:205], -v[204:205], v[223:224], v[221:222]
	v_div_fmas_f64 v[204:205], v[204:205], v[219:220], v[223:224]
	v_div_fixup_f64 v[204:205], v[204:205], v[202:203], 1.0
	v_mul_f64 v[202:203], v[217:218], v[204:205]
	v_xor_b32_e32 v205, 0x80000000, v205
.LBB98_637:
	s_andn2_saveexec_b32 s7, s7
	s_cbranch_execz .LBB98_639
; %bb.638:
	v_div_scale_f64 v[217:218], null, v[202:203], v[202:203], v[204:205]
	v_div_scale_f64 v[223:224], vcc_lo, v[204:205], v[202:203], v[204:205]
	v_rcp_f64_e32 v[219:220], v[217:218]
	v_fma_f64 v[221:222], -v[217:218], v[219:220], 1.0
	v_fma_f64 v[219:220], v[219:220], v[221:222], v[219:220]
	v_fma_f64 v[221:222], -v[217:218], v[219:220], 1.0
	v_fma_f64 v[219:220], v[219:220], v[221:222], v[219:220]
	v_mul_f64 v[221:222], v[223:224], v[219:220]
	v_fma_f64 v[217:218], -v[217:218], v[221:222], v[223:224]
	v_div_fmas_f64 v[217:218], v[217:218], v[219:220], v[221:222]
	v_div_fixup_f64 v[217:218], v[217:218], v[202:203], v[204:205]
	v_fma_f64 v[202:203], v[204:205], v[217:218], v[202:203]
	v_div_scale_f64 v[204:205], null, v[202:203], v[202:203], 1.0
	v_rcp_f64_e32 v[219:220], v[204:205]
	v_fma_f64 v[221:222], -v[204:205], v[219:220], 1.0
	v_fma_f64 v[219:220], v[219:220], v[221:222], v[219:220]
	v_fma_f64 v[221:222], -v[204:205], v[219:220], 1.0
	v_fma_f64 v[219:220], v[219:220], v[221:222], v[219:220]
	v_div_scale_f64 v[221:222], vcc_lo, 1.0, v[202:203], 1.0
	v_mul_f64 v[223:224], v[221:222], v[219:220]
	v_fma_f64 v[204:205], -v[204:205], v[223:224], v[221:222]
	v_div_fmas_f64 v[204:205], v[204:205], v[219:220], v[223:224]
	v_div_fixup_f64 v[202:203], v[204:205], v[202:203], 1.0
	v_mul_f64 v[204:205], v[217:218], -v[202:203]
.LBB98_639:
	s_or_b32 exec_lo, exec_lo, s7
.LBB98_640:
	s_or_b32 exec_lo, exec_lo, s0
	s_mov_b32 s0, exec_lo
	v_cmpx_ne_u32_e64 v216, v210
	s_xor_b32 s0, exec_lo, s0
	s_cbranch_execz .LBB98_646
; %bb.641:
	s_mov_b32 s7, exec_lo
	v_cmpx_eq_u32_e32 30, v216
	s_cbranch_execz .LBB98_645
; %bb.642:
	v_cmp_ne_u32_e32 vcc_lo, 30, v210
	s_xor_b32 s8, s16, -1
	s_and_b32 s9, s8, vcc_lo
	s_and_saveexec_b32 s8, s9
	s_cbranch_execz .LBB98_644
; %bb.643:
	v_ashrrev_i32_e32 v211, 31, v210
	v_lshlrev_b64 v[216:217], 2, v[210:211]
	v_add_co_u32 v216, vcc_lo, v208, v216
	v_add_co_ci_u32_e64 v217, null, v209, v217, vcc_lo
	s_clause 0x1
	global_load_dword v0, v[216:217], off
	global_load_dword v211, v[208:209], off offset:120
	s_waitcnt vmcnt(1)
	global_store_dword v[208:209], v0, off offset:120
	s_waitcnt vmcnt(0)
	global_store_dword v[216:217], v211, off
.LBB98_644:
	s_or_b32 exec_lo, exec_lo, s8
	v_mov_b32_e32 v216, v210
	v_mov_b32_e32 v0, v210
.LBB98_645:
	s_or_b32 exec_lo, exec_lo, s7
.LBB98_646:
	s_andn2_saveexec_b32 s0, s0
	s_cbranch_execz .LBB98_648
; %bb.647:
	v_mov_b32_e32 v216, 30
	ds_write2_b64 v1, v[74:75], v[76:77] offset0:62 offset1:63
	ds_write2_b64 v1, v[70:71], v[72:73] offset0:64 offset1:65
	;; [unrolled: 1-line block ×19, first 2 shown]
.LBB98_648:
	s_or_b32 exec_lo, exec_lo, s0
	s_mov_b32 s0, exec_lo
	s_waitcnt lgkmcnt(0)
	s_waitcnt_vscnt null, 0x0
	s_barrier
	buffer_gl0_inv
	v_cmpx_lt_i32_e32 30, v216
	s_cbranch_execz .LBB98_650
; %bb.649:
	v_mul_f64 v[210:211], v[204:205], v[80:81]
	v_mul_f64 v[80:81], v[202:203], v[80:81]
	v_fma_f64 v[210:211], v[202:203], v[78:79], -v[210:211]
	v_fma_f64 v[80:81], v[204:205], v[78:79], v[80:81]
	ds_read2_b64 v[202:205], v1 offset0:62 offset1:63
	s_waitcnt lgkmcnt(0)
	v_mul_f64 v[78:79], v[204:205], v[80:81]
	v_fma_f64 v[78:79], v[202:203], v[210:211], -v[78:79]
	v_mul_f64 v[202:203], v[202:203], v[80:81]
	v_add_f64 v[74:75], v[74:75], -v[78:79]
	v_fma_f64 v[202:203], v[204:205], v[210:211], v[202:203]
	v_add_f64 v[76:77], v[76:77], -v[202:203]
	ds_read2_b64 v[202:205], v1 offset0:64 offset1:65
	s_waitcnt lgkmcnt(0)
	v_mul_f64 v[78:79], v[204:205], v[80:81]
	v_fma_f64 v[78:79], v[202:203], v[210:211], -v[78:79]
	v_mul_f64 v[202:203], v[202:203], v[80:81]
	v_add_f64 v[70:71], v[70:71], -v[78:79]
	v_fma_f64 v[202:203], v[204:205], v[210:211], v[202:203]
	v_add_f64 v[72:73], v[72:73], -v[202:203]
	;; [unrolled: 8-line block ×18, first 2 shown]
	ds_read2_b64 v[202:205], v1 offset0:98 offset1:99
	s_waitcnt lgkmcnt(0)
	v_mul_f64 v[78:79], v[204:205], v[80:81]
	v_fma_f64 v[78:79], v[202:203], v[210:211], -v[78:79]
	v_mul_f64 v[202:203], v[202:203], v[80:81]
	v_add_f64 v[2:3], v[2:3], -v[78:79]
	v_fma_f64 v[202:203], v[204:205], v[210:211], v[202:203]
	v_mov_b32_e32 v78, v210
	v_mov_b32_e32 v79, v211
	v_add_f64 v[4:5], v[4:5], -v[202:203]
.LBB98_650:
	s_or_b32 exec_lo, exec_lo, s0
	v_lshl_add_u32 v202, v216, 4, v1
	s_barrier
	buffer_gl0_inv
	v_mov_b32_e32 v210, 31
	ds_write2_b64 v202, v[74:75], v[76:77] offset1:1
	s_waitcnt lgkmcnt(0)
	s_barrier
	buffer_gl0_inv
	ds_read2_b64 v[202:205], v1 offset0:62 offset1:63
	s_cmp_lt_i32 s1, 33
	s_cbranch_scc1 .LBB98_653
; %bb.651:
	v_add3_u32 v211, v212, 0, 0x200
	v_mov_b32_e32 v210, 31
	s_mov_b32 s7, 32
	s_inst_prefetch 0x1
	.p2align	6
.LBB98_652:                             ; =>This Inner Loop Header: Depth=1
	s_waitcnt lgkmcnt(0)
	v_cmp_gt_f64_e32 vcc_lo, 0, v[204:205]
	v_cmp_gt_f64_e64 s0, 0, v[202:203]
	ds_read2_b64 v[217:220], v211 offset1:1
	v_xor_b32_e32 v222, 0x80000000, v203
	v_xor_b32_e32 v224, 0x80000000, v205
	v_mov_b32_e32 v221, v202
	v_mov_b32_e32 v223, v204
	v_add_nc_u32_e32 v211, 16, v211
	s_waitcnt lgkmcnt(0)
	v_xor_b32_e32 v226, 0x80000000, v220
	v_cndmask_b32_e64 v222, v203, v222, s0
	v_cndmask_b32_e32 v224, v205, v224, vcc_lo
	v_cmp_gt_f64_e32 vcc_lo, 0, v[219:220]
	v_cmp_gt_f64_e64 s0, 0, v[217:218]
	v_mov_b32_e32 v225, v219
	v_add_f64 v[221:222], v[221:222], v[223:224]
	v_xor_b32_e32 v224, 0x80000000, v218
	v_mov_b32_e32 v223, v217
	v_cndmask_b32_e32 v226, v220, v226, vcc_lo
	v_cndmask_b32_e64 v224, v218, v224, s0
	v_add_f64 v[223:224], v[223:224], v[225:226]
	v_cmp_lt_f64_e32 vcc_lo, v[221:222], v[223:224]
	v_cndmask_b32_e32 v203, v203, v218, vcc_lo
	v_cndmask_b32_e32 v202, v202, v217, vcc_lo
	;; [unrolled: 1-line block ×4, first 2 shown]
	v_cndmask_b32_e64 v210, v210, s7, vcc_lo
	s_add_i32 s7, s7, 1
	s_cmp_lg_u32 s1, s7
	s_cbranch_scc1 .LBB98_652
.LBB98_653:
	s_inst_prefetch 0x2
	s_waitcnt lgkmcnt(0)
	v_cmp_eq_f64_e32 vcc_lo, 0, v[202:203]
	v_cmp_eq_f64_e64 s0, 0, v[204:205]
	s_and_b32 s0, vcc_lo, s0
	s_and_saveexec_b32 s7, s0
	s_xor_b32 s0, exec_lo, s7
; %bb.654:
	v_cmp_ne_u32_e32 vcc_lo, 0, v215
	v_cndmask_b32_e32 v215, 32, v215, vcc_lo
; %bb.655:
	s_andn2_saveexec_b32 s0, s0
	s_cbranch_execz .LBB98_661
; %bb.656:
	v_cmp_ngt_f64_e64 s7, |v[202:203]|, |v[204:205]|
	s_and_saveexec_b32 s8, s7
	s_xor_b32 s7, exec_lo, s8
	s_cbranch_execz .LBB98_658
; %bb.657:
	v_div_scale_f64 v[217:218], null, v[204:205], v[204:205], v[202:203]
	v_div_scale_f64 v[223:224], vcc_lo, v[202:203], v[204:205], v[202:203]
	v_rcp_f64_e32 v[219:220], v[217:218]
	v_fma_f64 v[221:222], -v[217:218], v[219:220], 1.0
	v_fma_f64 v[219:220], v[219:220], v[221:222], v[219:220]
	v_fma_f64 v[221:222], -v[217:218], v[219:220], 1.0
	v_fma_f64 v[219:220], v[219:220], v[221:222], v[219:220]
	v_mul_f64 v[221:222], v[223:224], v[219:220]
	v_fma_f64 v[217:218], -v[217:218], v[221:222], v[223:224]
	v_div_fmas_f64 v[217:218], v[217:218], v[219:220], v[221:222]
	v_div_fixup_f64 v[217:218], v[217:218], v[204:205], v[202:203]
	v_fma_f64 v[202:203], v[202:203], v[217:218], v[204:205]
	v_div_scale_f64 v[204:205], null, v[202:203], v[202:203], 1.0
	v_rcp_f64_e32 v[219:220], v[204:205]
	v_fma_f64 v[221:222], -v[204:205], v[219:220], 1.0
	v_fma_f64 v[219:220], v[219:220], v[221:222], v[219:220]
	v_fma_f64 v[221:222], -v[204:205], v[219:220], 1.0
	v_fma_f64 v[219:220], v[219:220], v[221:222], v[219:220]
	v_div_scale_f64 v[221:222], vcc_lo, 1.0, v[202:203], 1.0
	v_mul_f64 v[223:224], v[221:222], v[219:220]
	v_fma_f64 v[204:205], -v[204:205], v[223:224], v[221:222]
	v_div_fmas_f64 v[204:205], v[204:205], v[219:220], v[223:224]
	v_div_fixup_f64 v[204:205], v[204:205], v[202:203], 1.0
	v_mul_f64 v[202:203], v[217:218], v[204:205]
	v_xor_b32_e32 v205, 0x80000000, v205
.LBB98_658:
	s_andn2_saveexec_b32 s7, s7
	s_cbranch_execz .LBB98_660
; %bb.659:
	v_div_scale_f64 v[217:218], null, v[202:203], v[202:203], v[204:205]
	v_div_scale_f64 v[223:224], vcc_lo, v[204:205], v[202:203], v[204:205]
	v_rcp_f64_e32 v[219:220], v[217:218]
	v_fma_f64 v[221:222], -v[217:218], v[219:220], 1.0
	v_fma_f64 v[219:220], v[219:220], v[221:222], v[219:220]
	v_fma_f64 v[221:222], -v[217:218], v[219:220], 1.0
	v_fma_f64 v[219:220], v[219:220], v[221:222], v[219:220]
	v_mul_f64 v[221:222], v[223:224], v[219:220]
	v_fma_f64 v[217:218], -v[217:218], v[221:222], v[223:224]
	v_div_fmas_f64 v[217:218], v[217:218], v[219:220], v[221:222]
	v_div_fixup_f64 v[217:218], v[217:218], v[202:203], v[204:205]
	v_fma_f64 v[202:203], v[204:205], v[217:218], v[202:203]
	v_div_scale_f64 v[204:205], null, v[202:203], v[202:203], 1.0
	v_rcp_f64_e32 v[219:220], v[204:205]
	v_fma_f64 v[221:222], -v[204:205], v[219:220], 1.0
	v_fma_f64 v[219:220], v[219:220], v[221:222], v[219:220]
	v_fma_f64 v[221:222], -v[204:205], v[219:220], 1.0
	v_fma_f64 v[219:220], v[219:220], v[221:222], v[219:220]
	v_div_scale_f64 v[221:222], vcc_lo, 1.0, v[202:203], 1.0
	v_mul_f64 v[223:224], v[221:222], v[219:220]
	v_fma_f64 v[204:205], -v[204:205], v[223:224], v[221:222]
	v_div_fmas_f64 v[204:205], v[204:205], v[219:220], v[223:224]
	v_div_fixup_f64 v[202:203], v[204:205], v[202:203], 1.0
	v_mul_f64 v[204:205], v[217:218], -v[202:203]
.LBB98_660:
	s_or_b32 exec_lo, exec_lo, s7
.LBB98_661:
	s_or_b32 exec_lo, exec_lo, s0
	s_mov_b32 s0, exec_lo
	v_cmpx_ne_u32_e64 v216, v210
	s_xor_b32 s0, exec_lo, s0
	s_cbranch_execz .LBB98_667
; %bb.662:
	s_mov_b32 s7, exec_lo
	v_cmpx_eq_u32_e32 31, v216
	s_cbranch_execz .LBB98_666
; %bb.663:
	v_cmp_ne_u32_e32 vcc_lo, 31, v210
	s_xor_b32 s8, s16, -1
	s_and_b32 s9, s8, vcc_lo
	s_and_saveexec_b32 s8, s9
	s_cbranch_execz .LBB98_665
; %bb.664:
	v_ashrrev_i32_e32 v211, 31, v210
	v_lshlrev_b64 v[216:217], 2, v[210:211]
	v_add_co_u32 v216, vcc_lo, v208, v216
	v_add_co_ci_u32_e64 v217, null, v209, v217, vcc_lo
	s_clause 0x1
	global_load_dword v0, v[216:217], off
	global_load_dword v211, v[208:209], off offset:124
	s_waitcnt vmcnt(1)
	global_store_dword v[208:209], v0, off offset:124
	s_waitcnt vmcnt(0)
	global_store_dword v[216:217], v211, off
.LBB98_665:
	s_or_b32 exec_lo, exec_lo, s8
	v_mov_b32_e32 v216, v210
	v_mov_b32_e32 v0, v210
.LBB98_666:
	s_or_b32 exec_lo, exec_lo, s7
.LBB98_667:
	s_andn2_saveexec_b32 s0, s0
	s_cbranch_execz .LBB98_669
; %bb.668:
	v_mov_b32_e32 v216, 31
	ds_write2_b64 v1, v[70:71], v[72:73] offset0:64 offset1:65
	ds_write2_b64 v1, v[66:67], v[68:69] offset0:66 offset1:67
	;; [unrolled: 1-line block ×18, first 2 shown]
.LBB98_669:
	s_or_b32 exec_lo, exec_lo, s0
	s_mov_b32 s0, exec_lo
	s_waitcnt lgkmcnt(0)
	s_waitcnt_vscnt null, 0x0
	s_barrier
	buffer_gl0_inv
	v_cmpx_lt_i32_e32 31, v216
	s_cbranch_execz .LBB98_671
; %bb.670:
	v_mul_f64 v[210:211], v[204:205], v[76:77]
	v_mul_f64 v[76:77], v[202:203], v[76:77]
	v_fma_f64 v[210:211], v[202:203], v[74:75], -v[210:211]
	v_fma_f64 v[76:77], v[204:205], v[74:75], v[76:77]
	ds_read2_b64 v[202:205], v1 offset0:64 offset1:65
	s_waitcnt lgkmcnt(0)
	v_mul_f64 v[74:75], v[204:205], v[76:77]
	v_fma_f64 v[74:75], v[202:203], v[210:211], -v[74:75]
	v_mul_f64 v[202:203], v[202:203], v[76:77]
	v_add_f64 v[70:71], v[70:71], -v[74:75]
	v_fma_f64 v[202:203], v[204:205], v[210:211], v[202:203]
	v_add_f64 v[72:73], v[72:73], -v[202:203]
	ds_read2_b64 v[202:205], v1 offset0:66 offset1:67
	s_waitcnt lgkmcnt(0)
	v_mul_f64 v[74:75], v[204:205], v[76:77]
	v_fma_f64 v[74:75], v[202:203], v[210:211], -v[74:75]
	v_mul_f64 v[202:203], v[202:203], v[76:77]
	v_add_f64 v[66:67], v[66:67], -v[74:75]
	v_fma_f64 v[202:203], v[204:205], v[210:211], v[202:203]
	v_add_f64 v[68:69], v[68:69], -v[202:203]
	;; [unrolled: 8-line block ×17, first 2 shown]
	ds_read2_b64 v[202:205], v1 offset0:98 offset1:99
	s_waitcnt lgkmcnt(0)
	v_mul_f64 v[74:75], v[204:205], v[76:77]
	v_fma_f64 v[74:75], v[202:203], v[210:211], -v[74:75]
	v_mul_f64 v[202:203], v[202:203], v[76:77]
	v_add_f64 v[2:3], v[2:3], -v[74:75]
	v_fma_f64 v[202:203], v[204:205], v[210:211], v[202:203]
	v_mov_b32_e32 v74, v210
	v_mov_b32_e32 v75, v211
	v_add_f64 v[4:5], v[4:5], -v[202:203]
.LBB98_671:
	s_or_b32 exec_lo, exec_lo, s0
	v_lshl_add_u32 v202, v216, 4, v1
	s_barrier
	buffer_gl0_inv
	v_mov_b32_e32 v210, 32
	ds_write2_b64 v202, v[70:71], v[72:73] offset1:1
	s_waitcnt lgkmcnt(0)
	s_barrier
	buffer_gl0_inv
	ds_read2_b64 v[202:205], v1 offset0:64 offset1:65
	s_cmp_lt_i32 s1, 34
	s_cbranch_scc1 .LBB98_674
; %bb.672:
	v_add3_u32 v211, v212, 0, 0x210
	v_mov_b32_e32 v210, 32
	s_mov_b32 s7, 33
	s_inst_prefetch 0x1
	.p2align	6
.LBB98_673:                             ; =>This Inner Loop Header: Depth=1
	s_waitcnt lgkmcnt(0)
	v_cmp_gt_f64_e32 vcc_lo, 0, v[204:205]
	v_cmp_gt_f64_e64 s0, 0, v[202:203]
	ds_read2_b64 v[217:220], v211 offset1:1
	v_xor_b32_e32 v222, 0x80000000, v203
	v_xor_b32_e32 v224, 0x80000000, v205
	v_mov_b32_e32 v221, v202
	v_mov_b32_e32 v223, v204
	v_add_nc_u32_e32 v211, 16, v211
	s_waitcnt lgkmcnt(0)
	v_xor_b32_e32 v226, 0x80000000, v220
	v_cndmask_b32_e64 v222, v203, v222, s0
	v_cndmask_b32_e32 v224, v205, v224, vcc_lo
	v_cmp_gt_f64_e32 vcc_lo, 0, v[219:220]
	v_cmp_gt_f64_e64 s0, 0, v[217:218]
	v_mov_b32_e32 v225, v219
	v_add_f64 v[221:222], v[221:222], v[223:224]
	v_xor_b32_e32 v224, 0x80000000, v218
	v_mov_b32_e32 v223, v217
	v_cndmask_b32_e32 v226, v220, v226, vcc_lo
	v_cndmask_b32_e64 v224, v218, v224, s0
	v_add_f64 v[223:224], v[223:224], v[225:226]
	v_cmp_lt_f64_e32 vcc_lo, v[221:222], v[223:224]
	v_cndmask_b32_e32 v203, v203, v218, vcc_lo
	v_cndmask_b32_e32 v202, v202, v217, vcc_lo
	;; [unrolled: 1-line block ×4, first 2 shown]
	v_cndmask_b32_e64 v210, v210, s7, vcc_lo
	s_add_i32 s7, s7, 1
	s_cmp_lg_u32 s1, s7
	s_cbranch_scc1 .LBB98_673
.LBB98_674:
	s_inst_prefetch 0x2
	s_waitcnt lgkmcnt(0)
	v_cmp_eq_f64_e32 vcc_lo, 0, v[202:203]
	v_cmp_eq_f64_e64 s0, 0, v[204:205]
	s_and_b32 s0, vcc_lo, s0
	s_and_saveexec_b32 s7, s0
	s_xor_b32 s0, exec_lo, s7
; %bb.675:
	v_cmp_ne_u32_e32 vcc_lo, 0, v215
	v_cndmask_b32_e32 v215, 33, v215, vcc_lo
; %bb.676:
	s_andn2_saveexec_b32 s0, s0
	s_cbranch_execz .LBB98_682
; %bb.677:
	v_cmp_ngt_f64_e64 s7, |v[202:203]|, |v[204:205]|
	s_and_saveexec_b32 s8, s7
	s_xor_b32 s7, exec_lo, s8
	s_cbranch_execz .LBB98_679
; %bb.678:
	v_div_scale_f64 v[217:218], null, v[204:205], v[204:205], v[202:203]
	v_div_scale_f64 v[223:224], vcc_lo, v[202:203], v[204:205], v[202:203]
	v_rcp_f64_e32 v[219:220], v[217:218]
	v_fma_f64 v[221:222], -v[217:218], v[219:220], 1.0
	v_fma_f64 v[219:220], v[219:220], v[221:222], v[219:220]
	v_fma_f64 v[221:222], -v[217:218], v[219:220], 1.0
	v_fma_f64 v[219:220], v[219:220], v[221:222], v[219:220]
	v_mul_f64 v[221:222], v[223:224], v[219:220]
	v_fma_f64 v[217:218], -v[217:218], v[221:222], v[223:224]
	v_div_fmas_f64 v[217:218], v[217:218], v[219:220], v[221:222]
	v_div_fixup_f64 v[217:218], v[217:218], v[204:205], v[202:203]
	v_fma_f64 v[202:203], v[202:203], v[217:218], v[204:205]
	v_div_scale_f64 v[204:205], null, v[202:203], v[202:203], 1.0
	v_rcp_f64_e32 v[219:220], v[204:205]
	v_fma_f64 v[221:222], -v[204:205], v[219:220], 1.0
	v_fma_f64 v[219:220], v[219:220], v[221:222], v[219:220]
	v_fma_f64 v[221:222], -v[204:205], v[219:220], 1.0
	v_fma_f64 v[219:220], v[219:220], v[221:222], v[219:220]
	v_div_scale_f64 v[221:222], vcc_lo, 1.0, v[202:203], 1.0
	v_mul_f64 v[223:224], v[221:222], v[219:220]
	v_fma_f64 v[204:205], -v[204:205], v[223:224], v[221:222]
	v_div_fmas_f64 v[204:205], v[204:205], v[219:220], v[223:224]
	v_div_fixup_f64 v[204:205], v[204:205], v[202:203], 1.0
	v_mul_f64 v[202:203], v[217:218], v[204:205]
	v_xor_b32_e32 v205, 0x80000000, v205
.LBB98_679:
	s_andn2_saveexec_b32 s7, s7
	s_cbranch_execz .LBB98_681
; %bb.680:
	v_div_scale_f64 v[217:218], null, v[202:203], v[202:203], v[204:205]
	v_div_scale_f64 v[223:224], vcc_lo, v[204:205], v[202:203], v[204:205]
	v_rcp_f64_e32 v[219:220], v[217:218]
	v_fma_f64 v[221:222], -v[217:218], v[219:220], 1.0
	v_fma_f64 v[219:220], v[219:220], v[221:222], v[219:220]
	v_fma_f64 v[221:222], -v[217:218], v[219:220], 1.0
	v_fma_f64 v[219:220], v[219:220], v[221:222], v[219:220]
	v_mul_f64 v[221:222], v[223:224], v[219:220]
	v_fma_f64 v[217:218], -v[217:218], v[221:222], v[223:224]
	v_div_fmas_f64 v[217:218], v[217:218], v[219:220], v[221:222]
	v_div_fixup_f64 v[217:218], v[217:218], v[202:203], v[204:205]
	v_fma_f64 v[202:203], v[204:205], v[217:218], v[202:203]
	v_div_scale_f64 v[204:205], null, v[202:203], v[202:203], 1.0
	v_rcp_f64_e32 v[219:220], v[204:205]
	v_fma_f64 v[221:222], -v[204:205], v[219:220], 1.0
	v_fma_f64 v[219:220], v[219:220], v[221:222], v[219:220]
	v_fma_f64 v[221:222], -v[204:205], v[219:220], 1.0
	v_fma_f64 v[219:220], v[219:220], v[221:222], v[219:220]
	v_div_scale_f64 v[221:222], vcc_lo, 1.0, v[202:203], 1.0
	v_mul_f64 v[223:224], v[221:222], v[219:220]
	v_fma_f64 v[204:205], -v[204:205], v[223:224], v[221:222]
	v_div_fmas_f64 v[204:205], v[204:205], v[219:220], v[223:224]
	v_div_fixup_f64 v[202:203], v[204:205], v[202:203], 1.0
	v_mul_f64 v[204:205], v[217:218], -v[202:203]
.LBB98_681:
	s_or_b32 exec_lo, exec_lo, s7
.LBB98_682:
	s_or_b32 exec_lo, exec_lo, s0
	s_mov_b32 s0, exec_lo
	v_cmpx_ne_u32_e64 v216, v210
	s_xor_b32 s0, exec_lo, s0
	s_cbranch_execz .LBB98_688
; %bb.683:
	s_mov_b32 s7, exec_lo
	v_cmpx_eq_u32_e32 32, v216
	s_cbranch_execz .LBB98_687
; %bb.684:
	v_cmp_ne_u32_e32 vcc_lo, 32, v210
	s_xor_b32 s8, s16, -1
	s_and_b32 s9, s8, vcc_lo
	s_and_saveexec_b32 s8, s9
	s_cbranch_execz .LBB98_686
; %bb.685:
	v_ashrrev_i32_e32 v211, 31, v210
	v_lshlrev_b64 v[216:217], 2, v[210:211]
	v_add_co_u32 v216, vcc_lo, v208, v216
	v_add_co_ci_u32_e64 v217, null, v209, v217, vcc_lo
	s_clause 0x1
	global_load_dword v0, v[216:217], off
	global_load_dword v211, v[208:209], off offset:128
	s_waitcnt vmcnt(1)
	global_store_dword v[208:209], v0, off offset:128
	s_waitcnt vmcnt(0)
	global_store_dword v[216:217], v211, off
.LBB98_686:
	s_or_b32 exec_lo, exec_lo, s8
	v_mov_b32_e32 v216, v210
	v_mov_b32_e32 v0, v210
.LBB98_687:
	s_or_b32 exec_lo, exec_lo, s7
.LBB98_688:
	s_andn2_saveexec_b32 s0, s0
	s_cbranch_execz .LBB98_690
; %bb.689:
	v_mov_b32_e32 v216, 32
	ds_write2_b64 v1, v[66:67], v[68:69] offset0:66 offset1:67
	ds_write2_b64 v1, v[62:63], v[64:65] offset0:68 offset1:69
	;; [unrolled: 1-line block ×17, first 2 shown]
.LBB98_690:
	s_or_b32 exec_lo, exec_lo, s0
	s_mov_b32 s0, exec_lo
	s_waitcnt lgkmcnt(0)
	s_waitcnt_vscnt null, 0x0
	s_barrier
	buffer_gl0_inv
	v_cmpx_lt_i32_e32 32, v216
	s_cbranch_execz .LBB98_692
; %bb.691:
	v_mul_f64 v[210:211], v[204:205], v[72:73]
	v_mul_f64 v[72:73], v[202:203], v[72:73]
	v_fma_f64 v[210:211], v[202:203], v[70:71], -v[210:211]
	v_fma_f64 v[72:73], v[204:205], v[70:71], v[72:73]
	ds_read2_b64 v[202:205], v1 offset0:66 offset1:67
	s_waitcnt lgkmcnt(0)
	v_mul_f64 v[70:71], v[204:205], v[72:73]
	v_fma_f64 v[70:71], v[202:203], v[210:211], -v[70:71]
	v_mul_f64 v[202:203], v[202:203], v[72:73]
	v_add_f64 v[66:67], v[66:67], -v[70:71]
	v_fma_f64 v[202:203], v[204:205], v[210:211], v[202:203]
	v_add_f64 v[68:69], v[68:69], -v[202:203]
	ds_read2_b64 v[202:205], v1 offset0:68 offset1:69
	s_waitcnt lgkmcnt(0)
	v_mul_f64 v[70:71], v[204:205], v[72:73]
	v_fma_f64 v[70:71], v[202:203], v[210:211], -v[70:71]
	v_mul_f64 v[202:203], v[202:203], v[72:73]
	v_add_f64 v[62:63], v[62:63], -v[70:71]
	v_fma_f64 v[202:203], v[204:205], v[210:211], v[202:203]
	v_add_f64 v[64:65], v[64:65], -v[202:203]
	;; [unrolled: 8-line block ×16, first 2 shown]
	ds_read2_b64 v[202:205], v1 offset0:98 offset1:99
	s_waitcnt lgkmcnt(0)
	v_mul_f64 v[70:71], v[204:205], v[72:73]
	v_fma_f64 v[70:71], v[202:203], v[210:211], -v[70:71]
	v_mul_f64 v[202:203], v[202:203], v[72:73]
	v_add_f64 v[2:3], v[2:3], -v[70:71]
	v_fma_f64 v[202:203], v[204:205], v[210:211], v[202:203]
	v_mov_b32_e32 v70, v210
	v_mov_b32_e32 v71, v211
	v_add_f64 v[4:5], v[4:5], -v[202:203]
.LBB98_692:
	s_or_b32 exec_lo, exec_lo, s0
	v_lshl_add_u32 v202, v216, 4, v1
	s_barrier
	buffer_gl0_inv
	v_mov_b32_e32 v210, 33
	ds_write2_b64 v202, v[66:67], v[68:69] offset1:1
	s_waitcnt lgkmcnt(0)
	s_barrier
	buffer_gl0_inv
	ds_read2_b64 v[202:205], v1 offset0:66 offset1:67
	s_cmp_lt_i32 s1, 35
	s_cbranch_scc1 .LBB98_695
; %bb.693:
	v_add3_u32 v211, v212, 0, 0x220
	v_mov_b32_e32 v210, 33
	s_mov_b32 s7, 34
	s_inst_prefetch 0x1
	.p2align	6
.LBB98_694:                             ; =>This Inner Loop Header: Depth=1
	s_waitcnt lgkmcnt(0)
	v_cmp_gt_f64_e32 vcc_lo, 0, v[204:205]
	v_cmp_gt_f64_e64 s0, 0, v[202:203]
	ds_read2_b64 v[217:220], v211 offset1:1
	v_xor_b32_e32 v222, 0x80000000, v203
	v_xor_b32_e32 v224, 0x80000000, v205
	v_mov_b32_e32 v221, v202
	v_mov_b32_e32 v223, v204
	v_add_nc_u32_e32 v211, 16, v211
	s_waitcnt lgkmcnt(0)
	v_xor_b32_e32 v226, 0x80000000, v220
	v_cndmask_b32_e64 v222, v203, v222, s0
	v_cndmask_b32_e32 v224, v205, v224, vcc_lo
	v_cmp_gt_f64_e32 vcc_lo, 0, v[219:220]
	v_cmp_gt_f64_e64 s0, 0, v[217:218]
	v_mov_b32_e32 v225, v219
	v_add_f64 v[221:222], v[221:222], v[223:224]
	v_xor_b32_e32 v224, 0x80000000, v218
	v_mov_b32_e32 v223, v217
	v_cndmask_b32_e32 v226, v220, v226, vcc_lo
	v_cndmask_b32_e64 v224, v218, v224, s0
	v_add_f64 v[223:224], v[223:224], v[225:226]
	v_cmp_lt_f64_e32 vcc_lo, v[221:222], v[223:224]
	v_cndmask_b32_e32 v203, v203, v218, vcc_lo
	v_cndmask_b32_e32 v202, v202, v217, vcc_lo
	;; [unrolled: 1-line block ×4, first 2 shown]
	v_cndmask_b32_e64 v210, v210, s7, vcc_lo
	s_add_i32 s7, s7, 1
	s_cmp_lg_u32 s1, s7
	s_cbranch_scc1 .LBB98_694
.LBB98_695:
	s_inst_prefetch 0x2
	s_waitcnt lgkmcnt(0)
	v_cmp_eq_f64_e32 vcc_lo, 0, v[202:203]
	v_cmp_eq_f64_e64 s0, 0, v[204:205]
	s_and_b32 s0, vcc_lo, s0
	s_and_saveexec_b32 s7, s0
	s_xor_b32 s0, exec_lo, s7
; %bb.696:
	v_cmp_ne_u32_e32 vcc_lo, 0, v215
	v_cndmask_b32_e32 v215, 34, v215, vcc_lo
; %bb.697:
	s_andn2_saveexec_b32 s0, s0
	s_cbranch_execz .LBB98_703
; %bb.698:
	v_cmp_ngt_f64_e64 s7, |v[202:203]|, |v[204:205]|
	s_and_saveexec_b32 s8, s7
	s_xor_b32 s7, exec_lo, s8
	s_cbranch_execz .LBB98_700
; %bb.699:
	v_div_scale_f64 v[217:218], null, v[204:205], v[204:205], v[202:203]
	v_div_scale_f64 v[223:224], vcc_lo, v[202:203], v[204:205], v[202:203]
	v_rcp_f64_e32 v[219:220], v[217:218]
	v_fma_f64 v[221:222], -v[217:218], v[219:220], 1.0
	v_fma_f64 v[219:220], v[219:220], v[221:222], v[219:220]
	v_fma_f64 v[221:222], -v[217:218], v[219:220], 1.0
	v_fma_f64 v[219:220], v[219:220], v[221:222], v[219:220]
	v_mul_f64 v[221:222], v[223:224], v[219:220]
	v_fma_f64 v[217:218], -v[217:218], v[221:222], v[223:224]
	v_div_fmas_f64 v[217:218], v[217:218], v[219:220], v[221:222]
	v_div_fixup_f64 v[217:218], v[217:218], v[204:205], v[202:203]
	v_fma_f64 v[202:203], v[202:203], v[217:218], v[204:205]
	v_div_scale_f64 v[204:205], null, v[202:203], v[202:203], 1.0
	v_rcp_f64_e32 v[219:220], v[204:205]
	v_fma_f64 v[221:222], -v[204:205], v[219:220], 1.0
	v_fma_f64 v[219:220], v[219:220], v[221:222], v[219:220]
	v_fma_f64 v[221:222], -v[204:205], v[219:220], 1.0
	v_fma_f64 v[219:220], v[219:220], v[221:222], v[219:220]
	v_div_scale_f64 v[221:222], vcc_lo, 1.0, v[202:203], 1.0
	v_mul_f64 v[223:224], v[221:222], v[219:220]
	v_fma_f64 v[204:205], -v[204:205], v[223:224], v[221:222]
	v_div_fmas_f64 v[204:205], v[204:205], v[219:220], v[223:224]
	v_div_fixup_f64 v[204:205], v[204:205], v[202:203], 1.0
	v_mul_f64 v[202:203], v[217:218], v[204:205]
	v_xor_b32_e32 v205, 0x80000000, v205
.LBB98_700:
	s_andn2_saveexec_b32 s7, s7
	s_cbranch_execz .LBB98_702
; %bb.701:
	v_div_scale_f64 v[217:218], null, v[202:203], v[202:203], v[204:205]
	v_div_scale_f64 v[223:224], vcc_lo, v[204:205], v[202:203], v[204:205]
	v_rcp_f64_e32 v[219:220], v[217:218]
	v_fma_f64 v[221:222], -v[217:218], v[219:220], 1.0
	v_fma_f64 v[219:220], v[219:220], v[221:222], v[219:220]
	v_fma_f64 v[221:222], -v[217:218], v[219:220], 1.0
	v_fma_f64 v[219:220], v[219:220], v[221:222], v[219:220]
	v_mul_f64 v[221:222], v[223:224], v[219:220]
	v_fma_f64 v[217:218], -v[217:218], v[221:222], v[223:224]
	v_div_fmas_f64 v[217:218], v[217:218], v[219:220], v[221:222]
	v_div_fixup_f64 v[217:218], v[217:218], v[202:203], v[204:205]
	v_fma_f64 v[202:203], v[204:205], v[217:218], v[202:203]
	v_div_scale_f64 v[204:205], null, v[202:203], v[202:203], 1.0
	v_rcp_f64_e32 v[219:220], v[204:205]
	v_fma_f64 v[221:222], -v[204:205], v[219:220], 1.0
	v_fma_f64 v[219:220], v[219:220], v[221:222], v[219:220]
	v_fma_f64 v[221:222], -v[204:205], v[219:220], 1.0
	v_fma_f64 v[219:220], v[219:220], v[221:222], v[219:220]
	v_div_scale_f64 v[221:222], vcc_lo, 1.0, v[202:203], 1.0
	v_mul_f64 v[223:224], v[221:222], v[219:220]
	v_fma_f64 v[204:205], -v[204:205], v[223:224], v[221:222]
	v_div_fmas_f64 v[204:205], v[204:205], v[219:220], v[223:224]
	v_div_fixup_f64 v[202:203], v[204:205], v[202:203], 1.0
	v_mul_f64 v[204:205], v[217:218], -v[202:203]
.LBB98_702:
	s_or_b32 exec_lo, exec_lo, s7
.LBB98_703:
	s_or_b32 exec_lo, exec_lo, s0
	s_mov_b32 s0, exec_lo
	v_cmpx_ne_u32_e64 v216, v210
	s_xor_b32 s0, exec_lo, s0
	s_cbranch_execz .LBB98_709
; %bb.704:
	s_mov_b32 s7, exec_lo
	v_cmpx_eq_u32_e32 33, v216
	s_cbranch_execz .LBB98_708
; %bb.705:
	v_cmp_ne_u32_e32 vcc_lo, 33, v210
	s_xor_b32 s8, s16, -1
	s_and_b32 s9, s8, vcc_lo
	s_and_saveexec_b32 s8, s9
	s_cbranch_execz .LBB98_707
; %bb.706:
	v_ashrrev_i32_e32 v211, 31, v210
	v_lshlrev_b64 v[216:217], 2, v[210:211]
	v_add_co_u32 v216, vcc_lo, v208, v216
	v_add_co_ci_u32_e64 v217, null, v209, v217, vcc_lo
	s_clause 0x1
	global_load_dword v0, v[216:217], off
	global_load_dword v211, v[208:209], off offset:132
	s_waitcnt vmcnt(1)
	global_store_dword v[208:209], v0, off offset:132
	s_waitcnt vmcnt(0)
	global_store_dword v[216:217], v211, off
.LBB98_707:
	s_or_b32 exec_lo, exec_lo, s8
	v_mov_b32_e32 v216, v210
	v_mov_b32_e32 v0, v210
.LBB98_708:
	s_or_b32 exec_lo, exec_lo, s7
.LBB98_709:
	s_andn2_saveexec_b32 s0, s0
	s_cbranch_execz .LBB98_711
; %bb.710:
	v_mov_b32_e32 v216, 33
	ds_write2_b64 v1, v[62:63], v[64:65] offset0:68 offset1:69
	ds_write2_b64 v1, v[58:59], v[60:61] offset0:70 offset1:71
	;; [unrolled: 1-line block ×16, first 2 shown]
.LBB98_711:
	s_or_b32 exec_lo, exec_lo, s0
	s_mov_b32 s0, exec_lo
	s_waitcnt lgkmcnt(0)
	s_waitcnt_vscnt null, 0x0
	s_barrier
	buffer_gl0_inv
	v_cmpx_lt_i32_e32 33, v216
	s_cbranch_execz .LBB98_713
; %bb.712:
	v_mul_f64 v[210:211], v[202:203], v[68:69]
	v_mul_f64 v[68:69], v[204:205], v[68:69]
	v_fma_f64 v[210:211], v[204:205], v[66:67], v[210:211]
	v_fma_f64 v[66:67], v[202:203], v[66:67], -v[68:69]
	ds_read2_b64 v[202:205], v1 offset0:68 offset1:69
	s_waitcnt lgkmcnt(0)
	v_mul_f64 v[68:69], v[204:205], v[210:211]
	v_fma_f64 v[68:69], v[202:203], v[66:67], -v[68:69]
	v_mul_f64 v[202:203], v[202:203], v[210:211]
	v_add_f64 v[62:63], v[62:63], -v[68:69]
	v_fma_f64 v[202:203], v[204:205], v[66:67], v[202:203]
	v_add_f64 v[64:65], v[64:65], -v[202:203]
	ds_read2_b64 v[202:205], v1 offset0:70 offset1:71
	s_waitcnt lgkmcnt(0)
	v_mul_f64 v[68:69], v[204:205], v[210:211]
	v_fma_f64 v[68:69], v[202:203], v[66:67], -v[68:69]
	v_mul_f64 v[202:203], v[202:203], v[210:211]
	v_add_f64 v[58:59], v[58:59], -v[68:69]
	v_fma_f64 v[202:203], v[204:205], v[66:67], v[202:203]
	v_add_f64 v[60:61], v[60:61], -v[202:203]
	;; [unrolled: 8-line block ×15, first 2 shown]
	ds_read2_b64 v[202:205], v1 offset0:98 offset1:99
	s_waitcnt lgkmcnt(0)
	v_mul_f64 v[68:69], v[204:205], v[210:211]
	v_fma_f64 v[68:69], v[202:203], v[66:67], -v[68:69]
	v_mul_f64 v[202:203], v[202:203], v[210:211]
	v_add_f64 v[2:3], v[2:3], -v[68:69]
	v_fma_f64 v[202:203], v[204:205], v[66:67], v[202:203]
	v_mov_b32_e32 v68, v210
	v_mov_b32_e32 v69, v211
	v_add_f64 v[4:5], v[4:5], -v[202:203]
.LBB98_713:
	s_or_b32 exec_lo, exec_lo, s0
	v_lshl_add_u32 v202, v216, 4, v1
	s_barrier
	buffer_gl0_inv
	v_mov_b32_e32 v210, 34
	ds_write2_b64 v202, v[62:63], v[64:65] offset1:1
	s_waitcnt lgkmcnt(0)
	s_barrier
	buffer_gl0_inv
	ds_read2_b64 v[202:205], v1 offset0:68 offset1:69
	s_cmp_lt_i32 s1, 36
	s_cbranch_scc1 .LBB98_716
; %bb.714:
	v_add3_u32 v211, v212, 0, 0x230
	v_mov_b32_e32 v210, 34
	s_mov_b32 s7, 35
	s_inst_prefetch 0x1
	.p2align	6
.LBB98_715:                             ; =>This Inner Loop Header: Depth=1
	s_waitcnt lgkmcnt(0)
	v_cmp_gt_f64_e32 vcc_lo, 0, v[204:205]
	v_cmp_gt_f64_e64 s0, 0, v[202:203]
	ds_read2_b64 v[217:220], v211 offset1:1
	v_xor_b32_e32 v222, 0x80000000, v203
	v_xor_b32_e32 v224, 0x80000000, v205
	v_mov_b32_e32 v221, v202
	v_mov_b32_e32 v223, v204
	v_add_nc_u32_e32 v211, 16, v211
	s_waitcnt lgkmcnt(0)
	v_xor_b32_e32 v226, 0x80000000, v220
	v_cndmask_b32_e64 v222, v203, v222, s0
	v_cndmask_b32_e32 v224, v205, v224, vcc_lo
	v_cmp_gt_f64_e32 vcc_lo, 0, v[219:220]
	v_cmp_gt_f64_e64 s0, 0, v[217:218]
	v_mov_b32_e32 v225, v219
	v_add_f64 v[221:222], v[221:222], v[223:224]
	v_xor_b32_e32 v224, 0x80000000, v218
	v_mov_b32_e32 v223, v217
	v_cndmask_b32_e32 v226, v220, v226, vcc_lo
	v_cndmask_b32_e64 v224, v218, v224, s0
	v_add_f64 v[223:224], v[223:224], v[225:226]
	v_cmp_lt_f64_e32 vcc_lo, v[221:222], v[223:224]
	v_cndmask_b32_e32 v203, v203, v218, vcc_lo
	v_cndmask_b32_e32 v202, v202, v217, vcc_lo
	;; [unrolled: 1-line block ×4, first 2 shown]
	v_cndmask_b32_e64 v210, v210, s7, vcc_lo
	s_add_i32 s7, s7, 1
	s_cmp_lg_u32 s1, s7
	s_cbranch_scc1 .LBB98_715
.LBB98_716:
	s_inst_prefetch 0x2
	s_waitcnt lgkmcnt(0)
	v_cmp_eq_f64_e32 vcc_lo, 0, v[202:203]
	v_cmp_eq_f64_e64 s0, 0, v[204:205]
	s_and_b32 s0, vcc_lo, s0
	s_and_saveexec_b32 s7, s0
	s_xor_b32 s0, exec_lo, s7
; %bb.717:
	v_cmp_ne_u32_e32 vcc_lo, 0, v215
	v_cndmask_b32_e32 v215, 35, v215, vcc_lo
; %bb.718:
	s_andn2_saveexec_b32 s0, s0
	s_cbranch_execz .LBB98_724
; %bb.719:
	v_cmp_ngt_f64_e64 s7, |v[202:203]|, |v[204:205]|
	s_and_saveexec_b32 s8, s7
	s_xor_b32 s7, exec_lo, s8
	s_cbranch_execz .LBB98_721
; %bb.720:
	v_div_scale_f64 v[217:218], null, v[204:205], v[204:205], v[202:203]
	v_div_scale_f64 v[223:224], vcc_lo, v[202:203], v[204:205], v[202:203]
	v_rcp_f64_e32 v[219:220], v[217:218]
	v_fma_f64 v[221:222], -v[217:218], v[219:220], 1.0
	v_fma_f64 v[219:220], v[219:220], v[221:222], v[219:220]
	v_fma_f64 v[221:222], -v[217:218], v[219:220], 1.0
	v_fma_f64 v[219:220], v[219:220], v[221:222], v[219:220]
	v_mul_f64 v[221:222], v[223:224], v[219:220]
	v_fma_f64 v[217:218], -v[217:218], v[221:222], v[223:224]
	v_div_fmas_f64 v[217:218], v[217:218], v[219:220], v[221:222]
	v_div_fixup_f64 v[217:218], v[217:218], v[204:205], v[202:203]
	v_fma_f64 v[202:203], v[202:203], v[217:218], v[204:205]
	v_div_scale_f64 v[204:205], null, v[202:203], v[202:203], 1.0
	v_rcp_f64_e32 v[219:220], v[204:205]
	v_fma_f64 v[221:222], -v[204:205], v[219:220], 1.0
	v_fma_f64 v[219:220], v[219:220], v[221:222], v[219:220]
	v_fma_f64 v[221:222], -v[204:205], v[219:220], 1.0
	v_fma_f64 v[219:220], v[219:220], v[221:222], v[219:220]
	v_div_scale_f64 v[221:222], vcc_lo, 1.0, v[202:203], 1.0
	v_mul_f64 v[223:224], v[221:222], v[219:220]
	v_fma_f64 v[204:205], -v[204:205], v[223:224], v[221:222]
	v_div_fmas_f64 v[204:205], v[204:205], v[219:220], v[223:224]
	v_div_fixup_f64 v[204:205], v[204:205], v[202:203], 1.0
	v_mul_f64 v[202:203], v[217:218], v[204:205]
	v_xor_b32_e32 v205, 0x80000000, v205
.LBB98_721:
	s_andn2_saveexec_b32 s7, s7
	s_cbranch_execz .LBB98_723
; %bb.722:
	v_div_scale_f64 v[217:218], null, v[202:203], v[202:203], v[204:205]
	v_div_scale_f64 v[223:224], vcc_lo, v[204:205], v[202:203], v[204:205]
	v_rcp_f64_e32 v[219:220], v[217:218]
	v_fma_f64 v[221:222], -v[217:218], v[219:220], 1.0
	v_fma_f64 v[219:220], v[219:220], v[221:222], v[219:220]
	v_fma_f64 v[221:222], -v[217:218], v[219:220], 1.0
	v_fma_f64 v[219:220], v[219:220], v[221:222], v[219:220]
	v_mul_f64 v[221:222], v[223:224], v[219:220]
	v_fma_f64 v[217:218], -v[217:218], v[221:222], v[223:224]
	v_div_fmas_f64 v[217:218], v[217:218], v[219:220], v[221:222]
	v_div_fixup_f64 v[217:218], v[217:218], v[202:203], v[204:205]
	v_fma_f64 v[202:203], v[204:205], v[217:218], v[202:203]
	v_div_scale_f64 v[204:205], null, v[202:203], v[202:203], 1.0
	v_rcp_f64_e32 v[219:220], v[204:205]
	v_fma_f64 v[221:222], -v[204:205], v[219:220], 1.0
	v_fma_f64 v[219:220], v[219:220], v[221:222], v[219:220]
	v_fma_f64 v[221:222], -v[204:205], v[219:220], 1.0
	v_fma_f64 v[219:220], v[219:220], v[221:222], v[219:220]
	v_div_scale_f64 v[221:222], vcc_lo, 1.0, v[202:203], 1.0
	v_mul_f64 v[223:224], v[221:222], v[219:220]
	v_fma_f64 v[204:205], -v[204:205], v[223:224], v[221:222]
	v_div_fmas_f64 v[204:205], v[204:205], v[219:220], v[223:224]
	v_div_fixup_f64 v[202:203], v[204:205], v[202:203], 1.0
	v_mul_f64 v[204:205], v[217:218], -v[202:203]
.LBB98_723:
	s_or_b32 exec_lo, exec_lo, s7
.LBB98_724:
	s_or_b32 exec_lo, exec_lo, s0
	s_mov_b32 s0, exec_lo
	v_cmpx_ne_u32_e64 v216, v210
	s_xor_b32 s0, exec_lo, s0
	s_cbranch_execz .LBB98_730
; %bb.725:
	s_mov_b32 s7, exec_lo
	v_cmpx_eq_u32_e32 34, v216
	s_cbranch_execz .LBB98_729
; %bb.726:
	v_cmp_ne_u32_e32 vcc_lo, 34, v210
	s_xor_b32 s8, s16, -1
	s_and_b32 s9, s8, vcc_lo
	s_and_saveexec_b32 s8, s9
	s_cbranch_execz .LBB98_728
; %bb.727:
	v_ashrrev_i32_e32 v211, 31, v210
	v_lshlrev_b64 v[216:217], 2, v[210:211]
	v_add_co_u32 v216, vcc_lo, v208, v216
	v_add_co_ci_u32_e64 v217, null, v209, v217, vcc_lo
	s_clause 0x1
	global_load_dword v0, v[216:217], off
	global_load_dword v211, v[208:209], off offset:136
	s_waitcnt vmcnt(1)
	global_store_dword v[208:209], v0, off offset:136
	s_waitcnt vmcnt(0)
	global_store_dword v[216:217], v211, off
.LBB98_728:
	s_or_b32 exec_lo, exec_lo, s8
	v_mov_b32_e32 v216, v210
	v_mov_b32_e32 v0, v210
.LBB98_729:
	s_or_b32 exec_lo, exec_lo, s7
.LBB98_730:
	s_andn2_saveexec_b32 s0, s0
	s_cbranch_execz .LBB98_732
; %bb.731:
	v_mov_b32_e32 v216, 34
	ds_write2_b64 v1, v[58:59], v[60:61] offset0:70 offset1:71
	ds_write2_b64 v1, v[54:55], v[56:57] offset0:72 offset1:73
	;; [unrolled: 1-line block ×15, first 2 shown]
.LBB98_732:
	s_or_b32 exec_lo, exec_lo, s0
	s_mov_b32 s0, exec_lo
	s_waitcnt lgkmcnt(0)
	s_waitcnt_vscnt null, 0x0
	s_barrier
	buffer_gl0_inv
	v_cmpx_lt_i32_e32 34, v216
	s_cbranch_execz .LBB98_734
; %bb.733:
	v_mul_f64 v[210:211], v[202:203], v[64:65]
	v_mul_f64 v[64:65], v[204:205], v[64:65]
	v_fma_f64 v[210:211], v[204:205], v[62:63], v[210:211]
	v_fma_f64 v[62:63], v[202:203], v[62:63], -v[64:65]
	ds_read2_b64 v[202:205], v1 offset0:70 offset1:71
	s_waitcnt lgkmcnt(0)
	v_mul_f64 v[64:65], v[204:205], v[210:211]
	v_fma_f64 v[64:65], v[202:203], v[62:63], -v[64:65]
	v_mul_f64 v[202:203], v[202:203], v[210:211]
	v_add_f64 v[58:59], v[58:59], -v[64:65]
	v_fma_f64 v[202:203], v[204:205], v[62:63], v[202:203]
	v_add_f64 v[60:61], v[60:61], -v[202:203]
	ds_read2_b64 v[202:205], v1 offset0:72 offset1:73
	s_waitcnt lgkmcnt(0)
	v_mul_f64 v[64:65], v[204:205], v[210:211]
	v_fma_f64 v[64:65], v[202:203], v[62:63], -v[64:65]
	v_mul_f64 v[202:203], v[202:203], v[210:211]
	v_add_f64 v[54:55], v[54:55], -v[64:65]
	v_fma_f64 v[202:203], v[204:205], v[62:63], v[202:203]
	v_add_f64 v[56:57], v[56:57], -v[202:203]
	;; [unrolled: 8-line block ×14, first 2 shown]
	ds_read2_b64 v[202:205], v1 offset0:98 offset1:99
	s_waitcnt lgkmcnt(0)
	v_mul_f64 v[64:65], v[204:205], v[210:211]
	v_fma_f64 v[64:65], v[202:203], v[62:63], -v[64:65]
	v_mul_f64 v[202:203], v[202:203], v[210:211]
	v_add_f64 v[2:3], v[2:3], -v[64:65]
	v_fma_f64 v[202:203], v[204:205], v[62:63], v[202:203]
	v_mov_b32_e32 v64, v210
	v_mov_b32_e32 v65, v211
	v_add_f64 v[4:5], v[4:5], -v[202:203]
.LBB98_734:
	s_or_b32 exec_lo, exec_lo, s0
	v_lshl_add_u32 v202, v216, 4, v1
	s_barrier
	buffer_gl0_inv
	v_mov_b32_e32 v210, 35
	ds_write2_b64 v202, v[58:59], v[60:61] offset1:1
	s_waitcnt lgkmcnt(0)
	s_barrier
	buffer_gl0_inv
	ds_read2_b64 v[202:205], v1 offset0:70 offset1:71
	s_cmp_lt_i32 s1, 37
	s_cbranch_scc1 .LBB98_737
; %bb.735:
	v_add3_u32 v211, v212, 0, 0x240
	v_mov_b32_e32 v210, 35
	s_mov_b32 s7, 36
	s_inst_prefetch 0x1
	.p2align	6
.LBB98_736:                             ; =>This Inner Loop Header: Depth=1
	s_waitcnt lgkmcnt(0)
	v_cmp_gt_f64_e32 vcc_lo, 0, v[204:205]
	v_cmp_gt_f64_e64 s0, 0, v[202:203]
	ds_read2_b64 v[217:220], v211 offset1:1
	v_xor_b32_e32 v222, 0x80000000, v203
	v_xor_b32_e32 v224, 0x80000000, v205
	v_mov_b32_e32 v221, v202
	v_mov_b32_e32 v223, v204
	v_add_nc_u32_e32 v211, 16, v211
	s_waitcnt lgkmcnt(0)
	v_xor_b32_e32 v226, 0x80000000, v220
	v_cndmask_b32_e64 v222, v203, v222, s0
	v_cndmask_b32_e32 v224, v205, v224, vcc_lo
	v_cmp_gt_f64_e32 vcc_lo, 0, v[219:220]
	v_cmp_gt_f64_e64 s0, 0, v[217:218]
	v_mov_b32_e32 v225, v219
	v_add_f64 v[221:222], v[221:222], v[223:224]
	v_xor_b32_e32 v224, 0x80000000, v218
	v_mov_b32_e32 v223, v217
	v_cndmask_b32_e32 v226, v220, v226, vcc_lo
	v_cndmask_b32_e64 v224, v218, v224, s0
	v_add_f64 v[223:224], v[223:224], v[225:226]
	v_cmp_lt_f64_e32 vcc_lo, v[221:222], v[223:224]
	v_cndmask_b32_e32 v203, v203, v218, vcc_lo
	v_cndmask_b32_e32 v202, v202, v217, vcc_lo
	v_cndmask_b32_e32 v205, v205, v220, vcc_lo
	v_cndmask_b32_e32 v204, v204, v219, vcc_lo
	v_cndmask_b32_e64 v210, v210, s7, vcc_lo
	s_add_i32 s7, s7, 1
	s_cmp_lg_u32 s1, s7
	s_cbranch_scc1 .LBB98_736
.LBB98_737:
	s_inst_prefetch 0x2
	s_waitcnt lgkmcnt(0)
	v_cmp_eq_f64_e32 vcc_lo, 0, v[202:203]
	v_cmp_eq_f64_e64 s0, 0, v[204:205]
	s_and_b32 s0, vcc_lo, s0
	s_and_saveexec_b32 s7, s0
	s_xor_b32 s0, exec_lo, s7
; %bb.738:
	v_cmp_ne_u32_e32 vcc_lo, 0, v215
	v_cndmask_b32_e32 v215, 36, v215, vcc_lo
; %bb.739:
	s_andn2_saveexec_b32 s0, s0
	s_cbranch_execz .LBB98_745
; %bb.740:
	v_cmp_ngt_f64_e64 s7, |v[202:203]|, |v[204:205]|
	s_and_saveexec_b32 s8, s7
	s_xor_b32 s7, exec_lo, s8
	s_cbranch_execz .LBB98_742
; %bb.741:
	v_div_scale_f64 v[217:218], null, v[204:205], v[204:205], v[202:203]
	v_div_scale_f64 v[223:224], vcc_lo, v[202:203], v[204:205], v[202:203]
	v_rcp_f64_e32 v[219:220], v[217:218]
	v_fma_f64 v[221:222], -v[217:218], v[219:220], 1.0
	v_fma_f64 v[219:220], v[219:220], v[221:222], v[219:220]
	v_fma_f64 v[221:222], -v[217:218], v[219:220], 1.0
	v_fma_f64 v[219:220], v[219:220], v[221:222], v[219:220]
	v_mul_f64 v[221:222], v[223:224], v[219:220]
	v_fma_f64 v[217:218], -v[217:218], v[221:222], v[223:224]
	v_div_fmas_f64 v[217:218], v[217:218], v[219:220], v[221:222]
	v_div_fixup_f64 v[217:218], v[217:218], v[204:205], v[202:203]
	v_fma_f64 v[202:203], v[202:203], v[217:218], v[204:205]
	v_div_scale_f64 v[204:205], null, v[202:203], v[202:203], 1.0
	v_rcp_f64_e32 v[219:220], v[204:205]
	v_fma_f64 v[221:222], -v[204:205], v[219:220], 1.0
	v_fma_f64 v[219:220], v[219:220], v[221:222], v[219:220]
	v_fma_f64 v[221:222], -v[204:205], v[219:220], 1.0
	v_fma_f64 v[219:220], v[219:220], v[221:222], v[219:220]
	v_div_scale_f64 v[221:222], vcc_lo, 1.0, v[202:203], 1.0
	v_mul_f64 v[223:224], v[221:222], v[219:220]
	v_fma_f64 v[204:205], -v[204:205], v[223:224], v[221:222]
	v_div_fmas_f64 v[204:205], v[204:205], v[219:220], v[223:224]
	v_div_fixup_f64 v[204:205], v[204:205], v[202:203], 1.0
	v_mul_f64 v[202:203], v[217:218], v[204:205]
	v_xor_b32_e32 v205, 0x80000000, v205
.LBB98_742:
	s_andn2_saveexec_b32 s7, s7
	s_cbranch_execz .LBB98_744
; %bb.743:
	v_div_scale_f64 v[217:218], null, v[202:203], v[202:203], v[204:205]
	v_div_scale_f64 v[223:224], vcc_lo, v[204:205], v[202:203], v[204:205]
	v_rcp_f64_e32 v[219:220], v[217:218]
	v_fma_f64 v[221:222], -v[217:218], v[219:220], 1.0
	v_fma_f64 v[219:220], v[219:220], v[221:222], v[219:220]
	v_fma_f64 v[221:222], -v[217:218], v[219:220], 1.0
	v_fma_f64 v[219:220], v[219:220], v[221:222], v[219:220]
	v_mul_f64 v[221:222], v[223:224], v[219:220]
	v_fma_f64 v[217:218], -v[217:218], v[221:222], v[223:224]
	v_div_fmas_f64 v[217:218], v[217:218], v[219:220], v[221:222]
	v_div_fixup_f64 v[217:218], v[217:218], v[202:203], v[204:205]
	v_fma_f64 v[202:203], v[204:205], v[217:218], v[202:203]
	v_div_scale_f64 v[204:205], null, v[202:203], v[202:203], 1.0
	v_rcp_f64_e32 v[219:220], v[204:205]
	v_fma_f64 v[221:222], -v[204:205], v[219:220], 1.0
	v_fma_f64 v[219:220], v[219:220], v[221:222], v[219:220]
	v_fma_f64 v[221:222], -v[204:205], v[219:220], 1.0
	v_fma_f64 v[219:220], v[219:220], v[221:222], v[219:220]
	v_div_scale_f64 v[221:222], vcc_lo, 1.0, v[202:203], 1.0
	v_mul_f64 v[223:224], v[221:222], v[219:220]
	v_fma_f64 v[204:205], -v[204:205], v[223:224], v[221:222]
	v_div_fmas_f64 v[204:205], v[204:205], v[219:220], v[223:224]
	v_div_fixup_f64 v[202:203], v[204:205], v[202:203], 1.0
	v_mul_f64 v[204:205], v[217:218], -v[202:203]
.LBB98_744:
	s_or_b32 exec_lo, exec_lo, s7
.LBB98_745:
	s_or_b32 exec_lo, exec_lo, s0
	s_mov_b32 s0, exec_lo
	v_cmpx_ne_u32_e64 v216, v210
	s_xor_b32 s0, exec_lo, s0
	s_cbranch_execz .LBB98_751
; %bb.746:
	s_mov_b32 s7, exec_lo
	v_cmpx_eq_u32_e32 35, v216
	s_cbranch_execz .LBB98_750
; %bb.747:
	v_cmp_ne_u32_e32 vcc_lo, 35, v210
	s_xor_b32 s8, s16, -1
	s_and_b32 s9, s8, vcc_lo
	s_and_saveexec_b32 s8, s9
	s_cbranch_execz .LBB98_749
; %bb.748:
	v_ashrrev_i32_e32 v211, 31, v210
	v_lshlrev_b64 v[216:217], 2, v[210:211]
	v_add_co_u32 v216, vcc_lo, v208, v216
	v_add_co_ci_u32_e64 v217, null, v209, v217, vcc_lo
	s_clause 0x1
	global_load_dword v0, v[216:217], off
	global_load_dword v211, v[208:209], off offset:140
	s_waitcnt vmcnt(1)
	global_store_dword v[208:209], v0, off offset:140
	s_waitcnt vmcnt(0)
	global_store_dword v[216:217], v211, off
.LBB98_749:
	s_or_b32 exec_lo, exec_lo, s8
	v_mov_b32_e32 v216, v210
	v_mov_b32_e32 v0, v210
.LBB98_750:
	s_or_b32 exec_lo, exec_lo, s7
.LBB98_751:
	s_andn2_saveexec_b32 s0, s0
	s_cbranch_execz .LBB98_753
; %bb.752:
	v_mov_b32_e32 v216, 35
	ds_write2_b64 v1, v[54:55], v[56:57] offset0:72 offset1:73
	ds_write2_b64 v1, v[50:51], v[52:53] offset0:74 offset1:75
	ds_write2_b64 v1, v[46:47], v[48:49] offset0:76 offset1:77
	ds_write2_b64 v1, v[42:43], v[44:45] offset0:78 offset1:79
	ds_write2_b64 v1, v[38:39], v[40:41] offset0:80 offset1:81
	ds_write2_b64 v1, v[34:35], v[36:37] offset0:82 offset1:83
	ds_write2_b64 v1, v[30:31], v[32:33] offset0:84 offset1:85
	ds_write2_b64 v1, v[26:27], v[28:29] offset0:86 offset1:87
	ds_write2_b64 v1, v[22:23], v[24:25] offset0:88 offset1:89
	ds_write2_b64 v1, v[18:19], v[20:21] offset0:90 offset1:91
	ds_write2_b64 v1, v[14:15], v[16:17] offset0:92 offset1:93
	ds_write2_b64 v1, v[10:11], v[12:13] offset0:94 offset1:95
	ds_write2_b64 v1, v[6:7], v[8:9] offset0:96 offset1:97
	ds_write2_b64 v1, v[2:3], v[4:5] offset0:98 offset1:99
.LBB98_753:
	s_or_b32 exec_lo, exec_lo, s0
	s_mov_b32 s0, exec_lo
	s_waitcnt lgkmcnt(0)
	s_waitcnt_vscnt null, 0x0
	s_barrier
	buffer_gl0_inv
	v_cmpx_lt_i32_e32 35, v216
	s_cbranch_execz .LBB98_755
; %bb.754:
	v_mul_f64 v[210:211], v[202:203], v[60:61]
	v_mul_f64 v[60:61], v[204:205], v[60:61]
	v_fma_f64 v[210:211], v[204:205], v[58:59], v[210:211]
	v_fma_f64 v[58:59], v[202:203], v[58:59], -v[60:61]
	ds_read2_b64 v[202:205], v1 offset0:72 offset1:73
	s_waitcnt lgkmcnt(0)
	v_mul_f64 v[60:61], v[204:205], v[210:211]
	v_fma_f64 v[60:61], v[202:203], v[58:59], -v[60:61]
	v_mul_f64 v[202:203], v[202:203], v[210:211]
	v_add_f64 v[54:55], v[54:55], -v[60:61]
	v_fma_f64 v[202:203], v[204:205], v[58:59], v[202:203]
	v_add_f64 v[56:57], v[56:57], -v[202:203]
	ds_read2_b64 v[202:205], v1 offset0:74 offset1:75
	s_waitcnt lgkmcnt(0)
	v_mul_f64 v[60:61], v[204:205], v[210:211]
	v_fma_f64 v[60:61], v[202:203], v[58:59], -v[60:61]
	v_mul_f64 v[202:203], v[202:203], v[210:211]
	v_add_f64 v[50:51], v[50:51], -v[60:61]
	v_fma_f64 v[202:203], v[204:205], v[58:59], v[202:203]
	v_add_f64 v[52:53], v[52:53], -v[202:203]
	;; [unrolled: 8-line block ×13, first 2 shown]
	ds_read2_b64 v[202:205], v1 offset0:98 offset1:99
	s_waitcnt lgkmcnt(0)
	v_mul_f64 v[60:61], v[204:205], v[210:211]
	v_fma_f64 v[60:61], v[202:203], v[58:59], -v[60:61]
	v_mul_f64 v[202:203], v[202:203], v[210:211]
	v_add_f64 v[2:3], v[2:3], -v[60:61]
	v_fma_f64 v[202:203], v[204:205], v[58:59], v[202:203]
	v_mov_b32_e32 v60, v210
	v_mov_b32_e32 v61, v211
	v_add_f64 v[4:5], v[4:5], -v[202:203]
.LBB98_755:
	s_or_b32 exec_lo, exec_lo, s0
	v_lshl_add_u32 v202, v216, 4, v1
	s_barrier
	buffer_gl0_inv
	v_mov_b32_e32 v210, 36
	ds_write2_b64 v202, v[54:55], v[56:57] offset1:1
	s_waitcnt lgkmcnt(0)
	s_barrier
	buffer_gl0_inv
	ds_read2_b64 v[202:205], v1 offset0:72 offset1:73
	s_cmp_lt_i32 s1, 38
	s_cbranch_scc1 .LBB98_758
; %bb.756:
	v_add3_u32 v211, v212, 0, 0x250
	v_mov_b32_e32 v210, 36
	s_mov_b32 s7, 37
	s_inst_prefetch 0x1
	.p2align	6
.LBB98_757:                             ; =>This Inner Loop Header: Depth=1
	s_waitcnt lgkmcnt(0)
	v_cmp_gt_f64_e32 vcc_lo, 0, v[204:205]
	v_cmp_gt_f64_e64 s0, 0, v[202:203]
	ds_read2_b64 v[217:220], v211 offset1:1
	v_xor_b32_e32 v222, 0x80000000, v203
	v_xor_b32_e32 v224, 0x80000000, v205
	v_mov_b32_e32 v221, v202
	v_mov_b32_e32 v223, v204
	v_add_nc_u32_e32 v211, 16, v211
	s_waitcnt lgkmcnt(0)
	v_xor_b32_e32 v226, 0x80000000, v220
	v_cndmask_b32_e64 v222, v203, v222, s0
	v_cndmask_b32_e32 v224, v205, v224, vcc_lo
	v_cmp_gt_f64_e32 vcc_lo, 0, v[219:220]
	v_cmp_gt_f64_e64 s0, 0, v[217:218]
	v_mov_b32_e32 v225, v219
	v_add_f64 v[221:222], v[221:222], v[223:224]
	v_xor_b32_e32 v224, 0x80000000, v218
	v_mov_b32_e32 v223, v217
	v_cndmask_b32_e32 v226, v220, v226, vcc_lo
	v_cndmask_b32_e64 v224, v218, v224, s0
	v_add_f64 v[223:224], v[223:224], v[225:226]
	v_cmp_lt_f64_e32 vcc_lo, v[221:222], v[223:224]
	v_cndmask_b32_e32 v203, v203, v218, vcc_lo
	v_cndmask_b32_e32 v202, v202, v217, vcc_lo
	;; [unrolled: 1-line block ×4, first 2 shown]
	v_cndmask_b32_e64 v210, v210, s7, vcc_lo
	s_add_i32 s7, s7, 1
	s_cmp_lg_u32 s1, s7
	s_cbranch_scc1 .LBB98_757
.LBB98_758:
	s_inst_prefetch 0x2
	s_waitcnt lgkmcnt(0)
	v_cmp_eq_f64_e32 vcc_lo, 0, v[202:203]
	v_cmp_eq_f64_e64 s0, 0, v[204:205]
	s_and_b32 s0, vcc_lo, s0
	s_and_saveexec_b32 s7, s0
	s_xor_b32 s0, exec_lo, s7
; %bb.759:
	v_cmp_ne_u32_e32 vcc_lo, 0, v215
	v_cndmask_b32_e32 v215, 37, v215, vcc_lo
; %bb.760:
	s_andn2_saveexec_b32 s0, s0
	s_cbranch_execz .LBB98_766
; %bb.761:
	v_cmp_ngt_f64_e64 s7, |v[202:203]|, |v[204:205]|
	s_and_saveexec_b32 s8, s7
	s_xor_b32 s7, exec_lo, s8
	s_cbranch_execz .LBB98_763
; %bb.762:
	v_div_scale_f64 v[217:218], null, v[204:205], v[204:205], v[202:203]
	v_div_scale_f64 v[223:224], vcc_lo, v[202:203], v[204:205], v[202:203]
	v_rcp_f64_e32 v[219:220], v[217:218]
	v_fma_f64 v[221:222], -v[217:218], v[219:220], 1.0
	v_fma_f64 v[219:220], v[219:220], v[221:222], v[219:220]
	v_fma_f64 v[221:222], -v[217:218], v[219:220], 1.0
	v_fma_f64 v[219:220], v[219:220], v[221:222], v[219:220]
	v_mul_f64 v[221:222], v[223:224], v[219:220]
	v_fma_f64 v[217:218], -v[217:218], v[221:222], v[223:224]
	v_div_fmas_f64 v[217:218], v[217:218], v[219:220], v[221:222]
	v_div_fixup_f64 v[217:218], v[217:218], v[204:205], v[202:203]
	v_fma_f64 v[202:203], v[202:203], v[217:218], v[204:205]
	v_div_scale_f64 v[204:205], null, v[202:203], v[202:203], 1.0
	v_rcp_f64_e32 v[219:220], v[204:205]
	v_fma_f64 v[221:222], -v[204:205], v[219:220], 1.0
	v_fma_f64 v[219:220], v[219:220], v[221:222], v[219:220]
	v_fma_f64 v[221:222], -v[204:205], v[219:220], 1.0
	v_fma_f64 v[219:220], v[219:220], v[221:222], v[219:220]
	v_div_scale_f64 v[221:222], vcc_lo, 1.0, v[202:203], 1.0
	v_mul_f64 v[223:224], v[221:222], v[219:220]
	v_fma_f64 v[204:205], -v[204:205], v[223:224], v[221:222]
	v_div_fmas_f64 v[204:205], v[204:205], v[219:220], v[223:224]
	v_div_fixup_f64 v[204:205], v[204:205], v[202:203], 1.0
	v_mul_f64 v[202:203], v[217:218], v[204:205]
	v_xor_b32_e32 v205, 0x80000000, v205
.LBB98_763:
	s_andn2_saveexec_b32 s7, s7
	s_cbranch_execz .LBB98_765
; %bb.764:
	v_div_scale_f64 v[217:218], null, v[202:203], v[202:203], v[204:205]
	v_div_scale_f64 v[223:224], vcc_lo, v[204:205], v[202:203], v[204:205]
	v_rcp_f64_e32 v[219:220], v[217:218]
	v_fma_f64 v[221:222], -v[217:218], v[219:220], 1.0
	v_fma_f64 v[219:220], v[219:220], v[221:222], v[219:220]
	v_fma_f64 v[221:222], -v[217:218], v[219:220], 1.0
	v_fma_f64 v[219:220], v[219:220], v[221:222], v[219:220]
	v_mul_f64 v[221:222], v[223:224], v[219:220]
	v_fma_f64 v[217:218], -v[217:218], v[221:222], v[223:224]
	v_div_fmas_f64 v[217:218], v[217:218], v[219:220], v[221:222]
	v_div_fixup_f64 v[217:218], v[217:218], v[202:203], v[204:205]
	v_fma_f64 v[202:203], v[204:205], v[217:218], v[202:203]
	v_div_scale_f64 v[204:205], null, v[202:203], v[202:203], 1.0
	v_rcp_f64_e32 v[219:220], v[204:205]
	v_fma_f64 v[221:222], -v[204:205], v[219:220], 1.0
	v_fma_f64 v[219:220], v[219:220], v[221:222], v[219:220]
	v_fma_f64 v[221:222], -v[204:205], v[219:220], 1.0
	v_fma_f64 v[219:220], v[219:220], v[221:222], v[219:220]
	v_div_scale_f64 v[221:222], vcc_lo, 1.0, v[202:203], 1.0
	v_mul_f64 v[223:224], v[221:222], v[219:220]
	v_fma_f64 v[204:205], -v[204:205], v[223:224], v[221:222]
	v_div_fmas_f64 v[204:205], v[204:205], v[219:220], v[223:224]
	v_div_fixup_f64 v[202:203], v[204:205], v[202:203], 1.0
	v_mul_f64 v[204:205], v[217:218], -v[202:203]
.LBB98_765:
	s_or_b32 exec_lo, exec_lo, s7
.LBB98_766:
	s_or_b32 exec_lo, exec_lo, s0
	s_mov_b32 s0, exec_lo
	v_cmpx_ne_u32_e64 v216, v210
	s_xor_b32 s0, exec_lo, s0
	s_cbranch_execz .LBB98_772
; %bb.767:
	s_mov_b32 s7, exec_lo
	v_cmpx_eq_u32_e32 36, v216
	s_cbranch_execz .LBB98_771
; %bb.768:
	v_cmp_ne_u32_e32 vcc_lo, 36, v210
	s_xor_b32 s8, s16, -1
	s_and_b32 s9, s8, vcc_lo
	s_and_saveexec_b32 s8, s9
	s_cbranch_execz .LBB98_770
; %bb.769:
	v_ashrrev_i32_e32 v211, 31, v210
	v_lshlrev_b64 v[216:217], 2, v[210:211]
	v_add_co_u32 v216, vcc_lo, v208, v216
	v_add_co_ci_u32_e64 v217, null, v209, v217, vcc_lo
	s_clause 0x1
	global_load_dword v0, v[216:217], off
	global_load_dword v211, v[208:209], off offset:144
	s_waitcnt vmcnt(1)
	global_store_dword v[208:209], v0, off offset:144
	s_waitcnt vmcnt(0)
	global_store_dword v[216:217], v211, off
.LBB98_770:
	s_or_b32 exec_lo, exec_lo, s8
	v_mov_b32_e32 v216, v210
	v_mov_b32_e32 v0, v210
.LBB98_771:
	s_or_b32 exec_lo, exec_lo, s7
.LBB98_772:
	s_andn2_saveexec_b32 s0, s0
	s_cbranch_execz .LBB98_774
; %bb.773:
	v_mov_b32_e32 v216, 36
	ds_write2_b64 v1, v[50:51], v[52:53] offset0:74 offset1:75
	ds_write2_b64 v1, v[46:47], v[48:49] offset0:76 offset1:77
	;; [unrolled: 1-line block ×13, first 2 shown]
.LBB98_774:
	s_or_b32 exec_lo, exec_lo, s0
	s_mov_b32 s0, exec_lo
	s_waitcnt lgkmcnt(0)
	s_waitcnt_vscnt null, 0x0
	s_barrier
	buffer_gl0_inv
	v_cmpx_lt_i32_e32 36, v216
	s_cbranch_execz .LBB98_776
; %bb.775:
	v_mul_f64 v[210:211], v[202:203], v[56:57]
	v_mul_f64 v[56:57], v[204:205], v[56:57]
	v_fma_f64 v[210:211], v[204:205], v[54:55], v[210:211]
	v_fma_f64 v[54:55], v[202:203], v[54:55], -v[56:57]
	ds_read2_b64 v[202:205], v1 offset0:74 offset1:75
	s_waitcnt lgkmcnt(0)
	v_mul_f64 v[56:57], v[204:205], v[210:211]
	v_fma_f64 v[56:57], v[202:203], v[54:55], -v[56:57]
	v_mul_f64 v[202:203], v[202:203], v[210:211]
	v_add_f64 v[50:51], v[50:51], -v[56:57]
	v_fma_f64 v[202:203], v[204:205], v[54:55], v[202:203]
	v_add_f64 v[52:53], v[52:53], -v[202:203]
	ds_read2_b64 v[202:205], v1 offset0:76 offset1:77
	s_waitcnt lgkmcnt(0)
	v_mul_f64 v[56:57], v[204:205], v[210:211]
	v_fma_f64 v[56:57], v[202:203], v[54:55], -v[56:57]
	v_mul_f64 v[202:203], v[202:203], v[210:211]
	v_add_f64 v[46:47], v[46:47], -v[56:57]
	v_fma_f64 v[202:203], v[204:205], v[54:55], v[202:203]
	v_add_f64 v[48:49], v[48:49], -v[202:203]
	ds_read2_b64 v[202:205], v1 offset0:78 offset1:79
	s_waitcnt lgkmcnt(0)
	v_mul_f64 v[56:57], v[204:205], v[210:211]
	v_fma_f64 v[56:57], v[202:203], v[54:55], -v[56:57]
	v_mul_f64 v[202:203], v[202:203], v[210:211]
	v_add_f64 v[42:43], v[42:43], -v[56:57]
	v_fma_f64 v[202:203], v[204:205], v[54:55], v[202:203]
	v_add_f64 v[44:45], v[44:45], -v[202:203]
	ds_read2_b64 v[202:205], v1 offset0:80 offset1:81
	s_waitcnt lgkmcnt(0)
	v_mul_f64 v[56:57], v[204:205], v[210:211]
	v_fma_f64 v[56:57], v[202:203], v[54:55], -v[56:57]
	v_mul_f64 v[202:203], v[202:203], v[210:211]
	v_add_f64 v[38:39], v[38:39], -v[56:57]
	v_fma_f64 v[202:203], v[204:205], v[54:55], v[202:203]
	v_add_f64 v[40:41], v[40:41], -v[202:203]
	ds_read2_b64 v[202:205], v1 offset0:82 offset1:83
	s_waitcnt lgkmcnt(0)
	v_mul_f64 v[56:57], v[204:205], v[210:211]
	v_fma_f64 v[56:57], v[202:203], v[54:55], -v[56:57]
	v_mul_f64 v[202:203], v[202:203], v[210:211]
	v_add_f64 v[34:35], v[34:35], -v[56:57]
	v_fma_f64 v[202:203], v[204:205], v[54:55], v[202:203]
	v_add_f64 v[36:37], v[36:37], -v[202:203]
	ds_read2_b64 v[202:205], v1 offset0:84 offset1:85
	s_waitcnt lgkmcnt(0)
	v_mul_f64 v[56:57], v[204:205], v[210:211]
	v_fma_f64 v[56:57], v[202:203], v[54:55], -v[56:57]
	v_mul_f64 v[202:203], v[202:203], v[210:211]
	v_add_f64 v[30:31], v[30:31], -v[56:57]
	v_fma_f64 v[202:203], v[204:205], v[54:55], v[202:203]
	v_add_f64 v[32:33], v[32:33], -v[202:203]
	ds_read2_b64 v[202:205], v1 offset0:86 offset1:87
	s_waitcnt lgkmcnt(0)
	v_mul_f64 v[56:57], v[204:205], v[210:211]
	v_fma_f64 v[56:57], v[202:203], v[54:55], -v[56:57]
	v_mul_f64 v[202:203], v[202:203], v[210:211]
	v_add_f64 v[26:27], v[26:27], -v[56:57]
	v_fma_f64 v[202:203], v[204:205], v[54:55], v[202:203]
	v_add_f64 v[28:29], v[28:29], -v[202:203]
	ds_read2_b64 v[202:205], v1 offset0:88 offset1:89
	s_waitcnt lgkmcnt(0)
	v_mul_f64 v[56:57], v[204:205], v[210:211]
	v_fma_f64 v[56:57], v[202:203], v[54:55], -v[56:57]
	v_mul_f64 v[202:203], v[202:203], v[210:211]
	v_add_f64 v[22:23], v[22:23], -v[56:57]
	v_fma_f64 v[202:203], v[204:205], v[54:55], v[202:203]
	v_add_f64 v[24:25], v[24:25], -v[202:203]
	ds_read2_b64 v[202:205], v1 offset0:90 offset1:91
	s_waitcnt lgkmcnt(0)
	v_mul_f64 v[56:57], v[204:205], v[210:211]
	v_fma_f64 v[56:57], v[202:203], v[54:55], -v[56:57]
	v_mul_f64 v[202:203], v[202:203], v[210:211]
	v_add_f64 v[18:19], v[18:19], -v[56:57]
	v_fma_f64 v[202:203], v[204:205], v[54:55], v[202:203]
	v_add_f64 v[20:21], v[20:21], -v[202:203]
	ds_read2_b64 v[202:205], v1 offset0:92 offset1:93
	s_waitcnt lgkmcnt(0)
	v_mul_f64 v[56:57], v[204:205], v[210:211]
	v_fma_f64 v[56:57], v[202:203], v[54:55], -v[56:57]
	v_mul_f64 v[202:203], v[202:203], v[210:211]
	v_add_f64 v[14:15], v[14:15], -v[56:57]
	v_fma_f64 v[202:203], v[204:205], v[54:55], v[202:203]
	v_add_f64 v[16:17], v[16:17], -v[202:203]
	ds_read2_b64 v[202:205], v1 offset0:94 offset1:95
	s_waitcnt lgkmcnt(0)
	v_mul_f64 v[56:57], v[204:205], v[210:211]
	v_fma_f64 v[56:57], v[202:203], v[54:55], -v[56:57]
	v_mul_f64 v[202:203], v[202:203], v[210:211]
	v_add_f64 v[10:11], v[10:11], -v[56:57]
	v_fma_f64 v[202:203], v[204:205], v[54:55], v[202:203]
	v_add_f64 v[12:13], v[12:13], -v[202:203]
	ds_read2_b64 v[202:205], v1 offset0:96 offset1:97
	s_waitcnt lgkmcnt(0)
	v_mul_f64 v[56:57], v[204:205], v[210:211]
	v_fma_f64 v[56:57], v[202:203], v[54:55], -v[56:57]
	v_mul_f64 v[202:203], v[202:203], v[210:211]
	v_add_f64 v[6:7], v[6:7], -v[56:57]
	v_fma_f64 v[202:203], v[204:205], v[54:55], v[202:203]
	v_add_f64 v[8:9], v[8:9], -v[202:203]
	ds_read2_b64 v[202:205], v1 offset0:98 offset1:99
	s_waitcnt lgkmcnt(0)
	v_mul_f64 v[56:57], v[204:205], v[210:211]
	v_fma_f64 v[56:57], v[202:203], v[54:55], -v[56:57]
	v_mul_f64 v[202:203], v[202:203], v[210:211]
	v_add_f64 v[2:3], v[2:3], -v[56:57]
	v_fma_f64 v[202:203], v[204:205], v[54:55], v[202:203]
	v_mov_b32_e32 v56, v210
	v_mov_b32_e32 v57, v211
	v_add_f64 v[4:5], v[4:5], -v[202:203]
.LBB98_776:
	s_or_b32 exec_lo, exec_lo, s0
	v_lshl_add_u32 v202, v216, 4, v1
	s_barrier
	buffer_gl0_inv
	v_mov_b32_e32 v210, 37
	ds_write2_b64 v202, v[50:51], v[52:53] offset1:1
	s_waitcnt lgkmcnt(0)
	s_barrier
	buffer_gl0_inv
	ds_read2_b64 v[202:205], v1 offset0:74 offset1:75
	s_cmp_lt_i32 s1, 39
	s_cbranch_scc1 .LBB98_779
; %bb.777:
	v_add3_u32 v211, v212, 0, 0x260
	v_mov_b32_e32 v210, 37
	s_mov_b32 s7, 38
	s_inst_prefetch 0x1
	.p2align	6
.LBB98_778:                             ; =>This Inner Loop Header: Depth=1
	s_waitcnt lgkmcnt(0)
	v_cmp_gt_f64_e32 vcc_lo, 0, v[204:205]
	v_cmp_gt_f64_e64 s0, 0, v[202:203]
	ds_read2_b64 v[217:220], v211 offset1:1
	v_xor_b32_e32 v222, 0x80000000, v203
	v_xor_b32_e32 v224, 0x80000000, v205
	v_mov_b32_e32 v221, v202
	v_mov_b32_e32 v223, v204
	v_add_nc_u32_e32 v211, 16, v211
	s_waitcnt lgkmcnt(0)
	v_xor_b32_e32 v226, 0x80000000, v220
	v_cndmask_b32_e64 v222, v203, v222, s0
	v_cndmask_b32_e32 v224, v205, v224, vcc_lo
	v_cmp_gt_f64_e32 vcc_lo, 0, v[219:220]
	v_cmp_gt_f64_e64 s0, 0, v[217:218]
	v_mov_b32_e32 v225, v219
	v_add_f64 v[221:222], v[221:222], v[223:224]
	v_xor_b32_e32 v224, 0x80000000, v218
	v_mov_b32_e32 v223, v217
	v_cndmask_b32_e32 v226, v220, v226, vcc_lo
	v_cndmask_b32_e64 v224, v218, v224, s0
	v_add_f64 v[223:224], v[223:224], v[225:226]
	v_cmp_lt_f64_e32 vcc_lo, v[221:222], v[223:224]
	v_cndmask_b32_e32 v203, v203, v218, vcc_lo
	v_cndmask_b32_e32 v202, v202, v217, vcc_lo
	;; [unrolled: 1-line block ×4, first 2 shown]
	v_cndmask_b32_e64 v210, v210, s7, vcc_lo
	s_add_i32 s7, s7, 1
	s_cmp_lg_u32 s1, s7
	s_cbranch_scc1 .LBB98_778
.LBB98_779:
	s_inst_prefetch 0x2
	s_waitcnt lgkmcnt(0)
	v_cmp_eq_f64_e32 vcc_lo, 0, v[202:203]
	v_cmp_eq_f64_e64 s0, 0, v[204:205]
	s_and_b32 s0, vcc_lo, s0
	s_and_saveexec_b32 s7, s0
	s_xor_b32 s0, exec_lo, s7
; %bb.780:
	v_cmp_ne_u32_e32 vcc_lo, 0, v215
	v_cndmask_b32_e32 v215, 38, v215, vcc_lo
; %bb.781:
	s_andn2_saveexec_b32 s0, s0
	s_cbranch_execz .LBB98_787
; %bb.782:
	v_cmp_ngt_f64_e64 s7, |v[202:203]|, |v[204:205]|
	s_and_saveexec_b32 s8, s7
	s_xor_b32 s7, exec_lo, s8
	s_cbranch_execz .LBB98_784
; %bb.783:
	v_div_scale_f64 v[217:218], null, v[204:205], v[204:205], v[202:203]
	v_div_scale_f64 v[223:224], vcc_lo, v[202:203], v[204:205], v[202:203]
	v_rcp_f64_e32 v[219:220], v[217:218]
	v_fma_f64 v[221:222], -v[217:218], v[219:220], 1.0
	v_fma_f64 v[219:220], v[219:220], v[221:222], v[219:220]
	v_fma_f64 v[221:222], -v[217:218], v[219:220], 1.0
	v_fma_f64 v[219:220], v[219:220], v[221:222], v[219:220]
	v_mul_f64 v[221:222], v[223:224], v[219:220]
	v_fma_f64 v[217:218], -v[217:218], v[221:222], v[223:224]
	v_div_fmas_f64 v[217:218], v[217:218], v[219:220], v[221:222]
	v_div_fixup_f64 v[217:218], v[217:218], v[204:205], v[202:203]
	v_fma_f64 v[202:203], v[202:203], v[217:218], v[204:205]
	v_div_scale_f64 v[204:205], null, v[202:203], v[202:203], 1.0
	v_rcp_f64_e32 v[219:220], v[204:205]
	v_fma_f64 v[221:222], -v[204:205], v[219:220], 1.0
	v_fma_f64 v[219:220], v[219:220], v[221:222], v[219:220]
	v_fma_f64 v[221:222], -v[204:205], v[219:220], 1.0
	v_fma_f64 v[219:220], v[219:220], v[221:222], v[219:220]
	v_div_scale_f64 v[221:222], vcc_lo, 1.0, v[202:203], 1.0
	v_mul_f64 v[223:224], v[221:222], v[219:220]
	v_fma_f64 v[204:205], -v[204:205], v[223:224], v[221:222]
	v_div_fmas_f64 v[204:205], v[204:205], v[219:220], v[223:224]
	v_div_fixup_f64 v[204:205], v[204:205], v[202:203], 1.0
	v_mul_f64 v[202:203], v[217:218], v[204:205]
	v_xor_b32_e32 v205, 0x80000000, v205
.LBB98_784:
	s_andn2_saveexec_b32 s7, s7
	s_cbranch_execz .LBB98_786
; %bb.785:
	v_div_scale_f64 v[217:218], null, v[202:203], v[202:203], v[204:205]
	v_div_scale_f64 v[223:224], vcc_lo, v[204:205], v[202:203], v[204:205]
	v_rcp_f64_e32 v[219:220], v[217:218]
	v_fma_f64 v[221:222], -v[217:218], v[219:220], 1.0
	v_fma_f64 v[219:220], v[219:220], v[221:222], v[219:220]
	v_fma_f64 v[221:222], -v[217:218], v[219:220], 1.0
	v_fma_f64 v[219:220], v[219:220], v[221:222], v[219:220]
	v_mul_f64 v[221:222], v[223:224], v[219:220]
	v_fma_f64 v[217:218], -v[217:218], v[221:222], v[223:224]
	v_div_fmas_f64 v[217:218], v[217:218], v[219:220], v[221:222]
	v_div_fixup_f64 v[217:218], v[217:218], v[202:203], v[204:205]
	v_fma_f64 v[202:203], v[204:205], v[217:218], v[202:203]
	v_div_scale_f64 v[204:205], null, v[202:203], v[202:203], 1.0
	v_rcp_f64_e32 v[219:220], v[204:205]
	v_fma_f64 v[221:222], -v[204:205], v[219:220], 1.0
	v_fma_f64 v[219:220], v[219:220], v[221:222], v[219:220]
	v_fma_f64 v[221:222], -v[204:205], v[219:220], 1.0
	v_fma_f64 v[219:220], v[219:220], v[221:222], v[219:220]
	v_div_scale_f64 v[221:222], vcc_lo, 1.0, v[202:203], 1.0
	v_mul_f64 v[223:224], v[221:222], v[219:220]
	v_fma_f64 v[204:205], -v[204:205], v[223:224], v[221:222]
	v_div_fmas_f64 v[204:205], v[204:205], v[219:220], v[223:224]
	v_div_fixup_f64 v[202:203], v[204:205], v[202:203], 1.0
	v_mul_f64 v[204:205], v[217:218], -v[202:203]
.LBB98_786:
	s_or_b32 exec_lo, exec_lo, s7
.LBB98_787:
	s_or_b32 exec_lo, exec_lo, s0
	s_mov_b32 s0, exec_lo
	v_cmpx_ne_u32_e64 v216, v210
	s_xor_b32 s0, exec_lo, s0
	s_cbranch_execz .LBB98_793
; %bb.788:
	s_mov_b32 s7, exec_lo
	v_cmpx_eq_u32_e32 37, v216
	s_cbranch_execz .LBB98_792
; %bb.789:
	v_cmp_ne_u32_e32 vcc_lo, 37, v210
	s_xor_b32 s8, s16, -1
	s_and_b32 s9, s8, vcc_lo
	s_and_saveexec_b32 s8, s9
	s_cbranch_execz .LBB98_791
; %bb.790:
	v_ashrrev_i32_e32 v211, 31, v210
	v_lshlrev_b64 v[216:217], 2, v[210:211]
	v_add_co_u32 v216, vcc_lo, v208, v216
	v_add_co_ci_u32_e64 v217, null, v209, v217, vcc_lo
	s_clause 0x1
	global_load_dword v0, v[216:217], off
	global_load_dword v211, v[208:209], off offset:148
	s_waitcnt vmcnt(1)
	global_store_dword v[208:209], v0, off offset:148
	s_waitcnt vmcnt(0)
	global_store_dword v[216:217], v211, off
.LBB98_791:
	s_or_b32 exec_lo, exec_lo, s8
	v_mov_b32_e32 v216, v210
	v_mov_b32_e32 v0, v210
.LBB98_792:
	s_or_b32 exec_lo, exec_lo, s7
.LBB98_793:
	s_andn2_saveexec_b32 s0, s0
	s_cbranch_execz .LBB98_795
; %bb.794:
	v_mov_b32_e32 v216, 37
	ds_write2_b64 v1, v[46:47], v[48:49] offset0:76 offset1:77
	ds_write2_b64 v1, v[42:43], v[44:45] offset0:78 offset1:79
	;; [unrolled: 1-line block ×12, first 2 shown]
.LBB98_795:
	s_or_b32 exec_lo, exec_lo, s0
	s_mov_b32 s0, exec_lo
	s_waitcnt lgkmcnt(0)
	s_waitcnt_vscnt null, 0x0
	s_barrier
	buffer_gl0_inv
	v_cmpx_lt_i32_e32 37, v216
	s_cbranch_execz .LBB98_797
; %bb.796:
	v_mul_f64 v[210:211], v[202:203], v[52:53]
	v_mul_f64 v[52:53], v[204:205], v[52:53]
	v_fma_f64 v[210:211], v[204:205], v[50:51], v[210:211]
	v_fma_f64 v[50:51], v[202:203], v[50:51], -v[52:53]
	ds_read2_b64 v[202:205], v1 offset0:76 offset1:77
	s_waitcnt lgkmcnt(0)
	v_mul_f64 v[52:53], v[204:205], v[210:211]
	v_fma_f64 v[52:53], v[202:203], v[50:51], -v[52:53]
	v_mul_f64 v[202:203], v[202:203], v[210:211]
	v_add_f64 v[46:47], v[46:47], -v[52:53]
	v_fma_f64 v[202:203], v[204:205], v[50:51], v[202:203]
	v_add_f64 v[48:49], v[48:49], -v[202:203]
	ds_read2_b64 v[202:205], v1 offset0:78 offset1:79
	s_waitcnt lgkmcnt(0)
	v_mul_f64 v[52:53], v[204:205], v[210:211]
	v_fma_f64 v[52:53], v[202:203], v[50:51], -v[52:53]
	v_mul_f64 v[202:203], v[202:203], v[210:211]
	v_add_f64 v[42:43], v[42:43], -v[52:53]
	v_fma_f64 v[202:203], v[204:205], v[50:51], v[202:203]
	v_add_f64 v[44:45], v[44:45], -v[202:203]
	;; [unrolled: 8-line block ×11, first 2 shown]
	ds_read2_b64 v[202:205], v1 offset0:98 offset1:99
	s_waitcnt lgkmcnt(0)
	v_mul_f64 v[52:53], v[204:205], v[210:211]
	v_fma_f64 v[52:53], v[202:203], v[50:51], -v[52:53]
	v_mul_f64 v[202:203], v[202:203], v[210:211]
	v_add_f64 v[2:3], v[2:3], -v[52:53]
	v_fma_f64 v[202:203], v[204:205], v[50:51], v[202:203]
	v_mov_b32_e32 v52, v210
	v_mov_b32_e32 v53, v211
	v_add_f64 v[4:5], v[4:5], -v[202:203]
.LBB98_797:
	s_or_b32 exec_lo, exec_lo, s0
	v_lshl_add_u32 v202, v216, 4, v1
	s_barrier
	buffer_gl0_inv
	v_mov_b32_e32 v210, 38
	ds_write2_b64 v202, v[46:47], v[48:49] offset1:1
	s_waitcnt lgkmcnt(0)
	s_barrier
	buffer_gl0_inv
	ds_read2_b64 v[202:205], v1 offset0:76 offset1:77
	s_cmp_lt_i32 s1, 40
	s_cbranch_scc1 .LBB98_800
; %bb.798:
	v_add3_u32 v211, v212, 0, 0x270
	v_mov_b32_e32 v210, 38
	s_mov_b32 s7, 39
	s_inst_prefetch 0x1
	.p2align	6
.LBB98_799:                             ; =>This Inner Loop Header: Depth=1
	s_waitcnt lgkmcnt(0)
	v_cmp_gt_f64_e32 vcc_lo, 0, v[204:205]
	v_cmp_gt_f64_e64 s0, 0, v[202:203]
	ds_read2_b64 v[217:220], v211 offset1:1
	v_xor_b32_e32 v222, 0x80000000, v203
	v_xor_b32_e32 v224, 0x80000000, v205
	v_mov_b32_e32 v221, v202
	v_mov_b32_e32 v223, v204
	v_add_nc_u32_e32 v211, 16, v211
	s_waitcnt lgkmcnt(0)
	v_xor_b32_e32 v226, 0x80000000, v220
	v_cndmask_b32_e64 v222, v203, v222, s0
	v_cndmask_b32_e32 v224, v205, v224, vcc_lo
	v_cmp_gt_f64_e32 vcc_lo, 0, v[219:220]
	v_cmp_gt_f64_e64 s0, 0, v[217:218]
	v_mov_b32_e32 v225, v219
	v_add_f64 v[221:222], v[221:222], v[223:224]
	v_xor_b32_e32 v224, 0x80000000, v218
	v_mov_b32_e32 v223, v217
	v_cndmask_b32_e32 v226, v220, v226, vcc_lo
	v_cndmask_b32_e64 v224, v218, v224, s0
	v_add_f64 v[223:224], v[223:224], v[225:226]
	v_cmp_lt_f64_e32 vcc_lo, v[221:222], v[223:224]
	v_cndmask_b32_e32 v203, v203, v218, vcc_lo
	v_cndmask_b32_e32 v202, v202, v217, vcc_lo
	v_cndmask_b32_e32 v205, v205, v220, vcc_lo
	v_cndmask_b32_e32 v204, v204, v219, vcc_lo
	v_cndmask_b32_e64 v210, v210, s7, vcc_lo
	s_add_i32 s7, s7, 1
	s_cmp_lg_u32 s1, s7
	s_cbranch_scc1 .LBB98_799
.LBB98_800:
	s_inst_prefetch 0x2
	s_waitcnt lgkmcnt(0)
	v_cmp_eq_f64_e32 vcc_lo, 0, v[202:203]
	v_cmp_eq_f64_e64 s0, 0, v[204:205]
	s_and_b32 s0, vcc_lo, s0
	s_and_saveexec_b32 s7, s0
	s_xor_b32 s0, exec_lo, s7
; %bb.801:
	v_cmp_ne_u32_e32 vcc_lo, 0, v215
	v_cndmask_b32_e32 v215, 39, v215, vcc_lo
; %bb.802:
	s_andn2_saveexec_b32 s0, s0
	s_cbranch_execz .LBB98_808
; %bb.803:
	v_cmp_ngt_f64_e64 s7, |v[202:203]|, |v[204:205]|
	s_and_saveexec_b32 s8, s7
	s_xor_b32 s7, exec_lo, s8
	s_cbranch_execz .LBB98_805
; %bb.804:
	v_div_scale_f64 v[217:218], null, v[204:205], v[204:205], v[202:203]
	v_div_scale_f64 v[223:224], vcc_lo, v[202:203], v[204:205], v[202:203]
	v_rcp_f64_e32 v[219:220], v[217:218]
	v_fma_f64 v[221:222], -v[217:218], v[219:220], 1.0
	v_fma_f64 v[219:220], v[219:220], v[221:222], v[219:220]
	v_fma_f64 v[221:222], -v[217:218], v[219:220], 1.0
	v_fma_f64 v[219:220], v[219:220], v[221:222], v[219:220]
	v_mul_f64 v[221:222], v[223:224], v[219:220]
	v_fma_f64 v[217:218], -v[217:218], v[221:222], v[223:224]
	v_div_fmas_f64 v[217:218], v[217:218], v[219:220], v[221:222]
	v_div_fixup_f64 v[217:218], v[217:218], v[204:205], v[202:203]
	v_fma_f64 v[202:203], v[202:203], v[217:218], v[204:205]
	v_div_scale_f64 v[204:205], null, v[202:203], v[202:203], 1.0
	v_rcp_f64_e32 v[219:220], v[204:205]
	v_fma_f64 v[221:222], -v[204:205], v[219:220], 1.0
	v_fma_f64 v[219:220], v[219:220], v[221:222], v[219:220]
	v_fma_f64 v[221:222], -v[204:205], v[219:220], 1.0
	v_fma_f64 v[219:220], v[219:220], v[221:222], v[219:220]
	v_div_scale_f64 v[221:222], vcc_lo, 1.0, v[202:203], 1.0
	v_mul_f64 v[223:224], v[221:222], v[219:220]
	v_fma_f64 v[204:205], -v[204:205], v[223:224], v[221:222]
	v_div_fmas_f64 v[204:205], v[204:205], v[219:220], v[223:224]
	v_div_fixup_f64 v[204:205], v[204:205], v[202:203], 1.0
	v_mul_f64 v[202:203], v[217:218], v[204:205]
	v_xor_b32_e32 v205, 0x80000000, v205
.LBB98_805:
	s_andn2_saveexec_b32 s7, s7
	s_cbranch_execz .LBB98_807
; %bb.806:
	v_div_scale_f64 v[217:218], null, v[202:203], v[202:203], v[204:205]
	v_div_scale_f64 v[223:224], vcc_lo, v[204:205], v[202:203], v[204:205]
	v_rcp_f64_e32 v[219:220], v[217:218]
	v_fma_f64 v[221:222], -v[217:218], v[219:220], 1.0
	v_fma_f64 v[219:220], v[219:220], v[221:222], v[219:220]
	v_fma_f64 v[221:222], -v[217:218], v[219:220], 1.0
	v_fma_f64 v[219:220], v[219:220], v[221:222], v[219:220]
	v_mul_f64 v[221:222], v[223:224], v[219:220]
	v_fma_f64 v[217:218], -v[217:218], v[221:222], v[223:224]
	v_div_fmas_f64 v[217:218], v[217:218], v[219:220], v[221:222]
	v_div_fixup_f64 v[217:218], v[217:218], v[202:203], v[204:205]
	v_fma_f64 v[202:203], v[204:205], v[217:218], v[202:203]
	v_div_scale_f64 v[204:205], null, v[202:203], v[202:203], 1.0
	v_rcp_f64_e32 v[219:220], v[204:205]
	v_fma_f64 v[221:222], -v[204:205], v[219:220], 1.0
	v_fma_f64 v[219:220], v[219:220], v[221:222], v[219:220]
	v_fma_f64 v[221:222], -v[204:205], v[219:220], 1.0
	v_fma_f64 v[219:220], v[219:220], v[221:222], v[219:220]
	v_div_scale_f64 v[221:222], vcc_lo, 1.0, v[202:203], 1.0
	v_mul_f64 v[223:224], v[221:222], v[219:220]
	v_fma_f64 v[204:205], -v[204:205], v[223:224], v[221:222]
	v_div_fmas_f64 v[204:205], v[204:205], v[219:220], v[223:224]
	v_div_fixup_f64 v[202:203], v[204:205], v[202:203], 1.0
	v_mul_f64 v[204:205], v[217:218], -v[202:203]
.LBB98_807:
	s_or_b32 exec_lo, exec_lo, s7
.LBB98_808:
	s_or_b32 exec_lo, exec_lo, s0
	s_mov_b32 s0, exec_lo
	v_cmpx_ne_u32_e64 v216, v210
	s_xor_b32 s0, exec_lo, s0
	s_cbranch_execz .LBB98_814
; %bb.809:
	s_mov_b32 s7, exec_lo
	v_cmpx_eq_u32_e32 38, v216
	s_cbranch_execz .LBB98_813
; %bb.810:
	v_cmp_ne_u32_e32 vcc_lo, 38, v210
	s_xor_b32 s8, s16, -1
	s_and_b32 s9, s8, vcc_lo
	s_and_saveexec_b32 s8, s9
	s_cbranch_execz .LBB98_812
; %bb.811:
	v_ashrrev_i32_e32 v211, 31, v210
	v_lshlrev_b64 v[216:217], 2, v[210:211]
	v_add_co_u32 v216, vcc_lo, v208, v216
	v_add_co_ci_u32_e64 v217, null, v209, v217, vcc_lo
	s_clause 0x1
	global_load_dword v0, v[216:217], off
	global_load_dword v211, v[208:209], off offset:152
	s_waitcnt vmcnt(1)
	global_store_dword v[208:209], v0, off offset:152
	s_waitcnt vmcnt(0)
	global_store_dword v[216:217], v211, off
.LBB98_812:
	s_or_b32 exec_lo, exec_lo, s8
	v_mov_b32_e32 v216, v210
	v_mov_b32_e32 v0, v210
.LBB98_813:
	s_or_b32 exec_lo, exec_lo, s7
.LBB98_814:
	s_andn2_saveexec_b32 s0, s0
	s_cbranch_execz .LBB98_816
; %bb.815:
	v_mov_b32_e32 v216, 38
	ds_write2_b64 v1, v[42:43], v[44:45] offset0:78 offset1:79
	ds_write2_b64 v1, v[38:39], v[40:41] offset0:80 offset1:81
	;; [unrolled: 1-line block ×11, first 2 shown]
.LBB98_816:
	s_or_b32 exec_lo, exec_lo, s0
	s_mov_b32 s0, exec_lo
	s_waitcnt lgkmcnt(0)
	s_waitcnt_vscnt null, 0x0
	s_barrier
	buffer_gl0_inv
	v_cmpx_lt_i32_e32 38, v216
	s_cbranch_execz .LBB98_818
; %bb.817:
	v_mul_f64 v[210:211], v[202:203], v[48:49]
	v_mul_f64 v[48:49], v[204:205], v[48:49]
	v_fma_f64 v[210:211], v[204:205], v[46:47], v[210:211]
	v_fma_f64 v[46:47], v[202:203], v[46:47], -v[48:49]
	ds_read2_b64 v[202:205], v1 offset0:78 offset1:79
	s_waitcnt lgkmcnt(0)
	v_mul_f64 v[48:49], v[204:205], v[210:211]
	v_fma_f64 v[48:49], v[202:203], v[46:47], -v[48:49]
	v_mul_f64 v[202:203], v[202:203], v[210:211]
	v_add_f64 v[42:43], v[42:43], -v[48:49]
	v_fma_f64 v[202:203], v[204:205], v[46:47], v[202:203]
	v_add_f64 v[44:45], v[44:45], -v[202:203]
	ds_read2_b64 v[202:205], v1 offset0:80 offset1:81
	s_waitcnt lgkmcnt(0)
	v_mul_f64 v[48:49], v[204:205], v[210:211]
	v_fma_f64 v[48:49], v[202:203], v[46:47], -v[48:49]
	v_mul_f64 v[202:203], v[202:203], v[210:211]
	v_add_f64 v[38:39], v[38:39], -v[48:49]
	v_fma_f64 v[202:203], v[204:205], v[46:47], v[202:203]
	v_add_f64 v[40:41], v[40:41], -v[202:203]
	;; [unrolled: 8-line block ×10, first 2 shown]
	ds_read2_b64 v[202:205], v1 offset0:98 offset1:99
	s_waitcnt lgkmcnt(0)
	v_mul_f64 v[48:49], v[204:205], v[210:211]
	v_fma_f64 v[48:49], v[202:203], v[46:47], -v[48:49]
	v_mul_f64 v[202:203], v[202:203], v[210:211]
	v_add_f64 v[2:3], v[2:3], -v[48:49]
	v_fma_f64 v[202:203], v[204:205], v[46:47], v[202:203]
	v_mov_b32_e32 v48, v210
	v_mov_b32_e32 v49, v211
	v_add_f64 v[4:5], v[4:5], -v[202:203]
.LBB98_818:
	s_or_b32 exec_lo, exec_lo, s0
	v_lshl_add_u32 v202, v216, 4, v1
	s_barrier
	buffer_gl0_inv
	v_mov_b32_e32 v210, 39
	ds_write2_b64 v202, v[42:43], v[44:45] offset1:1
	s_waitcnt lgkmcnt(0)
	s_barrier
	buffer_gl0_inv
	ds_read2_b64 v[202:205], v1 offset0:78 offset1:79
	s_cmp_lt_i32 s1, 41
	s_cbranch_scc1 .LBB98_821
; %bb.819:
	v_add3_u32 v211, v212, 0, 0x280
	v_mov_b32_e32 v210, 39
	s_mov_b32 s7, 40
	s_inst_prefetch 0x1
	.p2align	6
.LBB98_820:                             ; =>This Inner Loop Header: Depth=1
	s_waitcnt lgkmcnt(0)
	v_cmp_gt_f64_e32 vcc_lo, 0, v[204:205]
	v_cmp_gt_f64_e64 s0, 0, v[202:203]
	ds_read2_b64 v[217:220], v211 offset1:1
	v_xor_b32_e32 v222, 0x80000000, v203
	v_xor_b32_e32 v224, 0x80000000, v205
	v_mov_b32_e32 v221, v202
	v_mov_b32_e32 v223, v204
	v_add_nc_u32_e32 v211, 16, v211
	s_waitcnt lgkmcnt(0)
	v_xor_b32_e32 v226, 0x80000000, v220
	v_cndmask_b32_e64 v222, v203, v222, s0
	v_cndmask_b32_e32 v224, v205, v224, vcc_lo
	v_cmp_gt_f64_e32 vcc_lo, 0, v[219:220]
	v_cmp_gt_f64_e64 s0, 0, v[217:218]
	v_mov_b32_e32 v225, v219
	v_add_f64 v[221:222], v[221:222], v[223:224]
	v_xor_b32_e32 v224, 0x80000000, v218
	v_mov_b32_e32 v223, v217
	v_cndmask_b32_e32 v226, v220, v226, vcc_lo
	v_cndmask_b32_e64 v224, v218, v224, s0
	v_add_f64 v[223:224], v[223:224], v[225:226]
	v_cmp_lt_f64_e32 vcc_lo, v[221:222], v[223:224]
	v_cndmask_b32_e32 v203, v203, v218, vcc_lo
	v_cndmask_b32_e32 v202, v202, v217, vcc_lo
	;; [unrolled: 1-line block ×4, first 2 shown]
	v_cndmask_b32_e64 v210, v210, s7, vcc_lo
	s_add_i32 s7, s7, 1
	s_cmp_lg_u32 s1, s7
	s_cbranch_scc1 .LBB98_820
.LBB98_821:
	s_inst_prefetch 0x2
	s_waitcnt lgkmcnt(0)
	v_cmp_eq_f64_e32 vcc_lo, 0, v[202:203]
	v_cmp_eq_f64_e64 s0, 0, v[204:205]
	s_and_b32 s0, vcc_lo, s0
	s_and_saveexec_b32 s7, s0
	s_xor_b32 s0, exec_lo, s7
; %bb.822:
	v_cmp_ne_u32_e32 vcc_lo, 0, v215
	v_cndmask_b32_e32 v215, 40, v215, vcc_lo
; %bb.823:
	s_andn2_saveexec_b32 s0, s0
	s_cbranch_execz .LBB98_829
; %bb.824:
	v_cmp_ngt_f64_e64 s7, |v[202:203]|, |v[204:205]|
	s_and_saveexec_b32 s8, s7
	s_xor_b32 s7, exec_lo, s8
	s_cbranch_execz .LBB98_826
; %bb.825:
	v_div_scale_f64 v[217:218], null, v[204:205], v[204:205], v[202:203]
	v_div_scale_f64 v[223:224], vcc_lo, v[202:203], v[204:205], v[202:203]
	v_rcp_f64_e32 v[219:220], v[217:218]
	v_fma_f64 v[221:222], -v[217:218], v[219:220], 1.0
	v_fma_f64 v[219:220], v[219:220], v[221:222], v[219:220]
	v_fma_f64 v[221:222], -v[217:218], v[219:220], 1.0
	v_fma_f64 v[219:220], v[219:220], v[221:222], v[219:220]
	v_mul_f64 v[221:222], v[223:224], v[219:220]
	v_fma_f64 v[217:218], -v[217:218], v[221:222], v[223:224]
	v_div_fmas_f64 v[217:218], v[217:218], v[219:220], v[221:222]
	v_div_fixup_f64 v[217:218], v[217:218], v[204:205], v[202:203]
	v_fma_f64 v[202:203], v[202:203], v[217:218], v[204:205]
	v_div_scale_f64 v[204:205], null, v[202:203], v[202:203], 1.0
	v_rcp_f64_e32 v[219:220], v[204:205]
	v_fma_f64 v[221:222], -v[204:205], v[219:220], 1.0
	v_fma_f64 v[219:220], v[219:220], v[221:222], v[219:220]
	v_fma_f64 v[221:222], -v[204:205], v[219:220], 1.0
	v_fma_f64 v[219:220], v[219:220], v[221:222], v[219:220]
	v_div_scale_f64 v[221:222], vcc_lo, 1.0, v[202:203], 1.0
	v_mul_f64 v[223:224], v[221:222], v[219:220]
	v_fma_f64 v[204:205], -v[204:205], v[223:224], v[221:222]
	v_div_fmas_f64 v[204:205], v[204:205], v[219:220], v[223:224]
	v_div_fixup_f64 v[204:205], v[204:205], v[202:203], 1.0
	v_mul_f64 v[202:203], v[217:218], v[204:205]
	v_xor_b32_e32 v205, 0x80000000, v205
.LBB98_826:
	s_andn2_saveexec_b32 s7, s7
	s_cbranch_execz .LBB98_828
; %bb.827:
	v_div_scale_f64 v[217:218], null, v[202:203], v[202:203], v[204:205]
	v_div_scale_f64 v[223:224], vcc_lo, v[204:205], v[202:203], v[204:205]
	v_rcp_f64_e32 v[219:220], v[217:218]
	v_fma_f64 v[221:222], -v[217:218], v[219:220], 1.0
	v_fma_f64 v[219:220], v[219:220], v[221:222], v[219:220]
	v_fma_f64 v[221:222], -v[217:218], v[219:220], 1.0
	v_fma_f64 v[219:220], v[219:220], v[221:222], v[219:220]
	v_mul_f64 v[221:222], v[223:224], v[219:220]
	v_fma_f64 v[217:218], -v[217:218], v[221:222], v[223:224]
	v_div_fmas_f64 v[217:218], v[217:218], v[219:220], v[221:222]
	v_div_fixup_f64 v[217:218], v[217:218], v[202:203], v[204:205]
	v_fma_f64 v[202:203], v[204:205], v[217:218], v[202:203]
	v_div_scale_f64 v[204:205], null, v[202:203], v[202:203], 1.0
	v_rcp_f64_e32 v[219:220], v[204:205]
	v_fma_f64 v[221:222], -v[204:205], v[219:220], 1.0
	v_fma_f64 v[219:220], v[219:220], v[221:222], v[219:220]
	v_fma_f64 v[221:222], -v[204:205], v[219:220], 1.0
	v_fma_f64 v[219:220], v[219:220], v[221:222], v[219:220]
	v_div_scale_f64 v[221:222], vcc_lo, 1.0, v[202:203], 1.0
	v_mul_f64 v[223:224], v[221:222], v[219:220]
	v_fma_f64 v[204:205], -v[204:205], v[223:224], v[221:222]
	v_div_fmas_f64 v[204:205], v[204:205], v[219:220], v[223:224]
	v_div_fixup_f64 v[202:203], v[204:205], v[202:203], 1.0
	v_mul_f64 v[204:205], v[217:218], -v[202:203]
.LBB98_828:
	s_or_b32 exec_lo, exec_lo, s7
.LBB98_829:
	s_or_b32 exec_lo, exec_lo, s0
	s_mov_b32 s0, exec_lo
	v_cmpx_ne_u32_e64 v216, v210
	s_xor_b32 s0, exec_lo, s0
	s_cbranch_execz .LBB98_835
; %bb.830:
	s_mov_b32 s7, exec_lo
	v_cmpx_eq_u32_e32 39, v216
	s_cbranch_execz .LBB98_834
; %bb.831:
	v_cmp_ne_u32_e32 vcc_lo, 39, v210
	s_xor_b32 s8, s16, -1
	s_and_b32 s9, s8, vcc_lo
	s_and_saveexec_b32 s8, s9
	s_cbranch_execz .LBB98_833
; %bb.832:
	v_ashrrev_i32_e32 v211, 31, v210
	v_lshlrev_b64 v[216:217], 2, v[210:211]
	v_add_co_u32 v216, vcc_lo, v208, v216
	v_add_co_ci_u32_e64 v217, null, v209, v217, vcc_lo
	s_clause 0x1
	global_load_dword v0, v[216:217], off
	global_load_dword v211, v[208:209], off offset:156
	s_waitcnt vmcnt(1)
	global_store_dword v[208:209], v0, off offset:156
	s_waitcnt vmcnt(0)
	global_store_dword v[216:217], v211, off
.LBB98_833:
	s_or_b32 exec_lo, exec_lo, s8
	v_mov_b32_e32 v216, v210
	v_mov_b32_e32 v0, v210
.LBB98_834:
	s_or_b32 exec_lo, exec_lo, s7
.LBB98_835:
	s_andn2_saveexec_b32 s0, s0
	s_cbranch_execz .LBB98_837
; %bb.836:
	v_mov_b32_e32 v216, 39
	ds_write2_b64 v1, v[38:39], v[40:41] offset0:80 offset1:81
	ds_write2_b64 v1, v[34:35], v[36:37] offset0:82 offset1:83
	;; [unrolled: 1-line block ×10, first 2 shown]
.LBB98_837:
	s_or_b32 exec_lo, exec_lo, s0
	s_mov_b32 s0, exec_lo
	s_waitcnt lgkmcnt(0)
	s_waitcnt_vscnt null, 0x0
	s_barrier
	buffer_gl0_inv
	v_cmpx_lt_i32_e32 39, v216
	s_cbranch_execz .LBB98_839
; %bb.838:
	v_mul_f64 v[210:211], v[202:203], v[44:45]
	v_mul_f64 v[44:45], v[204:205], v[44:45]
	v_fma_f64 v[210:211], v[204:205], v[42:43], v[210:211]
	v_fma_f64 v[42:43], v[202:203], v[42:43], -v[44:45]
	ds_read2_b64 v[202:205], v1 offset0:80 offset1:81
	s_waitcnt lgkmcnt(0)
	v_mul_f64 v[44:45], v[204:205], v[210:211]
	v_fma_f64 v[44:45], v[202:203], v[42:43], -v[44:45]
	v_mul_f64 v[202:203], v[202:203], v[210:211]
	v_add_f64 v[38:39], v[38:39], -v[44:45]
	v_fma_f64 v[202:203], v[204:205], v[42:43], v[202:203]
	v_add_f64 v[40:41], v[40:41], -v[202:203]
	ds_read2_b64 v[202:205], v1 offset0:82 offset1:83
	s_waitcnt lgkmcnt(0)
	v_mul_f64 v[44:45], v[204:205], v[210:211]
	v_fma_f64 v[44:45], v[202:203], v[42:43], -v[44:45]
	v_mul_f64 v[202:203], v[202:203], v[210:211]
	v_add_f64 v[34:35], v[34:35], -v[44:45]
	v_fma_f64 v[202:203], v[204:205], v[42:43], v[202:203]
	v_add_f64 v[36:37], v[36:37], -v[202:203]
	;; [unrolled: 8-line block ×9, first 2 shown]
	ds_read2_b64 v[202:205], v1 offset0:98 offset1:99
	s_waitcnt lgkmcnt(0)
	v_mul_f64 v[44:45], v[204:205], v[210:211]
	v_fma_f64 v[44:45], v[202:203], v[42:43], -v[44:45]
	v_mul_f64 v[202:203], v[202:203], v[210:211]
	v_add_f64 v[2:3], v[2:3], -v[44:45]
	v_fma_f64 v[202:203], v[204:205], v[42:43], v[202:203]
	v_mov_b32_e32 v44, v210
	v_mov_b32_e32 v45, v211
	v_add_f64 v[4:5], v[4:5], -v[202:203]
.LBB98_839:
	s_or_b32 exec_lo, exec_lo, s0
	v_lshl_add_u32 v202, v216, 4, v1
	s_barrier
	buffer_gl0_inv
	v_mov_b32_e32 v210, 40
	ds_write2_b64 v202, v[38:39], v[40:41] offset1:1
	s_waitcnt lgkmcnt(0)
	s_barrier
	buffer_gl0_inv
	ds_read2_b64 v[202:205], v1 offset0:80 offset1:81
	s_cmp_lt_i32 s1, 42
	s_cbranch_scc1 .LBB98_842
; %bb.840:
	v_add3_u32 v211, v212, 0, 0x290
	v_mov_b32_e32 v210, 40
	s_mov_b32 s7, 41
	s_inst_prefetch 0x1
	.p2align	6
.LBB98_841:                             ; =>This Inner Loop Header: Depth=1
	s_waitcnt lgkmcnt(0)
	v_cmp_gt_f64_e32 vcc_lo, 0, v[204:205]
	v_cmp_gt_f64_e64 s0, 0, v[202:203]
	ds_read2_b64 v[217:220], v211 offset1:1
	v_xor_b32_e32 v222, 0x80000000, v203
	v_xor_b32_e32 v224, 0x80000000, v205
	v_mov_b32_e32 v221, v202
	v_mov_b32_e32 v223, v204
	v_add_nc_u32_e32 v211, 16, v211
	s_waitcnt lgkmcnt(0)
	v_xor_b32_e32 v226, 0x80000000, v220
	v_cndmask_b32_e64 v222, v203, v222, s0
	v_cndmask_b32_e32 v224, v205, v224, vcc_lo
	v_cmp_gt_f64_e32 vcc_lo, 0, v[219:220]
	v_cmp_gt_f64_e64 s0, 0, v[217:218]
	v_mov_b32_e32 v225, v219
	v_add_f64 v[221:222], v[221:222], v[223:224]
	v_xor_b32_e32 v224, 0x80000000, v218
	v_mov_b32_e32 v223, v217
	v_cndmask_b32_e32 v226, v220, v226, vcc_lo
	v_cndmask_b32_e64 v224, v218, v224, s0
	v_add_f64 v[223:224], v[223:224], v[225:226]
	v_cmp_lt_f64_e32 vcc_lo, v[221:222], v[223:224]
	v_cndmask_b32_e32 v203, v203, v218, vcc_lo
	v_cndmask_b32_e32 v202, v202, v217, vcc_lo
	;; [unrolled: 1-line block ×4, first 2 shown]
	v_cndmask_b32_e64 v210, v210, s7, vcc_lo
	s_add_i32 s7, s7, 1
	s_cmp_lg_u32 s1, s7
	s_cbranch_scc1 .LBB98_841
.LBB98_842:
	s_inst_prefetch 0x2
	s_waitcnt lgkmcnt(0)
	v_cmp_eq_f64_e32 vcc_lo, 0, v[202:203]
	v_cmp_eq_f64_e64 s0, 0, v[204:205]
	s_and_b32 s0, vcc_lo, s0
	s_and_saveexec_b32 s7, s0
	s_xor_b32 s0, exec_lo, s7
; %bb.843:
	v_cmp_ne_u32_e32 vcc_lo, 0, v215
	v_cndmask_b32_e32 v215, 41, v215, vcc_lo
; %bb.844:
	s_andn2_saveexec_b32 s0, s0
	s_cbranch_execz .LBB98_850
; %bb.845:
	v_cmp_ngt_f64_e64 s7, |v[202:203]|, |v[204:205]|
	s_and_saveexec_b32 s8, s7
	s_xor_b32 s7, exec_lo, s8
	s_cbranch_execz .LBB98_847
; %bb.846:
	v_div_scale_f64 v[217:218], null, v[204:205], v[204:205], v[202:203]
	v_div_scale_f64 v[223:224], vcc_lo, v[202:203], v[204:205], v[202:203]
	v_rcp_f64_e32 v[219:220], v[217:218]
	v_fma_f64 v[221:222], -v[217:218], v[219:220], 1.0
	v_fma_f64 v[219:220], v[219:220], v[221:222], v[219:220]
	v_fma_f64 v[221:222], -v[217:218], v[219:220], 1.0
	v_fma_f64 v[219:220], v[219:220], v[221:222], v[219:220]
	v_mul_f64 v[221:222], v[223:224], v[219:220]
	v_fma_f64 v[217:218], -v[217:218], v[221:222], v[223:224]
	v_div_fmas_f64 v[217:218], v[217:218], v[219:220], v[221:222]
	v_div_fixup_f64 v[217:218], v[217:218], v[204:205], v[202:203]
	v_fma_f64 v[202:203], v[202:203], v[217:218], v[204:205]
	v_div_scale_f64 v[204:205], null, v[202:203], v[202:203], 1.0
	v_rcp_f64_e32 v[219:220], v[204:205]
	v_fma_f64 v[221:222], -v[204:205], v[219:220], 1.0
	v_fma_f64 v[219:220], v[219:220], v[221:222], v[219:220]
	v_fma_f64 v[221:222], -v[204:205], v[219:220], 1.0
	v_fma_f64 v[219:220], v[219:220], v[221:222], v[219:220]
	v_div_scale_f64 v[221:222], vcc_lo, 1.0, v[202:203], 1.0
	v_mul_f64 v[223:224], v[221:222], v[219:220]
	v_fma_f64 v[204:205], -v[204:205], v[223:224], v[221:222]
	v_div_fmas_f64 v[204:205], v[204:205], v[219:220], v[223:224]
	v_div_fixup_f64 v[204:205], v[204:205], v[202:203], 1.0
	v_mul_f64 v[202:203], v[217:218], v[204:205]
	v_xor_b32_e32 v205, 0x80000000, v205
.LBB98_847:
	s_andn2_saveexec_b32 s7, s7
	s_cbranch_execz .LBB98_849
; %bb.848:
	v_div_scale_f64 v[217:218], null, v[202:203], v[202:203], v[204:205]
	v_div_scale_f64 v[223:224], vcc_lo, v[204:205], v[202:203], v[204:205]
	v_rcp_f64_e32 v[219:220], v[217:218]
	v_fma_f64 v[221:222], -v[217:218], v[219:220], 1.0
	v_fma_f64 v[219:220], v[219:220], v[221:222], v[219:220]
	v_fma_f64 v[221:222], -v[217:218], v[219:220], 1.0
	v_fma_f64 v[219:220], v[219:220], v[221:222], v[219:220]
	v_mul_f64 v[221:222], v[223:224], v[219:220]
	v_fma_f64 v[217:218], -v[217:218], v[221:222], v[223:224]
	v_div_fmas_f64 v[217:218], v[217:218], v[219:220], v[221:222]
	v_div_fixup_f64 v[217:218], v[217:218], v[202:203], v[204:205]
	v_fma_f64 v[202:203], v[204:205], v[217:218], v[202:203]
	v_div_scale_f64 v[204:205], null, v[202:203], v[202:203], 1.0
	v_rcp_f64_e32 v[219:220], v[204:205]
	v_fma_f64 v[221:222], -v[204:205], v[219:220], 1.0
	v_fma_f64 v[219:220], v[219:220], v[221:222], v[219:220]
	v_fma_f64 v[221:222], -v[204:205], v[219:220], 1.0
	v_fma_f64 v[219:220], v[219:220], v[221:222], v[219:220]
	v_div_scale_f64 v[221:222], vcc_lo, 1.0, v[202:203], 1.0
	v_mul_f64 v[223:224], v[221:222], v[219:220]
	v_fma_f64 v[204:205], -v[204:205], v[223:224], v[221:222]
	v_div_fmas_f64 v[204:205], v[204:205], v[219:220], v[223:224]
	v_div_fixup_f64 v[202:203], v[204:205], v[202:203], 1.0
	v_mul_f64 v[204:205], v[217:218], -v[202:203]
.LBB98_849:
	s_or_b32 exec_lo, exec_lo, s7
.LBB98_850:
	s_or_b32 exec_lo, exec_lo, s0
	s_mov_b32 s0, exec_lo
	v_cmpx_ne_u32_e64 v216, v210
	s_xor_b32 s0, exec_lo, s0
	s_cbranch_execz .LBB98_856
; %bb.851:
	s_mov_b32 s7, exec_lo
	v_cmpx_eq_u32_e32 40, v216
	s_cbranch_execz .LBB98_855
; %bb.852:
	v_cmp_ne_u32_e32 vcc_lo, 40, v210
	s_xor_b32 s8, s16, -1
	s_and_b32 s9, s8, vcc_lo
	s_and_saveexec_b32 s8, s9
	s_cbranch_execz .LBB98_854
; %bb.853:
	v_ashrrev_i32_e32 v211, 31, v210
	v_lshlrev_b64 v[216:217], 2, v[210:211]
	v_add_co_u32 v216, vcc_lo, v208, v216
	v_add_co_ci_u32_e64 v217, null, v209, v217, vcc_lo
	s_clause 0x1
	global_load_dword v0, v[216:217], off
	global_load_dword v211, v[208:209], off offset:160
	s_waitcnt vmcnt(1)
	global_store_dword v[208:209], v0, off offset:160
	s_waitcnt vmcnt(0)
	global_store_dword v[216:217], v211, off
.LBB98_854:
	s_or_b32 exec_lo, exec_lo, s8
	v_mov_b32_e32 v216, v210
	v_mov_b32_e32 v0, v210
.LBB98_855:
	s_or_b32 exec_lo, exec_lo, s7
.LBB98_856:
	s_andn2_saveexec_b32 s0, s0
	s_cbranch_execz .LBB98_858
; %bb.857:
	v_mov_b32_e32 v216, 40
	ds_write2_b64 v1, v[34:35], v[36:37] offset0:82 offset1:83
	ds_write2_b64 v1, v[30:31], v[32:33] offset0:84 offset1:85
	;; [unrolled: 1-line block ×9, first 2 shown]
.LBB98_858:
	s_or_b32 exec_lo, exec_lo, s0
	s_mov_b32 s0, exec_lo
	s_waitcnt lgkmcnt(0)
	s_waitcnt_vscnt null, 0x0
	s_barrier
	buffer_gl0_inv
	v_cmpx_lt_i32_e32 40, v216
	s_cbranch_execz .LBB98_860
; %bb.859:
	v_mul_f64 v[210:211], v[202:203], v[40:41]
	v_mul_f64 v[40:41], v[204:205], v[40:41]
	v_fma_f64 v[210:211], v[204:205], v[38:39], v[210:211]
	v_fma_f64 v[38:39], v[202:203], v[38:39], -v[40:41]
	ds_read2_b64 v[202:205], v1 offset0:82 offset1:83
	s_waitcnt lgkmcnt(0)
	v_mul_f64 v[40:41], v[204:205], v[210:211]
	v_fma_f64 v[40:41], v[202:203], v[38:39], -v[40:41]
	v_mul_f64 v[202:203], v[202:203], v[210:211]
	v_add_f64 v[34:35], v[34:35], -v[40:41]
	v_fma_f64 v[202:203], v[204:205], v[38:39], v[202:203]
	v_add_f64 v[36:37], v[36:37], -v[202:203]
	ds_read2_b64 v[202:205], v1 offset0:84 offset1:85
	s_waitcnt lgkmcnt(0)
	v_mul_f64 v[40:41], v[204:205], v[210:211]
	v_fma_f64 v[40:41], v[202:203], v[38:39], -v[40:41]
	v_mul_f64 v[202:203], v[202:203], v[210:211]
	v_add_f64 v[30:31], v[30:31], -v[40:41]
	v_fma_f64 v[202:203], v[204:205], v[38:39], v[202:203]
	v_add_f64 v[32:33], v[32:33], -v[202:203]
	;; [unrolled: 8-line block ×8, first 2 shown]
	ds_read2_b64 v[202:205], v1 offset0:98 offset1:99
	s_waitcnt lgkmcnt(0)
	v_mul_f64 v[40:41], v[204:205], v[210:211]
	v_fma_f64 v[40:41], v[202:203], v[38:39], -v[40:41]
	v_mul_f64 v[202:203], v[202:203], v[210:211]
	v_add_f64 v[2:3], v[2:3], -v[40:41]
	v_fma_f64 v[202:203], v[204:205], v[38:39], v[202:203]
	v_mov_b32_e32 v40, v210
	v_mov_b32_e32 v41, v211
	v_add_f64 v[4:5], v[4:5], -v[202:203]
.LBB98_860:
	s_or_b32 exec_lo, exec_lo, s0
	v_lshl_add_u32 v202, v216, 4, v1
	s_barrier
	buffer_gl0_inv
	v_mov_b32_e32 v210, 41
	ds_write2_b64 v202, v[34:35], v[36:37] offset1:1
	s_waitcnt lgkmcnt(0)
	s_barrier
	buffer_gl0_inv
	ds_read2_b64 v[202:205], v1 offset0:82 offset1:83
	s_cmp_lt_i32 s1, 43
	s_cbranch_scc1 .LBB98_863
; %bb.861:
	v_add3_u32 v211, v212, 0, 0x2a0
	v_mov_b32_e32 v210, 41
	s_mov_b32 s7, 42
	s_inst_prefetch 0x1
	.p2align	6
.LBB98_862:                             ; =>This Inner Loop Header: Depth=1
	s_waitcnt lgkmcnt(0)
	v_cmp_gt_f64_e32 vcc_lo, 0, v[204:205]
	v_cmp_gt_f64_e64 s0, 0, v[202:203]
	ds_read2_b64 v[217:220], v211 offset1:1
	v_xor_b32_e32 v222, 0x80000000, v203
	v_xor_b32_e32 v224, 0x80000000, v205
	v_mov_b32_e32 v221, v202
	v_mov_b32_e32 v223, v204
	v_add_nc_u32_e32 v211, 16, v211
	s_waitcnt lgkmcnt(0)
	v_xor_b32_e32 v226, 0x80000000, v220
	v_cndmask_b32_e64 v222, v203, v222, s0
	v_cndmask_b32_e32 v224, v205, v224, vcc_lo
	v_cmp_gt_f64_e32 vcc_lo, 0, v[219:220]
	v_cmp_gt_f64_e64 s0, 0, v[217:218]
	v_mov_b32_e32 v225, v219
	v_add_f64 v[221:222], v[221:222], v[223:224]
	v_xor_b32_e32 v224, 0x80000000, v218
	v_mov_b32_e32 v223, v217
	v_cndmask_b32_e32 v226, v220, v226, vcc_lo
	v_cndmask_b32_e64 v224, v218, v224, s0
	v_add_f64 v[223:224], v[223:224], v[225:226]
	v_cmp_lt_f64_e32 vcc_lo, v[221:222], v[223:224]
	v_cndmask_b32_e32 v203, v203, v218, vcc_lo
	v_cndmask_b32_e32 v202, v202, v217, vcc_lo
	;; [unrolled: 1-line block ×4, first 2 shown]
	v_cndmask_b32_e64 v210, v210, s7, vcc_lo
	s_add_i32 s7, s7, 1
	s_cmp_lg_u32 s1, s7
	s_cbranch_scc1 .LBB98_862
.LBB98_863:
	s_inst_prefetch 0x2
	s_waitcnt lgkmcnt(0)
	v_cmp_eq_f64_e32 vcc_lo, 0, v[202:203]
	v_cmp_eq_f64_e64 s0, 0, v[204:205]
	s_and_b32 s0, vcc_lo, s0
	s_and_saveexec_b32 s7, s0
	s_xor_b32 s0, exec_lo, s7
; %bb.864:
	v_cmp_ne_u32_e32 vcc_lo, 0, v215
	v_cndmask_b32_e32 v215, 42, v215, vcc_lo
; %bb.865:
	s_andn2_saveexec_b32 s0, s0
	s_cbranch_execz .LBB98_871
; %bb.866:
	v_cmp_ngt_f64_e64 s7, |v[202:203]|, |v[204:205]|
	s_and_saveexec_b32 s8, s7
	s_xor_b32 s7, exec_lo, s8
	s_cbranch_execz .LBB98_868
; %bb.867:
	v_div_scale_f64 v[217:218], null, v[204:205], v[204:205], v[202:203]
	v_div_scale_f64 v[223:224], vcc_lo, v[202:203], v[204:205], v[202:203]
	v_rcp_f64_e32 v[219:220], v[217:218]
	v_fma_f64 v[221:222], -v[217:218], v[219:220], 1.0
	v_fma_f64 v[219:220], v[219:220], v[221:222], v[219:220]
	v_fma_f64 v[221:222], -v[217:218], v[219:220], 1.0
	v_fma_f64 v[219:220], v[219:220], v[221:222], v[219:220]
	v_mul_f64 v[221:222], v[223:224], v[219:220]
	v_fma_f64 v[217:218], -v[217:218], v[221:222], v[223:224]
	v_div_fmas_f64 v[217:218], v[217:218], v[219:220], v[221:222]
	v_div_fixup_f64 v[217:218], v[217:218], v[204:205], v[202:203]
	v_fma_f64 v[202:203], v[202:203], v[217:218], v[204:205]
	v_div_scale_f64 v[204:205], null, v[202:203], v[202:203], 1.0
	v_rcp_f64_e32 v[219:220], v[204:205]
	v_fma_f64 v[221:222], -v[204:205], v[219:220], 1.0
	v_fma_f64 v[219:220], v[219:220], v[221:222], v[219:220]
	v_fma_f64 v[221:222], -v[204:205], v[219:220], 1.0
	v_fma_f64 v[219:220], v[219:220], v[221:222], v[219:220]
	v_div_scale_f64 v[221:222], vcc_lo, 1.0, v[202:203], 1.0
	v_mul_f64 v[223:224], v[221:222], v[219:220]
	v_fma_f64 v[204:205], -v[204:205], v[223:224], v[221:222]
	v_div_fmas_f64 v[204:205], v[204:205], v[219:220], v[223:224]
	v_div_fixup_f64 v[204:205], v[204:205], v[202:203], 1.0
	v_mul_f64 v[202:203], v[217:218], v[204:205]
	v_xor_b32_e32 v205, 0x80000000, v205
.LBB98_868:
	s_andn2_saveexec_b32 s7, s7
	s_cbranch_execz .LBB98_870
; %bb.869:
	v_div_scale_f64 v[217:218], null, v[202:203], v[202:203], v[204:205]
	v_div_scale_f64 v[223:224], vcc_lo, v[204:205], v[202:203], v[204:205]
	v_rcp_f64_e32 v[219:220], v[217:218]
	v_fma_f64 v[221:222], -v[217:218], v[219:220], 1.0
	v_fma_f64 v[219:220], v[219:220], v[221:222], v[219:220]
	v_fma_f64 v[221:222], -v[217:218], v[219:220], 1.0
	v_fma_f64 v[219:220], v[219:220], v[221:222], v[219:220]
	v_mul_f64 v[221:222], v[223:224], v[219:220]
	v_fma_f64 v[217:218], -v[217:218], v[221:222], v[223:224]
	v_div_fmas_f64 v[217:218], v[217:218], v[219:220], v[221:222]
	v_div_fixup_f64 v[217:218], v[217:218], v[202:203], v[204:205]
	v_fma_f64 v[202:203], v[204:205], v[217:218], v[202:203]
	v_div_scale_f64 v[204:205], null, v[202:203], v[202:203], 1.0
	v_rcp_f64_e32 v[219:220], v[204:205]
	v_fma_f64 v[221:222], -v[204:205], v[219:220], 1.0
	v_fma_f64 v[219:220], v[219:220], v[221:222], v[219:220]
	v_fma_f64 v[221:222], -v[204:205], v[219:220], 1.0
	v_fma_f64 v[219:220], v[219:220], v[221:222], v[219:220]
	v_div_scale_f64 v[221:222], vcc_lo, 1.0, v[202:203], 1.0
	v_mul_f64 v[223:224], v[221:222], v[219:220]
	v_fma_f64 v[204:205], -v[204:205], v[223:224], v[221:222]
	v_div_fmas_f64 v[204:205], v[204:205], v[219:220], v[223:224]
	v_div_fixup_f64 v[202:203], v[204:205], v[202:203], 1.0
	v_mul_f64 v[204:205], v[217:218], -v[202:203]
.LBB98_870:
	s_or_b32 exec_lo, exec_lo, s7
.LBB98_871:
	s_or_b32 exec_lo, exec_lo, s0
	s_mov_b32 s0, exec_lo
	v_cmpx_ne_u32_e64 v216, v210
	s_xor_b32 s0, exec_lo, s0
	s_cbranch_execz .LBB98_877
; %bb.872:
	s_mov_b32 s7, exec_lo
	v_cmpx_eq_u32_e32 41, v216
	s_cbranch_execz .LBB98_876
; %bb.873:
	v_cmp_ne_u32_e32 vcc_lo, 41, v210
	s_xor_b32 s8, s16, -1
	s_and_b32 s9, s8, vcc_lo
	s_and_saveexec_b32 s8, s9
	s_cbranch_execz .LBB98_875
; %bb.874:
	v_ashrrev_i32_e32 v211, 31, v210
	v_lshlrev_b64 v[216:217], 2, v[210:211]
	v_add_co_u32 v216, vcc_lo, v208, v216
	v_add_co_ci_u32_e64 v217, null, v209, v217, vcc_lo
	s_clause 0x1
	global_load_dword v0, v[216:217], off
	global_load_dword v211, v[208:209], off offset:164
	s_waitcnt vmcnt(1)
	global_store_dword v[208:209], v0, off offset:164
	s_waitcnt vmcnt(0)
	global_store_dword v[216:217], v211, off
.LBB98_875:
	s_or_b32 exec_lo, exec_lo, s8
	v_mov_b32_e32 v216, v210
	v_mov_b32_e32 v0, v210
.LBB98_876:
	s_or_b32 exec_lo, exec_lo, s7
.LBB98_877:
	s_andn2_saveexec_b32 s0, s0
	s_cbranch_execz .LBB98_879
; %bb.878:
	v_mov_b32_e32 v216, 41
	ds_write2_b64 v1, v[30:31], v[32:33] offset0:84 offset1:85
	ds_write2_b64 v1, v[26:27], v[28:29] offset0:86 offset1:87
	ds_write2_b64 v1, v[22:23], v[24:25] offset0:88 offset1:89
	ds_write2_b64 v1, v[18:19], v[20:21] offset0:90 offset1:91
	ds_write2_b64 v1, v[14:15], v[16:17] offset0:92 offset1:93
	ds_write2_b64 v1, v[10:11], v[12:13] offset0:94 offset1:95
	ds_write2_b64 v1, v[6:7], v[8:9] offset0:96 offset1:97
	ds_write2_b64 v1, v[2:3], v[4:5] offset0:98 offset1:99
.LBB98_879:
	s_or_b32 exec_lo, exec_lo, s0
	s_mov_b32 s0, exec_lo
	s_waitcnt lgkmcnt(0)
	s_waitcnt_vscnt null, 0x0
	s_barrier
	buffer_gl0_inv
	v_cmpx_lt_i32_e32 41, v216
	s_cbranch_execz .LBB98_881
; %bb.880:
	v_mul_f64 v[210:211], v[202:203], v[36:37]
	v_mul_f64 v[36:37], v[204:205], v[36:37]
	v_fma_f64 v[210:211], v[204:205], v[34:35], v[210:211]
	v_fma_f64 v[34:35], v[202:203], v[34:35], -v[36:37]
	ds_read2_b64 v[202:205], v1 offset0:84 offset1:85
	s_waitcnt lgkmcnt(0)
	v_mul_f64 v[36:37], v[204:205], v[210:211]
	v_fma_f64 v[36:37], v[202:203], v[34:35], -v[36:37]
	v_mul_f64 v[202:203], v[202:203], v[210:211]
	v_add_f64 v[30:31], v[30:31], -v[36:37]
	v_fma_f64 v[202:203], v[204:205], v[34:35], v[202:203]
	v_add_f64 v[32:33], v[32:33], -v[202:203]
	ds_read2_b64 v[202:205], v1 offset0:86 offset1:87
	s_waitcnt lgkmcnt(0)
	v_mul_f64 v[36:37], v[204:205], v[210:211]
	v_fma_f64 v[36:37], v[202:203], v[34:35], -v[36:37]
	v_mul_f64 v[202:203], v[202:203], v[210:211]
	v_add_f64 v[26:27], v[26:27], -v[36:37]
	v_fma_f64 v[202:203], v[204:205], v[34:35], v[202:203]
	v_add_f64 v[28:29], v[28:29], -v[202:203]
	;; [unrolled: 8-line block ×7, first 2 shown]
	ds_read2_b64 v[202:205], v1 offset0:98 offset1:99
	s_waitcnt lgkmcnt(0)
	v_mul_f64 v[36:37], v[204:205], v[210:211]
	v_fma_f64 v[36:37], v[202:203], v[34:35], -v[36:37]
	v_mul_f64 v[202:203], v[202:203], v[210:211]
	v_add_f64 v[2:3], v[2:3], -v[36:37]
	v_fma_f64 v[202:203], v[204:205], v[34:35], v[202:203]
	v_mov_b32_e32 v36, v210
	v_mov_b32_e32 v37, v211
	v_add_f64 v[4:5], v[4:5], -v[202:203]
.LBB98_881:
	s_or_b32 exec_lo, exec_lo, s0
	v_lshl_add_u32 v202, v216, 4, v1
	s_barrier
	buffer_gl0_inv
	v_mov_b32_e32 v210, 42
	ds_write2_b64 v202, v[30:31], v[32:33] offset1:1
	s_waitcnt lgkmcnt(0)
	s_barrier
	buffer_gl0_inv
	ds_read2_b64 v[202:205], v1 offset0:84 offset1:85
	s_cmp_lt_i32 s1, 44
	s_cbranch_scc1 .LBB98_884
; %bb.882:
	v_add3_u32 v211, v212, 0, 0x2b0
	v_mov_b32_e32 v210, 42
	s_mov_b32 s7, 43
	s_inst_prefetch 0x1
	.p2align	6
.LBB98_883:                             ; =>This Inner Loop Header: Depth=1
	s_waitcnt lgkmcnt(0)
	v_cmp_gt_f64_e32 vcc_lo, 0, v[204:205]
	v_cmp_gt_f64_e64 s0, 0, v[202:203]
	ds_read2_b64 v[217:220], v211 offset1:1
	v_xor_b32_e32 v222, 0x80000000, v203
	v_xor_b32_e32 v224, 0x80000000, v205
	v_mov_b32_e32 v221, v202
	v_mov_b32_e32 v223, v204
	v_add_nc_u32_e32 v211, 16, v211
	s_waitcnt lgkmcnt(0)
	v_xor_b32_e32 v226, 0x80000000, v220
	v_cndmask_b32_e64 v222, v203, v222, s0
	v_cndmask_b32_e32 v224, v205, v224, vcc_lo
	v_cmp_gt_f64_e32 vcc_lo, 0, v[219:220]
	v_cmp_gt_f64_e64 s0, 0, v[217:218]
	v_mov_b32_e32 v225, v219
	v_add_f64 v[221:222], v[221:222], v[223:224]
	v_xor_b32_e32 v224, 0x80000000, v218
	v_mov_b32_e32 v223, v217
	v_cndmask_b32_e32 v226, v220, v226, vcc_lo
	v_cndmask_b32_e64 v224, v218, v224, s0
	v_add_f64 v[223:224], v[223:224], v[225:226]
	v_cmp_lt_f64_e32 vcc_lo, v[221:222], v[223:224]
	v_cndmask_b32_e32 v203, v203, v218, vcc_lo
	v_cndmask_b32_e32 v202, v202, v217, vcc_lo
	;; [unrolled: 1-line block ×4, first 2 shown]
	v_cndmask_b32_e64 v210, v210, s7, vcc_lo
	s_add_i32 s7, s7, 1
	s_cmp_lg_u32 s1, s7
	s_cbranch_scc1 .LBB98_883
.LBB98_884:
	s_inst_prefetch 0x2
	s_waitcnt lgkmcnt(0)
	v_cmp_eq_f64_e32 vcc_lo, 0, v[202:203]
	v_cmp_eq_f64_e64 s0, 0, v[204:205]
	s_and_b32 s0, vcc_lo, s0
	s_and_saveexec_b32 s7, s0
	s_xor_b32 s0, exec_lo, s7
; %bb.885:
	v_cmp_ne_u32_e32 vcc_lo, 0, v215
	v_cndmask_b32_e32 v215, 43, v215, vcc_lo
; %bb.886:
	s_andn2_saveexec_b32 s0, s0
	s_cbranch_execz .LBB98_892
; %bb.887:
	v_cmp_ngt_f64_e64 s7, |v[202:203]|, |v[204:205]|
	s_and_saveexec_b32 s8, s7
	s_xor_b32 s7, exec_lo, s8
	s_cbranch_execz .LBB98_889
; %bb.888:
	v_div_scale_f64 v[217:218], null, v[204:205], v[204:205], v[202:203]
	v_div_scale_f64 v[223:224], vcc_lo, v[202:203], v[204:205], v[202:203]
	v_rcp_f64_e32 v[219:220], v[217:218]
	v_fma_f64 v[221:222], -v[217:218], v[219:220], 1.0
	v_fma_f64 v[219:220], v[219:220], v[221:222], v[219:220]
	v_fma_f64 v[221:222], -v[217:218], v[219:220], 1.0
	v_fma_f64 v[219:220], v[219:220], v[221:222], v[219:220]
	v_mul_f64 v[221:222], v[223:224], v[219:220]
	v_fma_f64 v[217:218], -v[217:218], v[221:222], v[223:224]
	v_div_fmas_f64 v[217:218], v[217:218], v[219:220], v[221:222]
	v_div_fixup_f64 v[217:218], v[217:218], v[204:205], v[202:203]
	v_fma_f64 v[202:203], v[202:203], v[217:218], v[204:205]
	v_div_scale_f64 v[204:205], null, v[202:203], v[202:203], 1.0
	v_rcp_f64_e32 v[219:220], v[204:205]
	v_fma_f64 v[221:222], -v[204:205], v[219:220], 1.0
	v_fma_f64 v[219:220], v[219:220], v[221:222], v[219:220]
	v_fma_f64 v[221:222], -v[204:205], v[219:220], 1.0
	v_fma_f64 v[219:220], v[219:220], v[221:222], v[219:220]
	v_div_scale_f64 v[221:222], vcc_lo, 1.0, v[202:203], 1.0
	v_mul_f64 v[223:224], v[221:222], v[219:220]
	v_fma_f64 v[204:205], -v[204:205], v[223:224], v[221:222]
	v_div_fmas_f64 v[204:205], v[204:205], v[219:220], v[223:224]
	v_div_fixup_f64 v[204:205], v[204:205], v[202:203], 1.0
	v_mul_f64 v[202:203], v[217:218], v[204:205]
	v_xor_b32_e32 v205, 0x80000000, v205
.LBB98_889:
	s_andn2_saveexec_b32 s7, s7
	s_cbranch_execz .LBB98_891
; %bb.890:
	v_div_scale_f64 v[217:218], null, v[202:203], v[202:203], v[204:205]
	v_div_scale_f64 v[223:224], vcc_lo, v[204:205], v[202:203], v[204:205]
	v_rcp_f64_e32 v[219:220], v[217:218]
	v_fma_f64 v[221:222], -v[217:218], v[219:220], 1.0
	v_fma_f64 v[219:220], v[219:220], v[221:222], v[219:220]
	v_fma_f64 v[221:222], -v[217:218], v[219:220], 1.0
	v_fma_f64 v[219:220], v[219:220], v[221:222], v[219:220]
	v_mul_f64 v[221:222], v[223:224], v[219:220]
	v_fma_f64 v[217:218], -v[217:218], v[221:222], v[223:224]
	v_div_fmas_f64 v[217:218], v[217:218], v[219:220], v[221:222]
	v_div_fixup_f64 v[217:218], v[217:218], v[202:203], v[204:205]
	v_fma_f64 v[202:203], v[204:205], v[217:218], v[202:203]
	v_div_scale_f64 v[204:205], null, v[202:203], v[202:203], 1.0
	v_rcp_f64_e32 v[219:220], v[204:205]
	v_fma_f64 v[221:222], -v[204:205], v[219:220], 1.0
	v_fma_f64 v[219:220], v[219:220], v[221:222], v[219:220]
	v_fma_f64 v[221:222], -v[204:205], v[219:220], 1.0
	v_fma_f64 v[219:220], v[219:220], v[221:222], v[219:220]
	v_div_scale_f64 v[221:222], vcc_lo, 1.0, v[202:203], 1.0
	v_mul_f64 v[223:224], v[221:222], v[219:220]
	v_fma_f64 v[204:205], -v[204:205], v[223:224], v[221:222]
	v_div_fmas_f64 v[204:205], v[204:205], v[219:220], v[223:224]
	v_div_fixup_f64 v[202:203], v[204:205], v[202:203], 1.0
	v_mul_f64 v[204:205], v[217:218], -v[202:203]
.LBB98_891:
	s_or_b32 exec_lo, exec_lo, s7
.LBB98_892:
	s_or_b32 exec_lo, exec_lo, s0
	s_mov_b32 s0, exec_lo
	v_cmpx_ne_u32_e64 v216, v210
	s_xor_b32 s0, exec_lo, s0
	s_cbranch_execz .LBB98_898
; %bb.893:
	s_mov_b32 s7, exec_lo
	v_cmpx_eq_u32_e32 42, v216
	s_cbranch_execz .LBB98_897
; %bb.894:
	v_cmp_ne_u32_e32 vcc_lo, 42, v210
	s_xor_b32 s8, s16, -1
	s_and_b32 s9, s8, vcc_lo
	s_and_saveexec_b32 s8, s9
	s_cbranch_execz .LBB98_896
; %bb.895:
	v_ashrrev_i32_e32 v211, 31, v210
	v_lshlrev_b64 v[216:217], 2, v[210:211]
	v_add_co_u32 v216, vcc_lo, v208, v216
	v_add_co_ci_u32_e64 v217, null, v209, v217, vcc_lo
	s_clause 0x1
	global_load_dword v0, v[216:217], off
	global_load_dword v211, v[208:209], off offset:168
	s_waitcnt vmcnt(1)
	global_store_dword v[208:209], v0, off offset:168
	s_waitcnt vmcnt(0)
	global_store_dword v[216:217], v211, off
.LBB98_896:
	s_or_b32 exec_lo, exec_lo, s8
	v_mov_b32_e32 v216, v210
	v_mov_b32_e32 v0, v210
.LBB98_897:
	s_or_b32 exec_lo, exec_lo, s7
.LBB98_898:
	s_andn2_saveexec_b32 s0, s0
	s_cbranch_execz .LBB98_900
; %bb.899:
	v_mov_b32_e32 v216, 42
	ds_write2_b64 v1, v[26:27], v[28:29] offset0:86 offset1:87
	ds_write2_b64 v1, v[22:23], v[24:25] offset0:88 offset1:89
	;; [unrolled: 1-line block ×7, first 2 shown]
.LBB98_900:
	s_or_b32 exec_lo, exec_lo, s0
	s_mov_b32 s0, exec_lo
	s_waitcnt lgkmcnt(0)
	s_waitcnt_vscnt null, 0x0
	s_barrier
	buffer_gl0_inv
	v_cmpx_lt_i32_e32 42, v216
	s_cbranch_execz .LBB98_902
; %bb.901:
	v_mul_f64 v[210:211], v[202:203], v[32:33]
	v_mul_f64 v[32:33], v[204:205], v[32:33]
	v_fma_f64 v[210:211], v[204:205], v[30:31], v[210:211]
	v_fma_f64 v[30:31], v[202:203], v[30:31], -v[32:33]
	ds_read2_b64 v[202:205], v1 offset0:86 offset1:87
	s_waitcnt lgkmcnt(0)
	v_mul_f64 v[32:33], v[204:205], v[210:211]
	v_fma_f64 v[32:33], v[202:203], v[30:31], -v[32:33]
	v_mul_f64 v[202:203], v[202:203], v[210:211]
	v_add_f64 v[26:27], v[26:27], -v[32:33]
	v_fma_f64 v[202:203], v[204:205], v[30:31], v[202:203]
	v_add_f64 v[28:29], v[28:29], -v[202:203]
	ds_read2_b64 v[202:205], v1 offset0:88 offset1:89
	s_waitcnt lgkmcnt(0)
	v_mul_f64 v[32:33], v[204:205], v[210:211]
	v_fma_f64 v[32:33], v[202:203], v[30:31], -v[32:33]
	v_mul_f64 v[202:203], v[202:203], v[210:211]
	v_add_f64 v[22:23], v[22:23], -v[32:33]
	v_fma_f64 v[202:203], v[204:205], v[30:31], v[202:203]
	v_add_f64 v[24:25], v[24:25], -v[202:203]
	ds_read2_b64 v[202:205], v1 offset0:90 offset1:91
	s_waitcnt lgkmcnt(0)
	v_mul_f64 v[32:33], v[204:205], v[210:211]
	v_fma_f64 v[32:33], v[202:203], v[30:31], -v[32:33]
	v_mul_f64 v[202:203], v[202:203], v[210:211]
	v_add_f64 v[18:19], v[18:19], -v[32:33]
	v_fma_f64 v[202:203], v[204:205], v[30:31], v[202:203]
	v_add_f64 v[20:21], v[20:21], -v[202:203]
	ds_read2_b64 v[202:205], v1 offset0:92 offset1:93
	s_waitcnt lgkmcnt(0)
	v_mul_f64 v[32:33], v[204:205], v[210:211]
	v_fma_f64 v[32:33], v[202:203], v[30:31], -v[32:33]
	v_mul_f64 v[202:203], v[202:203], v[210:211]
	v_add_f64 v[14:15], v[14:15], -v[32:33]
	v_fma_f64 v[202:203], v[204:205], v[30:31], v[202:203]
	v_add_f64 v[16:17], v[16:17], -v[202:203]
	ds_read2_b64 v[202:205], v1 offset0:94 offset1:95
	s_waitcnt lgkmcnt(0)
	v_mul_f64 v[32:33], v[204:205], v[210:211]
	v_fma_f64 v[32:33], v[202:203], v[30:31], -v[32:33]
	v_mul_f64 v[202:203], v[202:203], v[210:211]
	v_add_f64 v[10:11], v[10:11], -v[32:33]
	v_fma_f64 v[202:203], v[204:205], v[30:31], v[202:203]
	v_add_f64 v[12:13], v[12:13], -v[202:203]
	ds_read2_b64 v[202:205], v1 offset0:96 offset1:97
	s_waitcnt lgkmcnt(0)
	v_mul_f64 v[32:33], v[204:205], v[210:211]
	v_fma_f64 v[32:33], v[202:203], v[30:31], -v[32:33]
	v_mul_f64 v[202:203], v[202:203], v[210:211]
	v_add_f64 v[6:7], v[6:7], -v[32:33]
	v_fma_f64 v[202:203], v[204:205], v[30:31], v[202:203]
	v_add_f64 v[8:9], v[8:9], -v[202:203]
	ds_read2_b64 v[202:205], v1 offset0:98 offset1:99
	s_waitcnt lgkmcnt(0)
	v_mul_f64 v[32:33], v[204:205], v[210:211]
	v_fma_f64 v[32:33], v[202:203], v[30:31], -v[32:33]
	v_mul_f64 v[202:203], v[202:203], v[210:211]
	v_add_f64 v[2:3], v[2:3], -v[32:33]
	v_fma_f64 v[202:203], v[204:205], v[30:31], v[202:203]
	v_mov_b32_e32 v32, v210
	v_mov_b32_e32 v33, v211
	v_add_f64 v[4:5], v[4:5], -v[202:203]
.LBB98_902:
	s_or_b32 exec_lo, exec_lo, s0
	v_lshl_add_u32 v202, v216, 4, v1
	s_barrier
	buffer_gl0_inv
	v_mov_b32_e32 v210, 43
	ds_write2_b64 v202, v[26:27], v[28:29] offset1:1
	s_waitcnt lgkmcnt(0)
	s_barrier
	buffer_gl0_inv
	ds_read2_b64 v[202:205], v1 offset0:86 offset1:87
	s_cmp_lt_i32 s1, 45
	s_cbranch_scc1 .LBB98_905
; %bb.903:
	v_add3_u32 v211, v212, 0, 0x2c0
	v_mov_b32_e32 v210, 43
	s_mov_b32 s7, 44
	s_inst_prefetch 0x1
	.p2align	6
.LBB98_904:                             ; =>This Inner Loop Header: Depth=1
	s_waitcnt lgkmcnt(0)
	v_cmp_gt_f64_e32 vcc_lo, 0, v[204:205]
	v_cmp_gt_f64_e64 s0, 0, v[202:203]
	ds_read2_b64 v[217:220], v211 offset1:1
	v_xor_b32_e32 v222, 0x80000000, v203
	v_xor_b32_e32 v224, 0x80000000, v205
	v_mov_b32_e32 v221, v202
	v_mov_b32_e32 v223, v204
	v_add_nc_u32_e32 v211, 16, v211
	s_waitcnt lgkmcnt(0)
	v_xor_b32_e32 v226, 0x80000000, v220
	v_cndmask_b32_e64 v222, v203, v222, s0
	v_cndmask_b32_e32 v224, v205, v224, vcc_lo
	v_cmp_gt_f64_e32 vcc_lo, 0, v[219:220]
	v_cmp_gt_f64_e64 s0, 0, v[217:218]
	v_mov_b32_e32 v225, v219
	v_add_f64 v[221:222], v[221:222], v[223:224]
	v_xor_b32_e32 v224, 0x80000000, v218
	v_mov_b32_e32 v223, v217
	v_cndmask_b32_e32 v226, v220, v226, vcc_lo
	v_cndmask_b32_e64 v224, v218, v224, s0
	v_add_f64 v[223:224], v[223:224], v[225:226]
	v_cmp_lt_f64_e32 vcc_lo, v[221:222], v[223:224]
	v_cndmask_b32_e32 v203, v203, v218, vcc_lo
	v_cndmask_b32_e32 v202, v202, v217, vcc_lo
	;; [unrolled: 1-line block ×4, first 2 shown]
	v_cndmask_b32_e64 v210, v210, s7, vcc_lo
	s_add_i32 s7, s7, 1
	s_cmp_lg_u32 s1, s7
	s_cbranch_scc1 .LBB98_904
.LBB98_905:
	s_inst_prefetch 0x2
	s_waitcnt lgkmcnt(0)
	v_cmp_eq_f64_e32 vcc_lo, 0, v[202:203]
	v_cmp_eq_f64_e64 s0, 0, v[204:205]
	s_and_b32 s0, vcc_lo, s0
	s_and_saveexec_b32 s7, s0
	s_xor_b32 s0, exec_lo, s7
; %bb.906:
	v_cmp_ne_u32_e32 vcc_lo, 0, v215
	v_cndmask_b32_e32 v215, 44, v215, vcc_lo
; %bb.907:
	s_andn2_saveexec_b32 s0, s0
	s_cbranch_execz .LBB98_913
; %bb.908:
	v_cmp_ngt_f64_e64 s7, |v[202:203]|, |v[204:205]|
	s_and_saveexec_b32 s8, s7
	s_xor_b32 s7, exec_lo, s8
	s_cbranch_execz .LBB98_910
; %bb.909:
	v_div_scale_f64 v[217:218], null, v[204:205], v[204:205], v[202:203]
	v_div_scale_f64 v[223:224], vcc_lo, v[202:203], v[204:205], v[202:203]
	v_rcp_f64_e32 v[219:220], v[217:218]
	v_fma_f64 v[221:222], -v[217:218], v[219:220], 1.0
	v_fma_f64 v[219:220], v[219:220], v[221:222], v[219:220]
	v_fma_f64 v[221:222], -v[217:218], v[219:220], 1.0
	v_fma_f64 v[219:220], v[219:220], v[221:222], v[219:220]
	v_mul_f64 v[221:222], v[223:224], v[219:220]
	v_fma_f64 v[217:218], -v[217:218], v[221:222], v[223:224]
	v_div_fmas_f64 v[217:218], v[217:218], v[219:220], v[221:222]
	v_div_fixup_f64 v[217:218], v[217:218], v[204:205], v[202:203]
	v_fma_f64 v[202:203], v[202:203], v[217:218], v[204:205]
	v_div_scale_f64 v[204:205], null, v[202:203], v[202:203], 1.0
	v_rcp_f64_e32 v[219:220], v[204:205]
	v_fma_f64 v[221:222], -v[204:205], v[219:220], 1.0
	v_fma_f64 v[219:220], v[219:220], v[221:222], v[219:220]
	v_fma_f64 v[221:222], -v[204:205], v[219:220], 1.0
	v_fma_f64 v[219:220], v[219:220], v[221:222], v[219:220]
	v_div_scale_f64 v[221:222], vcc_lo, 1.0, v[202:203], 1.0
	v_mul_f64 v[223:224], v[221:222], v[219:220]
	v_fma_f64 v[204:205], -v[204:205], v[223:224], v[221:222]
	v_div_fmas_f64 v[204:205], v[204:205], v[219:220], v[223:224]
	v_div_fixup_f64 v[204:205], v[204:205], v[202:203], 1.0
	v_mul_f64 v[202:203], v[217:218], v[204:205]
	v_xor_b32_e32 v205, 0x80000000, v205
.LBB98_910:
	s_andn2_saveexec_b32 s7, s7
	s_cbranch_execz .LBB98_912
; %bb.911:
	v_div_scale_f64 v[217:218], null, v[202:203], v[202:203], v[204:205]
	v_div_scale_f64 v[223:224], vcc_lo, v[204:205], v[202:203], v[204:205]
	v_rcp_f64_e32 v[219:220], v[217:218]
	v_fma_f64 v[221:222], -v[217:218], v[219:220], 1.0
	v_fma_f64 v[219:220], v[219:220], v[221:222], v[219:220]
	v_fma_f64 v[221:222], -v[217:218], v[219:220], 1.0
	v_fma_f64 v[219:220], v[219:220], v[221:222], v[219:220]
	v_mul_f64 v[221:222], v[223:224], v[219:220]
	v_fma_f64 v[217:218], -v[217:218], v[221:222], v[223:224]
	v_div_fmas_f64 v[217:218], v[217:218], v[219:220], v[221:222]
	v_div_fixup_f64 v[217:218], v[217:218], v[202:203], v[204:205]
	v_fma_f64 v[202:203], v[204:205], v[217:218], v[202:203]
	v_div_scale_f64 v[204:205], null, v[202:203], v[202:203], 1.0
	v_rcp_f64_e32 v[219:220], v[204:205]
	v_fma_f64 v[221:222], -v[204:205], v[219:220], 1.0
	v_fma_f64 v[219:220], v[219:220], v[221:222], v[219:220]
	v_fma_f64 v[221:222], -v[204:205], v[219:220], 1.0
	v_fma_f64 v[219:220], v[219:220], v[221:222], v[219:220]
	v_div_scale_f64 v[221:222], vcc_lo, 1.0, v[202:203], 1.0
	v_mul_f64 v[223:224], v[221:222], v[219:220]
	v_fma_f64 v[204:205], -v[204:205], v[223:224], v[221:222]
	v_div_fmas_f64 v[204:205], v[204:205], v[219:220], v[223:224]
	v_div_fixup_f64 v[202:203], v[204:205], v[202:203], 1.0
	v_mul_f64 v[204:205], v[217:218], -v[202:203]
.LBB98_912:
	s_or_b32 exec_lo, exec_lo, s7
.LBB98_913:
	s_or_b32 exec_lo, exec_lo, s0
	s_mov_b32 s0, exec_lo
	v_cmpx_ne_u32_e64 v216, v210
	s_xor_b32 s0, exec_lo, s0
	s_cbranch_execz .LBB98_919
; %bb.914:
	s_mov_b32 s7, exec_lo
	v_cmpx_eq_u32_e32 43, v216
	s_cbranch_execz .LBB98_918
; %bb.915:
	v_cmp_ne_u32_e32 vcc_lo, 43, v210
	s_xor_b32 s8, s16, -1
	s_and_b32 s9, s8, vcc_lo
	s_and_saveexec_b32 s8, s9
	s_cbranch_execz .LBB98_917
; %bb.916:
	v_ashrrev_i32_e32 v211, 31, v210
	v_lshlrev_b64 v[216:217], 2, v[210:211]
	v_add_co_u32 v216, vcc_lo, v208, v216
	v_add_co_ci_u32_e64 v217, null, v209, v217, vcc_lo
	s_clause 0x1
	global_load_dword v0, v[216:217], off
	global_load_dword v211, v[208:209], off offset:172
	s_waitcnt vmcnt(1)
	global_store_dword v[208:209], v0, off offset:172
	s_waitcnt vmcnt(0)
	global_store_dword v[216:217], v211, off
.LBB98_917:
	s_or_b32 exec_lo, exec_lo, s8
	v_mov_b32_e32 v216, v210
	v_mov_b32_e32 v0, v210
.LBB98_918:
	s_or_b32 exec_lo, exec_lo, s7
.LBB98_919:
	s_andn2_saveexec_b32 s0, s0
	s_cbranch_execz .LBB98_921
; %bb.920:
	v_mov_b32_e32 v216, 43
	ds_write2_b64 v1, v[22:23], v[24:25] offset0:88 offset1:89
	ds_write2_b64 v1, v[18:19], v[20:21] offset0:90 offset1:91
	;; [unrolled: 1-line block ×6, first 2 shown]
.LBB98_921:
	s_or_b32 exec_lo, exec_lo, s0
	s_mov_b32 s0, exec_lo
	s_waitcnt lgkmcnt(0)
	s_waitcnt_vscnt null, 0x0
	s_barrier
	buffer_gl0_inv
	v_cmpx_lt_i32_e32 43, v216
	s_cbranch_execz .LBB98_923
; %bb.922:
	v_mul_f64 v[210:211], v[202:203], v[28:29]
	v_mul_f64 v[28:29], v[204:205], v[28:29]
	v_fma_f64 v[210:211], v[204:205], v[26:27], v[210:211]
	v_fma_f64 v[26:27], v[202:203], v[26:27], -v[28:29]
	ds_read2_b64 v[202:205], v1 offset0:88 offset1:89
	s_waitcnt lgkmcnt(0)
	v_mul_f64 v[28:29], v[204:205], v[210:211]
	v_fma_f64 v[28:29], v[202:203], v[26:27], -v[28:29]
	v_mul_f64 v[202:203], v[202:203], v[210:211]
	v_add_f64 v[22:23], v[22:23], -v[28:29]
	v_fma_f64 v[202:203], v[204:205], v[26:27], v[202:203]
	v_add_f64 v[24:25], v[24:25], -v[202:203]
	ds_read2_b64 v[202:205], v1 offset0:90 offset1:91
	s_waitcnt lgkmcnt(0)
	v_mul_f64 v[28:29], v[204:205], v[210:211]
	v_fma_f64 v[28:29], v[202:203], v[26:27], -v[28:29]
	v_mul_f64 v[202:203], v[202:203], v[210:211]
	v_add_f64 v[18:19], v[18:19], -v[28:29]
	v_fma_f64 v[202:203], v[204:205], v[26:27], v[202:203]
	v_add_f64 v[20:21], v[20:21], -v[202:203]
	;; [unrolled: 8-line block ×5, first 2 shown]
	ds_read2_b64 v[202:205], v1 offset0:98 offset1:99
	s_waitcnt lgkmcnt(0)
	v_mul_f64 v[28:29], v[204:205], v[210:211]
	v_fma_f64 v[28:29], v[202:203], v[26:27], -v[28:29]
	v_mul_f64 v[202:203], v[202:203], v[210:211]
	v_add_f64 v[2:3], v[2:3], -v[28:29]
	v_fma_f64 v[202:203], v[204:205], v[26:27], v[202:203]
	v_mov_b32_e32 v28, v210
	v_mov_b32_e32 v29, v211
	v_add_f64 v[4:5], v[4:5], -v[202:203]
.LBB98_923:
	s_or_b32 exec_lo, exec_lo, s0
	v_lshl_add_u32 v202, v216, 4, v1
	s_barrier
	buffer_gl0_inv
	v_mov_b32_e32 v210, 44
	ds_write2_b64 v202, v[22:23], v[24:25] offset1:1
	s_waitcnt lgkmcnt(0)
	s_barrier
	buffer_gl0_inv
	ds_read2_b64 v[202:205], v1 offset0:88 offset1:89
	s_cmp_lt_i32 s1, 46
	s_cbranch_scc1 .LBB98_926
; %bb.924:
	v_add3_u32 v211, v212, 0, 0x2d0
	v_mov_b32_e32 v210, 44
	s_mov_b32 s7, 45
	s_inst_prefetch 0x1
	.p2align	6
.LBB98_925:                             ; =>This Inner Loop Header: Depth=1
	s_waitcnt lgkmcnt(0)
	v_cmp_gt_f64_e32 vcc_lo, 0, v[204:205]
	v_cmp_gt_f64_e64 s0, 0, v[202:203]
	ds_read2_b64 v[217:220], v211 offset1:1
	v_xor_b32_e32 v222, 0x80000000, v203
	v_xor_b32_e32 v224, 0x80000000, v205
	v_mov_b32_e32 v221, v202
	v_mov_b32_e32 v223, v204
	v_add_nc_u32_e32 v211, 16, v211
	s_waitcnt lgkmcnt(0)
	v_xor_b32_e32 v226, 0x80000000, v220
	v_cndmask_b32_e64 v222, v203, v222, s0
	v_cndmask_b32_e32 v224, v205, v224, vcc_lo
	v_cmp_gt_f64_e32 vcc_lo, 0, v[219:220]
	v_cmp_gt_f64_e64 s0, 0, v[217:218]
	v_mov_b32_e32 v225, v219
	v_add_f64 v[221:222], v[221:222], v[223:224]
	v_xor_b32_e32 v224, 0x80000000, v218
	v_mov_b32_e32 v223, v217
	v_cndmask_b32_e32 v226, v220, v226, vcc_lo
	v_cndmask_b32_e64 v224, v218, v224, s0
	v_add_f64 v[223:224], v[223:224], v[225:226]
	v_cmp_lt_f64_e32 vcc_lo, v[221:222], v[223:224]
	v_cndmask_b32_e32 v203, v203, v218, vcc_lo
	v_cndmask_b32_e32 v202, v202, v217, vcc_lo
	;; [unrolled: 1-line block ×4, first 2 shown]
	v_cndmask_b32_e64 v210, v210, s7, vcc_lo
	s_add_i32 s7, s7, 1
	s_cmp_lg_u32 s1, s7
	s_cbranch_scc1 .LBB98_925
.LBB98_926:
	s_inst_prefetch 0x2
	s_waitcnt lgkmcnt(0)
	v_cmp_eq_f64_e32 vcc_lo, 0, v[202:203]
	v_cmp_eq_f64_e64 s0, 0, v[204:205]
	s_and_b32 s0, vcc_lo, s0
	s_and_saveexec_b32 s7, s0
	s_xor_b32 s0, exec_lo, s7
; %bb.927:
	v_cmp_ne_u32_e32 vcc_lo, 0, v215
	v_cndmask_b32_e32 v215, 45, v215, vcc_lo
; %bb.928:
	s_andn2_saveexec_b32 s0, s0
	s_cbranch_execz .LBB98_934
; %bb.929:
	v_cmp_ngt_f64_e64 s7, |v[202:203]|, |v[204:205]|
	s_and_saveexec_b32 s8, s7
	s_xor_b32 s7, exec_lo, s8
	s_cbranch_execz .LBB98_931
; %bb.930:
	v_div_scale_f64 v[217:218], null, v[204:205], v[204:205], v[202:203]
	v_div_scale_f64 v[223:224], vcc_lo, v[202:203], v[204:205], v[202:203]
	v_rcp_f64_e32 v[219:220], v[217:218]
	v_fma_f64 v[221:222], -v[217:218], v[219:220], 1.0
	v_fma_f64 v[219:220], v[219:220], v[221:222], v[219:220]
	v_fma_f64 v[221:222], -v[217:218], v[219:220], 1.0
	v_fma_f64 v[219:220], v[219:220], v[221:222], v[219:220]
	v_mul_f64 v[221:222], v[223:224], v[219:220]
	v_fma_f64 v[217:218], -v[217:218], v[221:222], v[223:224]
	v_div_fmas_f64 v[217:218], v[217:218], v[219:220], v[221:222]
	v_div_fixup_f64 v[217:218], v[217:218], v[204:205], v[202:203]
	v_fma_f64 v[202:203], v[202:203], v[217:218], v[204:205]
	v_div_scale_f64 v[204:205], null, v[202:203], v[202:203], 1.0
	v_rcp_f64_e32 v[219:220], v[204:205]
	v_fma_f64 v[221:222], -v[204:205], v[219:220], 1.0
	v_fma_f64 v[219:220], v[219:220], v[221:222], v[219:220]
	v_fma_f64 v[221:222], -v[204:205], v[219:220], 1.0
	v_fma_f64 v[219:220], v[219:220], v[221:222], v[219:220]
	v_div_scale_f64 v[221:222], vcc_lo, 1.0, v[202:203], 1.0
	v_mul_f64 v[223:224], v[221:222], v[219:220]
	v_fma_f64 v[204:205], -v[204:205], v[223:224], v[221:222]
	v_div_fmas_f64 v[204:205], v[204:205], v[219:220], v[223:224]
	v_div_fixup_f64 v[204:205], v[204:205], v[202:203], 1.0
	v_mul_f64 v[202:203], v[217:218], v[204:205]
	v_xor_b32_e32 v205, 0x80000000, v205
.LBB98_931:
	s_andn2_saveexec_b32 s7, s7
	s_cbranch_execz .LBB98_933
; %bb.932:
	v_div_scale_f64 v[217:218], null, v[202:203], v[202:203], v[204:205]
	v_div_scale_f64 v[223:224], vcc_lo, v[204:205], v[202:203], v[204:205]
	v_rcp_f64_e32 v[219:220], v[217:218]
	v_fma_f64 v[221:222], -v[217:218], v[219:220], 1.0
	v_fma_f64 v[219:220], v[219:220], v[221:222], v[219:220]
	v_fma_f64 v[221:222], -v[217:218], v[219:220], 1.0
	v_fma_f64 v[219:220], v[219:220], v[221:222], v[219:220]
	v_mul_f64 v[221:222], v[223:224], v[219:220]
	v_fma_f64 v[217:218], -v[217:218], v[221:222], v[223:224]
	v_div_fmas_f64 v[217:218], v[217:218], v[219:220], v[221:222]
	v_div_fixup_f64 v[217:218], v[217:218], v[202:203], v[204:205]
	v_fma_f64 v[202:203], v[204:205], v[217:218], v[202:203]
	v_div_scale_f64 v[204:205], null, v[202:203], v[202:203], 1.0
	v_rcp_f64_e32 v[219:220], v[204:205]
	v_fma_f64 v[221:222], -v[204:205], v[219:220], 1.0
	v_fma_f64 v[219:220], v[219:220], v[221:222], v[219:220]
	v_fma_f64 v[221:222], -v[204:205], v[219:220], 1.0
	v_fma_f64 v[219:220], v[219:220], v[221:222], v[219:220]
	v_div_scale_f64 v[221:222], vcc_lo, 1.0, v[202:203], 1.0
	v_mul_f64 v[223:224], v[221:222], v[219:220]
	v_fma_f64 v[204:205], -v[204:205], v[223:224], v[221:222]
	v_div_fmas_f64 v[204:205], v[204:205], v[219:220], v[223:224]
	v_div_fixup_f64 v[202:203], v[204:205], v[202:203], 1.0
	v_mul_f64 v[204:205], v[217:218], -v[202:203]
.LBB98_933:
	s_or_b32 exec_lo, exec_lo, s7
.LBB98_934:
	s_or_b32 exec_lo, exec_lo, s0
	s_mov_b32 s0, exec_lo
	v_cmpx_ne_u32_e64 v216, v210
	s_xor_b32 s0, exec_lo, s0
	s_cbranch_execz .LBB98_940
; %bb.935:
	s_mov_b32 s7, exec_lo
	v_cmpx_eq_u32_e32 44, v216
	s_cbranch_execz .LBB98_939
; %bb.936:
	v_cmp_ne_u32_e32 vcc_lo, 44, v210
	s_xor_b32 s8, s16, -1
	s_and_b32 s9, s8, vcc_lo
	s_and_saveexec_b32 s8, s9
	s_cbranch_execz .LBB98_938
; %bb.937:
	v_ashrrev_i32_e32 v211, 31, v210
	v_lshlrev_b64 v[216:217], 2, v[210:211]
	v_add_co_u32 v216, vcc_lo, v208, v216
	v_add_co_ci_u32_e64 v217, null, v209, v217, vcc_lo
	s_clause 0x1
	global_load_dword v0, v[216:217], off
	global_load_dword v211, v[208:209], off offset:176
	s_waitcnt vmcnt(1)
	global_store_dword v[208:209], v0, off offset:176
	s_waitcnt vmcnt(0)
	global_store_dword v[216:217], v211, off
.LBB98_938:
	s_or_b32 exec_lo, exec_lo, s8
	v_mov_b32_e32 v216, v210
	v_mov_b32_e32 v0, v210
.LBB98_939:
	s_or_b32 exec_lo, exec_lo, s7
.LBB98_940:
	s_andn2_saveexec_b32 s0, s0
	s_cbranch_execz .LBB98_942
; %bb.941:
	v_mov_b32_e32 v216, 44
	ds_write2_b64 v1, v[18:19], v[20:21] offset0:90 offset1:91
	ds_write2_b64 v1, v[14:15], v[16:17] offset0:92 offset1:93
	;; [unrolled: 1-line block ×5, first 2 shown]
.LBB98_942:
	s_or_b32 exec_lo, exec_lo, s0
	s_mov_b32 s0, exec_lo
	s_waitcnt lgkmcnt(0)
	s_waitcnt_vscnt null, 0x0
	s_barrier
	buffer_gl0_inv
	v_cmpx_lt_i32_e32 44, v216
	s_cbranch_execz .LBB98_944
; %bb.943:
	v_mul_f64 v[210:211], v[202:203], v[24:25]
	v_mul_f64 v[24:25], v[204:205], v[24:25]
	ds_read2_b64 v[217:220], v1 offset0:90 offset1:91
	ds_read2_b64 v[221:224], v1 offset0:92 offset1:93
	ds_read2_b64 v[225:228], v1 offset0:94 offset1:95
	ds_read2_b64 v[229:232], v1 offset0:96 offset1:97
	ds_read2_b64 v[233:236], v1 offset0:98 offset1:99
	v_fma_f64 v[204:205], v[204:205], v[22:23], v[210:211]
	v_fma_f64 v[22:23], v[202:203], v[22:23], -v[24:25]
	s_waitcnt lgkmcnt(4)
	v_mul_f64 v[24:25], v[219:220], v[204:205]
	v_mul_f64 v[202:203], v[217:218], v[204:205]
	s_waitcnt lgkmcnt(3)
	v_mul_f64 v[210:211], v[223:224], v[204:205]
	v_mul_f64 v[237:238], v[221:222], v[204:205]
	s_waitcnt lgkmcnt(2)
	v_mul_f64 v[239:240], v[227:228], v[204:205]
	v_mul_f64 v[241:242], v[225:226], v[204:205]
	s_waitcnt lgkmcnt(1)
	v_mul_f64 v[243:244], v[231:232], v[204:205]
	v_mul_f64 v[245:246], v[229:230], v[204:205]
	s_waitcnt lgkmcnt(0)
	v_mul_f64 v[247:248], v[235:236], v[204:205]
	v_mul_f64 v[249:250], v[233:234], v[204:205]
	v_fma_f64 v[24:25], v[217:218], v[22:23], -v[24:25]
	v_fma_f64 v[202:203], v[219:220], v[22:23], v[202:203]
	v_fma_f64 v[210:211], v[221:222], v[22:23], -v[210:211]
	v_fma_f64 v[217:218], v[223:224], v[22:23], v[237:238]
	;; [unrolled: 2-line block ×5, first 2 shown]
	v_add_f64 v[18:19], v[18:19], -v[24:25]
	v_add_f64 v[20:21], v[20:21], -v[202:203]
	;; [unrolled: 1-line block ×10, first 2 shown]
	v_mov_b32_e32 v24, v204
	v_mov_b32_e32 v25, v205
.LBB98_944:
	s_or_b32 exec_lo, exec_lo, s0
	v_lshl_add_u32 v202, v216, 4, v1
	s_barrier
	buffer_gl0_inv
	v_mov_b32_e32 v210, 45
	ds_write2_b64 v202, v[18:19], v[20:21] offset1:1
	s_waitcnt lgkmcnt(0)
	s_barrier
	buffer_gl0_inv
	ds_read2_b64 v[202:205], v1 offset0:90 offset1:91
	s_cmp_lt_i32 s1, 47
	s_cbranch_scc1 .LBB98_947
; %bb.945:
	v_add3_u32 v211, v212, 0, 0x2e0
	v_mov_b32_e32 v210, 45
	s_mov_b32 s7, 46
	s_inst_prefetch 0x1
	.p2align	6
.LBB98_946:                             ; =>This Inner Loop Header: Depth=1
	s_waitcnt lgkmcnt(0)
	v_cmp_gt_f64_e32 vcc_lo, 0, v[204:205]
	v_cmp_gt_f64_e64 s0, 0, v[202:203]
	ds_read2_b64 v[217:220], v211 offset1:1
	v_xor_b32_e32 v222, 0x80000000, v203
	v_xor_b32_e32 v224, 0x80000000, v205
	v_mov_b32_e32 v221, v202
	v_mov_b32_e32 v223, v204
	v_add_nc_u32_e32 v211, 16, v211
	s_waitcnt lgkmcnt(0)
	v_xor_b32_e32 v226, 0x80000000, v220
	v_cndmask_b32_e64 v222, v203, v222, s0
	v_cndmask_b32_e32 v224, v205, v224, vcc_lo
	v_cmp_gt_f64_e32 vcc_lo, 0, v[219:220]
	v_cmp_gt_f64_e64 s0, 0, v[217:218]
	v_mov_b32_e32 v225, v219
	v_add_f64 v[221:222], v[221:222], v[223:224]
	v_xor_b32_e32 v224, 0x80000000, v218
	v_mov_b32_e32 v223, v217
	v_cndmask_b32_e32 v226, v220, v226, vcc_lo
	v_cndmask_b32_e64 v224, v218, v224, s0
	v_add_f64 v[223:224], v[223:224], v[225:226]
	v_cmp_lt_f64_e32 vcc_lo, v[221:222], v[223:224]
	v_cndmask_b32_e32 v203, v203, v218, vcc_lo
	v_cndmask_b32_e32 v202, v202, v217, vcc_lo
	;; [unrolled: 1-line block ×4, first 2 shown]
	v_cndmask_b32_e64 v210, v210, s7, vcc_lo
	s_add_i32 s7, s7, 1
	s_cmp_lg_u32 s1, s7
	s_cbranch_scc1 .LBB98_946
.LBB98_947:
	s_inst_prefetch 0x2
	s_waitcnt lgkmcnt(0)
	v_cmp_eq_f64_e32 vcc_lo, 0, v[202:203]
	v_cmp_eq_f64_e64 s0, 0, v[204:205]
	s_and_b32 s0, vcc_lo, s0
	s_and_saveexec_b32 s7, s0
	s_xor_b32 s0, exec_lo, s7
; %bb.948:
	v_cmp_ne_u32_e32 vcc_lo, 0, v215
	v_cndmask_b32_e32 v215, 46, v215, vcc_lo
; %bb.949:
	s_andn2_saveexec_b32 s0, s0
	s_cbranch_execz .LBB98_955
; %bb.950:
	v_cmp_ngt_f64_e64 s7, |v[202:203]|, |v[204:205]|
	s_and_saveexec_b32 s8, s7
	s_xor_b32 s7, exec_lo, s8
	s_cbranch_execz .LBB98_952
; %bb.951:
	v_div_scale_f64 v[217:218], null, v[204:205], v[204:205], v[202:203]
	v_div_scale_f64 v[223:224], vcc_lo, v[202:203], v[204:205], v[202:203]
	v_rcp_f64_e32 v[219:220], v[217:218]
	v_fma_f64 v[221:222], -v[217:218], v[219:220], 1.0
	v_fma_f64 v[219:220], v[219:220], v[221:222], v[219:220]
	v_fma_f64 v[221:222], -v[217:218], v[219:220], 1.0
	v_fma_f64 v[219:220], v[219:220], v[221:222], v[219:220]
	v_mul_f64 v[221:222], v[223:224], v[219:220]
	v_fma_f64 v[217:218], -v[217:218], v[221:222], v[223:224]
	v_div_fmas_f64 v[217:218], v[217:218], v[219:220], v[221:222]
	v_div_fixup_f64 v[217:218], v[217:218], v[204:205], v[202:203]
	v_fma_f64 v[202:203], v[202:203], v[217:218], v[204:205]
	v_div_scale_f64 v[204:205], null, v[202:203], v[202:203], 1.0
	v_rcp_f64_e32 v[219:220], v[204:205]
	v_fma_f64 v[221:222], -v[204:205], v[219:220], 1.0
	v_fma_f64 v[219:220], v[219:220], v[221:222], v[219:220]
	v_fma_f64 v[221:222], -v[204:205], v[219:220], 1.0
	v_fma_f64 v[219:220], v[219:220], v[221:222], v[219:220]
	v_div_scale_f64 v[221:222], vcc_lo, 1.0, v[202:203], 1.0
	v_mul_f64 v[223:224], v[221:222], v[219:220]
	v_fma_f64 v[204:205], -v[204:205], v[223:224], v[221:222]
	v_div_fmas_f64 v[204:205], v[204:205], v[219:220], v[223:224]
	v_div_fixup_f64 v[204:205], v[204:205], v[202:203], 1.0
	v_mul_f64 v[202:203], v[217:218], v[204:205]
	v_xor_b32_e32 v205, 0x80000000, v205
.LBB98_952:
	s_andn2_saveexec_b32 s7, s7
	s_cbranch_execz .LBB98_954
; %bb.953:
	v_div_scale_f64 v[217:218], null, v[202:203], v[202:203], v[204:205]
	v_div_scale_f64 v[223:224], vcc_lo, v[204:205], v[202:203], v[204:205]
	v_rcp_f64_e32 v[219:220], v[217:218]
	v_fma_f64 v[221:222], -v[217:218], v[219:220], 1.0
	v_fma_f64 v[219:220], v[219:220], v[221:222], v[219:220]
	v_fma_f64 v[221:222], -v[217:218], v[219:220], 1.0
	v_fma_f64 v[219:220], v[219:220], v[221:222], v[219:220]
	v_mul_f64 v[221:222], v[223:224], v[219:220]
	v_fma_f64 v[217:218], -v[217:218], v[221:222], v[223:224]
	v_div_fmas_f64 v[217:218], v[217:218], v[219:220], v[221:222]
	v_div_fixup_f64 v[217:218], v[217:218], v[202:203], v[204:205]
	v_fma_f64 v[202:203], v[204:205], v[217:218], v[202:203]
	v_div_scale_f64 v[204:205], null, v[202:203], v[202:203], 1.0
	v_rcp_f64_e32 v[219:220], v[204:205]
	v_fma_f64 v[221:222], -v[204:205], v[219:220], 1.0
	v_fma_f64 v[219:220], v[219:220], v[221:222], v[219:220]
	v_fma_f64 v[221:222], -v[204:205], v[219:220], 1.0
	v_fma_f64 v[219:220], v[219:220], v[221:222], v[219:220]
	v_div_scale_f64 v[221:222], vcc_lo, 1.0, v[202:203], 1.0
	v_mul_f64 v[223:224], v[221:222], v[219:220]
	v_fma_f64 v[204:205], -v[204:205], v[223:224], v[221:222]
	v_div_fmas_f64 v[204:205], v[204:205], v[219:220], v[223:224]
	v_div_fixup_f64 v[202:203], v[204:205], v[202:203], 1.0
	v_mul_f64 v[204:205], v[217:218], -v[202:203]
.LBB98_954:
	s_or_b32 exec_lo, exec_lo, s7
.LBB98_955:
	s_or_b32 exec_lo, exec_lo, s0
	s_mov_b32 s0, exec_lo
	v_cmpx_ne_u32_e64 v216, v210
	s_xor_b32 s0, exec_lo, s0
	s_cbranch_execz .LBB98_961
; %bb.956:
	s_mov_b32 s7, exec_lo
	v_cmpx_eq_u32_e32 45, v216
	s_cbranch_execz .LBB98_960
; %bb.957:
	v_cmp_ne_u32_e32 vcc_lo, 45, v210
	s_xor_b32 s8, s16, -1
	s_and_b32 s9, s8, vcc_lo
	s_and_saveexec_b32 s8, s9
	s_cbranch_execz .LBB98_959
; %bb.958:
	v_ashrrev_i32_e32 v211, 31, v210
	v_lshlrev_b64 v[216:217], 2, v[210:211]
	v_add_co_u32 v216, vcc_lo, v208, v216
	v_add_co_ci_u32_e64 v217, null, v209, v217, vcc_lo
	s_clause 0x1
	global_load_dword v0, v[216:217], off
	global_load_dword v211, v[208:209], off offset:180
	s_waitcnt vmcnt(1)
	global_store_dword v[208:209], v0, off offset:180
	s_waitcnt vmcnt(0)
	global_store_dword v[216:217], v211, off
.LBB98_959:
	s_or_b32 exec_lo, exec_lo, s8
	v_mov_b32_e32 v216, v210
	v_mov_b32_e32 v0, v210
.LBB98_960:
	s_or_b32 exec_lo, exec_lo, s7
.LBB98_961:
	s_andn2_saveexec_b32 s0, s0
	s_cbranch_execz .LBB98_963
; %bb.962:
	v_mov_b32_e32 v216, 45
	ds_write2_b64 v1, v[14:15], v[16:17] offset0:92 offset1:93
	ds_write2_b64 v1, v[10:11], v[12:13] offset0:94 offset1:95
	;; [unrolled: 1-line block ×4, first 2 shown]
.LBB98_963:
	s_or_b32 exec_lo, exec_lo, s0
	s_mov_b32 s0, exec_lo
	s_waitcnt lgkmcnt(0)
	s_waitcnt_vscnt null, 0x0
	s_barrier
	buffer_gl0_inv
	v_cmpx_lt_i32_e32 45, v216
	s_cbranch_execz .LBB98_965
; %bb.964:
	v_mul_f64 v[210:211], v[202:203], v[20:21]
	v_mul_f64 v[20:21], v[204:205], v[20:21]
	ds_read2_b64 v[217:220], v1 offset0:92 offset1:93
	ds_read2_b64 v[221:224], v1 offset0:94 offset1:95
	;; [unrolled: 1-line block ×4, first 2 shown]
	v_fma_f64 v[204:205], v[204:205], v[18:19], v[210:211]
	v_fma_f64 v[18:19], v[202:203], v[18:19], -v[20:21]
	s_waitcnt lgkmcnt(3)
	v_mul_f64 v[20:21], v[219:220], v[204:205]
	v_mul_f64 v[202:203], v[217:218], v[204:205]
	s_waitcnt lgkmcnt(2)
	v_mul_f64 v[210:211], v[223:224], v[204:205]
	v_mul_f64 v[233:234], v[221:222], v[204:205]
	;; [unrolled: 3-line block ×4, first 2 shown]
	v_fma_f64 v[20:21], v[217:218], v[18:19], -v[20:21]
	v_fma_f64 v[202:203], v[219:220], v[18:19], v[202:203]
	v_fma_f64 v[210:211], v[221:222], v[18:19], -v[210:211]
	v_fma_f64 v[217:218], v[223:224], v[18:19], v[233:234]
	;; [unrolled: 2-line block ×4, first 2 shown]
	v_add_f64 v[14:15], v[14:15], -v[20:21]
	v_add_f64 v[16:17], v[16:17], -v[202:203]
	;; [unrolled: 1-line block ×8, first 2 shown]
	v_mov_b32_e32 v20, v204
	v_mov_b32_e32 v21, v205
.LBB98_965:
	s_or_b32 exec_lo, exec_lo, s0
	v_lshl_add_u32 v202, v216, 4, v1
	s_barrier
	buffer_gl0_inv
	v_mov_b32_e32 v210, 46
	ds_write2_b64 v202, v[14:15], v[16:17] offset1:1
	s_waitcnt lgkmcnt(0)
	s_barrier
	buffer_gl0_inv
	ds_read2_b64 v[202:205], v1 offset0:92 offset1:93
	s_cmp_lt_i32 s1, 48
	s_cbranch_scc1 .LBB98_968
; %bb.966:
	v_add3_u32 v211, v212, 0, 0x2f0
	v_mov_b32_e32 v210, 46
	s_mov_b32 s7, 47
	s_inst_prefetch 0x1
	.p2align	6
.LBB98_967:                             ; =>This Inner Loop Header: Depth=1
	s_waitcnt lgkmcnt(0)
	v_cmp_gt_f64_e32 vcc_lo, 0, v[204:205]
	v_cmp_gt_f64_e64 s0, 0, v[202:203]
	ds_read2_b64 v[217:220], v211 offset1:1
	v_xor_b32_e32 v222, 0x80000000, v203
	v_xor_b32_e32 v224, 0x80000000, v205
	v_mov_b32_e32 v221, v202
	v_mov_b32_e32 v223, v204
	v_add_nc_u32_e32 v211, 16, v211
	s_waitcnt lgkmcnt(0)
	v_xor_b32_e32 v226, 0x80000000, v220
	v_cndmask_b32_e64 v222, v203, v222, s0
	v_cndmask_b32_e32 v224, v205, v224, vcc_lo
	v_cmp_gt_f64_e32 vcc_lo, 0, v[219:220]
	v_cmp_gt_f64_e64 s0, 0, v[217:218]
	v_mov_b32_e32 v225, v219
	v_add_f64 v[221:222], v[221:222], v[223:224]
	v_xor_b32_e32 v224, 0x80000000, v218
	v_mov_b32_e32 v223, v217
	v_cndmask_b32_e32 v226, v220, v226, vcc_lo
	v_cndmask_b32_e64 v224, v218, v224, s0
	v_add_f64 v[223:224], v[223:224], v[225:226]
	v_cmp_lt_f64_e32 vcc_lo, v[221:222], v[223:224]
	v_cndmask_b32_e32 v203, v203, v218, vcc_lo
	v_cndmask_b32_e32 v202, v202, v217, vcc_lo
	;; [unrolled: 1-line block ×4, first 2 shown]
	v_cndmask_b32_e64 v210, v210, s7, vcc_lo
	s_add_i32 s7, s7, 1
	s_cmp_lg_u32 s1, s7
	s_cbranch_scc1 .LBB98_967
.LBB98_968:
	s_inst_prefetch 0x2
	s_waitcnt lgkmcnt(0)
	v_cmp_eq_f64_e32 vcc_lo, 0, v[202:203]
	v_cmp_eq_f64_e64 s0, 0, v[204:205]
	s_and_b32 s0, vcc_lo, s0
	s_and_saveexec_b32 s7, s0
	s_xor_b32 s0, exec_lo, s7
; %bb.969:
	v_cmp_ne_u32_e32 vcc_lo, 0, v215
	v_cndmask_b32_e32 v215, 47, v215, vcc_lo
; %bb.970:
	s_andn2_saveexec_b32 s0, s0
	s_cbranch_execz .LBB98_976
; %bb.971:
	v_cmp_ngt_f64_e64 s7, |v[202:203]|, |v[204:205]|
	s_and_saveexec_b32 s8, s7
	s_xor_b32 s7, exec_lo, s8
	s_cbranch_execz .LBB98_973
; %bb.972:
	v_div_scale_f64 v[217:218], null, v[204:205], v[204:205], v[202:203]
	v_div_scale_f64 v[223:224], vcc_lo, v[202:203], v[204:205], v[202:203]
	v_rcp_f64_e32 v[219:220], v[217:218]
	v_fma_f64 v[221:222], -v[217:218], v[219:220], 1.0
	v_fma_f64 v[219:220], v[219:220], v[221:222], v[219:220]
	v_fma_f64 v[221:222], -v[217:218], v[219:220], 1.0
	v_fma_f64 v[219:220], v[219:220], v[221:222], v[219:220]
	v_mul_f64 v[221:222], v[223:224], v[219:220]
	v_fma_f64 v[217:218], -v[217:218], v[221:222], v[223:224]
	v_div_fmas_f64 v[217:218], v[217:218], v[219:220], v[221:222]
	v_div_fixup_f64 v[217:218], v[217:218], v[204:205], v[202:203]
	v_fma_f64 v[202:203], v[202:203], v[217:218], v[204:205]
	v_div_scale_f64 v[204:205], null, v[202:203], v[202:203], 1.0
	v_rcp_f64_e32 v[219:220], v[204:205]
	v_fma_f64 v[221:222], -v[204:205], v[219:220], 1.0
	v_fma_f64 v[219:220], v[219:220], v[221:222], v[219:220]
	v_fma_f64 v[221:222], -v[204:205], v[219:220], 1.0
	v_fma_f64 v[219:220], v[219:220], v[221:222], v[219:220]
	v_div_scale_f64 v[221:222], vcc_lo, 1.0, v[202:203], 1.0
	v_mul_f64 v[223:224], v[221:222], v[219:220]
	v_fma_f64 v[204:205], -v[204:205], v[223:224], v[221:222]
	v_div_fmas_f64 v[204:205], v[204:205], v[219:220], v[223:224]
	v_div_fixup_f64 v[204:205], v[204:205], v[202:203], 1.0
	v_mul_f64 v[202:203], v[217:218], v[204:205]
	v_xor_b32_e32 v205, 0x80000000, v205
.LBB98_973:
	s_andn2_saveexec_b32 s7, s7
	s_cbranch_execz .LBB98_975
; %bb.974:
	v_div_scale_f64 v[217:218], null, v[202:203], v[202:203], v[204:205]
	v_div_scale_f64 v[223:224], vcc_lo, v[204:205], v[202:203], v[204:205]
	v_rcp_f64_e32 v[219:220], v[217:218]
	v_fma_f64 v[221:222], -v[217:218], v[219:220], 1.0
	v_fma_f64 v[219:220], v[219:220], v[221:222], v[219:220]
	v_fma_f64 v[221:222], -v[217:218], v[219:220], 1.0
	v_fma_f64 v[219:220], v[219:220], v[221:222], v[219:220]
	v_mul_f64 v[221:222], v[223:224], v[219:220]
	v_fma_f64 v[217:218], -v[217:218], v[221:222], v[223:224]
	v_div_fmas_f64 v[217:218], v[217:218], v[219:220], v[221:222]
	v_div_fixup_f64 v[217:218], v[217:218], v[202:203], v[204:205]
	v_fma_f64 v[202:203], v[204:205], v[217:218], v[202:203]
	v_div_scale_f64 v[204:205], null, v[202:203], v[202:203], 1.0
	v_rcp_f64_e32 v[219:220], v[204:205]
	v_fma_f64 v[221:222], -v[204:205], v[219:220], 1.0
	v_fma_f64 v[219:220], v[219:220], v[221:222], v[219:220]
	v_fma_f64 v[221:222], -v[204:205], v[219:220], 1.0
	v_fma_f64 v[219:220], v[219:220], v[221:222], v[219:220]
	v_div_scale_f64 v[221:222], vcc_lo, 1.0, v[202:203], 1.0
	v_mul_f64 v[223:224], v[221:222], v[219:220]
	v_fma_f64 v[204:205], -v[204:205], v[223:224], v[221:222]
	v_div_fmas_f64 v[204:205], v[204:205], v[219:220], v[223:224]
	v_div_fixup_f64 v[202:203], v[204:205], v[202:203], 1.0
	v_mul_f64 v[204:205], v[217:218], -v[202:203]
.LBB98_975:
	s_or_b32 exec_lo, exec_lo, s7
.LBB98_976:
	s_or_b32 exec_lo, exec_lo, s0
	s_mov_b32 s0, exec_lo
	v_cmpx_ne_u32_e64 v216, v210
	s_xor_b32 s0, exec_lo, s0
	s_cbranch_execz .LBB98_982
; %bb.977:
	s_mov_b32 s7, exec_lo
	v_cmpx_eq_u32_e32 46, v216
	s_cbranch_execz .LBB98_981
; %bb.978:
	v_cmp_ne_u32_e32 vcc_lo, 46, v210
	s_xor_b32 s8, s16, -1
	s_and_b32 s9, s8, vcc_lo
	s_and_saveexec_b32 s8, s9
	s_cbranch_execz .LBB98_980
; %bb.979:
	v_ashrrev_i32_e32 v211, 31, v210
	v_lshlrev_b64 v[216:217], 2, v[210:211]
	v_add_co_u32 v216, vcc_lo, v208, v216
	v_add_co_ci_u32_e64 v217, null, v209, v217, vcc_lo
	s_clause 0x1
	global_load_dword v0, v[216:217], off
	global_load_dword v211, v[208:209], off offset:184
	s_waitcnt vmcnt(1)
	global_store_dword v[208:209], v0, off offset:184
	s_waitcnt vmcnt(0)
	global_store_dword v[216:217], v211, off
.LBB98_980:
	s_or_b32 exec_lo, exec_lo, s8
	v_mov_b32_e32 v216, v210
	v_mov_b32_e32 v0, v210
.LBB98_981:
	s_or_b32 exec_lo, exec_lo, s7
.LBB98_982:
	s_andn2_saveexec_b32 s0, s0
	s_cbranch_execz .LBB98_984
; %bb.983:
	v_mov_b32_e32 v216, 46
	ds_write2_b64 v1, v[10:11], v[12:13] offset0:94 offset1:95
	ds_write2_b64 v1, v[6:7], v[8:9] offset0:96 offset1:97
	;; [unrolled: 1-line block ×3, first 2 shown]
.LBB98_984:
	s_or_b32 exec_lo, exec_lo, s0
	s_mov_b32 s0, exec_lo
	s_waitcnt lgkmcnt(0)
	s_waitcnt_vscnt null, 0x0
	s_barrier
	buffer_gl0_inv
	v_cmpx_lt_i32_e32 46, v216
	s_cbranch_execz .LBB98_986
; %bb.985:
	v_mul_f64 v[210:211], v[202:203], v[16:17]
	v_mul_f64 v[16:17], v[204:205], v[16:17]
	ds_read2_b64 v[217:220], v1 offset0:94 offset1:95
	ds_read2_b64 v[221:224], v1 offset0:96 offset1:97
	;; [unrolled: 1-line block ×3, first 2 shown]
	v_fma_f64 v[204:205], v[204:205], v[14:15], v[210:211]
	v_fma_f64 v[14:15], v[202:203], v[14:15], -v[16:17]
	s_waitcnt lgkmcnt(2)
	v_mul_f64 v[16:17], v[219:220], v[204:205]
	v_mul_f64 v[202:203], v[217:218], v[204:205]
	s_waitcnt lgkmcnt(1)
	v_mul_f64 v[210:211], v[223:224], v[204:205]
	v_mul_f64 v[229:230], v[221:222], v[204:205]
	s_waitcnt lgkmcnt(0)
	v_mul_f64 v[231:232], v[227:228], v[204:205]
	v_mul_f64 v[233:234], v[225:226], v[204:205]
	v_fma_f64 v[16:17], v[217:218], v[14:15], -v[16:17]
	v_fma_f64 v[202:203], v[219:220], v[14:15], v[202:203]
	v_fma_f64 v[210:211], v[221:222], v[14:15], -v[210:211]
	v_fma_f64 v[217:218], v[223:224], v[14:15], v[229:230]
	;; [unrolled: 2-line block ×3, first 2 shown]
	v_add_f64 v[10:11], v[10:11], -v[16:17]
	v_add_f64 v[12:13], v[12:13], -v[202:203]
	;; [unrolled: 1-line block ×6, first 2 shown]
	v_mov_b32_e32 v16, v204
	v_mov_b32_e32 v17, v205
.LBB98_986:
	s_or_b32 exec_lo, exec_lo, s0
	v_lshl_add_u32 v202, v216, 4, v1
	s_barrier
	buffer_gl0_inv
	v_mov_b32_e32 v210, 47
	ds_write2_b64 v202, v[10:11], v[12:13] offset1:1
	s_waitcnt lgkmcnt(0)
	s_barrier
	buffer_gl0_inv
	ds_read2_b64 v[202:205], v1 offset0:94 offset1:95
	s_cmp_lt_i32 s1, 49
	s_cbranch_scc1 .LBB98_989
; %bb.987:
	v_add3_u32 v211, v212, 0, 0x300
	v_mov_b32_e32 v210, 47
	s_mov_b32 s7, 48
	s_inst_prefetch 0x1
	.p2align	6
.LBB98_988:                             ; =>This Inner Loop Header: Depth=1
	s_waitcnt lgkmcnt(0)
	v_cmp_gt_f64_e32 vcc_lo, 0, v[204:205]
	v_cmp_gt_f64_e64 s0, 0, v[202:203]
	ds_read2_b64 v[217:220], v211 offset1:1
	v_xor_b32_e32 v222, 0x80000000, v203
	v_xor_b32_e32 v224, 0x80000000, v205
	v_mov_b32_e32 v221, v202
	v_mov_b32_e32 v223, v204
	v_add_nc_u32_e32 v211, 16, v211
	s_waitcnt lgkmcnt(0)
	v_xor_b32_e32 v226, 0x80000000, v220
	v_cndmask_b32_e64 v222, v203, v222, s0
	v_cndmask_b32_e32 v224, v205, v224, vcc_lo
	v_cmp_gt_f64_e32 vcc_lo, 0, v[219:220]
	v_cmp_gt_f64_e64 s0, 0, v[217:218]
	v_mov_b32_e32 v225, v219
	v_add_f64 v[221:222], v[221:222], v[223:224]
	v_xor_b32_e32 v224, 0x80000000, v218
	v_mov_b32_e32 v223, v217
	v_cndmask_b32_e32 v226, v220, v226, vcc_lo
	v_cndmask_b32_e64 v224, v218, v224, s0
	v_add_f64 v[223:224], v[223:224], v[225:226]
	v_cmp_lt_f64_e32 vcc_lo, v[221:222], v[223:224]
	v_cndmask_b32_e32 v203, v203, v218, vcc_lo
	v_cndmask_b32_e32 v202, v202, v217, vcc_lo
	v_cndmask_b32_e32 v205, v205, v220, vcc_lo
	v_cndmask_b32_e32 v204, v204, v219, vcc_lo
	v_cndmask_b32_e64 v210, v210, s7, vcc_lo
	s_add_i32 s7, s7, 1
	s_cmp_lg_u32 s1, s7
	s_cbranch_scc1 .LBB98_988
.LBB98_989:
	s_inst_prefetch 0x2
	s_waitcnt lgkmcnt(0)
	v_cmp_eq_f64_e32 vcc_lo, 0, v[202:203]
	v_cmp_eq_f64_e64 s0, 0, v[204:205]
	s_and_b32 s0, vcc_lo, s0
	s_and_saveexec_b32 s7, s0
	s_xor_b32 s0, exec_lo, s7
; %bb.990:
	v_cmp_ne_u32_e32 vcc_lo, 0, v215
	v_cndmask_b32_e32 v215, 48, v215, vcc_lo
; %bb.991:
	s_andn2_saveexec_b32 s0, s0
	s_cbranch_execz .LBB98_997
; %bb.992:
	v_cmp_ngt_f64_e64 s7, |v[202:203]|, |v[204:205]|
	s_and_saveexec_b32 s8, s7
	s_xor_b32 s7, exec_lo, s8
	s_cbranch_execz .LBB98_994
; %bb.993:
	v_div_scale_f64 v[217:218], null, v[204:205], v[204:205], v[202:203]
	v_div_scale_f64 v[223:224], vcc_lo, v[202:203], v[204:205], v[202:203]
	v_rcp_f64_e32 v[219:220], v[217:218]
	v_fma_f64 v[221:222], -v[217:218], v[219:220], 1.0
	v_fma_f64 v[219:220], v[219:220], v[221:222], v[219:220]
	v_fma_f64 v[221:222], -v[217:218], v[219:220], 1.0
	v_fma_f64 v[219:220], v[219:220], v[221:222], v[219:220]
	v_mul_f64 v[221:222], v[223:224], v[219:220]
	v_fma_f64 v[217:218], -v[217:218], v[221:222], v[223:224]
	v_div_fmas_f64 v[217:218], v[217:218], v[219:220], v[221:222]
	v_div_fixup_f64 v[217:218], v[217:218], v[204:205], v[202:203]
	v_fma_f64 v[202:203], v[202:203], v[217:218], v[204:205]
	v_div_scale_f64 v[204:205], null, v[202:203], v[202:203], 1.0
	v_rcp_f64_e32 v[219:220], v[204:205]
	v_fma_f64 v[221:222], -v[204:205], v[219:220], 1.0
	v_fma_f64 v[219:220], v[219:220], v[221:222], v[219:220]
	v_fma_f64 v[221:222], -v[204:205], v[219:220], 1.0
	v_fma_f64 v[219:220], v[219:220], v[221:222], v[219:220]
	v_div_scale_f64 v[221:222], vcc_lo, 1.0, v[202:203], 1.0
	v_mul_f64 v[223:224], v[221:222], v[219:220]
	v_fma_f64 v[204:205], -v[204:205], v[223:224], v[221:222]
	v_div_fmas_f64 v[204:205], v[204:205], v[219:220], v[223:224]
	v_div_fixup_f64 v[204:205], v[204:205], v[202:203], 1.0
	v_mul_f64 v[202:203], v[217:218], v[204:205]
	v_xor_b32_e32 v205, 0x80000000, v205
.LBB98_994:
	s_andn2_saveexec_b32 s7, s7
	s_cbranch_execz .LBB98_996
; %bb.995:
	v_div_scale_f64 v[217:218], null, v[202:203], v[202:203], v[204:205]
	v_div_scale_f64 v[223:224], vcc_lo, v[204:205], v[202:203], v[204:205]
	v_rcp_f64_e32 v[219:220], v[217:218]
	v_fma_f64 v[221:222], -v[217:218], v[219:220], 1.0
	v_fma_f64 v[219:220], v[219:220], v[221:222], v[219:220]
	v_fma_f64 v[221:222], -v[217:218], v[219:220], 1.0
	v_fma_f64 v[219:220], v[219:220], v[221:222], v[219:220]
	v_mul_f64 v[221:222], v[223:224], v[219:220]
	v_fma_f64 v[217:218], -v[217:218], v[221:222], v[223:224]
	v_div_fmas_f64 v[217:218], v[217:218], v[219:220], v[221:222]
	v_div_fixup_f64 v[217:218], v[217:218], v[202:203], v[204:205]
	v_fma_f64 v[202:203], v[204:205], v[217:218], v[202:203]
	v_div_scale_f64 v[204:205], null, v[202:203], v[202:203], 1.0
	v_rcp_f64_e32 v[219:220], v[204:205]
	v_fma_f64 v[221:222], -v[204:205], v[219:220], 1.0
	v_fma_f64 v[219:220], v[219:220], v[221:222], v[219:220]
	v_fma_f64 v[221:222], -v[204:205], v[219:220], 1.0
	v_fma_f64 v[219:220], v[219:220], v[221:222], v[219:220]
	v_div_scale_f64 v[221:222], vcc_lo, 1.0, v[202:203], 1.0
	v_mul_f64 v[223:224], v[221:222], v[219:220]
	v_fma_f64 v[204:205], -v[204:205], v[223:224], v[221:222]
	v_div_fmas_f64 v[204:205], v[204:205], v[219:220], v[223:224]
	v_div_fixup_f64 v[202:203], v[204:205], v[202:203], 1.0
	v_mul_f64 v[204:205], v[217:218], -v[202:203]
.LBB98_996:
	s_or_b32 exec_lo, exec_lo, s7
.LBB98_997:
	s_or_b32 exec_lo, exec_lo, s0
	s_mov_b32 s0, exec_lo
	v_cmpx_ne_u32_e64 v216, v210
	s_xor_b32 s0, exec_lo, s0
	s_cbranch_execz .LBB98_1003
; %bb.998:
	s_mov_b32 s7, exec_lo
	v_cmpx_eq_u32_e32 47, v216
	s_cbranch_execz .LBB98_1002
; %bb.999:
	v_cmp_ne_u32_e32 vcc_lo, 47, v210
	s_xor_b32 s8, s16, -1
	s_and_b32 s9, s8, vcc_lo
	s_and_saveexec_b32 s8, s9
	s_cbranch_execz .LBB98_1001
; %bb.1000:
	v_ashrrev_i32_e32 v211, 31, v210
	v_lshlrev_b64 v[216:217], 2, v[210:211]
	v_add_co_u32 v216, vcc_lo, v208, v216
	v_add_co_ci_u32_e64 v217, null, v209, v217, vcc_lo
	s_clause 0x1
	global_load_dword v0, v[216:217], off
	global_load_dword v211, v[208:209], off offset:188
	s_waitcnt vmcnt(1)
	global_store_dword v[208:209], v0, off offset:188
	s_waitcnt vmcnt(0)
	global_store_dword v[216:217], v211, off
.LBB98_1001:
	s_or_b32 exec_lo, exec_lo, s8
	v_mov_b32_e32 v216, v210
	v_mov_b32_e32 v0, v210
.LBB98_1002:
	s_or_b32 exec_lo, exec_lo, s7
.LBB98_1003:
	s_andn2_saveexec_b32 s0, s0
	s_cbranch_execz .LBB98_1005
; %bb.1004:
	v_mov_b32_e32 v216, 47
	ds_write2_b64 v1, v[6:7], v[8:9] offset0:96 offset1:97
	ds_write2_b64 v1, v[2:3], v[4:5] offset0:98 offset1:99
.LBB98_1005:
	s_or_b32 exec_lo, exec_lo, s0
	s_mov_b32 s0, exec_lo
	s_waitcnt lgkmcnt(0)
	s_waitcnt_vscnt null, 0x0
	s_barrier
	buffer_gl0_inv
	v_cmpx_lt_i32_e32 47, v216
	s_cbranch_execz .LBB98_1007
; %bb.1006:
	v_mul_f64 v[210:211], v[202:203], v[12:13]
	v_mul_f64 v[12:13], v[204:205], v[12:13]
	ds_read2_b64 v[217:220], v1 offset0:96 offset1:97
	ds_read2_b64 v[221:224], v1 offset0:98 offset1:99
	v_fma_f64 v[204:205], v[204:205], v[10:11], v[210:211]
	v_fma_f64 v[10:11], v[202:203], v[10:11], -v[12:13]
	s_waitcnt lgkmcnt(1)
	v_mul_f64 v[12:13], v[219:220], v[204:205]
	v_mul_f64 v[202:203], v[217:218], v[204:205]
	s_waitcnt lgkmcnt(0)
	v_mul_f64 v[210:211], v[223:224], v[204:205]
	v_mul_f64 v[225:226], v[221:222], v[204:205]
	v_fma_f64 v[12:13], v[217:218], v[10:11], -v[12:13]
	v_fma_f64 v[202:203], v[219:220], v[10:11], v[202:203]
	v_fma_f64 v[210:211], v[221:222], v[10:11], -v[210:211]
	v_fma_f64 v[217:218], v[223:224], v[10:11], v[225:226]
	v_add_f64 v[6:7], v[6:7], -v[12:13]
	v_add_f64 v[8:9], v[8:9], -v[202:203]
	;; [unrolled: 1-line block ×4, first 2 shown]
	v_mov_b32_e32 v12, v204
	v_mov_b32_e32 v13, v205
.LBB98_1007:
	s_or_b32 exec_lo, exec_lo, s0
	v_lshl_add_u32 v202, v216, 4, v1
	s_barrier
	buffer_gl0_inv
	v_mov_b32_e32 v210, 48
	ds_write2_b64 v202, v[6:7], v[8:9] offset1:1
	s_waitcnt lgkmcnt(0)
	s_barrier
	buffer_gl0_inv
	ds_read2_b64 v[202:205], v1 offset0:96 offset1:97
	s_cmp_lt_i32 s1, 50
	s_cbranch_scc1 .LBB98_1010
; %bb.1008:
	v_add3_u32 v211, v212, 0, 0x310
	v_mov_b32_e32 v210, 48
	s_mov_b32 s7, 49
	s_inst_prefetch 0x1
	.p2align	6
.LBB98_1009:                            ; =>This Inner Loop Header: Depth=1
	s_waitcnt lgkmcnt(0)
	v_cmp_gt_f64_e32 vcc_lo, 0, v[204:205]
	v_cmp_gt_f64_e64 s0, 0, v[202:203]
	ds_read2_b64 v[217:220], v211 offset1:1
	v_xor_b32_e32 v222, 0x80000000, v203
	v_xor_b32_e32 v224, 0x80000000, v205
	v_mov_b32_e32 v221, v202
	v_mov_b32_e32 v223, v204
	v_add_nc_u32_e32 v211, 16, v211
	s_waitcnt lgkmcnt(0)
	v_xor_b32_e32 v226, 0x80000000, v220
	v_cndmask_b32_e64 v222, v203, v222, s0
	v_cndmask_b32_e32 v224, v205, v224, vcc_lo
	v_cmp_gt_f64_e32 vcc_lo, 0, v[219:220]
	v_cmp_gt_f64_e64 s0, 0, v[217:218]
	v_mov_b32_e32 v225, v219
	v_add_f64 v[221:222], v[221:222], v[223:224]
	v_xor_b32_e32 v224, 0x80000000, v218
	v_mov_b32_e32 v223, v217
	v_cndmask_b32_e32 v226, v220, v226, vcc_lo
	v_cndmask_b32_e64 v224, v218, v224, s0
	v_add_f64 v[223:224], v[223:224], v[225:226]
	v_cmp_lt_f64_e32 vcc_lo, v[221:222], v[223:224]
	v_cndmask_b32_e32 v203, v203, v218, vcc_lo
	v_cndmask_b32_e32 v202, v202, v217, vcc_lo
	;; [unrolled: 1-line block ×4, first 2 shown]
	v_cndmask_b32_e64 v210, v210, s7, vcc_lo
	s_add_i32 s7, s7, 1
	s_cmp_lg_u32 s1, s7
	s_cbranch_scc1 .LBB98_1009
.LBB98_1010:
	s_inst_prefetch 0x2
	s_waitcnt lgkmcnt(0)
	v_cmp_eq_f64_e32 vcc_lo, 0, v[202:203]
	v_cmp_eq_f64_e64 s0, 0, v[204:205]
	s_and_b32 s0, vcc_lo, s0
	s_and_saveexec_b32 s7, s0
	s_xor_b32 s0, exec_lo, s7
; %bb.1011:
	v_cmp_ne_u32_e32 vcc_lo, 0, v215
	v_cndmask_b32_e32 v215, 49, v215, vcc_lo
; %bb.1012:
	s_andn2_saveexec_b32 s0, s0
	s_cbranch_execz .LBB98_1018
; %bb.1013:
	v_cmp_ngt_f64_e64 s7, |v[202:203]|, |v[204:205]|
	s_and_saveexec_b32 s8, s7
	s_xor_b32 s7, exec_lo, s8
	s_cbranch_execz .LBB98_1015
; %bb.1014:
	v_div_scale_f64 v[217:218], null, v[204:205], v[204:205], v[202:203]
	v_div_scale_f64 v[223:224], vcc_lo, v[202:203], v[204:205], v[202:203]
	v_rcp_f64_e32 v[219:220], v[217:218]
	v_fma_f64 v[221:222], -v[217:218], v[219:220], 1.0
	v_fma_f64 v[219:220], v[219:220], v[221:222], v[219:220]
	v_fma_f64 v[221:222], -v[217:218], v[219:220], 1.0
	v_fma_f64 v[219:220], v[219:220], v[221:222], v[219:220]
	v_mul_f64 v[221:222], v[223:224], v[219:220]
	v_fma_f64 v[217:218], -v[217:218], v[221:222], v[223:224]
	v_div_fmas_f64 v[217:218], v[217:218], v[219:220], v[221:222]
	v_div_fixup_f64 v[217:218], v[217:218], v[204:205], v[202:203]
	v_fma_f64 v[202:203], v[202:203], v[217:218], v[204:205]
	v_div_scale_f64 v[204:205], null, v[202:203], v[202:203], 1.0
	v_rcp_f64_e32 v[219:220], v[204:205]
	v_fma_f64 v[221:222], -v[204:205], v[219:220], 1.0
	v_fma_f64 v[219:220], v[219:220], v[221:222], v[219:220]
	v_fma_f64 v[221:222], -v[204:205], v[219:220], 1.0
	v_fma_f64 v[219:220], v[219:220], v[221:222], v[219:220]
	v_div_scale_f64 v[221:222], vcc_lo, 1.0, v[202:203], 1.0
	v_mul_f64 v[223:224], v[221:222], v[219:220]
	v_fma_f64 v[204:205], -v[204:205], v[223:224], v[221:222]
	v_div_fmas_f64 v[204:205], v[204:205], v[219:220], v[223:224]
	v_div_fixup_f64 v[204:205], v[204:205], v[202:203], 1.0
	v_mul_f64 v[202:203], v[217:218], v[204:205]
	v_xor_b32_e32 v205, 0x80000000, v205
.LBB98_1015:
	s_andn2_saveexec_b32 s7, s7
	s_cbranch_execz .LBB98_1017
; %bb.1016:
	v_div_scale_f64 v[217:218], null, v[202:203], v[202:203], v[204:205]
	v_div_scale_f64 v[223:224], vcc_lo, v[204:205], v[202:203], v[204:205]
	v_rcp_f64_e32 v[219:220], v[217:218]
	v_fma_f64 v[221:222], -v[217:218], v[219:220], 1.0
	v_fma_f64 v[219:220], v[219:220], v[221:222], v[219:220]
	v_fma_f64 v[221:222], -v[217:218], v[219:220], 1.0
	v_fma_f64 v[219:220], v[219:220], v[221:222], v[219:220]
	v_mul_f64 v[221:222], v[223:224], v[219:220]
	v_fma_f64 v[217:218], -v[217:218], v[221:222], v[223:224]
	v_div_fmas_f64 v[217:218], v[217:218], v[219:220], v[221:222]
	v_div_fixup_f64 v[217:218], v[217:218], v[202:203], v[204:205]
	v_fma_f64 v[202:203], v[204:205], v[217:218], v[202:203]
	v_div_scale_f64 v[204:205], null, v[202:203], v[202:203], 1.0
	v_rcp_f64_e32 v[219:220], v[204:205]
	v_fma_f64 v[221:222], -v[204:205], v[219:220], 1.0
	v_fma_f64 v[219:220], v[219:220], v[221:222], v[219:220]
	v_fma_f64 v[221:222], -v[204:205], v[219:220], 1.0
	v_fma_f64 v[219:220], v[219:220], v[221:222], v[219:220]
	v_div_scale_f64 v[221:222], vcc_lo, 1.0, v[202:203], 1.0
	v_mul_f64 v[223:224], v[221:222], v[219:220]
	v_fma_f64 v[204:205], -v[204:205], v[223:224], v[221:222]
	v_div_fmas_f64 v[204:205], v[204:205], v[219:220], v[223:224]
	v_div_fixup_f64 v[202:203], v[204:205], v[202:203], 1.0
	v_mul_f64 v[204:205], v[217:218], -v[202:203]
.LBB98_1017:
	s_or_b32 exec_lo, exec_lo, s7
.LBB98_1018:
	s_or_b32 exec_lo, exec_lo, s0
	s_mov_b32 s0, exec_lo
	v_cmpx_ne_u32_e64 v216, v210
	s_xor_b32 s0, exec_lo, s0
	s_cbranch_execz .LBB98_1024
; %bb.1019:
	s_mov_b32 s7, exec_lo
	v_cmpx_eq_u32_e32 48, v216
	s_cbranch_execz .LBB98_1023
; %bb.1020:
	v_cmp_ne_u32_e32 vcc_lo, 48, v210
	s_xor_b32 s8, s16, -1
	s_and_b32 s9, s8, vcc_lo
	s_and_saveexec_b32 s8, s9
	s_cbranch_execz .LBB98_1022
; %bb.1021:
	v_ashrrev_i32_e32 v211, 31, v210
	v_lshlrev_b64 v[216:217], 2, v[210:211]
	v_add_co_u32 v216, vcc_lo, v208, v216
	v_add_co_ci_u32_e64 v217, null, v209, v217, vcc_lo
	s_clause 0x1
	global_load_dword v0, v[216:217], off
	global_load_dword v211, v[208:209], off offset:192
	s_waitcnt vmcnt(1)
	global_store_dword v[208:209], v0, off offset:192
	s_waitcnt vmcnt(0)
	global_store_dword v[216:217], v211, off
.LBB98_1022:
	s_or_b32 exec_lo, exec_lo, s8
	v_mov_b32_e32 v216, v210
	v_mov_b32_e32 v0, v210
.LBB98_1023:
	s_or_b32 exec_lo, exec_lo, s7
.LBB98_1024:
	s_andn2_saveexec_b32 s0, s0
; %bb.1025:
	v_mov_b32_e32 v216, 48
	ds_write2_b64 v1, v[2:3], v[4:5] offset0:98 offset1:99
; %bb.1026:
	s_or_b32 exec_lo, exec_lo, s0
	s_mov_b32 s0, exec_lo
	s_waitcnt lgkmcnt(0)
	s_waitcnt_vscnt null, 0x0
	s_barrier
	buffer_gl0_inv
	v_cmpx_lt_i32_e32 48, v216
	s_cbranch_execz .LBB98_1028
; %bb.1027:
	v_mul_f64 v[210:211], v[202:203], v[8:9]
	v_mul_f64 v[8:9], v[204:205], v[8:9]
	ds_read2_b64 v[217:220], v1 offset0:98 offset1:99
	v_fma_f64 v[204:205], v[204:205], v[6:7], v[210:211]
	v_fma_f64 v[6:7], v[202:203], v[6:7], -v[8:9]
	s_waitcnt lgkmcnt(0)
	v_mul_f64 v[8:9], v[219:220], v[204:205]
	v_mul_f64 v[202:203], v[217:218], v[204:205]
	v_fma_f64 v[8:9], v[217:218], v[6:7], -v[8:9]
	v_fma_f64 v[202:203], v[219:220], v[6:7], v[202:203]
	v_add_f64 v[2:3], v[2:3], -v[8:9]
	v_add_f64 v[4:5], v[4:5], -v[202:203]
	v_mov_b32_e32 v8, v204
	v_mov_b32_e32 v9, v205
.LBB98_1028:
	s_or_b32 exec_lo, exec_lo, s0
	v_lshl_add_u32 v202, v216, 4, v1
	s_barrier
	buffer_gl0_inv
	v_mov_b32_e32 v210, 49
	ds_write2_b64 v202, v[2:3], v[4:5] offset1:1
	s_waitcnt lgkmcnt(0)
	s_barrier
	buffer_gl0_inv
	ds_read2_b64 v[202:205], v1 offset0:98 offset1:99
	s_cmp_lt_i32 s1, 51
	s_cbranch_scc1 .LBB98_1031
; %bb.1029:
	v_add3_u32 v1, v212, 0, 0x320
	v_mov_b32_e32 v210, 49
	s_mov_b32 s7, 50
	s_inst_prefetch 0x1
	.p2align	6
.LBB98_1030:                            ; =>This Inner Loop Header: Depth=1
	s_waitcnt lgkmcnt(0)
	v_cmp_gt_f64_e32 vcc_lo, 0, v[204:205]
	v_cmp_gt_f64_e64 s0, 0, v[202:203]
	ds_read2_b64 v[217:220], v1 offset1:1
	v_xor_b32_e32 v212, 0x80000000, v203
	v_xor_b32_e32 v222, 0x80000000, v205
	v_mov_b32_e32 v211, v202
	v_mov_b32_e32 v221, v204
	v_add_nc_u32_e32 v1, 16, v1
	s_waitcnt lgkmcnt(0)
	v_xor_b32_e32 v224, 0x80000000, v220
	v_cndmask_b32_e64 v212, v203, v212, s0
	v_cndmask_b32_e32 v222, v205, v222, vcc_lo
	v_cmp_gt_f64_e32 vcc_lo, 0, v[219:220]
	v_cmp_gt_f64_e64 s0, 0, v[217:218]
	v_mov_b32_e32 v223, v219
	v_add_f64 v[211:212], v[211:212], v[221:222]
	v_xor_b32_e32 v222, 0x80000000, v218
	v_mov_b32_e32 v221, v217
	v_cndmask_b32_e32 v224, v220, v224, vcc_lo
	v_cndmask_b32_e64 v222, v218, v222, s0
	v_add_f64 v[221:222], v[221:222], v[223:224]
	v_cmp_lt_f64_e32 vcc_lo, v[211:212], v[221:222]
	v_cndmask_b32_e32 v203, v203, v218, vcc_lo
	v_cndmask_b32_e32 v202, v202, v217, vcc_lo
	;; [unrolled: 1-line block ×4, first 2 shown]
	v_cndmask_b32_e64 v210, v210, s7, vcc_lo
	s_add_i32 s7, s7, 1
	s_cmp_lg_u32 s1, s7
	s_cbranch_scc1 .LBB98_1030
.LBB98_1031:
	s_inst_prefetch 0x2
	s_waitcnt lgkmcnt(0)
	v_cmp_eq_f64_e32 vcc_lo, 0, v[202:203]
	v_cmp_eq_f64_e64 s0, 0, v[204:205]
	s_and_b32 s0, vcc_lo, s0
	s_and_saveexec_b32 s1, s0
	s_xor_b32 s0, exec_lo, s1
; %bb.1032:
	v_cmp_ne_u32_e32 vcc_lo, 0, v215
	v_cndmask_b32_e32 v215, 50, v215, vcc_lo
; %bb.1033:
	s_andn2_saveexec_b32 s0, s0
	s_cbranch_execz .LBB98_1039
; %bb.1034:
	v_cmp_ngt_f64_e64 s1, |v[202:203]|, |v[204:205]|
	s_and_saveexec_b32 s7, s1
	s_xor_b32 s1, exec_lo, s7
	s_cbranch_execz .LBB98_1036
; %bb.1035:
	v_div_scale_f64 v[211:212], null, v[204:205], v[204:205], v[202:203]
	v_div_scale_f64 v[221:222], vcc_lo, v[202:203], v[204:205], v[202:203]
	v_rcp_f64_e32 v[217:218], v[211:212]
	v_fma_f64 v[219:220], -v[211:212], v[217:218], 1.0
	v_fma_f64 v[217:218], v[217:218], v[219:220], v[217:218]
	v_fma_f64 v[219:220], -v[211:212], v[217:218], 1.0
	v_fma_f64 v[217:218], v[217:218], v[219:220], v[217:218]
	v_mul_f64 v[219:220], v[221:222], v[217:218]
	v_fma_f64 v[211:212], -v[211:212], v[219:220], v[221:222]
	v_div_fmas_f64 v[211:212], v[211:212], v[217:218], v[219:220]
	v_div_fixup_f64 v[211:212], v[211:212], v[204:205], v[202:203]
	v_fma_f64 v[202:203], v[202:203], v[211:212], v[204:205]
	v_div_scale_f64 v[204:205], null, v[202:203], v[202:203], 1.0
	v_rcp_f64_e32 v[217:218], v[204:205]
	v_fma_f64 v[219:220], -v[204:205], v[217:218], 1.0
	v_fma_f64 v[217:218], v[217:218], v[219:220], v[217:218]
	v_fma_f64 v[219:220], -v[204:205], v[217:218], 1.0
	v_fma_f64 v[217:218], v[217:218], v[219:220], v[217:218]
	v_div_scale_f64 v[219:220], vcc_lo, 1.0, v[202:203], 1.0
	v_mul_f64 v[221:222], v[219:220], v[217:218]
	v_fma_f64 v[204:205], -v[204:205], v[221:222], v[219:220]
	v_div_fmas_f64 v[204:205], v[204:205], v[217:218], v[221:222]
	v_div_fixup_f64 v[204:205], v[204:205], v[202:203], 1.0
	v_mul_f64 v[202:203], v[211:212], v[204:205]
	v_xor_b32_e32 v205, 0x80000000, v205
.LBB98_1036:
	s_andn2_saveexec_b32 s1, s1
	s_cbranch_execz .LBB98_1038
; %bb.1037:
	v_div_scale_f64 v[211:212], null, v[202:203], v[202:203], v[204:205]
	v_div_scale_f64 v[221:222], vcc_lo, v[204:205], v[202:203], v[204:205]
	v_rcp_f64_e32 v[217:218], v[211:212]
	v_fma_f64 v[219:220], -v[211:212], v[217:218], 1.0
	v_fma_f64 v[217:218], v[217:218], v[219:220], v[217:218]
	v_fma_f64 v[219:220], -v[211:212], v[217:218], 1.0
	v_fma_f64 v[217:218], v[217:218], v[219:220], v[217:218]
	v_mul_f64 v[219:220], v[221:222], v[217:218]
	v_fma_f64 v[211:212], -v[211:212], v[219:220], v[221:222]
	v_div_fmas_f64 v[211:212], v[211:212], v[217:218], v[219:220]
	v_div_fixup_f64 v[211:212], v[211:212], v[202:203], v[204:205]
	v_fma_f64 v[202:203], v[204:205], v[211:212], v[202:203]
	v_div_scale_f64 v[204:205], null, v[202:203], v[202:203], 1.0
	v_rcp_f64_e32 v[217:218], v[204:205]
	v_fma_f64 v[219:220], -v[204:205], v[217:218], 1.0
	v_fma_f64 v[217:218], v[217:218], v[219:220], v[217:218]
	v_fma_f64 v[219:220], -v[204:205], v[217:218], 1.0
	v_fma_f64 v[217:218], v[217:218], v[219:220], v[217:218]
	v_div_scale_f64 v[219:220], vcc_lo, 1.0, v[202:203], 1.0
	v_mul_f64 v[221:222], v[219:220], v[217:218]
	v_fma_f64 v[204:205], -v[204:205], v[221:222], v[219:220]
	v_div_fmas_f64 v[204:205], v[204:205], v[217:218], v[221:222]
	v_div_fixup_f64 v[202:203], v[204:205], v[202:203], 1.0
	v_mul_f64 v[204:205], v[211:212], -v[202:203]
.LBB98_1038:
	s_or_b32 exec_lo, exec_lo, s1
.LBB98_1039:
	s_or_b32 exec_lo, exec_lo, s0
	v_mov_b32_e32 v211, 49
	s_mov_b32 s0, exec_lo
	v_cmpx_ne_u32_e64 v216, v210
	s_cbranch_execz .LBB98_1045
; %bb.1040:
	s_mov_b32 s1, exec_lo
	v_cmpx_eq_u32_e32 49, v216
	s_cbranch_execz .LBB98_1044
; %bb.1041:
	v_cmp_ne_u32_e32 vcc_lo, 49, v210
	s_xor_b32 s7, s16, -1
	s_and_b32 s8, s7, vcc_lo
	s_and_saveexec_b32 s7, s8
	s_cbranch_execz .LBB98_1043
; %bb.1042:
	v_ashrrev_i32_e32 v211, 31, v210
	v_lshlrev_b64 v[0:1], 2, v[210:211]
	v_add_co_u32 v0, vcc_lo, v208, v0
	v_add_co_ci_u32_e64 v1, null, v209, v1, vcc_lo
	s_clause 0x1
	global_load_dword v211, v[0:1], off
	global_load_dword v212, v[208:209], off offset:196
	s_waitcnt vmcnt(1)
	global_store_dword v[208:209], v211, off offset:196
	s_waitcnt vmcnt(0)
	global_store_dword v[0:1], v212, off
.LBB98_1043:
	s_or_b32 exec_lo, exec_lo, s7
	v_mov_b32_e32 v216, v210
	v_mov_b32_e32 v0, v210
.LBB98_1044:
	s_or_b32 exec_lo, exec_lo, s1
	v_mov_b32_e32 v211, v216
.LBB98_1045:
	s_or_b32 exec_lo, exec_lo, s0
	s_mov_b32 s0, exec_lo
	s_waitcnt_vscnt null, 0x0
	s_barrier
	buffer_gl0_inv
	v_cmpx_lt_i32_e32 49, v211
	s_cbranch_execz .LBB98_1047
; %bb.1046:
	v_mul_f64 v[208:209], v[204:205], v[4:5]
	v_mul_f64 v[4:5], v[202:203], v[4:5]
	v_fma_f64 v[202:203], v[202:203], v[2:3], -v[208:209]
	v_fma_f64 v[4:5], v[204:205], v[2:3], v[4:5]
	v_mov_b32_e32 v2, v202
	v_mov_b32_e32 v3, v203
.LBB98_1047:
	s_or_b32 exec_lo, exec_lo, s0
	v_ashrrev_i32_e32 v212, 31, v211
	s_mov_b32 s0, exec_lo
	s_barrier
	buffer_gl0_inv
	v_cmpx_gt_i32_e32 50, v211
	s_cbranch_execz .LBB98_1049
; %bb.1048:
	v_mul_lo_u32 v1, s15, v206
	v_mul_lo_u32 v204, s14, v207
	v_mad_u64_u32 v[202:203], null, s14, v206, 0
	s_lshl_b64 s[8:9], s[12:13], 2
	v_add3_u32 v0, v0, s17, 1
	v_add3_u32 v203, v203, v204, v1
	v_lshlrev_b64 v[202:203], 2, v[202:203]
	v_add_co_u32 v1, vcc_lo, s10, v202
	v_add_co_ci_u32_e64 v204, null, s11, v203, vcc_lo
	v_lshlrev_b64 v[202:203], 2, v[211:212]
	v_add_co_u32 v1, vcc_lo, v1, s8
	v_add_co_ci_u32_e64 v204, null, s9, v204, vcc_lo
	v_add_co_u32 v202, vcc_lo, v1, v202
	v_add_co_ci_u32_e64 v203, null, v204, v203, vcc_lo
	global_store_dword v[202:203], v0, off
.LBB98_1049:
	s_or_b32 exec_lo, exec_lo, s0
	s_mov_b32 s1, exec_lo
	v_cmpx_eq_u32_e32 0, v211
	s_cbranch_execz .LBB98_1052
; %bb.1050:
	v_lshlrev_b64 v[0:1], 2, v[206:207]
	v_cmp_ne_u32_e64 s0, 0, v215
	v_add_co_u32 v0, vcc_lo, s4, v0
	v_add_co_ci_u32_e64 v1, null, s5, v1, vcc_lo
	global_load_dword v202, v[0:1], off
	s_waitcnt vmcnt(0)
	v_cmp_eq_u32_e32 vcc_lo, 0, v202
	s_and_b32 s0, vcc_lo, s0
	s_and_b32 exec_lo, exec_lo, s0
	s_cbranch_execz .LBB98_1052
; %bb.1051:
	v_add_nc_u32_e32 v202, s17, v215
	global_store_dword v[0:1], v202, off
.LBB98_1052:
	s_or_b32 exec_lo, exec_lo, s1
	v_add3_u32 v0, s6, s6, v211
	v_lshlrev_b64 v[202:203], 4, v[211:212]
	v_ashrrev_i32_e32 v1, 31, v0
	v_add_nc_u32_e32 v204, s6, v0
	v_add_co_u32 v202, vcc_lo, v213, v202
	v_add_co_ci_u32_e64 v203, null, v214, v203, vcc_lo
	v_lshlrev_b64 v[0:1], 4, v[0:1]
	v_add_co_u32 v208, vcc_lo, v202, s2
	v_ashrrev_i32_e32 v205, 31, v204
	v_add_co_ci_u32_e64 v209, null, s3, v203, vcc_lo
	v_add_co_u32 v0, vcc_lo, v213, v0
	v_add_nc_u32_e32 v206, s6, v204
	v_add_co_ci_u32_e64 v1, null, v214, v1, vcc_lo
	global_store_dwordx4 v[202:203], v[158:161], off
	v_lshlrev_b64 v[158:159], 4, v[204:205]
	global_store_dwordx4 v[208:209], v[162:165], off
	global_store_dwordx4 v[0:1], v[146:149], off
	v_add_nc_u32_e32 v146, s6, v206
	v_ashrrev_i32_e32 v207, 31, v206
	v_add_co_u32 v148, vcc_lo, v213, v158
	v_add_nc_u32_e32 v158, s6, v146
	v_lshlrev_b64 v[0:1], 4, v[206:207]
	v_ashrrev_i32_e32 v147, 31, v146
	v_add_co_ci_u32_e64 v149, null, v214, v159, vcc_lo
	v_add_nc_u32_e32 v160, s6, v158
	v_ashrrev_i32_e32 v159, 31, v158
	v_add_co_u32 v0, vcc_lo, v213, v0
	v_add_co_ci_u32_e64 v1, null, v214, v1, vcc_lo
	v_ashrrev_i32_e32 v161, 31, v160
	v_lshlrev_b64 v[146:147], 4, v[146:147]
	global_store_dwordx4 v[148:149], v[130:133], off
	global_store_dwordx4 v[0:1], v[198:201], off
	v_lshlrev_b64 v[0:1], 4, v[158:159]
	v_lshlrev_b64 v[132:133], 4, v[160:161]
	v_add_co_u32 v130, vcc_lo, v213, v146
	v_add_nc_u32_e32 v146, s6, v160
	v_add_co_ci_u32_e64 v131, null, v214, v147, vcc_lo
	v_add_co_u32 v0, vcc_lo, v213, v0
	v_add_co_ci_u32_e64 v1, null, v214, v1, vcc_lo
	v_add_co_u32 v132, vcc_lo, v213, v132
	v_add_nc_u32_e32 v148, s6, v146
	v_add_co_ci_u32_e64 v133, null, v214, v133, vcc_lo
	v_ashrrev_i32_e32 v147, 31, v146
	global_store_dwordx4 v[130:131], v[194:197], off
	global_store_dwordx4 v[0:1], v[190:193], off
	;; [unrolled: 1-line block ×3, first 2 shown]
	v_add_nc_u32_e32 v132, s6, v148
	v_ashrrev_i32_e32 v149, 31, v148
	v_lshlrev_b64 v[130:131], 4, v[146:147]
	v_add_nc_u32_e32 v146, s6, v132
	v_lshlrev_b64 v[0:1], 4, v[148:149]
	v_ashrrev_i32_e32 v133, 31, v132
	v_add_co_u32 v130, vcc_lo, v213, v130
	v_add_nc_u32_e32 v148, s6, v146
	v_add_co_ci_u32_e64 v131, null, v214, v131, vcc_lo
	v_add_co_u32 v0, vcc_lo, v213, v0
	v_lshlrev_b64 v[132:133], 4, v[132:133]
	v_ashrrev_i32_e32 v147, 31, v146
	v_add_co_ci_u32_e64 v1, null, v214, v1, vcc_lo
	v_ashrrev_i32_e32 v149, 31, v148
	global_store_dwordx4 v[130:131], v[182:185], off
	global_store_dwordx4 v[0:1], v[178:181], off
	v_lshlrev_b64 v[0:1], 4, v[146:147]
	v_add_co_u32 v130, vcc_lo, v213, v132
	v_add_co_ci_u32_e64 v131, null, v214, v133, vcc_lo
	v_lshlrev_b64 v[132:133], 4, v[148:149]
	v_add_nc_u32_e32 v146, s6, v148
	v_add_co_u32 v0, vcc_lo, v213, v0
	v_add_co_ci_u32_e64 v1, null, v214, v1, vcc_lo
	v_add_co_u32 v132, vcc_lo, v213, v132
	v_add_nc_u32_e32 v148, s6, v146
	v_add_co_ci_u32_e64 v133, null, v214, v133, vcc_lo
	v_ashrrev_i32_e32 v147, 31, v146
	global_store_dwordx4 v[130:131], v[174:177], off
	global_store_dwordx4 v[0:1], v[170:173], off
	global_store_dwordx4 v[132:133], v[166:169], off
	v_add_nc_u32_e32 v132, s6, v148
	v_ashrrev_i32_e32 v149, 31, v148
	v_lshlrev_b64 v[130:131], 4, v[146:147]
	v_add_nc_u32_e32 v146, s6, v132
	v_lshlrev_b64 v[0:1], 4, v[148:149]
	v_ashrrev_i32_e32 v133, 31, v132
	v_add_co_u32 v130, vcc_lo, v213, v130
	v_add_nc_u32_e32 v148, s6, v146
	v_add_co_ci_u32_e64 v131, null, v214, v131, vcc_lo
	v_add_co_u32 v0, vcc_lo, v213, v0
	v_lshlrev_b64 v[132:133], 4, v[132:133]
	v_ashrrev_i32_e32 v147, 31, v146
	v_add_co_ci_u32_e64 v1, null, v214, v1, vcc_lo
	v_ashrrev_i32_e32 v149, 31, v148
	global_store_dwordx4 v[130:131], v[154:157], off
	global_store_dwordx4 v[0:1], v[150:153], off
	v_lshlrev_b64 v[0:1], 4, v[146:147]
	v_add_co_u32 v130, vcc_lo, v213, v132
	v_add_co_ci_u32_e64 v131, null, v214, v133, vcc_lo
	v_lshlrev_b64 v[132:133], 4, v[148:149]
	v_add_nc_u32_e32 v146, s6, v148
	v_add_co_u32 v0, vcc_lo, v213, v0
	v_add_co_ci_u32_e64 v1, null, v214, v1, vcc_lo
	v_add_co_u32 v132, vcc_lo, v213, v132
	v_add_nc_u32_e32 v148, s6, v146
	v_add_co_ci_u32_e64 v133, null, v214, v133, vcc_lo
	v_ashrrev_i32_e32 v147, 31, v146
	global_store_dwordx4 v[130:131], v[142:145], off
	global_store_dwordx4 v[0:1], v[138:141], off
	global_store_dwordx4 v[132:133], v[134:137], off
	v_add_nc_u32_e32 v132, s6, v148
	v_ashrrev_i32_e32 v149, 31, v148
	v_lshlrev_b64 v[130:131], 4, v[146:147]
	v_add_nc_u32_e32 v134, s6, v132
	v_lshlrev_b64 v[0:1], 4, v[148:149]
	v_ashrrev_i32_e32 v133, 31, v132
	v_add_co_u32 v130, vcc_lo, v213, v130
	v_add_nc_u32_e32 v136, s6, v134
	v_add_co_ci_u32_e64 v131, null, v214, v131, vcc_lo
	v_add_co_u32 v0, vcc_lo, v213, v0
	v_ashrrev_i32_e32 v135, 31, v134
	v_add_co_ci_u32_e64 v1, null, v214, v1, vcc_lo
	v_ashrrev_i32_e32 v137, 31, v136
	v_lshlrev_b64 v[132:133], 4, v[132:133]
	global_store_dwordx4 v[130:131], v[126:129], off
	global_store_dwordx4 v[0:1], v[122:125], off
	v_lshlrev_b64 v[0:1], 4, v[134:135]
	v_add_nc_u32_e32 v126, s6, v136
	v_lshlrev_b64 v[124:125], 4, v[136:137]
	v_add_co_u32 v122, vcc_lo, v213, v132
	v_add_co_ci_u32_e64 v123, null, v214, v133, vcc_lo
	v_add_co_u32 v0, vcc_lo, v213, v0
	v_add_co_ci_u32_e64 v1, null, v214, v1, vcc_lo
	v_add_co_u32 v124, vcc_lo, v213, v124
	v_add_nc_u32_e32 v128, s6, v126
	v_add_co_ci_u32_e64 v125, null, v214, v125, vcc_lo
	v_ashrrev_i32_e32 v127, 31, v126
	global_store_dwordx4 v[122:123], v[118:121], off
	global_store_dwordx4 v[0:1], v[114:117], off
	global_store_dwordx4 v[124:125], v[110:113], off
	v_add_nc_u32_e32 v110, s6, v128
	v_ashrrev_i32_e32 v129, 31, v128
	v_lshlrev_b64 v[118:119], 4, v[126:127]
	v_add_nc_u32_e32 v114, s6, v110
	v_lshlrev_b64 v[0:1], 4, v[128:129]
	v_ashrrev_i32_e32 v111, 31, v110
	v_add_co_u32 v112, vcc_lo, v213, v118
	v_add_nc_u32_e32 v116, s6, v114
	v_add_co_ci_u32_e64 v113, null, v214, v119, vcc_lo
	v_add_co_u32 v0, vcc_lo, v213, v0
	v_ashrrev_i32_e32 v115, 31, v114
	v_add_co_ci_u32_e64 v1, null, v214, v1, vcc_lo
	v_ashrrev_i32_e32 v117, 31, v116
	v_lshlrev_b64 v[110:111], 4, v[110:111]
	global_store_dwordx4 v[112:113], v[106:109], off
	global_store_dwordx4 v[0:1], v[102:105], off
	v_lshlrev_b64 v[0:1], 4, v[114:115]
	v_add_nc_u32_e32 v106, s6, v116
	v_lshlrev_b64 v[104:105], 4, v[116:117]
	v_add_co_u32 v102, vcc_lo, v213, v110
	v_add_co_ci_u32_e64 v103, null, v214, v111, vcc_lo
	;; [unrolled: 30-line block ×5, first 2 shown]
	v_add_co_u32 v0, vcc_lo, v213, v0
	v_add_nc_u32_e32 v48, s6, v46
	v_add_co_ci_u32_e64 v1, null, v214, v1, vcc_lo
	v_add_co_u32 v44, vcc_lo, v213, v44
	v_ashrrev_i32_e32 v47, 31, v46
	v_add_co_ci_u32_e64 v45, null, v214, v45, vcc_lo
	v_ashrrev_i32_e32 v49, 31, v48
	global_store_dwordx4 v[42:43], v[38:41], off
	v_lshlrev_b64 v[38:39], 4, v[46:47]
	global_store_dwordx4 v[0:1], v[34:37], off
	global_store_dwordx4 v[44:45], v[30:33], off
	v_add_nc_u32_e32 v30, s6, v48
	v_lshlrev_b64 v[0:1], 4, v[48:49]
	v_add_co_u32 v32, vcc_lo, v213, v38
	v_add_nc_u32_e32 v34, s6, v30
	v_add_co_ci_u32_e64 v33, null, v214, v39, vcc_lo
	v_add_co_u32 v0, vcc_lo, v213, v0
	v_add_co_ci_u32_e64 v1, null, v214, v1, vcc_lo
	v_add_nc_u32_e32 v36, s6, v34
	v_ashrrev_i32_e32 v31, 31, v30
	global_store_dwordx4 v[32:33], v[26:29], off
	global_store_dwordx4 v[0:1], v[22:25], off
	v_ashrrev_i32_e32 v35, 31, v34
	v_add_nc_u32_e32 v22, s6, v36
	v_lshlrev_b64 v[26:27], 4, v[30:31]
	v_ashrrev_i32_e32 v37, 31, v36
	v_lshlrev_b64 v[0:1], 4, v[34:35]
	v_add_nc_u32_e32 v28, s6, v22
	v_ashrrev_i32_e32 v23, 31, v22
	v_add_co_u32 v24, vcc_lo, v213, v26
	v_add_co_ci_u32_e64 v25, null, v214, v27, vcc_lo
	v_ashrrev_i32_e32 v29, 31, v28
	v_lshlrev_b64 v[26:27], 4, v[36:37]
	v_lshlrev_b64 v[22:23], 4, v[22:23]
	v_add_co_u32 v0, vcc_lo, v213, v0
	v_lshlrev_b64 v[28:29], 4, v[28:29]
	v_add_co_ci_u32_e64 v1, null, v214, v1, vcc_lo
	v_add_co_u32 v26, vcc_lo, v213, v26
	v_add_co_ci_u32_e64 v27, null, v214, v27, vcc_lo
	v_add_co_u32 v22, vcc_lo, v213, v22
	;; [unrolled: 2-line block ×3, first 2 shown]
	v_add_co_ci_u32_e64 v29, null, v214, v29, vcc_lo
	global_store_dwordx4 v[24:25], v[18:21], off
	global_store_dwordx4 v[0:1], v[14:17], off
	;; [unrolled: 1-line block ×5, first 2 shown]
.LBB98_1053:
	s_endpgm
	.section	.rodata,"a",@progbits
	.p2align	6, 0x0
	.amdhsa_kernel _ZN9rocsolver6v33100L18getf2_small_kernelILi50E19rocblas_complex_numIdEiiPS3_EEvT1_T3_lS5_lPS5_llPT2_S5_S5_S7_l
		.amdhsa_group_segment_fixed_size 0
		.amdhsa_private_segment_fixed_size 0
		.amdhsa_kernarg_size 352
		.amdhsa_user_sgpr_count 6
		.amdhsa_user_sgpr_private_segment_buffer 1
		.amdhsa_user_sgpr_dispatch_ptr 0
		.amdhsa_user_sgpr_queue_ptr 0
		.amdhsa_user_sgpr_kernarg_segment_ptr 1
		.amdhsa_user_sgpr_dispatch_id 0
		.amdhsa_user_sgpr_flat_scratch_init 0
		.amdhsa_user_sgpr_private_segment_size 0
		.amdhsa_wavefront_size32 1
		.amdhsa_uses_dynamic_stack 0
		.amdhsa_system_sgpr_private_segment_wavefront_offset 0
		.amdhsa_system_sgpr_workgroup_id_x 1
		.amdhsa_system_sgpr_workgroup_id_y 1
		.amdhsa_system_sgpr_workgroup_id_z 0
		.amdhsa_system_sgpr_workgroup_info 0
		.amdhsa_system_vgpr_workitem_id 1
		.amdhsa_next_free_vgpr 251
		.amdhsa_next_free_sgpr 20
		.amdhsa_reserve_vcc 1
		.amdhsa_reserve_flat_scratch 0
		.amdhsa_float_round_mode_32 0
		.amdhsa_float_round_mode_16_64 0
		.amdhsa_float_denorm_mode_32 3
		.amdhsa_float_denorm_mode_16_64 3
		.amdhsa_dx10_clamp 1
		.amdhsa_ieee_mode 1
		.amdhsa_fp16_overflow 0
		.amdhsa_workgroup_processor_mode 1
		.amdhsa_memory_ordered 1
		.amdhsa_forward_progress 1
		.amdhsa_shared_vgpr_count 0
		.amdhsa_exception_fp_ieee_invalid_op 0
		.amdhsa_exception_fp_denorm_src 0
		.amdhsa_exception_fp_ieee_div_zero 0
		.amdhsa_exception_fp_ieee_overflow 0
		.amdhsa_exception_fp_ieee_underflow 0
		.amdhsa_exception_fp_ieee_inexact 0
		.amdhsa_exception_int_div_zero 0
	.end_amdhsa_kernel
	.section	.text._ZN9rocsolver6v33100L18getf2_small_kernelILi50E19rocblas_complex_numIdEiiPS3_EEvT1_T3_lS5_lPS5_llPT2_S5_S5_S7_l,"axG",@progbits,_ZN9rocsolver6v33100L18getf2_small_kernelILi50E19rocblas_complex_numIdEiiPS3_EEvT1_T3_lS5_lPS5_llPT2_S5_S5_S7_l,comdat
.Lfunc_end98:
	.size	_ZN9rocsolver6v33100L18getf2_small_kernelILi50E19rocblas_complex_numIdEiiPS3_EEvT1_T3_lS5_lPS5_llPT2_S5_S5_S7_l, .Lfunc_end98-_ZN9rocsolver6v33100L18getf2_small_kernelILi50E19rocblas_complex_numIdEiiPS3_EEvT1_T3_lS5_lPS5_llPT2_S5_S5_S7_l
                                        ; -- End function
	.set _ZN9rocsolver6v33100L18getf2_small_kernelILi50E19rocblas_complex_numIdEiiPS3_EEvT1_T3_lS5_lPS5_llPT2_S5_S5_S7_l.num_vgpr, 251
	.set _ZN9rocsolver6v33100L18getf2_small_kernelILi50E19rocblas_complex_numIdEiiPS3_EEvT1_T3_lS5_lPS5_llPT2_S5_S5_S7_l.num_agpr, 0
	.set _ZN9rocsolver6v33100L18getf2_small_kernelILi50E19rocblas_complex_numIdEiiPS3_EEvT1_T3_lS5_lPS5_llPT2_S5_S5_S7_l.numbered_sgpr, 20
	.set _ZN9rocsolver6v33100L18getf2_small_kernelILi50E19rocblas_complex_numIdEiiPS3_EEvT1_T3_lS5_lPS5_llPT2_S5_S5_S7_l.num_named_barrier, 0
	.set _ZN9rocsolver6v33100L18getf2_small_kernelILi50E19rocblas_complex_numIdEiiPS3_EEvT1_T3_lS5_lPS5_llPT2_S5_S5_S7_l.private_seg_size, 0
	.set _ZN9rocsolver6v33100L18getf2_small_kernelILi50E19rocblas_complex_numIdEiiPS3_EEvT1_T3_lS5_lPS5_llPT2_S5_S5_S7_l.uses_vcc, 1
	.set _ZN9rocsolver6v33100L18getf2_small_kernelILi50E19rocblas_complex_numIdEiiPS3_EEvT1_T3_lS5_lPS5_llPT2_S5_S5_S7_l.uses_flat_scratch, 0
	.set _ZN9rocsolver6v33100L18getf2_small_kernelILi50E19rocblas_complex_numIdEiiPS3_EEvT1_T3_lS5_lPS5_llPT2_S5_S5_S7_l.has_dyn_sized_stack, 0
	.set _ZN9rocsolver6v33100L18getf2_small_kernelILi50E19rocblas_complex_numIdEiiPS3_EEvT1_T3_lS5_lPS5_llPT2_S5_S5_S7_l.has_recursion, 0
	.set _ZN9rocsolver6v33100L18getf2_small_kernelILi50E19rocblas_complex_numIdEiiPS3_EEvT1_T3_lS5_lPS5_llPT2_S5_S5_S7_l.has_indirect_call, 0
	.section	.AMDGPU.csdata,"",@progbits
; Kernel info:
; codeLenInByte = 136896
; TotalNumSgprs: 22
; NumVgprs: 251
; ScratchSize: 0
; MemoryBound: 0
; FloatMode: 240
; IeeeMode: 1
; LDSByteSize: 0 bytes/workgroup (compile time only)
; SGPRBlocks: 0
; VGPRBlocks: 31
; NumSGPRsForWavesPerEU: 22
; NumVGPRsForWavesPerEU: 251
; Occupancy: 4
; WaveLimiterHint : 0
; COMPUTE_PGM_RSRC2:SCRATCH_EN: 0
; COMPUTE_PGM_RSRC2:USER_SGPR: 6
; COMPUTE_PGM_RSRC2:TRAP_HANDLER: 0
; COMPUTE_PGM_RSRC2:TGID_X_EN: 1
; COMPUTE_PGM_RSRC2:TGID_Y_EN: 1
; COMPUTE_PGM_RSRC2:TGID_Z_EN: 0
; COMPUTE_PGM_RSRC2:TIDIG_COMP_CNT: 1
	.section	.text._ZN9rocsolver6v33100L23getf2_npvt_small_kernelILi50E19rocblas_complex_numIdEiiPS3_EEvT1_T3_lS5_lPT2_S5_S5_,"axG",@progbits,_ZN9rocsolver6v33100L23getf2_npvt_small_kernelILi50E19rocblas_complex_numIdEiiPS3_EEvT1_T3_lS5_lPT2_S5_S5_,comdat
	.globl	_ZN9rocsolver6v33100L23getf2_npvt_small_kernelILi50E19rocblas_complex_numIdEiiPS3_EEvT1_T3_lS5_lPT2_S5_S5_ ; -- Begin function _ZN9rocsolver6v33100L23getf2_npvt_small_kernelILi50E19rocblas_complex_numIdEiiPS3_EEvT1_T3_lS5_lPT2_S5_S5_
	.p2align	8
	.type	_ZN9rocsolver6v33100L23getf2_npvt_small_kernelILi50E19rocblas_complex_numIdEiiPS3_EEvT1_T3_lS5_lPT2_S5_S5_,@function
_ZN9rocsolver6v33100L23getf2_npvt_small_kernelILi50E19rocblas_complex_numIdEiiPS3_EEvT1_T3_lS5_lPT2_S5_S5_: ; @_ZN9rocsolver6v33100L23getf2_npvt_small_kernelILi50E19rocblas_complex_numIdEiiPS3_EEvT1_T3_lS5_lPT2_S5_S5_
; %bb.0:
	s_mov_b64 s[18:19], s[2:3]
	s_mov_b64 s[16:17], s[0:1]
	s_clause 0x1
	s_load_dword s0, s[4:5], 0x44
	s_load_dwordx2 s[12:13], s[4:5], 0x30
	s_add_u32 s16, s16, s8
	s_addc_u32 s17, s17, 0
	s_waitcnt lgkmcnt(0)
	s_lshr_b32 s14, s0, 16
	s_mov_b32 s0, exec_lo
	v_mad_u64_u32 v[2:3], null, s7, s14, v[1:2]
	v_cmpx_gt_i32_e64 s12, v2
	s_cbranch_execz .LBB99_455
; %bb.1:
	s_clause 0x2
	s_load_dwordx4 s[8:11], s[4:5], 0x20
	s_load_dword s6, s[4:5], 0x18
	s_load_dwordx4 s[0:3], s[4:5], 0x8
	v_ashrrev_i32_e32 v3, 31, v2
	v_mad_u32_u24 v253, 0x320, v1, 0
	v_lshlrev_b32_e32 v1, 4, v1
	s_mulk_i32 s14, 0x320
	v_add3_u32 v255, 0, s14, v1
	s_waitcnt lgkmcnt(0)
	v_mul_lo_u32 v5, s9, v2
	v_mul_lo_u32 v7, s8, v3
	buffer_store_dword v2, off, s[16:19], 0 offset:1016 ; 4-byte Folded Spill
	buffer_store_dword v3, off, s[16:19], 0 offset:1020 ; 4-byte Folded Spill
	v_add3_u32 v4, s6, s6, v0
	s_lshl_b64 s[2:3], s[2:3], 4
	s_ashr_i32 s7, s6, 31
	v_add_nc_u32_e32 v6, s6, v4
	v_add_nc_u32_e32 v8, s6, v6
	;; [unrolled: 1-line block ×3, first 2 shown]
	v_ashrrev_i32_e32 v9, 31, v8
	v_add_nc_u32_e32 v12, s6, v10
	v_ashrrev_i32_e32 v11, 31, v10
	v_lshlrev_b64 v[8:9], 4, v[8:9]
	v_add_nc_u32_e32 v14, s6, v12
	v_ashrrev_i32_e32 v13, 31, v12
	v_lshlrev_b64 v[10:11], 4, v[10:11]
	v_ashrrev_i32_e32 v15, 31, v14
	v_mad_u64_u32 v[2:3], null, s8, v2, 0
	v_add3_u32 v3, v3, v7, v5
	v_ashrrev_i32_e32 v5, 31, v4
	v_ashrrev_i32_e32 v7, 31, v6
	v_lshlrev_b64 v[2:3], 4, v[2:3]
	v_lshlrev_b64 v[4:5], 4, v[4:5]
	;; [unrolled: 1-line block ×3, first 2 shown]
	v_add_co_u32 v2, vcc_lo, s0, v2
	v_add_co_ci_u32_e64 v3, null, s1, v3, vcc_lo
	s_lshl_b64 s[0:1], s[6:7], 4
	v_add_co_u32 v2, vcc_lo, v2, s2
	v_add_co_ci_u32_e64 v3, null, s3, v3, vcc_lo
	v_add_co_u32 v247, vcc_lo, v2, v4
	v_add_co_ci_u32_e64 v248, null, v3, v5, vcc_lo
	v_add_co_u32 v249, vcc_lo, v2, v6
	v_add_nc_u32_e32 v6, s6, v14
	v_lshlrev_b64 v[4:5], 4, v[12:13]
	v_add_co_ci_u32_e64 v250, null, v3, v7, vcc_lo
	v_add_co_u32 v251, vcc_lo, v2, v8
	v_add_co_ci_u32_e64 v252, null, v3, v9, vcc_lo
	v_add_co_u32 v12, vcc_lo, v2, v10
	v_ashrrev_i32_e32 v7, 31, v6
	v_add_nc_u32_e32 v10, s6, v6
	v_lshlrev_b64 v[8:9], 4, v[14:15]
	v_add_co_ci_u32_e64 v13, null, v3, v11, vcc_lo
	v_add_co_u32 v14, vcc_lo, v2, v4
	v_add_co_ci_u32_e64 v15, null, v3, v5, vcc_lo
	v_lshlrev_b64 v[4:5], 4, v[6:7]
	v_ashrrev_i32_e32 v11, 31, v10
	v_add_nc_u32_e32 v6, s6, v10
	v_add_co_u32 v16, vcc_lo, v2, v8
	v_add_co_ci_u32_e64 v17, null, v3, v9, vcc_lo
	v_lshlrev_b64 v[8:9], 4, v[10:11]
	v_ashrrev_i32_e32 v7, 31, v6
	v_add_nc_u32_e32 v10, s6, v6
	;; [unrolled: 5-line block ×39, first 2 shown]
	v_add_co_u32 v225, vcc_lo, v2, v8
	v_add_co_ci_u32_e64 v226, null, v3, v9, vcc_lo
	v_lshlrev_b64 v[8:9], 4, v[10:11]
	v_add_nc_u32_e32 v10, s6, v6
	v_ashrrev_i32_e32 v7, 31, v6
	v_add_co_u32 v227, vcc_lo, v2, v4
	v_add_co_ci_u32_e64 v228, null, v3, v5, vcc_lo
	v_ashrrev_i32_e32 v11, 31, v10
	v_lshlrev_b64 v[4:5], 4, v[6:7]
	v_add_co_u32 v8, vcc_lo, v2, v8
	v_add_co_ci_u32_e64 v9, null, v3, v9, vcc_lo
	v_lshlrev_b64 v[6:7], 4, v[10:11]
	v_add_co_u32 v229, vcc_lo, v2, v4
	v_lshlrev_b32_e32 v4, 4, v0
	v_add_co_ci_u32_e64 v230, null, v3, v5, vcc_lo
	v_add_co_u32 v231, vcc_lo, v2, v6
	v_add_co_ci_u32_e64 v232, null, v3, v7, vcc_lo
	v_add_co_u32 v2, vcc_lo, v2, v4
	;; [unrolled: 2-line block ×3, first 2 shown]
	v_add_co_ci_u32_e64 v5, null, s1, v3, vcc_lo
	buffer_store_dword v2, off, s[16:19], 0 offset:360 ; 4-byte Folded Spill
	buffer_store_dword v3, off, s[16:19], 0 offset:364 ; 4-byte Folded Spill
	v_cmp_ne_u32_e64 s1, 0, v0
	v_cmp_eq_u32_e64 s0, 0, v0
	global_load_dwordx4 v[197:200], v[2:3], off
	buffer_store_dword v4, off, s[16:19], 0 offset:368 ; 4-byte Folded Spill
	buffer_store_dword v5, off, s[16:19], 0 offset:372 ; 4-byte Folded Spill
	s_clause 0x3
	global_load_dwordx4 v[193:196], v[4:5], off
	global_load_dwordx4 v[189:192], v[247:248], off
	;; [unrolled: 1-line block ×4, first 2 shown]
	buffer_store_dword v12, off, s[16:19], 0 ; 4-byte Folded Spill
	buffer_store_dword v13, off, s[16:19], 0 offset:4 ; 4-byte Folded Spill
	global_load_dwordx4 v[177:180], v[12:13], off
	buffer_store_dword v14, off, s[16:19], 0 offset:8 ; 4-byte Folded Spill
	buffer_store_dword v15, off, s[16:19], 0 offset:12 ; 4-byte Folded Spill
	global_load_dwordx4 v[173:176], v[14:15], off
	buffer_store_dword v16, off, s[16:19], 0 offset:16 ; 4-byte Folded Spill
	;; [unrolled: 3-line block ×44, first 2 shown]
	buffer_store_dword v232, off, s[16:19], 0 offset:356 ; 4-byte Folded Spill
	global_load_dwordx4 v[1:4], v[231:232], off
	s_and_saveexec_b32 s3, s0
	s_cbranch_execz .LBB99_8
; %bb.2:
	s_waitcnt vmcnt(49)
	ds_write2_b64 v255, v[197:198], v[199:200] offset1:1
	s_waitcnt vmcnt(48)
	ds_write2_b64 v253, v[193:194], v[195:196] offset0:2 offset1:3
	s_waitcnt vmcnt(47)
	ds_write2_b64 v253, v[189:190], v[191:192] offset0:4 offset1:5
	;; [unrolled: 2-line block ×49, first 2 shown]
	ds_read2_b64 v[201:204], v255 offset1:1
	s_waitcnt lgkmcnt(0)
	v_cmp_neq_f64_e32 vcc_lo, 0, v[201:202]
	v_cmp_neq_f64_e64 s2, 0, v[203:204]
	s_or_b32 s2, vcc_lo, s2
	s_and_b32 exec_lo, exec_lo, s2
	s_cbranch_execz .LBB99_8
; %bb.3:
	v_cmp_ngt_f64_e64 s2, |v[201:202]|, |v[203:204]|
                                        ; implicit-def: $vgpr205_vgpr206
	s_and_saveexec_b32 s4, s2
	s_xor_b32 s2, exec_lo, s4
                                        ; implicit-def: $vgpr207_vgpr208
	s_cbranch_execz .LBB99_5
; %bb.4:
	v_div_scale_f64 v[205:206], null, v[203:204], v[203:204], v[201:202]
	v_div_scale_f64 v[211:212], vcc_lo, v[201:202], v[203:204], v[201:202]
	v_rcp_f64_e32 v[207:208], v[205:206]
	v_fma_f64 v[209:210], -v[205:206], v[207:208], 1.0
	v_fma_f64 v[207:208], v[207:208], v[209:210], v[207:208]
	v_fma_f64 v[209:210], -v[205:206], v[207:208], 1.0
	v_fma_f64 v[207:208], v[207:208], v[209:210], v[207:208]
	v_mul_f64 v[209:210], v[211:212], v[207:208]
	v_fma_f64 v[205:206], -v[205:206], v[209:210], v[211:212]
	v_div_fmas_f64 v[205:206], v[205:206], v[207:208], v[209:210]
	v_div_fixup_f64 v[205:206], v[205:206], v[203:204], v[201:202]
	v_fma_f64 v[201:202], v[201:202], v[205:206], v[203:204]
	v_div_scale_f64 v[203:204], null, v[201:202], v[201:202], 1.0
	v_rcp_f64_e32 v[207:208], v[203:204]
	v_fma_f64 v[209:210], -v[203:204], v[207:208], 1.0
	v_fma_f64 v[207:208], v[207:208], v[209:210], v[207:208]
	v_fma_f64 v[209:210], -v[203:204], v[207:208], 1.0
	v_fma_f64 v[207:208], v[207:208], v[209:210], v[207:208]
	v_div_scale_f64 v[209:210], vcc_lo, 1.0, v[201:202], 1.0
	v_mul_f64 v[211:212], v[209:210], v[207:208]
	v_fma_f64 v[203:204], -v[203:204], v[211:212], v[209:210]
	v_div_fmas_f64 v[203:204], v[203:204], v[207:208], v[211:212]
	v_div_fixup_f64 v[207:208], v[203:204], v[201:202], 1.0
                                        ; implicit-def: $vgpr201_vgpr202
	v_mul_f64 v[205:206], v[205:206], v[207:208]
	v_xor_b32_e32 v208, 0x80000000, v208
.LBB99_5:
	s_andn2_saveexec_b32 s2, s2
	s_cbranch_execz .LBB99_7
; %bb.6:
	v_div_scale_f64 v[205:206], null, v[201:202], v[201:202], v[203:204]
	v_div_scale_f64 v[211:212], vcc_lo, v[203:204], v[201:202], v[203:204]
	v_rcp_f64_e32 v[207:208], v[205:206]
	v_fma_f64 v[209:210], -v[205:206], v[207:208], 1.0
	v_fma_f64 v[207:208], v[207:208], v[209:210], v[207:208]
	v_fma_f64 v[209:210], -v[205:206], v[207:208], 1.0
	v_fma_f64 v[207:208], v[207:208], v[209:210], v[207:208]
	v_mul_f64 v[209:210], v[211:212], v[207:208]
	v_fma_f64 v[205:206], -v[205:206], v[209:210], v[211:212]
	v_div_fmas_f64 v[205:206], v[205:206], v[207:208], v[209:210]
	v_div_fixup_f64 v[207:208], v[205:206], v[201:202], v[203:204]
	v_fma_f64 v[201:202], v[203:204], v[207:208], v[201:202]
	v_div_scale_f64 v[203:204], null, v[201:202], v[201:202], 1.0
	v_rcp_f64_e32 v[205:206], v[203:204]
	v_fma_f64 v[209:210], -v[203:204], v[205:206], 1.0
	v_fma_f64 v[205:206], v[205:206], v[209:210], v[205:206]
	v_fma_f64 v[209:210], -v[203:204], v[205:206], 1.0
	v_fma_f64 v[205:206], v[205:206], v[209:210], v[205:206]
	v_div_scale_f64 v[209:210], vcc_lo, 1.0, v[201:202], 1.0
	v_mul_f64 v[211:212], v[209:210], v[205:206]
	v_fma_f64 v[203:204], -v[203:204], v[211:212], v[209:210]
	v_div_fmas_f64 v[203:204], v[203:204], v[205:206], v[211:212]
	v_div_fixup_f64 v[205:206], v[203:204], v[201:202], 1.0
	v_mul_f64 v[207:208], v[207:208], -v[205:206]
.LBB99_7:
	s_or_b32 exec_lo, exec_lo, s2
	ds_write2_b64 v255, v[205:206], v[207:208] offset1:1
.LBB99_8:
	s_or_b32 exec_lo, exec_lo, s3
	s_waitcnt vmcnt(0) lgkmcnt(0)
	s_waitcnt_vscnt null, 0x0
	s_barrier
	buffer_gl0_inv
	ds_read2_b64 v[201:204], v255 offset1:1
	s_waitcnt lgkmcnt(0)
	buffer_store_dword v201, off, s[16:19], 0 offset:376 ; 4-byte Folded Spill
	buffer_store_dword v202, off, s[16:19], 0 offset:380 ; 4-byte Folded Spill
	;; [unrolled: 1-line block ×4, first 2 shown]
	s_and_saveexec_b32 s2, s1
	s_cbranch_execz .LBB99_10
; %bb.9:
	s_clause 0x3
	buffer_load_dword v203, off, s[16:19], 0 offset:376
	buffer_load_dword v204, off, s[16:19], 0 offset:380
	;; [unrolled: 1-line block ×4, first 2 shown]
	s_waitcnt vmcnt(0)
	v_mul_f64 v[201:202], v[205:206], v[199:200]
	v_mul_f64 v[199:200], v[203:204], v[199:200]
	v_fma_f64 v[201:202], v[203:204], v[197:198], -v[201:202]
	v_fma_f64 v[199:200], v[205:206], v[197:198], v[199:200]
	ds_read2_b64 v[203:206], v253 offset0:2 offset1:3
	s_waitcnt lgkmcnt(0)
	v_mul_f64 v[197:198], v[205:206], v[199:200]
	v_fma_f64 v[197:198], v[203:204], v[201:202], -v[197:198]
	v_mul_f64 v[203:204], v[203:204], v[199:200]
	v_add_f64 v[193:194], v[193:194], -v[197:198]
	v_fma_f64 v[203:204], v[205:206], v[201:202], v[203:204]
	v_add_f64 v[195:196], v[195:196], -v[203:204]
	ds_read2_b64 v[203:206], v253 offset0:4 offset1:5
	s_waitcnt lgkmcnt(0)
	v_mul_f64 v[197:198], v[205:206], v[199:200]
	v_fma_f64 v[197:198], v[203:204], v[201:202], -v[197:198]
	v_mul_f64 v[203:204], v[203:204], v[199:200]
	v_add_f64 v[189:190], v[189:190], -v[197:198]
	v_fma_f64 v[203:204], v[205:206], v[201:202], v[203:204]
	v_add_f64 v[191:192], v[191:192], -v[203:204]
	ds_read2_b64 v[203:206], v253 offset0:6 offset1:7
	s_waitcnt lgkmcnt(0)
	v_mul_f64 v[197:198], v[205:206], v[199:200]
	v_fma_f64 v[197:198], v[203:204], v[201:202], -v[197:198]
	v_mul_f64 v[203:204], v[203:204], v[199:200]
	v_add_f64 v[185:186], v[185:186], -v[197:198]
	v_fma_f64 v[203:204], v[205:206], v[201:202], v[203:204]
	v_add_f64 v[187:188], v[187:188], -v[203:204]
	ds_read2_b64 v[203:206], v253 offset0:8 offset1:9
	s_waitcnt lgkmcnt(0)
	v_mul_f64 v[197:198], v[205:206], v[199:200]
	v_fma_f64 v[197:198], v[203:204], v[201:202], -v[197:198]
	v_mul_f64 v[203:204], v[203:204], v[199:200]
	v_add_f64 v[181:182], v[181:182], -v[197:198]
	v_fma_f64 v[203:204], v[205:206], v[201:202], v[203:204]
	v_add_f64 v[183:184], v[183:184], -v[203:204]
	ds_read2_b64 v[203:206], v253 offset0:10 offset1:11
	s_waitcnt lgkmcnt(0)
	v_mul_f64 v[197:198], v[205:206], v[199:200]
	v_fma_f64 v[197:198], v[203:204], v[201:202], -v[197:198]
	v_mul_f64 v[203:204], v[203:204], v[199:200]
	v_add_f64 v[177:178], v[177:178], -v[197:198]
	v_fma_f64 v[203:204], v[205:206], v[201:202], v[203:204]
	v_add_f64 v[179:180], v[179:180], -v[203:204]
	ds_read2_b64 v[203:206], v253 offset0:12 offset1:13
	s_waitcnt lgkmcnt(0)
	v_mul_f64 v[197:198], v[205:206], v[199:200]
	v_fma_f64 v[197:198], v[203:204], v[201:202], -v[197:198]
	v_mul_f64 v[203:204], v[203:204], v[199:200]
	v_add_f64 v[173:174], v[173:174], -v[197:198]
	v_fma_f64 v[203:204], v[205:206], v[201:202], v[203:204]
	v_add_f64 v[175:176], v[175:176], -v[203:204]
	ds_read2_b64 v[203:206], v253 offset0:14 offset1:15
	s_waitcnt lgkmcnt(0)
	v_mul_f64 v[197:198], v[205:206], v[199:200]
	v_fma_f64 v[197:198], v[203:204], v[201:202], -v[197:198]
	v_mul_f64 v[203:204], v[203:204], v[199:200]
	v_add_f64 v[169:170], v[169:170], -v[197:198]
	v_fma_f64 v[203:204], v[205:206], v[201:202], v[203:204]
	v_add_f64 v[171:172], v[171:172], -v[203:204]
	ds_read2_b64 v[203:206], v253 offset0:16 offset1:17
	s_waitcnt lgkmcnt(0)
	v_mul_f64 v[197:198], v[205:206], v[199:200]
	v_fma_f64 v[197:198], v[203:204], v[201:202], -v[197:198]
	v_mul_f64 v[203:204], v[203:204], v[199:200]
	v_add_f64 v[165:166], v[165:166], -v[197:198]
	v_fma_f64 v[203:204], v[205:206], v[201:202], v[203:204]
	v_add_f64 v[167:168], v[167:168], -v[203:204]
	ds_read2_b64 v[203:206], v253 offset0:18 offset1:19
	s_waitcnt lgkmcnt(0)
	v_mul_f64 v[197:198], v[205:206], v[199:200]
	v_fma_f64 v[197:198], v[203:204], v[201:202], -v[197:198]
	v_mul_f64 v[203:204], v[203:204], v[199:200]
	v_add_f64 v[161:162], v[161:162], -v[197:198]
	v_fma_f64 v[203:204], v[205:206], v[201:202], v[203:204]
	v_add_f64 v[163:164], v[163:164], -v[203:204]
	ds_read2_b64 v[203:206], v253 offset0:20 offset1:21
	s_waitcnt lgkmcnt(0)
	v_mul_f64 v[197:198], v[205:206], v[199:200]
	v_fma_f64 v[197:198], v[203:204], v[201:202], -v[197:198]
	v_mul_f64 v[203:204], v[203:204], v[199:200]
	v_add_f64 v[157:158], v[157:158], -v[197:198]
	v_fma_f64 v[203:204], v[205:206], v[201:202], v[203:204]
	v_add_f64 v[159:160], v[159:160], -v[203:204]
	ds_read2_b64 v[203:206], v253 offset0:22 offset1:23
	s_waitcnt lgkmcnt(0)
	v_mul_f64 v[197:198], v[205:206], v[199:200]
	v_fma_f64 v[197:198], v[203:204], v[201:202], -v[197:198]
	v_mul_f64 v[203:204], v[203:204], v[199:200]
	v_add_f64 v[153:154], v[153:154], -v[197:198]
	v_fma_f64 v[203:204], v[205:206], v[201:202], v[203:204]
	v_add_f64 v[155:156], v[155:156], -v[203:204]
	ds_read2_b64 v[203:206], v253 offset0:24 offset1:25
	s_waitcnt lgkmcnt(0)
	v_mul_f64 v[197:198], v[205:206], v[199:200]
	v_fma_f64 v[197:198], v[203:204], v[201:202], -v[197:198]
	v_mul_f64 v[203:204], v[203:204], v[199:200]
	v_add_f64 v[149:150], v[149:150], -v[197:198]
	v_fma_f64 v[203:204], v[205:206], v[201:202], v[203:204]
	v_add_f64 v[151:152], v[151:152], -v[203:204]
	ds_read2_b64 v[203:206], v253 offset0:26 offset1:27
	s_waitcnt lgkmcnt(0)
	v_mul_f64 v[197:198], v[205:206], v[199:200]
	v_fma_f64 v[197:198], v[203:204], v[201:202], -v[197:198]
	v_mul_f64 v[203:204], v[203:204], v[199:200]
	v_add_f64 v[145:146], v[145:146], -v[197:198]
	v_fma_f64 v[203:204], v[205:206], v[201:202], v[203:204]
	v_add_f64 v[147:148], v[147:148], -v[203:204]
	ds_read2_b64 v[203:206], v253 offset0:28 offset1:29
	s_waitcnt lgkmcnt(0)
	v_mul_f64 v[197:198], v[205:206], v[199:200]
	v_fma_f64 v[197:198], v[203:204], v[201:202], -v[197:198]
	v_mul_f64 v[203:204], v[203:204], v[199:200]
	v_add_f64 v[141:142], v[141:142], -v[197:198]
	v_fma_f64 v[203:204], v[205:206], v[201:202], v[203:204]
	v_add_f64 v[143:144], v[143:144], -v[203:204]
	ds_read2_b64 v[203:206], v253 offset0:30 offset1:31
	s_waitcnt lgkmcnt(0)
	v_mul_f64 v[197:198], v[205:206], v[199:200]
	v_fma_f64 v[197:198], v[203:204], v[201:202], -v[197:198]
	v_mul_f64 v[203:204], v[203:204], v[199:200]
	v_add_f64 v[137:138], v[137:138], -v[197:198]
	v_fma_f64 v[203:204], v[205:206], v[201:202], v[203:204]
	v_add_f64 v[139:140], v[139:140], -v[203:204]
	ds_read2_b64 v[203:206], v253 offset0:32 offset1:33
	s_waitcnt lgkmcnt(0)
	v_mul_f64 v[197:198], v[205:206], v[199:200]
	v_fma_f64 v[197:198], v[203:204], v[201:202], -v[197:198]
	v_mul_f64 v[203:204], v[203:204], v[199:200]
	v_add_f64 v[133:134], v[133:134], -v[197:198]
	v_fma_f64 v[203:204], v[205:206], v[201:202], v[203:204]
	v_add_f64 v[135:136], v[135:136], -v[203:204]
	ds_read2_b64 v[203:206], v253 offset0:34 offset1:35
	s_waitcnt lgkmcnt(0)
	v_mul_f64 v[197:198], v[205:206], v[199:200]
	v_fma_f64 v[197:198], v[203:204], v[201:202], -v[197:198]
	v_mul_f64 v[203:204], v[203:204], v[199:200]
	v_add_f64 v[129:130], v[129:130], -v[197:198]
	v_fma_f64 v[203:204], v[205:206], v[201:202], v[203:204]
	v_add_f64 v[131:132], v[131:132], -v[203:204]
	ds_read2_b64 v[203:206], v253 offset0:36 offset1:37
	s_waitcnt lgkmcnt(0)
	v_mul_f64 v[197:198], v[205:206], v[199:200]
	v_fma_f64 v[197:198], v[203:204], v[201:202], -v[197:198]
	v_mul_f64 v[203:204], v[203:204], v[199:200]
	v_add_f64 v[125:126], v[125:126], -v[197:198]
	v_fma_f64 v[203:204], v[205:206], v[201:202], v[203:204]
	v_add_f64 v[127:128], v[127:128], -v[203:204]
	ds_read2_b64 v[203:206], v253 offset0:38 offset1:39
	s_waitcnt lgkmcnt(0)
	v_mul_f64 v[197:198], v[205:206], v[199:200]
	v_fma_f64 v[197:198], v[203:204], v[201:202], -v[197:198]
	v_mul_f64 v[203:204], v[203:204], v[199:200]
	v_add_f64 v[121:122], v[121:122], -v[197:198]
	v_fma_f64 v[203:204], v[205:206], v[201:202], v[203:204]
	v_add_f64 v[123:124], v[123:124], -v[203:204]
	ds_read2_b64 v[203:206], v253 offset0:40 offset1:41
	s_waitcnt lgkmcnt(0)
	v_mul_f64 v[197:198], v[205:206], v[199:200]
	v_fma_f64 v[197:198], v[203:204], v[201:202], -v[197:198]
	v_mul_f64 v[203:204], v[203:204], v[199:200]
	v_add_f64 v[117:118], v[117:118], -v[197:198]
	v_fma_f64 v[203:204], v[205:206], v[201:202], v[203:204]
	v_add_f64 v[119:120], v[119:120], -v[203:204]
	ds_read2_b64 v[203:206], v253 offset0:42 offset1:43
	s_waitcnt lgkmcnt(0)
	v_mul_f64 v[197:198], v[205:206], v[199:200]
	v_fma_f64 v[197:198], v[203:204], v[201:202], -v[197:198]
	v_mul_f64 v[203:204], v[203:204], v[199:200]
	v_add_f64 v[113:114], v[113:114], -v[197:198]
	v_fma_f64 v[203:204], v[205:206], v[201:202], v[203:204]
	v_add_f64 v[115:116], v[115:116], -v[203:204]
	ds_read2_b64 v[203:206], v253 offset0:44 offset1:45
	s_waitcnt lgkmcnt(0)
	v_mul_f64 v[197:198], v[205:206], v[199:200]
	v_fma_f64 v[197:198], v[203:204], v[201:202], -v[197:198]
	v_mul_f64 v[203:204], v[203:204], v[199:200]
	v_add_f64 v[109:110], v[109:110], -v[197:198]
	v_fma_f64 v[203:204], v[205:206], v[201:202], v[203:204]
	v_add_f64 v[111:112], v[111:112], -v[203:204]
	ds_read2_b64 v[203:206], v253 offset0:46 offset1:47
	s_waitcnt lgkmcnt(0)
	v_mul_f64 v[197:198], v[205:206], v[199:200]
	v_fma_f64 v[197:198], v[203:204], v[201:202], -v[197:198]
	v_mul_f64 v[203:204], v[203:204], v[199:200]
	v_add_f64 v[105:106], v[105:106], -v[197:198]
	v_fma_f64 v[203:204], v[205:206], v[201:202], v[203:204]
	v_add_f64 v[107:108], v[107:108], -v[203:204]
	ds_read2_b64 v[203:206], v253 offset0:48 offset1:49
	s_waitcnt lgkmcnt(0)
	v_mul_f64 v[197:198], v[205:206], v[199:200]
	v_fma_f64 v[197:198], v[203:204], v[201:202], -v[197:198]
	v_mul_f64 v[203:204], v[203:204], v[199:200]
	v_add_f64 v[101:102], v[101:102], -v[197:198]
	v_fma_f64 v[203:204], v[205:206], v[201:202], v[203:204]
	v_add_f64 v[103:104], v[103:104], -v[203:204]
	ds_read2_b64 v[203:206], v253 offset0:50 offset1:51
	s_waitcnt lgkmcnt(0)
	v_mul_f64 v[197:198], v[205:206], v[199:200]
	v_fma_f64 v[197:198], v[203:204], v[201:202], -v[197:198]
	v_mul_f64 v[203:204], v[203:204], v[199:200]
	v_add_f64 v[97:98], v[97:98], -v[197:198]
	v_fma_f64 v[203:204], v[205:206], v[201:202], v[203:204]
	v_add_f64 v[99:100], v[99:100], -v[203:204]
	ds_read2_b64 v[203:206], v253 offset0:52 offset1:53
	s_waitcnt lgkmcnt(0)
	v_mul_f64 v[197:198], v[205:206], v[199:200]
	v_fma_f64 v[197:198], v[203:204], v[201:202], -v[197:198]
	v_mul_f64 v[203:204], v[203:204], v[199:200]
	v_add_f64 v[93:94], v[93:94], -v[197:198]
	v_fma_f64 v[203:204], v[205:206], v[201:202], v[203:204]
	v_add_f64 v[95:96], v[95:96], -v[203:204]
	ds_read2_b64 v[203:206], v253 offset0:54 offset1:55
	s_waitcnt lgkmcnt(0)
	v_mul_f64 v[197:198], v[205:206], v[199:200]
	v_fma_f64 v[197:198], v[203:204], v[201:202], -v[197:198]
	v_mul_f64 v[203:204], v[203:204], v[199:200]
	v_add_f64 v[89:90], v[89:90], -v[197:198]
	v_fma_f64 v[203:204], v[205:206], v[201:202], v[203:204]
	v_add_f64 v[91:92], v[91:92], -v[203:204]
	ds_read2_b64 v[203:206], v253 offset0:56 offset1:57
	s_waitcnt lgkmcnt(0)
	v_mul_f64 v[197:198], v[205:206], v[199:200]
	v_fma_f64 v[197:198], v[203:204], v[201:202], -v[197:198]
	v_mul_f64 v[203:204], v[203:204], v[199:200]
	v_add_f64 v[85:86], v[85:86], -v[197:198]
	v_fma_f64 v[203:204], v[205:206], v[201:202], v[203:204]
	v_add_f64 v[87:88], v[87:88], -v[203:204]
	ds_read2_b64 v[203:206], v253 offset0:58 offset1:59
	s_waitcnt lgkmcnt(0)
	v_mul_f64 v[197:198], v[205:206], v[199:200]
	v_fma_f64 v[197:198], v[203:204], v[201:202], -v[197:198]
	v_mul_f64 v[203:204], v[203:204], v[199:200]
	v_add_f64 v[81:82], v[81:82], -v[197:198]
	v_fma_f64 v[203:204], v[205:206], v[201:202], v[203:204]
	v_add_f64 v[83:84], v[83:84], -v[203:204]
	ds_read2_b64 v[203:206], v253 offset0:60 offset1:61
	s_waitcnt lgkmcnt(0)
	v_mul_f64 v[197:198], v[205:206], v[199:200]
	v_fma_f64 v[197:198], v[203:204], v[201:202], -v[197:198]
	v_mul_f64 v[203:204], v[203:204], v[199:200]
	v_add_f64 v[77:78], v[77:78], -v[197:198]
	v_fma_f64 v[203:204], v[205:206], v[201:202], v[203:204]
	v_add_f64 v[79:80], v[79:80], -v[203:204]
	ds_read2_b64 v[203:206], v253 offset0:62 offset1:63
	s_waitcnt lgkmcnt(0)
	v_mul_f64 v[197:198], v[205:206], v[199:200]
	v_fma_f64 v[197:198], v[203:204], v[201:202], -v[197:198]
	v_mul_f64 v[203:204], v[203:204], v[199:200]
	v_add_f64 v[73:74], v[73:74], -v[197:198]
	v_fma_f64 v[203:204], v[205:206], v[201:202], v[203:204]
	v_add_f64 v[75:76], v[75:76], -v[203:204]
	ds_read2_b64 v[203:206], v253 offset0:64 offset1:65
	s_waitcnt lgkmcnt(0)
	v_mul_f64 v[197:198], v[205:206], v[199:200]
	v_fma_f64 v[197:198], v[203:204], v[201:202], -v[197:198]
	v_mul_f64 v[203:204], v[203:204], v[199:200]
	v_add_f64 v[69:70], v[69:70], -v[197:198]
	v_fma_f64 v[203:204], v[205:206], v[201:202], v[203:204]
	v_add_f64 v[71:72], v[71:72], -v[203:204]
	ds_read2_b64 v[203:206], v253 offset0:66 offset1:67
	s_waitcnt lgkmcnt(0)
	v_mul_f64 v[197:198], v[205:206], v[199:200]
	v_fma_f64 v[197:198], v[203:204], v[201:202], -v[197:198]
	v_mul_f64 v[203:204], v[203:204], v[199:200]
	v_add_f64 v[65:66], v[65:66], -v[197:198]
	v_fma_f64 v[203:204], v[205:206], v[201:202], v[203:204]
	v_add_f64 v[67:68], v[67:68], -v[203:204]
	ds_read2_b64 v[203:206], v253 offset0:68 offset1:69
	s_waitcnt lgkmcnt(0)
	v_mul_f64 v[197:198], v[205:206], v[199:200]
	v_fma_f64 v[197:198], v[203:204], v[201:202], -v[197:198]
	v_mul_f64 v[203:204], v[203:204], v[199:200]
	v_add_f64 v[61:62], v[61:62], -v[197:198]
	v_fma_f64 v[203:204], v[205:206], v[201:202], v[203:204]
	v_add_f64 v[63:64], v[63:64], -v[203:204]
	ds_read2_b64 v[203:206], v253 offset0:70 offset1:71
	s_waitcnt lgkmcnt(0)
	v_mul_f64 v[197:198], v[205:206], v[199:200]
	v_fma_f64 v[197:198], v[203:204], v[201:202], -v[197:198]
	v_mul_f64 v[203:204], v[203:204], v[199:200]
	v_add_f64 v[57:58], v[57:58], -v[197:198]
	v_fma_f64 v[203:204], v[205:206], v[201:202], v[203:204]
	v_add_f64 v[59:60], v[59:60], -v[203:204]
	ds_read2_b64 v[203:206], v253 offset0:72 offset1:73
	s_waitcnt lgkmcnt(0)
	v_mul_f64 v[197:198], v[205:206], v[199:200]
	v_fma_f64 v[197:198], v[203:204], v[201:202], -v[197:198]
	v_mul_f64 v[203:204], v[203:204], v[199:200]
	v_add_f64 v[53:54], v[53:54], -v[197:198]
	v_fma_f64 v[203:204], v[205:206], v[201:202], v[203:204]
	v_add_f64 v[55:56], v[55:56], -v[203:204]
	ds_read2_b64 v[203:206], v253 offset0:74 offset1:75
	s_waitcnt lgkmcnt(0)
	v_mul_f64 v[197:198], v[205:206], v[199:200]
	v_fma_f64 v[197:198], v[203:204], v[201:202], -v[197:198]
	v_mul_f64 v[203:204], v[203:204], v[199:200]
	v_add_f64 v[49:50], v[49:50], -v[197:198]
	v_fma_f64 v[203:204], v[205:206], v[201:202], v[203:204]
	v_add_f64 v[51:52], v[51:52], -v[203:204]
	ds_read2_b64 v[203:206], v253 offset0:76 offset1:77
	s_waitcnt lgkmcnt(0)
	v_mul_f64 v[197:198], v[205:206], v[199:200]
	v_fma_f64 v[197:198], v[203:204], v[201:202], -v[197:198]
	v_mul_f64 v[203:204], v[203:204], v[199:200]
	v_add_f64 v[45:46], v[45:46], -v[197:198]
	v_fma_f64 v[203:204], v[205:206], v[201:202], v[203:204]
	v_add_f64 v[47:48], v[47:48], -v[203:204]
	ds_read2_b64 v[203:206], v253 offset0:78 offset1:79
	s_waitcnt lgkmcnt(0)
	v_mul_f64 v[197:198], v[205:206], v[199:200]
	v_fma_f64 v[197:198], v[203:204], v[201:202], -v[197:198]
	v_mul_f64 v[203:204], v[203:204], v[199:200]
	v_add_f64 v[41:42], v[41:42], -v[197:198]
	v_fma_f64 v[203:204], v[205:206], v[201:202], v[203:204]
	v_add_f64 v[43:44], v[43:44], -v[203:204]
	ds_read2_b64 v[203:206], v253 offset0:80 offset1:81
	s_waitcnt lgkmcnt(0)
	v_mul_f64 v[197:198], v[205:206], v[199:200]
	v_fma_f64 v[197:198], v[203:204], v[201:202], -v[197:198]
	v_mul_f64 v[203:204], v[203:204], v[199:200]
	v_add_f64 v[37:38], v[37:38], -v[197:198]
	v_fma_f64 v[203:204], v[205:206], v[201:202], v[203:204]
	v_add_f64 v[39:40], v[39:40], -v[203:204]
	ds_read2_b64 v[203:206], v253 offset0:82 offset1:83
	s_waitcnt lgkmcnt(0)
	v_mul_f64 v[197:198], v[205:206], v[199:200]
	v_fma_f64 v[197:198], v[203:204], v[201:202], -v[197:198]
	v_mul_f64 v[203:204], v[203:204], v[199:200]
	v_add_f64 v[33:34], v[33:34], -v[197:198]
	v_fma_f64 v[203:204], v[205:206], v[201:202], v[203:204]
	v_add_f64 v[35:36], v[35:36], -v[203:204]
	ds_read2_b64 v[203:206], v253 offset0:84 offset1:85
	s_waitcnt lgkmcnt(0)
	v_mul_f64 v[197:198], v[205:206], v[199:200]
	v_fma_f64 v[197:198], v[203:204], v[201:202], -v[197:198]
	v_mul_f64 v[203:204], v[203:204], v[199:200]
	v_add_f64 v[29:30], v[29:30], -v[197:198]
	v_fma_f64 v[203:204], v[205:206], v[201:202], v[203:204]
	v_add_f64 v[31:32], v[31:32], -v[203:204]
	ds_read2_b64 v[203:206], v253 offset0:86 offset1:87
	s_waitcnt lgkmcnt(0)
	v_mul_f64 v[197:198], v[205:206], v[199:200]
	v_fma_f64 v[197:198], v[203:204], v[201:202], -v[197:198]
	v_mul_f64 v[203:204], v[203:204], v[199:200]
	v_add_f64 v[25:26], v[25:26], -v[197:198]
	v_fma_f64 v[203:204], v[205:206], v[201:202], v[203:204]
	v_add_f64 v[27:28], v[27:28], -v[203:204]
	ds_read2_b64 v[203:206], v253 offset0:88 offset1:89
	s_waitcnt lgkmcnt(0)
	v_mul_f64 v[197:198], v[205:206], v[199:200]
	v_fma_f64 v[197:198], v[203:204], v[201:202], -v[197:198]
	v_mul_f64 v[203:204], v[203:204], v[199:200]
	v_add_f64 v[21:22], v[21:22], -v[197:198]
	v_fma_f64 v[203:204], v[205:206], v[201:202], v[203:204]
	v_add_f64 v[23:24], v[23:24], -v[203:204]
	ds_read2_b64 v[203:206], v253 offset0:90 offset1:91
	s_waitcnt lgkmcnt(0)
	v_mul_f64 v[197:198], v[205:206], v[199:200]
	v_fma_f64 v[197:198], v[203:204], v[201:202], -v[197:198]
	v_mul_f64 v[203:204], v[203:204], v[199:200]
	v_add_f64 v[17:18], v[17:18], -v[197:198]
	v_fma_f64 v[203:204], v[205:206], v[201:202], v[203:204]
	v_add_f64 v[19:20], v[19:20], -v[203:204]
	ds_read2_b64 v[203:206], v253 offset0:92 offset1:93
	s_waitcnt lgkmcnt(0)
	v_mul_f64 v[197:198], v[205:206], v[199:200]
	v_fma_f64 v[197:198], v[203:204], v[201:202], -v[197:198]
	v_mul_f64 v[203:204], v[203:204], v[199:200]
	v_add_f64 v[13:14], v[13:14], -v[197:198]
	v_fma_f64 v[203:204], v[205:206], v[201:202], v[203:204]
	v_add_f64 v[15:16], v[15:16], -v[203:204]
	ds_read2_b64 v[203:206], v253 offset0:94 offset1:95
	s_waitcnt lgkmcnt(0)
	v_mul_f64 v[197:198], v[205:206], v[199:200]
	v_fma_f64 v[197:198], v[203:204], v[201:202], -v[197:198]
	v_mul_f64 v[203:204], v[203:204], v[199:200]
	v_add_f64 v[9:10], v[9:10], -v[197:198]
	v_fma_f64 v[203:204], v[205:206], v[201:202], v[203:204]
	v_add_f64 v[11:12], v[11:12], -v[203:204]
	ds_read2_b64 v[203:206], v253 offset0:96 offset1:97
	s_waitcnt lgkmcnt(0)
	v_mul_f64 v[197:198], v[205:206], v[199:200]
	v_fma_f64 v[197:198], v[203:204], v[201:202], -v[197:198]
	v_mul_f64 v[203:204], v[203:204], v[199:200]
	v_add_f64 v[5:6], v[5:6], -v[197:198]
	v_fma_f64 v[203:204], v[205:206], v[201:202], v[203:204]
	v_add_f64 v[7:8], v[7:8], -v[203:204]
	ds_read2_b64 v[203:206], v253 offset0:98 offset1:99
	s_waitcnt lgkmcnt(0)
	v_mul_f64 v[197:198], v[205:206], v[199:200]
	v_fma_f64 v[197:198], v[203:204], v[201:202], -v[197:198]
	v_mul_f64 v[203:204], v[203:204], v[199:200]
	v_add_f64 v[1:2], v[1:2], -v[197:198]
	v_fma_f64 v[203:204], v[205:206], v[201:202], v[203:204]
	v_mov_b32_e32 v197, v201
	v_mov_b32_e32 v198, v202
	v_add_f64 v[3:4], v[3:4], -v[203:204]
.LBB99_10:
	s_or_b32 exec_lo, exec_lo, s2
	s_mov_b32 s2, exec_lo
	s_waitcnt_vscnt null, 0x0
	s_barrier
	buffer_gl0_inv
	v_cmpx_eq_u32_e32 1, v0
	s_cbranch_execz .LBB99_17
; %bb.11:
	ds_write2_b64 v255, v[193:194], v[195:196] offset1:1
	ds_write2_b64 v253, v[189:190], v[191:192] offset0:4 offset1:5
	ds_write2_b64 v253, v[185:186], v[187:188] offset0:6 offset1:7
	ds_write2_b64 v253, v[181:182], v[183:184] offset0:8 offset1:9
	ds_write2_b64 v253, v[177:178], v[179:180] offset0:10 offset1:11
	ds_write2_b64 v253, v[173:174], v[175:176] offset0:12 offset1:13
	ds_write2_b64 v253, v[169:170], v[171:172] offset0:14 offset1:15
	ds_write2_b64 v253, v[165:166], v[167:168] offset0:16 offset1:17
	ds_write2_b64 v253, v[161:162], v[163:164] offset0:18 offset1:19
	ds_write2_b64 v253, v[157:158], v[159:160] offset0:20 offset1:21
	ds_write2_b64 v253, v[153:154], v[155:156] offset0:22 offset1:23
	ds_write2_b64 v253, v[149:150], v[151:152] offset0:24 offset1:25
	ds_write2_b64 v253, v[145:146], v[147:148] offset0:26 offset1:27
	ds_write2_b64 v253, v[141:142], v[143:144] offset0:28 offset1:29
	ds_write2_b64 v253, v[137:138], v[139:140] offset0:30 offset1:31
	ds_write2_b64 v253, v[133:134], v[135:136] offset0:32 offset1:33
	ds_write2_b64 v253, v[129:130], v[131:132] offset0:34 offset1:35
	ds_write2_b64 v253, v[125:126], v[127:128] offset0:36 offset1:37
	ds_write2_b64 v253, v[121:122], v[123:124] offset0:38 offset1:39
	ds_write2_b64 v253, v[117:118], v[119:120] offset0:40 offset1:41
	ds_write2_b64 v253, v[113:114], v[115:116] offset0:42 offset1:43
	ds_write2_b64 v253, v[109:110], v[111:112] offset0:44 offset1:45
	ds_write2_b64 v253, v[105:106], v[107:108] offset0:46 offset1:47
	ds_write2_b64 v253, v[101:102], v[103:104] offset0:48 offset1:49
	ds_write2_b64 v253, v[97:98], v[99:100] offset0:50 offset1:51
	ds_write2_b64 v253, v[93:94], v[95:96] offset0:52 offset1:53
	ds_write2_b64 v253, v[89:90], v[91:92] offset0:54 offset1:55
	ds_write2_b64 v253, v[85:86], v[87:88] offset0:56 offset1:57
	ds_write2_b64 v253, v[81:82], v[83:84] offset0:58 offset1:59
	ds_write2_b64 v253, v[77:78], v[79:80] offset0:60 offset1:61
	ds_write2_b64 v253, v[73:74], v[75:76] offset0:62 offset1:63
	ds_write2_b64 v253, v[69:70], v[71:72] offset0:64 offset1:65
	ds_write2_b64 v253, v[65:66], v[67:68] offset0:66 offset1:67
	ds_write2_b64 v253, v[61:62], v[63:64] offset0:68 offset1:69
	ds_write2_b64 v253, v[57:58], v[59:60] offset0:70 offset1:71
	ds_write2_b64 v253, v[53:54], v[55:56] offset0:72 offset1:73
	ds_write2_b64 v253, v[49:50], v[51:52] offset0:74 offset1:75
	ds_write2_b64 v253, v[45:46], v[47:48] offset0:76 offset1:77
	ds_write2_b64 v253, v[41:42], v[43:44] offset0:78 offset1:79
	ds_write2_b64 v253, v[37:38], v[39:40] offset0:80 offset1:81
	ds_write2_b64 v253, v[33:34], v[35:36] offset0:82 offset1:83
	ds_write2_b64 v253, v[29:30], v[31:32] offset0:84 offset1:85
	ds_write2_b64 v253, v[25:26], v[27:28] offset0:86 offset1:87
	ds_write2_b64 v253, v[21:22], v[23:24] offset0:88 offset1:89
	ds_write2_b64 v253, v[17:18], v[19:20] offset0:90 offset1:91
	ds_write2_b64 v253, v[13:14], v[15:16] offset0:92 offset1:93
	ds_write2_b64 v253, v[9:10], v[11:12] offset0:94 offset1:95
	ds_write2_b64 v253, v[5:6], v[7:8] offset0:96 offset1:97
	ds_write2_b64 v253, v[1:2], v[3:4] offset0:98 offset1:99
	ds_read2_b64 v[201:204], v255 offset1:1
	s_waitcnt lgkmcnt(0)
	v_cmp_neq_f64_e32 vcc_lo, 0, v[201:202]
	v_cmp_neq_f64_e64 s1, 0, v[203:204]
	s_or_b32 s1, vcc_lo, s1
	s_and_b32 exec_lo, exec_lo, s1
	s_cbranch_execz .LBB99_17
; %bb.12:
	v_cmp_ngt_f64_e64 s1, |v[201:202]|, |v[203:204]|
                                        ; implicit-def: $vgpr205_vgpr206
	s_and_saveexec_b32 s3, s1
	s_xor_b32 s1, exec_lo, s3
                                        ; implicit-def: $vgpr207_vgpr208
	s_cbranch_execz .LBB99_14
; %bb.13:
	v_div_scale_f64 v[205:206], null, v[203:204], v[203:204], v[201:202]
	v_div_scale_f64 v[211:212], vcc_lo, v[201:202], v[203:204], v[201:202]
	v_rcp_f64_e32 v[207:208], v[205:206]
	v_fma_f64 v[209:210], -v[205:206], v[207:208], 1.0
	v_fma_f64 v[207:208], v[207:208], v[209:210], v[207:208]
	v_fma_f64 v[209:210], -v[205:206], v[207:208], 1.0
	v_fma_f64 v[207:208], v[207:208], v[209:210], v[207:208]
	v_mul_f64 v[209:210], v[211:212], v[207:208]
	v_fma_f64 v[205:206], -v[205:206], v[209:210], v[211:212]
	v_div_fmas_f64 v[205:206], v[205:206], v[207:208], v[209:210]
	v_div_fixup_f64 v[205:206], v[205:206], v[203:204], v[201:202]
	v_fma_f64 v[201:202], v[201:202], v[205:206], v[203:204]
	v_div_scale_f64 v[203:204], null, v[201:202], v[201:202], 1.0
	v_rcp_f64_e32 v[207:208], v[203:204]
	v_fma_f64 v[209:210], -v[203:204], v[207:208], 1.0
	v_fma_f64 v[207:208], v[207:208], v[209:210], v[207:208]
	v_fma_f64 v[209:210], -v[203:204], v[207:208], 1.0
	v_fma_f64 v[207:208], v[207:208], v[209:210], v[207:208]
	v_div_scale_f64 v[209:210], vcc_lo, 1.0, v[201:202], 1.0
	v_mul_f64 v[211:212], v[209:210], v[207:208]
	v_fma_f64 v[203:204], -v[203:204], v[211:212], v[209:210]
	v_div_fmas_f64 v[203:204], v[203:204], v[207:208], v[211:212]
	v_div_fixup_f64 v[207:208], v[203:204], v[201:202], 1.0
                                        ; implicit-def: $vgpr201_vgpr202
	v_mul_f64 v[205:206], v[205:206], v[207:208]
	v_xor_b32_e32 v208, 0x80000000, v208
.LBB99_14:
	s_andn2_saveexec_b32 s1, s1
	s_cbranch_execz .LBB99_16
; %bb.15:
	v_div_scale_f64 v[205:206], null, v[201:202], v[201:202], v[203:204]
	v_div_scale_f64 v[211:212], vcc_lo, v[203:204], v[201:202], v[203:204]
	v_rcp_f64_e32 v[207:208], v[205:206]
	v_fma_f64 v[209:210], -v[205:206], v[207:208], 1.0
	v_fma_f64 v[207:208], v[207:208], v[209:210], v[207:208]
	v_fma_f64 v[209:210], -v[205:206], v[207:208], 1.0
	v_fma_f64 v[207:208], v[207:208], v[209:210], v[207:208]
	v_mul_f64 v[209:210], v[211:212], v[207:208]
	v_fma_f64 v[205:206], -v[205:206], v[209:210], v[211:212]
	v_div_fmas_f64 v[205:206], v[205:206], v[207:208], v[209:210]
	v_div_fixup_f64 v[207:208], v[205:206], v[201:202], v[203:204]
	v_fma_f64 v[201:202], v[203:204], v[207:208], v[201:202]
	v_div_scale_f64 v[203:204], null, v[201:202], v[201:202], 1.0
	v_rcp_f64_e32 v[205:206], v[203:204]
	v_fma_f64 v[209:210], -v[203:204], v[205:206], 1.0
	v_fma_f64 v[205:206], v[205:206], v[209:210], v[205:206]
	v_fma_f64 v[209:210], -v[203:204], v[205:206], 1.0
	v_fma_f64 v[205:206], v[205:206], v[209:210], v[205:206]
	v_div_scale_f64 v[209:210], vcc_lo, 1.0, v[201:202], 1.0
	v_mul_f64 v[211:212], v[209:210], v[205:206]
	v_fma_f64 v[203:204], -v[203:204], v[211:212], v[209:210]
	v_div_fmas_f64 v[203:204], v[203:204], v[205:206], v[211:212]
	v_div_fixup_f64 v[205:206], v[203:204], v[201:202], 1.0
	v_mul_f64 v[207:208], v[207:208], -v[205:206]
.LBB99_16:
	s_or_b32 exec_lo, exec_lo, s1
	ds_write2_b64 v255, v[205:206], v[207:208] offset1:1
.LBB99_17:
	s_or_b32 exec_lo, exec_lo, s2
	s_waitcnt lgkmcnt(0)
	s_barrier
	buffer_gl0_inv
	ds_read2_b64 v[201:204], v255 offset1:1
	s_mov_b32 s1, exec_lo
	s_waitcnt lgkmcnt(0)
	buffer_store_dword v201, off, s[16:19], 0 offset:392 ; 4-byte Folded Spill
	buffer_store_dword v202, off, s[16:19], 0 offset:396 ; 4-byte Folded Spill
	;; [unrolled: 1-line block ×4, first 2 shown]
	v_cmpx_lt_u32_e32 1, v0
	s_cbranch_execz .LBB99_19
; %bb.18:
	s_clause 0x3
	buffer_load_dword v203, off, s[16:19], 0 offset:392
	buffer_load_dword v204, off, s[16:19], 0 offset:396
	buffer_load_dword v205, off, s[16:19], 0 offset:400
	buffer_load_dword v206, off, s[16:19], 0 offset:404
	s_waitcnt vmcnt(0)
	v_mul_f64 v[201:202], v[205:206], v[195:196]
	v_mul_f64 v[195:196], v[203:204], v[195:196]
	v_fma_f64 v[201:202], v[203:204], v[193:194], -v[201:202]
	v_fma_f64 v[195:196], v[205:206], v[193:194], v[195:196]
	ds_read2_b64 v[203:206], v253 offset0:4 offset1:5
	s_waitcnt lgkmcnt(0)
	v_mul_f64 v[193:194], v[205:206], v[195:196]
	v_fma_f64 v[193:194], v[203:204], v[201:202], -v[193:194]
	v_mul_f64 v[203:204], v[203:204], v[195:196]
	v_add_f64 v[189:190], v[189:190], -v[193:194]
	v_fma_f64 v[203:204], v[205:206], v[201:202], v[203:204]
	v_add_f64 v[191:192], v[191:192], -v[203:204]
	ds_read2_b64 v[203:206], v253 offset0:6 offset1:7
	s_waitcnt lgkmcnt(0)
	v_mul_f64 v[193:194], v[205:206], v[195:196]
	v_fma_f64 v[193:194], v[203:204], v[201:202], -v[193:194]
	v_mul_f64 v[203:204], v[203:204], v[195:196]
	v_add_f64 v[185:186], v[185:186], -v[193:194]
	v_fma_f64 v[203:204], v[205:206], v[201:202], v[203:204]
	v_add_f64 v[187:188], v[187:188], -v[203:204]
	;; [unrolled: 8-line block ×47, first 2 shown]
	ds_read2_b64 v[203:206], v253 offset0:98 offset1:99
	s_waitcnt lgkmcnt(0)
	v_mul_f64 v[193:194], v[205:206], v[195:196]
	v_fma_f64 v[193:194], v[203:204], v[201:202], -v[193:194]
	v_mul_f64 v[203:204], v[203:204], v[195:196]
	v_add_f64 v[1:2], v[1:2], -v[193:194]
	v_fma_f64 v[203:204], v[205:206], v[201:202], v[203:204]
	v_mov_b32_e32 v193, v201
	v_mov_b32_e32 v194, v202
	v_add_f64 v[3:4], v[3:4], -v[203:204]
.LBB99_19:
	s_or_b32 exec_lo, exec_lo, s1
	s_mov_b32 s2, exec_lo
	s_waitcnt_vscnt null, 0x0
	s_barrier
	buffer_gl0_inv
	v_cmpx_eq_u32_e32 2, v0
	s_cbranch_execz .LBB99_26
; %bb.20:
	ds_write2_b64 v255, v[189:190], v[191:192] offset1:1
	ds_write2_b64 v253, v[185:186], v[187:188] offset0:6 offset1:7
	ds_write2_b64 v253, v[181:182], v[183:184] offset0:8 offset1:9
	;; [unrolled: 1-line block ×47, first 2 shown]
	ds_read2_b64 v[201:204], v255 offset1:1
	s_waitcnt lgkmcnt(0)
	v_cmp_neq_f64_e32 vcc_lo, 0, v[201:202]
	v_cmp_neq_f64_e64 s1, 0, v[203:204]
	s_or_b32 s1, vcc_lo, s1
	s_and_b32 exec_lo, exec_lo, s1
	s_cbranch_execz .LBB99_26
; %bb.21:
	v_cmp_ngt_f64_e64 s1, |v[201:202]|, |v[203:204]|
                                        ; implicit-def: $vgpr205_vgpr206
	s_and_saveexec_b32 s3, s1
	s_xor_b32 s1, exec_lo, s3
                                        ; implicit-def: $vgpr207_vgpr208
	s_cbranch_execz .LBB99_23
; %bb.22:
	v_div_scale_f64 v[205:206], null, v[203:204], v[203:204], v[201:202]
	v_div_scale_f64 v[211:212], vcc_lo, v[201:202], v[203:204], v[201:202]
	v_rcp_f64_e32 v[207:208], v[205:206]
	v_fma_f64 v[209:210], -v[205:206], v[207:208], 1.0
	v_fma_f64 v[207:208], v[207:208], v[209:210], v[207:208]
	v_fma_f64 v[209:210], -v[205:206], v[207:208], 1.0
	v_fma_f64 v[207:208], v[207:208], v[209:210], v[207:208]
	v_mul_f64 v[209:210], v[211:212], v[207:208]
	v_fma_f64 v[205:206], -v[205:206], v[209:210], v[211:212]
	v_div_fmas_f64 v[205:206], v[205:206], v[207:208], v[209:210]
	v_div_fixup_f64 v[205:206], v[205:206], v[203:204], v[201:202]
	v_fma_f64 v[201:202], v[201:202], v[205:206], v[203:204]
	v_div_scale_f64 v[203:204], null, v[201:202], v[201:202], 1.0
	v_rcp_f64_e32 v[207:208], v[203:204]
	v_fma_f64 v[209:210], -v[203:204], v[207:208], 1.0
	v_fma_f64 v[207:208], v[207:208], v[209:210], v[207:208]
	v_fma_f64 v[209:210], -v[203:204], v[207:208], 1.0
	v_fma_f64 v[207:208], v[207:208], v[209:210], v[207:208]
	v_div_scale_f64 v[209:210], vcc_lo, 1.0, v[201:202], 1.0
	v_mul_f64 v[211:212], v[209:210], v[207:208]
	v_fma_f64 v[203:204], -v[203:204], v[211:212], v[209:210]
	v_div_fmas_f64 v[203:204], v[203:204], v[207:208], v[211:212]
	v_div_fixup_f64 v[207:208], v[203:204], v[201:202], 1.0
                                        ; implicit-def: $vgpr201_vgpr202
	v_mul_f64 v[205:206], v[205:206], v[207:208]
	v_xor_b32_e32 v208, 0x80000000, v208
.LBB99_23:
	s_andn2_saveexec_b32 s1, s1
	s_cbranch_execz .LBB99_25
; %bb.24:
	v_div_scale_f64 v[205:206], null, v[201:202], v[201:202], v[203:204]
	v_div_scale_f64 v[211:212], vcc_lo, v[203:204], v[201:202], v[203:204]
	v_rcp_f64_e32 v[207:208], v[205:206]
	v_fma_f64 v[209:210], -v[205:206], v[207:208], 1.0
	v_fma_f64 v[207:208], v[207:208], v[209:210], v[207:208]
	v_fma_f64 v[209:210], -v[205:206], v[207:208], 1.0
	v_fma_f64 v[207:208], v[207:208], v[209:210], v[207:208]
	v_mul_f64 v[209:210], v[211:212], v[207:208]
	v_fma_f64 v[205:206], -v[205:206], v[209:210], v[211:212]
	v_div_fmas_f64 v[205:206], v[205:206], v[207:208], v[209:210]
	v_div_fixup_f64 v[207:208], v[205:206], v[201:202], v[203:204]
	v_fma_f64 v[201:202], v[203:204], v[207:208], v[201:202]
	v_div_scale_f64 v[203:204], null, v[201:202], v[201:202], 1.0
	v_rcp_f64_e32 v[205:206], v[203:204]
	v_fma_f64 v[209:210], -v[203:204], v[205:206], 1.0
	v_fma_f64 v[205:206], v[205:206], v[209:210], v[205:206]
	v_fma_f64 v[209:210], -v[203:204], v[205:206], 1.0
	v_fma_f64 v[205:206], v[205:206], v[209:210], v[205:206]
	v_div_scale_f64 v[209:210], vcc_lo, 1.0, v[201:202], 1.0
	v_mul_f64 v[211:212], v[209:210], v[205:206]
	v_fma_f64 v[203:204], -v[203:204], v[211:212], v[209:210]
	v_div_fmas_f64 v[203:204], v[203:204], v[205:206], v[211:212]
	v_div_fixup_f64 v[205:206], v[203:204], v[201:202], 1.0
	v_mul_f64 v[207:208], v[207:208], -v[205:206]
.LBB99_25:
	s_or_b32 exec_lo, exec_lo, s1
	ds_write2_b64 v255, v[205:206], v[207:208] offset1:1
.LBB99_26:
	s_or_b32 exec_lo, exec_lo, s2
	s_waitcnt lgkmcnt(0)
	s_barrier
	buffer_gl0_inv
	ds_read2_b64 v[201:204], v255 offset1:1
	s_mov_b32 s1, exec_lo
	s_waitcnt lgkmcnt(0)
	buffer_store_dword v201, off, s[16:19], 0 offset:408 ; 4-byte Folded Spill
	buffer_store_dword v202, off, s[16:19], 0 offset:412 ; 4-byte Folded Spill
	;; [unrolled: 1-line block ×4, first 2 shown]
	v_cmpx_lt_u32_e32 2, v0
	s_cbranch_execz .LBB99_28
; %bb.27:
	s_clause 0x3
	buffer_load_dword v203, off, s[16:19], 0 offset:408
	buffer_load_dword v204, off, s[16:19], 0 offset:412
	;; [unrolled: 1-line block ×4, first 2 shown]
	s_waitcnt vmcnt(0)
	v_mul_f64 v[201:202], v[205:206], v[191:192]
	v_mul_f64 v[191:192], v[203:204], v[191:192]
	v_fma_f64 v[201:202], v[203:204], v[189:190], -v[201:202]
	v_fma_f64 v[191:192], v[205:206], v[189:190], v[191:192]
	ds_read2_b64 v[203:206], v253 offset0:6 offset1:7
	s_waitcnt lgkmcnt(0)
	v_mul_f64 v[189:190], v[205:206], v[191:192]
	v_fma_f64 v[189:190], v[203:204], v[201:202], -v[189:190]
	v_mul_f64 v[203:204], v[203:204], v[191:192]
	v_add_f64 v[185:186], v[185:186], -v[189:190]
	v_fma_f64 v[203:204], v[205:206], v[201:202], v[203:204]
	v_add_f64 v[187:188], v[187:188], -v[203:204]
	ds_read2_b64 v[203:206], v253 offset0:8 offset1:9
	s_waitcnt lgkmcnt(0)
	v_mul_f64 v[189:190], v[205:206], v[191:192]
	v_fma_f64 v[189:190], v[203:204], v[201:202], -v[189:190]
	v_mul_f64 v[203:204], v[203:204], v[191:192]
	v_add_f64 v[181:182], v[181:182], -v[189:190]
	v_fma_f64 v[203:204], v[205:206], v[201:202], v[203:204]
	v_add_f64 v[183:184], v[183:184], -v[203:204]
	;; [unrolled: 8-line block ×46, first 2 shown]
	ds_read2_b64 v[203:206], v253 offset0:98 offset1:99
	s_waitcnt lgkmcnt(0)
	v_mul_f64 v[189:190], v[205:206], v[191:192]
	v_fma_f64 v[189:190], v[203:204], v[201:202], -v[189:190]
	v_mul_f64 v[203:204], v[203:204], v[191:192]
	v_add_f64 v[1:2], v[1:2], -v[189:190]
	v_fma_f64 v[203:204], v[205:206], v[201:202], v[203:204]
	v_mov_b32_e32 v189, v201
	v_mov_b32_e32 v190, v202
	v_add_f64 v[3:4], v[3:4], -v[203:204]
.LBB99_28:
	s_or_b32 exec_lo, exec_lo, s1
	s_mov_b32 s2, exec_lo
	s_waitcnt_vscnt null, 0x0
	s_barrier
	buffer_gl0_inv
	v_cmpx_eq_u32_e32 3, v0
	s_cbranch_execz .LBB99_35
; %bb.29:
	ds_write2_b64 v255, v[185:186], v[187:188] offset1:1
	ds_write2_b64 v253, v[181:182], v[183:184] offset0:8 offset1:9
	ds_write2_b64 v253, v[177:178], v[179:180] offset0:10 offset1:11
	;; [unrolled: 1-line block ×46, first 2 shown]
	ds_read2_b64 v[201:204], v255 offset1:1
	s_waitcnt lgkmcnt(0)
	v_cmp_neq_f64_e32 vcc_lo, 0, v[201:202]
	v_cmp_neq_f64_e64 s1, 0, v[203:204]
	s_or_b32 s1, vcc_lo, s1
	s_and_b32 exec_lo, exec_lo, s1
	s_cbranch_execz .LBB99_35
; %bb.30:
	v_cmp_ngt_f64_e64 s1, |v[201:202]|, |v[203:204]|
                                        ; implicit-def: $vgpr205_vgpr206
	s_and_saveexec_b32 s3, s1
	s_xor_b32 s1, exec_lo, s3
                                        ; implicit-def: $vgpr207_vgpr208
	s_cbranch_execz .LBB99_32
; %bb.31:
	v_div_scale_f64 v[205:206], null, v[203:204], v[203:204], v[201:202]
	v_div_scale_f64 v[211:212], vcc_lo, v[201:202], v[203:204], v[201:202]
	v_rcp_f64_e32 v[207:208], v[205:206]
	v_fma_f64 v[209:210], -v[205:206], v[207:208], 1.0
	v_fma_f64 v[207:208], v[207:208], v[209:210], v[207:208]
	v_fma_f64 v[209:210], -v[205:206], v[207:208], 1.0
	v_fma_f64 v[207:208], v[207:208], v[209:210], v[207:208]
	v_mul_f64 v[209:210], v[211:212], v[207:208]
	v_fma_f64 v[205:206], -v[205:206], v[209:210], v[211:212]
	v_div_fmas_f64 v[205:206], v[205:206], v[207:208], v[209:210]
	v_div_fixup_f64 v[205:206], v[205:206], v[203:204], v[201:202]
	v_fma_f64 v[201:202], v[201:202], v[205:206], v[203:204]
	v_div_scale_f64 v[203:204], null, v[201:202], v[201:202], 1.0
	v_rcp_f64_e32 v[207:208], v[203:204]
	v_fma_f64 v[209:210], -v[203:204], v[207:208], 1.0
	v_fma_f64 v[207:208], v[207:208], v[209:210], v[207:208]
	v_fma_f64 v[209:210], -v[203:204], v[207:208], 1.0
	v_fma_f64 v[207:208], v[207:208], v[209:210], v[207:208]
	v_div_scale_f64 v[209:210], vcc_lo, 1.0, v[201:202], 1.0
	v_mul_f64 v[211:212], v[209:210], v[207:208]
	v_fma_f64 v[203:204], -v[203:204], v[211:212], v[209:210]
	v_div_fmas_f64 v[203:204], v[203:204], v[207:208], v[211:212]
	v_div_fixup_f64 v[207:208], v[203:204], v[201:202], 1.0
                                        ; implicit-def: $vgpr201_vgpr202
	v_mul_f64 v[205:206], v[205:206], v[207:208]
	v_xor_b32_e32 v208, 0x80000000, v208
.LBB99_32:
	s_andn2_saveexec_b32 s1, s1
	s_cbranch_execz .LBB99_34
; %bb.33:
	v_div_scale_f64 v[205:206], null, v[201:202], v[201:202], v[203:204]
	v_div_scale_f64 v[211:212], vcc_lo, v[203:204], v[201:202], v[203:204]
	v_rcp_f64_e32 v[207:208], v[205:206]
	v_fma_f64 v[209:210], -v[205:206], v[207:208], 1.0
	v_fma_f64 v[207:208], v[207:208], v[209:210], v[207:208]
	v_fma_f64 v[209:210], -v[205:206], v[207:208], 1.0
	v_fma_f64 v[207:208], v[207:208], v[209:210], v[207:208]
	v_mul_f64 v[209:210], v[211:212], v[207:208]
	v_fma_f64 v[205:206], -v[205:206], v[209:210], v[211:212]
	v_div_fmas_f64 v[205:206], v[205:206], v[207:208], v[209:210]
	v_div_fixup_f64 v[207:208], v[205:206], v[201:202], v[203:204]
	v_fma_f64 v[201:202], v[203:204], v[207:208], v[201:202]
	v_div_scale_f64 v[203:204], null, v[201:202], v[201:202], 1.0
	v_rcp_f64_e32 v[205:206], v[203:204]
	v_fma_f64 v[209:210], -v[203:204], v[205:206], 1.0
	v_fma_f64 v[205:206], v[205:206], v[209:210], v[205:206]
	v_fma_f64 v[209:210], -v[203:204], v[205:206], 1.0
	v_fma_f64 v[205:206], v[205:206], v[209:210], v[205:206]
	v_div_scale_f64 v[209:210], vcc_lo, 1.0, v[201:202], 1.0
	v_mul_f64 v[211:212], v[209:210], v[205:206]
	v_fma_f64 v[203:204], -v[203:204], v[211:212], v[209:210]
	v_div_fmas_f64 v[203:204], v[203:204], v[205:206], v[211:212]
	v_div_fixup_f64 v[205:206], v[203:204], v[201:202], 1.0
	v_mul_f64 v[207:208], v[207:208], -v[205:206]
.LBB99_34:
	s_or_b32 exec_lo, exec_lo, s1
	ds_write2_b64 v255, v[205:206], v[207:208] offset1:1
.LBB99_35:
	s_or_b32 exec_lo, exec_lo, s2
	s_waitcnt lgkmcnt(0)
	s_barrier
	buffer_gl0_inv
	ds_read2_b64 v[201:204], v255 offset1:1
	s_mov_b32 s1, exec_lo
	s_waitcnt lgkmcnt(0)
	buffer_store_dword v201, off, s[16:19], 0 offset:424 ; 4-byte Folded Spill
	buffer_store_dword v202, off, s[16:19], 0 offset:428 ; 4-byte Folded Spill
	;; [unrolled: 1-line block ×4, first 2 shown]
	v_cmpx_lt_u32_e32 3, v0
	s_cbranch_execz .LBB99_37
; %bb.36:
	s_clause 0x3
	buffer_load_dword v203, off, s[16:19], 0 offset:424
	buffer_load_dword v204, off, s[16:19], 0 offset:428
	;; [unrolled: 1-line block ×4, first 2 shown]
	s_waitcnt vmcnt(0)
	v_mul_f64 v[201:202], v[205:206], v[187:188]
	v_mul_f64 v[187:188], v[203:204], v[187:188]
	v_fma_f64 v[201:202], v[203:204], v[185:186], -v[201:202]
	v_fma_f64 v[187:188], v[205:206], v[185:186], v[187:188]
	ds_read2_b64 v[203:206], v253 offset0:8 offset1:9
	s_waitcnt lgkmcnt(0)
	v_mul_f64 v[185:186], v[205:206], v[187:188]
	v_fma_f64 v[185:186], v[203:204], v[201:202], -v[185:186]
	v_mul_f64 v[203:204], v[203:204], v[187:188]
	v_add_f64 v[181:182], v[181:182], -v[185:186]
	v_fma_f64 v[203:204], v[205:206], v[201:202], v[203:204]
	v_add_f64 v[183:184], v[183:184], -v[203:204]
	ds_read2_b64 v[203:206], v253 offset0:10 offset1:11
	s_waitcnt lgkmcnt(0)
	v_mul_f64 v[185:186], v[205:206], v[187:188]
	v_fma_f64 v[185:186], v[203:204], v[201:202], -v[185:186]
	v_mul_f64 v[203:204], v[203:204], v[187:188]
	v_add_f64 v[177:178], v[177:178], -v[185:186]
	v_fma_f64 v[203:204], v[205:206], v[201:202], v[203:204]
	v_add_f64 v[179:180], v[179:180], -v[203:204]
	ds_read2_b64 v[203:206], v253 offset0:12 offset1:13
	s_waitcnt lgkmcnt(0)
	v_mul_f64 v[185:186], v[205:206], v[187:188]
	v_fma_f64 v[185:186], v[203:204], v[201:202], -v[185:186]
	v_mul_f64 v[203:204], v[203:204], v[187:188]
	v_add_f64 v[173:174], v[173:174], -v[185:186]
	v_fma_f64 v[203:204], v[205:206], v[201:202], v[203:204]
	v_add_f64 v[175:176], v[175:176], -v[203:204]
	ds_read2_b64 v[203:206], v253 offset0:14 offset1:15
	s_waitcnt lgkmcnt(0)
	v_mul_f64 v[185:186], v[205:206], v[187:188]
	v_fma_f64 v[185:186], v[203:204], v[201:202], -v[185:186]
	v_mul_f64 v[203:204], v[203:204], v[187:188]
	v_add_f64 v[169:170], v[169:170], -v[185:186]
	v_fma_f64 v[203:204], v[205:206], v[201:202], v[203:204]
	v_add_f64 v[171:172], v[171:172], -v[203:204]
	ds_read2_b64 v[203:206], v253 offset0:16 offset1:17
	s_waitcnt lgkmcnt(0)
	v_mul_f64 v[185:186], v[205:206], v[187:188]
	v_fma_f64 v[185:186], v[203:204], v[201:202], -v[185:186]
	v_mul_f64 v[203:204], v[203:204], v[187:188]
	v_add_f64 v[165:166], v[165:166], -v[185:186]
	v_fma_f64 v[203:204], v[205:206], v[201:202], v[203:204]
	v_add_f64 v[167:168], v[167:168], -v[203:204]
	ds_read2_b64 v[203:206], v253 offset0:18 offset1:19
	s_waitcnt lgkmcnt(0)
	v_mul_f64 v[185:186], v[205:206], v[187:188]
	v_fma_f64 v[185:186], v[203:204], v[201:202], -v[185:186]
	v_mul_f64 v[203:204], v[203:204], v[187:188]
	v_add_f64 v[161:162], v[161:162], -v[185:186]
	v_fma_f64 v[203:204], v[205:206], v[201:202], v[203:204]
	v_add_f64 v[163:164], v[163:164], -v[203:204]
	ds_read2_b64 v[203:206], v253 offset0:20 offset1:21
	s_waitcnt lgkmcnt(0)
	v_mul_f64 v[185:186], v[205:206], v[187:188]
	v_fma_f64 v[185:186], v[203:204], v[201:202], -v[185:186]
	v_mul_f64 v[203:204], v[203:204], v[187:188]
	v_add_f64 v[157:158], v[157:158], -v[185:186]
	v_fma_f64 v[203:204], v[205:206], v[201:202], v[203:204]
	v_add_f64 v[159:160], v[159:160], -v[203:204]
	ds_read2_b64 v[203:206], v253 offset0:22 offset1:23
	s_waitcnt lgkmcnt(0)
	v_mul_f64 v[185:186], v[205:206], v[187:188]
	v_fma_f64 v[185:186], v[203:204], v[201:202], -v[185:186]
	v_mul_f64 v[203:204], v[203:204], v[187:188]
	v_add_f64 v[153:154], v[153:154], -v[185:186]
	v_fma_f64 v[203:204], v[205:206], v[201:202], v[203:204]
	v_add_f64 v[155:156], v[155:156], -v[203:204]
	ds_read2_b64 v[203:206], v253 offset0:24 offset1:25
	s_waitcnt lgkmcnt(0)
	v_mul_f64 v[185:186], v[205:206], v[187:188]
	v_fma_f64 v[185:186], v[203:204], v[201:202], -v[185:186]
	v_mul_f64 v[203:204], v[203:204], v[187:188]
	v_add_f64 v[149:150], v[149:150], -v[185:186]
	v_fma_f64 v[203:204], v[205:206], v[201:202], v[203:204]
	v_add_f64 v[151:152], v[151:152], -v[203:204]
	ds_read2_b64 v[203:206], v253 offset0:26 offset1:27
	s_waitcnt lgkmcnt(0)
	v_mul_f64 v[185:186], v[205:206], v[187:188]
	v_fma_f64 v[185:186], v[203:204], v[201:202], -v[185:186]
	v_mul_f64 v[203:204], v[203:204], v[187:188]
	v_add_f64 v[145:146], v[145:146], -v[185:186]
	v_fma_f64 v[203:204], v[205:206], v[201:202], v[203:204]
	v_add_f64 v[147:148], v[147:148], -v[203:204]
	ds_read2_b64 v[203:206], v253 offset0:28 offset1:29
	s_waitcnt lgkmcnt(0)
	v_mul_f64 v[185:186], v[205:206], v[187:188]
	v_fma_f64 v[185:186], v[203:204], v[201:202], -v[185:186]
	v_mul_f64 v[203:204], v[203:204], v[187:188]
	v_add_f64 v[141:142], v[141:142], -v[185:186]
	v_fma_f64 v[203:204], v[205:206], v[201:202], v[203:204]
	v_add_f64 v[143:144], v[143:144], -v[203:204]
	ds_read2_b64 v[203:206], v253 offset0:30 offset1:31
	s_waitcnt lgkmcnt(0)
	v_mul_f64 v[185:186], v[205:206], v[187:188]
	v_fma_f64 v[185:186], v[203:204], v[201:202], -v[185:186]
	v_mul_f64 v[203:204], v[203:204], v[187:188]
	v_add_f64 v[137:138], v[137:138], -v[185:186]
	v_fma_f64 v[203:204], v[205:206], v[201:202], v[203:204]
	v_add_f64 v[139:140], v[139:140], -v[203:204]
	ds_read2_b64 v[203:206], v253 offset0:32 offset1:33
	s_waitcnt lgkmcnt(0)
	v_mul_f64 v[185:186], v[205:206], v[187:188]
	v_fma_f64 v[185:186], v[203:204], v[201:202], -v[185:186]
	v_mul_f64 v[203:204], v[203:204], v[187:188]
	v_add_f64 v[133:134], v[133:134], -v[185:186]
	v_fma_f64 v[203:204], v[205:206], v[201:202], v[203:204]
	v_add_f64 v[135:136], v[135:136], -v[203:204]
	ds_read2_b64 v[203:206], v253 offset0:34 offset1:35
	s_waitcnt lgkmcnt(0)
	v_mul_f64 v[185:186], v[205:206], v[187:188]
	v_fma_f64 v[185:186], v[203:204], v[201:202], -v[185:186]
	v_mul_f64 v[203:204], v[203:204], v[187:188]
	v_add_f64 v[129:130], v[129:130], -v[185:186]
	v_fma_f64 v[203:204], v[205:206], v[201:202], v[203:204]
	v_add_f64 v[131:132], v[131:132], -v[203:204]
	ds_read2_b64 v[203:206], v253 offset0:36 offset1:37
	s_waitcnt lgkmcnt(0)
	v_mul_f64 v[185:186], v[205:206], v[187:188]
	v_fma_f64 v[185:186], v[203:204], v[201:202], -v[185:186]
	v_mul_f64 v[203:204], v[203:204], v[187:188]
	v_add_f64 v[125:126], v[125:126], -v[185:186]
	v_fma_f64 v[203:204], v[205:206], v[201:202], v[203:204]
	v_add_f64 v[127:128], v[127:128], -v[203:204]
	ds_read2_b64 v[203:206], v253 offset0:38 offset1:39
	s_waitcnt lgkmcnt(0)
	v_mul_f64 v[185:186], v[205:206], v[187:188]
	v_fma_f64 v[185:186], v[203:204], v[201:202], -v[185:186]
	v_mul_f64 v[203:204], v[203:204], v[187:188]
	v_add_f64 v[121:122], v[121:122], -v[185:186]
	v_fma_f64 v[203:204], v[205:206], v[201:202], v[203:204]
	v_add_f64 v[123:124], v[123:124], -v[203:204]
	ds_read2_b64 v[203:206], v253 offset0:40 offset1:41
	s_waitcnt lgkmcnt(0)
	v_mul_f64 v[185:186], v[205:206], v[187:188]
	v_fma_f64 v[185:186], v[203:204], v[201:202], -v[185:186]
	v_mul_f64 v[203:204], v[203:204], v[187:188]
	v_add_f64 v[117:118], v[117:118], -v[185:186]
	v_fma_f64 v[203:204], v[205:206], v[201:202], v[203:204]
	v_add_f64 v[119:120], v[119:120], -v[203:204]
	ds_read2_b64 v[203:206], v253 offset0:42 offset1:43
	s_waitcnt lgkmcnt(0)
	v_mul_f64 v[185:186], v[205:206], v[187:188]
	v_fma_f64 v[185:186], v[203:204], v[201:202], -v[185:186]
	v_mul_f64 v[203:204], v[203:204], v[187:188]
	v_add_f64 v[113:114], v[113:114], -v[185:186]
	v_fma_f64 v[203:204], v[205:206], v[201:202], v[203:204]
	v_add_f64 v[115:116], v[115:116], -v[203:204]
	ds_read2_b64 v[203:206], v253 offset0:44 offset1:45
	s_waitcnt lgkmcnt(0)
	v_mul_f64 v[185:186], v[205:206], v[187:188]
	v_fma_f64 v[185:186], v[203:204], v[201:202], -v[185:186]
	v_mul_f64 v[203:204], v[203:204], v[187:188]
	v_add_f64 v[109:110], v[109:110], -v[185:186]
	v_fma_f64 v[203:204], v[205:206], v[201:202], v[203:204]
	v_add_f64 v[111:112], v[111:112], -v[203:204]
	ds_read2_b64 v[203:206], v253 offset0:46 offset1:47
	s_waitcnt lgkmcnt(0)
	v_mul_f64 v[185:186], v[205:206], v[187:188]
	v_fma_f64 v[185:186], v[203:204], v[201:202], -v[185:186]
	v_mul_f64 v[203:204], v[203:204], v[187:188]
	v_add_f64 v[105:106], v[105:106], -v[185:186]
	v_fma_f64 v[203:204], v[205:206], v[201:202], v[203:204]
	v_add_f64 v[107:108], v[107:108], -v[203:204]
	ds_read2_b64 v[203:206], v253 offset0:48 offset1:49
	s_waitcnt lgkmcnt(0)
	v_mul_f64 v[185:186], v[205:206], v[187:188]
	v_fma_f64 v[185:186], v[203:204], v[201:202], -v[185:186]
	v_mul_f64 v[203:204], v[203:204], v[187:188]
	v_add_f64 v[101:102], v[101:102], -v[185:186]
	v_fma_f64 v[203:204], v[205:206], v[201:202], v[203:204]
	v_add_f64 v[103:104], v[103:104], -v[203:204]
	ds_read2_b64 v[203:206], v253 offset0:50 offset1:51
	s_waitcnt lgkmcnt(0)
	v_mul_f64 v[185:186], v[205:206], v[187:188]
	v_fma_f64 v[185:186], v[203:204], v[201:202], -v[185:186]
	v_mul_f64 v[203:204], v[203:204], v[187:188]
	v_add_f64 v[97:98], v[97:98], -v[185:186]
	v_fma_f64 v[203:204], v[205:206], v[201:202], v[203:204]
	v_add_f64 v[99:100], v[99:100], -v[203:204]
	ds_read2_b64 v[203:206], v253 offset0:52 offset1:53
	s_waitcnt lgkmcnt(0)
	v_mul_f64 v[185:186], v[205:206], v[187:188]
	v_fma_f64 v[185:186], v[203:204], v[201:202], -v[185:186]
	v_mul_f64 v[203:204], v[203:204], v[187:188]
	v_add_f64 v[93:94], v[93:94], -v[185:186]
	v_fma_f64 v[203:204], v[205:206], v[201:202], v[203:204]
	v_add_f64 v[95:96], v[95:96], -v[203:204]
	ds_read2_b64 v[203:206], v253 offset0:54 offset1:55
	s_waitcnt lgkmcnt(0)
	v_mul_f64 v[185:186], v[205:206], v[187:188]
	v_fma_f64 v[185:186], v[203:204], v[201:202], -v[185:186]
	v_mul_f64 v[203:204], v[203:204], v[187:188]
	v_add_f64 v[89:90], v[89:90], -v[185:186]
	v_fma_f64 v[203:204], v[205:206], v[201:202], v[203:204]
	v_add_f64 v[91:92], v[91:92], -v[203:204]
	ds_read2_b64 v[203:206], v253 offset0:56 offset1:57
	s_waitcnt lgkmcnt(0)
	v_mul_f64 v[185:186], v[205:206], v[187:188]
	v_fma_f64 v[185:186], v[203:204], v[201:202], -v[185:186]
	v_mul_f64 v[203:204], v[203:204], v[187:188]
	v_add_f64 v[85:86], v[85:86], -v[185:186]
	v_fma_f64 v[203:204], v[205:206], v[201:202], v[203:204]
	v_add_f64 v[87:88], v[87:88], -v[203:204]
	ds_read2_b64 v[203:206], v253 offset0:58 offset1:59
	s_waitcnt lgkmcnt(0)
	v_mul_f64 v[185:186], v[205:206], v[187:188]
	v_fma_f64 v[185:186], v[203:204], v[201:202], -v[185:186]
	v_mul_f64 v[203:204], v[203:204], v[187:188]
	v_add_f64 v[81:82], v[81:82], -v[185:186]
	v_fma_f64 v[203:204], v[205:206], v[201:202], v[203:204]
	v_add_f64 v[83:84], v[83:84], -v[203:204]
	ds_read2_b64 v[203:206], v253 offset0:60 offset1:61
	s_waitcnt lgkmcnt(0)
	v_mul_f64 v[185:186], v[205:206], v[187:188]
	v_fma_f64 v[185:186], v[203:204], v[201:202], -v[185:186]
	v_mul_f64 v[203:204], v[203:204], v[187:188]
	v_add_f64 v[77:78], v[77:78], -v[185:186]
	v_fma_f64 v[203:204], v[205:206], v[201:202], v[203:204]
	v_add_f64 v[79:80], v[79:80], -v[203:204]
	ds_read2_b64 v[203:206], v253 offset0:62 offset1:63
	s_waitcnt lgkmcnt(0)
	v_mul_f64 v[185:186], v[205:206], v[187:188]
	v_fma_f64 v[185:186], v[203:204], v[201:202], -v[185:186]
	v_mul_f64 v[203:204], v[203:204], v[187:188]
	v_add_f64 v[73:74], v[73:74], -v[185:186]
	v_fma_f64 v[203:204], v[205:206], v[201:202], v[203:204]
	v_add_f64 v[75:76], v[75:76], -v[203:204]
	ds_read2_b64 v[203:206], v253 offset0:64 offset1:65
	s_waitcnt lgkmcnt(0)
	v_mul_f64 v[185:186], v[205:206], v[187:188]
	v_fma_f64 v[185:186], v[203:204], v[201:202], -v[185:186]
	v_mul_f64 v[203:204], v[203:204], v[187:188]
	v_add_f64 v[69:70], v[69:70], -v[185:186]
	v_fma_f64 v[203:204], v[205:206], v[201:202], v[203:204]
	v_add_f64 v[71:72], v[71:72], -v[203:204]
	ds_read2_b64 v[203:206], v253 offset0:66 offset1:67
	s_waitcnt lgkmcnt(0)
	v_mul_f64 v[185:186], v[205:206], v[187:188]
	v_fma_f64 v[185:186], v[203:204], v[201:202], -v[185:186]
	v_mul_f64 v[203:204], v[203:204], v[187:188]
	v_add_f64 v[65:66], v[65:66], -v[185:186]
	v_fma_f64 v[203:204], v[205:206], v[201:202], v[203:204]
	v_add_f64 v[67:68], v[67:68], -v[203:204]
	ds_read2_b64 v[203:206], v253 offset0:68 offset1:69
	s_waitcnt lgkmcnt(0)
	v_mul_f64 v[185:186], v[205:206], v[187:188]
	v_fma_f64 v[185:186], v[203:204], v[201:202], -v[185:186]
	v_mul_f64 v[203:204], v[203:204], v[187:188]
	v_add_f64 v[61:62], v[61:62], -v[185:186]
	v_fma_f64 v[203:204], v[205:206], v[201:202], v[203:204]
	v_add_f64 v[63:64], v[63:64], -v[203:204]
	ds_read2_b64 v[203:206], v253 offset0:70 offset1:71
	s_waitcnt lgkmcnt(0)
	v_mul_f64 v[185:186], v[205:206], v[187:188]
	v_fma_f64 v[185:186], v[203:204], v[201:202], -v[185:186]
	v_mul_f64 v[203:204], v[203:204], v[187:188]
	v_add_f64 v[57:58], v[57:58], -v[185:186]
	v_fma_f64 v[203:204], v[205:206], v[201:202], v[203:204]
	v_add_f64 v[59:60], v[59:60], -v[203:204]
	ds_read2_b64 v[203:206], v253 offset0:72 offset1:73
	s_waitcnt lgkmcnt(0)
	v_mul_f64 v[185:186], v[205:206], v[187:188]
	v_fma_f64 v[185:186], v[203:204], v[201:202], -v[185:186]
	v_mul_f64 v[203:204], v[203:204], v[187:188]
	v_add_f64 v[53:54], v[53:54], -v[185:186]
	v_fma_f64 v[203:204], v[205:206], v[201:202], v[203:204]
	v_add_f64 v[55:56], v[55:56], -v[203:204]
	ds_read2_b64 v[203:206], v253 offset0:74 offset1:75
	s_waitcnt lgkmcnt(0)
	v_mul_f64 v[185:186], v[205:206], v[187:188]
	v_fma_f64 v[185:186], v[203:204], v[201:202], -v[185:186]
	v_mul_f64 v[203:204], v[203:204], v[187:188]
	v_add_f64 v[49:50], v[49:50], -v[185:186]
	v_fma_f64 v[203:204], v[205:206], v[201:202], v[203:204]
	v_add_f64 v[51:52], v[51:52], -v[203:204]
	ds_read2_b64 v[203:206], v253 offset0:76 offset1:77
	s_waitcnt lgkmcnt(0)
	v_mul_f64 v[185:186], v[205:206], v[187:188]
	v_fma_f64 v[185:186], v[203:204], v[201:202], -v[185:186]
	v_mul_f64 v[203:204], v[203:204], v[187:188]
	v_add_f64 v[45:46], v[45:46], -v[185:186]
	v_fma_f64 v[203:204], v[205:206], v[201:202], v[203:204]
	v_add_f64 v[47:48], v[47:48], -v[203:204]
	ds_read2_b64 v[203:206], v253 offset0:78 offset1:79
	s_waitcnt lgkmcnt(0)
	v_mul_f64 v[185:186], v[205:206], v[187:188]
	v_fma_f64 v[185:186], v[203:204], v[201:202], -v[185:186]
	v_mul_f64 v[203:204], v[203:204], v[187:188]
	v_add_f64 v[41:42], v[41:42], -v[185:186]
	v_fma_f64 v[203:204], v[205:206], v[201:202], v[203:204]
	v_add_f64 v[43:44], v[43:44], -v[203:204]
	ds_read2_b64 v[203:206], v253 offset0:80 offset1:81
	s_waitcnt lgkmcnt(0)
	v_mul_f64 v[185:186], v[205:206], v[187:188]
	v_fma_f64 v[185:186], v[203:204], v[201:202], -v[185:186]
	v_mul_f64 v[203:204], v[203:204], v[187:188]
	v_add_f64 v[37:38], v[37:38], -v[185:186]
	v_fma_f64 v[203:204], v[205:206], v[201:202], v[203:204]
	v_add_f64 v[39:40], v[39:40], -v[203:204]
	ds_read2_b64 v[203:206], v253 offset0:82 offset1:83
	s_waitcnt lgkmcnt(0)
	v_mul_f64 v[185:186], v[205:206], v[187:188]
	v_fma_f64 v[185:186], v[203:204], v[201:202], -v[185:186]
	v_mul_f64 v[203:204], v[203:204], v[187:188]
	v_add_f64 v[33:34], v[33:34], -v[185:186]
	v_fma_f64 v[203:204], v[205:206], v[201:202], v[203:204]
	v_add_f64 v[35:36], v[35:36], -v[203:204]
	ds_read2_b64 v[203:206], v253 offset0:84 offset1:85
	s_waitcnt lgkmcnt(0)
	v_mul_f64 v[185:186], v[205:206], v[187:188]
	v_fma_f64 v[185:186], v[203:204], v[201:202], -v[185:186]
	v_mul_f64 v[203:204], v[203:204], v[187:188]
	v_add_f64 v[29:30], v[29:30], -v[185:186]
	v_fma_f64 v[203:204], v[205:206], v[201:202], v[203:204]
	v_add_f64 v[31:32], v[31:32], -v[203:204]
	ds_read2_b64 v[203:206], v253 offset0:86 offset1:87
	s_waitcnt lgkmcnt(0)
	v_mul_f64 v[185:186], v[205:206], v[187:188]
	v_fma_f64 v[185:186], v[203:204], v[201:202], -v[185:186]
	v_mul_f64 v[203:204], v[203:204], v[187:188]
	v_add_f64 v[25:26], v[25:26], -v[185:186]
	v_fma_f64 v[203:204], v[205:206], v[201:202], v[203:204]
	v_add_f64 v[27:28], v[27:28], -v[203:204]
	ds_read2_b64 v[203:206], v253 offset0:88 offset1:89
	s_waitcnt lgkmcnt(0)
	v_mul_f64 v[185:186], v[205:206], v[187:188]
	v_fma_f64 v[185:186], v[203:204], v[201:202], -v[185:186]
	v_mul_f64 v[203:204], v[203:204], v[187:188]
	v_add_f64 v[21:22], v[21:22], -v[185:186]
	v_fma_f64 v[203:204], v[205:206], v[201:202], v[203:204]
	v_add_f64 v[23:24], v[23:24], -v[203:204]
	ds_read2_b64 v[203:206], v253 offset0:90 offset1:91
	s_waitcnt lgkmcnt(0)
	v_mul_f64 v[185:186], v[205:206], v[187:188]
	v_fma_f64 v[185:186], v[203:204], v[201:202], -v[185:186]
	v_mul_f64 v[203:204], v[203:204], v[187:188]
	v_add_f64 v[17:18], v[17:18], -v[185:186]
	v_fma_f64 v[203:204], v[205:206], v[201:202], v[203:204]
	v_add_f64 v[19:20], v[19:20], -v[203:204]
	ds_read2_b64 v[203:206], v253 offset0:92 offset1:93
	s_waitcnt lgkmcnt(0)
	v_mul_f64 v[185:186], v[205:206], v[187:188]
	v_fma_f64 v[185:186], v[203:204], v[201:202], -v[185:186]
	v_mul_f64 v[203:204], v[203:204], v[187:188]
	v_add_f64 v[13:14], v[13:14], -v[185:186]
	v_fma_f64 v[203:204], v[205:206], v[201:202], v[203:204]
	v_add_f64 v[15:16], v[15:16], -v[203:204]
	ds_read2_b64 v[203:206], v253 offset0:94 offset1:95
	s_waitcnt lgkmcnt(0)
	v_mul_f64 v[185:186], v[205:206], v[187:188]
	v_fma_f64 v[185:186], v[203:204], v[201:202], -v[185:186]
	v_mul_f64 v[203:204], v[203:204], v[187:188]
	v_add_f64 v[9:10], v[9:10], -v[185:186]
	v_fma_f64 v[203:204], v[205:206], v[201:202], v[203:204]
	v_add_f64 v[11:12], v[11:12], -v[203:204]
	ds_read2_b64 v[203:206], v253 offset0:96 offset1:97
	s_waitcnt lgkmcnt(0)
	v_mul_f64 v[185:186], v[205:206], v[187:188]
	v_fma_f64 v[185:186], v[203:204], v[201:202], -v[185:186]
	v_mul_f64 v[203:204], v[203:204], v[187:188]
	v_add_f64 v[5:6], v[5:6], -v[185:186]
	v_fma_f64 v[203:204], v[205:206], v[201:202], v[203:204]
	v_add_f64 v[7:8], v[7:8], -v[203:204]
	ds_read2_b64 v[203:206], v253 offset0:98 offset1:99
	s_waitcnt lgkmcnt(0)
	v_mul_f64 v[185:186], v[205:206], v[187:188]
	v_fma_f64 v[185:186], v[203:204], v[201:202], -v[185:186]
	v_mul_f64 v[203:204], v[203:204], v[187:188]
	v_add_f64 v[1:2], v[1:2], -v[185:186]
	v_fma_f64 v[203:204], v[205:206], v[201:202], v[203:204]
	v_mov_b32_e32 v185, v201
	v_mov_b32_e32 v186, v202
	v_add_f64 v[3:4], v[3:4], -v[203:204]
.LBB99_37:
	s_or_b32 exec_lo, exec_lo, s1
	s_mov_b32 s2, exec_lo
	s_waitcnt_vscnt null, 0x0
	s_barrier
	buffer_gl0_inv
	v_cmpx_eq_u32_e32 4, v0
	s_cbranch_execz .LBB99_44
; %bb.38:
	ds_write2_b64 v255, v[181:182], v[183:184] offset1:1
	ds_write2_b64 v253, v[177:178], v[179:180] offset0:10 offset1:11
	ds_write2_b64 v253, v[173:174], v[175:176] offset0:12 offset1:13
	;; [unrolled: 1-line block ×45, first 2 shown]
	ds_read2_b64 v[201:204], v255 offset1:1
	s_waitcnt lgkmcnt(0)
	v_cmp_neq_f64_e32 vcc_lo, 0, v[201:202]
	v_cmp_neq_f64_e64 s1, 0, v[203:204]
	s_or_b32 s1, vcc_lo, s1
	s_and_b32 exec_lo, exec_lo, s1
	s_cbranch_execz .LBB99_44
; %bb.39:
	v_cmp_ngt_f64_e64 s1, |v[201:202]|, |v[203:204]|
                                        ; implicit-def: $vgpr205_vgpr206
	s_and_saveexec_b32 s3, s1
	s_xor_b32 s1, exec_lo, s3
                                        ; implicit-def: $vgpr207_vgpr208
	s_cbranch_execz .LBB99_41
; %bb.40:
	v_div_scale_f64 v[205:206], null, v[203:204], v[203:204], v[201:202]
	v_div_scale_f64 v[211:212], vcc_lo, v[201:202], v[203:204], v[201:202]
	v_rcp_f64_e32 v[207:208], v[205:206]
	v_fma_f64 v[209:210], -v[205:206], v[207:208], 1.0
	v_fma_f64 v[207:208], v[207:208], v[209:210], v[207:208]
	v_fma_f64 v[209:210], -v[205:206], v[207:208], 1.0
	v_fma_f64 v[207:208], v[207:208], v[209:210], v[207:208]
	v_mul_f64 v[209:210], v[211:212], v[207:208]
	v_fma_f64 v[205:206], -v[205:206], v[209:210], v[211:212]
	v_div_fmas_f64 v[205:206], v[205:206], v[207:208], v[209:210]
	v_div_fixup_f64 v[205:206], v[205:206], v[203:204], v[201:202]
	v_fma_f64 v[201:202], v[201:202], v[205:206], v[203:204]
	v_div_scale_f64 v[203:204], null, v[201:202], v[201:202], 1.0
	v_rcp_f64_e32 v[207:208], v[203:204]
	v_fma_f64 v[209:210], -v[203:204], v[207:208], 1.0
	v_fma_f64 v[207:208], v[207:208], v[209:210], v[207:208]
	v_fma_f64 v[209:210], -v[203:204], v[207:208], 1.0
	v_fma_f64 v[207:208], v[207:208], v[209:210], v[207:208]
	v_div_scale_f64 v[209:210], vcc_lo, 1.0, v[201:202], 1.0
	v_mul_f64 v[211:212], v[209:210], v[207:208]
	v_fma_f64 v[203:204], -v[203:204], v[211:212], v[209:210]
	v_div_fmas_f64 v[203:204], v[203:204], v[207:208], v[211:212]
	v_div_fixup_f64 v[207:208], v[203:204], v[201:202], 1.0
                                        ; implicit-def: $vgpr201_vgpr202
	v_mul_f64 v[205:206], v[205:206], v[207:208]
	v_xor_b32_e32 v208, 0x80000000, v208
.LBB99_41:
	s_andn2_saveexec_b32 s1, s1
	s_cbranch_execz .LBB99_43
; %bb.42:
	v_div_scale_f64 v[205:206], null, v[201:202], v[201:202], v[203:204]
	v_div_scale_f64 v[211:212], vcc_lo, v[203:204], v[201:202], v[203:204]
	v_rcp_f64_e32 v[207:208], v[205:206]
	v_fma_f64 v[209:210], -v[205:206], v[207:208], 1.0
	v_fma_f64 v[207:208], v[207:208], v[209:210], v[207:208]
	v_fma_f64 v[209:210], -v[205:206], v[207:208], 1.0
	v_fma_f64 v[207:208], v[207:208], v[209:210], v[207:208]
	v_mul_f64 v[209:210], v[211:212], v[207:208]
	v_fma_f64 v[205:206], -v[205:206], v[209:210], v[211:212]
	v_div_fmas_f64 v[205:206], v[205:206], v[207:208], v[209:210]
	v_div_fixup_f64 v[207:208], v[205:206], v[201:202], v[203:204]
	v_fma_f64 v[201:202], v[203:204], v[207:208], v[201:202]
	v_div_scale_f64 v[203:204], null, v[201:202], v[201:202], 1.0
	v_rcp_f64_e32 v[205:206], v[203:204]
	v_fma_f64 v[209:210], -v[203:204], v[205:206], 1.0
	v_fma_f64 v[205:206], v[205:206], v[209:210], v[205:206]
	v_fma_f64 v[209:210], -v[203:204], v[205:206], 1.0
	v_fma_f64 v[205:206], v[205:206], v[209:210], v[205:206]
	v_div_scale_f64 v[209:210], vcc_lo, 1.0, v[201:202], 1.0
	v_mul_f64 v[211:212], v[209:210], v[205:206]
	v_fma_f64 v[203:204], -v[203:204], v[211:212], v[209:210]
	v_div_fmas_f64 v[203:204], v[203:204], v[205:206], v[211:212]
	v_div_fixup_f64 v[205:206], v[203:204], v[201:202], 1.0
	v_mul_f64 v[207:208], v[207:208], -v[205:206]
.LBB99_43:
	s_or_b32 exec_lo, exec_lo, s1
	ds_write2_b64 v255, v[205:206], v[207:208] offset1:1
.LBB99_44:
	s_or_b32 exec_lo, exec_lo, s2
	s_waitcnt lgkmcnt(0)
	s_barrier
	buffer_gl0_inv
	ds_read2_b64 v[201:204], v255 offset1:1
	s_mov_b32 s1, exec_lo
	s_waitcnt lgkmcnt(0)
	buffer_store_dword v201, off, s[16:19], 0 offset:440 ; 4-byte Folded Spill
	buffer_store_dword v202, off, s[16:19], 0 offset:444 ; 4-byte Folded Spill
	;; [unrolled: 1-line block ×4, first 2 shown]
	v_cmpx_lt_u32_e32 4, v0
	s_cbranch_execz .LBB99_46
; %bb.45:
	s_clause 0x3
	buffer_load_dword v203, off, s[16:19], 0 offset:440
	buffer_load_dword v204, off, s[16:19], 0 offset:444
	;; [unrolled: 1-line block ×4, first 2 shown]
	s_waitcnt vmcnt(0)
	v_mul_f64 v[201:202], v[205:206], v[183:184]
	v_mul_f64 v[183:184], v[203:204], v[183:184]
	v_fma_f64 v[201:202], v[203:204], v[181:182], -v[201:202]
	v_fma_f64 v[183:184], v[205:206], v[181:182], v[183:184]
	ds_read2_b64 v[203:206], v253 offset0:10 offset1:11
	s_waitcnt lgkmcnt(0)
	v_mul_f64 v[181:182], v[205:206], v[183:184]
	v_fma_f64 v[181:182], v[203:204], v[201:202], -v[181:182]
	v_mul_f64 v[203:204], v[203:204], v[183:184]
	v_add_f64 v[177:178], v[177:178], -v[181:182]
	v_fma_f64 v[203:204], v[205:206], v[201:202], v[203:204]
	v_add_f64 v[179:180], v[179:180], -v[203:204]
	ds_read2_b64 v[203:206], v253 offset0:12 offset1:13
	s_waitcnt lgkmcnt(0)
	v_mul_f64 v[181:182], v[205:206], v[183:184]
	v_fma_f64 v[181:182], v[203:204], v[201:202], -v[181:182]
	v_mul_f64 v[203:204], v[203:204], v[183:184]
	v_add_f64 v[173:174], v[173:174], -v[181:182]
	v_fma_f64 v[203:204], v[205:206], v[201:202], v[203:204]
	v_add_f64 v[175:176], v[175:176], -v[203:204]
	;; [unrolled: 8-line block ×44, first 2 shown]
	ds_read2_b64 v[203:206], v253 offset0:98 offset1:99
	s_waitcnt lgkmcnt(0)
	v_mul_f64 v[181:182], v[205:206], v[183:184]
	v_fma_f64 v[181:182], v[203:204], v[201:202], -v[181:182]
	v_mul_f64 v[203:204], v[203:204], v[183:184]
	v_add_f64 v[1:2], v[1:2], -v[181:182]
	v_fma_f64 v[203:204], v[205:206], v[201:202], v[203:204]
	v_mov_b32_e32 v181, v201
	v_mov_b32_e32 v182, v202
	v_add_f64 v[3:4], v[3:4], -v[203:204]
.LBB99_46:
	s_or_b32 exec_lo, exec_lo, s1
	s_mov_b32 s2, exec_lo
	s_waitcnt_vscnt null, 0x0
	s_barrier
	buffer_gl0_inv
	v_cmpx_eq_u32_e32 5, v0
	s_cbranch_execz .LBB99_53
; %bb.47:
	ds_write2_b64 v255, v[177:178], v[179:180] offset1:1
	ds_write2_b64 v253, v[173:174], v[175:176] offset0:12 offset1:13
	ds_write2_b64 v253, v[169:170], v[171:172] offset0:14 offset1:15
	;; [unrolled: 1-line block ×44, first 2 shown]
	ds_read2_b64 v[201:204], v255 offset1:1
	s_waitcnt lgkmcnt(0)
	v_cmp_neq_f64_e32 vcc_lo, 0, v[201:202]
	v_cmp_neq_f64_e64 s1, 0, v[203:204]
	s_or_b32 s1, vcc_lo, s1
	s_and_b32 exec_lo, exec_lo, s1
	s_cbranch_execz .LBB99_53
; %bb.48:
	v_cmp_ngt_f64_e64 s1, |v[201:202]|, |v[203:204]|
                                        ; implicit-def: $vgpr205_vgpr206
	s_and_saveexec_b32 s3, s1
	s_xor_b32 s1, exec_lo, s3
                                        ; implicit-def: $vgpr207_vgpr208
	s_cbranch_execz .LBB99_50
; %bb.49:
	v_div_scale_f64 v[205:206], null, v[203:204], v[203:204], v[201:202]
	v_div_scale_f64 v[211:212], vcc_lo, v[201:202], v[203:204], v[201:202]
	v_rcp_f64_e32 v[207:208], v[205:206]
	v_fma_f64 v[209:210], -v[205:206], v[207:208], 1.0
	v_fma_f64 v[207:208], v[207:208], v[209:210], v[207:208]
	v_fma_f64 v[209:210], -v[205:206], v[207:208], 1.0
	v_fma_f64 v[207:208], v[207:208], v[209:210], v[207:208]
	v_mul_f64 v[209:210], v[211:212], v[207:208]
	v_fma_f64 v[205:206], -v[205:206], v[209:210], v[211:212]
	v_div_fmas_f64 v[205:206], v[205:206], v[207:208], v[209:210]
	v_div_fixup_f64 v[205:206], v[205:206], v[203:204], v[201:202]
	v_fma_f64 v[201:202], v[201:202], v[205:206], v[203:204]
	v_div_scale_f64 v[203:204], null, v[201:202], v[201:202], 1.0
	v_rcp_f64_e32 v[207:208], v[203:204]
	v_fma_f64 v[209:210], -v[203:204], v[207:208], 1.0
	v_fma_f64 v[207:208], v[207:208], v[209:210], v[207:208]
	v_fma_f64 v[209:210], -v[203:204], v[207:208], 1.0
	v_fma_f64 v[207:208], v[207:208], v[209:210], v[207:208]
	v_div_scale_f64 v[209:210], vcc_lo, 1.0, v[201:202], 1.0
	v_mul_f64 v[211:212], v[209:210], v[207:208]
	v_fma_f64 v[203:204], -v[203:204], v[211:212], v[209:210]
	v_div_fmas_f64 v[203:204], v[203:204], v[207:208], v[211:212]
	v_div_fixup_f64 v[207:208], v[203:204], v[201:202], 1.0
                                        ; implicit-def: $vgpr201_vgpr202
	v_mul_f64 v[205:206], v[205:206], v[207:208]
	v_xor_b32_e32 v208, 0x80000000, v208
.LBB99_50:
	s_andn2_saveexec_b32 s1, s1
	s_cbranch_execz .LBB99_52
; %bb.51:
	v_div_scale_f64 v[205:206], null, v[201:202], v[201:202], v[203:204]
	v_div_scale_f64 v[211:212], vcc_lo, v[203:204], v[201:202], v[203:204]
	v_rcp_f64_e32 v[207:208], v[205:206]
	v_fma_f64 v[209:210], -v[205:206], v[207:208], 1.0
	v_fma_f64 v[207:208], v[207:208], v[209:210], v[207:208]
	v_fma_f64 v[209:210], -v[205:206], v[207:208], 1.0
	v_fma_f64 v[207:208], v[207:208], v[209:210], v[207:208]
	v_mul_f64 v[209:210], v[211:212], v[207:208]
	v_fma_f64 v[205:206], -v[205:206], v[209:210], v[211:212]
	v_div_fmas_f64 v[205:206], v[205:206], v[207:208], v[209:210]
	v_div_fixup_f64 v[207:208], v[205:206], v[201:202], v[203:204]
	v_fma_f64 v[201:202], v[203:204], v[207:208], v[201:202]
	v_div_scale_f64 v[203:204], null, v[201:202], v[201:202], 1.0
	v_rcp_f64_e32 v[205:206], v[203:204]
	v_fma_f64 v[209:210], -v[203:204], v[205:206], 1.0
	v_fma_f64 v[205:206], v[205:206], v[209:210], v[205:206]
	v_fma_f64 v[209:210], -v[203:204], v[205:206], 1.0
	v_fma_f64 v[205:206], v[205:206], v[209:210], v[205:206]
	v_div_scale_f64 v[209:210], vcc_lo, 1.0, v[201:202], 1.0
	v_mul_f64 v[211:212], v[209:210], v[205:206]
	v_fma_f64 v[203:204], -v[203:204], v[211:212], v[209:210]
	v_div_fmas_f64 v[203:204], v[203:204], v[205:206], v[211:212]
	v_div_fixup_f64 v[205:206], v[203:204], v[201:202], 1.0
	v_mul_f64 v[207:208], v[207:208], -v[205:206]
.LBB99_52:
	s_or_b32 exec_lo, exec_lo, s1
	ds_write2_b64 v255, v[205:206], v[207:208] offset1:1
.LBB99_53:
	s_or_b32 exec_lo, exec_lo, s2
	s_waitcnt lgkmcnt(0)
	s_barrier
	buffer_gl0_inv
	ds_read2_b64 v[201:204], v255 offset1:1
	s_mov_b32 s1, exec_lo
	s_waitcnt lgkmcnt(0)
	buffer_store_dword v201, off, s[16:19], 0 offset:456 ; 4-byte Folded Spill
	buffer_store_dword v202, off, s[16:19], 0 offset:460 ; 4-byte Folded Spill
	;; [unrolled: 1-line block ×4, first 2 shown]
	v_cmpx_lt_u32_e32 5, v0
	s_cbranch_execz .LBB99_55
; %bb.54:
	s_clause 0x3
	buffer_load_dword v203, off, s[16:19], 0 offset:456
	buffer_load_dword v204, off, s[16:19], 0 offset:460
	;; [unrolled: 1-line block ×4, first 2 shown]
	s_waitcnt vmcnt(0)
	v_mul_f64 v[201:202], v[205:206], v[179:180]
	v_mul_f64 v[179:180], v[203:204], v[179:180]
	v_fma_f64 v[201:202], v[203:204], v[177:178], -v[201:202]
	v_fma_f64 v[179:180], v[205:206], v[177:178], v[179:180]
	ds_read2_b64 v[203:206], v253 offset0:12 offset1:13
	s_waitcnt lgkmcnt(0)
	v_mul_f64 v[177:178], v[205:206], v[179:180]
	v_fma_f64 v[177:178], v[203:204], v[201:202], -v[177:178]
	v_mul_f64 v[203:204], v[203:204], v[179:180]
	v_add_f64 v[173:174], v[173:174], -v[177:178]
	v_fma_f64 v[203:204], v[205:206], v[201:202], v[203:204]
	v_add_f64 v[175:176], v[175:176], -v[203:204]
	ds_read2_b64 v[203:206], v253 offset0:14 offset1:15
	s_waitcnt lgkmcnt(0)
	v_mul_f64 v[177:178], v[205:206], v[179:180]
	v_fma_f64 v[177:178], v[203:204], v[201:202], -v[177:178]
	v_mul_f64 v[203:204], v[203:204], v[179:180]
	v_add_f64 v[169:170], v[169:170], -v[177:178]
	v_fma_f64 v[203:204], v[205:206], v[201:202], v[203:204]
	v_add_f64 v[171:172], v[171:172], -v[203:204]
	;; [unrolled: 8-line block ×43, first 2 shown]
	ds_read2_b64 v[203:206], v253 offset0:98 offset1:99
	s_waitcnt lgkmcnt(0)
	v_mul_f64 v[177:178], v[205:206], v[179:180]
	v_fma_f64 v[177:178], v[203:204], v[201:202], -v[177:178]
	v_mul_f64 v[203:204], v[203:204], v[179:180]
	v_add_f64 v[1:2], v[1:2], -v[177:178]
	v_fma_f64 v[203:204], v[205:206], v[201:202], v[203:204]
	v_mov_b32_e32 v177, v201
	v_mov_b32_e32 v178, v202
	v_add_f64 v[3:4], v[3:4], -v[203:204]
.LBB99_55:
	s_or_b32 exec_lo, exec_lo, s1
	s_mov_b32 s2, exec_lo
	s_waitcnt_vscnt null, 0x0
	s_barrier
	buffer_gl0_inv
	v_cmpx_eq_u32_e32 6, v0
	s_cbranch_execz .LBB99_62
; %bb.56:
	ds_write2_b64 v255, v[173:174], v[175:176] offset1:1
	ds_write2_b64 v253, v[169:170], v[171:172] offset0:14 offset1:15
	ds_write2_b64 v253, v[165:166], v[167:168] offset0:16 offset1:17
	;; [unrolled: 1-line block ×43, first 2 shown]
	ds_read2_b64 v[201:204], v255 offset1:1
	s_waitcnt lgkmcnt(0)
	v_cmp_neq_f64_e32 vcc_lo, 0, v[201:202]
	v_cmp_neq_f64_e64 s1, 0, v[203:204]
	s_or_b32 s1, vcc_lo, s1
	s_and_b32 exec_lo, exec_lo, s1
	s_cbranch_execz .LBB99_62
; %bb.57:
	v_cmp_ngt_f64_e64 s1, |v[201:202]|, |v[203:204]|
                                        ; implicit-def: $vgpr205_vgpr206
	s_and_saveexec_b32 s3, s1
	s_xor_b32 s1, exec_lo, s3
                                        ; implicit-def: $vgpr207_vgpr208
	s_cbranch_execz .LBB99_59
; %bb.58:
	v_div_scale_f64 v[205:206], null, v[203:204], v[203:204], v[201:202]
	v_div_scale_f64 v[211:212], vcc_lo, v[201:202], v[203:204], v[201:202]
	v_rcp_f64_e32 v[207:208], v[205:206]
	v_fma_f64 v[209:210], -v[205:206], v[207:208], 1.0
	v_fma_f64 v[207:208], v[207:208], v[209:210], v[207:208]
	v_fma_f64 v[209:210], -v[205:206], v[207:208], 1.0
	v_fma_f64 v[207:208], v[207:208], v[209:210], v[207:208]
	v_mul_f64 v[209:210], v[211:212], v[207:208]
	v_fma_f64 v[205:206], -v[205:206], v[209:210], v[211:212]
	v_div_fmas_f64 v[205:206], v[205:206], v[207:208], v[209:210]
	v_div_fixup_f64 v[205:206], v[205:206], v[203:204], v[201:202]
	v_fma_f64 v[201:202], v[201:202], v[205:206], v[203:204]
	v_div_scale_f64 v[203:204], null, v[201:202], v[201:202], 1.0
	v_rcp_f64_e32 v[207:208], v[203:204]
	v_fma_f64 v[209:210], -v[203:204], v[207:208], 1.0
	v_fma_f64 v[207:208], v[207:208], v[209:210], v[207:208]
	v_fma_f64 v[209:210], -v[203:204], v[207:208], 1.0
	v_fma_f64 v[207:208], v[207:208], v[209:210], v[207:208]
	v_div_scale_f64 v[209:210], vcc_lo, 1.0, v[201:202], 1.0
	v_mul_f64 v[211:212], v[209:210], v[207:208]
	v_fma_f64 v[203:204], -v[203:204], v[211:212], v[209:210]
	v_div_fmas_f64 v[203:204], v[203:204], v[207:208], v[211:212]
	v_div_fixup_f64 v[207:208], v[203:204], v[201:202], 1.0
                                        ; implicit-def: $vgpr201_vgpr202
	v_mul_f64 v[205:206], v[205:206], v[207:208]
	v_xor_b32_e32 v208, 0x80000000, v208
.LBB99_59:
	s_andn2_saveexec_b32 s1, s1
	s_cbranch_execz .LBB99_61
; %bb.60:
	v_div_scale_f64 v[205:206], null, v[201:202], v[201:202], v[203:204]
	v_div_scale_f64 v[211:212], vcc_lo, v[203:204], v[201:202], v[203:204]
	v_rcp_f64_e32 v[207:208], v[205:206]
	v_fma_f64 v[209:210], -v[205:206], v[207:208], 1.0
	v_fma_f64 v[207:208], v[207:208], v[209:210], v[207:208]
	v_fma_f64 v[209:210], -v[205:206], v[207:208], 1.0
	v_fma_f64 v[207:208], v[207:208], v[209:210], v[207:208]
	v_mul_f64 v[209:210], v[211:212], v[207:208]
	v_fma_f64 v[205:206], -v[205:206], v[209:210], v[211:212]
	v_div_fmas_f64 v[205:206], v[205:206], v[207:208], v[209:210]
	v_div_fixup_f64 v[207:208], v[205:206], v[201:202], v[203:204]
	v_fma_f64 v[201:202], v[203:204], v[207:208], v[201:202]
	v_div_scale_f64 v[203:204], null, v[201:202], v[201:202], 1.0
	v_rcp_f64_e32 v[205:206], v[203:204]
	v_fma_f64 v[209:210], -v[203:204], v[205:206], 1.0
	v_fma_f64 v[205:206], v[205:206], v[209:210], v[205:206]
	v_fma_f64 v[209:210], -v[203:204], v[205:206], 1.0
	v_fma_f64 v[205:206], v[205:206], v[209:210], v[205:206]
	v_div_scale_f64 v[209:210], vcc_lo, 1.0, v[201:202], 1.0
	v_mul_f64 v[211:212], v[209:210], v[205:206]
	v_fma_f64 v[203:204], -v[203:204], v[211:212], v[209:210]
	v_div_fmas_f64 v[203:204], v[203:204], v[205:206], v[211:212]
	v_div_fixup_f64 v[205:206], v[203:204], v[201:202], 1.0
	v_mul_f64 v[207:208], v[207:208], -v[205:206]
.LBB99_61:
	s_or_b32 exec_lo, exec_lo, s1
	ds_write2_b64 v255, v[205:206], v[207:208] offset1:1
.LBB99_62:
	s_or_b32 exec_lo, exec_lo, s2
	s_waitcnt lgkmcnt(0)
	s_barrier
	buffer_gl0_inv
	ds_read2_b64 v[201:204], v255 offset1:1
	s_mov_b32 s1, exec_lo
	s_waitcnt lgkmcnt(0)
	buffer_store_dword v201, off, s[16:19], 0 offset:472 ; 4-byte Folded Spill
	buffer_store_dword v202, off, s[16:19], 0 offset:476 ; 4-byte Folded Spill
	;; [unrolled: 1-line block ×4, first 2 shown]
	v_cmpx_lt_u32_e32 6, v0
	s_cbranch_execz .LBB99_64
; %bb.63:
	s_clause 0x3
	buffer_load_dword v203, off, s[16:19], 0 offset:472
	buffer_load_dword v204, off, s[16:19], 0 offset:476
	;; [unrolled: 1-line block ×4, first 2 shown]
	s_waitcnt vmcnt(0)
	v_mul_f64 v[201:202], v[205:206], v[175:176]
	v_mul_f64 v[175:176], v[203:204], v[175:176]
	v_fma_f64 v[201:202], v[203:204], v[173:174], -v[201:202]
	v_fma_f64 v[175:176], v[205:206], v[173:174], v[175:176]
	ds_read2_b64 v[203:206], v253 offset0:14 offset1:15
	s_waitcnt lgkmcnt(0)
	v_mul_f64 v[173:174], v[205:206], v[175:176]
	v_fma_f64 v[173:174], v[203:204], v[201:202], -v[173:174]
	v_mul_f64 v[203:204], v[203:204], v[175:176]
	v_add_f64 v[169:170], v[169:170], -v[173:174]
	v_fma_f64 v[203:204], v[205:206], v[201:202], v[203:204]
	v_add_f64 v[171:172], v[171:172], -v[203:204]
	ds_read2_b64 v[203:206], v253 offset0:16 offset1:17
	s_waitcnt lgkmcnt(0)
	v_mul_f64 v[173:174], v[205:206], v[175:176]
	v_fma_f64 v[173:174], v[203:204], v[201:202], -v[173:174]
	v_mul_f64 v[203:204], v[203:204], v[175:176]
	v_add_f64 v[165:166], v[165:166], -v[173:174]
	v_fma_f64 v[203:204], v[205:206], v[201:202], v[203:204]
	v_add_f64 v[167:168], v[167:168], -v[203:204]
	;; [unrolled: 8-line block ×42, first 2 shown]
	ds_read2_b64 v[203:206], v253 offset0:98 offset1:99
	s_waitcnt lgkmcnt(0)
	v_mul_f64 v[173:174], v[205:206], v[175:176]
	v_fma_f64 v[173:174], v[203:204], v[201:202], -v[173:174]
	v_mul_f64 v[203:204], v[203:204], v[175:176]
	v_add_f64 v[1:2], v[1:2], -v[173:174]
	v_fma_f64 v[203:204], v[205:206], v[201:202], v[203:204]
	v_mov_b32_e32 v173, v201
	v_mov_b32_e32 v174, v202
	v_add_f64 v[3:4], v[3:4], -v[203:204]
.LBB99_64:
	s_or_b32 exec_lo, exec_lo, s1
	s_mov_b32 s2, exec_lo
	s_waitcnt_vscnt null, 0x0
	s_barrier
	buffer_gl0_inv
	v_cmpx_eq_u32_e32 7, v0
	s_cbranch_execz .LBB99_71
; %bb.65:
	ds_write2_b64 v255, v[169:170], v[171:172] offset1:1
	ds_write2_b64 v253, v[165:166], v[167:168] offset0:16 offset1:17
	ds_write2_b64 v253, v[161:162], v[163:164] offset0:18 offset1:19
	;; [unrolled: 1-line block ×42, first 2 shown]
	ds_read2_b64 v[201:204], v255 offset1:1
	s_waitcnt lgkmcnt(0)
	v_cmp_neq_f64_e32 vcc_lo, 0, v[201:202]
	v_cmp_neq_f64_e64 s1, 0, v[203:204]
	s_or_b32 s1, vcc_lo, s1
	s_and_b32 exec_lo, exec_lo, s1
	s_cbranch_execz .LBB99_71
; %bb.66:
	v_cmp_ngt_f64_e64 s1, |v[201:202]|, |v[203:204]|
                                        ; implicit-def: $vgpr205_vgpr206
	s_and_saveexec_b32 s3, s1
	s_xor_b32 s1, exec_lo, s3
                                        ; implicit-def: $vgpr207_vgpr208
	s_cbranch_execz .LBB99_68
; %bb.67:
	v_div_scale_f64 v[205:206], null, v[203:204], v[203:204], v[201:202]
	v_div_scale_f64 v[211:212], vcc_lo, v[201:202], v[203:204], v[201:202]
	v_rcp_f64_e32 v[207:208], v[205:206]
	v_fma_f64 v[209:210], -v[205:206], v[207:208], 1.0
	v_fma_f64 v[207:208], v[207:208], v[209:210], v[207:208]
	v_fma_f64 v[209:210], -v[205:206], v[207:208], 1.0
	v_fma_f64 v[207:208], v[207:208], v[209:210], v[207:208]
	v_mul_f64 v[209:210], v[211:212], v[207:208]
	v_fma_f64 v[205:206], -v[205:206], v[209:210], v[211:212]
	v_div_fmas_f64 v[205:206], v[205:206], v[207:208], v[209:210]
	v_div_fixup_f64 v[205:206], v[205:206], v[203:204], v[201:202]
	v_fma_f64 v[201:202], v[201:202], v[205:206], v[203:204]
	v_div_scale_f64 v[203:204], null, v[201:202], v[201:202], 1.0
	v_rcp_f64_e32 v[207:208], v[203:204]
	v_fma_f64 v[209:210], -v[203:204], v[207:208], 1.0
	v_fma_f64 v[207:208], v[207:208], v[209:210], v[207:208]
	v_fma_f64 v[209:210], -v[203:204], v[207:208], 1.0
	v_fma_f64 v[207:208], v[207:208], v[209:210], v[207:208]
	v_div_scale_f64 v[209:210], vcc_lo, 1.0, v[201:202], 1.0
	v_mul_f64 v[211:212], v[209:210], v[207:208]
	v_fma_f64 v[203:204], -v[203:204], v[211:212], v[209:210]
	v_div_fmas_f64 v[203:204], v[203:204], v[207:208], v[211:212]
	v_div_fixup_f64 v[207:208], v[203:204], v[201:202], 1.0
                                        ; implicit-def: $vgpr201_vgpr202
	v_mul_f64 v[205:206], v[205:206], v[207:208]
	v_xor_b32_e32 v208, 0x80000000, v208
.LBB99_68:
	s_andn2_saveexec_b32 s1, s1
	s_cbranch_execz .LBB99_70
; %bb.69:
	v_div_scale_f64 v[205:206], null, v[201:202], v[201:202], v[203:204]
	v_div_scale_f64 v[211:212], vcc_lo, v[203:204], v[201:202], v[203:204]
	v_rcp_f64_e32 v[207:208], v[205:206]
	v_fma_f64 v[209:210], -v[205:206], v[207:208], 1.0
	v_fma_f64 v[207:208], v[207:208], v[209:210], v[207:208]
	v_fma_f64 v[209:210], -v[205:206], v[207:208], 1.0
	v_fma_f64 v[207:208], v[207:208], v[209:210], v[207:208]
	v_mul_f64 v[209:210], v[211:212], v[207:208]
	v_fma_f64 v[205:206], -v[205:206], v[209:210], v[211:212]
	v_div_fmas_f64 v[205:206], v[205:206], v[207:208], v[209:210]
	v_div_fixup_f64 v[207:208], v[205:206], v[201:202], v[203:204]
	v_fma_f64 v[201:202], v[203:204], v[207:208], v[201:202]
	v_div_scale_f64 v[203:204], null, v[201:202], v[201:202], 1.0
	v_rcp_f64_e32 v[205:206], v[203:204]
	v_fma_f64 v[209:210], -v[203:204], v[205:206], 1.0
	v_fma_f64 v[205:206], v[205:206], v[209:210], v[205:206]
	v_fma_f64 v[209:210], -v[203:204], v[205:206], 1.0
	v_fma_f64 v[205:206], v[205:206], v[209:210], v[205:206]
	v_div_scale_f64 v[209:210], vcc_lo, 1.0, v[201:202], 1.0
	v_mul_f64 v[211:212], v[209:210], v[205:206]
	v_fma_f64 v[203:204], -v[203:204], v[211:212], v[209:210]
	v_div_fmas_f64 v[203:204], v[203:204], v[205:206], v[211:212]
	v_div_fixup_f64 v[205:206], v[203:204], v[201:202], 1.0
	v_mul_f64 v[207:208], v[207:208], -v[205:206]
.LBB99_70:
	s_or_b32 exec_lo, exec_lo, s1
	ds_write2_b64 v255, v[205:206], v[207:208] offset1:1
.LBB99_71:
	s_or_b32 exec_lo, exec_lo, s2
	s_waitcnt lgkmcnt(0)
	s_barrier
	buffer_gl0_inv
	ds_read2_b64 v[201:204], v255 offset1:1
	s_mov_b32 s1, exec_lo
	s_waitcnt lgkmcnt(0)
	buffer_store_dword v201, off, s[16:19], 0 offset:488 ; 4-byte Folded Spill
	buffer_store_dword v202, off, s[16:19], 0 offset:492 ; 4-byte Folded Spill
	;; [unrolled: 1-line block ×4, first 2 shown]
	v_cmpx_lt_u32_e32 7, v0
	s_cbranch_execz .LBB99_73
; %bb.72:
	s_clause 0x3
	buffer_load_dword v203, off, s[16:19], 0 offset:488
	buffer_load_dword v204, off, s[16:19], 0 offset:492
	;; [unrolled: 1-line block ×4, first 2 shown]
	s_waitcnt vmcnt(0)
	v_mul_f64 v[201:202], v[205:206], v[171:172]
	v_mul_f64 v[171:172], v[203:204], v[171:172]
	v_fma_f64 v[201:202], v[203:204], v[169:170], -v[201:202]
	v_fma_f64 v[171:172], v[205:206], v[169:170], v[171:172]
	ds_read2_b64 v[203:206], v253 offset0:16 offset1:17
	s_waitcnt lgkmcnt(0)
	v_mul_f64 v[169:170], v[205:206], v[171:172]
	v_fma_f64 v[169:170], v[203:204], v[201:202], -v[169:170]
	v_mul_f64 v[203:204], v[203:204], v[171:172]
	v_add_f64 v[165:166], v[165:166], -v[169:170]
	v_fma_f64 v[203:204], v[205:206], v[201:202], v[203:204]
	v_add_f64 v[167:168], v[167:168], -v[203:204]
	ds_read2_b64 v[203:206], v253 offset0:18 offset1:19
	s_waitcnt lgkmcnt(0)
	v_mul_f64 v[169:170], v[205:206], v[171:172]
	v_fma_f64 v[169:170], v[203:204], v[201:202], -v[169:170]
	v_mul_f64 v[203:204], v[203:204], v[171:172]
	v_add_f64 v[161:162], v[161:162], -v[169:170]
	v_fma_f64 v[203:204], v[205:206], v[201:202], v[203:204]
	v_add_f64 v[163:164], v[163:164], -v[203:204]
	;; [unrolled: 8-line block ×41, first 2 shown]
	ds_read2_b64 v[203:206], v253 offset0:98 offset1:99
	s_waitcnt lgkmcnt(0)
	v_mul_f64 v[169:170], v[205:206], v[171:172]
	v_fma_f64 v[169:170], v[203:204], v[201:202], -v[169:170]
	v_mul_f64 v[203:204], v[203:204], v[171:172]
	v_add_f64 v[1:2], v[1:2], -v[169:170]
	v_fma_f64 v[203:204], v[205:206], v[201:202], v[203:204]
	v_mov_b32_e32 v169, v201
	v_mov_b32_e32 v170, v202
	v_add_f64 v[3:4], v[3:4], -v[203:204]
.LBB99_73:
	s_or_b32 exec_lo, exec_lo, s1
	s_mov_b32 s2, exec_lo
	s_waitcnt_vscnt null, 0x0
	s_barrier
	buffer_gl0_inv
	v_cmpx_eq_u32_e32 8, v0
	s_cbranch_execz .LBB99_80
; %bb.74:
	ds_write2_b64 v255, v[165:166], v[167:168] offset1:1
	ds_write2_b64 v253, v[161:162], v[163:164] offset0:18 offset1:19
	ds_write2_b64 v253, v[157:158], v[159:160] offset0:20 offset1:21
	;; [unrolled: 1-line block ×41, first 2 shown]
	ds_read2_b64 v[201:204], v255 offset1:1
	s_waitcnt lgkmcnt(0)
	v_cmp_neq_f64_e32 vcc_lo, 0, v[201:202]
	v_cmp_neq_f64_e64 s1, 0, v[203:204]
	s_or_b32 s1, vcc_lo, s1
	s_and_b32 exec_lo, exec_lo, s1
	s_cbranch_execz .LBB99_80
; %bb.75:
	v_cmp_ngt_f64_e64 s1, |v[201:202]|, |v[203:204]|
                                        ; implicit-def: $vgpr205_vgpr206
	s_and_saveexec_b32 s3, s1
	s_xor_b32 s1, exec_lo, s3
                                        ; implicit-def: $vgpr207_vgpr208
	s_cbranch_execz .LBB99_77
; %bb.76:
	v_div_scale_f64 v[205:206], null, v[203:204], v[203:204], v[201:202]
	v_div_scale_f64 v[211:212], vcc_lo, v[201:202], v[203:204], v[201:202]
	v_rcp_f64_e32 v[207:208], v[205:206]
	v_fma_f64 v[209:210], -v[205:206], v[207:208], 1.0
	v_fma_f64 v[207:208], v[207:208], v[209:210], v[207:208]
	v_fma_f64 v[209:210], -v[205:206], v[207:208], 1.0
	v_fma_f64 v[207:208], v[207:208], v[209:210], v[207:208]
	v_mul_f64 v[209:210], v[211:212], v[207:208]
	v_fma_f64 v[205:206], -v[205:206], v[209:210], v[211:212]
	v_div_fmas_f64 v[205:206], v[205:206], v[207:208], v[209:210]
	v_div_fixup_f64 v[205:206], v[205:206], v[203:204], v[201:202]
	v_fma_f64 v[201:202], v[201:202], v[205:206], v[203:204]
	v_div_scale_f64 v[203:204], null, v[201:202], v[201:202], 1.0
	v_rcp_f64_e32 v[207:208], v[203:204]
	v_fma_f64 v[209:210], -v[203:204], v[207:208], 1.0
	v_fma_f64 v[207:208], v[207:208], v[209:210], v[207:208]
	v_fma_f64 v[209:210], -v[203:204], v[207:208], 1.0
	v_fma_f64 v[207:208], v[207:208], v[209:210], v[207:208]
	v_div_scale_f64 v[209:210], vcc_lo, 1.0, v[201:202], 1.0
	v_mul_f64 v[211:212], v[209:210], v[207:208]
	v_fma_f64 v[203:204], -v[203:204], v[211:212], v[209:210]
	v_div_fmas_f64 v[203:204], v[203:204], v[207:208], v[211:212]
	v_div_fixup_f64 v[207:208], v[203:204], v[201:202], 1.0
                                        ; implicit-def: $vgpr201_vgpr202
	v_mul_f64 v[205:206], v[205:206], v[207:208]
	v_xor_b32_e32 v208, 0x80000000, v208
.LBB99_77:
	s_andn2_saveexec_b32 s1, s1
	s_cbranch_execz .LBB99_79
; %bb.78:
	v_div_scale_f64 v[205:206], null, v[201:202], v[201:202], v[203:204]
	v_div_scale_f64 v[211:212], vcc_lo, v[203:204], v[201:202], v[203:204]
	v_rcp_f64_e32 v[207:208], v[205:206]
	v_fma_f64 v[209:210], -v[205:206], v[207:208], 1.0
	v_fma_f64 v[207:208], v[207:208], v[209:210], v[207:208]
	v_fma_f64 v[209:210], -v[205:206], v[207:208], 1.0
	v_fma_f64 v[207:208], v[207:208], v[209:210], v[207:208]
	v_mul_f64 v[209:210], v[211:212], v[207:208]
	v_fma_f64 v[205:206], -v[205:206], v[209:210], v[211:212]
	v_div_fmas_f64 v[205:206], v[205:206], v[207:208], v[209:210]
	v_div_fixup_f64 v[207:208], v[205:206], v[201:202], v[203:204]
	v_fma_f64 v[201:202], v[203:204], v[207:208], v[201:202]
	v_div_scale_f64 v[203:204], null, v[201:202], v[201:202], 1.0
	v_rcp_f64_e32 v[205:206], v[203:204]
	v_fma_f64 v[209:210], -v[203:204], v[205:206], 1.0
	v_fma_f64 v[205:206], v[205:206], v[209:210], v[205:206]
	v_fma_f64 v[209:210], -v[203:204], v[205:206], 1.0
	v_fma_f64 v[205:206], v[205:206], v[209:210], v[205:206]
	v_div_scale_f64 v[209:210], vcc_lo, 1.0, v[201:202], 1.0
	v_mul_f64 v[211:212], v[209:210], v[205:206]
	v_fma_f64 v[203:204], -v[203:204], v[211:212], v[209:210]
	v_div_fmas_f64 v[203:204], v[203:204], v[205:206], v[211:212]
	v_div_fixup_f64 v[205:206], v[203:204], v[201:202], 1.0
	v_mul_f64 v[207:208], v[207:208], -v[205:206]
.LBB99_79:
	s_or_b32 exec_lo, exec_lo, s1
	ds_write2_b64 v255, v[205:206], v[207:208] offset1:1
.LBB99_80:
	s_or_b32 exec_lo, exec_lo, s2
	s_waitcnt lgkmcnt(0)
	s_barrier
	buffer_gl0_inv
	ds_read2_b64 v[201:204], v255 offset1:1
	s_mov_b32 s1, exec_lo
	s_waitcnt lgkmcnt(0)
	buffer_store_dword v201, off, s[16:19], 0 offset:504 ; 4-byte Folded Spill
	buffer_store_dword v202, off, s[16:19], 0 offset:508 ; 4-byte Folded Spill
	;; [unrolled: 1-line block ×4, first 2 shown]
	v_cmpx_lt_u32_e32 8, v0
	s_cbranch_execz .LBB99_82
; %bb.81:
	s_clause 0x3
	buffer_load_dword v203, off, s[16:19], 0 offset:504
	buffer_load_dword v204, off, s[16:19], 0 offset:508
	;; [unrolled: 1-line block ×4, first 2 shown]
	s_waitcnt vmcnt(0)
	v_mul_f64 v[201:202], v[205:206], v[167:168]
	v_mul_f64 v[167:168], v[203:204], v[167:168]
	v_fma_f64 v[201:202], v[203:204], v[165:166], -v[201:202]
	v_fma_f64 v[167:168], v[205:206], v[165:166], v[167:168]
	ds_read2_b64 v[203:206], v253 offset0:18 offset1:19
	s_waitcnt lgkmcnt(0)
	v_mul_f64 v[165:166], v[205:206], v[167:168]
	v_fma_f64 v[165:166], v[203:204], v[201:202], -v[165:166]
	v_mul_f64 v[203:204], v[203:204], v[167:168]
	v_add_f64 v[161:162], v[161:162], -v[165:166]
	v_fma_f64 v[203:204], v[205:206], v[201:202], v[203:204]
	v_add_f64 v[163:164], v[163:164], -v[203:204]
	ds_read2_b64 v[203:206], v253 offset0:20 offset1:21
	s_waitcnt lgkmcnt(0)
	v_mul_f64 v[165:166], v[205:206], v[167:168]
	v_fma_f64 v[165:166], v[203:204], v[201:202], -v[165:166]
	v_mul_f64 v[203:204], v[203:204], v[167:168]
	v_add_f64 v[157:158], v[157:158], -v[165:166]
	v_fma_f64 v[203:204], v[205:206], v[201:202], v[203:204]
	v_add_f64 v[159:160], v[159:160], -v[203:204]
	;; [unrolled: 8-line block ×40, first 2 shown]
	ds_read2_b64 v[203:206], v253 offset0:98 offset1:99
	s_waitcnt lgkmcnt(0)
	v_mul_f64 v[165:166], v[205:206], v[167:168]
	v_fma_f64 v[165:166], v[203:204], v[201:202], -v[165:166]
	v_mul_f64 v[203:204], v[203:204], v[167:168]
	v_add_f64 v[1:2], v[1:2], -v[165:166]
	v_fma_f64 v[203:204], v[205:206], v[201:202], v[203:204]
	v_mov_b32_e32 v165, v201
	v_mov_b32_e32 v166, v202
	v_add_f64 v[3:4], v[3:4], -v[203:204]
.LBB99_82:
	s_or_b32 exec_lo, exec_lo, s1
	s_mov_b32 s2, exec_lo
	s_waitcnt_vscnt null, 0x0
	s_barrier
	buffer_gl0_inv
	v_cmpx_eq_u32_e32 9, v0
	s_cbranch_execz .LBB99_89
; %bb.83:
	ds_write2_b64 v255, v[161:162], v[163:164] offset1:1
	ds_write2_b64 v253, v[157:158], v[159:160] offset0:20 offset1:21
	ds_write2_b64 v253, v[153:154], v[155:156] offset0:22 offset1:23
	;; [unrolled: 1-line block ×40, first 2 shown]
	ds_read2_b64 v[201:204], v255 offset1:1
	s_waitcnt lgkmcnt(0)
	v_cmp_neq_f64_e32 vcc_lo, 0, v[201:202]
	v_cmp_neq_f64_e64 s1, 0, v[203:204]
	s_or_b32 s1, vcc_lo, s1
	s_and_b32 exec_lo, exec_lo, s1
	s_cbranch_execz .LBB99_89
; %bb.84:
	v_cmp_ngt_f64_e64 s1, |v[201:202]|, |v[203:204]|
                                        ; implicit-def: $vgpr205_vgpr206
	s_and_saveexec_b32 s3, s1
	s_xor_b32 s1, exec_lo, s3
                                        ; implicit-def: $vgpr207_vgpr208
	s_cbranch_execz .LBB99_86
; %bb.85:
	v_div_scale_f64 v[205:206], null, v[203:204], v[203:204], v[201:202]
	v_div_scale_f64 v[211:212], vcc_lo, v[201:202], v[203:204], v[201:202]
	v_rcp_f64_e32 v[207:208], v[205:206]
	v_fma_f64 v[209:210], -v[205:206], v[207:208], 1.0
	v_fma_f64 v[207:208], v[207:208], v[209:210], v[207:208]
	v_fma_f64 v[209:210], -v[205:206], v[207:208], 1.0
	v_fma_f64 v[207:208], v[207:208], v[209:210], v[207:208]
	v_mul_f64 v[209:210], v[211:212], v[207:208]
	v_fma_f64 v[205:206], -v[205:206], v[209:210], v[211:212]
	v_div_fmas_f64 v[205:206], v[205:206], v[207:208], v[209:210]
	v_div_fixup_f64 v[205:206], v[205:206], v[203:204], v[201:202]
	v_fma_f64 v[201:202], v[201:202], v[205:206], v[203:204]
	v_div_scale_f64 v[203:204], null, v[201:202], v[201:202], 1.0
	v_rcp_f64_e32 v[207:208], v[203:204]
	v_fma_f64 v[209:210], -v[203:204], v[207:208], 1.0
	v_fma_f64 v[207:208], v[207:208], v[209:210], v[207:208]
	v_fma_f64 v[209:210], -v[203:204], v[207:208], 1.0
	v_fma_f64 v[207:208], v[207:208], v[209:210], v[207:208]
	v_div_scale_f64 v[209:210], vcc_lo, 1.0, v[201:202], 1.0
	v_mul_f64 v[211:212], v[209:210], v[207:208]
	v_fma_f64 v[203:204], -v[203:204], v[211:212], v[209:210]
	v_div_fmas_f64 v[203:204], v[203:204], v[207:208], v[211:212]
	v_div_fixup_f64 v[207:208], v[203:204], v[201:202], 1.0
                                        ; implicit-def: $vgpr201_vgpr202
	v_mul_f64 v[205:206], v[205:206], v[207:208]
	v_xor_b32_e32 v208, 0x80000000, v208
.LBB99_86:
	s_andn2_saveexec_b32 s1, s1
	s_cbranch_execz .LBB99_88
; %bb.87:
	v_div_scale_f64 v[205:206], null, v[201:202], v[201:202], v[203:204]
	v_div_scale_f64 v[211:212], vcc_lo, v[203:204], v[201:202], v[203:204]
	v_rcp_f64_e32 v[207:208], v[205:206]
	v_fma_f64 v[209:210], -v[205:206], v[207:208], 1.0
	v_fma_f64 v[207:208], v[207:208], v[209:210], v[207:208]
	v_fma_f64 v[209:210], -v[205:206], v[207:208], 1.0
	v_fma_f64 v[207:208], v[207:208], v[209:210], v[207:208]
	v_mul_f64 v[209:210], v[211:212], v[207:208]
	v_fma_f64 v[205:206], -v[205:206], v[209:210], v[211:212]
	v_div_fmas_f64 v[205:206], v[205:206], v[207:208], v[209:210]
	v_div_fixup_f64 v[207:208], v[205:206], v[201:202], v[203:204]
	v_fma_f64 v[201:202], v[203:204], v[207:208], v[201:202]
	v_div_scale_f64 v[203:204], null, v[201:202], v[201:202], 1.0
	v_rcp_f64_e32 v[205:206], v[203:204]
	v_fma_f64 v[209:210], -v[203:204], v[205:206], 1.0
	v_fma_f64 v[205:206], v[205:206], v[209:210], v[205:206]
	v_fma_f64 v[209:210], -v[203:204], v[205:206], 1.0
	v_fma_f64 v[205:206], v[205:206], v[209:210], v[205:206]
	v_div_scale_f64 v[209:210], vcc_lo, 1.0, v[201:202], 1.0
	v_mul_f64 v[211:212], v[209:210], v[205:206]
	v_fma_f64 v[203:204], -v[203:204], v[211:212], v[209:210]
	v_div_fmas_f64 v[203:204], v[203:204], v[205:206], v[211:212]
	v_div_fixup_f64 v[205:206], v[203:204], v[201:202], 1.0
	v_mul_f64 v[207:208], v[207:208], -v[205:206]
.LBB99_88:
	s_or_b32 exec_lo, exec_lo, s1
	ds_write2_b64 v255, v[205:206], v[207:208] offset1:1
.LBB99_89:
	s_or_b32 exec_lo, exec_lo, s2
	s_waitcnt lgkmcnt(0)
	s_barrier
	buffer_gl0_inv
	ds_read2_b64 v[201:204], v255 offset1:1
	s_mov_b32 s1, exec_lo
	s_waitcnt lgkmcnt(0)
	buffer_store_dword v201, off, s[16:19], 0 offset:520 ; 4-byte Folded Spill
	buffer_store_dword v202, off, s[16:19], 0 offset:524 ; 4-byte Folded Spill
	;; [unrolled: 1-line block ×4, first 2 shown]
	v_cmpx_lt_u32_e32 9, v0
	s_cbranch_execz .LBB99_91
; %bb.90:
	s_clause 0x3
	buffer_load_dword v203, off, s[16:19], 0 offset:520
	buffer_load_dword v204, off, s[16:19], 0 offset:524
	;; [unrolled: 1-line block ×4, first 2 shown]
	s_waitcnt vmcnt(0)
	v_mul_f64 v[201:202], v[205:206], v[163:164]
	v_mul_f64 v[163:164], v[203:204], v[163:164]
	v_fma_f64 v[201:202], v[203:204], v[161:162], -v[201:202]
	v_fma_f64 v[163:164], v[205:206], v[161:162], v[163:164]
	ds_read2_b64 v[203:206], v253 offset0:20 offset1:21
	s_waitcnt lgkmcnt(0)
	v_mul_f64 v[161:162], v[205:206], v[163:164]
	v_fma_f64 v[161:162], v[203:204], v[201:202], -v[161:162]
	v_mul_f64 v[203:204], v[203:204], v[163:164]
	v_add_f64 v[157:158], v[157:158], -v[161:162]
	v_fma_f64 v[203:204], v[205:206], v[201:202], v[203:204]
	v_add_f64 v[159:160], v[159:160], -v[203:204]
	ds_read2_b64 v[203:206], v253 offset0:22 offset1:23
	s_waitcnt lgkmcnt(0)
	v_mul_f64 v[161:162], v[205:206], v[163:164]
	v_fma_f64 v[161:162], v[203:204], v[201:202], -v[161:162]
	v_mul_f64 v[203:204], v[203:204], v[163:164]
	v_add_f64 v[153:154], v[153:154], -v[161:162]
	v_fma_f64 v[203:204], v[205:206], v[201:202], v[203:204]
	v_add_f64 v[155:156], v[155:156], -v[203:204]
	;; [unrolled: 8-line block ×39, first 2 shown]
	ds_read2_b64 v[203:206], v253 offset0:98 offset1:99
	s_waitcnt lgkmcnt(0)
	v_mul_f64 v[161:162], v[205:206], v[163:164]
	v_fma_f64 v[161:162], v[203:204], v[201:202], -v[161:162]
	v_mul_f64 v[203:204], v[203:204], v[163:164]
	v_add_f64 v[1:2], v[1:2], -v[161:162]
	v_fma_f64 v[203:204], v[205:206], v[201:202], v[203:204]
	v_mov_b32_e32 v161, v201
	v_mov_b32_e32 v162, v202
	v_add_f64 v[3:4], v[3:4], -v[203:204]
.LBB99_91:
	s_or_b32 exec_lo, exec_lo, s1
	s_mov_b32 s2, exec_lo
	s_waitcnt_vscnt null, 0x0
	s_barrier
	buffer_gl0_inv
	v_cmpx_eq_u32_e32 10, v0
	s_cbranch_execz .LBB99_98
; %bb.92:
	ds_write2_b64 v255, v[157:158], v[159:160] offset1:1
	ds_write2_b64 v253, v[153:154], v[155:156] offset0:22 offset1:23
	ds_write2_b64 v253, v[149:150], v[151:152] offset0:24 offset1:25
	;; [unrolled: 1-line block ×39, first 2 shown]
	ds_read2_b64 v[201:204], v255 offset1:1
	s_waitcnt lgkmcnt(0)
	v_cmp_neq_f64_e32 vcc_lo, 0, v[201:202]
	v_cmp_neq_f64_e64 s1, 0, v[203:204]
	s_or_b32 s1, vcc_lo, s1
	s_and_b32 exec_lo, exec_lo, s1
	s_cbranch_execz .LBB99_98
; %bb.93:
	v_cmp_ngt_f64_e64 s1, |v[201:202]|, |v[203:204]|
                                        ; implicit-def: $vgpr205_vgpr206
	s_and_saveexec_b32 s3, s1
	s_xor_b32 s1, exec_lo, s3
                                        ; implicit-def: $vgpr207_vgpr208
	s_cbranch_execz .LBB99_95
; %bb.94:
	v_div_scale_f64 v[205:206], null, v[203:204], v[203:204], v[201:202]
	v_div_scale_f64 v[211:212], vcc_lo, v[201:202], v[203:204], v[201:202]
	v_rcp_f64_e32 v[207:208], v[205:206]
	v_fma_f64 v[209:210], -v[205:206], v[207:208], 1.0
	v_fma_f64 v[207:208], v[207:208], v[209:210], v[207:208]
	v_fma_f64 v[209:210], -v[205:206], v[207:208], 1.0
	v_fma_f64 v[207:208], v[207:208], v[209:210], v[207:208]
	v_mul_f64 v[209:210], v[211:212], v[207:208]
	v_fma_f64 v[205:206], -v[205:206], v[209:210], v[211:212]
	v_div_fmas_f64 v[205:206], v[205:206], v[207:208], v[209:210]
	v_div_fixup_f64 v[205:206], v[205:206], v[203:204], v[201:202]
	v_fma_f64 v[201:202], v[201:202], v[205:206], v[203:204]
	v_div_scale_f64 v[203:204], null, v[201:202], v[201:202], 1.0
	v_rcp_f64_e32 v[207:208], v[203:204]
	v_fma_f64 v[209:210], -v[203:204], v[207:208], 1.0
	v_fma_f64 v[207:208], v[207:208], v[209:210], v[207:208]
	v_fma_f64 v[209:210], -v[203:204], v[207:208], 1.0
	v_fma_f64 v[207:208], v[207:208], v[209:210], v[207:208]
	v_div_scale_f64 v[209:210], vcc_lo, 1.0, v[201:202], 1.0
	v_mul_f64 v[211:212], v[209:210], v[207:208]
	v_fma_f64 v[203:204], -v[203:204], v[211:212], v[209:210]
	v_div_fmas_f64 v[203:204], v[203:204], v[207:208], v[211:212]
	v_div_fixup_f64 v[207:208], v[203:204], v[201:202], 1.0
                                        ; implicit-def: $vgpr201_vgpr202
	v_mul_f64 v[205:206], v[205:206], v[207:208]
	v_xor_b32_e32 v208, 0x80000000, v208
.LBB99_95:
	s_andn2_saveexec_b32 s1, s1
	s_cbranch_execz .LBB99_97
; %bb.96:
	v_div_scale_f64 v[205:206], null, v[201:202], v[201:202], v[203:204]
	v_div_scale_f64 v[211:212], vcc_lo, v[203:204], v[201:202], v[203:204]
	v_rcp_f64_e32 v[207:208], v[205:206]
	v_fma_f64 v[209:210], -v[205:206], v[207:208], 1.0
	v_fma_f64 v[207:208], v[207:208], v[209:210], v[207:208]
	v_fma_f64 v[209:210], -v[205:206], v[207:208], 1.0
	v_fma_f64 v[207:208], v[207:208], v[209:210], v[207:208]
	v_mul_f64 v[209:210], v[211:212], v[207:208]
	v_fma_f64 v[205:206], -v[205:206], v[209:210], v[211:212]
	v_div_fmas_f64 v[205:206], v[205:206], v[207:208], v[209:210]
	v_div_fixup_f64 v[207:208], v[205:206], v[201:202], v[203:204]
	v_fma_f64 v[201:202], v[203:204], v[207:208], v[201:202]
	v_div_scale_f64 v[203:204], null, v[201:202], v[201:202], 1.0
	v_rcp_f64_e32 v[205:206], v[203:204]
	v_fma_f64 v[209:210], -v[203:204], v[205:206], 1.0
	v_fma_f64 v[205:206], v[205:206], v[209:210], v[205:206]
	v_fma_f64 v[209:210], -v[203:204], v[205:206], 1.0
	v_fma_f64 v[205:206], v[205:206], v[209:210], v[205:206]
	v_div_scale_f64 v[209:210], vcc_lo, 1.0, v[201:202], 1.0
	v_mul_f64 v[211:212], v[209:210], v[205:206]
	v_fma_f64 v[203:204], -v[203:204], v[211:212], v[209:210]
	v_div_fmas_f64 v[203:204], v[203:204], v[205:206], v[211:212]
	v_div_fixup_f64 v[205:206], v[203:204], v[201:202], 1.0
	v_mul_f64 v[207:208], v[207:208], -v[205:206]
.LBB99_97:
	s_or_b32 exec_lo, exec_lo, s1
	ds_write2_b64 v255, v[205:206], v[207:208] offset1:1
.LBB99_98:
	s_or_b32 exec_lo, exec_lo, s2
	s_waitcnt lgkmcnt(0)
	s_barrier
	buffer_gl0_inv
	ds_read2_b64 v[201:204], v255 offset1:1
	s_mov_b32 s1, exec_lo
	s_waitcnt lgkmcnt(0)
	buffer_store_dword v201, off, s[16:19], 0 offset:536 ; 4-byte Folded Spill
	buffer_store_dword v202, off, s[16:19], 0 offset:540 ; 4-byte Folded Spill
	;; [unrolled: 1-line block ×4, first 2 shown]
	v_cmpx_lt_u32_e32 10, v0
	s_cbranch_execz .LBB99_100
; %bb.99:
	s_clause 0x3
	buffer_load_dword v203, off, s[16:19], 0 offset:536
	buffer_load_dword v204, off, s[16:19], 0 offset:540
	;; [unrolled: 1-line block ×4, first 2 shown]
	s_waitcnt vmcnt(0)
	v_mul_f64 v[201:202], v[205:206], v[159:160]
	v_mul_f64 v[159:160], v[203:204], v[159:160]
	v_fma_f64 v[201:202], v[203:204], v[157:158], -v[201:202]
	v_fma_f64 v[159:160], v[205:206], v[157:158], v[159:160]
	ds_read2_b64 v[203:206], v253 offset0:22 offset1:23
	s_waitcnt lgkmcnt(0)
	v_mul_f64 v[157:158], v[205:206], v[159:160]
	v_fma_f64 v[157:158], v[203:204], v[201:202], -v[157:158]
	v_mul_f64 v[203:204], v[203:204], v[159:160]
	v_add_f64 v[153:154], v[153:154], -v[157:158]
	v_fma_f64 v[203:204], v[205:206], v[201:202], v[203:204]
	v_add_f64 v[155:156], v[155:156], -v[203:204]
	ds_read2_b64 v[203:206], v253 offset0:24 offset1:25
	s_waitcnt lgkmcnt(0)
	v_mul_f64 v[157:158], v[205:206], v[159:160]
	v_fma_f64 v[157:158], v[203:204], v[201:202], -v[157:158]
	v_mul_f64 v[203:204], v[203:204], v[159:160]
	v_add_f64 v[149:150], v[149:150], -v[157:158]
	v_fma_f64 v[203:204], v[205:206], v[201:202], v[203:204]
	v_add_f64 v[151:152], v[151:152], -v[203:204]
	;; [unrolled: 8-line block ×38, first 2 shown]
	ds_read2_b64 v[203:206], v253 offset0:98 offset1:99
	s_waitcnt lgkmcnt(0)
	v_mul_f64 v[157:158], v[205:206], v[159:160]
	v_fma_f64 v[157:158], v[203:204], v[201:202], -v[157:158]
	v_mul_f64 v[203:204], v[203:204], v[159:160]
	v_add_f64 v[1:2], v[1:2], -v[157:158]
	v_fma_f64 v[203:204], v[205:206], v[201:202], v[203:204]
	v_mov_b32_e32 v157, v201
	v_mov_b32_e32 v158, v202
	v_add_f64 v[3:4], v[3:4], -v[203:204]
.LBB99_100:
	s_or_b32 exec_lo, exec_lo, s1
	s_mov_b32 s2, exec_lo
	s_waitcnt_vscnt null, 0x0
	s_barrier
	buffer_gl0_inv
	v_cmpx_eq_u32_e32 11, v0
	s_cbranch_execz .LBB99_107
; %bb.101:
	ds_write2_b64 v255, v[153:154], v[155:156] offset1:1
	ds_write2_b64 v253, v[149:150], v[151:152] offset0:24 offset1:25
	ds_write2_b64 v253, v[145:146], v[147:148] offset0:26 offset1:27
	ds_write2_b64 v253, v[141:142], v[143:144] offset0:28 offset1:29
	ds_write2_b64 v253, v[137:138], v[139:140] offset0:30 offset1:31
	ds_write2_b64 v253, v[133:134], v[135:136] offset0:32 offset1:33
	ds_write2_b64 v253, v[129:130], v[131:132] offset0:34 offset1:35
	ds_write2_b64 v253, v[125:126], v[127:128] offset0:36 offset1:37
	ds_write2_b64 v253, v[121:122], v[123:124] offset0:38 offset1:39
	ds_write2_b64 v253, v[117:118], v[119:120] offset0:40 offset1:41
	ds_write2_b64 v253, v[113:114], v[115:116] offset0:42 offset1:43
	ds_write2_b64 v253, v[109:110], v[111:112] offset0:44 offset1:45
	ds_write2_b64 v253, v[105:106], v[107:108] offset0:46 offset1:47
	ds_write2_b64 v253, v[101:102], v[103:104] offset0:48 offset1:49
	ds_write2_b64 v253, v[97:98], v[99:100] offset0:50 offset1:51
	ds_write2_b64 v253, v[93:94], v[95:96] offset0:52 offset1:53
	ds_write2_b64 v253, v[89:90], v[91:92] offset0:54 offset1:55
	ds_write2_b64 v253, v[85:86], v[87:88] offset0:56 offset1:57
	ds_write2_b64 v253, v[81:82], v[83:84] offset0:58 offset1:59
	ds_write2_b64 v253, v[77:78], v[79:80] offset0:60 offset1:61
	ds_write2_b64 v253, v[73:74], v[75:76] offset0:62 offset1:63
	ds_write2_b64 v253, v[69:70], v[71:72] offset0:64 offset1:65
	ds_write2_b64 v253, v[65:66], v[67:68] offset0:66 offset1:67
	ds_write2_b64 v253, v[61:62], v[63:64] offset0:68 offset1:69
	ds_write2_b64 v253, v[57:58], v[59:60] offset0:70 offset1:71
	ds_write2_b64 v253, v[53:54], v[55:56] offset0:72 offset1:73
	ds_write2_b64 v253, v[49:50], v[51:52] offset0:74 offset1:75
	ds_write2_b64 v253, v[45:46], v[47:48] offset0:76 offset1:77
	ds_write2_b64 v253, v[41:42], v[43:44] offset0:78 offset1:79
	ds_write2_b64 v253, v[37:38], v[39:40] offset0:80 offset1:81
	ds_write2_b64 v253, v[33:34], v[35:36] offset0:82 offset1:83
	ds_write2_b64 v253, v[29:30], v[31:32] offset0:84 offset1:85
	ds_write2_b64 v253, v[25:26], v[27:28] offset0:86 offset1:87
	ds_write2_b64 v253, v[21:22], v[23:24] offset0:88 offset1:89
	ds_write2_b64 v253, v[17:18], v[19:20] offset0:90 offset1:91
	ds_write2_b64 v253, v[13:14], v[15:16] offset0:92 offset1:93
	ds_write2_b64 v253, v[9:10], v[11:12] offset0:94 offset1:95
	ds_write2_b64 v253, v[5:6], v[7:8] offset0:96 offset1:97
	ds_write2_b64 v253, v[1:2], v[3:4] offset0:98 offset1:99
	ds_read2_b64 v[201:204], v255 offset1:1
	s_waitcnt lgkmcnt(0)
	v_cmp_neq_f64_e32 vcc_lo, 0, v[201:202]
	v_cmp_neq_f64_e64 s1, 0, v[203:204]
	s_or_b32 s1, vcc_lo, s1
	s_and_b32 exec_lo, exec_lo, s1
	s_cbranch_execz .LBB99_107
; %bb.102:
	v_cmp_ngt_f64_e64 s1, |v[201:202]|, |v[203:204]|
                                        ; implicit-def: $vgpr205_vgpr206
	s_and_saveexec_b32 s3, s1
	s_xor_b32 s1, exec_lo, s3
                                        ; implicit-def: $vgpr207_vgpr208
	s_cbranch_execz .LBB99_104
; %bb.103:
	v_div_scale_f64 v[205:206], null, v[203:204], v[203:204], v[201:202]
	v_div_scale_f64 v[211:212], vcc_lo, v[201:202], v[203:204], v[201:202]
	v_rcp_f64_e32 v[207:208], v[205:206]
	v_fma_f64 v[209:210], -v[205:206], v[207:208], 1.0
	v_fma_f64 v[207:208], v[207:208], v[209:210], v[207:208]
	v_fma_f64 v[209:210], -v[205:206], v[207:208], 1.0
	v_fma_f64 v[207:208], v[207:208], v[209:210], v[207:208]
	v_mul_f64 v[209:210], v[211:212], v[207:208]
	v_fma_f64 v[205:206], -v[205:206], v[209:210], v[211:212]
	v_div_fmas_f64 v[205:206], v[205:206], v[207:208], v[209:210]
	v_div_fixup_f64 v[205:206], v[205:206], v[203:204], v[201:202]
	v_fma_f64 v[201:202], v[201:202], v[205:206], v[203:204]
	v_div_scale_f64 v[203:204], null, v[201:202], v[201:202], 1.0
	v_rcp_f64_e32 v[207:208], v[203:204]
	v_fma_f64 v[209:210], -v[203:204], v[207:208], 1.0
	v_fma_f64 v[207:208], v[207:208], v[209:210], v[207:208]
	v_fma_f64 v[209:210], -v[203:204], v[207:208], 1.0
	v_fma_f64 v[207:208], v[207:208], v[209:210], v[207:208]
	v_div_scale_f64 v[209:210], vcc_lo, 1.0, v[201:202], 1.0
	v_mul_f64 v[211:212], v[209:210], v[207:208]
	v_fma_f64 v[203:204], -v[203:204], v[211:212], v[209:210]
	v_div_fmas_f64 v[203:204], v[203:204], v[207:208], v[211:212]
	v_div_fixup_f64 v[207:208], v[203:204], v[201:202], 1.0
                                        ; implicit-def: $vgpr201_vgpr202
	v_mul_f64 v[205:206], v[205:206], v[207:208]
	v_xor_b32_e32 v208, 0x80000000, v208
.LBB99_104:
	s_andn2_saveexec_b32 s1, s1
	s_cbranch_execz .LBB99_106
; %bb.105:
	v_div_scale_f64 v[205:206], null, v[201:202], v[201:202], v[203:204]
	v_div_scale_f64 v[211:212], vcc_lo, v[203:204], v[201:202], v[203:204]
	v_rcp_f64_e32 v[207:208], v[205:206]
	v_fma_f64 v[209:210], -v[205:206], v[207:208], 1.0
	v_fma_f64 v[207:208], v[207:208], v[209:210], v[207:208]
	v_fma_f64 v[209:210], -v[205:206], v[207:208], 1.0
	v_fma_f64 v[207:208], v[207:208], v[209:210], v[207:208]
	v_mul_f64 v[209:210], v[211:212], v[207:208]
	v_fma_f64 v[205:206], -v[205:206], v[209:210], v[211:212]
	v_div_fmas_f64 v[205:206], v[205:206], v[207:208], v[209:210]
	v_div_fixup_f64 v[207:208], v[205:206], v[201:202], v[203:204]
	v_fma_f64 v[201:202], v[203:204], v[207:208], v[201:202]
	v_div_scale_f64 v[203:204], null, v[201:202], v[201:202], 1.0
	v_rcp_f64_e32 v[205:206], v[203:204]
	v_fma_f64 v[209:210], -v[203:204], v[205:206], 1.0
	v_fma_f64 v[205:206], v[205:206], v[209:210], v[205:206]
	v_fma_f64 v[209:210], -v[203:204], v[205:206], 1.0
	v_fma_f64 v[205:206], v[205:206], v[209:210], v[205:206]
	v_div_scale_f64 v[209:210], vcc_lo, 1.0, v[201:202], 1.0
	v_mul_f64 v[211:212], v[209:210], v[205:206]
	v_fma_f64 v[203:204], -v[203:204], v[211:212], v[209:210]
	v_div_fmas_f64 v[203:204], v[203:204], v[205:206], v[211:212]
	v_div_fixup_f64 v[205:206], v[203:204], v[201:202], 1.0
	v_mul_f64 v[207:208], v[207:208], -v[205:206]
.LBB99_106:
	s_or_b32 exec_lo, exec_lo, s1
	ds_write2_b64 v255, v[205:206], v[207:208] offset1:1
.LBB99_107:
	s_or_b32 exec_lo, exec_lo, s2
	s_waitcnt lgkmcnt(0)
	s_barrier
	buffer_gl0_inv
	ds_read2_b64 v[201:204], v255 offset1:1
	s_mov_b32 s1, exec_lo
	s_waitcnt lgkmcnt(0)
	buffer_store_dword v201, off, s[16:19], 0 offset:552 ; 4-byte Folded Spill
	buffer_store_dword v202, off, s[16:19], 0 offset:556 ; 4-byte Folded Spill
	;; [unrolled: 1-line block ×4, first 2 shown]
	v_cmpx_lt_u32_e32 11, v0
	s_cbranch_execz .LBB99_109
; %bb.108:
	s_clause 0x3
	buffer_load_dword v203, off, s[16:19], 0 offset:552
	buffer_load_dword v204, off, s[16:19], 0 offset:556
	;; [unrolled: 1-line block ×4, first 2 shown]
	s_waitcnt vmcnt(0)
	v_mul_f64 v[201:202], v[205:206], v[155:156]
	v_mul_f64 v[155:156], v[203:204], v[155:156]
	v_fma_f64 v[201:202], v[203:204], v[153:154], -v[201:202]
	v_fma_f64 v[155:156], v[205:206], v[153:154], v[155:156]
	ds_read2_b64 v[203:206], v253 offset0:24 offset1:25
	s_waitcnt lgkmcnt(0)
	v_mul_f64 v[153:154], v[205:206], v[155:156]
	v_fma_f64 v[153:154], v[203:204], v[201:202], -v[153:154]
	v_mul_f64 v[203:204], v[203:204], v[155:156]
	v_add_f64 v[149:150], v[149:150], -v[153:154]
	v_fma_f64 v[203:204], v[205:206], v[201:202], v[203:204]
	v_add_f64 v[151:152], v[151:152], -v[203:204]
	ds_read2_b64 v[203:206], v253 offset0:26 offset1:27
	s_waitcnt lgkmcnt(0)
	v_mul_f64 v[153:154], v[205:206], v[155:156]
	v_fma_f64 v[153:154], v[203:204], v[201:202], -v[153:154]
	v_mul_f64 v[203:204], v[203:204], v[155:156]
	v_add_f64 v[145:146], v[145:146], -v[153:154]
	v_fma_f64 v[203:204], v[205:206], v[201:202], v[203:204]
	v_add_f64 v[147:148], v[147:148], -v[203:204]
	;; [unrolled: 8-line block ×37, first 2 shown]
	ds_read2_b64 v[203:206], v253 offset0:98 offset1:99
	s_waitcnt lgkmcnt(0)
	v_mul_f64 v[153:154], v[205:206], v[155:156]
	v_fma_f64 v[153:154], v[203:204], v[201:202], -v[153:154]
	v_mul_f64 v[203:204], v[203:204], v[155:156]
	v_add_f64 v[1:2], v[1:2], -v[153:154]
	v_fma_f64 v[203:204], v[205:206], v[201:202], v[203:204]
	v_mov_b32_e32 v153, v201
	v_mov_b32_e32 v154, v202
	v_add_f64 v[3:4], v[3:4], -v[203:204]
.LBB99_109:
	s_or_b32 exec_lo, exec_lo, s1
	s_mov_b32 s2, exec_lo
	s_waitcnt_vscnt null, 0x0
	s_barrier
	buffer_gl0_inv
	v_cmpx_eq_u32_e32 12, v0
	s_cbranch_execz .LBB99_116
; %bb.110:
	ds_write2_b64 v255, v[149:150], v[151:152] offset1:1
	ds_write2_b64 v253, v[145:146], v[147:148] offset0:26 offset1:27
	ds_write2_b64 v253, v[141:142], v[143:144] offset0:28 offset1:29
	;; [unrolled: 1-line block ×37, first 2 shown]
	ds_read2_b64 v[201:204], v255 offset1:1
	s_waitcnt lgkmcnt(0)
	v_cmp_neq_f64_e32 vcc_lo, 0, v[201:202]
	v_cmp_neq_f64_e64 s1, 0, v[203:204]
	s_or_b32 s1, vcc_lo, s1
	s_and_b32 exec_lo, exec_lo, s1
	s_cbranch_execz .LBB99_116
; %bb.111:
	v_cmp_ngt_f64_e64 s1, |v[201:202]|, |v[203:204]|
                                        ; implicit-def: $vgpr205_vgpr206
	s_and_saveexec_b32 s3, s1
	s_xor_b32 s1, exec_lo, s3
                                        ; implicit-def: $vgpr207_vgpr208
	s_cbranch_execz .LBB99_113
; %bb.112:
	v_div_scale_f64 v[205:206], null, v[203:204], v[203:204], v[201:202]
	v_div_scale_f64 v[211:212], vcc_lo, v[201:202], v[203:204], v[201:202]
	v_rcp_f64_e32 v[207:208], v[205:206]
	v_fma_f64 v[209:210], -v[205:206], v[207:208], 1.0
	v_fma_f64 v[207:208], v[207:208], v[209:210], v[207:208]
	v_fma_f64 v[209:210], -v[205:206], v[207:208], 1.0
	v_fma_f64 v[207:208], v[207:208], v[209:210], v[207:208]
	v_mul_f64 v[209:210], v[211:212], v[207:208]
	v_fma_f64 v[205:206], -v[205:206], v[209:210], v[211:212]
	v_div_fmas_f64 v[205:206], v[205:206], v[207:208], v[209:210]
	v_div_fixup_f64 v[205:206], v[205:206], v[203:204], v[201:202]
	v_fma_f64 v[201:202], v[201:202], v[205:206], v[203:204]
	v_div_scale_f64 v[203:204], null, v[201:202], v[201:202], 1.0
	v_rcp_f64_e32 v[207:208], v[203:204]
	v_fma_f64 v[209:210], -v[203:204], v[207:208], 1.0
	v_fma_f64 v[207:208], v[207:208], v[209:210], v[207:208]
	v_fma_f64 v[209:210], -v[203:204], v[207:208], 1.0
	v_fma_f64 v[207:208], v[207:208], v[209:210], v[207:208]
	v_div_scale_f64 v[209:210], vcc_lo, 1.0, v[201:202], 1.0
	v_mul_f64 v[211:212], v[209:210], v[207:208]
	v_fma_f64 v[203:204], -v[203:204], v[211:212], v[209:210]
	v_div_fmas_f64 v[203:204], v[203:204], v[207:208], v[211:212]
	v_div_fixup_f64 v[207:208], v[203:204], v[201:202], 1.0
                                        ; implicit-def: $vgpr201_vgpr202
	v_mul_f64 v[205:206], v[205:206], v[207:208]
	v_xor_b32_e32 v208, 0x80000000, v208
.LBB99_113:
	s_andn2_saveexec_b32 s1, s1
	s_cbranch_execz .LBB99_115
; %bb.114:
	v_div_scale_f64 v[205:206], null, v[201:202], v[201:202], v[203:204]
	v_div_scale_f64 v[211:212], vcc_lo, v[203:204], v[201:202], v[203:204]
	v_rcp_f64_e32 v[207:208], v[205:206]
	v_fma_f64 v[209:210], -v[205:206], v[207:208], 1.0
	v_fma_f64 v[207:208], v[207:208], v[209:210], v[207:208]
	v_fma_f64 v[209:210], -v[205:206], v[207:208], 1.0
	v_fma_f64 v[207:208], v[207:208], v[209:210], v[207:208]
	v_mul_f64 v[209:210], v[211:212], v[207:208]
	v_fma_f64 v[205:206], -v[205:206], v[209:210], v[211:212]
	v_div_fmas_f64 v[205:206], v[205:206], v[207:208], v[209:210]
	v_div_fixup_f64 v[207:208], v[205:206], v[201:202], v[203:204]
	v_fma_f64 v[201:202], v[203:204], v[207:208], v[201:202]
	v_div_scale_f64 v[203:204], null, v[201:202], v[201:202], 1.0
	v_rcp_f64_e32 v[205:206], v[203:204]
	v_fma_f64 v[209:210], -v[203:204], v[205:206], 1.0
	v_fma_f64 v[205:206], v[205:206], v[209:210], v[205:206]
	v_fma_f64 v[209:210], -v[203:204], v[205:206], 1.0
	v_fma_f64 v[205:206], v[205:206], v[209:210], v[205:206]
	v_div_scale_f64 v[209:210], vcc_lo, 1.0, v[201:202], 1.0
	v_mul_f64 v[211:212], v[209:210], v[205:206]
	v_fma_f64 v[203:204], -v[203:204], v[211:212], v[209:210]
	v_div_fmas_f64 v[203:204], v[203:204], v[205:206], v[211:212]
	v_div_fixup_f64 v[205:206], v[203:204], v[201:202], 1.0
	v_mul_f64 v[207:208], v[207:208], -v[205:206]
.LBB99_115:
	s_or_b32 exec_lo, exec_lo, s1
	ds_write2_b64 v255, v[205:206], v[207:208] offset1:1
.LBB99_116:
	s_or_b32 exec_lo, exec_lo, s2
	s_waitcnt lgkmcnt(0)
	s_barrier
	buffer_gl0_inv
	ds_read2_b64 v[201:204], v255 offset1:1
	s_mov_b32 s1, exec_lo
	s_waitcnt lgkmcnt(0)
	buffer_store_dword v201, off, s[16:19], 0 offset:568 ; 4-byte Folded Spill
	buffer_store_dword v202, off, s[16:19], 0 offset:572 ; 4-byte Folded Spill
	;; [unrolled: 1-line block ×4, first 2 shown]
	v_cmpx_lt_u32_e32 12, v0
	s_cbranch_execz .LBB99_118
; %bb.117:
	s_clause 0x3
	buffer_load_dword v203, off, s[16:19], 0 offset:568
	buffer_load_dword v204, off, s[16:19], 0 offset:572
	;; [unrolled: 1-line block ×4, first 2 shown]
	s_waitcnt vmcnt(0)
	v_mul_f64 v[201:202], v[205:206], v[151:152]
	v_mul_f64 v[151:152], v[203:204], v[151:152]
	v_fma_f64 v[201:202], v[203:204], v[149:150], -v[201:202]
	v_fma_f64 v[151:152], v[205:206], v[149:150], v[151:152]
	ds_read2_b64 v[203:206], v253 offset0:26 offset1:27
	s_waitcnt lgkmcnt(0)
	v_mul_f64 v[149:150], v[205:206], v[151:152]
	v_fma_f64 v[149:150], v[203:204], v[201:202], -v[149:150]
	v_mul_f64 v[203:204], v[203:204], v[151:152]
	v_add_f64 v[145:146], v[145:146], -v[149:150]
	v_fma_f64 v[203:204], v[205:206], v[201:202], v[203:204]
	v_add_f64 v[147:148], v[147:148], -v[203:204]
	ds_read2_b64 v[203:206], v253 offset0:28 offset1:29
	s_waitcnt lgkmcnt(0)
	v_mul_f64 v[149:150], v[205:206], v[151:152]
	v_fma_f64 v[149:150], v[203:204], v[201:202], -v[149:150]
	v_mul_f64 v[203:204], v[203:204], v[151:152]
	v_add_f64 v[141:142], v[141:142], -v[149:150]
	v_fma_f64 v[203:204], v[205:206], v[201:202], v[203:204]
	v_add_f64 v[143:144], v[143:144], -v[203:204]
	;; [unrolled: 8-line block ×36, first 2 shown]
	ds_read2_b64 v[203:206], v253 offset0:98 offset1:99
	s_waitcnt lgkmcnt(0)
	v_mul_f64 v[149:150], v[205:206], v[151:152]
	v_fma_f64 v[149:150], v[203:204], v[201:202], -v[149:150]
	v_mul_f64 v[203:204], v[203:204], v[151:152]
	v_add_f64 v[1:2], v[1:2], -v[149:150]
	v_fma_f64 v[203:204], v[205:206], v[201:202], v[203:204]
	v_mov_b32_e32 v149, v201
	v_mov_b32_e32 v150, v202
	v_add_f64 v[3:4], v[3:4], -v[203:204]
.LBB99_118:
	s_or_b32 exec_lo, exec_lo, s1
	s_mov_b32 s2, exec_lo
	s_waitcnt_vscnt null, 0x0
	s_barrier
	buffer_gl0_inv
	v_cmpx_eq_u32_e32 13, v0
	s_cbranch_execz .LBB99_125
; %bb.119:
	ds_write2_b64 v255, v[145:146], v[147:148] offset1:1
	ds_write2_b64 v253, v[141:142], v[143:144] offset0:28 offset1:29
	ds_write2_b64 v253, v[137:138], v[139:140] offset0:30 offset1:31
	;; [unrolled: 1-line block ×36, first 2 shown]
	ds_read2_b64 v[201:204], v255 offset1:1
	s_waitcnt lgkmcnt(0)
	v_cmp_neq_f64_e32 vcc_lo, 0, v[201:202]
	v_cmp_neq_f64_e64 s1, 0, v[203:204]
	s_or_b32 s1, vcc_lo, s1
	s_and_b32 exec_lo, exec_lo, s1
	s_cbranch_execz .LBB99_125
; %bb.120:
	v_cmp_ngt_f64_e64 s1, |v[201:202]|, |v[203:204]|
                                        ; implicit-def: $vgpr205_vgpr206
	s_and_saveexec_b32 s3, s1
	s_xor_b32 s1, exec_lo, s3
                                        ; implicit-def: $vgpr207_vgpr208
	s_cbranch_execz .LBB99_122
; %bb.121:
	v_div_scale_f64 v[205:206], null, v[203:204], v[203:204], v[201:202]
	v_div_scale_f64 v[211:212], vcc_lo, v[201:202], v[203:204], v[201:202]
	v_rcp_f64_e32 v[207:208], v[205:206]
	v_fma_f64 v[209:210], -v[205:206], v[207:208], 1.0
	v_fma_f64 v[207:208], v[207:208], v[209:210], v[207:208]
	v_fma_f64 v[209:210], -v[205:206], v[207:208], 1.0
	v_fma_f64 v[207:208], v[207:208], v[209:210], v[207:208]
	v_mul_f64 v[209:210], v[211:212], v[207:208]
	v_fma_f64 v[205:206], -v[205:206], v[209:210], v[211:212]
	v_div_fmas_f64 v[205:206], v[205:206], v[207:208], v[209:210]
	v_div_fixup_f64 v[205:206], v[205:206], v[203:204], v[201:202]
	v_fma_f64 v[201:202], v[201:202], v[205:206], v[203:204]
	v_div_scale_f64 v[203:204], null, v[201:202], v[201:202], 1.0
	v_rcp_f64_e32 v[207:208], v[203:204]
	v_fma_f64 v[209:210], -v[203:204], v[207:208], 1.0
	v_fma_f64 v[207:208], v[207:208], v[209:210], v[207:208]
	v_fma_f64 v[209:210], -v[203:204], v[207:208], 1.0
	v_fma_f64 v[207:208], v[207:208], v[209:210], v[207:208]
	v_div_scale_f64 v[209:210], vcc_lo, 1.0, v[201:202], 1.0
	v_mul_f64 v[211:212], v[209:210], v[207:208]
	v_fma_f64 v[203:204], -v[203:204], v[211:212], v[209:210]
	v_div_fmas_f64 v[203:204], v[203:204], v[207:208], v[211:212]
	v_div_fixup_f64 v[207:208], v[203:204], v[201:202], 1.0
                                        ; implicit-def: $vgpr201_vgpr202
	v_mul_f64 v[205:206], v[205:206], v[207:208]
	v_xor_b32_e32 v208, 0x80000000, v208
.LBB99_122:
	s_andn2_saveexec_b32 s1, s1
	s_cbranch_execz .LBB99_124
; %bb.123:
	v_div_scale_f64 v[205:206], null, v[201:202], v[201:202], v[203:204]
	v_div_scale_f64 v[211:212], vcc_lo, v[203:204], v[201:202], v[203:204]
	v_rcp_f64_e32 v[207:208], v[205:206]
	v_fma_f64 v[209:210], -v[205:206], v[207:208], 1.0
	v_fma_f64 v[207:208], v[207:208], v[209:210], v[207:208]
	v_fma_f64 v[209:210], -v[205:206], v[207:208], 1.0
	v_fma_f64 v[207:208], v[207:208], v[209:210], v[207:208]
	v_mul_f64 v[209:210], v[211:212], v[207:208]
	v_fma_f64 v[205:206], -v[205:206], v[209:210], v[211:212]
	v_div_fmas_f64 v[205:206], v[205:206], v[207:208], v[209:210]
	v_div_fixup_f64 v[207:208], v[205:206], v[201:202], v[203:204]
	v_fma_f64 v[201:202], v[203:204], v[207:208], v[201:202]
	v_div_scale_f64 v[203:204], null, v[201:202], v[201:202], 1.0
	v_rcp_f64_e32 v[205:206], v[203:204]
	v_fma_f64 v[209:210], -v[203:204], v[205:206], 1.0
	v_fma_f64 v[205:206], v[205:206], v[209:210], v[205:206]
	v_fma_f64 v[209:210], -v[203:204], v[205:206], 1.0
	v_fma_f64 v[205:206], v[205:206], v[209:210], v[205:206]
	v_div_scale_f64 v[209:210], vcc_lo, 1.0, v[201:202], 1.0
	v_mul_f64 v[211:212], v[209:210], v[205:206]
	v_fma_f64 v[203:204], -v[203:204], v[211:212], v[209:210]
	v_div_fmas_f64 v[203:204], v[203:204], v[205:206], v[211:212]
	v_div_fixup_f64 v[205:206], v[203:204], v[201:202], 1.0
	v_mul_f64 v[207:208], v[207:208], -v[205:206]
.LBB99_124:
	s_or_b32 exec_lo, exec_lo, s1
	ds_write2_b64 v255, v[205:206], v[207:208] offset1:1
.LBB99_125:
	s_or_b32 exec_lo, exec_lo, s2
	s_waitcnt lgkmcnt(0)
	s_barrier
	buffer_gl0_inv
	ds_read2_b64 v[201:204], v255 offset1:1
	s_mov_b32 s1, exec_lo
	s_waitcnt lgkmcnt(0)
	buffer_store_dword v201, off, s[16:19], 0 offset:584 ; 4-byte Folded Spill
	buffer_store_dword v202, off, s[16:19], 0 offset:588 ; 4-byte Folded Spill
	;; [unrolled: 1-line block ×4, first 2 shown]
	v_cmpx_lt_u32_e32 13, v0
	s_cbranch_execz .LBB99_127
; %bb.126:
	s_clause 0x3
	buffer_load_dword v203, off, s[16:19], 0 offset:584
	buffer_load_dword v204, off, s[16:19], 0 offset:588
	;; [unrolled: 1-line block ×4, first 2 shown]
	s_waitcnt vmcnt(0)
	v_mul_f64 v[201:202], v[205:206], v[147:148]
	v_mul_f64 v[147:148], v[203:204], v[147:148]
	v_fma_f64 v[201:202], v[203:204], v[145:146], -v[201:202]
	v_fma_f64 v[147:148], v[205:206], v[145:146], v[147:148]
	ds_read2_b64 v[203:206], v253 offset0:28 offset1:29
	s_waitcnt lgkmcnt(0)
	v_mul_f64 v[145:146], v[205:206], v[147:148]
	v_fma_f64 v[145:146], v[203:204], v[201:202], -v[145:146]
	v_mul_f64 v[203:204], v[203:204], v[147:148]
	v_add_f64 v[141:142], v[141:142], -v[145:146]
	v_fma_f64 v[203:204], v[205:206], v[201:202], v[203:204]
	v_add_f64 v[143:144], v[143:144], -v[203:204]
	ds_read2_b64 v[203:206], v253 offset0:30 offset1:31
	s_waitcnt lgkmcnt(0)
	v_mul_f64 v[145:146], v[205:206], v[147:148]
	v_fma_f64 v[145:146], v[203:204], v[201:202], -v[145:146]
	v_mul_f64 v[203:204], v[203:204], v[147:148]
	v_add_f64 v[137:138], v[137:138], -v[145:146]
	v_fma_f64 v[203:204], v[205:206], v[201:202], v[203:204]
	v_add_f64 v[139:140], v[139:140], -v[203:204]
	;; [unrolled: 8-line block ×35, first 2 shown]
	ds_read2_b64 v[203:206], v253 offset0:98 offset1:99
	s_waitcnt lgkmcnt(0)
	v_mul_f64 v[145:146], v[205:206], v[147:148]
	v_fma_f64 v[145:146], v[203:204], v[201:202], -v[145:146]
	v_mul_f64 v[203:204], v[203:204], v[147:148]
	v_add_f64 v[1:2], v[1:2], -v[145:146]
	v_fma_f64 v[203:204], v[205:206], v[201:202], v[203:204]
	v_mov_b32_e32 v145, v201
	v_mov_b32_e32 v146, v202
	v_add_f64 v[3:4], v[3:4], -v[203:204]
.LBB99_127:
	s_or_b32 exec_lo, exec_lo, s1
	s_mov_b32 s2, exec_lo
	s_waitcnt_vscnt null, 0x0
	s_barrier
	buffer_gl0_inv
	v_cmpx_eq_u32_e32 14, v0
	s_cbranch_execz .LBB99_134
; %bb.128:
	ds_write2_b64 v255, v[141:142], v[143:144] offset1:1
	ds_write2_b64 v253, v[137:138], v[139:140] offset0:30 offset1:31
	ds_write2_b64 v253, v[133:134], v[135:136] offset0:32 offset1:33
	;; [unrolled: 1-line block ×35, first 2 shown]
	ds_read2_b64 v[201:204], v255 offset1:1
	s_waitcnt lgkmcnt(0)
	v_cmp_neq_f64_e32 vcc_lo, 0, v[201:202]
	v_cmp_neq_f64_e64 s1, 0, v[203:204]
	s_or_b32 s1, vcc_lo, s1
	s_and_b32 exec_lo, exec_lo, s1
	s_cbranch_execz .LBB99_134
; %bb.129:
	v_cmp_ngt_f64_e64 s1, |v[201:202]|, |v[203:204]|
                                        ; implicit-def: $vgpr205_vgpr206
	s_and_saveexec_b32 s3, s1
	s_xor_b32 s1, exec_lo, s3
                                        ; implicit-def: $vgpr207_vgpr208
	s_cbranch_execz .LBB99_131
; %bb.130:
	v_div_scale_f64 v[205:206], null, v[203:204], v[203:204], v[201:202]
	v_div_scale_f64 v[211:212], vcc_lo, v[201:202], v[203:204], v[201:202]
	v_rcp_f64_e32 v[207:208], v[205:206]
	v_fma_f64 v[209:210], -v[205:206], v[207:208], 1.0
	v_fma_f64 v[207:208], v[207:208], v[209:210], v[207:208]
	v_fma_f64 v[209:210], -v[205:206], v[207:208], 1.0
	v_fma_f64 v[207:208], v[207:208], v[209:210], v[207:208]
	v_mul_f64 v[209:210], v[211:212], v[207:208]
	v_fma_f64 v[205:206], -v[205:206], v[209:210], v[211:212]
	v_div_fmas_f64 v[205:206], v[205:206], v[207:208], v[209:210]
	v_div_fixup_f64 v[205:206], v[205:206], v[203:204], v[201:202]
	v_fma_f64 v[201:202], v[201:202], v[205:206], v[203:204]
	v_div_scale_f64 v[203:204], null, v[201:202], v[201:202], 1.0
	v_rcp_f64_e32 v[207:208], v[203:204]
	v_fma_f64 v[209:210], -v[203:204], v[207:208], 1.0
	v_fma_f64 v[207:208], v[207:208], v[209:210], v[207:208]
	v_fma_f64 v[209:210], -v[203:204], v[207:208], 1.0
	v_fma_f64 v[207:208], v[207:208], v[209:210], v[207:208]
	v_div_scale_f64 v[209:210], vcc_lo, 1.0, v[201:202], 1.0
	v_mul_f64 v[211:212], v[209:210], v[207:208]
	v_fma_f64 v[203:204], -v[203:204], v[211:212], v[209:210]
	v_div_fmas_f64 v[203:204], v[203:204], v[207:208], v[211:212]
	v_div_fixup_f64 v[207:208], v[203:204], v[201:202], 1.0
                                        ; implicit-def: $vgpr201_vgpr202
	v_mul_f64 v[205:206], v[205:206], v[207:208]
	v_xor_b32_e32 v208, 0x80000000, v208
.LBB99_131:
	s_andn2_saveexec_b32 s1, s1
	s_cbranch_execz .LBB99_133
; %bb.132:
	v_div_scale_f64 v[205:206], null, v[201:202], v[201:202], v[203:204]
	v_div_scale_f64 v[211:212], vcc_lo, v[203:204], v[201:202], v[203:204]
	v_rcp_f64_e32 v[207:208], v[205:206]
	v_fma_f64 v[209:210], -v[205:206], v[207:208], 1.0
	v_fma_f64 v[207:208], v[207:208], v[209:210], v[207:208]
	v_fma_f64 v[209:210], -v[205:206], v[207:208], 1.0
	v_fma_f64 v[207:208], v[207:208], v[209:210], v[207:208]
	v_mul_f64 v[209:210], v[211:212], v[207:208]
	v_fma_f64 v[205:206], -v[205:206], v[209:210], v[211:212]
	v_div_fmas_f64 v[205:206], v[205:206], v[207:208], v[209:210]
	v_div_fixup_f64 v[207:208], v[205:206], v[201:202], v[203:204]
	v_fma_f64 v[201:202], v[203:204], v[207:208], v[201:202]
	v_div_scale_f64 v[203:204], null, v[201:202], v[201:202], 1.0
	v_rcp_f64_e32 v[205:206], v[203:204]
	v_fma_f64 v[209:210], -v[203:204], v[205:206], 1.0
	v_fma_f64 v[205:206], v[205:206], v[209:210], v[205:206]
	v_fma_f64 v[209:210], -v[203:204], v[205:206], 1.0
	v_fma_f64 v[205:206], v[205:206], v[209:210], v[205:206]
	v_div_scale_f64 v[209:210], vcc_lo, 1.0, v[201:202], 1.0
	v_mul_f64 v[211:212], v[209:210], v[205:206]
	v_fma_f64 v[203:204], -v[203:204], v[211:212], v[209:210]
	v_div_fmas_f64 v[203:204], v[203:204], v[205:206], v[211:212]
	v_div_fixup_f64 v[205:206], v[203:204], v[201:202], 1.0
	v_mul_f64 v[207:208], v[207:208], -v[205:206]
.LBB99_133:
	s_or_b32 exec_lo, exec_lo, s1
	ds_write2_b64 v255, v[205:206], v[207:208] offset1:1
.LBB99_134:
	s_or_b32 exec_lo, exec_lo, s2
	s_waitcnt lgkmcnt(0)
	s_barrier
	buffer_gl0_inv
	ds_read2_b64 v[201:204], v255 offset1:1
	s_mov_b32 s1, exec_lo
	s_waitcnt lgkmcnt(0)
	buffer_store_dword v201, off, s[16:19], 0 offset:600 ; 4-byte Folded Spill
	buffer_store_dword v202, off, s[16:19], 0 offset:604 ; 4-byte Folded Spill
	;; [unrolled: 1-line block ×4, first 2 shown]
	v_cmpx_lt_u32_e32 14, v0
	s_cbranch_execz .LBB99_136
; %bb.135:
	s_clause 0x3
	buffer_load_dword v203, off, s[16:19], 0 offset:600
	buffer_load_dword v204, off, s[16:19], 0 offset:604
	;; [unrolled: 1-line block ×4, first 2 shown]
	s_waitcnt vmcnt(0)
	v_mul_f64 v[201:202], v[205:206], v[143:144]
	v_mul_f64 v[143:144], v[203:204], v[143:144]
	v_fma_f64 v[201:202], v[203:204], v[141:142], -v[201:202]
	v_fma_f64 v[143:144], v[205:206], v[141:142], v[143:144]
	ds_read2_b64 v[203:206], v253 offset0:30 offset1:31
	s_waitcnt lgkmcnt(0)
	v_mul_f64 v[141:142], v[205:206], v[143:144]
	v_fma_f64 v[141:142], v[203:204], v[201:202], -v[141:142]
	v_mul_f64 v[203:204], v[203:204], v[143:144]
	v_add_f64 v[137:138], v[137:138], -v[141:142]
	v_fma_f64 v[203:204], v[205:206], v[201:202], v[203:204]
	v_add_f64 v[139:140], v[139:140], -v[203:204]
	ds_read2_b64 v[203:206], v253 offset0:32 offset1:33
	s_waitcnt lgkmcnt(0)
	v_mul_f64 v[141:142], v[205:206], v[143:144]
	v_fma_f64 v[141:142], v[203:204], v[201:202], -v[141:142]
	v_mul_f64 v[203:204], v[203:204], v[143:144]
	v_add_f64 v[133:134], v[133:134], -v[141:142]
	v_fma_f64 v[203:204], v[205:206], v[201:202], v[203:204]
	v_add_f64 v[135:136], v[135:136], -v[203:204]
	ds_read2_b64 v[203:206], v253 offset0:34 offset1:35
	s_waitcnt lgkmcnt(0)
	v_mul_f64 v[141:142], v[205:206], v[143:144]
	v_fma_f64 v[141:142], v[203:204], v[201:202], -v[141:142]
	v_mul_f64 v[203:204], v[203:204], v[143:144]
	v_add_f64 v[129:130], v[129:130], -v[141:142]
	v_fma_f64 v[203:204], v[205:206], v[201:202], v[203:204]
	v_add_f64 v[131:132], v[131:132], -v[203:204]
	ds_read2_b64 v[203:206], v253 offset0:36 offset1:37
	s_waitcnt lgkmcnt(0)
	v_mul_f64 v[141:142], v[205:206], v[143:144]
	v_fma_f64 v[141:142], v[203:204], v[201:202], -v[141:142]
	v_mul_f64 v[203:204], v[203:204], v[143:144]
	v_add_f64 v[125:126], v[125:126], -v[141:142]
	v_fma_f64 v[203:204], v[205:206], v[201:202], v[203:204]
	v_add_f64 v[127:128], v[127:128], -v[203:204]
	ds_read2_b64 v[203:206], v253 offset0:38 offset1:39
	s_waitcnt lgkmcnt(0)
	v_mul_f64 v[141:142], v[205:206], v[143:144]
	v_fma_f64 v[141:142], v[203:204], v[201:202], -v[141:142]
	v_mul_f64 v[203:204], v[203:204], v[143:144]
	v_add_f64 v[121:122], v[121:122], -v[141:142]
	v_fma_f64 v[203:204], v[205:206], v[201:202], v[203:204]
	v_add_f64 v[123:124], v[123:124], -v[203:204]
	ds_read2_b64 v[203:206], v253 offset0:40 offset1:41
	s_waitcnt lgkmcnt(0)
	v_mul_f64 v[141:142], v[205:206], v[143:144]
	v_fma_f64 v[141:142], v[203:204], v[201:202], -v[141:142]
	v_mul_f64 v[203:204], v[203:204], v[143:144]
	v_add_f64 v[117:118], v[117:118], -v[141:142]
	v_fma_f64 v[203:204], v[205:206], v[201:202], v[203:204]
	v_add_f64 v[119:120], v[119:120], -v[203:204]
	ds_read2_b64 v[203:206], v253 offset0:42 offset1:43
	s_waitcnt lgkmcnt(0)
	v_mul_f64 v[141:142], v[205:206], v[143:144]
	v_fma_f64 v[141:142], v[203:204], v[201:202], -v[141:142]
	v_mul_f64 v[203:204], v[203:204], v[143:144]
	v_add_f64 v[113:114], v[113:114], -v[141:142]
	v_fma_f64 v[203:204], v[205:206], v[201:202], v[203:204]
	v_add_f64 v[115:116], v[115:116], -v[203:204]
	ds_read2_b64 v[203:206], v253 offset0:44 offset1:45
	s_waitcnt lgkmcnt(0)
	v_mul_f64 v[141:142], v[205:206], v[143:144]
	v_fma_f64 v[141:142], v[203:204], v[201:202], -v[141:142]
	v_mul_f64 v[203:204], v[203:204], v[143:144]
	v_add_f64 v[109:110], v[109:110], -v[141:142]
	v_fma_f64 v[203:204], v[205:206], v[201:202], v[203:204]
	v_add_f64 v[111:112], v[111:112], -v[203:204]
	ds_read2_b64 v[203:206], v253 offset0:46 offset1:47
	s_waitcnt lgkmcnt(0)
	v_mul_f64 v[141:142], v[205:206], v[143:144]
	v_fma_f64 v[141:142], v[203:204], v[201:202], -v[141:142]
	v_mul_f64 v[203:204], v[203:204], v[143:144]
	v_add_f64 v[105:106], v[105:106], -v[141:142]
	v_fma_f64 v[203:204], v[205:206], v[201:202], v[203:204]
	v_add_f64 v[107:108], v[107:108], -v[203:204]
	ds_read2_b64 v[203:206], v253 offset0:48 offset1:49
	s_waitcnt lgkmcnt(0)
	v_mul_f64 v[141:142], v[205:206], v[143:144]
	v_fma_f64 v[141:142], v[203:204], v[201:202], -v[141:142]
	v_mul_f64 v[203:204], v[203:204], v[143:144]
	v_add_f64 v[101:102], v[101:102], -v[141:142]
	v_fma_f64 v[203:204], v[205:206], v[201:202], v[203:204]
	v_add_f64 v[103:104], v[103:104], -v[203:204]
	ds_read2_b64 v[203:206], v253 offset0:50 offset1:51
	s_waitcnt lgkmcnt(0)
	v_mul_f64 v[141:142], v[205:206], v[143:144]
	v_fma_f64 v[141:142], v[203:204], v[201:202], -v[141:142]
	v_mul_f64 v[203:204], v[203:204], v[143:144]
	v_add_f64 v[97:98], v[97:98], -v[141:142]
	v_fma_f64 v[203:204], v[205:206], v[201:202], v[203:204]
	v_add_f64 v[99:100], v[99:100], -v[203:204]
	ds_read2_b64 v[203:206], v253 offset0:52 offset1:53
	s_waitcnt lgkmcnt(0)
	v_mul_f64 v[141:142], v[205:206], v[143:144]
	v_fma_f64 v[141:142], v[203:204], v[201:202], -v[141:142]
	v_mul_f64 v[203:204], v[203:204], v[143:144]
	v_add_f64 v[93:94], v[93:94], -v[141:142]
	v_fma_f64 v[203:204], v[205:206], v[201:202], v[203:204]
	v_add_f64 v[95:96], v[95:96], -v[203:204]
	ds_read2_b64 v[203:206], v253 offset0:54 offset1:55
	s_waitcnt lgkmcnt(0)
	v_mul_f64 v[141:142], v[205:206], v[143:144]
	v_fma_f64 v[141:142], v[203:204], v[201:202], -v[141:142]
	v_mul_f64 v[203:204], v[203:204], v[143:144]
	v_add_f64 v[89:90], v[89:90], -v[141:142]
	v_fma_f64 v[203:204], v[205:206], v[201:202], v[203:204]
	v_add_f64 v[91:92], v[91:92], -v[203:204]
	ds_read2_b64 v[203:206], v253 offset0:56 offset1:57
	s_waitcnt lgkmcnt(0)
	v_mul_f64 v[141:142], v[205:206], v[143:144]
	v_fma_f64 v[141:142], v[203:204], v[201:202], -v[141:142]
	v_mul_f64 v[203:204], v[203:204], v[143:144]
	v_add_f64 v[85:86], v[85:86], -v[141:142]
	v_fma_f64 v[203:204], v[205:206], v[201:202], v[203:204]
	v_add_f64 v[87:88], v[87:88], -v[203:204]
	ds_read2_b64 v[203:206], v253 offset0:58 offset1:59
	s_waitcnt lgkmcnt(0)
	v_mul_f64 v[141:142], v[205:206], v[143:144]
	v_fma_f64 v[141:142], v[203:204], v[201:202], -v[141:142]
	v_mul_f64 v[203:204], v[203:204], v[143:144]
	v_add_f64 v[81:82], v[81:82], -v[141:142]
	v_fma_f64 v[203:204], v[205:206], v[201:202], v[203:204]
	v_add_f64 v[83:84], v[83:84], -v[203:204]
	ds_read2_b64 v[203:206], v253 offset0:60 offset1:61
	s_waitcnt lgkmcnt(0)
	v_mul_f64 v[141:142], v[205:206], v[143:144]
	v_fma_f64 v[141:142], v[203:204], v[201:202], -v[141:142]
	v_mul_f64 v[203:204], v[203:204], v[143:144]
	v_add_f64 v[77:78], v[77:78], -v[141:142]
	v_fma_f64 v[203:204], v[205:206], v[201:202], v[203:204]
	v_add_f64 v[79:80], v[79:80], -v[203:204]
	ds_read2_b64 v[203:206], v253 offset0:62 offset1:63
	s_waitcnt lgkmcnt(0)
	v_mul_f64 v[141:142], v[205:206], v[143:144]
	v_fma_f64 v[141:142], v[203:204], v[201:202], -v[141:142]
	v_mul_f64 v[203:204], v[203:204], v[143:144]
	v_add_f64 v[73:74], v[73:74], -v[141:142]
	v_fma_f64 v[203:204], v[205:206], v[201:202], v[203:204]
	v_add_f64 v[75:76], v[75:76], -v[203:204]
	ds_read2_b64 v[203:206], v253 offset0:64 offset1:65
	s_waitcnt lgkmcnt(0)
	v_mul_f64 v[141:142], v[205:206], v[143:144]
	v_fma_f64 v[141:142], v[203:204], v[201:202], -v[141:142]
	v_mul_f64 v[203:204], v[203:204], v[143:144]
	v_add_f64 v[69:70], v[69:70], -v[141:142]
	v_fma_f64 v[203:204], v[205:206], v[201:202], v[203:204]
	v_add_f64 v[71:72], v[71:72], -v[203:204]
	ds_read2_b64 v[203:206], v253 offset0:66 offset1:67
	s_waitcnt lgkmcnt(0)
	v_mul_f64 v[141:142], v[205:206], v[143:144]
	v_fma_f64 v[141:142], v[203:204], v[201:202], -v[141:142]
	v_mul_f64 v[203:204], v[203:204], v[143:144]
	v_add_f64 v[65:66], v[65:66], -v[141:142]
	v_fma_f64 v[203:204], v[205:206], v[201:202], v[203:204]
	v_add_f64 v[67:68], v[67:68], -v[203:204]
	ds_read2_b64 v[203:206], v253 offset0:68 offset1:69
	s_waitcnt lgkmcnt(0)
	v_mul_f64 v[141:142], v[205:206], v[143:144]
	v_fma_f64 v[141:142], v[203:204], v[201:202], -v[141:142]
	v_mul_f64 v[203:204], v[203:204], v[143:144]
	v_add_f64 v[61:62], v[61:62], -v[141:142]
	v_fma_f64 v[203:204], v[205:206], v[201:202], v[203:204]
	v_add_f64 v[63:64], v[63:64], -v[203:204]
	ds_read2_b64 v[203:206], v253 offset0:70 offset1:71
	s_waitcnt lgkmcnt(0)
	v_mul_f64 v[141:142], v[205:206], v[143:144]
	v_fma_f64 v[141:142], v[203:204], v[201:202], -v[141:142]
	v_mul_f64 v[203:204], v[203:204], v[143:144]
	v_add_f64 v[57:58], v[57:58], -v[141:142]
	v_fma_f64 v[203:204], v[205:206], v[201:202], v[203:204]
	v_add_f64 v[59:60], v[59:60], -v[203:204]
	ds_read2_b64 v[203:206], v253 offset0:72 offset1:73
	s_waitcnt lgkmcnt(0)
	v_mul_f64 v[141:142], v[205:206], v[143:144]
	v_fma_f64 v[141:142], v[203:204], v[201:202], -v[141:142]
	v_mul_f64 v[203:204], v[203:204], v[143:144]
	v_add_f64 v[53:54], v[53:54], -v[141:142]
	v_fma_f64 v[203:204], v[205:206], v[201:202], v[203:204]
	v_add_f64 v[55:56], v[55:56], -v[203:204]
	ds_read2_b64 v[203:206], v253 offset0:74 offset1:75
	s_waitcnt lgkmcnt(0)
	v_mul_f64 v[141:142], v[205:206], v[143:144]
	v_fma_f64 v[141:142], v[203:204], v[201:202], -v[141:142]
	v_mul_f64 v[203:204], v[203:204], v[143:144]
	v_add_f64 v[49:50], v[49:50], -v[141:142]
	v_fma_f64 v[203:204], v[205:206], v[201:202], v[203:204]
	v_add_f64 v[51:52], v[51:52], -v[203:204]
	ds_read2_b64 v[203:206], v253 offset0:76 offset1:77
	s_waitcnt lgkmcnt(0)
	v_mul_f64 v[141:142], v[205:206], v[143:144]
	v_fma_f64 v[141:142], v[203:204], v[201:202], -v[141:142]
	v_mul_f64 v[203:204], v[203:204], v[143:144]
	v_add_f64 v[45:46], v[45:46], -v[141:142]
	v_fma_f64 v[203:204], v[205:206], v[201:202], v[203:204]
	v_add_f64 v[47:48], v[47:48], -v[203:204]
	ds_read2_b64 v[203:206], v253 offset0:78 offset1:79
	s_waitcnt lgkmcnt(0)
	v_mul_f64 v[141:142], v[205:206], v[143:144]
	v_fma_f64 v[141:142], v[203:204], v[201:202], -v[141:142]
	v_mul_f64 v[203:204], v[203:204], v[143:144]
	v_add_f64 v[41:42], v[41:42], -v[141:142]
	v_fma_f64 v[203:204], v[205:206], v[201:202], v[203:204]
	v_add_f64 v[43:44], v[43:44], -v[203:204]
	ds_read2_b64 v[203:206], v253 offset0:80 offset1:81
	s_waitcnt lgkmcnt(0)
	v_mul_f64 v[141:142], v[205:206], v[143:144]
	v_fma_f64 v[141:142], v[203:204], v[201:202], -v[141:142]
	v_mul_f64 v[203:204], v[203:204], v[143:144]
	v_add_f64 v[37:38], v[37:38], -v[141:142]
	v_fma_f64 v[203:204], v[205:206], v[201:202], v[203:204]
	v_add_f64 v[39:40], v[39:40], -v[203:204]
	ds_read2_b64 v[203:206], v253 offset0:82 offset1:83
	s_waitcnt lgkmcnt(0)
	v_mul_f64 v[141:142], v[205:206], v[143:144]
	v_fma_f64 v[141:142], v[203:204], v[201:202], -v[141:142]
	v_mul_f64 v[203:204], v[203:204], v[143:144]
	v_add_f64 v[33:34], v[33:34], -v[141:142]
	v_fma_f64 v[203:204], v[205:206], v[201:202], v[203:204]
	v_add_f64 v[35:36], v[35:36], -v[203:204]
	ds_read2_b64 v[203:206], v253 offset0:84 offset1:85
	s_waitcnt lgkmcnt(0)
	v_mul_f64 v[141:142], v[205:206], v[143:144]
	v_fma_f64 v[141:142], v[203:204], v[201:202], -v[141:142]
	v_mul_f64 v[203:204], v[203:204], v[143:144]
	v_add_f64 v[29:30], v[29:30], -v[141:142]
	v_fma_f64 v[203:204], v[205:206], v[201:202], v[203:204]
	v_add_f64 v[31:32], v[31:32], -v[203:204]
	ds_read2_b64 v[203:206], v253 offset0:86 offset1:87
	s_waitcnt lgkmcnt(0)
	v_mul_f64 v[141:142], v[205:206], v[143:144]
	v_fma_f64 v[141:142], v[203:204], v[201:202], -v[141:142]
	v_mul_f64 v[203:204], v[203:204], v[143:144]
	v_add_f64 v[25:26], v[25:26], -v[141:142]
	v_fma_f64 v[203:204], v[205:206], v[201:202], v[203:204]
	v_add_f64 v[27:28], v[27:28], -v[203:204]
	ds_read2_b64 v[203:206], v253 offset0:88 offset1:89
	s_waitcnt lgkmcnt(0)
	v_mul_f64 v[141:142], v[205:206], v[143:144]
	v_fma_f64 v[141:142], v[203:204], v[201:202], -v[141:142]
	v_mul_f64 v[203:204], v[203:204], v[143:144]
	v_add_f64 v[21:22], v[21:22], -v[141:142]
	v_fma_f64 v[203:204], v[205:206], v[201:202], v[203:204]
	v_add_f64 v[23:24], v[23:24], -v[203:204]
	ds_read2_b64 v[203:206], v253 offset0:90 offset1:91
	s_waitcnt lgkmcnt(0)
	v_mul_f64 v[141:142], v[205:206], v[143:144]
	v_fma_f64 v[141:142], v[203:204], v[201:202], -v[141:142]
	v_mul_f64 v[203:204], v[203:204], v[143:144]
	v_add_f64 v[17:18], v[17:18], -v[141:142]
	v_fma_f64 v[203:204], v[205:206], v[201:202], v[203:204]
	v_add_f64 v[19:20], v[19:20], -v[203:204]
	ds_read2_b64 v[203:206], v253 offset0:92 offset1:93
	s_waitcnt lgkmcnt(0)
	v_mul_f64 v[141:142], v[205:206], v[143:144]
	v_fma_f64 v[141:142], v[203:204], v[201:202], -v[141:142]
	v_mul_f64 v[203:204], v[203:204], v[143:144]
	v_add_f64 v[13:14], v[13:14], -v[141:142]
	v_fma_f64 v[203:204], v[205:206], v[201:202], v[203:204]
	v_add_f64 v[15:16], v[15:16], -v[203:204]
	ds_read2_b64 v[203:206], v253 offset0:94 offset1:95
	s_waitcnt lgkmcnt(0)
	v_mul_f64 v[141:142], v[205:206], v[143:144]
	v_fma_f64 v[141:142], v[203:204], v[201:202], -v[141:142]
	v_mul_f64 v[203:204], v[203:204], v[143:144]
	v_add_f64 v[9:10], v[9:10], -v[141:142]
	v_fma_f64 v[203:204], v[205:206], v[201:202], v[203:204]
	v_add_f64 v[11:12], v[11:12], -v[203:204]
	ds_read2_b64 v[203:206], v253 offset0:96 offset1:97
	s_waitcnt lgkmcnt(0)
	v_mul_f64 v[141:142], v[205:206], v[143:144]
	v_fma_f64 v[141:142], v[203:204], v[201:202], -v[141:142]
	v_mul_f64 v[203:204], v[203:204], v[143:144]
	v_add_f64 v[5:6], v[5:6], -v[141:142]
	v_fma_f64 v[203:204], v[205:206], v[201:202], v[203:204]
	v_add_f64 v[7:8], v[7:8], -v[203:204]
	ds_read2_b64 v[203:206], v253 offset0:98 offset1:99
	s_waitcnt lgkmcnt(0)
	v_mul_f64 v[141:142], v[205:206], v[143:144]
	v_fma_f64 v[141:142], v[203:204], v[201:202], -v[141:142]
	v_mul_f64 v[203:204], v[203:204], v[143:144]
	v_add_f64 v[1:2], v[1:2], -v[141:142]
	v_fma_f64 v[203:204], v[205:206], v[201:202], v[203:204]
	v_mov_b32_e32 v141, v201
	v_mov_b32_e32 v142, v202
	v_add_f64 v[3:4], v[3:4], -v[203:204]
.LBB99_136:
	s_or_b32 exec_lo, exec_lo, s1
	s_mov_b32 s2, exec_lo
	s_waitcnt_vscnt null, 0x0
	s_barrier
	buffer_gl0_inv
	v_cmpx_eq_u32_e32 15, v0
	s_cbranch_execz .LBB99_143
; %bb.137:
	ds_write2_b64 v255, v[137:138], v[139:140] offset1:1
	ds_write2_b64 v253, v[133:134], v[135:136] offset0:32 offset1:33
	ds_write2_b64 v253, v[129:130], v[131:132] offset0:34 offset1:35
	;; [unrolled: 1-line block ×34, first 2 shown]
	ds_read2_b64 v[201:204], v255 offset1:1
	s_waitcnt lgkmcnt(0)
	v_cmp_neq_f64_e32 vcc_lo, 0, v[201:202]
	v_cmp_neq_f64_e64 s1, 0, v[203:204]
	s_or_b32 s1, vcc_lo, s1
	s_and_b32 exec_lo, exec_lo, s1
	s_cbranch_execz .LBB99_143
; %bb.138:
	v_cmp_ngt_f64_e64 s1, |v[201:202]|, |v[203:204]|
                                        ; implicit-def: $vgpr205_vgpr206
	s_and_saveexec_b32 s3, s1
	s_xor_b32 s1, exec_lo, s3
                                        ; implicit-def: $vgpr207_vgpr208
	s_cbranch_execz .LBB99_140
; %bb.139:
	v_div_scale_f64 v[205:206], null, v[203:204], v[203:204], v[201:202]
	v_div_scale_f64 v[211:212], vcc_lo, v[201:202], v[203:204], v[201:202]
	v_rcp_f64_e32 v[207:208], v[205:206]
	v_fma_f64 v[209:210], -v[205:206], v[207:208], 1.0
	v_fma_f64 v[207:208], v[207:208], v[209:210], v[207:208]
	v_fma_f64 v[209:210], -v[205:206], v[207:208], 1.0
	v_fma_f64 v[207:208], v[207:208], v[209:210], v[207:208]
	v_mul_f64 v[209:210], v[211:212], v[207:208]
	v_fma_f64 v[205:206], -v[205:206], v[209:210], v[211:212]
	v_div_fmas_f64 v[205:206], v[205:206], v[207:208], v[209:210]
	v_div_fixup_f64 v[205:206], v[205:206], v[203:204], v[201:202]
	v_fma_f64 v[201:202], v[201:202], v[205:206], v[203:204]
	v_div_scale_f64 v[203:204], null, v[201:202], v[201:202], 1.0
	v_rcp_f64_e32 v[207:208], v[203:204]
	v_fma_f64 v[209:210], -v[203:204], v[207:208], 1.0
	v_fma_f64 v[207:208], v[207:208], v[209:210], v[207:208]
	v_fma_f64 v[209:210], -v[203:204], v[207:208], 1.0
	v_fma_f64 v[207:208], v[207:208], v[209:210], v[207:208]
	v_div_scale_f64 v[209:210], vcc_lo, 1.0, v[201:202], 1.0
	v_mul_f64 v[211:212], v[209:210], v[207:208]
	v_fma_f64 v[203:204], -v[203:204], v[211:212], v[209:210]
	v_div_fmas_f64 v[203:204], v[203:204], v[207:208], v[211:212]
	v_div_fixup_f64 v[207:208], v[203:204], v[201:202], 1.0
                                        ; implicit-def: $vgpr201_vgpr202
	v_mul_f64 v[205:206], v[205:206], v[207:208]
	v_xor_b32_e32 v208, 0x80000000, v208
.LBB99_140:
	s_andn2_saveexec_b32 s1, s1
	s_cbranch_execz .LBB99_142
; %bb.141:
	v_div_scale_f64 v[205:206], null, v[201:202], v[201:202], v[203:204]
	v_div_scale_f64 v[211:212], vcc_lo, v[203:204], v[201:202], v[203:204]
	v_rcp_f64_e32 v[207:208], v[205:206]
	v_fma_f64 v[209:210], -v[205:206], v[207:208], 1.0
	v_fma_f64 v[207:208], v[207:208], v[209:210], v[207:208]
	v_fma_f64 v[209:210], -v[205:206], v[207:208], 1.0
	v_fma_f64 v[207:208], v[207:208], v[209:210], v[207:208]
	v_mul_f64 v[209:210], v[211:212], v[207:208]
	v_fma_f64 v[205:206], -v[205:206], v[209:210], v[211:212]
	v_div_fmas_f64 v[205:206], v[205:206], v[207:208], v[209:210]
	v_div_fixup_f64 v[207:208], v[205:206], v[201:202], v[203:204]
	v_fma_f64 v[201:202], v[203:204], v[207:208], v[201:202]
	v_div_scale_f64 v[203:204], null, v[201:202], v[201:202], 1.0
	v_rcp_f64_e32 v[205:206], v[203:204]
	v_fma_f64 v[209:210], -v[203:204], v[205:206], 1.0
	v_fma_f64 v[205:206], v[205:206], v[209:210], v[205:206]
	v_fma_f64 v[209:210], -v[203:204], v[205:206], 1.0
	v_fma_f64 v[205:206], v[205:206], v[209:210], v[205:206]
	v_div_scale_f64 v[209:210], vcc_lo, 1.0, v[201:202], 1.0
	v_mul_f64 v[211:212], v[209:210], v[205:206]
	v_fma_f64 v[203:204], -v[203:204], v[211:212], v[209:210]
	v_div_fmas_f64 v[203:204], v[203:204], v[205:206], v[211:212]
	v_div_fixup_f64 v[205:206], v[203:204], v[201:202], 1.0
	v_mul_f64 v[207:208], v[207:208], -v[205:206]
.LBB99_142:
	s_or_b32 exec_lo, exec_lo, s1
	ds_write2_b64 v255, v[205:206], v[207:208] offset1:1
.LBB99_143:
	s_or_b32 exec_lo, exec_lo, s2
	s_waitcnt lgkmcnt(0)
	s_barrier
	buffer_gl0_inv
	ds_read2_b64 v[201:204], v255 offset1:1
	s_mov_b32 s1, exec_lo
	s_waitcnt lgkmcnt(0)
	buffer_store_dword v201, off, s[16:19], 0 offset:616 ; 4-byte Folded Spill
	buffer_store_dword v202, off, s[16:19], 0 offset:620 ; 4-byte Folded Spill
	;; [unrolled: 1-line block ×4, first 2 shown]
	v_cmpx_lt_u32_e32 15, v0
	s_cbranch_execz .LBB99_145
; %bb.144:
	s_clause 0x3
	buffer_load_dword v203, off, s[16:19], 0 offset:616
	buffer_load_dword v204, off, s[16:19], 0 offset:620
	;; [unrolled: 1-line block ×4, first 2 shown]
	s_waitcnt vmcnt(0)
	v_mul_f64 v[201:202], v[205:206], v[139:140]
	v_mul_f64 v[139:140], v[203:204], v[139:140]
	v_fma_f64 v[201:202], v[203:204], v[137:138], -v[201:202]
	v_fma_f64 v[139:140], v[205:206], v[137:138], v[139:140]
	ds_read2_b64 v[203:206], v253 offset0:32 offset1:33
	s_waitcnt lgkmcnt(0)
	v_mul_f64 v[137:138], v[205:206], v[139:140]
	v_fma_f64 v[137:138], v[203:204], v[201:202], -v[137:138]
	v_mul_f64 v[203:204], v[203:204], v[139:140]
	v_add_f64 v[133:134], v[133:134], -v[137:138]
	v_fma_f64 v[203:204], v[205:206], v[201:202], v[203:204]
	v_add_f64 v[135:136], v[135:136], -v[203:204]
	ds_read2_b64 v[203:206], v253 offset0:34 offset1:35
	s_waitcnt lgkmcnt(0)
	v_mul_f64 v[137:138], v[205:206], v[139:140]
	v_fma_f64 v[137:138], v[203:204], v[201:202], -v[137:138]
	v_mul_f64 v[203:204], v[203:204], v[139:140]
	v_add_f64 v[129:130], v[129:130], -v[137:138]
	v_fma_f64 v[203:204], v[205:206], v[201:202], v[203:204]
	v_add_f64 v[131:132], v[131:132], -v[203:204]
	;; [unrolled: 8-line block ×33, first 2 shown]
	ds_read2_b64 v[203:206], v253 offset0:98 offset1:99
	s_waitcnt lgkmcnt(0)
	v_mul_f64 v[137:138], v[205:206], v[139:140]
	v_fma_f64 v[137:138], v[203:204], v[201:202], -v[137:138]
	v_mul_f64 v[203:204], v[203:204], v[139:140]
	v_add_f64 v[1:2], v[1:2], -v[137:138]
	v_fma_f64 v[203:204], v[205:206], v[201:202], v[203:204]
	v_mov_b32_e32 v137, v201
	v_mov_b32_e32 v138, v202
	v_add_f64 v[3:4], v[3:4], -v[203:204]
.LBB99_145:
	s_or_b32 exec_lo, exec_lo, s1
	s_mov_b32 s2, exec_lo
	s_waitcnt_vscnt null, 0x0
	s_barrier
	buffer_gl0_inv
	v_cmpx_eq_u32_e32 16, v0
	s_cbranch_execz .LBB99_152
; %bb.146:
	ds_write2_b64 v255, v[133:134], v[135:136] offset1:1
	ds_write2_b64 v253, v[129:130], v[131:132] offset0:34 offset1:35
	ds_write2_b64 v253, v[125:126], v[127:128] offset0:36 offset1:37
	;; [unrolled: 1-line block ×33, first 2 shown]
	ds_read2_b64 v[201:204], v255 offset1:1
	s_waitcnt lgkmcnt(0)
	v_cmp_neq_f64_e32 vcc_lo, 0, v[201:202]
	v_cmp_neq_f64_e64 s1, 0, v[203:204]
	s_or_b32 s1, vcc_lo, s1
	s_and_b32 exec_lo, exec_lo, s1
	s_cbranch_execz .LBB99_152
; %bb.147:
	v_cmp_ngt_f64_e64 s1, |v[201:202]|, |v[203:204]|
                                        ; implicit-def: $vgpr205_vgpr206
	s_and_saveexec_b32 s3, s1
	s_xor_b32 s1, exec_lo, s3
                                        ; implicit-def: $vgpr207_vgpr208
	s_cbranch_execz .LBB99_149
; %bb.148:
	v_div_scale_f64 v[205:206], null, v[203:204], v[203:204], v[201:202]
	v_div_scale_f64 v[211:212], vcc_lo, v[201:202], v[203:204], v[201:202]
	v_rcp_f64_e32 v[207:208], v[205:206]
	v_fma_f64 v[209:210], -v[205:206], v[207:208], 1.0
	v_fma_f64 v[207:208], v[207:208], v[209:210], v[207:208]
	v_fma_f64 v[209:210], -v[205:206], v[207:208], 1.0
	v_fma_f64 v[207:208], v[207:208], v[209:210], v[207:208]
	v_mul_f64 v[209:210], v[211:212], v[207:208]
	v_fma_f64 v[205:206], -v[205:206], v[209:210], v[211:212]
	v_div_fmas_f64 v[205:206], v[205:206], v[207:208], v[209:210]
	v_div_fixup_f64 v[205:206], v[205:206], v[203:204], v[201:202]
	v_fma_f64 v[201:202], v[201:202], v[205:206], v[203:204]
	v_div_scale_f64 v[203:204], null, v[201:202], v[201:202], 1.0
	v_rcp_f64_e32 v[207:208], v[203:204]
	v_fma_f64 v[209:210], -v[203:204], v[207:208], 1.0
	v_fma_f64 v[207:208], v[207:208], v[209:210], v[207:208]
	v_fma_f64 v[209:210], -v[203:204], v[207:208], 1.0
	v_fma_f64 v[207:208], v[207:208], v[209:210], v[207:208]
	v_div_scale_f64 v[209:210], vcc_lo, 1.0, v[201:202], 1.0
	v_mul_f64 v[211:212], v[209:210], v[207:208]
	v_fma_f64 v[203:204], -v[203:204], v[211:212], v[209:210]
	v_div_fmas_f64 v[203:204], v[203:204], v[207:208], v[211:212]
	v_div_fixup_f64 v[207:208], v[203:204], v[201:202], 1.0
                                        ; implicit-def: $vgpr201_vgpr202
	v_mul_f64 v[205:206], v[205:206], v[207:208]
	v_xor_b32_e32 v208, 0x80000000, v208
.LBB99_149:
	s_andn2_saveexec_b32 s1, s1
	s_cbranch_execz .LBB99_151
; %bb.150:
	v_div_scale_f64 v[205:206], null, v[201:202], v[201:202], v[203:204]
	v_div_scale_f64 v[211:212], vcc_lo, v[203:204], v[201:202], v[203:204]
	v_rcp_f64_e32 v[207:208], v[205:206]
	v_fma_f64 v[209:210], -v[205:206], v[207:208], 1.0
	v_fma_f64 v[207:208], v[207:208], v[209:210], v[207:208]
	v_fma_f64 v[209:210], -v[205:206], v[207:208], 1.0
	v_fma_f64 v[207:208], v[207:208], v[209:210], v[207:208]
	v_mul_f64 v[209:210], v[211:212], v[207:208]
	v_fma_f64 v[205:206], -v[205:206], v[209:210], v[211:212]
	v_div_fmas_f64 v[205:206], v[205:206], v[207:208], v[209:210]
	v_div_fixup_f64 v[207:208], v[205:206], v[201:202], v[203:204]
	v_fma_f64 v[201:202], v[203:204], v[207:208], v[201:202]
	v_div_scale_f64 v[203:204], null, v[201:202], v[201:202], 1.0
	v_rcp_f64_e32 v[205:206], v[203:204]
	v_fma_f64 v[209:210], -v[203:204], v[205:206], 1.0
	v_fma_f64 v[205:206], v[205:206], v[209:210], v[205:206]
	v_fma_f64 v[209:210], -v[203:204], v[205:206], 1.0
	v_fma_f64 v[205:206], v[205:206], v[209:210], v[205:206]
	v_div_scale_f64 v[209:210], vcc_lo, 1.0, v[201:202], 1.0
	v_mul_f64 v[211:212], v[209:210], v[205:206]
	v_fma_f64 v[203:204], -v[203:204], v[211:212], v[209:210]
	v_div_fmas_f64 v[203:204], v[203:204], v[205:206], v[211:212]
	v_div_fixup_f64 v[205:206], v[203:204], v[201:202], 1.0
	v_mul_f64 v[207:208], v[207:208], -v[205:206]
.LBB99_151:
	s_or_b32 exec_lo, exec_lo, s1
	ds_write2_b64 v255, v[205:206], v[207:208] offset1:1
.LBB99_152:
	s_or_b32 exec_lo, exec_lo, s2
	s_waitcnt lgkmcnt(0)
	s_barrier
	buffer_gl0_inv
	ds_read2_b64 v[201:204], v255 offset1:1
	s_mov_b32 s1, exec_lo
	s_waitcnt lgkmcnt(0)
	buffer_store_dword v201, off, s[16:19], 0 offset:632 ; 4-byte Folded Spill
	buffer_store_dword v202, off, s[16:19], 0 offset:636 ; 4-byte Folded Spill
	;; [unrolled: 1-line block ×4, first 2 shown]
	v_cmpx_lt_u32_e32 16, v0
	s_cbranch_execz .LBB99_154
; %bb.153:
	s_clause 0x3
	buffer_load_dword v203, off, s[16:19], 0 offset:632
	buffer_load_dword v204, off, s[16:19], 0 offset:636
	;; [unrolled: 1-line block ×4, first 2 shown]
	s_waitcnt vmcnt(0)
	v_mul_f64 v[201:202], v[205:206], v[135:136]
	v_mul_f64 v[135:136], v[203:204], v[135:136]
	v_fma_f64 v[201:202], v[203:204], v[133:134], -v[201:202]
	v_fma_f64 v[135:136], v[205:206], v[133:134], v[135:136]
	ds_read2_b64 v[203:206], v253 offset0:34 offset1:35
	s_waitcnt lgkmcnt(0)
	v_mul_f64 v[133:134], v[205:206], v[135:136]
	v_fma_f64 v[133:134], v[203:204], v[201:202], -v[133:134]
	v_mul_f64 v[203:204], v[203:204], v[135:136]
	v_add_f64 v[129:130], v[129:130], -v[133:134]
	v_fma_f64 v[203:204], v[205:206], v[201:202], v[203:204]
	v_add_f64 v[131:132], v[131:132], -v[203:204]
	ds_read2_b64 v[203:206], v253 offset0:36 offset1:37
	s_waitcnt lgkmcnt(0)
	v_mul_f64 v[133:134], v[205:206], v[135:136]
	v_fma_f64 v[133:134], v[203:204], v[201:202], -v[133:134]
	v_mul_f64 v[203:204], v[203:204], v[135:136]
	v_add_f64 v[125:126], v[125:126], -v[133:134]
	v_fma_f64 v[203:204], v[205:206], v[201:202], v[203:204]
	v_add_f64 v[127:128], v[127:128], -v[203:204]
	;; [unrolled: 8-line block ×32, first 2 shown]
	ds_read2_b64 v[203:206], v253 offset0:98 offset1:99
	s_waitcnt lgkmcnt(0)
	v_mul_f64 v[133:134], v[205:206], v[135:136]
	v_fma_f64 v[133:134], v[203:204], v[201:202], -v[133:134]
	v_mul_f64 v[203:204], v[203:204], v[135:136]
	v_add_f64 v[1:2], v[1:2], -v[133:134]
	v_fma_f64 v[203:204], v[205:206], v[201:202], v[203:204]
	v_mov_b32_e32 v133, v201
	v_mov_b32_e32 v134, v202
	v_add_f64 v[3:4], v[3:4], -v[203:204]
.LBB99_154:
	s_or_b32 exec_lo, exec_lo, s1
	s_mov_b32 s2, exec_lo
	s_waitcnt_vscnt null, 0x0
	s_barrier
	buffer_gl0_inv
	v_cmpx_eq_u32_e32 17, v0
	s_cbranch_execz .LBB99_161
; %bb.155:
	ds_write2_b64 v255, v[129:130], v[131:132] offset1:1
	ds_write2_b64 v253, v[125:126], v[127:128] offset0:36 offset1:37
	ds_write2_b64 v253, v[121:122], v[123:124] offset0:38 offset1:39
	;; [unrolled: 1-line block ×32, first 2 shown]
	ds_read2_b64 v[201:204], v255 offset1:1
	s_waitcnt lgkmcnt(0)
	v_cmp_neq_f64_e32 vcc_lo, 0, v[201:202]
	v_cmp_neq_f64_e64 s1, 0, v[203:204]
	s_or_b32 s1, vcc_lo, s1
	s_and_b32 exec_lo, exec_lo, s1
	s_cbranch_execz .LBB99_161
; %bb.156:
	v_cmp_ngt_f64_e64 s1, |v[201:202]|, |v[203:204]|
                                        ; implicit-def: $vgpr205_vgpr206
	s_and_saveexec_b32 s3, s1
	s_xor_b32 s1, exec_lo, s3
                                        ; implicit-def: $vgpr207_vgpr208
	s_cbranch_execz .LBB99_158
; %bb.157:
	v_div_scale_f64 v[205:206], null, v[203:204], v[203:204], v[201:202]
	v_div_scale_f64 v[211:212], vcc_lo, v[201:202], v[203:204], v[201:202]
	v_rcp_f64_e32 v[207:208], v[205:206]
	v_fma_f64 v[209:210], -v[205:206], v[207:208], 1.0
	v_fma_f64 v[207:208], v[207:208], v[209:210], v[207:208]
	v_fma_f64 v[209:210], -v[205:206], v[207:208], 1.0
	v_fma_f64 v[207:208], v[207:208], v[209:210], v[207:208]
	v_mul_f64 v[209:210], v[211:212], v[207:208]
	v_fma_f64 v[205:206], -v[205:206], v[209:210], v[211:212]
	v_div_fmas_f64 v[205:206], v[205:206], v[207:208], v[209:210]
	v_div_fixup_f64 v[205:206], v[205:206], v[203:204], v[201:202]
	v_fma_f64 v[201:202], v[201:202], v[205:206], v[203:204]
	v_div_scale_f64 v[203:204], null, v[201:202], v[201:202], 1.0
	v_rcp_f64_e32 v[207:208], v[203:204]
	v_fma_f64 v[209:210], -v[203:204], v[207:208], 1.0
	v_fma_f64 v[207:208], v[207:208], v[209:210], v[207:208]
	v_fma_f64 v[209:210], -v[203:204], v[207:208], 1.0
	v_fma_f64 v[207:208], v[207:208], v[209:210], v[207:208]
	v_div_scale_f64 v[209:210], vcc_lo, 1.0, v[201:202], 1.0
	v_mul_f64 v[211:212], v[209:210], v[207:208]
	v_fma_f64 v[203:204], -v[203:204], v[211:212], v[209:210]
	v_div_fmas_f64 v[203:204], v[203:204], v[207:208], v[211:212]
	v_div_fixup_f64 v[207:208], v[203:204], v[201:202], 1.0
                                        ; implicit-def: $vgpr201_vgpr202
	v_mul_f64 v[205:206], v[205:206], v[207:208]
	v_xor_b32_e32 v208, 0x80000000, v208
.LBB99_158:
	s_andn2_saveexec_b32 s1, s1
	s_cbranch_execz .LBB99_160
; %bb.159:
	v_div_scale_f64 v[205:206], null, v[201:202], v[201:202], v[203:204]
	v_div_scale_f64 v[211:212], vcc_lo, v[203:204], v[201:202], v[203:204]
	v_rcp_f64_e32 v[207:208], v[205:206]
	v_fma_f64 v[209:210], -v[205:206], v[207:208], 1.0
	v_fma_f64 v[207:208], v[207:208], v[209:210], v[207:208]
	v_fma_f64 v[209:210], -v[205:206], v[207:208], 1.0
	v_fma_f64 v[207:208], v[207:208], v[209:210], v[207:208]
	v_mul_f64 v[209:210], v[211:212], v[207:208]
	v_fma_f64 v[205:206], -v[205:206], v[209:210], v[211:212]
	v_div_fmas_f64 v[205:206], v[205:206], v[207:208], v[209:210]
	v_div_fixup_f64 v[207:208], v[205:206], v[201:202], v[203:204]
	v_fma_f64 v[201:202], v[203:204], v[207:208], v[201:202]
	v_div_scale_f64 v[203:204], null, v[201:202], v[201:202], 1.0
	v_rcp_f64_e32 v[205:206], v[203:204]
	v_fma_f64 v[209:210], -v[203:204], v[205:206], 1.0
	v_fma_f64 v[205:206], v[205:206], v[209:210], v[205:206]
	v_fma_f64 v[209:210], -v[203:204], v[205:206], 1.0
	v_fma_f64 v[205:206], v[205:206], v[209:210], v[205:206]
	v_div_scale_f64 v[209:210], vcc_lo, 1.0, v[201:202], 1.0
	v_mul_f64 v[211:212], v[209:210], v[205:206]
	v_fma_f64 v[203:204], -v[203:204], v[211:212], v[209:210]
	v_div_fmas_f64 v[203:204], v[203:204], v[205:206], v[211:212]
	v_div_fixup_f64 v[205:206], v[203:204], v[201:202], 1.0
	v_mul_f64 v[207:208], v[207:208], -v[205:206]
.LBB99_160:
	s_or_b32 exec_lo, exec_lo, s1
	ds_write2_b64 v255, v[205:206], v[207:208] offset1:1
.LBB99_161:
	s_or_b32 exec_lo, exec_lo, s2
	s_waitcnt lgkmcnt(0)
	s_barrier
	buffer_gl0_inv
	ds_read2_b64 v[201:204], v255 offset1:1
	s_mov_b32 s1, exec_lo
	s_waitcnt lgkmcnt(0)
	buffer_store_dword v201, off, s[16:19], 0 offset:648 ; 4-byte Folded Spill
	buffer_store_dword v202, off, s[16:19], 0 offset:652 ; 4-byte Folded Spill
	;; [unrolled: 1-line block ×4, first 2 shown]
	v_cmpx_lt_u32_e32 17, v0
	s_cbranch_execz .LBB99_163
; %bb.162:
	s_clause 0x3
	buffer_load_dword v203, off, s[16:19], 0 offset:648
	buffer_load_dword v204, off, s[16:19], 0 offset:652
	;; [unrolled: 1-line block ×4, first 2 shown]
	s_waitcnt vmcnt(0)
	v_mul_f64 v[201:202], v[205:206], v[131:132]
	v_mul_f64 v[131:132], v[203:204], v[131:132]
	v_fma_f64 v[201:202], v[203:204], v[129:130], -v[201:202]
	v_fma_f64 v[131:132], v[205:206], v[129:130], v[131:132]
	ds_read2_b64 v[203:206], v253 offset0:36 offset1:37
	s_waitcnt lgkmcnt(0)
	v_mul_f64 v[129:130], v[205:206], v[131:132]
	v_fma_f64 v[129:130], v[203:204], v[201:202], -v[129:130]
	v_mul_f64 v[203:204], v[203:204], v[131:132]
	v_add_f64 v[125:126], v[125:126], -v[129:130]
	v_fma_f64 v[203:204], v[205:206], v[201:202], v[203:204]
	v_add_f64 v[127:128], v[127:128], -v[203:204]
	ds_read2_b64 v[203:206], v253 offset0:38 offset1:39
	s_waitcnt lgkmcnt(0)
	v_mul_f64 v[129:130], v[205:206], v[131:132]
	v_fma_f64 v[129:130], v[203:204], v[201:202], -v[129:130]
	v_mul_f64 v[203:204], v[203:204], v[131:132]
	v_add_f64 v[121:122], v[121:122], -v[129:130]
	v_fma_f64 v[203:204], v[205:206], v[201:202], v[203:204]
	v_add_f64 v[123:124], v[123:124], -v[203:204]
	;; [unrolled: 8-line block ×31, first 2 shown]
	ds_read2_b64 v[203:206], v253 offset0:98 offset1:99
	s_waitcnt lgkmcnt(0)
	v_mul_f64 v[129:130], v[205:206], v[131:132]
	v_fma_f64 v[129:130], v[203:204], v[201:202], -v[129:130]
	v_mul_f64 v[203:204], v[203:204], v[131:132]
	v_add_f64 v[1:2], v[1:2], -v[129:130]
	v_fma_f64 v[203:204], v[205:206], v[201:202], v[203:204]
	v_mov_b32_e32 v129, v201
	v_mov_b32_e32 v130, v202
	v_add_f64 v[3:4], v[3:4], -v[203:204]
.LBB99_163:
	s_or_b32 exec_lo, exec_lo, s1
	s_mov_b32 s2, exec_lo
	s_waitcnt_vscnt null, 0x0
	s_barrier
	buffer_gl0_inv
	v_cmpx_eq_u32_e32 18, v0
	s_cbranch_execz .LBB99_170
; %bb.164:
	ds_write2_b64 v255, v[125:126], v[127:128] offset1:1
	ds_write2_b64 v253, v[121:122], v[123:124] offset0:38 offset1:39
	ds_write2_b64 v253, v[117:118], v[119:120] offset0:40 offset1:41
	;; [unrolled: 1-line block ×31, first 2 shown]
	ds_read2_b64 v[201:204], v255 offset1:1
	s_waitcnt lgkmcnt(0)
	v_cmp_neq_f64_e32 vcc_lo, 0, v[201:202]
	v_cmp_neq_f64_e64 s1, 0, v[203:204]
	s_or_b32 s1, vcc_lo, s1
	s_and_b32 exec_lo, exec_lo, s1
	s_cbranch_execz .LBB99_170
; %bb.165:
	v_cmp_ngt_f64_e64 s1, |v[201:202]|, |v[203:204]|
                                        ; implicit-def: $vgpr205_vgpr206
	s_and_saveexec_b32 s3, s1
	s_xor_b32 s1, exec_lo, s3
                                        ; implicit-def: $vgpr207_vgpr208
	s_cbranch_execz .LBB99_167
; %bb.166:
	v_div_scale_f64 v[205:206], null, v[203:204], v[203:204], v[201:202]
	v_div_scale_f64 v[211:212], vcc_lo, v[201:202], v[203:204], v[201:202]
	v_rcp_f64_e32 v[207:208], v[205:206]
	v_fma_f64 v[209:210], -v[205:206], v[207:208], 1.0
	v_fma_f64 v[207:208], v[207:208], v[209:210], v[207:208]
	v_fma_f64 v[209:210], -v[205:206], v[207:208], 1.0
	v_fma_f64 v[207:208], v[207:208], v[209:210], v[207:208]
	v_mul_f64 v[209:210], v[211:212], v[207:208]
	v_fma_f64 v[205:206], -v[205:206], v[209:210], v[211:212]
	v_div_fmas_f64 v[205:206], v[205:206], v[207:208], v[209:210]
	v_div_fixup_f64 v[205:206], v[205:206], v[203:204], v[201:202]
	v_fma_f64 v[201:202], v[201:202], v[205:206], v[203:204]
	v_div_scale_f64 v[203:204], null, v[201:202], v[201:202], 1.0
	v_rcp_f64_e32 v[207:208], v[203:204]
	v_fma_f64 v[209:210], -v[203:204], v[207:208], 1.0
	v_fma_f64 v[207:208], v[207:208], v[209:210], v[207:208]
	v_fma_f64 v[209:210], -v[203:204], v[207:208], 1.0
	v_fma_f64 v[207:208], v[207:208], v[209:210], v[207:208]
	v_div_scale_f64 v[209:210], vcc_lo, 1.0, v[201:202], 1.0
	v_mul_f64 v[211:212], v[209:210], v[207:208]
	v_fma_f64 v[203:204], -v[203:204], v[211:212], v[209:210]
	v_div_fmas_f64 v[203:204], v[203:204], v[207:208], v[211:212]
	v_div_fixup_f64 v[207:208], v[203:204], v[201:202], 1.0
                                        ; implicit-def: $vgpr201_vgpr202
	v_mul_f64 v[205:206], v[205:206], v[207:208]
	v_xor_b32_e32 v208, 0x80000000, v208
.LBB99_167:
	s_andn2_saveexec_b32 s1, s1
	s_cbranch_execz .LBB99_169
; %bb.168:
	v_div_scale_f64 v[205:206], null, v[201:202], v[201:202], v[203:204]
	v_div_scale_f64 v[211:212], vcc_lo, v[203:204], v[201:202], v[203:204]
	v_rcp_f64_e32 v[207:208], v[205:206]
	v_fma_f64 v[209:210], -v[205:206], v[207:208], 1.0
	v_fma_f64 v[207:208], v[207:208], v[209:210], v[207:208]
	v_fma_f64 v[209:210], -v[205:206], v[207:208], 1.0
	v_fma_f64 v[207:208], v[207:208], v[209:210], v[207:208]
	v_mul_f64 v[209:210], v[211:212], v[207:208]
	v_fma_f64 v[205:206], -v[205:206], v[209:210], v[211:212]
	v_div_fmas_f64 v[205:206], v[205:206], v[207:208], v[209:210]
	v_div_fixup_f64 v[207:208], v[205:206], v[201:202], v[203:204]
	v_fma_f64 v[201:202], v[203:204], v[207:208], v[201:202]
	v_div_scale_f64 v[203:204], null, v[201:202], v[201:202], 1.0
	v_rcp_f64_e32 v[205:206], v[203:204]
	v_fma_f64 v[209:210], -v[203:204], v[205:206], 1.0
	v_fma_f64 v[205:206], v[205:206], v[209:210], v[205:206]
	v_fma_f64 v[209:210], -v[203:204], v[205:206], 1.0
	v_fma_f64 v[205:206], v[205:206], v[209:210], v[205:206]
	v_div_scale_f64 v[209:210], vcc_lo, 1.0, v[201:202], 1.0
	v_mul_f64 v[211:212], v[209:210], v[205:206]
	v_fma_f64 v[203:204], -v[203:204], v[211:212], v[209:210]
	v_div_fmas_f64 v[203:204], v[203:204], v[205:206], v[211:212]
	v_div_fixup_f64 v[205:206], v[203:204], v[201:202], 1.0
	v_mul_f64 v[207:208], v[207:208], -v[205:206]
.LBB99_169:
	s_or_b32 exec_lo, exec_lo, s1
	ds_write2_b64 v255, v[205:206], v[207:208] offset1:1
.LBB99_170:
	s_or_b32 exec_lo, exec_lo, s2
	s_waitcnt lgkmcnt(0)
	s_barrier
	buffer_gl0_inv
	ds_read2_b64 v[201:204], v255 offset1:1
	s_mov_b32 s1, exec_lo
	s_waitcnt lgkmcnt(0)
	buffer_store_dword v201, off, s[16:19], 0 offset:664 ; 4-byte Folded Spill
	buffer_store_dword v202, off, s[16:19], 0 offset:668 ; 4-byte Folded Spill
	;; [unrolled: 1-line block ×4, first 2 shown]
	v_cmpx_lt_u32_e32 18, v0
	s_cbranch_execz .LBB99_172
; %bb.171:
	s_clause 0x3
	buffer_load_dword v203, off, s[16:19], 0 offset:664
	buffer_load_dword v204, off, s[16:19], 0 offset:668
	;; [unrolled: 1-line block ×4, first 2 shown]
	s_waitcnt vmcnt(0)
	v_mul_f64 v[201:202], v[205:206], v[127:128]
	v_mul_f64 v[127:128], v[203:204], v[127:128]
	v_fma_f64 v[201:202], v[203:204], v[125:126], -v[201:202]
	v_fma_f64 v[127:128], v[205:206], v[125:126], v[127:128]
	ds_read2_b64 v[203:206], v253 offset0:38 offset1:39
	s_waitcnt lgkmcnt(0)
	v_mul_f64 v[125:126], v[205:206], v[127:128]
	v_fma_f64 v[125:126], v[203:204], v[201:202], -v[125:126]
	v_mul_f64 v[203:204], v[203:204], v[127:128]
	v_add_f64 v[121:122], v[121:122], -v[125:126]
	v_fma_f64 v[203:204], v[205:206], v[201:202], v[203:204]
	v_add_f64 v[123:124], v[123:124], -v[203:204]
	ds_read2_b64 v[203:206], v253 offset0:40 offset1:41
	s_waitcnt lgkmcnt(0)
	v_mul_f64 v[125:126], v[205:206], v[127:128]
	v_fma_f64 v[125:126], v[203:204], v[201:202], -v[125:126]
	v_mul_f64 v[203:204], v[203:204], v[127:128]
	v_add_f64 v[117:118], v[117:118], -v[125:126]
	v_fma_f64 v[203:204], v[205:206], v[201:202], v[203:204]
	v_add_f64 v[119:120], v[119:120], -v[203:204]
	;; [unrolled: 8-line block ×30, first 2 shown]
	ds_read2_b64 v[203:206], v253 offset0:98 offset1:99
	s_waitcnt lgkmcnt(0)
	v_mul_f64 v[125:126], v[205:206], v[127:128]
	v_fma_f64 v[125:126], v[203:204], v[201:202], -v[125:126]
	v_mul_f64 v[203:204], v[203:204], v[127:128]
	v_add_f64 v[1:2], v[1:2], -v[125:126]
	v_fma_f64 v[203:204], v[205:206], v[201:202], v[203:204]
	v_mov_b32_e32 v125, v201
	v_mov_b32_e32 v126, v202
	v_add_f64 v[3:4], v[3:4], -v[203:204]
.LBB99_172:
	s_or_b32 exec_lo, exec_lo, s1
	s_mov_b32 s2, exec_lo
	s_waitcnt_vscnt null, 0x0
	s_barrier
	buffer_gl0_inv
	v_cmpx_eq_u32_e32 19, v0
	s_cbranch_execz .LBB99_179
; %bb.173:
	ds_write2_b64 v255, v[121:122], v[123:124] offset1:1
	ds_write2_b64 v253, v[117:118], v[119:120] offset0:40 offset1:41
	ds_write2_b64 v253, v[113:114], v[115:116] offset0:42 offset1:43
	;; [unrolled: 1-line block ×30, first 2 shown]
	ds_read2_b64 v[201:204], v255 offset1:1
	s_waitcnt lgkmcnt(0)
	v_cmp_neq_f64_e32 vcc_lo, 0, v[201:202]
	v_cmp_neq_f64_e64 s1, 0, v[203:204]
	s_or_b32 s1, vcc_lo, s1
	s_and_b32 exec_lo, exec_lo, s1
	s_cbranch_execz .LBB99_179
; %bb.174:
	v_cmp_ngt_f64_e64 s1, |v[201:202]|, |v[203:204]|
                                        ; implicit-def: $vgpr205_vgpr206
	s_and_saveexec_b32 s3, s1
	s_xor_b32 s1, exec_lo, s3
                                        ; implicit-def: $vgpr207_vgpr208
	s_cbranch_execz .LBB99_176
; %bb.175:
	v_div_scale_f64 v[205:206], null, v[203:204], v[203:204], v[201:202]
	v_div_scale_f64 v[211:212], vcc_lo, v[201:202], v[203:204], v[201:202]
	v_rcp_f64_e32 v[207:208], v[205:206]
	v_fma_f64 v[209:210], -v[205:206], v[207:208], 1.0
	v_fma_f64 v[207:208], v[207:208], v[209:210], v[207:208]
	v_fma_f64 v[209:210], -v[205:206], v[207:208], 1.0
	v_fma_f64 v[207:208], v[207:208], v[209:210], v[207:208]
	v_mul_f64 v[209:210], v[211:212], v[207:208]
	v_fma_f64 v[205:206], -v[205:206], v[209:210], v[211:212]
	v_div_fmas_f64 v[205:206], v[205:206], v[207:208], v[209:210]
	v_div_fixup_f64 v[205:206], v[205:206], v[203:204], v[201:202]
	v_fma_f64 v[201:202], v[201:202], v[205:206], v[203:204]
	v_div_scale_f64 v[203:204], null, v[201:202], v[201:202], 1.0
	v_rcp_f64_e32 v[207:208], v[203:204]
	v_fma_f64 v[209:210], -v[203:204], v[207:208], 1.0
	v_fma_f64 v[207:208], v[207:208], v[209:210], v[207:208]
	v_fma_f64 v[209:210], -v[203:204], v[207:208], 1.0
	v_fma_f64 v[207:208], v[207:208], v[209:210], v[207:208]
	v_div_scale_f64 v[209:210], vcc_lo, 1.0, v[201:202], 1.0
	v_mul_f64 v[211:212], v[209:210], v[207:208]
	v_fma_f64 v[203:204], -v[203:204], v[211:212], v[209:210]
	v_div_fmas_f64 v[203:204], v[203:204], v[207:208], v[211:212]
	v_div_fixup_f64 v[207:208], v[203:204], v[201:202], 1.0
                                        ; implicit-def: $vgpr201_vgpr202
	v_mul_f64 v[205:206], v[205:206], v[207:208]
	v_xor_b32_e32 v208, 0x80000000, v208
.LBB99_176:
	s_andn2_saveexec_b32 s1, s1
	s_cbranch_execz .LBB99_178
; %bb.177:
	v_div_scale_f64 v[205:206], null, v[201:202], v[201:202], v[203:204]
	v_div_scale_f64 v[211:212], vcc_lo, v[203:204], v[201:202], v[203:204]
	v_rcp_f64_e32 v[207:208], v[205:206]
	v_fma_f64 v[209:210], -v[205:206], v[207:208], 1.0
	v_fma_f64 v[207:208], v[207:208], v[209:210], v[207:208]
	v_fma_f64 v[209:210], -v[205:206], v[207:208], 1.0
	v_fma_f64 v[207:208], v[207:208], v[209:210], v[207:208]
	v_mul_f64 v[209:210], v[211:212], v[207:208]
	v_fma_f64 v[205:206], -v[205:206], v[209:210], v[211:212]
	v_div_fmas_f64 v[205:206], v[205:206], v[207:208], v[209:210]
	v_div_fixup_f64 v[207:208], v[205:206], v[201:202], v[203:204]
	v_fma_f64 v[201:202], v[203:204], v[207:208], v[201:202]
	v_div_scale_f64 v[203:204], null, v[201:202], v[201:202], 1.0
	v_rcp_f64_e32 v[205:206], v[203:204]
	v_fma_f64 v[209:210], -v[203:204], v[205:206], 1.0
	v_fma_f64 v[205:206], v[205:206], v[209:210], v[205:206]
	v_fma_f64 v[209:210], -v[203:204], v[205:206], 1.0
	v_fma_f64 v[205:206], v[205:206], v[209:210], v[205:206]
	v_div_scale_f64 v[209:210], vcc_lo, 1.0, v[201:202], 1.0
	v_mul_f64 v[211:212], v[209:210], v[205:206]
	v_fma_f64 v[203:204], -v[203:204], v[211:212], v[209:210]
	v_div_fmas_f64 v[203:204], v[203:204], v[205:206], v[211:212]
	v_div_fixup_f64 v[205:206], v[203:204], v[201:202], 1.0
	v_mul_f64 v[207:208], v[207:208], -v[205:206]
.LBB99_178:
	s_or_b32 exec_lo, exec_lo, s1
	ds_write2_b64 v255, v[205:206], v[207:208] offset1:1
.LBB99_179:
	s_or_b32 exec_lo, exec_lo, s2
	s_waitcnt lgkmcnt(0)
	s_barrier
	buffer_gl0_inv
	ds_read2_b64 v[201:204], v255 offset1:1
	s_mov_b32 s1, exec_lo
	s_waitcnt lgkmcnt(0)
	buffer_store_dword v201, off, s[16:19], 0 offset:680 ; 4-byte Folded Spill
	buffer_store_dword v202, off, s[16:19], 0 offset:684 ; 4-byte Folded Spill
	;; [unrolled: 1-line block ×4, first 2 shown]
	v_cmpx_lt_u32_e32 19, v0
	s_cbranch_execz .LBB99_181
; %bb.180:
	s_clause 0x3
	buffer_load_dword v203, off, s[16:19], 0 offset:680
	buffer_load_dword v204, off, s[16:19], 0 offset:684
	;; [unrolled: 1-line block ×4, first 2 shown]
	s_waitcnt vmcnt(0)
	v_mul_f64 v[201:202], v[205:206], v[123:124]
	v_mul_f64 v[123:124], v[203:204], v[123:124]
	v_fma_f64 v[201:202], v[203:204], v[121:122], -v[201:202]
	v_fma_f64 v[123:124], v[205:206], v[121:122], v[123:124]
	ds_read2_b64 v[203:206], v253 offset0:40 offset1:41
	s_waitcnt lgkmcnt(0)
	v_mul_f64 v[121:122], v[205:206], v[123:124]
	v_fma_f64 v[121:122], v[203:204], v[201:202], -v[121:122]
	v_mul_f64 v[203:204], v[203:204], v[123:124]
	v_add_f64 v[117:118], v[117:118], -v[121:122]
	v_fma_f64 v[203:204], v[205:206], v[201:202], v[203:204]
	v_add_f64 v[119:120], v[119:120], -v[203:204]
	ds_read2_b64 v[203:206], v253 offset0:42 offset1:43
	s_waitcnt lgkmcnt(0)
	v_mul_f64 v[121:122], v[205:206], v[123:124]
	v_fma_f64 v[121:122], v[203:204], v[201:202], -v[121:122]
	v_mul_f64 v[203:204], v[203:204], v[123:124]
	v_add_f64 v[113:114], v[113:114], -v[121:122]
	v_fma_f64 v[203:204], v[205:206], v[201:202], v[203:204]
	v_add_f64 v[115:116], v[115:116], -v[203:204]
	;; [unrolled: 8-line block ×29, first 2 shown]
	ds_read2_b64 v[203:206], v253 offset0:98 offset1:99
	s_waitcnt lgkmcnt(0)
	v_mul_f64 v[121:122], v[205:206], v[123:124]
	v_fma_f64 v[121:122], v[203:204], v[201:202], -v[121:122]
	v_mul_f64 v[203:204], v[203:204], v[123:124]
	v_add_f64 v[1:2], v[1:2], -v[121:122]
	v_fma_f64 v[203:204], v[205:206], v[201:202], v[203:204]
	v_mov_b32_e32 v121, v201
	v_mov_b32_e32 v122, v202
	v_add_f64 v[3:4], v[3:4], -v[203:204]
.LBB99_181:
	s_or_b32 exec_lo, exec_lo, s1
	s_mov_b32 s2, exec_lo
	s_waitcnt_vscnt null, 0x0
	s_barrier
	buffer_gl0_inv
	v_cmpx_eq_u32_e32 20, v0
	s_cbranch_execz .LBB99_188
; %bb.182:
	ds_write2_b64 v255, v[117:118], v[119:120] offset1:1
	ds_write2_b64 v253, v[113:114], v[115:116] offset0:42 offset1:43
	ds_write2_b64 v253, v[109:110], v[111:112] offset0:44 offset1:45
	;; [unrolled: 1-line block ×29, first 2 shown]
	ds_read2_b64 v[201:204], v255 offset1:1
	s_waitcnt lgkmcnt(0)
	v_cmp_neq_f64_e32 vcc_lo, 0, v[201:202]
	v_cmp_neq_f64_e64 s1, 0, v[203:204]
	s_or_b32 s1, vcc_lo, s1
	s_and_b32 exec_lo, exec_lo, s1
	s_cbranch_execz .LBB99_188
; %bb.183:
	v_cmp_ngt_f64_e64 s1, |v[201:202]|, |v[203:204]|
                                        ; implicit-def: $vgpr205_vgpr206
	s_and_saveexec_b32 s3, s1
	s_xor_b32 s1, exec_lo, s3
                                        ; implicit-def: $vgpr207_vgpr208
	s_cbranch_execz .LBB99_185
; %bb.184:
	v_div_scale_f64 v[205:206], null, v[203:204], v[203:204], v[201:202]
	v_div_scale_f64 v[211:212], vcc_lo, v[201:202], v[203:204], v[201:202]
	v_rcp_f64_e32 v[207:208], v[205:206]
	v_fma_f64 v[209:210], -v[205:206], v[207:208], 1.0
	v_fma_f64 v[207:208], v[207:208], v[209:210], v[207:208]
	v_fma_f64 v[209:210], -v[205:206], v[207:208], 1.0
	v_fma_f64 v[207:208], v[207:208], v[209:210], v[207:208]
	v_mul_f64 v[209:210], v[211:212], v[207:208]
	v_fma_f64 v[205:206], -v[205:206], v[209:210], v[211:212]
	v_div_fmas_f64 v[205:206], v[205:206], v[207:208], v[209:210]
	v_div_fixup_f64 v[205:206], v[205:206], v[203:204], v[201:202]
	v_fma_f64 v[201:202], v[201:202], v[205:206], v[203:204]
	v_div_scale_f64 v[203:204], null, v[201:202], v[201:202], 1.0
	v_rcp_f64_e32 v[207:208], v[203:204]
	v_fma_f64 v[209:210], -v[203:204], v[207:208], 1.0
	v_fma_f64 v[207:208], v[207:208], v[209:210], v[207:208]
	v_fma_f64 v[209:210], -v[203:204], v[207:208], 1.0
	v_fma_f64 v[207:208], v[207:208], v[209:210], v[207:208]
	v_div_scale_f64 v[209:210], vcc_lo, 1.0, v[201:202], 1.0
	v_mul_f64 v[211:212], v[209:210], v[207:208]
	v_fma_f64 v[203:204], -v[203:204], v[211:212], v[209:210]
	v_div_fmas_f64 v[203:204], v[203:204], v[207:208], v[211:212]
	v_div_fixup_f64 v[207:208], v[203:204], v[201:202], 1.0
                                        ; implicit-def: $vgpr201_vgpr202
	v_mul_f64 v[205:206], v[205:206], v[207:208]
	v_xor_b32_e32 v208, 0x80000000, v208
.LBB99_185:
	s_andn2_saveexec_b32 s1, s1
	s_cbranch_execz .LBB99_187
; %bb.186:
	v_div_scale_f64 v[205:206], null, v[201:202], v[201:202], v[203:204]
	v_div_scale_f64 v[211:212], vcc_lo, v[203:204], v[201:202], v[203:204]
	v_rcp_f64_e32 v[207:208], v[205:206]
	v_fma_f64 v[209:210], -v[205:206], v[207:208], 1.0
	v_fma_f64 v[207:208], v[207:208], v[209:210], v[207:208]
	v_fma_f64 v[209:210], -v[205:206], v[207:208], 1.0
	v_fma_f64 v[207:208], v[207:208], v[209:210], v[207:208]
	v_mul_f64 v[209:210], v[211:212], v[207:208]
	v_fma_f64 v[205:206], -v[205:206], v[209:210], v[211:212]
	v_div_fmas_f64 v[205:206], v[205:206], v[207:208], v[209:210]
	v_div_fixup_f64 v[207:208], v[205:206], v[201:202], v[203:204]
	v_fma_f64 v[201:202], v[203:204], v[207:208], v[201:202]
	v_div_scale_f64 v[203:204], null, v[201:202], v[201:202], 1.0
	v_rcp_f64_e32 v[205:206], v[203:204]
	v_fma_f64 v[209:210], -v[203:204], v[205:206], 1.0
	v_fma_f64 v[205:206], v[205:206], v[209:210], v[205:206]
	v_fma_f64 v[209:210], -v[203:204], v[205:206], 1.0
	v_fma_f64 v[205:206], v[205:206], v[209:210], v[205:206]
	v_div_scale_f64 v[209:210], vcc_lo, 1.0, v[201:202], 1.0
	v_mul_f64 v[211:212], v[209:210], v[205:206]
	v_fma_f64 v[203:204], -v[203:204], v[211:212], v[209:210]
	v_div_fmas_f64 v[203:204], v[203:204], v[205:206], v[211:212]
	v_div_fixup_f64 v[205:206], v[203:204], v[201:202], 1.0
	v_mul_f64 v[207:208], v[207:208], -v[205:206]
.LBB99_187:
	s_or_b32 exec_lo, exec_lo, s1
	ds_write2_b64 v255, v[205:206], v[207:208] offset1:1
.LBB99_188:
	s_or_b32 exec_lo, exec_lo, s2
	s_waitcnt lgkmcnt(0)
	s_barrier
	buffer_gl0_inv
	ds_read2_b64 v[201:204], v255 offset1:1
	s_mov_b32 s1, exec_lo
	s_waitcnt lgkmcnt(0)
	buffer_store_dword v201, off, s[16:19], 0 offset:696 ; 4-byte Folded Spill
	buffer_store_dword v202, off, s[16:19], 0 offset:700 ; 4-byte Folded Spill
	buffer_store_dword v203, off, s[16:19], 0 offset:704 ; 4-byte Folded Spill
	buffer_store_dword v204, off, s[16:19], 0 offset:708 ; 4-byte Folded Spill
	v_cmpx_lt_u32_e32 20, v0
	s_cbranch_execz .LBB99_190
; %bb.189:
	s_clause 0x3
	buffer_load_dword v203, off, s[16:19], 0 offset:696
	buffer_load_dword v204, off, s[16:19], 0 offset:700
	;; [unrolled: 1-line block ×4, first 2 shown]
	s_waitcnt vmcnt(0)
	v_mul_f64 v[201:202], v[205:206], v[119:120]
	v_mul_f64 v[119:120], v[203:204], v[119:120]
	v_fma_f64 v[201:202], v[203:204], v[117:118], -v[201:202]
	v_fma_f64 v[119:120], v[205:206], v[117:118], v[119:120]
	ds_read2_b64 v[203:206], v253 offset0:42 offset1:43
	s_waitcnt lgkmcnt(0)
	v_mul_f64 v[117:118], v[205:206], v[119:120]
	v_fma_f64 v[117:118], v[203:204], v[201:202], -v[117:118]
	v_mul_f64 v[203:204], v[203:204], v[119:120]
	v_add_f64 v[113:114], v[113:114], -v[117:118]
	v_fma_f64 v[203:204], v[205:206], v[201:202], v[203:204]
	v_add_f64 v[115:116], v[115:116], -v[203:204]
	ds_read2_b64 v[203:206], v253 offset0:44 offset1:45
	s_waitcnt lgkmcnt(0)
	v_mul_f64 v[117:118], v[205:206], v[119:120]
	v_fma_f64 v[117:118], v[203:204], v[201:202], -v[117:118]
	v_mul_f64 v[203:204], v[203:204], v[119:120]
	v_add_f64 v[109:110], v[109:110], -v[117:118]
	v_fma_f64 v[203:204], v[205:206], v[201:202], v[203:204]
	v_add_f64 v[111:112], v[111:112], -v[203:204]
	;; [unrolled: 8-line block ×28, first 2 shown]
	ds_read2_b64 v[203:206], v253 offset0:98 offset1:99
	s_waitcnt lgkmcnt(0)
	v_mul_f64 v[117:118], v[205:206], v[119:120]
	v_fma_f64 v[117:118], v[203:204], v[201:202], -v[117:118]
	v_mul_f64 v[203:204], v[203:204], v[119:120]
	v_add_f64 v[1:2], v[1:2], -v[117:118]
	v_fma_f64 v[203:204], v[205:206], v[201:202], v[203:204]
	v_mov_b32_e32 v117, v201
	v_mov_b32_e32 v118, v202
	v_add_f64 v[3:4], v[3:4], -v[203:204]
.LBB99_190:
	s_or_b32 exec_lo, exec_lo, s1
	s_mov_b32 s2, exec_lo
	s_waitcnt_vscnt null, 0x0
	s_barrier
	buffer_gl0_inv
	v_cmpx_eq_u32_e32 21, v0
	s_cbranch_execz .LBB99_197
; %bb.191:
	ds_write2_b64 v255, v[113:114], v[115:116] offset1:1
	ds_write2_b64 v253, v[109:110], v[111:112] offset0:44 offset1:45
	ds_write2_b64 v253, v[105:106], v[107:108] offset0:46 offset1:47
	;; [unrolled: 1-line block ×28, first 2 shown]
	ds_read2_b64 v[201:204], v255 offset1:1
	s_waitcnt lgkmcnt(0)
	v_cmp_neq_f64_e32 vcc_lo, 0, v[201:202]
	v_cmp_neq_f64_e64 s1, 0, v[203:204]
	s_or_b32 s1, vcc_lo, s1
	s_and_b32 exec_lo, exec_lo, s1
	s_cbranch_execz .LBB99_197
; %bb.192:
	v_cmp_ngt_f64_e64 s1, |v[201:202]|, |v[203:204]|
                                        ; implicit-def: $vgpr205_vgpr206
	s_and_saveexec_b32 s3, s1
	s_xor_b32 s1, exec_lo, s3
                                        ; implicit-def: $vgpr207_vgpr208
	s_cbranch_execz .LBB99_194
; %bb.193:
	v_div_scale_f64 v[205:206], null, v[203:204], v[203:204], v[201:202]
	v_div_scale_f64 v[211:212], vcc_lo, v[201:202], v[203:204], v[201:202]
	v_rcp_f64_e32 v[207:208], v[205:206]
	v_fma_f64 v[209:210], -v[205:206], v[207:208], 1.0
	v_fma_f64 v[207:208], v[207:208], v[209:210], v[207:208]
	v_fma_f64 v[209:210], -v[205:206], v[207:208], 1.0
	v_fma_f64 v[207:208], v[207:208], v[209:210], v[207:208]
	v_mul_f64 v[209:210], v[211:212], v[207:208]
	v_fma_f64 v[205:206], -v[205:206], v[209:210], v[211:212]
	v_div_fmas_f64 v[205:206], v[205:206], v[207:208], v[209:210]
	v_div_fixup_f64 v[205:206], v[205:206], v[203:204], v[201:202]
	v_fma_f64 v[201:202], v[201:202], v[205:206], v[203:204]
	v_div_scale_f64 v[203:204], null, v[201:202], v[201:202], 1.0
	v_rcp_f64_e32 v[207:208], v[203:204]
	v_fma_f64 v[209:210], -v[203:204], v[207:208], 1.0
	v_fma_f64 v[207:208], v[207:208], v[209:210], v[207:208]
	v_fma_f64 v[209:210], -v[203:204], v[207:208], 1.0
	v_fma_f64 v[207:208], v[207:208], v[209:210], v[207:208]
	v_div_scale_f64 v[209:210], vcc_lo, 1.0, v[201:202], 1.0
	v_mul_f64 v[211:212], v[209:210], v[207:208]
	v_fma_f64 v[203:204], -v[203:204], v[211:212], v[209:210]
	v_div_fmas_f64 v[203:204], v[203:204], v[207:208], v[211:212]
	v_div_fixup_f64 v[207:208], v[203:204], v[201:202], 1.0
                                        ; implicit-def: $vgpr201_vgpr202
	v_mul_f64 v[205:206], v[205:206], v[207:208]
	v_xor_b32_e32 v208, 0x80000000, v208
.LBB99_194:
	s_andn2_saveexec_b32 s1, s1
	s_cbranch_execz .LBB99_196
; %bb.195:
	v_div_scale_f64 v[205:206], null, v[201:202], v[201:202], v[203:204]
	v_div_scale_f64 v[211:212], vcc_lo, v[203:204], v[201:202], v[203:204]
	v_rcp_f64_e32 v[207:208], v[205:206]
	v_fma_f64 v[209:210], -v[205:206], v[207:208], 1.0
	v_fma_f64 v[207:208], v[207:208], v[209:210], v[207:208]
	v_fma_f64 v[209:210], -v[205:206], v[207:208], 1.0
	v_fma_f64 v[207:208], v[207:208], v[209:210], v[207:208]
	v_mul_f64 v[209:210], v[211:212], v[207:208]
	v_fma_f64 v[205:206], -v[205:206], v[209:210], v[211:212]
	v_div_fmas_f64 v[205:206], v[205:206], v[207:208], v[209:210]
	v_div_fixup_f64 v[207:208], v[205:206], v[201:202], v[203:204]
	v_fma_f64 v[201:202], v[203:204], v[207:208], v[201:202]
	v_div_scale_f64 v[203:204], null, v[201:202], v[201:202], 1.0
	v_rcp_f64_e32 v[205:206], v[203:204]
	v_fma_f64 v[209:210], -v[203:204], v[205:206], 1.0
	v_fma_f64 v[205:206], v[205:206], v[209:210], v[205:206]
	v_fma_f64 v[209:210], -v[203:204], v[205:206], 1.0
	v_fma_f64 v[205:206], v[205:206], v[209:210], v[205:206]
	v_div_scale_f64 v[209:210], vcc_lo, 1.0, v[201:202], 1.0
	v_mul_f64 v[211:212], v[209:210], v[205:206]
	v_fma_f64 v[203:204], -v[203:204], v[211:212], v[209:210]
	v_div_fmas_f64 v[203:204], v[203:204], v[205:206], v[211:212]
	v_div_fixup_f64 v[205:206], v[203:204], v[201:202], 1.0
	v_mul_f64 v[207:208], v[207:208], -v[205:206]
.LBB99_196:
	s_or_b32 exec_lo, exec_lo, s1
	ds_write2_b64 v255, v[205:206], v[207:208] offset1:1
.LBB99_197:
	s_or_b32 exec_lo, exec_lo, s2
	s_waitcnt lgkmcnt(0)
	s_barrier
	buffer_gl0_inv
	ds_read2_b64 v[201:204], v255 offset1:1
	s_mov_b32 s1, exec_lo
	s_waitcnt lgkmcnt(0)
	buffer_store_dword v201, off, s[16:19], 0 offset:712 ; 4-byte Folded Spill
	buffer_store_dword v202, off, s[16:19], 0 offset:716 ; 4-byte Folded Spill
	;; [unrolled: 1-line block ×4, first 2 shown]
	v_cmpx_lt_u32_e32 21, v0
	s_cbranch_execz .LBB99_199
; %bb.198:
	s_clause 0x3
	buffer_load_dword v203, off, s[16:19], 0 offset:712
	buffer_load_dword v204, off, s[16:19], 0 offset:716
	buffer_load_dword v205, off, s[16:19], 0 offset:720
	buffer_load_dword v206, off, s[16:19], 0 offset:724
	s_waitcnt vmcnt(0)
	v_mul_f64 v[201:202], v[205:206], v[115:116]
	v_mul_f64 v[115:116], v[203:204], v[115:116]
	v_fma_f64 v[201:202], v[203:204], v[113:114], -v[201:202]
	v_fma_f64 v[115:116], v[205:206], v[113:114], v[115:116]
	ds_read2_b64 v[203:206], v253 offset0:44 offset1:45
	s_waitcnt lgkmcnt(0)
	v_mul_f64 v[113:114], v[205:206], v[115:116]
	v_fma_f64 v[113:114], v[203:204], v[201:202], -v[113:114]
	v_mul_f64 v[203:204], v[203:204], v[115:116]
	v_add_f64 v[109:110], v[109:110], -v[113:114]
	v_fma_f64 v[203:204], v[205:206], v[201:202], v[203:204]
	v_add_f64 v[111:112], v[111:112], -v[203:204]
	ds_read2_b64 v[203:206], v253 offset0:46 offset1:47
	s_waitcnt lgkmcnt(0)
	v_mul_f64 v[113:114], v[205:206], v[115:116]
	v_fma_f64 v[113:114], v[203:204], v[201:202], -v[113:114]
	v_mul_f64 v[203:204], v[203:204], v[115:116]
	v_add_f64 v[105:106], v[105:106], -v[113:114]
	v_fma_f64 v[203:204], v[205:206], v[201:202], v[203:204]
	v_add_f64 v[107:108], v[107:108], -v[203:204]
	;; [unrolled: 8-line block ×27, first 2 shown]
	ds_read2_b64 v[203:206], v253 offset0:98 offset1:99
	s_waitcnt lgkmcnt(0)
	v_mul_f64 v[113:114], v[205:206], v[115:116]
	v_fma_f64 v[113:114], v[203:204], v[201:202], -v[113:114]
	v_mul_f64 v[203:204], v[203:204], v[115:116]
	v_add_f64 v[1:2], v[1:2], -v[113:114]
	v_fma_f64 v[203:204], v[205:206], v[201:202], v[203:204]
	v_mov_b32_e32 v113, v201
	v_mov_b32_e32 v114, v202
	v_add_f64 v[3:4], v[3:4], -v[203:204]
.LBB99_199:
	s_or_b32 exec_lo, exec_lo, s1
	s_mov_b32 s2, exec_lo
	s_waitcnt_vscnt null, 0x0
	s_barrier
	buffer_gl0_inv
	v_cmpx_eq_u32_e32 22, v0
	s_cbranch_execz .LBB99_206
; %bb.200:
	ds_write2_b64 v255, v[109:110], v[111:112] offset1:1
	ds_write2_b64 v253, v[105:106], v[107:108] offset0:46 offset1:47
	ds_write2_b64 v253, v[101:102], v[103:104] offset0:48 offset1:49
	;; [unrolled: 1-line block ×27, first 2 shown]
	ds_read2_b64 v[201:204], v255 offset1:1
	s_waitcnt lgkmcnt(0)
	v_cmp_neq_f64_e32 vcc_lo, 0, v[201:202]
	v_cmp_neq_f64_e64 s1, 0, v[203:204]
	s_or_b32 s1, vcc_lo, s1
	s_and_b32 exec_lo, exec_lo, s1
	s_cbranch_execz .LBB99_206
; %bb.201:
	v_cmp_ngt_f64_e64 s1, |v[201:202]|, |v[203:204]|
                                        ; implicit-def: $vgpr205_vgpr206
	s_and_saveexec_b32 s3, s1
	s_xor_b32 s1, exec_lo, s3
                                        ; implicit-def: $vgpr207_vgpr208
	s_cbranch_execz .LBB99_203
; %bb.202:
	v_div_scale_f64 v[205:206], null, v[203:204], v[203:204], v[201:202]
	v_div_scale_f64 v[211:212], vcc_lo, v[201:202], v[203:204], v[201:202]
	v_rcp_f64_e32 v[207:208], v[205:206]
	v_fma_f64 v[209:210], -v[205:206], v[207:208], 1.0
	v_fma_f64 v[207:208], v[207:208], v[209:210], v[207:208]
	v_fma_f64 v[209:210], -v[205:206], v[207:208], 1.0
	v_fma_f64 v[207:208], v[207:208], v[209:210], v[207:208]
	v_mul_f64 v[209:210], v[211:212], v[207:208]
	v_fma_f64 v[205:206], -v[205:206], v[209:210], v[211:212]
	v_div_fmas_f64 v[205:206], v[205:206], v[207:208], v[209:210]
	v_div_fixup_f64 v[205:206], v[205:206], v[203:204], v[201:202]
	v_fma_f64 v[201:202], v[201:202], v[205:206], v[203:204]
	v_div_scale_f64 v[203:204], null, v[201:202], v[201:202], 1.0
	v_rcp_f64_e32 v[207:208], v[203:204]
	v_fma_f64 v[209:210], -v[203:204], v[207:208], 1.0
	v_fma_f64 v[207:208], v[207:208], v[209:210], v[207:208]
	v_fma_f64 v[209:210], -v[203:204], v[207:208], 1.0
	v_fma_f64 v[207:208], v[207:208], v[209:210], v[207:208]
	v_div_scale_f64 v[209:210], vcc_lo, 1.0, v[201:202], 1.0
	v_mul_f64 v[211:212], v[209:210], v[207:208]
	v_fma_f64 v[203:204], -v[203:204], v[211:212], v[209:210]
	v_div_fmas_f64 v[203:204], v[203:204], v[207:208], v[211:212]
	v_div_fixup_f64 v[207:208], v[203:204], v[201:202], 1.0
                                        ; implicit-def: $vgpr201_vgpr202
	v_mul_f64 v[205:206], v[205:206], v[207:208]
	v_xor_b32_e32 v208, 0x80000000, v208
.LBB99_203:
	s_andn2_saveexec_b32 s1, s1
	s_cbranch_execz .LBB99_205
; %bb.204:
	v_div_scale_f64 v[205:206], null, v[201:202], v[201:202], v[203:204]
	v_div_scale_f64 v[211:212], vcc_lo, v[203:204], v[201:202], v[203:204]
	v_rcp_f64_e32 v[207:208], v[205:206]
	v_fma_f64 v[209:210], -v[205:206], v[207:208], 1.0
	v_fma_f64 v[207:208], v[207:208], v[209:210], v[207:208]
	v_fma_f64 v[209:210], -v[205:206], v[207:208], 1.0
	v_fma_f64 v[207:208], v[207:208], v[209:210], v[207:208]
	v_mul_f64 v[209:210], v[211:212], v[207:208]
	v_fma_f64 v[205:206], -v[205:206], v[209:210], v[211:212]
	v_div_fmas_f64 v[205:206], v[205:206], v[207:208], v[209:210]
	v_div_fixup_f64 v[207:208], v[205:206], v[201:202], v[203:204]
	v_fma_f64 v[201:202], v[203:204], v[207:208], v[201:202]
	v_div_scale_f64 v[203:204], null, v[201:202], v[201:202], 1.0
	v_rcp_f64_e32 v[205:206], v[203:204]
	v_fma_f64 v[209:210], -v[203:204], v[205:206], 1.0
	v_fma_f64 v[205:206], v[205:206], v[209:210], v[205:206]
	v_fma_f64 v[209:210], -v[203:204], v[205:206], 1.0
	v_fma_f64 v[205:206], v[205:206], v[209:210], v[205:206]
	v_div_scale_f64 v[209:210], vcc_lo, 1.0, v[201:202], 1.0
	v_mul_f64 v[211:212], v[209:210], v[205:206]
	v_fma_f64 v[203:204], -v[203:204], v[211:212], v[209:210]
	v_div_fmas_f64 v[203:204], v[203:204], v[205:206], v[211:212]
	v_div_fixup_f64 v[205:206], v[203:204], v[201:202], 1.0
	v_mul_f64 v[207:208], v[207:208], -v[205:206]
.LBB99_205:
	s_or_b32 exec_lo, exec_lo, s1
	ds_write2_b64 v255, v[205:206], v[207:208] offset1:1
.LBB99_206:
	s_or_b32 exec_lo, exec_lo, s2
	s_waitcnt lgkmcnt(0)
	s_barrier
	buffer_gl0_inv
	ds_read2_b64 v[201:204], v255 offset1:1
	s_mov_b32 s1, exec_lo
	s_waitcnt lgkmcnt(0)
	buffer_store_dword v201, off, s[16:19], 0 offset:728 ; 4-byte Folded Spill
	buffer_store_dword v202, off, s[16:19], 0 offset:732 ; 4-byte Folded Spill
	;; [unrolled: 1-line block ×4, first 2 shown]
	v_cmpx_lt_u32_e32 22, v0
	s_cbranch_execz .LBB99_208
; %bb.207:
	s_clause 0x3
	buffer_load_dword v203, off, s[16:19], 0 offset:728
	buffer_load_dword v204, off, s[16:19], 0 offset:732
	buffer_load_dword v205, off, s[16:19], 0 offset:736
	buffer_load_dword v206, off, s[16:19], 0 offset:740
	s_waitcnt vmcnt(0)
	v_mul_f64 v[201:202], v[205:206], v[111:112]
	v_mul_f64 v[111:112], v[203:204], v[111:112]
	v_fma_f64 v[201:202], v[203:204], v[109:110], -v[201:202]
	v_fma_f64 v[111:112], v[205:206], v[109:110], v[111:112]
	ds_read2_b64 v[203:206], v253 offset0:46 offset1:47
	s_waitcnt lgkmcnt(0)
	v_mul_f64 v[109:110], v[205:206], v[111:112]
	v_fma_f64 v[109:110], v[203:204], v[201:202], -v[109:110]
	v_mul_f64 v[203:204], v[203:204], v[111:112]
	v_add_f64 v[105:106], v[105:106], -v[109:110]
	v_fma_f64 v[203:204], v[205:206], v[201:202], v[203:204]
	v_add_f64 v[107:108], v[107:108], -v[203:204]
	ds_read2_b64 v[203:206], v253 offset0:48 offset1:49
	s_waitcnt lgkmcnt(0)
	v_mul_f64 v[109:110], v[205:206], v[111:112]
	v_fma_f64 v[109:110], v[203:204], v[201:202], -v[109:110]
	v_mul_f64 v[203:204], v[203:204], v[111:112]
	v_add_f64 v[101:102], v[101:102], -v[109:110]
	v_fma_f64 v[203:204], v[205:206], v[201:202], v[203:204]
	v_add_f64 v[103:104], v[103:104], -v[203:204]
	;; [unrolled: 8-line block ×26, first 2 shown]
	ds_read2_b64 v[203:206], v253 offset0:98 offset1:99
	s_waitcnt lgkmcnt(0)
	v_mul_f64 v[109:110], v[205:206], v[111:112]
	v_fma_f64 v[109:110], v[203:204], v[201:202], -v[109:110]
	v_mul_f64 v[203:204], v[203:204], v[111:112]
	v_add_f64 v[1:2], v[1:2], -v[109:110]
	v_fma_f64 v[203:204], v[205:206], v[201:202], v[203:204]
	v_mov_b32_e32 v109, v201
	v_mov_b32_e32 v110, v202
	v_add_f64 v[3:4], v[3:4], -v[203:204]
.LBB99_208:
	s_or_b32 exec_lo, exec_lo, s1
	s_mov_b32 s2, exec_lo
	s_waitcnt_vscnt null, 0x0
	s_barrier
	buffer_gl0_inv
	v_cmpx_eq_u32_e32 23, v0
	s_cbranch_execz .LBB99_215
; %bb.209:
	ds_write2_b64 v255, v[105:106], v[107:108] offset1:1
	ds_write2_b64 v253, v[101:102], v[103:104] offset0:48 offset1:49
	ds_write2_b64 v253, v[97:98], v[99:100] offset0:50 offset1:51
	;; [unrolled: 1-line block ×26, first 2 shown]
	ds_read2_b64 v[201:204], v255 offset1:1
	s_waitcnt lgkmcnt(0)
	v_cmp_neq_f64_e32 vcc_lo, 0, v[201:202]
	v_cmp_neq_f64_e64 s1, 0, v[203:204]
	s_or_b32 s1, vcc_lo, s1
	s_and_b32 exec_lo, exec_lo, s1
	s_cbranch_execz .LBB99_215
; %bb.210:
	v_cmp_ngt_f64_e64 s1, |v[201:202]|, |v[203:204]|
                                        ; implicit-def: $vgpr205_vgpr206
	s_and_saveexec_b32 s3, s1
	s_xor_b32 s1, exec_lo, s3
                                        ; implicit-def: $vgpr207_vgpr208
	s_cbranch_execz .LBB99_212
; %bb.211:
	v_div_scale_f64 v[205:206], null, v[203:204], v[203:204], v[201:202]
	v_div_scale_f64 v[211:212], vcc_lo, v[201:202], v[203:204], v[201:202]
	v_rcp_f64_e32 v[207:208], v[205:206]
	v_fma_f64 v[209:210], -v[205:206], v[207:208], 1.0
	v_fma_f64 v[207:208], v[207:208], v[209:210], v[207:208]
	v_fma_f64 v[209:210], -v[205:206], v[207:208], 1.0
	v_fma_f64 v[207:208], v[207:208], v[209:210], v[207:208]
	v_mul_f64 v[209:210], v[211:212], v[207:208]
	v_fma_f64 v[205:206], -v[205:206], v[209:210], v[211:212]
	v_div_fmas_f64 v[205:206], v[205:206], v[207:208], v[209:210]
	v_div_fixup_f64 v[205:206], v[205:206], v[203:204], v[201:202]
	v_fma_f64 v[201:202], v[201:202], v[205:206], v[203:204]
	v_div_scale_f64 v[203:204], null, v[201:202], v[201:202], 1.0
	v_rcp_f64_e32 v[207:208], v[203:204]
	v_fma_f64 v[209:210], -v[203:204], v[207:208], 1.0
	v_fma_f64 v[207:208], v[207:208], v[209:210], v[207:208]
	v_fma_f64 v[209:210], -v[203:204], v[207:208], 1.0
	v_fma_f64 v[207:208], v[207:208], v[209:210], v[207:208]
	v_div_scale_f64 v[209:210], vcc_lo, 1.0, v[201:202], 1.0
	v_mul_f64 v[211:212], v[209:210], v[207:208]
	v_fma_f64 v[203:204], -v[203:204], v[211:212], v[209:210]
	v_div_fmas_f64 v[203:204], v[203:204], v[207:208], v[211:212]
	v_div_fixup_f64 v[207:208], v[203:204], v[201:202], 1.0
                                        ; implicit-def: $vgpr201_vgpr202
	v_mul_f64 v[205:206], v[205:206], v[207:208]
	v_xor_b32_e32 v208, 0x80000000, v208
.LBB99_212:
	s_andn2_saveexec_b32 s1, s1
	s_cbranch_execz .LBB99_214
; %bb.213:
	v_div_scale_f64 v[205:206], null, v[201:202], v[201:202], v[203:204]
	v_div_scale_f64 v[211:212], vcc_lo, v[203:204], v[201:202], v[203:204]
	v_rcp_f64_e32 v[207:208], v[205:206]
	v_fma_f64 v[209:210], -v[205:206], v[207:208], 1.0
	v_fma_f64 v[207:208], v[207:208], v[209:210], v[207:208]
	v_fma_f64 v[209:210], -v[205:206], v[207:208], 1.0
	v_fma_f64 v[207:208], v[207:208], v[209:210], v[207:208]
	v_mul_f64 v[209:210], v[211:212], v[207:208]
	v_fma_f64 v[205:206], -v[205:206], v[209:210], v[211:212]
	v_div_fmas_f64 v[205:206], v[205:206], v[207:208], v[209:210]
	v_div_fixup_f64 v[207:208], v[205:206], v[201:202], v[203:204]
	v_fma_f64 v[201:202], v[203:204], v[207:208], v[201:202]
	v_div_scale_f64 v[203:204], null, v[201:202], v[201:202], 1.0
	v_rcp_f64_e32 v[205:206], v[203:204]
	v_fma_f64 v[209:210], -v[203:204], v[205:206], 1.0
	v_fma_f64 v[205:206], v[205:206], v[209:210], v[205:206]
	v_fma_f64 v[209:210], -v[203:204], v[205:206], 1.0
	v_fma_f64 v[205:206], v[205:206], v[209:210], v[205:206]
	v_div_scale_f64 v[209:210], vcc_lo, 1.0, v[201:202], 1.0
	v_mul_f64 v[211:212], v[209:210], v[205:206]
	v_fma_f64 v[203:204], -v[203:204], v[211:212], v[209:210]
	v_div_fmas_f64 v[203:204], v[203:204], v[205:206], v[211:212]
	v_div_fixup_f64 v[205:206], v[203:204], v[201:202], 1.0
	v_mul_f64 v[207:208], v[207:208], -v[205:206]
.LBB99_214:
	s_or_b32 exec_lo, exec_lo, s1
	ds_write2_b64 v255, v[205:206], v[207:208] offset1:1
.LBB99_215:
	s_or_b32 exec_lo, exec_lo, s2
	s_waitcnt lgkmcnt(0)
	s_barrier
	buffer_gl0_inv
	ds_read2_b64 v[201:204], v255 offset1:1
	s_mov_b32 s1, exec_lo
	s_waitcnt lgkmcnt(0)
	buffer_store_dword v201, off, s[16:19], 0 offset:744 ; 4-byte Folded Spill
	buffer_store_dword v202, off, s[16:19], 0 offset:748 ; 4-byte Folded Spill
	;; [unrolled: 1-line block ×4, first 2 shown]
	v_cmpx_lt_u32_e32 23, v0
	s_cbranch_execz .LBB99_217
; %bb.216:
	s_clause 0x3
	buffer_load_dword v203, off, s[16:19], 0 offset:744
	buffer_load_dword v204, off, s[16:19], 0 offset:748
	;; [unrolled: 1-line block ×4, first 2 shown]
	s_waitcnt vmcnt(0)
	v_mul_f64 v[201:202], v[205:206], v[107:108]
	v_mul_f64 v[107:108], v[203:204], v[107:108]
	v_fma_f64 v[201:202], v[203:204], v[105:106], -v[201:202]
	v_fma_f64 v[107:108], v[205:206], v[105:106], v[107:108]
	ds_read2_b64 v[203:206], v253 offset0:48 offset1:49
	s_waitcnt lgkmcnt(0)
	v_mul_f64 v[105:106], v[205:206], v[107:108]
	v_fma_f64 v[105:106], v[203:204], v[201:202], -v[105:106]
	v_mul_f64 v[203:204], v[203:204], v[107:108]
	v_add_f64 v[101:102], v[101:102], -v[105:106]
	v_fma_f64 v[203:204], v[205:206], v[201:202], v[203:204]
	v_add_f64 v[103:104], v[103:104], -v[203:204]
	ds_read2_b64 v[203:206], v253 offset0:50 offset1:51
	s_waitcnt lgkmcnt(0)
	v_mul_f64 v[105:106], v[205:206], v[107:108]
	v_fma_f64 v[105:106], v[203:204], v[201:202], -v[105:106]
	v_mul_f64 v[203:204], v[203:204], v[107:108]
	v_add_f64 v[97:98], v[97:98], -v[105:106]
	v_fma_f64 v[203:204], v[205:206], v[201:202], v[203:204]
	v_add_f64 v[99:100], v[99:100], -v[203:204]
	;; [unrolled: 8-line block ×25, first 2 shown]
	ds_read2_b64 v[203:206], v253 offset0:98 offset1:99
	s_waitcnt lgkmcnt(0)
	v_mul_f64 v[105:106], v[205:206], v[107:108]
	v_fma_f64 v[105:106], v[203:204], v[201:202], -v[105:106]
	v_mul_f64 v[203:204], v[203:204], v[107:108]
	v_add_f64 v[1:2], v[1:2], -v[105:106]
	v_fma_f64 v[203:204], v[205:206], v[201:202], v[203:204]
	v_mov_b32_e32 v105, v201
	v_mov_b32_e32 v106, v202
	v_add_f64 v[3:4], v[3:4], -v[203:204]
.LBB99_217:
	s_or_b32 exec_lo, exec_lo, s1
	s_mov_b32 s2, exec_lo
	s_waitcnt_vscnt null, 0x0
	s_barrier
	buffer_gl0_inv
	v_cmpx_eq_u32_e32 24, v0
	s_cbranch_execz .LBB99_224
; %bb.218:
	ds_write2_b64 v255, v[101:102], v[103:104] offset1:1
	ds_write2_b64 v253, v[97:98], v[99:100] offset0:50 offset1:51
	ds_write2_b64 v253, v[93:94], v[95:96] offset0:52 offset1:53
	;; [unrolled: 1-line block ×25, first 2 shown]
	ds_read2_b64 v[201:204], v255 offset1:1
	s_waitcnt lgkmcnt(0)
	v_cmp_neq_f64_e32 vcc_lo, 0, v[201:202]
	v_cmp_neq_f64_e64 s1, 0, v[203:204]
	s_or_b32 s1, vcc_lo, s1
	s_and_b32 exec_lo, exec_lo, s1
	s_cbranch_execz .LBB99_224
; %bb.219:
	v_cmp_ngt_f64_e64 s1, |v[201:202]|, |v[203:204]|
                                        ; implicit-def: $vgpr205_vgpr206
	s_and_saveexec_b32 s3, s1
	s_xor_b32 s1, exec_lo, s3
                                        ; implicit-def: $vgpr207_vgpr208
	s_cbranch_execz .LBB99_221
; %bb.220:
	v_div_scale_f64 v[205:206], null, v[203:204], v[203:204], v[201:202]
	v_div_scale_f64 v[211:212], vcc_lo, v[201:202], v[203:204], v[201:202]
	v_rcp_f64_e32 v[207:208], v[205:206]
	v_fma_f64 v[209:210], -v[205:206], v[207:208], 1.0
	v_fma_f64 v[207:208], v[207:208], v[209:210], v[207:208]
	v_fma_f64 v[209:210], -v[205:206], v[207:208], 1.0
	v_fma_f64 v[207:208], v[207:208], v[209:210], v[207:208]
	v_mul_f64 v[209:210], v[211:212], v[207:208]
	v_fma_f64 v[205:206], -v[205:206], v[209:210], v[211:212]
	v_div_fmas_f64 v[205:206], v[205:206], v[207:208], v[209:210]
	v_div_fixup_f64 v[205:206], v[205:206], v[203:204], v[201:202]
	v_fma_f64 v[201:202], v[201:202], v[205:206], v[203:204]
	v_div_scale_f64 v[203:204], null, v[201:202], v[201:202], 1.0
	v_rcp_f64_e32 v[207:208], v[203:204]
	v_fma_f64 v[209:210], -v[203:204], v[207:208], 1.0
	v_fma_f64 v[207:208], v[207:208], v[209:210], v[207:208]
	v_fma_f64 v[209:210], -v[203:204], v[207:208], 1.0
	v_fma_f64 v[207:208], v[207:208], v[209:210], v[207:208]
	v_div_scale_f64 v[209:210], vcc_lo, 1.0, v[201:202], 1.0
	v_mul_f64 v[211:212], v[209:210], v[207:208]
	v_fma_f64 v[203:204], -v[203:204], v[211:212], v[209:210]
	v_div_fmas_f64 v[203:204], v[203:204], v[207:208], v[211:212]
	v_div_fixup_f64 v[207:208], v[203:204], v[201:202], 1.0
                                        ; implicit-def: $vgpr201_vgpr202
	v_mul_f64 v[205:206], v[205:206], v[207:208]
	v_xor_b32_e32 v208, 0x80000000, v208
.LBB99_221:
	s_andn2_saveexec_b32 s1, s1
	s_cbranch_execz .LBB99_223
; %bb.222:
	v_div_scale_f64 v[205:206], null, v[201:202], v[201:202], v[203:204]
	v_div_scale_f64 v[211:212], vcc_lo, v[203:204], v[201:202], v[203:204]
	v_rcp_f64_e32 v[207:208], v[205:206]
	v_fma_f64 v[209:210], -v[205:206], v[207:208], 1.0
	v_fma_f64 v[207:208], v[207:208], v[209:210], v[207:208]
	v_fma_f64 v[209:210], -v[205:206], v[207:208], 1.0
	v_fma_f64 v[207:208], v[207:208], v[209:210], v[207:208]
	v_mul_f64 v[209:210], v[211:212], v[207:208]
	v_fma_f64 v[205:206], -v[205:206], v[209:210], v[211:212]
	v_div_fmas_f64 v[205:206], v[205:206], v[207:208], v[209:210]
	v_div_fixup_f64 v[207:208], v[205:206], v[201:202], v[203:204]
	v_fma_f64 v[201:202], v[203:204], v[207:208], v[201:202]
	v_div_scale_f64 v[203:204], null, v[201:202], v[201:202], 1.0
	v_rcp_f64_e32 v[205:206], v[203:204]
	v_fma_f64 v[209:210], -v[203:204], v[205:206], 1.0
	v_fma_f64 v[205:206], v[205:206], v[209:210], v[205:206]
	v_fma_f64 v[209:210], -v[203:204], v[205:206], 1.0
	v_fma_f64 v[205:206], v[205:206], v[209:210], v[205:206]
	v_div_scale_f64 v[209:210], vcc_lo, 1.0, v[201:202], 1.0
	v_mul_f64 v[211:212], v[209:210], v[205:206]
	v_fma_f64 v[203:204], -v[203:204], v[211:212], v[209:210]
	v_div_fmas_f64 v[203:204], v[203:204], v[205:206], v[211:212]
	v_div_fixup_f64 v[205:206], v[203:204], v[201:202], 1.0
	v_mul_f64 v[207:208], v[207:208], -v[205:206]
.LBB99_223:
	s_or_b32 exec_lo, exec_lo, s1
	ds_write2_b64 v255, v[205:206], v[207:208] offset1:1
.LBB99_224:
	s_or_b32 exec_lo, exec_lo, s2
	s_waitcnt lgkmcnt(0)
	s_barrier
	buffer_gl0_inv
	ds_read2_b64 v[201:204], v255 offset1:1
	s_mov_b32 s1, exec_lo
	s_waitcnt lgkmcnt(0)
	buffer_store_dword v201, off, s[16:19], 0 offset:760 ; 4-byte Folded Spill
	buffer_store_dword v202, off, s[16:19], 0 offset:764 ; 4-byte Folded Spill
	;; [unrolled: 1-line block ×4, first 2 shown]
	v_cmpx_lt_u32_e32 24, v0
	s_cbranch_execz .LBB99_226
; %bb.225:
	s_clause 0x3
	buffer_load_dword v203, off, s[16:19], 0 offset:760
	buffer_load_dword v204, off, s[16:19], 0 offset:764
	;; [unrolled: 1-line block ×4, first 2 shown]
	s_waitcnt vmcnt(0)
	v_mul_f64 v[201:202], v[205:206], v[103:104]
	v_mul_f64 v[103:104], v[203:204], v[103:104]
	v_fma_f64 v[201:202], v[203:204], v[101:102], -v[201:202]
	v_fma_f64 v[103:104], v[205:206], v[101:102], v[103:104]
	ds_read2_b64 v[203:206], v253 offset0:50 offset1:51
	s_waitcnt lgkmcnt(0)
	v_mul_f64 v[101:102], v[205:206], v[103:104]
	v_fma_f64 v[101:102], v[203:204], v[201:202], -v[101:102]
	v_mul_f64 v[203:204], v[203:204], v[103:104]
	v_add_f64 v[97:98], v[97:98], -v[101:102]
	v_fma_f64 v[203:204], v[205:206], v[201:202], v[203:204]
	v_add_f64 v[99:100], v[99:100], -v[203:204]
	ds_read2_b64 v[203:206], v253 offset0:52 offset1:53
	s_waitcnt lgkmcnt(0)
	v_mul_f64 v[101:102], v[205:206], v[103:104]
	v_fma_f64 v[101:102], v[203:204], v[201:202], -v[101:102]
	v_mul_f64 v[203:204], v[203:204], v[103:104]
	v_add_f64 v[93:94], v[93:94], -v[101:102]
	v_fma_f64 v[203:204], v[205:206], v[201:202], v[203:204]
	v_add_f64 v[95:96], v[95:96], -v[203:204]
	;; [unrolled: 8-line block ×24, first 2 shown]
	ds_read2_b64 v[203:206], v253 offset0:98 offset1:99
	s_waitcnt lgkmcnt(0)
	v_mul_f64 v[101:102], v[205:206], v[103:104]
	v_fma_f64 v[101:102], v[203:204], v[201:202], -v[101:102]
	v_mul_f64 v[203:204], v[203:204], v[103:104]
	v_add_f64 v[1:2], v[1:2], -v[101:102]
	v_fma_f64 v[203:204], v[205:206], v[201:202], v[203:204]
	v_mov_b32_e32 v101, v201
	v_mov_b32_e32 v102, v202
	v_add_f64 v[3:4], v[3:4], -v[203:204]
.LBB99_226:
	s_or_b32 exec_lo, exec_lo, s1
	s_mov_b32 s2, exec_lo
	s_waitcnt_vscnt null, 0x0
	s_barrier
	buffer_gl0_inv
	v_cmpx_eq_u32_e32 25, v0
	s_cbranch_execz .LBB99_233
; %bb.227:
	ds_write2_b64 v255, v[97:98], v[99:100] offset1:1
	ds_write2_b64 v253, v[93:94], v[95:96] offset0:52 offset1:53
	ds_write2_b64 v253, v[89:90], v[91:92] offset0:54 offset1:55
	;; [unrolled: 1-line block ×24, first 2 shown]
	ds_read2_b64 v[201:204], v255 offset1:1
	s_waitcnt lgkmcnt(0)
	v_cmp_neq_f64_e32 vcc_lo, 0, v[201:202]
	v_cmp_neq_f64_e64 s1, 0, v[203:204]
	s_or_b32 s1, vcc_lo, s1
	s_and_b32 exec_lo, exec_lo, s1
	s_cbranch_execz .LBB99_233
; %bb.228:
	v_cmp_ngt_f64_e64 s1, |v[201:202]|, |v[203:204]|
                                        ; implicit-def: $vgpr205_vgpr206
	s_and_saveexec_b32 s3, s1
	s_xor_b32 s1, exec_lo, s3
                                        ; implicit-def: $vgpr207_vgpr208
	s_cbranch_execz .LBB99_230
; %bb.229:
	v_div_scale_f64 v[205:206], null, v[203:204], v[203:204], v[201:202]
	v_div_scale_f64 v[211:212], vcc_lo, v[201:202], v[203:204], v[201:202]
	v_rcp_f64_e32 v[207:208], v[205:206]
	v_fma_f64 v[209:210], -v[205:206], v[207:208], 1.0
	v_fma_f64 v[207:208], v[207:208], v[209:210], v[207:208]
	v_fma_f64 v[209:210], -v[205:206], v[207:208], 1.0
	v_fma_f64 v[207:208], v[207:208], v[209:210], v[207:208]
	v_mul_f64 v[209:210], v[211:212], v[207:208]
	v_fma_f64 v[205:206], -v[205:206], v[209:210], v[211:212]
	v_div_fmas_f64 v[205:206], v[205:206], v[207:208], v[209:210]
	v_div_fixup_f64 v[205:206], v[205:206], v[203:204], v[201:202]
	v_fma_f64 v[201:202], v[201:202], v[205:206], v[203:204]
	v_div_scale_f64 v[203:204], null, v[201:202], v[201:202], 1.0
	v_rcp_f64_e32 v[207:208], v[203:204]
	v_fma_f64 v[209:210], -v[203:204], v[207:208], 1.0
	v_fma_f64 v[207:208], v[207:208], v[209:210], v[207:208]
	v_fma_f64 v[209:210], -v[203:204], v[207:208], 1.0
	v_fma_f64 v[207:208], v[207:208], v[209:210], v[207:208]
	v_div_scale_f64 v[209:210], vcc_lo, 1.0, v[201:202], 1.0
	v_mul_f64 v[211:212], v[209:210], v[207:208]
	v_fma_f64 v[203:204], -v[203:204], v[211:212], v[209:210]
	v_div_fmas_f64 v[203:204], v[203:204], v[207:208], v[211:212]
	v_div_fixup_f64 v[207:208], v[203:204], v[201:202], 1.0
                                        ; implicit-def: $vgpr201_vgpr202
	v_mul_f64 v[205:206], v[205:206], v[207:208]
	v_xor_b32_e32 v208, 0x80000000, v208
.LBB99_230:
	s_andn2_saveexec_b32 s1, s1
	s_cbranch_execz .LBB99_232
; %bb.231:
	v_div_scale_f64 v[205:206], null, v[201:202], v[201:202], v[203:204]
	v_div_scale_f64 v[211:212], vcc_lo, v[203:204], v[201:202], v[203:204]
	v_rcp_f64_e32 v[207:208], v[205:206]
	v_fma_f64 v[209:210], -v[205:206], v[207:208], 1.0
	v_fma_f64 v[207:208], v[207:208], v[209:210], v[207:208]
	v_fma_f64 v[209:210], -v[205:206], v[207:208], 1.0
	v_fma_f64 v[207:208], v[207:208], v[209:210], v[207:208]
	v_mul_f64 v[209:210], v[211:212], v[207:208]
	v_fma_f64 v[205:206], -v[205:206], v[209:210], v[211:212]
	v_div_fmas_f64 v[205:206], v[205:206], v[207:208], v[209:210]
	v_div_fixup_f64 v[207:208], v[205:206], v[201:202], v[203:204]
	v_fma_f64 v[201:202], v[203:204], v[207:208], v[201:202]
	v_div_scale_f64 v[203:204], null, v[201:202], v[201:202], 1.0
	v_rcp_f64_e32 v[205:206], v[203:204]
	v_fma_f64 v[209:210], -v[203:204], v[205:206], 1.0
	v_fma_f64 v[205:206], v[205:206], v[209:210], v[205:206]
	v_fma_f64 v[209:210], -v[203:204], v[205:206], 1.0
	v_fma_f64 v[205:206], v[205:206], v[209:210], v[205:206]
	v_div_scale_f64 v[209:210], vcc_lo, 1.0, v[201:202], 1.0
	v_mul_f64 v[211:212], v[209:210], v[205:206]
	v_fma_f64 v[203:204], -v[203:204], v[211:212], v[209:210]
	v_div_fmas_f64 v[203:204], v[203:204], v[205:206], v[211:212]
	v_div_fixup_f64 v[205:206], v[203:204], v[201:202], 1.0
	v_mul_f64 v[207:208], v[207:208], -v[205:206]
.LBB99_232:
	s_or_b32 exec_lo, exec_lo, s1
	ds_write2_b64 v255, v[205:206], v[207:208] offset1:1
.LBB99_233:
	s_or_b32 exec_lo, exec_lo, s2
	s_waitcnt lgkmcnt(0)
	s_barrier
	buffer_gl0_inv
	ds_read2_b64 v[201:204], v255 offset1:1
	s_mov_b32 s1, exec_lo
	s_waitcnt lgkmcnt(0)
	buffer_store_dword v201, off, s[16:19], 0 offset:776 ; 4-byte Folded Spill
	buffer_store_dword v202, off, s[16:19], 0 offset:780 ; 4-byte Folded Spill
	buffer_store_dword v203, off, s[16:19], 0 offset:784 ; 4-byte Folded Spill
	buffer_store_dword v204, off, s[16:19], 0 offset:788 ; 4-byte Folded Spill
	v_cmpx_lt_u32_e32 25, v0
	s_cbranch_execz .LBB99_235
; %bb.234:
	s_clause 0x3
	buffer_load_dword v203, off, s[16:19], 0 offset:776
	buffer_load_dword v204, off, s[16:19], 0 offset:780
	;; [unrolled: 1-line block ×4, first 2 shown]
	s_waitcnt vmcnt(0)
	v_mul_f64 v[201:202], v[205:206], v[99:100]
	v_mul_f64 v[99:100], v[203:204], v[99:100]
	v_fma_f64 v[201:202], v[203:204], v[97:98], -v[201:202]
	v_fma_f64 v[99:100], v[205:206], v[97:98], v[99:100]
	ds_read2_b64 v[203:206], v253 offset0:52 offset1:53
	s_waitcnt lgkmcnt(0)
	v_mul_f64 v[97:98], v[205:206], v[99:100]
	v_fma_f64 v[97:98], v[203:204], v[201:202], -v[97:98]
	v_mul_f64 v[203:204], v[203:204], v[99:100]
	v_add_f64 v[93:94], v[93:94], -v[97:98]
	v_fma_f64 v[203:204], v[205:206], v[201:202], v[203:204]
	v_add_f64 v[95:96], v[95:96], -v[203:204]
	ds_read2_b64 v[203:206], v253 offset0:54 offset1:55
	s_waitcnt lgkmcnt(0)
	v_mul_f64 v[97:98], v[205:206], v[99:100]
	v_fma_f64 v[97:98], v[203:204], v[201:202], -v[97:98]
	v_mul_f64 v[203:204], v[203:204], v[99:100]
	v_add_f64 v[89:90], v[89:90], -v[97:98]
	v_fma_f64 v[203:204], v[205:206], v[201:202], v[203:204]
	v_add_f64 v[91:92], v[91:92], -v[203:204]
	;; [unrolled: 8-line block ×23, first 2 shown]
	ds_read2_b64 v[203:206], v253 offset0:98 offset1:99
	s_waitcnt lgkmcnt(0)
	v_mul_f64 v[97:98], v[205:206], v[99:100]
	v_fma_f64 v[97:98], v[203:204], v[201:202], -v[97:98]
	v_mul_f64 v[203:204], v[203:204], v[99:100]
	v_add_f64 v[1:2], v[1:2], -v[97:98]
	v_fma_f64 v[203:204], v[205:206], v[201:202], v[203:204]
	v_mov_b32_e32 v97, v201
	v_mov_b32_e32 v98, v202
	v_add_f64 v[3:4], v[3:4], -v[203:204]
.LBB99_235:
	s_or_b32 exec_lo, exec_lo, s1
	s_mov_b32 s2, exec_lo
	s_waitcnt_vscnt null, 0x0
	s_barrier
	buffer_gl0_inv
	v_cmpx_eq_u32_e32 26, v0
	s_cbranch_execz .LBB99_242
; %bb.236:
	ds_write2_b64 v255, v[93:94], v[95:96] offset1:1
	ds_write2_b64 v253, v[89:90], v[91:92] offset0:54 offset1:55
	ds_write2_b64 v253, v[85:86], v[87:88] offset0:56 offset1:57
	ds_write2_b64 v253, v[81:82], v[83:84] offset0:58 offset1:59
	ds_write2_b64 v253, v[77:78], v[79:80] offset0:60 offset1:61
	ds_write2_b64 v253, v[73:74], v[75:76] offset0:62 offset1:63
	ds_write2_b64 v253, v[69:70], v[71:72] offset0:64 offset1:65
	ds_write2_b64 v253, v[65:66], v[67:68] offset0:66 offset1:67
	ds_write2_b64 v253, v[61:62], v[63:64] offset0:68 offset1:69
	ds_write2_b64 v253, v[57:58], v[59:60] offset0:70 offset1:71
	ds_write2_b64 v253, v[53:54], v[55:56] offset0:72 offset1:73
	ds_write2_b64 v253, v[49:50], v[51:52] offset0:74 offset1:75
	ds_write2_b64 v253, v[45:46], v[47:48] offset0:76 offset1:77
	ds_write2_b64 v253, v[41:42], v[43:44] offset0:78 offset1:79
	ds_write2_b64 v253, v[37:38], v[39:40] offset0:80 offset1:81
	ds_write2_b64 v253, v[33:34], v[35:36] offset0:82 offset1:83
	ds_write2_b64 v253, v[29:30], v[31:32] offset0:84 offset1:85
	ds_write2_b64 v253, v[25:26], v[27:28] offset0:86 offset1:87
	ds_write2_b64 v253, v[21:22], v[23:24] offset0:88 offset1:89
	ds_write2_b64 v253, v[17:18], v[19:20] offset0:90 offset1:91
	ds_write2_b64 v253, v[13:14], v[15:16] offset0:92 offset1:93
	ds_write2_b64 v253, v[9:10], v[11:12] offset0:94 offset1:95
	ds_write2_b64 v253, v[5:6], v[7:8] offset0:96 offset1:97
	ds_write2_b64 v253, v[1:2], v[3:4] offset0:98 offset1:99
	ds_read2_b64 v[201:204], v255 offset1:1
	s_waitcnt lgkmcnt(0)
	v_cmp_neq_f64_e32 vcc_lo, 0, v[201:202]
	v_cmp_neq_f64_e64 s1, 0, v[203:204]
	s_or_b32 s1, vcc_lo, s1
	s_and_b32 exec_lo, exec_lo, s1
	s_cbranch_execz .LBB99_242
; %bb.237:
	v_cmp_ngt_f64_e64 s1, |v[201:202]|, |v[203:204]|
                                        ; implicit-def: $vgpr205_vgpr206
	s_and_saveexec_b32 s3, s1
	s_xor_b32 s1, exec_lo, s3
                                        ; implicit-def: $vgpr207_vgpr208
	s_cbranch_execz .LBB99_239
; %bb.238:
	v_div_scale_f64 v[205:206], null, v[203:204], v[203:204], v[201:202]
	v_div_scale_f64 v[211:212], vcc_lo, v[201:202], v[203:204], v[201:202]
	v_rcp_f64_e32 v[207:208], v[205:206]
	v_fma_f64 v[209:210], -v[205:206], v[207:208], 1.0
	v_fma_f64 v[207:208], v[207:208], v[209:210], v[207:208]
	v_fma_f64 v[209:210], -v[205:206], v[207:208], 1.0
	v_fma_f64 v[207:208], v[207:208], v[209:210], v[207:208]
	v_mul_f64 v[209:210], v[211:212], v[207:208]
	v_fma_f64 v[205:206], -v[205:206], v[209:210], v[211:212]
	v_div_fmas_f64 v[205:206], v[205:206], v[207:208], v[209:210]
	v_div_fixup_f64 v[205:206], v[205:206], v[203:204], v[201:202]
	v_fma_f64 v[201:202], v[201:202], v[205:206], v[203:204]
	v_div_scale_f64 v[203:204], null, v[201:202], v[201:202], 1.0
	v_rcp_f64_e32 v[207:208], v[203:204]
	v_fma_f64 v[209:210], -v[203:204], v[207:208], 1.0
	v_fma_f64 v[207:208], v[207:208], v[209:210], v[207:208]
	v_fma_f64 v[209:210], -v[203:204], v[207:208], 1.0
	v_fma_f64 v[207:208], v[207:208], v[209:210], v[207:208]
	v_div_scale_f64 v[209:210], vcc_lo, 1.0, v[201:202], 1.0
	v_mul_f64 v[211:212], v[209:210], v[207:208]
	v_fma_f64 v[203:204], -v[203:204], v[211:212], v[209:210]
	v_div_fmas_f64 v[203:204], v[203:204], v[207:208], v[211:212]
	v_div_fixup_f64 v[207:208], v[203:204], v[201:202], 1.0
                                        ; implicit-def: $vgpr201_vgpr202
	v_mul_f64 v[205:206], v[205:206], v[207:208]
	v_xor_b32_e32 v208, 0x80000000, v208
.LBB99_239:
	s_andn2_saveexec_b32 s1, s1
	s_cbranch_execz .LBB99_241
; %bb.240:
	v_div_scale_f64 v[205:206], null, v[201:202], v[201:202], v[203:204]
	v_div_scale_f64 v[211:212], vcc_lo, v[203:204], v[201:202], v[203:204]
	v_rcp_f64_e32 v[207:208], v[205:206]
	v_fma_f64 v[209:210], -v[205:206], v[207:208], 1.0
	v_fma_f64 v[207:208], v[207:208], v[209:210], v[207:208]
	v_fma_f64 v[209:210], -v[205:206], v[207:208], 1.0
	v_fma_f64 v[207:208], v[207:208], v[209:210], v[207:208]
	v_mul_f64 v[209:210], v[211:212], v[207:208]
	v_fma_f64 v[205:206], -v[205:206], v[209:210], v[211:212]
	v_div_fmas_f64 v[205:206], v[205:206], v[207:208], v[209:210]
	v_div_fixup_f64 v[207:208], v[205:206], v[201:202], v[203:204]
	v_fma_f64 v[201:202], v[203:204], v[207:208], v[201:202]
	v_div_scale_f64 v[203:204], null, v[201:202], v[201:202], 1.0
	v_rcp_f64_e32 v[205:206], v[203:204]
	v_fma_f64 v[209:210], -v[203:204], v[205:206], 1.0
	v_fma_f64 v[205:206], v[205:206], v[209:210], v[205:206]
	v_fma_f64 v[209:210], -v[203:204], v[205:206], 1.0
	v_fma_f64 v[205:206], v[205:206], v[209:210], v[205:206]
	v_div_scale_f64 v[209:210], vcc_lo, 1.0, v[201:202], 1.0
	v_mul_f64 v[211:212], v[209:210], v[205:206]
	v_fma_f64 v[203:204], -v[203:204], v[211:212], v[209:210]
	v_div_fmas_f64 v[203:204], v[203:204], v[205:206], v[211:212]
	v_div_fixup_f64 v[205:206], v[203:204], v[201:202], 1.0
	v_mul_f64 v[207:208], v[207:208], -v[205:206]
.LBB99_241:
	s_or_b32 exec_lo, exec_lo, s1
	ds_write2_b64 v255, v[205:206], v[207:208] offset1:1
.LBB99_242:
	s_or_b32 exec_lo, exec_lo, s2
	s_waitcnt lgkmcnt(0)
	s_barrier
	buffer_gl0_inv
	ds_read2_b64 v[201:204], v255 offset1:1
	s_mov_b32 s1, exec_lo
	s_waitcnt lgkmcnt(0)
	buffer_store_dword v201, off, s[16:19], 0 offset:792 ; 4-byte Folded Spill
	buffer_store_dword v202, off, s[16:19], 0 offset:796 ; 4-byte Folded Spill
	;; [unrolled: 1-line block ×4, first 2 shown]
	v_cmpx_lt_u32_e32 26, v0
	s_cbranch_execz .LBB99_244
; %bb.243:
	s_clause 0x3
	buffer_load_dword v203, off, s[16:19], 0 offset:792
	buffer_load_dword v204, off, s[16:19], 0 offset:796
	;; [unrolled: 1-line block ×4, first 2 shown]
	s_waitcnt vmcnt(0)
	v_mul_f64 v[201:202], v[205:206], v[95:96]
	v_mul_f64 v[95:96], v[203:204], v[95:96]
	v_fma_f64 v[201:202], v[203:204], v[93:94], -v[201:202]
	v_fma_f64 v[95:96], v[205:206], v[93:94], v[95:96]
	ds_read2_b64 v[203:206], v253 offset0:54 offset1:55
	s_waitcnt lgkmcnt(0)
	v_mul_f64 v[93:94], v[205:206], v[95:96]
	v_fma_f64 v[93:94], v[203:204], v[201:202], -v[93:94]
	v_mul_f64 v[203:204], v[203:204], v[95:96]
	v_add_f64 v[89:90], v[89:90], -v[93:94]
	v_fma_f64 v[203:204], v[205:206], v[201:202], v[203:204]
	v_add_f64 v[91:92], v[91:92], -v[203:204]
	ds_read2_b64 v[203:206], v253 offset0:56 offset1:57
	s_waitcnt lgkmcnt(0)
	v_mul_f64 v[93:94], v[205:206], v[95:96]
	v_fma_f64 v[93:94], v[203:204], v[201:202], -v[93:94]
	v_mul_f64 v[203:204], v[203:204], v[95:96]
	v_add_f64 v[85:86], v[85:86], -v[93:94]
	v_fma_f64 v[203:204], v[205:206], v[201:202], v[203:204]
	v_add_f64 v[87:88], v[87:88], -v[203:204]
	;; [unrolled: 8-line block ×22, first 2 shown]
	ds_read2_b64 v[203:206], v253 offset0:98 offset1:99
	s_waitcnt lgkmcnt(0)
	v_mul_f64 v[93:94], v[205:206], v[95:96]
	v_fma_f64 v[93:94], v[203:204], v[201:202], -v[93:94]
	v_mul_f64 v[203:204], v[203:204], v[95:96]
	v_add_f64 v[1:2], v[1:2], -v[93:94]
	v_fma_f64 v[203:204], v[205:206], v[201:202], v[203:204]
	v_mov_b32_e32 v93, v201
	v_mov_b32_e32 v94, v202
	v_add_f64 v[3:4], v[3:4], -v[203:204]
.LBB99_244:
	s_or_b32 exec_lo, exec_lo, s1
	s_mov_b32 s2, exec_lo
	s_waitcnt_vscnt null, 0x0
	s_barrier
	buffer_gl0_inv
	v_cmpx_eq_u32_e32 27, v0
	s_cbranch_execz .LBB99_251
; %bb.245:
	ds_write2_b64 v255, v[89:90], v[91:92] offset1:1
	ds_write2_b64 v253, v[85:86], v[87:88] offset0:56 offset1:57
	ds_write2_b64 v253, v[81:82], v[83:84] offset0:58 offset1:59
	;; [unrolled: 1-line block ×22, first 2 shown]
	ds_read2_b64 v[201:204], v255 offset1:1
	s_waitcnt lgkmcnt(0)
	v_cmp_neq_f64_e32 vcc_lo, 0, v[201:202]
	v_cmp_neq_f64_e64 s1, 0, v[203:204]
	s_or_b32 s1, vcc_lo, s1
	s_and_b32 exec_lo, exec_lo, s1
	s_cbranch_execz .LBB99_251
; %bb.246:
	v_cmp_ngt_f64_e64 s1, |v[201:202]|, |v[203:204]|
                                        ; implicit-def: $vgpr205_vgpr206
	s_and_saveexec_b32 s3, s1
	s_xor_b32 s1, exec_lo, s3
                                        ; implicit-def: $vgpr207_vgpr208
	s_cbranch_execz .LBB99_248
; %bb.247:
	v_div_scale_f64 v[205:206], null, v[203:204], v[203:204], v[201:202]
	v_div_scale_f64 v[211:212], vcc_lo, v[201:202], v[203:204], v[201:202]
	v_rcp_f64_e32 v[207:208], v[205:206]
	v_fma_f64 v[209:210], -v[205:206], v[207:208], 1.0
	v_fma_f64 v[207:208], v[207:208], v[209:210], v[207:208]
	v_fma_f64 v[209:210], -v[205:206], v[207:208], 1.0
	v_fma_f64 v[207:208], v[207:208], v[209:210], v[207:208]
	v_mul_f64 v[209:210], v[211:212], v[207:208]
	v_fma_f64 v[205:206], -v[205:206], v[209:210], v[211:212]
	v_div_fmas_f64 v[205:206], v[205:206], v[207:208], v[209:210]
	v_div_fixup_f64 v[205:206], v[205:206], v[203:204], v[201:202]
	v_fma_f64 v[201:202], v[201:202], v[205:206], v[203:204]
	v_div_scale_f64 v[203:204], null, v[201:202], v[201:202], 1.0
	v_rcp_f64_e32 v[207:208], v[203:204]
	v_fma_f64 v[209:210], -v[203:204], v[207:208], 1.0
	v_fma_f64 v[207:208], v[207:208], v[209:210], v[207:208]
	v_fma_f64 v[209:210], -v[203:204], v[207:208], 1.0
	v_fma_f64 v[207:208], v[207:208], v[209:210], v[207:208]
	v_div_scale_f64 v[209:210], vcc_lo, 1.0, v[201:202], 1.0
	v_mul_f64 v[211:212], v[209:210], v[207:208]
	v_fma_f64 v[203:204], -v[203:204], v[211:212], v[209:210]
	v_div_fmas_f64 v[203:204], v[203:204], v[207:208], v[211:212]
	v_div_fixup_f64 v[207:208], v[203:204], v[201:202], 1.0
                                        ; implicit-def: $vgpr201_vgpr202
	v_mul_f64 v[205:206], v[205:206], v[207:208]
	v_xor_b32_e32 v208, 0x80000000, v208
.LBB99_248:
	s_andn2_saveexec_b32 s1, s1
	s_cbranch_execz .LBB99_250
; %bb.249:
	v_div_scale_f64 v[205:206], null, v[201:202], v[201:202], v[203:204]
	v_div_scale_f64 v[211:212], vcc_lo, v[203:204], v[201:202], v[203:204]
	v_rcp_f64_e32 v[207:208], v[205:206]
	v_fma_f64 v[209:210], -v[205:206], v[207:208], 1.0
	v_fma_f64 v[207:208], v[207:208], v[209:210], v[207:208]
	v_fma_f64 v[209:210], -v[205:206], v[207:208], 1.0
	v_fma_f64 v[207:208], v[207:208], v[209:210], v[207:208]
	v_mul_f64 v[209:210], v[211:212], v[207:208]
	v_fma_f64 v[205:206], -v[205:206], v[209:210], v[211:212]
	v_div_fmas_f64 v[205:206], v[205:206], v[207:208], v[209:210]
	v_div_fixup_f64 v[207:208], v[205:206], v[201:202], v[203:204]
	v_fma_f64 v[201:202], v[203:204], v[207:208], v[201:202]
	v_div_scale_f64 v[203:204], null, v[201:202], v[201:202], 1.0
	v_rcp_f64_e32 v[205:206], v[203:204]
	v_fma_f64 v[209:210], -v[203:204], v[205:206], 1.0
	v_fma_f64 v[205:206], v[205:206], v[209:210], v[205:206]
	v_fma_f64 v[209:210], -v[203:204], v[205:206], 1.0
	v_fma_f64 v[205:206], v[205:206], v[209:210], v[205:206]
	v_div_scale_f64 v[209:210], vcc_lo, 1.0, v[201:202], 1.0
	v_mul_f64 v[211:212], v[209:210], v[205:206]
	v_fma_f64 v[203:204], -v[203:204], v[211:212], v[209:210]
	v_div_fmas_f64 v[203:204], v[203:204], v[205:206], v[211:212]
	v_div_fixup_f64 v[205:206], v[203:204], v[201:202], 1.0
	v_mul_f64 v[207:208], v[207:208], -v[205:206]
.LBB99_250:
	s_or_b32 exec_lo, exec_lo, s1
	ds_write2_b64 v255, v[205:206], v[207:208] offset1:1
.LBB99_251:
	s_or_b32 exec_lo, exec_lo, s2
	s_waitcnt lgkmcnt(0)
	s_barrier
	buffer_gl0_inv
	ds_read2_b64 v[201:204], v255 offset1:1
	s_mov_b32 s1, exec_lo
	s_waitcnt lgkmcnt(0)
	buffer_store_dword v201, off, s[16:19], 0 offset:808 ; 4-byte Folded Spill
	buffer_store_dword v202, off, s[16:19], 0 offset:812 ; 4-byte Folded Spill
	;; [unrolled: 1-line block ×4, first 2 shown]
	v_cmpx_lt_u32_e32 27, v0
	s_cbranch_execz .LBB99_253
; %bb.252:
	s_clause 0x3
	buffer_load_dword v203, off, s[16:19], 0 offset:808
	buffer_load_dword v204, off, s[16:19], 0 offset:812
	buffer_load_dword v205, off, s[16:19], 0 offset:816
	buffer_load_dword v206, off, s[16:19], 0 offset:820
	s_waitcnt vmcnt(0)
	v_mul_f64 v[201:202], v[205:206], v[91:92]
	v_mul_f64 v[91:92], v[203:204], v[91:92]
	v_fma_f64 v[201:202], v[203:204], v[89:90], -v[201:202]
	v_fma_f64 v[91:92], v[205:206], v[89:90], v[91:92]
	ds_read2_b64 v[203:206], v253 offset0:56 offset1:57
	s_waitcnt lgkmcnt(0)
	v_mul_f64 v[89:90], v[205:206], v[91:92]
	v_fma_f64 v[89:90], v[203:204], v[201:202], -v[89:90]
	v_mul_f64 v[203:204], v[203:204], v[91:92]
	v_add_f64 v[85:86], v[85:86], -v[89:90]
	v_fma_f64 v[203:204], v[205:206], v[201:202], v[203:204]
	v_add_f64 v[87:88], v[87:88], -v[203:204]
	ds_read2_b64 v[203:206], v253 offset0:58 offset1:59
	s_waitcnt lgkmcnt(0)
	v_mul_f64 v[89:90], v[205:206], v[91:92]
	v_fma_f64 v[89:90], v[203:204], v[201:202], -v[89:90]
	v_mul_f64 v[203:204], v[203:204], v[91:92]
	v_add_f64 v[81:82], v[81:82], -v[89:90]
	v_fma_f64 v[203:204], v[205:206], v[201:202], v[203:204]
	v_add_f64 v[83:84], v[83:84], -v[203:204]
	;; [unrolled: 8-line block ×21, first 2 shown]
	ds_read2_b64 v[203:206], v253 offset0:98 offset1:99
	s_waitcnt lgkmcnt(0)
	v_mul_f64 v[89:90], v[205:206], v[91:92]
	v_fma_f64 v[89:90], v[203:204], v[201:202], -v[89:90]
	v_mul_f64 v[203:204], v[203:204], v[91:92]
	v_add_f64 v[1:2], v[1:2], -v[89:90]
	v_fma_f64 v[203:204], v[205:206], v[201:202], v[203:204]
	v_mov_b32_e32 v89, v201
	v_mov_b32_e32 v90, v202
	v_add_f64 v[3:4], v[3:4], -v[203:204]
.LBB99_253:
	s_or_b32 exec_lo, exec_lo, s1
	s_mov_b32 s2, exec_lo
	s_waitcnt_vscnt null, 0x0
	s_barrier
	buffer_gl0_inv
	v_cmpx_eq_u32_e32 28, v0
	s_cbranch_execz .LBB99_260
; %bb.254:
	ds_write2_b64 v255, v[85:86], v[87:88] offset1:1
	ds_write2_b64 v253, v[81:82], v[83:84] offset0:58 offset1:59
	ds_write2_b64 v253, v[77:78], v[79:80] offset0:60 offset1:61
	;; [unrolled: 1-line block ×21, first 2 shown]
	ds_read2_b64 v[201:204], v255 offset1:1
	s_waitcnt lgkmcnt(0)
	v_cmp_neq_f64_e32 vcc_lo, 0, v[201:202]
	v_cmp_neq_f64_e64 s1, 0, v[203:204]
	s_or_b32 s1, vcc_lo, s1
	s_and_b32 exec_lo, exec_lo, s1
	s_cbranch_execz .LBB99_260
; %bb.255:
	v_cmp_ngt_f64_e64 s1, |v[201:202]|, |v[203:204]|
                                        ; implicit-def: $vgpr205_vgpr206
	s_and_saveexec_b32 s3, s1
	s_xor_b32 s1, exec_lo, s3
                                        ; implicit-def: $vgpr207_vgpr208
	s_cbranch_execz .LBB99_257
; %bb.256:
	v_div_scale_f64 v[205:206], null, v[203:204], v[203:204], v[201:202]
	v_div_scale_f64 v[211:212], vcc_lo, v[201:202], v[203:204], v[201:202]
	v_rcp_f64_e32 v[207:208], v[205:206]
	v_fma_f64 v[209:210], -v[205:206], v[207:208], 1.0
	v_fma_f64 v[207:208], v[207:208], v[209:210], v[207:208]
	v_fma_f64 v[209:210], -v[205:206], v[207:208], 1.0
	v_fma_f64 v[207:208], v[207:208], v[209:210], v[207:208]
	v_mul_f64 v[209:210], v[211:212], v[207:208]
	v_fma_f64 v[205:206], -v[205:206], v[209:210], v[211:212]
	v_div_fmas_f64 v[205:206], v[205:206], v[207:208], v[209:210]
	v_div_fixup_f64 v[205:206], v[205:206], v[203:204], v[201:202]
	v_fma_f64 v[201:202], v[201:202], v[205:206], v[203:204]
	v_div_scale_f64 v[203:204], null, v[201:202], v[201:202], 1.0
	v_rcp_f64_e32 v[207:208], v[203:204]
	v_fma_f64 v[209:210], -v[203:204], v[207:208], 1.0
	v_fma_f64 v[207:208], v[207:208], v[209:210], v[207:208]
	v_fma_f64 v[209:210], -v[203:204], v[207:208], 1.0
	v_fma_f64 v[207:208], v[207:208], v[209:210], v[207:208]
	v_div_scale_f64 v[209:210], vcc_lo, 1.0, v[201:202], 1.0
	v_mul_f64 v[211:212], v[209:210], v[207:208]
	v_fma_f64 v[203:204], -v[203:204], v[211:212], v[209:210]
	v_div_fmas_f64 v[203:204], v[203:204], v[207:208], v[211:212]
	v_div_fixup_f64 v[207:208], v[203:204], v[201:202], 1.0
                                        ; implicit-def: $vgpr201_vgpr202
	v_mul_f64 v[205:206], v[205:206], v[207:208]
	v_xor_b32_e32 v208, 0x80000000, v208
.LBB99_257:
	s_andn2_saveexec_b32 s1, s1
	s_cbranch_execz .LBB99_259
; %bb.258:
	v_div_scale_f64 v[205:206], null, v[201:202], v[201:202], v[203:204]
	v_div_scale_f64 v[211:212], vcc_lo, v[203:204], v[201:202], v[203:204]
	v_rcp_f64_e32 v[207:208], v[205:206]
	v_fma_f64 v[209:210], -v[205:206], v[207:208], 1.0
	v_fma_f64 v[207:208], v[207:208], v[209:210], v[207:208]
	v_fma_f64 v[209:210], -v[205:206], v[207:208], 1.0
	v_fma_f64 v[207:208], v[207:208], v[209:210], v[207:208]
	v_mul_f64 v[209:210], v[211:212], v[207:208]
	v_fma_f64 v[205:206], -v[205:206], v[209:210], v[211:212]
	v_div_fmas_f64 v[205:206], v[205:206], v[207:208], v[209:210]
	v_div_fixup_f64 v[207:208], v[205:206], v[201:202], v[203:204]
	v_fma_f64 v[201:202], v[203:204], v[207:208], v[201:202]
	v_div_scale_f64 v[203:204], null, v[201:202], v[201:202], 1.0
	v_rcp_f64_e32 v[205:206], v[203:204]
	v_fma_f64 v[209:210], -v[203:204], v[205:206], 1.0
	v_fma_f64 v[205:206], v[205:206], v[209:210], v[205:206]
	v_fma_f64 v[209:210], -v[203:204], v[205:206], 1.0
	v_fma_f64 v[205:206], v[205:206], v[209:210], v[205:206]
	v_div_scale_f64 v[209:210], vcc_lo, 1.0, v[201:202], 1.0
	v_mul_f64 v[211:212], v[209:210], v[205:206]
	v_fma_f64 v[203:204], -v[203:204], v[211:212], v[209:210]
	v_div_fmas_f64 v[203:204], v[203:204], v[205:206], v[211:212]
	v_div_fixup_f64 v[205:206], v[203:204], v[201:202], 1.0
	v_mul_f64 v[207:208], v[207:208], -v[205:206]
.LBB99_259:
	s_or_b32 exec_lo, exec_lo, s1
	ds_write2_b64 v255, v[205:206], v[207:208] offset1:1
.LBB99_260:
	s_or_b32 exec_lo, exec_lo, s2
	s_waitcnt lgkmcnt(0)
	s_barrier
	buffer_gl0_inv
	ds_read2_b64 v[201:204], v255 offset1:1
	s_mov_b32 s1, exec_lo
	s_waitcnt lgkmcnt(0)
	buffer_store_dword v201, off, s[16:19], 0 offset:824 ; 4-byte Folded Spill
	buffer_store_dword v202, off, s[16:19], 0 offset:828 ; 4-byte Folded Spill
	;; [unrolled: 1-line block ×4, first 2 shown]
	v_cmpx_lt_u32_e32 28, v0
	s_cbranch_execz .LBB99_262
; %bb.261:
	s_clause 0x3
	buffer_load_dword v203, off, s[16:19], 0 offset:824
	buffer_load_dword v204, off, s[16:19], 0 offset:828
	;; [unrolled: 1-line block ×4, first 2 shown]
	s_waitcnt vmcnt(0)
	v_mul_f64 v[201:202], v[205:206], v[87:88]
	v_mul_f64 v[87:88], v[203:204], v[87:88]
	v_fma_f64 v[201:202], v[203:204], v[85:86], -v[201:202]
	v_fma_f64 v[87:88], v[205:206], v[85:86], v[87:88]
	ds_read2_b64 v[203:206], v253 offset0:58 offset1:59
	s_waitcnt lgkmcnt(0)
	v_mul_f64 v[85:86], v[205:206], v[87:88]
	v_fma_f64 v[85:86], v[203:204], v[201:202], -v[85:86]
	v_mul_f64 v[203:204], v[203:204], v[87:88]
	v_add_f64 v[81:82], v[81:82], -v[85:86]
	v_fma_f64 v[203:204], v[205:206], v[201:202], v[203:204]
	v_add_f64 v[83:84], v[83:84], -v[203:204]
	ds_read2_b64 v[203:206], v253 offset0:60 offset1:61
	s_waitcnt lgkmcnt(0)
	v_mul_f64 v[85:86], v[205:206], v[87:88]
	v_fma_f64 v[85:86], v[203:204], v[201:202], -v[85:86]
	v_mul_f64 v[203:204], v[203:204], v[87:88]
	v_add_f64 v[77:78], v[77:78], -v[85:86]
	v_fma_f64 v[203:204], v[205:206], v[201:202], v[203:204]
	v_add_f64 v[79:80], v[79:80], -v[203:204]
	;; [unrolled: 8-line block ×20, first 2 shown]
	ds_read2_b64 v[203:206], v253 offset0:98 offset1:99
	s_waitcnt lgkmcnt(0)
	v_mul_f64 v[85:86], v[205:206], v[87:88]
	v_fma_f64 v[85:86], v[203:204], v[201:202], -v[85:86]
	v_mul_f64 v[203:204], v[203:204], v[87:88]
	v_add_f64 v[1:2], v[1:2], -v[85:86]
	v_fma_f64 v[203:204], v[205:206], v[201:202], v[203:204]
	v_mov_b32_e32 v85, v201
	v_mov_b32_e32 v86, v202
	v_add_f64 v[3:4], v[3:4], -v[203:204]
.LBB99_262:
	s_or_b32 exec_lo, exec_lo, s1
	s_mov_b32 s2, exec_lo
	s_waitcnt_vscnt null, 0x0
	s_barrier
	buffer_gl0_inv
	v_cmpx_eq_u32_e32 29, v0
	s_cbranch_execz .LBB99_269
; %bb.263:
	ds_write2_b64 v255, v[81:82], v[83:84] offset1:1
	ds_write2_b64 v253, v[77:78], v[79:80] offset0:60 offset1:61
	ds_write2_b64 v253, v[73:74], v[75:76] offset0:62 offset1:63
	;; [unrolled: 1-line block ×20, first 2 shown]
	ds_read2_b64 v[201:204], v255 offset1:1
	s_waitcnt lgkmcnt(0)
	v_cmp_neq_f64_e32 vcc_lo, 0, v[201:202]
	v_cmp_neq_f64_e64 s1, 0, v[203:204]
	s_or_b32 s1, vcc_lo, s1
	s_and_b32 exec_lo, exec_lo, s1
	s_cbranch_execz .LBB99_269
; %bb.264:
	v_cmp_ngt_f64_e64 s1, |v[201:202]|, |v[203:204]|
                                        ; implicit-def: $vgpr205_vgpr206
	s_and_saveexec_b32 s3, s1
	s_xor_b32 s1, exec_lo, s3
                                        ; implicit-def: $vgpr207_vgpr208
	s_cbranch_execz .LBB99_266
; %bb.265:
	v_div_scale_f64 v[205:206], null, v[203:204], v[203:204], v[201:202]
	v_div_scale_f64 v[211:212], vcc_lo, v[201:202], v[203:204], v[201:202]
	v_rcp_f64_e32 v[207:208], v[205:206]
	v_fma_f64 v[209:210], -v[205:206], v[207:208], 1.0
	v_fma_f64 v[207:208], v[207:208], v[209:210], v[207:208]
	v_fma_f64 v[209:210], -v[205:206], v[207:208], 1.0
	v_fma_f64 v[207:208], v[207:208], v[209:210], v[207:208]
	v_mul_f64 v[209:210], v[211:212], v[207:208]
	v_fma_f64 v[205:206], -v[205:206], v[209:210], v[211:212]
	v_div_fmas_f64 v[205:206], v[205:206], v[207:208], v[209:210]
	v_div_fixup_f64 v[205:206], v[205:206], v[203:204], v[201:202]
	v_fma_f64 v[201:202], v[201:202], v[205:206], v[203:204]
	v_div_scale_f64 v[203:204], null, v[201:202], v[201:202], 1.0
	v_rcp_f64_e32 v[207:208], v[203:204]
	v_fma_f64 v[209:210], -v[203:204], v[207:208], 1.0
	v_fma_f64 v[207:208], v[207:208], v[209:210], v[207:208]
	v_fma_f64 v[209:210], -v[203:204], v[207:208], 1.0
	v_fma_f64 v[207:208], v[207:208], v[209:210], v[207:208]
	v_div_scale_f64 v[209:210], vcc_lo, 1.0, v[201:202], 1.0
	v_mul_f64 v[211:212], v[209:210], v[207:208]
	v_fma_f64 v[203:204], -v[203:204], v[211:212], v[209:210]
	v_div_fmas_f64 v[203:204], v[203:204], v[207:208], v[211:212]
	v_div_fixup_f64 v[207:208], v[203:204], v[201:202], 1.0
                                        ; implicit-def: $vgpr201_vgpr202
	v_mul_f64 v[205:206], v[205:206], v[207:208]
	v_xor_b32_e32 v208, 0x80000000, v208
.LBB99_266:
	s_andn2_saveexec_b32 s1, s1
	s_cbranch_execz .LBB99_268
; %bb.267:
	v_div_scale_f64 v[205:206], null, v[201:202], v[201:202], v[203:204]
	v_div_scale_f64 v[211:212], vcc_lo, v[203:204], v[201:202], v[203:204]
	v_rcp_f64_e32 v[207:208], v[205:206]
	v_fma_f64 v[209:210], -v[205:206], v[207:208], 1.0
	v_fma_f64 v[207:208], v[207:208], v[209:210], v[207:208]
	v_fma_f64 v[209:210], -v[205:206], v[207:208], 1.0
	v_fma_f64 v[207:208], v[207:208], v[209:210], v[207:208]
	v_mul_f64 v[209:210], v[211:212], v[207:208]
	v_fma_f64 v[205:206], -v[205:206], v[209:210], v[211:212]
	v_div_fmas_f64 v[205:206], v[205:206], v[207:208], v[209:210]
	v_div_fixup_f64 v[207:208], v[205:206], v[201:202], v[203:204]
	v_fma_f64 v[201:202], v[203:204], v[207:208], v[201:202]
	v_div_scale_f64 v[203:204], null, v[201:202], v[201:202], 1.0
	v_rcp_f64_e32 v[205:206], v[203:204]
	v_fma_f64 v[209:210], -v[203:204], v[205:206], 1.0
	v_fma_f64 v[205:206], v[205:206], v[209:210], v[205:206]
	v_fma_f64 v[209:210], -v[203:204], v[205:206], 1.0
	v_fma_f64 v[205:206], v[205:206], v[209:210], v[205:206]
	v_div_scale_f64 v[209:210], vcc_lo, 1.0, v[201:202], 1.0
	v_mul_f64 v[211:212], v[209:210], v[205:206]
	v_fma_f64 v[203:204], -v[203:204], v[211:212], v[209:210]
	v_div_fmas_f64 v[203:204], v[203:204], v[205:206], v[211:212]
	v_div_fixup_f64 v[205:206], v[203:204], v[201:202], 1.0
	v_mul_f64 v[207:208], v[207:208], -v[205:206]
.LBB99_268:
	s_or_b32 exec_lo, exec_lo, s1
	ds_write2_b64 v255, v[205:206], v[207:208] offset1:1
.LBB99_269:
	s_or_b32 exec_lo, exec_lo, s2
	s_waitcnt lgkmcnt(0)
	s_barrier
	buffer_gl0_inv
	ds_read2_b64 v[201:204], v255 offset1:1
	s_mov_b32 s1, exec_lo
	s_waitcnt lgkmcnt(0)
	buffer_store_dword v201, off, s[16:19], 0 offset:840 ; 4-byte Folded Spill
	buffer_store_dword v202, off, s[16:19], 0 offset:844 ; 4-byte Folded Spill
	;; [unrolled: 1-line block ×4, first 2 shown]
	v_cmpx_lt_u32_e32 29, v0
	s_cbranch_execz .LBB99_271
; %bb.270:
	s_clause 0x3
	buffer_load_dword v203, off, s[16:19], 0 offset:840
	buffer_load_dword v204, off, s[16:19], 0 offset:844
	buffer_load_dword v205, off, s[16:19], 0 offset:848
	buffer_load_dword v206, off, s[16:19], 0 offset:852
	s_waitcnt vmcnt(0)
	v_mul_f64 v[201:202], v[205:206], v[83:84]
	v_mul_f64 v[83:84], v[203:204], v[83:84]
	v_fma_f64 v[201:202], v[203:204], v[81:82], -v[201:202]
	v_fma_f64 v[83:84], v[205:206], v[81:82], v[83:84]
	ds_read2_b64 v[203:206], v253 offset0:60 offset1:61
	s_waitcnt lgkmcnt(0)
	v_mul_f64 v[81:82], v[205:206], v[83:84]
	v_fma_f64 v[81:82], v[203:204], v[201:202], -v[81:82]
	v_mul_f64 v[203:204], v[203:204], v[83:84]
	v_add_f64 v[77:78], v[77:78], -v[81:82]
	v_fma_f64 v[203:204], v[205:206], v[201:202], v[203:204]
	v_add_f64 v[79:80], v[79:80], -v[203:204]
	ds_read2_b64 v[203:206], v253 offset0:62 offset1:63
	s_waitcnt lgkmcnt(0)
	v_mul_f64 v[81:82], v[205:206], v[83:84]
	v_fma_f64 v[81:82], v[203:204], v[201:202], -v[81:82]
	v_mul_f64 v[203:204], v[203:204], v[83:84]
	v_add_f64 v[73:74], v[73:74], -v[81:82]
	v_fma_f64 v[203:204], v[205:206], v[201:202], v[203:204]
	v_add_f64 v[75:76], v[75:76], -v[203:204]
	;; [unrolled: 8-line block ×19, first 2 shown]
	ds_read2_b64 v[203:206], v253 offset0:98 offset1:99
	s_waitcnt lgkmcnt(0)
	v_mul_f64 v[81:82], v[205:206], v[83:84]
	v_fma_f64 v[81:82], v[203:204], v[201:202], -v[81:82]
	v_mul_f64 v[203:204], v[203:204], v[83:84]
	v_add_f64 v[1:2], v[1:2], -v[81:82]
	v_fma_f64 v[203:204], v[205:206], v[201:202], v[203:204]
	v_mov_b32_e32 v81, v201
	v_mov_b32_e32 v82, v202
	v_add_f64 v[3:4], v[3:4], -v[203:204]
.LBB99_271:
	s_or_b32 exec_lo, exec_lo, s1
	s_mov_b32 s2, exec_lo
	s_waitcnt_vscnt null, 0x0
	s_barrier
	buffer_gl0_inv
	v_cmpx_eq_u32_e32 30, v0
	s_cbranch_execz .LBB99_278
; %bb.272:
	ds_write2_b64 v255, v[77:78], v[79:80] offset1:1
	ds_write2_b64 v253, v[73:74], v[75:76] offset0:62 offset1:63
	ds_write2_b64 v253, v[69:70], v[71:72] offset0:64 offset1:65
	;; [unrolled: 1-line block ×19, first 2 shown]
	ds_read2_b64 v[201:204], v255 offset1:1
	s_waitcnt lgkmcnt(0)
	v_cmp_neq_f64_e32 vcc_lo, 0, v[201:202]
	v_cmp_neq_f64_e64 s1, 0, v[203:204]
	s_or_b32 s1, vcc_lo, s1
	s_and_b32 exec_lo, exec_lo, s1
	s_cbranch_execz .LBB99_278
; %bb.273:
	v_cmp_ngt_f64_e64 s1, |v[201:202]|, |v[203:204]|
                                        ; implicit-def: $vgpr205_vgpr206
	s_and_saveexec_b32 s3, s1
	s_xor_b32 s1, exec_lo, s3
                                        ; implicit-def: $vgpr207_vgpr208
	s_cbranch_execz .LBB99_275
; %bb.274:
	v_div_scale_f64 v[205:206], null, v[203:204], v[203:204], v[201:202]
	v_div_scale_f64 v[211:212], vcc_lo, v[201:202], v[203:204], v[201:202]
	v_rcp_f64_e32 v[207:208], v[205:206]
	v_fma_f64 v[209:210], -v[205:206], v[207:208], 1.0
	v_fma_f64 v[207:208], v[207:208], v[209:210], v[207:208]
	v_fma_f64 v[209:210], -v[205:206], v[207:208], 1.0
	v_fma_f64 v[207:208], v[207:208], v[209:210], v[207:208]
	v_mul_f64 v[209:210], v[211:212], v[207:208]
	v_fma_f64 v[205:206], -v[205:206], v[209:210], v[211:212]
	v_div_fmas_f64 v[205:206], v[205:206], v[207:208], v[209:210]
	v_div_fixup_f64 v[205:206], v[205:206], v[203:204], v[201:202]
	v_fma_f64 v[201:202], v[201:202], v[205:206], v[203:204]
	v_div_scale_f64 v[203:204], null, v[201:202], v[201:202], 1.0
	v_rcp_f64_e32 v[207:208], v[203:204]
	v_fma_f64 v[209:210], -v[203:204], v[207:208], 1.0
	v_fma_f64 v[207:208], v[207:208], v[209:210], v[207:208]
	v_fma_f64 v[209:210], -v[203:204], v[207:208], 1.0
	v_fma_f64 v[207:208], v[207:208], v[209:210], v[207:208]
	v_div_scale_f64 v[209:210], vcc_lo, 1.0, v[201:202], 1.0
	v_mul_f64 v[211:212], v[209:210], v[207:208]
	v_fma_f64 v[203:204], -v[203:204], v[211:212], v[209:210]
	v_div_fmas_f64 v[203:204], v[203:204], v[207:208], v[211:212]
	v_div_fixup_f64 v[207:208], v[203:204], v[201:202], 1.0
                                        ; implicit-def: $vgpr201_vgpr202
	v_mul_f64 v[205:206], v[205:206], v[207:208]
	v_xor_b32_e32 v208, 0x80000000, v208
.LBB99_275:
	s_andn2_saveexec_b32 s1, s1
	s_cbranch_execz .LBB99_277
; %bb.276:
	v_div_scale_f64 v[205:206], null, v[201:202], v[201:202], v[203:204]
	v_div_scale_f64 v[211:212], vcc_lo, v[203:204], v[201:202], v[203:204]
	v_rcp_f64_e32 v[207:208], v[205:206]
	v_fma_f64 v[209:210], -v[205:206], v[207:208], 1.0
	v_fma_f64 v[207:208], v[207:208], v[209:210], v[207:208]
	v_fma_f64 v[209:210], -v[205:206], v[207:208], 1.0
	v_fma_f64 v[207:208], v[207:208], v[209:210], v[207:208]
	v_mul_f64 v[209:210], v[211:212], v[207:208]
	v_fma_f64 v[205:206], -v[205:206], v[209:210], v[211:212]
	v_div_fmas_f64 v[205:206], v[205:206], v[207:208], v[209:210]
	v_div_fixup_f64 v[207:208], v[205:206], v[201:202], v[203:204]
	v_fma_f64 v[201:202], v[203:204], v[207:208], v[201:202]
	v_div_scale_f64 v[203:204], null, v[201:202], v[201:202], 1.0
	v_rcp_f64_e32 v[205:206], v[203:204]
	v_fma_f64 v[209:210], -v[203:204], v[205:206], 1.0
	v_fma_f64 v[205:206], v[205:206], v[209:210], v[205:206]
	v_fma_f64 v[209:210], -v[203:204], v[205:206], 1.0
	v_fma_f64 v[205:206], v[205:206], v[209:210], v[205:206]
	v_div_scale_f64 v[209:210], vcc_lo, 1.0, v[201:202], 1.0
	v_mul_f64 v[211:212], v[209:210], v[205:206]
	v_fma_f64 v[203:204], -v[203:204], v[211:212], v[209:210]
	v_div_fmas_f64 v[203:204], v[203:204], v[205:206], v[211:212]
	v_div_fixup_f64 v[205:206], v[203:204], v[201:202], 1.0
	v_mul_f64 v[207:208], v[207:208], -v[205:206]
.LBB99_277:
	s_or_b32 exec_lo, exec_lo, s1
	ds_write2_b64 v255, v[205:206], v[207:208] offset1:1
.LBB99_278:
	s_or_b32 exec_lo, exec_lo, s2
	s_waitcnt lgkmcnt(0)
	s_barrier
	buffer_gl0_inv
	ds_read2_b64 v[201:204], v255 offset1:1
	s_mov_b32 s1, exec_lo
	s_waitcnt lgkmcnt(0)
	buffer_store_dword v201, off, s[16:19], 0 offset:856 ; 4-byte Folded Spill
	buffer_store_dword v202, off, s[16:19], 0 offset:860 ; 4-byte Folded Spill
	;; [unrolled: 1-line block ×4, first 2 shown]
	v_cmpx_lt_u32_e32 30, v0
	s_cbranch_execz .LBB99_280
; %bb.279:
	s_clause 0x3
	buffer_load_dword v203, off, s[16:19], 0 offset:856
	buffer_load_dword v204, off, s[16:19], 0 offset:860
	;; [unrolled: 1-line block ×4, first 2 shown]
	s_waitcnt vmcnt(0)
	v_mul_f64 v[201:202], v[205:206], v[79:80]
	v_mul_f64 v[79:80], v[203:204], v[79:80]
	v_fma_f64 v[201:202], v[203:204], v[77:78], -v[201:202]
	v_fma_f64 v[79:80], v[205:206], v[77:78], v[79:80]
	ds_read2_b64 v[203:206], v253 offset0:62 offset1:63
	s_waitcnt lgkmcnt(0)
	v_mul_f64 v[77:78], v[205:206], v[79:80]
	v_fma_f64 v[77:78], v[203:204], v[201:202], -v[77:78]
	v_mul_f64 v[203:204], v[203:204], v[79:80]
	v_add_f64 v[73:74], v[73:74], -v[77:78]
	v_fma_f64 v[203:204], v[205:206], v[201:202], v[203:204]
	v_add_f64 v[75:76], v[75:76], -v[203:204]
	ds_read2_b64 v[203:206], v253 offset0:64 offset1:65
	s_waitcnt lgkmcnt(0)
	v_mul_f64 v[77:78], v[205:206], v[79:80]
	v_fma_f64 v[77:78], v[203:204], v[201:202], -v[77:78]
	v_mul_f64 v[203:204], v[203:204], v[79:80]
	v_add_f64 v[69:70], v[69:70], -v[77:78]
	v_fma_f64 v[203:204], v[205:206], v[201:202], v[203:204]
	v_add_f64 v[71:72], v[71:72], -v[203:204]
	;; [unrolled: 8-line block ×18, first 2 shown]
	ds_read2_b64 v[203:206], v253 offset0:98 offset1:99
	s_waitcnt lgkmcnt(0)
	v_mul_f64 v[77:78], v[205:206], v[79:80]
	v_fma_f64 v[77:78], v[203:204], v[201:202], -v[77:78]
	v_mul_f64 v[203:204], v[203:204], v[79:80]
	v_add_f64 v[1:2], v[1:2], -v[77:78]
	v_fma_f64 v[203:204], v[205:206], v[201:202], v[203:204]
	v_mov_b32_e32 v77, v201
	v_mov_b32_e32 v78, v202
	v_add_f64 v[3:4], v[3:4], -v[203:204]
.LBB99_280:
	s_or_b32 exec_lo, exec_lo, s1
	s_mov_b32 s2, exec_lo
	s_waitcnt_vscnt null, 0x0
	s_barrier
	buffer_gl0_inv
	v_cmpx_eq_u32_e32 31, v0
	s_cbranch_execz .LBB99_287
; %bb.281:
	ds_write2_b64 v255, v[73:74], v[75:76] offset1:1
	ds_write2_b64 v253, v[69:70], v[71:72] offset0:64 offset1:65
	ds_write2_b64 v253, v[65:66], v[67:68] offset0:66 offset1:67
	;; [unrolled: 1-line block ×18, first 2 shown]
	ds_read2_b64 v[201:204], v255 offset1:1
	s_waitcnt lgkmcnt(0)
	v_cmp_neq_f64_e32 vcc_lo, 0, v[201:202]
	v_cmp_neq_f64_e64 s1, 0, v[203:204]
	s_or_b32 s1, vcc_lo, s1
	s_and_b32 exec_lo, exec_lo, s1
	s_cbranch_execz .LBB99_287
; %bb.282:
	v_cmp_ngt_f64_e64 s1, |v[201:202]|, |v[203:204]|
                                        ; implicit-def: $vgpr205_vgpr206
	s_and_saveexec_b32 s3, s1
	s_xor_b32 s1, exec_lo, s3
                                        ; implicit-def: $vgpr207_vgpr208
	s_cbranch_execz .LBB99_284
; %bb.283:
	v_div_scale_f64 v[205:206], null, v[203:204], v[203:204], v[201:202]
	v_div_scale_f64 v[211:212], vcc_lo, v[201:202], v[203:204], v[201:202]
	v_rcp_f64_e32 v[207:208], v[205:206]
	v_fma_f64 v[209:210], -v[205:206], v[207:208], 1.0
	v_fma_f64 v[207:208], v[207:208], v[209:210], v[207:208]
	v_fma_f64 v[209:210], -v[205:206], v[207:208], 1.0
	v_fma_f64 v[207:208], v[207:208], v[209:210], v[207:208]
	v_mul_f64 v[209:210], v[211:212], v[207:208]
	v_fma_f64 v[205:206], -v[205:206], v[209:210], v[211:212]
	v_div_fmas_f64 v[205:206], v[205:206], v[207:208], v[209:210]
	v_div_fixup_f64 v[205:206], v[205:206], v[203:204], v[201:202]
	v_fma_f64 v[201:202], v[201:202], v[205:206], v[203:204]
	v_div_scale_f64 v[203:204], null, v[201:202], v[201:202], 1.0
	v_rcp_f64_e32 v[207:208], v[203:204]
	v_fma_f64 v[209:210], -v[203:204], v[207:208], 1.0
	v_fma_f64 v[207:208], v[207:208], v[209:210], v[207:208]
	v_fma_f64 v[209:210], -v[203:204], v[207:208], 1.0
	v_fma_f64 v[207:208], v[207:208], v[209:210], v[207:208]
	v_div_scale_f64 v[209:210], vcc_lo, 1.0, v[201:202], 1.0
	v_mul_f64 v[211:212], v[209:210], v[207:208]
	v_fma_f64 v[203:204], -v[203:204], v[211:212], v[209:210]
	v_div_fmas_f64 v[203:204], v[203:204], v[207:208], v[211:212]
	v_div_fixup_f64 v[207:208], v[203:204], v[201:202], 1.0
                                        ; implicit-def: $vgpr201_vgpr202
	v_mul_f64 v[205:206], v[205:206], v[207:208]
	v_xor_b32_e32 v208, 0x80000000, v208
.LBB99_284:
	s_andn2_saveexec_b32 s1, s1
	s_cbranch_execz .LBB99_286
; %bb.285:
	v_div_scale_f64 v[205:206], null, v[201:202], v[201:202], v[203:204]
	v_div_scale_f64 v[211:212], vcc_lo, v[203:204], v[201:202], v[203:204]
	v_rcp_f64_e32 v[207:208], v[205:206]
	v_fma_f64 v[209:210], -v[205:206], v[207:208], 1.0
	v_fma_f64 v[207:208], v[207:208], v[209:210], v[207:208]
	v_fma_f64 v[209:210], -v[205:206], v[207:208], 1.0
	v_fma_f64 v[207:208], v[207:208], v[209:210], v[207:208]
	v_mul_f64 v[209:210], v[211:212], v[207:208]
	v_fma_f64 v[205:206], -v[205:206], v[209:210], v[211:212]
	v_div_fmas_f64 v[205:206], v[205:206], v[207:208], v[209:210]
	v_div_fixup_f64 v[207:208], v[205:206], v[201:202], v[203:204]
	v_fma_f64 v[201:202], v[203:204], v[207:208], v[201:202]
	v_div_scale_f64 v[203:204], null, v[201:202], v[201:202], 1.0
	v_rcp_f64_e32 v[205:206], v[203:204]
	v_fma_f64 v[209:210], -v[203:204], v[205:206], 1.0
	v_fma_f64 v[205:206], v[205:206], v[209:210], v[205:206]
	v_fma_f64 v[209:210], -v[203:204], v[205:206], 1.0
	v_fma_f64 v[205:206], v[205:206], v[209:210], v[205:206]
	v_div_scale_f64 v[209:210], vcc_lo, 1.0, v[201:202], 1.0
	v_mul_f64 v[211:212], v[209:210], v[205:206]
	v_fma_f64 v[203:204], -v[203:204], v[211:212], v[209:210]
	v_div_fmas_f64 v[203:204], v[203:204], v[205:206], v[211:212]
	v_div_fixup_f64 v[205:206], v[203:204], v[201:202], 1.0
	v_mul_f64 v[207:208], v[207:208], -v[205:206]
.LBB99_286:
	s_or_b32 exec_lo, exec_lo, s1
	ds_write2_b64 v255, v[205:206], v[207:208] offset1:1
.LBB99_287:
	s_or_b32 exec_lo, exec_lo, s2
	s_waitcnt lgkmcnt(0)
	s_barrier
	buffer_gl0_inv
	ds_read2_b64 v[201:204], v255 offset1:1
	s_mov_b32 s1, exec_lo
	s_waitcnt lgkmcnt(0)
	buffer_store_dword v201, off, s[16:19], 0 offset:872 ; 4-byte Folded Spill
	buffer_store_dword v202, off, s[16:19], 0 offset:876 ; 4-byte Folded Spill
	buffer_store_dword v203, off, s[16:19], 0 offset:880 ; 4-byte Folded Spill
	buffer_store_dword v204, off, s[16:19], 0 offset:884 ; 4-byte Folded Spill
	v_cmpx_lt_u32_e32 31, v0
	s_cbranch_execz .LBB99_289
; %bb.288:
	s_clause 0x3
	buffer_load_dword v203, off, s[16:19], 0 offset:872
	buffer_load_dword v204, off, s[16:19], 0 offset:876
	;; [unrolled: 1-line block ×4, first 2 shown]
	s_waitcnt vmcnt(0)
	v_mul_f64 v[201:202], v[205:206], v[75:76]
	v_mul_f64 v[75:76], v[203:204], v[75:76]
	v_fma_f64 v[201:202], v[203:204], v[73:74], -v[201:202]
	v_fma_f64 v[75:76], v[205:206], v[73:74], v[75:76]
	ds_read2_b64 v[203:206], v253 offset0:64 offset1:65
	s_waitcnt lgkmcnt(0)
	v_mul_f64 v[73:74], v[205:206], v[75:76]
	v_fma_f64 v[73:74], v[203:204], v[201:202], -v[73:74]
	v_mul_f64 v[203:204], v[203:204], v[75:76]
	v_add_f64 v[69:70], v[69:70], -v[73:74]
	v_fma_f64 v[203:204], v[205:206], v[201:202], v[203:204]
	v_add_f64 v[71:72], v[71:72], -v[203:204]
	ds_read2_b64 v[203:206], v253 offset0:66 offset1:67
	s_waitcnt lgkmcnt(0)
	v_mul_f64 v[73:74], v[205:206], v[75:76]
	v_fma_f64 v[73:74], v[203:204], v[201:202], -v[73:74]
	v_mul_f64 v[203:204], v[203:204], v[75:76]
	v_add_f64 v[65:66], v[65:66], -v[73:74]
	v_fma_f64 v[203:204], v[205:206], v[201:202], v[203:204]
	v_add_f64 v[67:68], v[67:68], -v[203:204]
	;; [unrolled: 8-line block ×17, first 2 shown]
	ds_read2_b64 v[203:206], v253 offset0:98 offset1:99
	s_waitcnt lgkmcnt(0)
	v_mul_f64 v[73:74], v[205:206], v[75:76]
	v_fma_f64 v[73:74], v[203:204], v[201:202], -v[73:74]
	v_mul_f64 v[203:204], v[203:204], v[75:76]
	v_add_f64 v[1:2], v[1:2], -v[73:74]
	v_fma_f64 v[203:204], v[205:206], v[201:202], v[203:204]
	v_mov_b32_e32 v73, v201
	v_mov_b32_e32 v74, v202
	v_add_f64 v[3:4], v[3:4], -v[203:204]
.LBB99_289:
	s_or_b32 exec_lo, exec_lo, s1
	s_mov_b32 s2, exec_lo
	s_waitcnt_vscnt null, 0x0
	s_barrier
	buffer_gl0_inv
	v_cmpx_eq_u32_e32 32, v0
	s_cbranch_execz .LBB99_296
; %bb.290:
	ds_write2_b64 v255, v[69:70], v[71:72] offset1:1
	ds_write2_b64 v253, v[65:66], v[67:68] offset0:66 offset1:67
	ds_write2_b64 v253, v[61:62], v[63:64] offset0:68 offset1:69
	;; [unrolled: 1-line block ×17, first 2 shown]
	ds_read2_b64 v[201:204], v255 offset1:1
	s_waitcnt lgkmcnt(0)
	v_cmp_neq_f64_e32 vcc_lo, 0, v[201:202]
	v_cmp_neq_f64_e64 s1, 0, v[203:204]
	s_or_b32 s1, vcc_lo, s1
	s_and_b32 exec_lo, exec_lo, s1
	s_cbranch_execz .LBB99_296
; %bb.291:
	v_cmp_ngt_f64_e64 s1, |v[201:202]|, |v[203:204]|
                                        ; implicit-def: $vgpr205_vgpr206
	s_and_saveexec_b32 s3, s1
	s_xor_b32 s1, exec_lo, s3
                                        ; implicit-def: $vgpr207_vgpr208
	s_cbranch_execz .LBB99_293
; %bb.292:
	v_div_scale_f64 v[205:206], null, v[203:204], v[203:204], v[201:202]
	v_div_scale_f64 v[211:212], vcc_lo, v[201:202], v[203:204], v[201:202]
	v_rcp_f64_e32 v[207:208], v[205:206]
	v_fma_f64 v[209:210], -v[205:206], v[207:208], 1.0
	v_fma_f64 v[207:208], v[207:208], v[209:210], v[207:208]
	v_fma_f64 v[209:210], -v[205:206], v[207:208], 1.0
	v_fma_f64 v[207:208], v[207:208], v[209:210], v[207:208]
	v_mul_f64 v[209:210], v[211:212], v[207:208]
	v_fma_f64 v[205:206], -v[205:206], v[209:210], v[211:212]
	v_div_fmas_f64 v[205:206], v[205:206], v[207:208], v[209:210]
	v_div_fixup_f64 v[205:206], v[205:206], v[203:204], v[201:202]
	v_fma_f64 v[201:202], v[201:202], v[205:206], v[203:204]
	v_div_scale_f64 v[203:204], null, v[201:202], v[201:202], 1.0
	v_rcp_f64_e32 v[207:208], v[203:204]
	v_fma_f64 v[209:210], -v[203:204], v[207:208], 1.0
	v_fma_f64 v[207:208], v[207:208], v[209:210], v[207:208]
	v_fma_f64 v[209:210], -v[203:204], v[207:208], 1.0
	v_fma_f64 v[207:208], v[207:208], v[209:210], v[207:208]
	v_div_scale_f64 v[209:210], vcc_lo, 1.0, v[201:202], 1.0
	v_mul_f64 v[211:212], v[209:210], v[207:208]
	v_fma_f64 v[203:204], -v[203:204], v[211:212], v[209:210]
	v_div_fmas_f64 v[203:204], v[203:204], v[207:208], v[211:212]
	v_div_fixup_f64 v[207:208], v[203:204], v[201:202], 1.0
                                        ; implicit-def: $vgpr201_vgpr202
	v_mul_f64 v[205:206], v[205:206], v[207:208]
	v_xor_b32_e32 v208, 0x80000000, v208
.LBB99_293:
	s_andn2_saveexec_b32 s1, s1
	s_cbranch_execz .LBB99_295
; %bb.294:
	v_div_scale_f64 v[205:206], null, v[201:202], v[201:202], v[203:204]
	v_div_scale_f64 v[211:212], vcc_lo, v[203:204], v[201:202], v[203:204]
	v_rcp_f64_e32 v[207:208], v[205:206]
	v_fma_f64 v[209:210], -v[205:206], v[207:208], 1.0
	v_fma_f64 v[207:208], v[207:208], v[209:210], v[207:208]
	v_fma_f64 v[209:210], -v[205:206], v[207:208], 1.0
	v_fma_f64 v[207:208], v[207:208], v[209:210], v[207:208]
	v_mul_f64 v[209:210], v[211:212], v[207:208]
	v_fma_f64 v[205:206], -v[205:206], v[209:210], v[211:212]
	v_div_fmas_f64 v[205:206], v[205:206], v[207:208], v[209:210]
	v_div_fixup_f64 v[207:208], v[205:206], v[201:202], v[203:204]
	v_fma_f64 v[201:202], v[203:204], v[207:208], v[201:202]
	v_div_scale_f64 v[203:204], null, v[201:202], v[201:202], 1.0
	v_rcp_f64_e32 v[205:206], v[203:204]
	v_fma_f64 v[209:210], -v[203:204], v[205:206], 1.0
	v_fma_f64 v[205:206], v[205:206], v[209:210], v[205:206]
	v_fma_f64 v[209:210], -v[203:204], v[205:206], 1.0
	v_fma_f64 v[205:206], v[205:206], v[209:210], v[205:206]
	v_div_scale_f64 v[209:210], vcc_lo, 1.0, v[201:202], 1.0
	v_mul_f64 v[211:212], v[209:210], v[205:206]
	v_fma_f64 v[203:204], -v[203:204], v[211:212], v[209:210]
	v_div_fmas_f64 v[203:204], v[203:204], v[205:206], v[211:212]
	v_div_fixup_f64 v[205:206], v[203:204], v[201:202], 1.0
	v_mul_f64 v[207:208], v[207:208], -v[205:206]
.LBB99_295:
	s_or_b32 exec_lo, exec_lo, s1
	ds_write2_b64 v255, v[205:206], v[207:208] offset1:1
.LBB99_296:
	s_or_b32 exec_lo, exec_lo, s2
	s_waitcnt lgkmcnt(0)
	s_barrier
	buffer_gl0_inv
	ds_read2_b64 v[201:204], v255 offset1:1
	s_mov_b32 s1, exec_lo
	s_waitcnt lgkmcnt(0)
	buffer_store_dword v201, off, s[16:19], 0 offset:888 ; 4-byte Folded Spill
	buffer_store_dword v202, off, s[16:19], 0 offset:892 ; 4-byte Folded Spill
	;; [unrolled: 1-line block ×4, first 2 shown]
	v_cmpx_lt_u32_e32 32, v0
	s_cbranch_execz .LBB99_298
; %bb.297:
	s_clause 0x3
	buffer_load_dword v203, off, s[16:19], 0 offset:888
	buffer_load_dword v204, off, s[16:19], 0 offset:892
	;; [unrolled: 1-line block ×4, first 2 shown]
	s_waitcnt vmcnt(0)
	v_mul_f64 v[201:202], v[205:206], v[71:72]
	v_mul_f64 v[71:72], v[203:204], v[71:72]
	v_fma_f64 v[201:202], v[203:204], v[69:70], -v[201:202]
	v_fma_f64 v[71:72], v[205:206], v[69:70], v[71:72]
	ds_read2_b64 v[203:206], v253 offset0:66 offset1:67
	s_waitcnt lgkmcnt(0)
	v_mul_f64 v[69:70], v[205:206], v[71:72]
	v_fma_f64 v[69:70], v[203:204], v[201:202], -v[69:70]
	v_mul_f64 v[203:204], v[203:204], v[71:72]
	v_add_f64 v[65:66], v[65:66], -v[69:70]
	v_fma_f64 v[203:204], v[205:206], v[201:202], v[203:204]
	v_add_f64 v[67:68], v[67:68], -v[203:204]
	ds_read2_b64 v[203:206], v253 offset0:68 offset1:69
	s_waitcnt lgkmcnt(0)
	v_mul_f64 v[69:70], v[205:206], v[71:72]
	v_fma_f64 v[69:70], v[203:204], v[201:202], -v[69:70]
	v_mul_f64 v[203:204], v[203:204], v[71:72]
	v_add_f64 v[61:62], v[61:62], -v[69:70]
	v_fma_f64 v[203:204], v[205:206], v[201:202], v[203:204]
	v_add_f64 v[63:64], v[63:64], -v[203:204]
	;; [unrolled: 8-line block ×16, first 2 shown]
	ds_read2_b64 v[203:206], v253 offset0:98 offset1:99
	s_waitcnt lgkmcnt(0)
	v_mul_f64 v[69:70], v[205:206], v[71:72]
	v_fma_f64 v[69:70], v[203:204], v[201:202], -v[69:70]
	v_mul_f64 v[203:204], v[203:204], v[71:72]
	v_add_f64 v[1:2], v[1:2], -v[69:70]
	v_fma_f64 v[203:204], v[205:206], v[201:202], v[203:204]
	v_mov_b32_e32 v69, v201
	v_mov_b32_e32 v70, v202
	v_add_f64 v[3:4], v[3:4], -v[203:204]
.LBB99_298:
	s_or_b32 exec_lo, exec_lo, s1
	s_mov_b32 s2, exec_lo
	s_waitcnt_vscnt null, 0x0
	s_barrier
	buffer_gl0_inv
	v_cmpx_eq_u32_e32 33, v0
	s_cbranch_execz .LBB99_305
; %bb.299:
	ds_write2_b64 v255, v[65:66], v[67:68] offset1:1
	ds_write2_b64 v253, v[61:62], v[63:64] offset0:68 offset1:69
	ds_write2_b64 v253, v[57:58], v[59:60] offset0:70 offset1:71
	;; [unrolled: 1-line block ×16, first 2 shown]
	ds_read2_b64 v[201:204], v255 offset1:1
	s_waitcnt lgkmcnt(0)
	v_cmp_neq_f64_e32 vcc_lo, 0, v[201:202]
	v_cmp_neq_f64_e64 s1, 0, v[203:204]
	s_or_b32 s1, vcc_lo, s1
	s_and_b32 exec_lo, exec_lo, s1
	s_cbranch_execz .LBB99_305
; %bb.300:
	v_cmp_ngt_f64_e64 s1, |v[201:202]|, |v[203:204]|
                                        ; implicit-def: $vgpr205_vgpr206
	s_and_saveexec_b32 s3, s1
	s_xor_b32 s1, exec_lo, s3
                                        ; implicit-def: $vgpr207_vgpr208
	s_cbranch_execz .LBB99_302
; %bb.301:
	v_div_scale_f64 v[205:206], null, v[203:204], v[203:204], v[201:202]
	v_div_scale_f64 v[211:212], vcc_lo, v[201:202], v[203:204], v[201:202]
	v_rcp_f64_e32 v[207:208], v[205:206]
	v_fma_f64 v[209:210], -v[205:206], v[207:208], 1.0
	v_fma_f64 v[207:208], v[207:208], v[209:210], v[207:208]
	v_fma_f64 v[209:210], -v[205:206], v[207:208], 1.0
	v_fma_f64 v[207:208], v[207:208], v[209:210], v[207:208]
	v_mul_f64 v[209:210], v[211:212], v[207:208]
	v_fma_f64 v[205:206], -v[205:206], v[209:210], v[211:212]
	v_div_fmas_f64 v[205:206], v[205:206], v[207:208], v[209:210]
	v_div_fixup_f64 v[205:206], v[205:206], v[203:204], v[201:202]
	v_fma_f64 v[201:202], v[201:202], v[205:206], v[203:204]
	v_div_scale_f64 v[203:204], null, v[201:202], v[201:202], 1.0
	v_rcp_f64_e32 v[207:208], v[203:204]
	v_fma_f64 v[209:210], -v[203:204], v[207:208], 1.0
	v_fma_f64 v[207:208], v[207:208], v[209:210], v[207:208]
	v_fma_f64 v[209:210], -v[203:204], v[207:208], 1.0
	v_fma_f64 v[207:208], v[207:208], v[209:210], v[207:208]
	v_div_scale_f64 v[209:210], vcc_lo, 1.0, v[201:202], 1.0
	v_mul_f64 v[211:212], v[209:210], v[207:208]
	v_fma_f64 v[203:204], -v[203:204], v[211:212], v[209:210]
	v_div_fmas_f64 v[203:204], v[203:204], v[207:208], v[211:212]
	v_div_fixup_f64 v[207:208], v[203:204], v[201:202], 1.0
                                        ; implicit-def: $vgpr201_vgpr202
	v_mul_f64 v[205:206], v[205:206], v[207:208]
	v_xor_b32_e32 v208, 0x80000000, v208
.LBB99_302:
	s_andn2_saveexec_b32 s1, s1
	s_cbranch_execz .LBB99_304
; %bb.303:
	v_div_scale_f64 v[205:206], null, v[201:202], v[201:202], v[203:204]
	v_div_scale_f64 v[211:212], vcc_lo, v[203:204], v[201:202], v[203:204]
	v_rcp_f64_e32 v[207:208], v[205:206]
	v_fma_f64 v[209:210], -v[205:206], v[207:208], 1.0
	v_fma_f64 v[207:208], v[207:208], v[209:210], v[207:208]
	v_fma_f64 v[209:210], -v[205:206], v[207:208], 1.0
	v_fma_f64 v[207:208], v[207:208], v[209:210], v[207:208]
	v_mul_f64 v[209:210], v[211:212], v[207:208]
	v_fma_f64 v[205:206], -v[205:206], v[209:210], v[211:212]
	v_div_fmas_f64 v[205:206], v[205:206], v[207:208], v[209:210]
	v_div_fixup_f64 v[207:208], v[205:206], v[201:202], v[203:204]
	v_fma_f64 v[201:202], v[203:204], v[207:208], v[201:202]
	v_div_scale_f64 v[203:204], null, v[201:202], v[201:202], 1.0
	v_rcp_f64_e32 v[205:206], v[203:204]
	v_fma_f64 v[209:210], -v[203:204], v[205:206], 1.0
	v_fma_f64 v[205:206], v[205:206], v[209:210], v[205:206]
	v_fma_f64 v[209:210], -v[203:204], v[205:206], 1.0
	v_fma_f64 v[205:206], v[205:206], v[209:210], v[205:206]
	v_div_scale_f64 v[209:210], vcc_lo, 1.0, v[201:202], 1.0
	v_mul_f64 v[211:212], v[209:210], v[205:206]
	v_fma_f64 v[203:204], -v[203:204], v[211:212], v[209:210]
	v_div_fmas_f64 v[203:204], v[203:204], v[205:206], v[211:212]
	v_div_fixup_f64 v[205:206], v[203:204], v[201:202], 1.0
	v_mul_f64 v[207:208], v[207:208], -v[205:206]
.LBB99_304:
	s_or_b32 exec_lo, exec_lo, s1
	ds_write2_b64 v255, v[205:206], v[207:208] offset1:1
.LBB99_305:
	s_or_b32 exec_lo, exec_lo, s2
	s_waitcnt lgkmcnt(0)
	s_barrier
	buffer_gl0_inv
	ds_read2_b64 v[201:204], v255 offset1:1
	s_mov_b32 s1, exec_lo
	s_waitcnt lgkmcnt(0)
	buffer_store_dword v201, off, s[16:19], 0 offset:904 ; 4-byte Folded Spill
	buffer_store_dword v202, off, s[16:19], 0 offset:908 ; 4-byte Folded Spill
	;; [unrolled: 1-line block ×4, first 2 shown]
	v_cmpx_lt_u32_e32 33, v0
	s_cbranch_execz .LBB99_307
; %bb.306:
	s_clause 0x3
	buffer_load_dword v203, off, s[16:19], 0 offset:904
	buffer_load_dword v204, off, s[16:19], 0 offset:908
	;; [unrolled: 1-line block ×4, first 2 shown]
	s_waitcnt vmcnt(2)
	v_mul_f64 v[201:202], v[203:204], v[67:68]
	s_waitcnt vmcnt(0)
	v_mul_f64 v[67:68], v[205:206], v[67:68]
	v_fma_f64 v[201:202], v[205:206], v[65:66], v[201:202]
	v_fma_f64 v[65:66], v[203:204], v[65:66], -v[67:68]
	ds_read2_b64 v[203:206], v253 offset0:68 offset1:69
	s_waitcnt lgkmcnt(0)
	v_mul_f64 v[67:68], v[205:206], v[201:202]
	v_fma_f64 v[67:68], v[203:204], v[65:66], -v[67:68]
	v_mul_f64 v[203:204], v[203:204], v[201:202]
	v_add_f64 v[61:62], v[61:62], -v[67:68]
	v_fma_f64 v[203:204], v[205:206], v[65:66], v[203:204]
	v_add_f64 v[63:64], v[63:64], -v[203:204]
	ds_read2_b64 v[203:206], v253 offset0:70 offset1:71
	s_waitcnt lgkmcnt(0)
	v_mul_f64 v[67:68], v[205:206], v[201:202]
	v_fma_f64 v[67:68], v[203:204], v[65:66], -v[67:68]
	v_mul_f64 v[203:204], v[203:204], v[201:202]
	v_add_f64 v[57:58], v[57:58], -v[67:68]
	v_fma_f64 v[203:204], v[205:206], v[65:66], v[203:204]
	v_add_f64 v[59:60], v[59:60], -v[203:204]
	;; [unrolled: 8-line block ×15, first 2 shown]
	ds_read2_b64 v[203:206], v253 offset0:98 offset1:99
	s_waitcnt lgkmcnt(0)
	v_mul_f64 v[67:68], v[205:206], v[201:202]
	v_fma_f64 v[67:68], v[203:204], v[65:66], -v[67:68]
	v_mul_f64 v[203:204], v[203:204], v[201:202]
	v_add_f64 v[1:2], v[1:2], -v[67:68]
	v_fma_f64 v[203:204], v[205:206], v[65:66], v[203:204]
	v_mov_b32_e32 v67, v201
	v_mov_b32_e32 v68, v202
	v_add_f64 v[3:4], v[3:4], -v[203:204]
.LBB99_307:
	s_or_b32 exec_lo, exec_lo, s1
	s_mov_b32 s2, exec_lo
	s_waitcnt_vscnt null, 0x0
	s_barrier
	buffer_gl0_inv
	v_cmpx_eq_u32_e32 34, v0
	s_cbranch_execz .LBB99_314
; %bb.308:
	ds_write2_b64 v255, v[61:62], v[63:64] offset1:1
	ds_write2_b64 v253, v[57:58], v[59:60] offset0:70 offset1:71
	ds_write2_b64 v253, v[53:54], v[55:56] offset0:72 offset1:73
	;; [unrolled: 1-line block ×15, first 2 shown]
	ds_read2_b64 v[201:204], v255 offset1:1
	s_waitcnt lgkmcnt(0)
	v_cmp_neq_f64_e32 vcc_lo, 0, v[201:202]
	v_cmp_neq_f64_e64 s1, 0, v[203:204]
	s_or_b32 s1, vcc_lo, s1
	s_and_b32 exec_lo, exec_lo, s1
	s_cbranch_execz .LBB99_314
; %bb.309:
	v_cmp_ngt_f64_e64 s1, |v[201:202]|, |v[203:204]|
                                        ; implicit-def: $vgpr205_vgpr206
	s_and_saveexec_b32 s3, s1
	s_xor_b32 s1, exec_lo, s3
                                        ; implicit-def: $vgpr207_vgpr208
	s_cbranch_execz .LBB99_311
; %bb.310:
	v_div_scale_f64 v[205:206], null, v[203:204], v[203:204], v[201:202]
	v_div_scale_f64 v[211:212], vcc_lo, v[201:202], v[203:204], v[201:202]
	v_rcp_f64_e32 v[207:208], v[205:206]
	v_fma_f64 v[209:210], -v[205:206], v[207:208], 1.0
	v_fma_f64 v[207:208], v[207:208], v[209:210], v[207:208]
	v_fma_f64 v[209:210], -v[205:206], v[207:208], 1.0
	v_fma_f64 v[207:208], v[207:208], v[209:210], v[207:208]
	v_mul_f64 v[209:210], v[211:212], v[207:208]
	v_fma_f64 v[205:206], -v[205:206], v[209:210], v[211:212]
	v_div_fmas_f64 v[205:206], v[205:206], v[207:208], v[209:210]
	v_div_fixup_f64 v[205:206], v[205:206], v[203:204], v[201:202]
	v_fma_f64 v[201:202], v[201:202], v[205:206], v[203:204]
	v_div_scale_f64 v[203:204], null, v[201:202], v[201:202], 1.0
	v_rcp_f64_e32 v[207:208], v[203:204]
	v_fma_f64 v[209:210], -v[203:204], v[207:208], 1.0
	v_fma_f64 v[207:208], v[207:208], v[209:210], v[207:208]
	v_fma_f64 v[209:210], -v[203:204], v[207:208], 1.0
	v_fma_f64 v[207:208], v[207:208], v[209:210], v[207:208]
	v_div_scale_f64 v[209:210], vcc_lo, 1.0, v[201:202], 1.0
	v_mul_f64 v[211:212], v[209:210], v[207:208]
	v_fma_f64 v[203:204], -v[203:204], v[211:212], v[209:210]
	v_div_fmas_f64 v[203:204], v[203:204], v[207:208], v[211:212]
	v_div_fixup_f64 v[207:208], v[203:204], v[201:202], 1.0
                                        ; implicit-def: $vgpr201_vgpr202
	v_mul_f64 v[205:206], v[205:206], v[207:208]
	v_xor_b32_e32 v208, 0x80000000, v208
.LBB99_311:
	s_andn2_saveexec_b32 s1, s1
	s_cbranch_execz .LBB99_313
; %bb.312:
	v_div_scale_f64 v[205:206], null, v[201:202], v[201:202], v[203:204]
	v_div_scale_f64 v[211:212], vcc_lo, v[203:204], v[201:202], v[203:204]
	v_rcp_f64_e32 v[207:208], v[205:206]
	v_fma_f64 v[209:210], -v[205:206], v[207:208], 1.0
	v_fma_f64 v[207:208], v[207:208], v[209:210], v[207:208]
	v_fma_f64 v[209:210], -v[205:206], v[207:208], 1.0
	v_fma_f64 v[207:208], v[207:208], v[209:210], v[207:208]
	v_mul_f64 v[209:210], v[211:212], v[207:208]
	v_fma_f64 v[205:206], -v[205:206], v[209:210], v[211:212]
	v_div_fmas_f64 v[205:206], v[205:206], v[207:208], v[209:210]
	v_div_fixup_f64 v[207:208], v[205:206], v[201:202], v[203:204]
	v_fma_f64 v[201:202], v[203:204], v[207:208], v[201:202]
	v_div_scale_f64 v[203:204], null, v[201:202], v[201:202], 1.0
	v_rcp_f64_e32 v[205:206], v[203:204]
	v_fma_f64 v[209:210], -v[203:204], v[205:206], 1.0
	v_fma_f64 v[205:206], v[205:206], v[209:210], v[205:206]
	v_fma_f64 v[209:210], -v[203:204], v[205:206], 1.0
	v_fma_f64 v[205:206], v[205:206], v[209:210], v[205:206]
	v_div_scale_f64 v[209:210], vcc_lo, 1.0, v[201:202], 1.0
	v_mul_f64 v[211:212], v[209:210], v[205:206]
	v_fma_f64 v[203:204], -v[203:204], v[211:212], v[209:210]
	v_div_fmas_f64 v[203:204], v[203:204], v[205:206], v[211:212]
	v_div_fixup_f64 v[205:206], v[203:204], v[201:202], 1.0
	v_mul_f64 v[207:208], v[207:208], -v[205:206]
.LBB99_313:
	s_or_b32 exec_lo, exec_lo, s1
	ds_write2_b64 v255, v[205:206], v[207:208] offset1:1
.LBB99_314:
	s_or_b32 exec_lo, exec_lo, s2
	s_waitcnt lgkmcnt(0)
	s_barrier
	buffer_gl0_inv
	ds_read2_b64 v[201:204], v255 offset1:1
	s_mov_b32 s1, exec_lo
	s_waitcnt lgkmcnt(0)
	buffer_store_dword v201, off, s[16:19], 0 offset:920 ; 4-byte Folded Spill
	buffer_store_dword v202, off, s[16:19], 0 offset:924 ; 4-byte Folded Spill
	buffer_store_dword v203, off, s[16:19], 0 offset:928 ; 4-byte Folded Spill
	buffer_store_dword v204, off, s[16:19], 0 offset:932 ; 4-byte Folded Spill
	v_cmpx_lt_u32_e32 34, v0
	s_cbranch_execz .LBB99_316
; %bb.315:
	s_clause 0x3
	buffer_load_dword v203, off, s[16:19], 0 offset:920
	buffer_load_dword v204, off, s[16:19], 0 offset:924
	;; [unrolled: 1-line block ×4, first 2 shown]
	s_waitcnt vmcnt(2)
	v_mul_f64 v[201:202], v[203:204], v[63:64]
	s_waitcnt vmcnt(0)
	v_mul_f64 v[63:64], v[205:206], v[63:64]
	v_fma_f64 v[201:202], v[205:206], v[61:62], v[201:202]
	v_fma_f64 v[61:62], v[203:204], v[61:62], -v[63:64]
	ds_read2_b64 v[203:206], v253 offset0:70 offset1:71
	s_waitcnt lgkmcnt(0)
	v_mul_f64 v[63:64], v[205:206], v[201:202]
	v_fma_f64 v[63:64], v[203:204], v[61:62], -v[63:64]
	v_mul_f64 v[203:204], v[203:204], v[201:202]
	v_add_f64 v[57:58], v[57:58], -v[63:64]
	v_fma_f64 v[203:204], v[205:206], v[61:62], v[203:204]
	v_add_f64 v[59:60], v[59:60], -v[203:204]
	ds_read2_b64 v[203:206], v253 offset0:72 offset1:73
	s_waitcnt lgkmcnt(0)
	v_mul_f64 v[63:64], v[205:206], v[201:202]
	v_fma_f64 v[63:64], v[203:204], v[61:62], -v[63:64]
	v_mul_f64 v[203:204], v[203:204], v[201:202]
	v_add_f64 v[53:54], v[53:54], -v[63:64]
	v_fma_f64 v[203:204], v[205:206], v[61:62], v[203:204]
	v_add_f64 v[55:56], v[55:56], -v[203:204]
	;; [unrolled: 8-line block ×14, first 2 shown]
	ds_read2_b64 v[203:206], v253 offset0:98 offset1:99
	s_waitcnt lgkmcnt(0)
	v_mul_f64 v[63:64], v[205:206], v[201:202]
	v_fma_f64 v[63:64], v[203:204], v[61:62], -v[63:64]
	v_mul_f64 v[203:204], v[203:204], v[201:202]
	v_add_f64 v[1:2], v[1:2], -v[63:64]
	v_fma_f64 v[203:204], v[205:206], v[61:62], v[203:204]
	v_mov_b32_e32 v63, v201
	v_mov_b32_e32 v64, v202
	v_add_f64 v[3:4], v[3:4], -v[203:204]
.LBB99_316:
	s_or_b32 exec_lo, exec_lo, s1
	s_mov_b32 s2, exec_lo
	s_waitcnt_vscnt null, 0x0
	s_barrier
	buffer_gl0_inv
	v_cmpx_eq_u32_e32 35, v0
	s_cbranch_execz .LBB99_323
; %bb.317:
	ds_write2_b64 v255, v[57:58], v[59:60] offset1:1
	ds_write2_b64 v253, v[53:54], v[55:56] offset0:72 offset1:73
	ds_write2_b64 v253, v[49:50], v[51:52] offset0:74 offset1:75
	ds_write2_b64 v253, v[45:46], v[47:48] offset0:76 offset1:77
	ds_write2_b64 v253, v[41:42], v[43:44] offset0:78 offset1:79
	ds_write2_b64 v253, v[37:38], v[39:40] offset0:80 offset1:81
	ds_write2_b64 v253, v[33:34], v[35:36] offset0:82 offset1:83
	ds_write2_b64 v253, v[29:30], v[31:32] offset0:84 offset1:85
	ds_write2_b64 v253, v[25:26], v[27:28] offset0:86 offset1:87
	ds_write2_b64 v253, v[21:22], v[23:24] offset0:88 offset1:89
	ds_write2_b64 v253, v[17:18], v[19:20] offset0:90 offset1:91
	ds_write2_b64 v253, v[13:14], v[15:16] offset0:92 offset1:93
	ds_write2_b64 v253, v[9:10], v[11:12] offset0:94 offset1:95
	ds_write2_b64 v253, v[5:6], v[7:8] offset0:96 offset1:97
	ds_write2_b64 v253, v[1:2], v[3:4] offset0:98 offset1:99
	ds_read2_b64 v[201:204], v255 offset1:1
	s_waitcnt lgkmcnt(0)
	v_cmp_neq_f64_e32 vcc_lo, 0, v[201:202]
	v_cmp_neq_f64_e64 s1, 0, v[203:204]
	s_or_b32 s1, vcc_lo, s1
	s_and_b32 exec_lo, exec_lo, s1
	s_cbranch_execz .LBB99_323
; %bb.318:
	v_cmp_ngt_f64_e64 s1, |v[201:202]|, |v[203:204]|
                                        ; implicit-def: $vgpr205_vgpr206
	s_and_saveexec_b32 s3, s1
	s_xor_b32 s1, exec_lo, s3
                                        ; implicit-def: $vgpr207_vgpr208
	s_cbranch_execz .LBB99_320
; %bb.319:
	v_div_scale_f64 v[205:206], null, v[203:204], v[203:204], v[201:202]
	v_div_scale_f64 v[211:212], vcc_lo, v[201:202], v[203:204], v[201:202]
	v_rcp_f64_e32 v[207:208], v[205:206]
	v_fma_f64 v[209:210], -v[205:206], v[207:208], 1.0
	v_fma_f64 v[207:208], v[207:208], v[209:210], v[207:208]
	v_fma_f64 v[209:210], -v[205:206], v[207:208], 1.0
	v_fma_f64 v[207:208], v[207:208], v[209:210], v[207:208]
	v_mul_f64 v[209:210], v[211:212], v[207:208]
	v_fma_f64 v[205:206], -v[205:206], v[209:210], v[211:212]
	v_div_fmas_f64 v[205:206], v[205:206], v[207:208], v[209:210]
	v_div_fixup_f64 v[205:206], v[205:206], v[203:204], v[201:202]
	v_fma_f64 v[201:202], v[201:202], v[205:206], v[203:204]
	v_div_scale_f64 v[203:204], null, v[201:202], v[201:202], 1.0
	v_rcp_f64_e32 v[207:208], v[203:204]
	v_fma_f64 v[209:210], -v[203:204], v[207:208], 1.0
	v_fma_f64 v[207:208], v[207:208], v[209:210], v[207:208]
	v_fma_f64 v[209:210], -v[203:204], v[207:208], 1.0
	v_fma_f64 v[207:208], v[207:208], v[209:210], v[207:208]
	v_div_scale_f64 v[209:210], vcc_lo, 1.0, v[201:202], 1.0
	v_mul_f64 v[211:212], v[209:210], v[207:208]
	v_fma_f64 v[203:204], -v[203:204], v[211:212], v[209:210]
	v_div_fmas_f64 v[203:204], v[203:204], v[207:208], v[211:212]
	v_div_fixup_f64 v[207:208], v[203:204], v[201:202], 1.0
                                        ; implicit-def: $vgpr201_vgpr202
	v_mul_f64 v[205:206], v[205:206], v[207:208]
	v_xor_b32_e32 v208, 0x80000000, v208
.LBB99_320:
	s_andn2_saveexec_b32 s1, s1
	s_cbranch_execz .LBB99_322
; %bb.321:
	v_div_scale_f64 v[205:206], null, v[201:202], v[201:202], v[203:204]
	v_div_scale_f64 v[211:212], vcc_lo, v[203:204], v[201:202], v[203:204]
	v_rcp_f64_e32 v[207:208], v[205:206]
	v_fma_f64 v[209:210], -v[205:206], v[207:208], 1.0
	v_fma_f64 v[207:208], v[207:208], v[209:210], v[207:208]
	v_fma_f64 v[209:210], -v[205:206], v[207:208], 1.0
	v_fma_f64 v[207:208], v[207:208], v[209:210], v[207:208]
	v_mul_f64 v[209:210], v[211:212], v[207:208]
	v_fma_f64 v[205:206], -v[205:206], v[209:210], v[211:212]
	v_div_fmas_f64 v[205:206], v[205:206], v[207:208], v[209:210]
	v_div_fixup_f64 v[207:208], v[205:206], v[201:202], v[203:204]
	v_fma_f64 v[201:202], v[203:204], v[207:208], v[201:202]
	v_div_scale_f64 v[203:204], null, v[201:202], v[201:202], 1.0
	v_rcp_f64_e32 v[205:206], v[203:204]
	v_fma_f64 v[209:210], -v[203:204], v[205:206], 1.0
	v_fma_f64 v[205:206], v[205:206], v[209:210], v[205:206]
	v_fma_f64 v[209:210], -v[203:204], v[205:206], 1.0
	v_fma_f64 v[205:206], v[205:206], v[209:210], v[205:206]
	v_div_scale_f64 v[209:210], vcc_lo, 1.0, v[201:202], 1.0
	v_mul_f64 v[211:212], v[209:210], v[205:206]
	v_fma_f64 v[203:204], -v[203:204], v[211:212], v[209:210]
	v_div_fmas_f64 v[203:204], v[203:204], v[205:206], v[211:212]
	v_div_fixup_f64 v[205:206], v[203:204], v[201:202], 1.0
	v_mul_f64 v[207:208], v[207:208], -v[205:206]
.LBB99_322:
	s_or_b32 exec_lo, exec_lo, s1
	ds_write2_b64 v255, v[205:206], v[207:208] offset1:1
.LBB99_323:
	s_or_b32 exec_lo, exec_lo, s2
	s_waitcnt lgkmcnt(0)
	s_barrier
	buffer_gl0_inv
	ds_read2_b64 v[201:204], v255 offset1:1
	s_mov_b32 s1, exec_lo
	s_waitcnt lgkmcnt(0)
	buffer_store_dword v201, off, s[16:19], 0 offset:936 ; 4-byte Folded Spill
	buffer_store_dword v202, off, s[16:19], 0 offset:940 ; 4-byte Folded Spill
	;; [unrolled: 1-line block ×4, first 2 shown]
	v_cmpx_lt_u32_e32 35, v0
	s_cbranch_execz .LBB99_325
; %bb.324:
	s_clause 0x3
	buffer_load_dword v203, off, s[16:19], 0 offset:936
	buffer_load_dword v204, off, s[16:19], 0 offset:940
	;; [unrolled: 1-line block ×4, first 2 shown]
	s_waitcnt vmcnt(2)
	v_mul_f64 v[201:202], v[203:204], v[59:60]
	s_waitcnt vmcnt(0)
	v_mul_f64 v[59:60], v[205:206], v[59:60]
	v_fma_f64 v[201:202], v[205:206], v[57:58], v[201:202]
	v_fma_f64 v[57:58], v[203:204], v[57:58], -v[59:60]
	ds_read2_b64 v[203:206], v253 offset0:72 offset1:73
	s_waitcnt lgkmcnt(0)
	v_mul_f64 v[59:60], v[205:206], v[201:202]
	v_fma_f64 v[59:60], v[203:204], v[57:58], -v[59:60]
	v_mul_f64 v[203:204], v[203:204], v[201:202]
	v_add_f64 v[53:54], v[53:54], -v[59:60]
	v_fma_f64 v[203:204], v[205:206], v[57:58], v[203:204]
	v_add_f64 v[55:56], v[55:56], -v[203:204]
	ds_read2_b64 v[203:206], v253 offset0:74 offset1:75
	s_waitcnt lgkmcnt(0)
	v_mul_f64 v[59:60], v[205:206], v[201:202]
	v_fma_f64 v[59:60], v[203:204], v[57:58], -v[59:60]
	v_mul_f64 v[203:204], v[203:204], v[201:202]
	v_add_f64 v[49:50], v[49:50], -v[59:60]
	v_fma_f64 v[203:204], v[205:206], v[57:58], v[203:204]
	v_add_f64 v[51:52], v[51:52], -v[203:204]
	;; [unrolled: 8-line block ×13, first 2 shown]
	ds_read2_b64 v[203:206], v253 offset0:98 offset1:99
	s_waitcnt lgkmcnt(0)
	v_mul_f64 v[59:60], v[205:206], v[201:202]
	v_fma_f64 v[59:60], v[203:204], v[57:58], -v[59:60]
	v_mul_f64 v[203:204], v[203:204], v[201:202]
	v_add_f64 v[1:2], v[1:2], -v[59:60]
	v_fma_f64 v[203:204], v[205:206], v[57:58], v[203:204]
	v_mov_b32_e32 v59, v201
	v_mov_b32_e32 v60, v202
	v_add_f64 v[3:4], v[3:4], -v[203:204]
.LBB99_325:
	s_or_b32 exec_lo, exec_lo, s1
	s_mov_b32 s2, exec_lo
	s_waitcnt_vscnt null, 0x0
	s_barrier
	buffer_gl0_inv
	v_cmpx_eq_u32_e32 36, v0
	s_cbranch_execz .LBB99_332
; %bb.326:
	ds_write2_b64 v255, v[53:54], v[55:56] offset1:1
	ds_write2_b64 v253, v[49:50], v[51:52] offset0:74 offset1:75
	ds_write2_b64 v253, v[45:46], v[47:48] offset0:76 offset1:77
	ds_write2_b64 v253, v[41:42], v[43:44] offset0:78 offset1:79
	ds_write2_b64 v253, v[37:38], v[39:40] offset0:80 offset1:81
	ds_write2_b64 v253, v[33:34], v[35:36] offset0:82 offset1:83
	ds_write2_b64 v253, v[29:30], v[31:32] offset0:84 offset1:85
	ds_write2_b64 v253, v[25:26], v[27:28] offset0:86 offset1:87
	ds_write2_b64 v253, v[21:22], v[23:24] offset0:88 offset1:89
	ds_write2_b64 v253, v[17:18], v[19:20] offset0:90 offset1:91
	ds_write2_b64 v253, v[13:14], v[15:16] offset0:92 offset1:93
	ds_write2_b64 v253, v[9:10], v[11:12] offset0:94 offset1:95
	ds_write2_b64 v253, v[5:6], v[7:8] offset0:96 offset1:97
	ds_write2_b64 v253, v[1:2], v[3:4] offset0:98 offset1:99
	ds_read2_b64 v[201:204], v255 offset1:1
	s_waitcnt lgkmcnt(0)
	v_cmp_neq_f64_e32 vcc_lo, 0, v[201:202]
	v_cmp_neq_f64_e64 s1, 0, v[203:204]
	s_or_b32 s1, vcc_lo, s1
	s_and_b32 exec_lo, exec_lo, s1
	s_cbranch_execz .LBB99_332
; %bb.327:
	v_cmp_ngt_f64_e64 s1, |v[201:202]|, |v[203:204]|
                                        ; implicit-def: $vgpr205_vgpr206
	s_and_saveexec_b32 s3, s1
	s_xor_b32 s1, exec_lo, s3
                                        ; implicit-def: $vgpr207_vgpr208
	s_cbranch_execz .LBB99_329
; %bb.328:
	v_div_scale_f64 v[205:206], null, v[203:204], v[203:204], v[201:202]
	v_div_scale_f64 v[211:212], vcc_lo, v[201:202], v[203:204], v[201:202]
	v_rcp_f64_e32 v[207:208], v[205:206]
	v_fma_f64 v[209:210], -v[205:206], v[207:208], 1.0
	v_fma_f64 v[207:208], v[207:208], v[209:210], v[207:208]
	v_fma_f64 v[209:210], -v[205:206], v[207:208], 1.0
	v_fma_f64 v[207:208], v[207:208], v[209:210], v[207:208]
	v_mul_f64 v[209:210], v[211:212], v[207:208]
	v_fma_f64 v[205:206], -v[205:206], v[209:210], v[211:212]
	v_div_fmas_f64 v[205:206], v[205:206], v[207:208], v[209:210]
	v_div_fixup_f64 v[205:206], v[205:206], v[203:204], v[201:202]
	v_fma_f64 v[201:202], v[201:202], v[205:206], v[203:204]
	v_div_scale_f64 v[203:204], null, v[201:202], v[201:202], 1.0
	v_rcp_f64_e32 v[207:208], v[203:204]
	v_fma_f64 v[209:210], -v[203:204], v[207:208], 1.0
	v_fma_f64 v[207:208], v[207:208], v[209:210], v[207:208]
	v_fma_f64 v[209:210], -v[203:204], v[207:208], 1.0
	v_fma_f64 v[207:208], v[207:208], v[209:210], v[207:208]
	v_div_scale_f64 v[209:210], vcc_lo, 1.0, v[201:202], 1.0
	v_mul_f64 v[211:212], v[209:210], v[207:208]
	v_fma_f64 v[203:204], -v[203:204], v[211:212], v[209:210]
	v_div_fmas_f64 v[203:204], v[203:204], v[207:208], v[211:212]
	v_div_fixup_f64 v[207:208], v[203:204], v[201:202], 1.0
                                        ; implicit-def: $vgpr201_vgpr202
	v_mul_f64 v[205:206], v[205:206], v[207:208]
	v_xor_b32_e32 v208, 0x80000000, v208
.LBB99_329:
	s_andn2_saveexec_b32 s1, s1
	s_cbranch_execz .LBB99_331
; %bb.330:
	v_div_scale_f64 v[205:206], null, v[201:202], v[201:202], v[203:204]
	v_div_scale_f64 v[211:212], vcc_lo, v[203:204], v[201:202], v[203:204]
	v_rcp_f64_e32 v[207:208], v[205:206]
	v_fma_f64 v[209:210], -v[205:206], v[207:208], 1.0
	v_fma_f64 v[207:208], v[207:208], v[209:210], v[207:208]
	v_fma_f64 v[209:210], -v[205:206], v[207:208], 1.0
	v_fma_f64 v[207:208], v[207:208], v[209:210], v[207:208]
	v_mul_f64 v[209:210], v[211:212], v[207:208]
	v_fma_f64 v[205:206], -v[205:206], v[209:210], v[211:212]
	v_div_fmas_f64 v[205:206], v[205:206], v[207:208], v[209:210]
	v_div_fixup_f64 v[207:208], v[205:206], v[201:202], v[203:204]
	v_fma_f64 v[201:202], v[203:204], v[207:208], v[201:202]
	v_div_scale_f64 v[203:204], null, v[201:202], v[201:202], 1.0
	v_rcp_f64_e32 v[205:206], v[203:204]
	v_fma_f64 v[209:210], -v[203:204], v[205:206], 1.0
	v_fma_f64 v[205:206], v[205:206], v[209:210], v[205:206]
	v_fma_f64 v[209:210], -v[203:204], v[205:206], 1.0
	v_fma_f64 v[205:206], v[205:206], v[209:210], v[205:206]
	v_div_scale_f64 v[209:210], vcc_lo, 1.0, v[201:202], 1.0
	v_mul_f64 v[211:212], v[209:210], v[205:206]
	v_fma_f64 v[203:204], -v[203:204], v[211:212], v[209:210]
	v_div_fmas_f64 v[203:204], v[203:204], v[205:206], v[211:212]
	v_div_fixup_f64 v[205:206], v[203:204], v[201:202], 1.0
	v_mul_f64 v[207:208], v[207:208], -v[205:206]
.LBB99_331:
	s_or_b32 exec_lo, exec_lo, s1
	ds_write2_b64 v255, v[205:206], v[207:208] offset1:1
.LBB99_332:
	s_or_b32 exec_lo, exec_lo, s2
	s_waitcnt lgkmcnt(0)
	s_barrier
	buffer_gl0_inv
	ds_read2_b64 v[201:204], v255 offset1:1
	s_mov_b32 s1, exec_lo
	s_waitcnt lgkmcnt(0)
	buffer_store_dword v201, off, s[16:19], 0 offset:952 ; 4-byte Folded Spill
	buffer_store_dword v202, off, s[16:19], 0 offset:956 ; 4-byte Folded Spill
	;; [unrolled: 1-line block ×4, first 2 shown]
	v_cmpx_lt_u32_e32 36, v0
	s_cbranch_execz .LBB99_334
; %bb.333:
	s_clause 0x3
	buffer_load_dword v203, off, s[16:19], 0 offset:952
	buffer_load_dword v204, off, s[16:19], 0 offset:956
	;; [unrolled: 1-line block ×4, first 2 shown]
	s_waitcnt vmcnt(2)
	v_mul_f64 v[201:202], v[203:204], v[55:56]
	s_waitcnt vmcnt(0)
	v_mul_f64 v[55:56], v[205:206], v[55:56]
	v_fma_f64 v[201:202], v[205:206], v[53:54], v[201:202]
	v_fma_f64 v[53:54], v[203:204], v[53:54], -v[55:56]
	ds_read2_b64 v[203:206], v253 offset0:74 offset1:75
	s_waitcnt lgkmcnt(0)
	v_mul_f64 v[55:56], v[205:206], v[201:202]
	v_fma_f64 v[55:56], v[203:204], v[53:54], -v[55:56]
	v_mul_f64 v[203:204], v[203:204], v[201:202]
	v_add_f64 v[49:50], v[49:50], -v[55:56]
	v_fma_f64 v[203:204], v[205:206], v[53:54], v[203:204]
	v_add_f64 v[51:52], v[51:52], -v[203:204]
	ds_read2_b64 v[203:206], v253 offset0:76 offset1:77
	s_waitcnt lgkmcnt(0)
	v_mul_f64 v[55:56], v[205:206], v[201:202]
	v_fma_f64 v[55:56], v[203:204], v[53:54], -v[55:56]
	v_mul_f64 v[203:204], v[203:204], v[201:202]
	v_add_f64 v[45:46], v[45:46], -v[55:56]
	v_fma_f64 v[203:204], v[205:206], v[53:54], v[203:204]
	v_add_f64 v[47:48], v[47:48], -v[203:204]
	;; [unrolled: 8-line block ×12, first 2 shown]
	ds_read2_b64 v[203:206], v253 offset0:98 offset1:99
	s_waitcnt lgkmcnt(0)
	v_mul_f64 v[55:56], v[205:206], v[201:202]
	v_fma_f64 v[55:56], v[203:204], v[53:54], -v[55:56]
	v_mul_f64 v[203:204], v[203:204], v[201:202]
	v_add_f64 v[1:2], v[1:2], -v[55:56]
	v_fma_f64 v[203:204], v[205:206], v[53:54], v[203:204]
	v_mov_b32_e32 v55, v201
	v_mov_b32_e32 v56, v202
	v_add_f64 v[3:4], v[3:4], -v[203:204]
.LBB99_334:
	s_or_b32 exec_lo, exec_lo, s1
	s_mov_b32 s2, exec_lo
	s_waitcnt_vscnt null, 0x0
	s_barrier
	buffer_gl0_inv
	v_cmpx_eq_u32_e32 37, v0
	s_cbranch_execz .LBB99_341
; %bb.335:
	ds_write2_b64 v255, v[49:50], v[51:52] offset1:1
	ds_write2_b64 v253, v[45:46], v[47:48] offset0:76 offset1:77
	ds_write2_b64 v253, v[41:42], v[43:44] offset0:78 offset1:79
	;; [unrolled: 1-line block ×12, first 2 shown]
	ds_read2_b64 v[201:204], v255 offset1:1
	s_waitcnt lgkmcnt(0)
	v_cmp_neq_f64_e32 vcc_lo, 0, v[201:202]
	v_cmp_neq_f64_e64 s1, 0, v[203:204]
	s_or_b32 s1, vcc_lo, s1
	s_and_b32 exec_lo, exec_lo, s1
	s_cbranch_execz .LBB99_341
; %bb.336:
	v_cmp_ngt_f64_e64 s1, |v[201:202]|, |v[203:204]|
                                        ; implicit-def: $vgpr205_vgpr206
	s_and_saveexec_b32 s3, s1
	s_xor_b32 s1, exec_lo, s3
                                        ; implicit-def: $vgpr207_vgpr208
	s_cbranch_execz .LBB99_338
; %bb.337:
	v_div_scale_f64 v[205:206], null, v[203:204], v[203:204], v[201:202]
	v_div_scale_f64 v[211:212], vcc_lo, v[201:202], v[203:204], v[201:202]
	v_rcp_f64_e32 v[207:208], v[205:206]
	v_fma_f64 v[209:210], -v[205:206], v[207:208], 1.0
	v_fma_f64 v[207:208], v[207:208], v[209:210], v[207:208]
	v_fma_f64 v[209:210], -v[205:206], v[207:208], 1.0
	v_fma_f64 v[207:208], v[207:208], v[209:210], v[207:208]
	v_mul_f64 v[209:210], v[211:212], v[207:208]
	v_fma_f64 v[205:206], -v[205:206], v[209:210], v[211:212]
	v_div_fmas_f64 v[205:206], v[205:206], v[207:208], v[209:210]
	v_div_fixup_f64 v[205:206], v[205:206], v[203:204], v[201:202]
	v_fma_f64 v[201:202], v[201:202], v[205:206], v[203:204]
	v_div_scale_f64 v[203:204], null, v[201:202], v[201:202], 1.0
	v_rcp_f64_e32 v[207:208], v[203:204]
	v_fma_f64 v[209:210], -v[203:204], v[207:208], 1.0
	v_fma_f64 v[207:208], v[207:208], v[209:210], v[207:208]
	v_fma_f64 v[209:210], -v[203:204], v[207:208], 1.0
	v_fma_f64 v[207:208], v[207:208], v[209:210], v[207:208]
	v_div_scale_f64 v[209:210], vcc_lo, 1.0, v[201:202], 1.0
	v_mul_f64 v[211:212], v[209:210], v[207:208]
	v_fma_f64 v[203:204], -v[203:204], v[211:212], v[209:210]
	v_div_fmas_f64 v[203:204], v[203:204], v[207:208], v[211:212]
	v_div_fixup_f64 v[207:208], v[203:204], v[201:202], 1.0
                                        ; implicit-def: $vgpr201_vgpr202
	v_mul_f64 v[205:206], v[205:206], v[207:208]
	v_xor_b32_e32 v208, 0x80000000, v208
.LBB99_338:
	s_andn2_saveexec_b32 s1, s1
	s_cbranch_execz .LBB99_340
; %bb.339:
	v_div_scale_f64 v[205:206], null, v[201:202], v[201:202], v[203:204]
	v_div_scale_f64 v[211:212], vcc_lo, v[203:204], v[201:202], v[203:204]
	v_rcp_f64_e32 v[207:208], v[205:206]
	v_fma_f64 v[209:210], -v[205:206], v[207:208], 1.0
	v_fma_f64 v[207:208], v[207:208], v[209:210], v[207:208]
	v_fma_f64 v[209:210], -v[205:206], v[207:208], 1.0
	v_fma_f64 v[207:208], v[207:208], v[209:210], v[207:208]
	v_mul_f64 v[209:210], v[211:212], v[207:208]
	v_fma_f64 v[205:206], -v[205:206], v[209:210], v[211:212]
	v_div_fmas_f64 v[205:206], v[205:206], v[207:208], v[209:210]
	v_div_fixup_f64 v[207:208], v[205:206], v[201:202], v[203:204]
	v_fma_f64 v[201:202], v[203:204], v[207:208], v[201:202]
	v_div_scale_f64 v[203:204], null, v[201:202], v[201:202], 1.0
	v_rcp_f64_e32 v[205:206], v[203:204]
	v_fma_f64 v[209:210], -v[203:204], v[205:206], 1.0
	v_fma_f64 v[205:206], v[205:206], v[209:210], v[205:206]
	v_fma_f64 v[209:210], -v[203:204], v[205:206], 1.0
	v_fma_f64 v[205:206], v[205:206], v[209:210], v[205:206]
	v_div_scale_f64 v[209:210], vcc_lo, 1.0, v[201:202], 1.0
	v_mul_f64 v[211:212], v[209:210], v[205:206]
	v_fma_f64 v[203:204], -v[203:204], v[211:212], v[209:210]
	v_div_fmas_f64 v[203:204], v[203:204], v[205:206], v[211:212]
	v_div_fixup_f64 v[205:206], v[203:204], v[201:202], 1.0
	v_mul_f64 v[207:208], v[207:208], -v[205:206]
.LBB99_340:
	s_or_b32 exec_lo, exec_lo, s1
	ds_write2_b64 v255, v[205:206], v[207:208] offset1:1
.LBB99_341:
	s_or_b32 exec_lo, exec_lo, s2
	s_waitcnt lgkmcnt(0)
	s_barrier
	buffer_gl0_inv
	ds_read2_b64 v[201:204], v255 offset1:1
	s_mov_b32 s1, exec_lo
	s_waitcnt lgkmcnt(0)
	buffer_store_dword v201, off, s[16:19], 0 offset:968 ; 4-byte Folded Spill
	buffer_store_dword v202, off, s[16:19], 0 offset:972 ; 4-byte Folded Spill
	;; [unrolled: 1-line block ×4, first 2 shown]
	v_cmpx_lt_u32_e32 37, v0
	s_cbranch_execz .LBB99_343
; %bb.342:
	s_clause 0x3
	buffer_load_dword v203, off, s[16:19], 0 offset:968
	buffer_load_dword v204, off, s[16:19], 0 offset:972
	;; [unrolled: 1-line block ×4, first 2 shown]
	s_waitcnt vmcnt(2)
	v_mul_f64 v[201:202], v[203:204], v[51:52]
	s_waitcnt vmcnt(0)
	v_mul_f64 v[51:52], v[205:206], v[51:52]
	v_fma_f64 v[201:202], v[205:206], v[49:50], v[201:202]
	v_fma_f64 v[49:50], v[203:204], v[49:50], -v[51:52]
	ds_read2_b64 v[203:206], v253 offset0:76 offset1:77
	s_waitcnt lgkmcnt(0)
	v_mul_f64 v[51:52], v[205:206], v[201:202]
	v_fma_f64 v[51:52], v[203:204], v[49:50], -v[51:52]
	v_mul_f64 v[203:204], v[203:204], v[201:202]
	v_add_f64 v[45:46], v[45:46], -v[51:52]
	v_fma_f64 v[203:204], v[205:206], v[49:50], v[203:204]
	v_add_f64 v[47:48], v[47:48], -v[203:204]
	ds_read2_b64 v[203:206], v253 offset0:78 offset1:79
	s_waitcnt lgkmcnt(0)
	v_mul_f64 v[51:52], v[205:206], v[201:202]
	v_fma_f64 v[51:52], v[203:204], v[49:50], -v[51:52]
	v_mul_f64 v[203:204], v[203:204], v[201:202]
	v_add_f64 v[41:42], v[41:42], -v[51:52]
	v_fma_f64 v[203:204], v[205:206], v[49:50], v[203:204]
	v_add_f64 v[43:44], v[43:44], -v[203:204]
	;; [unrolled: 8-line block ×11, first 2 shown]
	ds_read2_b64 v[203:206], v253 offset0:98 offset1:99
	s_waitcnt lgkmcnt(0)
	v_mul_f64 v[51:52], v[205:206], v[201:202]
	v_fma_f64 v[51:52], v[203:204], v[49:50], -v[51:52]
	v_mul_f64 v[203:204], v[203:204], v[201:202]
	v_add_f64 v[1:2], v[1:2], -v[51:52]
	v_fma_f64 v[203:204], v[205:206], v[49:50], v[203:204]
	v_mov_b32_e32 v51, v201
	v_mov_b32_e32 v52, v202
	v_add_f64 v[3:4], v[3:4], -v[203:204]
.LBB99_343:
	s_or_b32 exec_lo, exec_lo, s1
	s_mov_b32 s2, exec_lo
	s_waitcnt_vscnt null, 0x0
	s_barrier
	buffer_gl0_inv
	v_cmpx_eq_u32_e32 38, v0
	s_cbranch_execz .LBB99_350
; %bb.344:
	ds_write2_b64 v255, v[45:46], v[47:48] offset1:1
	ds_write2_b64 v253, v[41:42], v[43:44] offset0:78 offset1:79
	ds_write2_b64 v253, v[37:38], v[39:40] offset0:80 offset1:81
	;; [unrolled: 1-line block ×11, first 2 shown]
	ds_read2_b64 v[201:204], v255 offset1:1
	s_waitcnt lgkmcnt(0)
	v_cmp_neq_f64_e32 vcc_lo, 0, v[201:202]
	v_cmp_neq_f64_e64 s1, 0, v[203:204]
	s_or_b32 s1, vcc_lo, s1
	s_and_b32 exec_lo, exec_lo, s1
	s_cbranch_execz .LBB99_350
; %bb.345:
	v_cmp_ngt_f64_e64 s1, |v[201:202]|, |v[203:204]|
                                        ; implicit-def: $vgpr205_vgpr206
	s_and_saveexec_b32 s3, s1
	s_xor_b32 s1, exec_lo, s3
                                        ; implicit-def: $vgpr207_vgpr208
	s_cbranch_execz .LBB99_347
; %bb.346:
	v_div_scale_f64 v[205:206], null, v[203:204], v[203:204], v[201:202]
	v_div_scale_f64 v[211:212], vcc_lo, v[201:202], v[203:204], v[201:202]
	v_rcp_f64_e32 v[207:208], v[205:206]
	v_fma_f64 v[209:210], -v[205:206], v[207:208], 1.0
	v_fma_f64 v[207:208], v[207:208], v[209:210], v[207:208]
	v_fma_f64 v[209:210], -v[205:206], v[207:208], 1.0
	v_fma_f64 v[207:208], v[207:208], v[209:210], v[207:208]
	v_mul_f64 v[209:210], v[211:212], v[207:208]
	v_fma_f64 v[205:206], -v[205:206], v[209:210], v[211:212]
	v_div_fmas_f64 v[205:206], v[205:206], v[207:208], v[209:210]
	v_div_fixup_f64 v[205:206], v[205:206], v[203:204], v[201:202]
	v_fma_f64 v[201:202], v[201:202], v[205:206], v[203:204]
	v_div_scale_f64 v[203:204], null, v[201:202], v[201:202], 1.0
	v_rcp_f64_e32 v[207:208], v[203:204]
	v_fma_f64 v[209:210], -v[203:204], v[207:208], 1.0
	v_fma_f64 v[207:208], v[207:208], v[209:210], v[207:208]
	v_fma_f64 v[209:210], -v[203:204], v[207:208], 1.0
	v_fma_f64 v[207:208], v[207:208], v[209:210], v[207:208]
	v_div_scale_f64 v[209:210], vcc_lo, 1.0, v[201:202], 1.0
	v_mul_f64 v[211:212], v[209:210], v[207:208]
	v_fma_f64 v[203:204], -v[203:204], v[211:212], v[209:210]
	v_div_fmas_f64 v[203:204], v[203:204], v[207:208], v[211:212]
	v_div_fixup_f64 v[207:208], v[203:204], v[201:202], 1.0
                                        ; implicit-def: $vgpr201_vgpr202
	v_mul_f64 v[205:206], v[205:206], v[207:208]
	v_xor_b32_e32 v208, 0x80000000, v208
.LBB99_347:
	s_andn2_saveexec_b32 s1, s1
	s_cbranch_execz .LBB99_349
; %bb.348:
	v_div_scale_f64 v[205:206], null, v[201:202], v[201:202], v[203:204]
	v_div_scale_f64 v[211:212], vcc_lo, v[203:204], v[201:202], v[203:204]
	v_rcp_f64_e32 v[207:208], v[205:206]
	v_fma_f64 v[209:210], -v[205:206], v[207:208], 1.0
	v_fma_f64 v[207:208], v[207:208], v[209:210], v[207:208]
	v_fma_f64 v[209:210], -v[205:206], v[207:208], 1.0
	v_fma_f64 v[207:208], v[207:208], v[209:210], v[207:208]
	v_mul_f64 v[209:210], v[211:212], v[207:208]
	v_fma_f64 v[205:206], -v[205:206], v[209:210], v[211:212]
	v_div_fmas_f64 v[205:206], v[205:206], v[207:208], v[209:210]
	v_div_fixup_f64 v[207:208], v[205:206], v[201:202], v[203:204]
	v_fma_f64 v[201:202], v[203:204], v[207:208], v[201:202]
	v_div_scale_f64 v[203:204], null, v[201:202], v[201:202], 1.0
	v_rcp_f64_e32 v[205:206], v[203:204]
	v_fma_f64 v[209:210], -v[203:204], v[205:206], 1.0
	v_fma_f64 v[205:206], v[205:206], v[209:210], v[205:206]
	v_fma_f64 v[209:210], -v[203:204], v[205:206], 1.0
	v_fma_f64 v[205:206], v[205:206], v[209:210], v[205:206]
	v_div_scale_f64 v[209:210], vcc_lo, 1.0, v[201:202], 1.0
	v_mul_f64 v[211:212], v[209:210], v[205:206]
	v_fma_f64 v[203:204], -v[203:204], v[211:212], v[209:210]
	v_div_fmas_f64 v[203:204], v[203:204], v[205:206], v[211:212]
	v_div_fixup_f64 v[205:206], v[203:204], v[201:202], 1.0
	v_mul_f64 v[207:208], v[207:208], -v[205:206]
.LBB99_349:
	s_or_b32 exec_lo, exec_lo, s1
	ds_write2_b64 v255, v[205:206], v[207:208] offset1:1
.LBB99_350:
	s_or_b32 exec_lo, exec_lo, s2
	s_waitcnt lgkmcnt(0)
	s_barrier
	buffer_gl0_inv
	ds_read2_b64 v[201:204], v255 offset1:1
	s_mov_b32 s1, exec_lo
	s_waitcnt lgkmcnt(0)
	buffer_store_dword v201, off, s[16:19], 0 offset:984 ; 4-byte Folded Spill
	buffer_store_dword v202, off, s[16:19], 0 offset:988 ; 4-byte Folded Spill
	;; [unrolled: 1-line block ×4, first 2 shown]
	v_cmpx_lt_u32_e32 38, v0
	s_cbranch_execz .LBB99_352
; %bb.351:
	s_clause 0x3
	buffer_load_dword v203, off, s[16:19], 0 offset:984
	buffer_load_dword v204, off, s[16:19], 0 offset:988
	;; [unrolled: 1-line block ×4, first 2 shown]
	s_waitcnt vmcnt(2)
	v_mul_f64 v[201:202], v[203:204], v[47:48]
	s_waitcnt vmcnt(0)
	v_mul_f64 v[47:48], v[205:206], v[47:48]
	v_fma_f64 v[201:202], v[205:206], v[45:46], v[201:202]
	v_fma_f64 v[45:46], v[203:204], v[45:46], -v[47:48]
	ds_read2_b64 v[203:206], v253 offset0:78 offset1:79
	s_waitcnt lgkmcnt(0)
	v_mul_f64 v[47:48], v[205:206], v[201:202]
	v_fma_f64 v[47:48], v[203:204], v[45:46], -v[47:48]
	v_mul_f64 v[203:204], v[203:204], v[201:202]
	v_add_f64 v[41:42], v[41:42], -v[47:48]
	v_fma_f64 v[203:204], v[205:206], v[45:46], v[203:204]
	v_add_f64 v[43:44], v[43:44], -v[203:204]
	ds_read2_b64 v[203:206], v253 offset0:80 offset1:81
	s_waitcnt lgkmcnt(0)
	v_mul_f64 v[47:48], v[205:206], v[201:202]
	v_fma_f64 v[47:48], v[203:204], v[45:46], -v[47:48]
	v_mul_f64 v[203:204], v[203:204], v[201:202]
	v_add_f64 v[37:38], v[37:38], -v[47:48]
	v_fma_f64 v[203:204], v[205:206], v[45:46], v[203:204]
	v_add_f64 v[39:40], v[39:40], -v[203:204]
	;; [unrolled: 8-line block ×10, first 2 shown]
	ds_read2_b64 v[203:206], v253 offset0:98 offset1:99
	s_waitcnt lgkmcnt(0)
	v_mul_f64 v[47:48], v[205:206], v[201:202]
	v_fma_f64 v[47:48], v[203:204], v[45:46], -v[47:48]
	v_mul_f64 v[203:204], v[203:204], v[201:202]
	v_add_f64 v[1:2], v[1:2], -v[47:48]
	v_fma_f64 v[203:204], v[205:206], v[45:46], v[203:204]
	v_mov_b32_e32 v47, v201
	v_mov_b32_e32 v48, v202
	v_add_f64 v[3:4], v[3:4], -v[203:204]
.LBB99_352:
	s_or_b32 exec_lo, exec_lo, s1
	s_mov_b32 s2, exec_lo
	s_waitcnt_vscnt null, 0x0
	s_barrier
	buffer_gl0_inv
	v_cmpx_eq_u32_e32 39, v0
	s_cbranch_execz .LBB99_359
; %bb.353:
	ds_write2_b64 v255, v[41:42], v[43:44] offset1:1
	ds_write2_b64 v253, v[37:38], v[39:40] offset0:80 offset1:81
	ds_write2_b64 v253, v[33:34], v[35:36] offset0:82 offset1:83
	;; [unrolled: 1-line block ×10, first 2 shown]
	ds_read2_b64 v[201:204], v255 offset1:1
	s_waitcnt lgkmcnt(0)
	v_cmp_neq_f64_e32 vcc_lo, 0, v[201:202]
	v_cmp_neq_f64_e64 s1, 0, v[203:204]
	s_or_b32 s1, vcc_lo, s1
	s_and_b32 exec_lo, exec_lo, s1
	s_cbranch_execz .LBB99_359
; %bb.354:
	v_cmp_ngt_f64_e64 s1, |v[201:202]|, |v[203:204]|
                                        ; implicit-def: $vgpr205_vgpr206
	s_and_saveexec_b32 s3, s1
	s_xor_b32 s1, exec_lo, s3
                                        ; implicit-def: $vgpr207_vgpr208
	s_cbranch_execz .LBB99_356
; %bb.355:
	v_div_scale_f64 v[205:206], null, v[203:204], v[203:204], v[201:202]
	v_div_scale_f64 v[211:212], vcc_lo, v[201:202], v[203:204], v[201:202]
	v_rcp_f64_e32 v[207:208], v[205:206]
	v_fma_f64 v[209:210], -v[205:206], v[207:208], 1.0
	v_fma_f64 v[207:208], v[207:208], v[209:210], v[207:208]
	v_fma_f64 v[209:210], -v[205:206], v[207:208], 1.0
	v_fma_f64 v[207:208], v[207:208], v[209:210], v[207:208]
	v_mul_f64 v[209:210], v[211:212], v[207:208]
	v_fma_f64 v[205:206], -v[205:206], v[209:210], v[211:212]
	v_div_fmas_f64 v[205:206], v[205:206], v[207:208], v[209:210]
	v_div_fixup_f64 v[205:206], v[205:206], v[203:204], v[201:202]
	v_fma_f64 v[201:202], v[201:202], v[205:206], v[203:204]
	v_div_scale_f64 v[203:204], null, v[201:202], v[201:202], 1.0
	v_rcp_f64_e32 v[207:208], v[203:204]
	v_fma_f64 v[209:210], -v[203:204], v[207:208], 1.0
	v_fma_f64 v[207:208], v[207:208], v[209:210], v[207:208]
	v_fma_f64 v[209:210], -v[203:204], v[207:208], 1.0
	v_fma_f64 v[207:208], v[207:208], v[209:210], v[207:208]
	v_div_scale_f64 v[209:210], vcc_lo, 1.0, v[201:202], 1.0
	v_mul_f64 v[211:212], v[209:210], v[207:208]
	v_fma_f64 v[203:204], -v[203:204], v[211:212], v[209:210]
	v_div_fmas_f64 v[203:204], v[203:204], v[207:208], v[211:212]
	v_div_fixup_f64 v[207:208], v[203:204], v[201:202], 1.0
                                        ; implicit-def: $vgpr201_vgpr202
	v_mul_f64 v[205:206], v[205:206], v[207:208]
	v_xor_b32_e32 v208, 0x80000000, v208
.LBB99_356:
	s_andn2_saveexec_b32 s1, s1
	s_cbranch_execz .LBB99_358
; %bb.357:
	v_div_scale_f64 v[205:206], null, v[201:202], v[201:202], v[203:204]
	v_div_scale_f64 v[211:212], vcc_lo, v[203:204], v[201:202], v[203:204]
	v_rcp_f64_e32 v[207:208], v[205:206]
	v_fma_f64 v[209:210], -v[205:206], v[207:208], 1.0
	v_fma_f64 v[207:208], v[207:208], v[209:210], v[207:208]
	v_fma_f64 v[209:210], -v[205:206], v[207:208], 1.0
	v_fma_f64 v[207:208], v[207:208], v[209:210], v[207:208]
	v_mul_f64 v[209:210], v[211:212], v[207:208]
	v_fma_f64 v[205:206], -v[205:206], v[209:210], v[211:212]
	v_div_fmas_f64 v[205:206], v[205:206], v[207:208], v[209:210]
	v_div_fixup_f64 v[207:208], v[205:206], v[201:202], v[203:204]
	v_fma_f64 v[201:202], v[203:204], v[207:208], v[201:202]
	v_div_scale_f64 v[203:204], null, v[201:202], v[201:202], 1.0
	v_rcp_f64_e32 v[205:206], v[203:204]
	v_fma_f64 v[209:210], -v[203:204], v[205:206], 1.0
	v_fma_f64 v[205:206], v[205:206], v[209:210], v[205:206]
	v_fma_f64 v[209:210], -v[203:204], v[205:206], 1.0
	v_fma_f64 v[205:206], v[205:206], v[209:210], v[205:206]
	v_div_scale_f64 v[209:210], vcc_lo, 1.0, v[201:202], 1.0
	v_mul_f64 v[211:212], v[209:210], v[205:206]
	v_fma_f64 v[203:204], -v[203:204], v[211:212], v[209:210]
	v_div_fmas_f64 v[203:204], v[203:204], v[205:206], v[211:212]
	v_div_fixup_f64 v[205:206], v[203:204], v[201:202], 1.0
	v_mul_f64 v[207:208], v[207:208], -v[205:206]
.LBB99_358:
	s_or_b32 exec_lo, exec_lo, s1
	ds_write2_b64 v255, v[205:206], v[207:208] offset1:1
.LBB99_359:
	s_or_b32 exec_lo, exec_lo, s2
	s_waitcnt lgkmcnt(0)
	s_barrier
	buffer_gl0_inv
	ds_read2_b64 v[201:204], v255 offset1:1
	s_mov_b32 s1, exec_lo
	s_waitcnt lgkmcnt(0)
	buffer_store_dword v201, off, s[16:19], 0 offset:1000 ; 4-byte Folded Spill
	buffer_store_dword v202, off, s[16:19], 0 offset:1004 ; 4-byte Folded Spill
	;; [unrolled: 1-line block ×4, first 2 shown]
	v_cmpx_lt_u32_e32 39, v0
	s_cbranch_execz .LBB99_361
; %bb.360:
	s_clause 0x3
	buffer_load_dword v201, off, s[16:19], 0 offset:1000
	buffer_load_dword v202, off, s[16:19], 0 offset:1004
	;; [unrolled: 1-line block ×4, first 2 shown]
	s_waitcnt vmcnt(2)
	v_mul_f64 v[205:206], v[201:202], v[43:44]
	s_waitcnt vmcnt(0)
	v_mul_f64 v[43:44], v[203:204], v[43:44]
	v_fma_f64 v[209:210], v[203:204], v[41:42], v[205:206]
	ds_read2_b64 v[205:208], v253 offset0:80 offset1:81
	v_fma_f64 v[41:42], v[201:202], v[41:42], -v[43:44]
	s_waitcnt lgkmcnt(0)
	v_mul_f64 v[43:44], v[207:208], v[209:210]
	v_fma_f64 v[43:44], v[205:206], v[41:42], -v[43:44]
	v_mul_f64 v[205:206], v[205:206], v[209:210]
	v_add_f64 v[37:38], v[37:38], -v[43:44]
	v_fma_f64 v[205:206], v[207:208], v[41:42], v[205:206]
	v_add_f64 v[39:40], v[39:40], -v[205:206]
	ds_read2_b64 v[205:208], v253 offset0:82 offset1:83
	s_waitcnt lgkmcnt(0)
	v_mul_f64 v[43:44], v[207:208], v[209:210]
	v_fma_f64 v[43:44], v[205:206], v[41:42], -v[43:44]
	v_mul_f64 v[205:206], v[205:206], v[209:210]
	v_add_f64 v[33:34], v[33:34], -v[43:44]
	v_fma_f64 v[205:206], v[207:208], v[41:42], v[205:206]
	v_add_f64 v[35:36], v[35:36], -v[205:206]
	ds_read2_b64 v[205:208], v253 offset0:84 offset1:85
	s_waitcnt lgkmcnt(0)
	v_mul_f64 v[43:44], v[207:208], v[209:210]
	v_fma_f64 v[43:44], v[205:206], v[41:42], -v[43:44]
	v_mul_f64 v[205:206], v[205:206], v[209:210]
	v_add_f64 v[29:30], v[29:30], -v[43:44]
	v_fma_f64 v[205:206], v[207:208], v[41:42], v[205:206]
	v_add_f64 v[31:32], v[31:32], -v[205:206]
	ds_read2_b64 v[205:208], v253 offset0:86 offset1:87
	s_waitcnt lgkmcnt(0)
	v_mul_f64 v[43:44], v[207:208], v[209:210]
	v_fma_f64 v[43:44], v[205:206], v[41:42], -v[43:44]
	v_mul_f64 v[205:206], v[205:206], v[209:210]
	v_add_f64 v[25:26], v[25:26], -v[43:44]
	v_fma_f64 v[205:206], v[207:208], v[41:42], v[205:206]
	v_add_f64 v[27:28], v[27:28], -v[205:206]
	ds_read2_b64 v[205:208], v253 offset0:88 offset1:89
	s_waitcnt lgkmcnt(0)
	v_mul_f64 v[43:44], v[207:208], v[209:210]
	v_fma_f64 v[43:44], v[205:206], v[41:42], -v[43:44]
	v_mul_f64 v[205:206], v[205:206], v[209:210]
	v_add_f64 v[21:22], v[21:22], -v[43:44]
	v_fma_f64 v[205:206], v[207:208], v[41:42], v[205:206]
	v_add_f64 v[23:24], v[23:24], -v[205:206]
	ds_read2_b64 v[205:208], v253 offset0:90 offset1:91
	s_waitcnt lgkmcnt(0)
	v_mul_f64 v[43:44], v[207:208], v[209:210]
	v_fma_f64 v[43:44], v[205:206], v[41:42], -v[43:44]
	v_mul_f64 v[205:206], v[205:206], v[209:210]
	v_add_f64 v[17:18], v[17:18], -v[43:44]
	v_fma_f64 v[205:206], v[207:208], v[41:42], v[205:206]
	v_add_f64 v[19:20], v[19:20], -v[205:206]
	ds_read2_b64 v[205:208], v253 offset0:92 offset1:93
	s_waitcnt lgkmcnt(0)
	v_mul_f64 v[43:44], v[207:208], v[209:210]
	v_fma_f64 v[43:44], v[205:206], v[41:42], -v[43:44]
	v_mul_f64 v[205:206], v[205:206], v[209:210]
	v_add_f64 v[13:14], v[13:14], -v[43:44]
	v_fma_f64 v[205:206], v[207:208], v[41:42], v[205:206]
	v_add_f64 v[15:16], v[15:16], -v[205:206]
	ds_read2_b64 v[205:208], v253 offset0:94 offset1:95
	s_waitcnt lgkmcnt(0)
	v_mul_f64 v[43:44], v[207:208], v[209:210]
	v_fma_f64 v[43:44], v[205:206], v[41:42], -v[43:44]
	v_mul_f64 v[205:206], v[205:206], v[209:210]
	v_add_f64 v[9:10], v[9:10], -v[43:44]
	v_fma_f64 v[205:206], v[207:208], v[41:42], v[205:206]
	v_add_f64 v[11:12], v[11:12], -v[205:206]
	ds_read2_b64 v[205:208], v253 offset0:96 offset1:97
	s_waitcnt lgkmcnt(0)
	v_mul_f64 v[43:44], v[207:208], v[209:210]
	v_fma_f64 v[43:44], v[205:206], v[41:42], -v[43:44]
	v_mul_f64 v[205:206], v[205:206], v[209:210]
	v_add_f64 v[5:6], v[5:6], -v[43:44]
	v_fma_f64 v[205:206], v[207:208], v[41:42], v[205:206]
	v_add_f64 v[7:8], v[7:8], -v[205:206]
	ds_read2_b64 v[205:208], v253 offset0:98 offset1:99
	s_waitcnt lgkmcnt(0)
	v_mul_f64 v[43:44], v[207:208], v[209:210]
	v_fma_f64 v[43:44], v[205:206], v[41:42], -v[43:44]
	v_mul_f64 v[205:206], v[205:206], v[209:210]
	v_add_f64 v[1:2], v[1:2], -v[43:44]
	v_fma_f64 v[205:206], v[207:208], v[41:42], v[205:206]
	v_mov_b32_e32 v43, v209
	v_mov_b32_e32 v44, v210
	v_add_f64 v[3:4], v[3:4], -v[205:206]
.LBB99_361:
	s_or_b32 exec_lo, exec_lo, s1
	s_mov_b32 s2, exec_lo
	s_waitcnt_vscnt null, 0x0
	s_barrier
	buffer_gl0_inv
	v_cmpx_eq_u32_e32 40, v0
	s_cbranch_execz .LBB99_368
; %bb.362:
	ds_write2_b64 v255, v[37:38], v[39:40] offset1:1
	ds_write2_b64 v253, v[33:34], v[35:36] offset0:82 offset1:83
	ds_write2_b64 v253, v[29:30], v[31:32] offset0:84 offset1:85
	;; [unrolled: 1-line block ×9, first 2 shown]
	ds_read2_b64 v[205:208], v255 offset1:1
	s_waitcnt lgkmcnt(0)
	v_cmp_neq_f64_e32 vcc_lo, 0, v[205:206]
	v_cmp_neq_f64_e64 s1, 0, v[207:208]
	s_or_b32 s1, vcc_lo, s1
	s_and_b32 exec_lo, exec_lo, s1
	s_cbranch_execz .LBB99_368
; %bb.363:
	v_cmp_ngt_f64_e64 s1, |v[205:206]|, |v[207:208]|
                                        ; implicit-def: $vgpr209_vgpr210
	s_and_saveexec_b32 s3, s1
	s_xor_b32 s1, exec_lo, s3
                                        ; implicit-def: $vgpr211_vgpr212
	s_cbranch_execz .LBB99_365
; %bb.364:
	v_div_scale_f64 v[209:210], null, v[207:208], v[207:208], v[205:206]
	v_div_scale_f64 v[215:216], vcc_lo, v[205:206], v[207:208], v[205:206]
	v_rcp_f64_e32 v[211:212], v[209:210]
	v_fma_f64 v[213:214], -v[209:210], v[211:212], 1.0
	v_fma_f64 v[211:212], v[211:212], v[213:214], v[211:212]
	v_fma_f64 v[213:214], -v[209:210], v[211:212], 1.0
	v_fma_f64 v[211:212], v[211:212], v[213:214], v[211:212]
	v_mul_f64 v[213:214], v[215:216], v[211:212]
	v_fma_f64 v[209:210], -v[209:210], v[213:214], v[215:216]
	v_div_fmas_f64 v[209:210], v[209:210], v[211:212], v[213:214]
	v_div_fixup_f64 v[209:210], v[209:210], v[207:208], v[205:206]
	v_fma_f64 v[205:206], v[205:206], v[209:210], v[207:208]
	v_div_scale_f64 v[207:208], null, v[205:206], v[205:206], 1.0
	v_rcp_f64_e32 v[211:212], v[207:208]
	v_fma_f64 v[213:214], -v[207:208], v[211:212], 1.0
	v_fma_f64 v[211:212], v[211:212], v[213:214], v[211:212]
	v_fma_f64 v[213:214], -v[207:208], v[211:212], 1.0
	v_fma_f64 v[211:212], v[211:212], v[213:214], v[211:212]
	v_div_scale_f64 v[213:214], vcc_lo, 1.0, v[205:206], 1.0
	v_mul_f64 v[215:216], v[213:214], v[211:212]
	v_fma_f64 v[207:208], -v[207:208], v[215:216], v[213:214]
	v_div_fmas_f64 v[207:208], v[207:208], v[211:212], v[215:216]
	v_div_fixup_f64 v[211:212], v[207:208], v[205:206], 1.0
                                        ; implicit-def: $vgpr205_vgpr206
	v_mul_f64 v[209:210], v[209:210], v[211:212]
	v_xor_b32_e32 v212, 0x80000000, v212
.LBB99_365:
	s_andn2_saveexec_b32 s1, s1
	s_cbranch_execz .LBB99_367
; %bb.366:
	v_div_scale_f64 v[209:210], null, v[205:206], v[205:206], v[207:208]
	v_div_scale_f64 v[215:216], vcc_lo, v[207:208], v[205:206], v[207:208]
	v_rcp_f64_e32 v[211:212], v[209:210]
	v_fma_f64 v[213:214], -v[209:210], v[211:212], 1.0
	v_fma_f64 v[211:212], v[211:212], v[213:214], v[211:212]
	v_fma_f64 v[213:214], -v[209:210], v[211:212], 1.0
	v_fma_f64 v[211:212], v[211:212], v[213:214], v[211:212]
	v_mul_f64 v[213:214], v[215:216], v[211:212]
	v_fma_f64 v[209:210], -v[209:210], v[213:214], v[215:216]
	v_div_fmas_f64 v[209:210], v[209:210], v[211:212], v[213:214]
	v_div_fixup_f64 v[211:212], v[209:210], v[205:206], v[207:208]
	v_fma_f64 v[205:206], v[207:208], v[211:212], v[205:206]
	v_div_scale_f64 v[207:208], null, v[205:206], v[205:206], 1.0
	v_rcp_f64_e32 v[209:210], v[207:208]
	v_fma_f64 v[213:214], -v[207:208], v[209:210], 1.0
	v_fma_f64 v[209:210], v[209:210], v[213:214], v[209:210]
	v_fma_f64 v[213:214], -v[207:208], v[209:210], 1.0
	v_fma_f64 v[209:210], v[209:210], v[213:214], v[209:210]
	v_div_scale_f64 v[213:214], vcc_lo, 1.0, v[205:206], 1.0
	v_mul_f64 v[215:216], v[213:214], v[209:210]
	v_fma_f64 v[207:208], -v[207:208], v[215:216], v[213:214]
	v_div_fmas_f64 v[207:208], v[207:208], v[209:210], v[215:216]
	v_div_fixup_f64 v[209:210], v[207:208], v[205:206], 1.0
	v_mul_f64 v[211:212], v[211:212], -v[209:210]
.LBB99_367:
	s_or_b32 exec_lo, exec_lo, s1
	ds_write2_b64 v255, v[209:210], v[211:212] offset1:1
.LBB99_368:
	s_or_b32 exec_lo, exec_lo, s2
	s_waitcnt lgkmcnt(0)
	s_barrier
	buffer_gl0_inv
	ds_read2_b64 v[205:208], v255 offset1:1
	s_mov_b32 s1, exec_lo
	v_cmpx_lt_u32_e32 40, v0
	s_cbranch_execz .LBB99_370
; %bb.369:
	s_waitcnt lgkmcnt(0)
	v_mul_f64 v[209:210], v[205:206], v[39:40]
	v_mul_f64 v[39:40], v[207:208], v[39:40]
	v_fma_f64 v[213:214], v[207:208], v[37:38], v[209:210]
	ds_read2_b64 v[209:212], v253 offset0:82 offset1:83
	v_fma_f64 v[37:38], v[205:206], v[37:38], -v[39:40]
	s_waitcnt lgkmcnt(0)
	v_mul_f64 v[39:40], v[211:212], v[213:214]
	v_fma_f64 v[39:40], v[209:210], v[37:38], -v[39:40]
	v_mul_f64 v[209:210], v[209:210], v[213:214]
	v_add_f64 v[33:34], v[33:34], -v[39:40]
	v_fma_f64 v[209:210], v[211:212], v[37:38], v[209:210]
	v_add_f64 v[35:36], v[35:36], -v[209:210]
	ds_read2_b64 v[209:212], v253 offset0:84 offset1:85
	s_waitcnt lgkmcnt(0)
	v_mul_f64 v[39:40], v[211:212], v[213:214]
	v_fma_f64 v[39:40], v[209:210], v[37:38], -v[39:40]
	v_mul_f64 v[209:210], v[209:210], v[213:214]
	v_add_f64 v[29:30], v[29:30], -v[39:40]
	v_fma_f64 v[209:210], v[211:212], v[37:38], v[209:210]
	v_add_f64 v[31:32], v[31:32], -v[209:210]
	ds_read2_b64 v[209:212], v253 offset0:86 offset1:87
	;; [unrolled: 8-line block ×8, first 2 shown]
	s_waitcnt lgkmcnt(0)
	v_mul_f64 v[39:40], v[211:212], v[213:214]
	v_fma_f64 v[39:40], v[209:210], v[37:38], -v[39:40]
	v_mul_f64 v[209:210], v[209:210], v[213:214]
	v_add_f64 v[1:2], v[1:2], -v[39:40]
	v_fma_f64 v[209:210], v[211:212], v[37:38], v[209:210]
	v_mov_b32_e32 v39, v213
	v_mov_b32_e32 v40, v214
	v_add_f64 v[3:4], v[3:4], -v[209:210]
.LBB99_370:
	s_or_b32 exec_lo, exec_lo, s1
	s_mov_b32 s2, exec_lo
	s_waitcnt lgkmcnt(0)
	s_barrier
	buffer_gl0_inv
	v_cmpx_eq_u32_e32 41, v0
	s_cbranch_execz .LBB99_377
; %bb.371:
	ds_write2_b64 v255, v[33:34], v[35:36] offset1:1
	ds_write2_b64 v253, v[29:30], v[31:32] offset0:84 offset1:85
	ds_write2_b64 v253, v[25:26], v[27:28] offset0:86 offset1:87
	;; [unrolled: 1-line block ×8, first 2 shown]
	ds_read2_b64 v[209:212], v255 offset1:1
	s_waitcnt lgkmcnt(0)
	v_cmp_neq_f64_e32 vcc_lo, 0, v[209:210]
	v_cmp_neq_f64_e64 s1, 0, v[211:212]
	s_or_b32 s1, vcc_lo, s1
	s_and_b32 exec_lo, exec_lo, s1
	s_cbranch_execz .LBB99_377
; %bb.372:
	v_cmp_ngt_f64_e64 s1, |v[209:210]|, |v[211:212]|
                                        ; implicit-def: $vgpr213_vgpr214
	s_and_saveexec_b32 s3, s1
	s_xor_b32 s1, exec_lo, s3
                                        ; implicit-def: $vgpr215_vgpr216
	s_cbranch_execz .LBB99_374
; %bb.373:
	v_div_scale_f64 v[213:214], null, v[211:212], v[211:212], v[209:210]
	v_div_scale_f64 v[219:220], vcc_lo, v[209:210], v[211:212], v[209:210]
	v_rcp_f64_e32 v[215:216], v[213:214]
	v_fma_f64 v[217:218], -v[213:214], v[215:216], 1.0
	v_fma_f64 v[215:216], v[215:216], v[217:218], v[215:216]
	v_fma_f64 v[217:218], -v[213:214], v[215:216], 1.0
	v_fma_f64 v[215:216], v[215:216], v[217:218], v[215:216]
	v_mul_f64 v[217:218], v[219:220], v[215:216]
	v_fma_f64 v[213:214], -v[213:214], v[217:218], v[219:220]
	v_div_fmas_f64 v[213:214], v[213:214], v[215:216], v[217:218]
	v_div_fixup_f64 v[213:214], v[213:214], v[211:212], v[209:210]
	v_fma_f64 v[209:210], v[209:210], v[213:214], v[211:212]
	v_div_scale_f64 v[211:212], null, v[209:210], v[209:210], 1.0
	v_rcp_f64_e32 v[215:216], v[211:212]
	v_fma_f64 v[217:218], -v[211:212], v[215:216], 1.0
	v_fma_f64 v[215:216], v[215:216], v[217:218], v[215:216]
	v_fma_f64 v[217:218], -v[211:212], v[215:216], 1.0
	v_fma_f64 v[215:216], v[215:216], v[217:218], v[215:216]
	v_div_scale_f64 v[217:218], vcc_lo, 1.0, v[209:210], 1.0
	v_mul_f64 v[219:220], v[217:218], v[215:216]
	v_fma_f64 v[211:212], -v[211:212], v[219:220], v[217:218]
	v_div_fmas_f64 v[211:212], v[211:212], v[215:216], v[219:220]
	v_div_fixup_f64 v[215:216], v[211:212], v[209:210], 1.0
                                        ; implicit-def: $vgpr209_vgpr210
	v_mul_f64 v[213:214], v[213:214], v[215:216]
	v_xor_b32_e32 v216, 0x80000000, v216
.LBB99_374:
	s_andn2_saveexec_b32 s1, s1
	s_cbranch_execz .LBB99_376
; %bb.375:
	v_div_scale_f64 v[213:214], null, v[209:210], v[209:210], v[211:212]
	v_div_scale_f64 v[219:220], vcc_lo, v[211:212], v[209:210], v[211:212]
	v_rcp_f64_e32 v[215:216], v[213:214]
	v_fma_f64 v[217:218], -v[213:214], v[215:216], 1.0
	v_fma_f64 v[215:216], v[215:216], v[217:218], v[215:216]
	v_fma_f64 v[217:218], -v[213:214], v[215:216], 1.0
	v_fma_f64 v[215:216], v[215:216], v[217:218], v[215:216]
	v_mul_f64 v[217:218], v[219:220], v[215:216]
	v_fma_f64 v[213:214], -v[213:214], v[217:218], v[219:220]
	v_div_fmas_f64 v[213:214], v[213:214], v[215:216], v[217:218]
	v_div_fixup_f64 v[215:216], v[213:214], v[209:210], v[211:212]
	v_fma_f64 v[209:210], v[211:212], v[215:216], v[209:210]
	v_div_scale_f64 v[211:212], null, v[209:210], v[209:210], 1.0
	v_rcp_f64_e32 v[213:214], v[211:212]
	v_fma_f64 v[217:218], -v[211:212], v[213:214], 1.0
	v_fma_f64 v[213:214], v[213:214], v[217:218], v[213:214]
	v_fma_f64 v[217:218], -v[211:212], v[213:214], 1.0
	v_fma_f64 v[213:214], v[213:214], v[217:218], v[213:214]
	v_div_scale_f64 v[217:218], vcc_lo, 1.0, v[209:210], 1.0
	v_mul_f64 v[219:220], v[217:218], v[213:214]
	v_fma_f64 v[211:212], -v[211:212], v[219:220], v[217:218]
	v_div_fmas_f64 v[211:212], v[211:212], v[213:214], v[219:220]
	v_div_fixup_f64 v[213:214], v[211:212], v[209:210], 1.0
	v_mul_f64 v[215:216], v[215:216], -v[213:214]
.LBB99_376:
	s_or_b32 exec_lo, exec_lo, s1
	ds_write2_b64 v255, v[213:214], v[215:216] offset1:1
.LBB99_377:
	s_or_b32 exec_lo, exec_lo, s2
	s_waitcnt lgkmcnt(0)
	s_barrier
	buffer_gl0_inv
	ds_read2_b64 v[209:212], v255 offset1:1
	s_mov_b32 s1, exec_lo
	v_cmpx_lt_u32_e32 41, v0
	s_cbranch_execz .LBB99_379
; %bb.378:
	s_waitcnt lgkmcnt(0)
	v_mul_f64 v[213:214], v[209:210], v[35:36]
	v_mul_f64 v[35:36], v[211:212], v[35:36]
	v_fma_f64 v[217:218], v[211:212], v[33:34], v[213:214]
	ds_read2_b64 v[213:216], v253 offset0:84 offset1:85
	v_fma_f64 v[33:34], v[209:210], v[33:34], -v[35:36]
	s_waitcnt lgkmcnt(0)
	v_mul_f64 v[35:36], v[215:216], v[217:218]
	v_fma_f64 v[35:36], v[213:214], v[33:34], -v[35:36]
	v_mul_f64 v[213:214], v[213:214], v[217:218]
	v_add_f64 v[29:30], v[29:30], -v[35:36]
	v_fma_f64 v[213:214], v[215:216], v[33:34], v[213:214]
	v_add_f64 v[31:32], v[31:32], -v[213:214]
	ds_read2_b64 v[213:216], v253 offset0:86 offset1:87
	s_waitcnt lgkmcnt(0)
	v_mul_f64 v[35:36], v[215:216], v[217:218]
	v_fma_f64 v[35:36], v[213:214], v[33:34], -v[35:36]
	v_mul_f64 v[213:214], v[213:214], v[217:218]
	v_add_f64 v[25:26], v[25:26], -v[35:36]
	v_fma_f64 v[213:214], v[215:216], v[33:34], v[213:214]
	v_add_f64 v[27:28], v[27:28], -v[213:214]
	ds_read2_b64 v[213:216], v253 offset0:88 offset1:89
	;; [unrolled: 8-line block ×7, first 2 shown]
	s_waitcnt lgkmcnt(0)
	v_mul_f64 v[35:36], v[215:216], v[217:218]
	v_fma_f64 v[35:36], v[213:214], v[33:34], -v[35:36]
	v_mul_f64 v[213:214], v[213:214], v[217:218]
	v_add_f64 v[1:2], v[1:2], -v[35:36]
	v_fma_f64 v[213:214], v[215:216], v[33:34], v[213:214]
	v_mov_b32_e32 v35, v217
	v_mov_b32_e32 v36, v218
	v_add_f64 v[3:4], v[3:4], -v[213:214]
.LBB99_379:
	s_or_b32 exec_lo, exec_lo, s1
	s_mov_b32 s2, exec_lo
	s_waitcnt lgkmcnt(0)
	s_barrier
	buffer_gl0_inv
	v_cmpx_eq_u32_e32 42, v0
	s_cbranch_execz .LBB99_386
; %bb.380:
	ds_write2_b64 v255, v[29:30], v[31:32] offset1:1
	ds_write2_b64 v253, v[25:26], v[27:28] offset0:86 offset1:87
	ds_write2_b64 v253, v[21:22], v[23:24] offset0:88 offset1:89
	;; [unrolled: 1-line block ×7, first 2 shown]
	ds_read2_b64 v[213:216], v255 offset1:1
	s_waitcnt lgkmcnt(0)
	v_cmp_neq_f64_e32 vcc_lo, 0, v[213:214]
	v_cmp_neq_f64_e64 s1, 0, v[215:216]
	s_or_b32 s1, vcc_lo, s1
	s_and_b32 exec_lo, exec_lo, s1
	s_cbranch_execz .LBB99_386
; %bb.381:
	v_cmp_ngt_f64_e64 s1, |v[213:214]|, |v[215:216]|
                                        ; implicit-def: $vgpr217_vgpr218
	s_and_saveexec_b32 s3, s1
	s_xor_b32 s1, exec_lo, s3
                                        ; implicit-def: $vgpr219_vgpr220
	s_cbranch_execz .LBB99_383
; %bb.382:
	v_div_scale_f64 v[217:218], null, v[215:216], v[215:216], v[213:214]
	v_div_scale_f64 v[223:224], vcc_lo, v[213:214], v[215:216], v[213:214]
	v_rcp_f64_e32 v[219:220], v[217:218]
	v_fma_f64 v[221:222], -v[217:218], v[219:220], 1.0
	v_fma_f64 v[219:220], v[219:220], v[221:222], v[219:220]
	v_fma_f64 v[221:222], -v[217:218], v[219:220], 1.0
	v_fma_f64 v[219:220], v[219:220], v[221:222], v[219:220]
	v_mul_f64 v[221:222], v[223:224], v[219:220]
	v_fma_f64 v[217:218], -v[217:218], v[221:222], v[223:224]
	v_div_fmas_f64 v[217:218], v[217:218], v[219:220], v[221:222]
	v_div_fixup_f64 v[217:218], v[217:218], v[215:216], v[213:214]
	v_fma_f64 v[213:214], v[213:214], v[217:218], v[215:216]
	v_div_scale_f64 v[215:216], null, v[213:214], v[213:214], 1.0
	v_rcp_f64_e32 v[219:220], v[215:216]
	v_fma_f64 v[221:222], -v[215:216], v[219:220], 1.0
	v_fma_f64 v[219:220], v[219:220], v[221:222], v[219:220]
	v_fma_f64 v[221:222], -v[215:216], v[219:220], 1.0
	v_fma_f64 v[219:220], v[219:220], v[221:222], v[219:220]
	v_div_scale_f64 v[221:222], vcc_lo, 1.0, v[213:214], 1.0
	v_mul_f64 v[223:224], v[221:222], v[219:220]
	v_fma_f64 v[215:216], -v[215:216], v[223:224], v[221:222]
	v_div_fmas_f64 v[215:216], v[215:216], v[219:220], v[223:224]
	v_div_fixup_f64 v[219:220], v[215:216], v[213:214], 1.0
                                        ; implicit-def: $vgpr213_vgpr214
	v_mul_f64 v[217:218], v[217:218], v[219:220]
	v_xor_b32_e32 v220, 0x80000000, v220
.LBB99_383:
	s_andn2_saveexec_b32 s1, s1
	s_cbranch_execz .LBB99_385
; %bb.384:
	v_div_scale_f64 v[217:218], null, v[213:214], v[213:214], v[215:216]
	v_div_scale_f64 v[223:224], vcc_lo, v[215:216], v[213:214], v[215:216]
	v_rcp_f64_e32 v[219:220], v[217:218]
	v_fma_f64 v[221:222], -v[217:218], v[219:220], 1.0
	v_fma_f64 v[219:220], v[219:220], v[221:222], v[219:220]
	v_fma_f64 v[221:222], -v[217:218], v[219:220], 1.0
	v_fma_f64 v[219:220], v[219:220], v[221:222], v[219:220]
	v_mul_f64 v[221:222], v[223:224], v[219:220]
	v_fma_f64 v[217:218], -v[217:218], v[221:222], v[223:224]
	v_div_fmas_f64 v[217:218], v[217:218], v[219:220], v[221:222]
	v_div_fixup_f64 v[219:220], v[217:218], v[213:214], v[215:216]
	v_fma_f64 v[213:214], v[215:216], v[219:220], v[213:214]
	v_div_scale_f64 v[215:216], null, v[213:214], v[213:214], 1.0
	v_rcp_f64_e32 v[217:218], v[215:216]
	v_fma_f64 v[221:222], -v[215:216], v[217:218], 1.0
	v_fma_f64 v[217:218], v[217:218], v[221:222], v[217:218]
	v_fma_f64 v[221:222], -v[215:216], v[217:218], 1.0
	v_fma_f64 v[217:218], v[217:218], v[221:222], v[217:218]
	v_div_scale_f64 v[221:222], vcc_lo, 1.0, v[213:214], 1.0
	v_mul_f64 v[223:224], v[221:222], v[217:218]
	v_fma_f64 v[215:216], -v[215:216], v[223:224], v[221:222]
	v_div_fmas_f64 v[215:216], v[215:216], v[217:218], v[223:224]
	v_div_fixup_f64 v[217:218], v[215:216], v[213:214], 1.0
	v_mul_f64 v[219:220], v[219:220], -v[217:218]
.LBB99_385:
	s_or_b32 exec_lo, exec_lo, s1
	ds_write2_b64 v255, v[217:218], v[219:220] offset1:1
.LBB99_386:
	s_or_b32 exec_lo, exec_lo, s2
	s_waitcnt lgkmcnt(0)
	s_barrier
	buffer_gl0_inv
	ds_read2_b64 v[213:216], v255 offset1:1
	s_mov_b32 s1, exec_lo
	v_cmpx_lt_u32_e32 42, v0
	s_cbranch_execz .LBB99_388
; %bb.387:
	s_waitcnt lgkmcnt(0)
	v_mul_f64 v[217:218], v[213:214], v[31:32]
	v_mul_f64 v[31:32], v[215:216], v[31:32]
	v_fma_f64 v[221:222], v[215:216], v[29:30], v[217:218]
	ds_read2_b64 v[217:220], v253 offset0:86 offset1:87
	v_fma_f64 v[29:30], v[213:214], v[29:30], -v[31:32]
	s_waitcnt lgkmcnt(0)
	v_mul_f64 v[31:32], v[219:220], v[221:222]
	v_fma_f64 v[31:32], v[217:218], v[29:30], -v[31:32]
	v_mul_f64 v[217:218], v[217:218], v[221:222]
	v_add_f64 v[25:26], v[25:26], -v[31:32]
	v_fma_f64 v[217:218], v[219:220], v[29:30], v[217:218]
	v_add_f64 v[27:28], v[27:28], -v[217:218]
	ds_read2_b64 v[217:220], v253 offset0:88 offset1:89
	s_waitcnt lgkmcnt(0)
	v_mul_f64 v[31:32], v[219:220], v[221:222]
	v_fma_f64 v[31:32], v[217:218], v[29:30], -v[31:32]
	v_mul_f64 v[217:218], v[217:218], v[221:222]
	v_add_f64 v[21:22], v[21:22], -v[31:32]
	v_fma_f64 v[217:218], v[219:220], v[29:30], v[217:218]
	v_add_f64 v[23:24], v[23:24], -v[217:218]
	ds_read2_b64 v[217:220], v253 offset0:90 offset1:91
	;; [unrolled: 8-line block ×6, first 2 shown]
	s_waitcnt lgkmcnt(0)
	v_mul_f64 v[31:32], v[219:220], v[221:222]
	v_fma_f64 v[31:32], v[217:218], v[29:30], -v[31:32]
	v_mul_f64 v[217:218], v[217:218], v[221:222]
	v_add_f64 v[1:2], v[1:2], -v[31:32]
	v_fma_f64 v[217:218], v[219:220], v[29:30], v[217:218]
	v_mov_b32_e32 v31, v221
	v_mov_b32_e32 v32, v222
	v_add_f64 v[3:4], v[3:4], -v[217:218]
.LBB99_388:
	s_or_b32 exec_lo, exec_lo, s1
	s_mov_b32 s2, exec_lo
	s_waitcnt lgkmcnt(0)
	s_barrier
	buffer_gl0_inv
	v_cmpx_eq_u32_e32 43, v0
	s_cbranch_execz .LBB99_395
; %bb.389:
	ds_write2_b64 v255, v[25:26], v[27:28] offset1:1
	ds_write2_b64 v253, v[21:22], v[23:24] offset0:88 offset1:89
	ds_write2_b64 v253, v[17:18], v[19:20] offset0:90 offset1:91
	;; [unrolled: 1-line block ×6, first 2 shown]
	ds_read2_b64 v[217:220], v255 offset1:1
	s_waitcnt lgkmcnt(0)
	v_cmp_neq_f64_e32 vcc_lo, 0, v[217:218]
	v_cmp_neq_f64_e64 s1, 0, v[219:220]
	s_or_b32 s1, vcc_lo, s1
	s_and_b32 exec_lo, exec_lo, s1
	s_cbranch_execz .LBB99_395
; %bb.390:
	v_cmp_ngt_f64_e64 s1, |v[217:218]|, |v[219:220]|
                                        ; implicit-def: $vgpr221_vgpr222
	s_and_saveexec_b32 s3, s1
	s_xor_b32 s1, exec_lo, s3
                                        ; implicit-def: $vgpr223_vgpr224
	s_cbranch_execz .LBB99_392
; %bb.391:
	v_div_scale_f64 v[221:222], null, v[219:220], v[219:220], v[217:218]
	v_div_scale_f64 v[227:228], vcc_lo, v[217:218], v[219:220], v[217:218]
	v_rcp_f64_e32 v[223:224], v[221:222]
	v_fma_f64 v[225:226], -v[221:222], v[223:224], 1.0
	v_fma_f64 v[223:224], v[223:224], v[225:226], v[223:224]
	v_fma_f64 v[225:226], -v[221:222], v[223:224], 1.0
	v_fma_f64 v[223:224], v[223:224], v[225:226], v[223:224]
	v_mul_f64 v[225:226], v[227:228], v[223:224]
	v_fma_f64 v[221:222], -v[221:222], v[225:226], v[227:228]
	v_div_fmas_f64 v[221:222], v[221:222], v[223:224], v[225:226]
	v_div_fixup_f64 v[221:222], v[221:222], v[219:220], v[217:218]
	v_fma_f64 v[217:218], v[217:218], v[221:222], v[219:220]
	v_div_scale_f64 v[219:220], null, v[217:218], v[217:218], 1.0
	v_rcp_f64_e32 v[223:224], v[219:220]
	v_fma_f64 v[225:226], -v[219:220], v[223:224], 1.0
	v_fma_f64 v[223:224], v[223:224], v[225:226], v[223:224]
	v_fma_f64 v[225:226], -v[219:220], v[223:224], 1.0
	v_fma_f64 v[223:224], v[223:224], v[225:226], v[223:224]
	v_div_scale_f64 v[225:226], vcc_lo, 1.0, v[217:218], 1.0
	v_mul_f64 v[227:228], v[225:226], v[223:224]
	v_fma_f64 v[219:220], -v[219:220], v[227:228], v[225:226]
	v_div_fmas_f64 v[219:220], v[219:220], v[223:224], v[227:228]
	v_div_fixup_f64 v[223:224], v[219:220], v[217:218], 1.0
                                        ; implicit-def: $vgpr217_vgpr218
	v_mul_f64 v[221:222], v[221:222], v[223:224]
	v_xor_b32_e32 v224, 0x80000000, v224
.LBB99_392:
	s_andn2_saveexec_b32 s1, s1
	s_cbranch_execz .LBB99_394
; %bb.393:
	v_div_scale_f64 v[221:222], null, v[217:218], v[217:218], v[219:220]
	v_div_scale_f64 v[227:228], vcc_lo, v[219:220], v[217:218], v[219:220]
	v_rcp_f64_e32 v[223:224], v[221:222]
	v_fma_f64 v[225:226], -v[221:222], v[223:224], 1.0
	v_fma_f64 v[223:224], v[223:224], v[225:226], v[223:224]
	v_fma_f64 v[225:226], -v[221:222], v[223:224], 1.0
	v_fma_f64 v[223:224], v[223:224], v[225:226], v[223:224]
	v_mul_f64 v[225:226], v[227:228], v[223:224]
	v_fma_f64 v[221:222], -v[221:222], v[225:226], v[227:228]
	v_div_fmas_f64 v[221:222], v[221:222], v[223:224], v[225:226]
	v_div_fixup_f64 v[223:224], v[221:222], v[217:218], v[219:220]
	v_fma_f64 v[217:218], v[219:220], v[223:224], v[217:218]
	v_div_scale_f64 v[219:220], null, v[217:218], v[217:218], 1.0
	v_rcp_f64_e32 v[221:222], v[219:220]
	v_fma_f64 v[225:226], -v[219:220], v[221:222], 1.0
	v_fma_f64 v[221:222], v[221:222], v[225:226], v[221:222]
	v_fma_f64 v[225:226], -v[219:220], v[221:222], 1.0
	v_fma_f64 v[221:222], v[221:222], v[225:226], v[221:222]
	v_div_scale_f64 v[225:226], vcc_lo, 1.0, v[217:218], 1.0
	v_mul_f64 v[227:228], v[225:226], v[221:222]
	v_fma_f64 v[219:220], -v[219:220], v[227:228], v[225:226]
	v_div_fmas_f64 v[219:220], v[219:220], v[221:222], v[227:228]
	v_div_fixup_f64 v[221:222], v[219:220], v[217:218], 1.0
	v_mul_f64 v[223:224], v[223:224], -v[221:222]
.LBB99_394:
	s_or_b32 exec_lo, exec_lo, s1
	ds_write2_b64 v255, v[221:222], v[223:224] offset1:1
.LBB99_395:
	s_or_b32 exec_lo, exec_lo, s2
	s_waitcnt lgkmcnt(0)
	s_barrier
	buffer_gl0_inv
	ds_read2_b64 v[217:220], v255 offset1:1
	s_mov_b32 s1, exec_lo
	v_cmpx_lt_u32_e32 43, v0
	s_cbranch_execz .LBB99_397
; %bb.396:
	s_waitcnt lgkmcnt(0)
	v_mul_f64 v[221:222], v[217:218], v[27:28]
	v_mul_f64 v[27:28], v[219:220], v[27:28]
	v_fma_f64 v[225:226], v[219:220], v[25:26], v[221:222]
	ds_read2_b64 v[221:224], v253 offset0:88 offset1:89
	v_fma_f64 v[25:26], v[217:218], v[25:26], -v[27:28]
	s_waitcnt lgkmcnt(0)
	v_mul_f64 v[27:28], v[223:224], v[225:226]
	v_fma_f64 v[27:28], v[221:222], v[25:26], -v[27:28]
	v_mul_f64 v[221:222], v[221:222], v[225:226]
	v_add_f64 v[21:22], v[21:22], -v[27:28]
	v_fma_f64 v[221:222], v[223:224], v[25:26], v[221:222]
	v_add_f64 v[23:24], v[23:24], -v[221:222]
	ds_read2_b64 v[221:224], v253 offset0:90 offset1:91
	s_waitcnt lgkmcnt(0)
	v_mul_f64 v[27:28], v[223:224], v[225:226]
	v_fma_f64 v[27:28], v[221:222], v[25:26], -v[27:28]
	v_mul_f64 v[221:222], v[221:222], v[225:226]
	v_add_f64 v[17:18], v[17:18], -v[27:28]
	v_fma_f64 v[221:222], v[223:224], v[25:26], v[221:222]
	v_add_f64 v[19:20], v[19:20], -v[221:222]
	ds_read2_b64 v[221:224], v253 offset0:92 offset1:93
	;; [unrolled: 8-line block ×5, first 2 shown]
	s_waitcnt lgkmcnt(0)
	v_mul_f64 v[27:28], v[223:224], v[225:226]
	v_fma_f64 v[27:28], v[221:222], v[25:26], -v[27:28]
	v_mul_f64 v[221:222], v[221:222], v[225:226]
	v_add_f64 v[1:2], v[1:2], -v[27:28]
	v_fma_f64 v[221:222], v[223:224], v[25:26], v[221:222]
	v_mov_b32_e32 v27, v225
	v_mov_b32_e32 v28, v226
	v_add_f64 v[3:4], v[3:4], -v[221:222]
.LBB99_397:
	s_or_b32 exec_lo, exec_lo, s1
	s_mov_b32 s2, exec_lo
	s_waitcnt lgkmcnt(0)
	s_barrier
	buffer_gl0_inv
	v_cmpx_eq_u32_e32 44, v0
	s_cbranch_execz .LBB99_404
; %bb.398:
	ds_write2_b64 v255, v[21:22], v[23:24] offset1:1
	ds_write2_b64 v253, v[17:18], v[19:20] offset0:90 offset1:91
	ds_write2_b64 v253, v[13:14], v[15:16] offset0:92 offset1:93
	;; [unrolled: 1-line block ×5, first 2 shown]
	ds_read2_b64 v[221:224], v255 offset1:1
	s_waitcnt lgkmcnt(0)
	v_cmp_neq_f64_e32 vcc_lo, 0, v[221:222]
	v_cmp_neq_f64_e64 s1, 0, v[223:224]
	s_or_b32 s1, vcc_lo, s1
	s_and_b32 exec_lo, exec_lo, s1
	s_cbranch_execz .LBB99_404
; %bb.399:
	v_cmp_ngt_f64_e64 s1, |v[221:222]|, |v[223:224]|
                                        ; implicit-def: $vgpr225_vgpr226
	s_and_saveexec_b32 s3, s1
	s_xor_b32 s1, exec_lo, s3
                                        ; implicit-def: $vgpr227_vgpr228
	s_cbranch_execz .LBB99_401
; %bb.400:
	v_div_scale_f64 v[225:226], null, v[223:224], v[223:224], v[221:222]
	v_div_scale_f64 v[231:232], vcc_lo, v[221:222], v[223:224], v[221:222]
	v_rcp_f64_e32 v[227:228], v[225:226]
	v_fma_f64 v[229:230], -v[225:226], v[227:228], 1.0
	v_fma_f64 v[227:228], v[227:228], v[229:230], v[227:228]
	v_fma_f64 v[229:230], -v[225:226], v[227:228], 1.0
	v_fma_f64 v[227:228], v[227:228], v[229:230], v[227:228]
	v_mul_f64 v[229:230], v[231:232], v[227:228]
	v_fma_f64 v[225:226], -v[225:226], v[229:230], v[231:232]
	v_div_fmas_f64 v[225:226], v[225:226], v[227:228], v[229:230]
	v_div_fixup_f64 v[225:226], v[225:226], v[223:224], v[221:222]
	v_fma_f64 v[221:222], v[221:222], v[225:226], v[223:224]
	v_div_scale_f64 v[223:224], null, v[221:222], v[221:222], 1.0
	v_rcp_f64_e32 v[227:228], v[223:224]
	v_fma_f64 v[229:230], -v[223:224], v[227:228], 1.0
	v_fma_f64 v[227:228], v[227:228], v[229:230], v[227:228]
	v_fma_f64 v[229:230], -v[223:224], v[227:228], 1.0
	v_fma_f64 v[227:228], v[227:228], v[229:230], v[227:228]
	v_div_scale_f64 v[229:230], vcc_lo, 1.0, v[221:222], 1.0
	v_mul_f64 v[231:232], v[229:230], v[227:228]
	v_fma_f64 v[223:224], -v[223:224], v[231:232], v[229:230]
	v_div_fmas_f64 v[223:224], v[223:224], v[227:228], v[231:232]
	v_div_fixup_f64 v[227:228], v[223:224], v[221:222], 1.0
                                        ; implicit-def: $vgpr221_vgpr222
	v_mul_f64 v[225:226], v[225:226], v[227:228]
	v_xor_b32_e32 v228, 0x80000000, v228
.LBB99_401:
	s_andn2_saveexec_b32 s1, s1
	s_cbranch_execz .LBB99_403
; %bb.402:
	v_div_scale_f64 v[225:226], null, v[221:222], v[221:222], v[223:224]
	v_div_scale_f64 v[231:232], vcc_lo, v[223:224], v[221:222], v[223:224]
	v_rcp_f64_e32 v[227:228], v[225:226]
	v_fma_f64 v[229:230], -v[225:226], v[227:228], 1.0
	v_fma_f64 v[227:228], v[227:228], v[229:230], v[227:228]
	v_fma_f64 v[229:230], -v[225:226], v[227:228], 1.0
	v_fma_f64 v[227:228], v[227:228], v[229:230], v[227:228]
	v_mul_f64 v[229:230], v[231:232], v[227:228]
	v_fma_f64 v[225:226], -v[225:226], v[229:230], v[231:232]
	v_div_fmas_f64 v[225:226], v[225:226], v[227:228], v[229:230]
	v_div_fixup_f64 v[227:228], v[225:226], v[221:222], v[223:224]
	v_fma_f64 v[221:222], v[223:224], v[227:228], v[221:222]
	v_div_scale_f64 v[223:224], null, v[221:222], v[221:222], 1.0
	v_rcp_f64_e32 v[225:226], v[223:224]
	v_fma_f64 v[229:230], -v[223:224], v[225:226], 1.0
	v_fma_f64 v[225:226], v[225:226], v[229:230], v[225:226]
	v_fma_f64 v[229:230], -v[223:224], v[225:226], 1.0
	v_fma_f64 v[225:226], v[225:226], v[229:230], v[225:226]
	v_div_scale_f64 v[229:230], vcc_lo, 1.0, v[221:222], 1.0
	v_mul_f64 v[231:232], v[229:230], v[225:226]
	v_fma_f64 v[223:224], -v[223:224], v[231:232], v[229:230]
	v_div_fmas_f64 v[223:224], v[223:224], v[225:226], v[231:232]
	v_div_fixup_f64 v[225:226], v[223:224], v[221:222], 1.0
	v_mul_f64 v[227:228], v[227:228], -v[225:226]
.LBB99_403:
	s_or_b32 exec_lo, exec_lo, s1
	ds_write2_b64 v255, v[225:226], v[227:228] offset1:1
.LBB99_404:
	s_or_b32 exec_lo, exec_lo, s2
	s_waitcnt lgkmcnt(0)
	s_barrier
	buffer_gl0_inv
	ds_read2_b64 v[221:224], v255 offset1:1
	s_mov_b32 s1, exec_lo
	v_cmpx_lt_u32_e32 44, v0
	s_cbranch_execz .LBB99_406
; %bb.405:
	s_waitcnt lgkmcnt(0)
	v_mul_f64 v[225:226], v[221:222], v[23:24]
	v_mul_f64 v[23:24], v[223:224], v[23:24]
	v_fma_f64 v[229:230], v[223:224], v[21:22], v[225:226]
	ds_read2_b64 v[225:228], v253 offset0:90 offset1:91
	v_fma_f64 v[21:22], v[221:222], v[21:22], -v[23:24]
	s_waitcnt lgkmcnt(0)
	v_mul_f64 v[23:24], v[227:228], v[229:230]
	v_fma_f64 v[23:24], v[225:226], v[21:22], -v[23:24]
	v_mul_f64 v[225:226], v[225:226], v[229:230]
	v_add_f64 v[17:18], v[17:18], -v[23:24]
	v_fma_f64 v[225:226], v[227:228], v[21:22], v[225:226]
	v_add_f64 v[19:20], v[19:20], -v[225:226]
	ds_read2_b64 v[225:228], v253 offset0:92 offset1:93
	s_waitcnt lgkmcnt(0)
	v_mul_f64 v[23:24], v[227:228], v[229:230]
	v_fma_f64 v[23:24], v[225:226], v[21:22], -v[23:24]
	v_mul_f64 v[225:226], v[225:226], v[229:230]
	v_add_f64 v[13:14], v[13:14], -v[23:24]
	v_fma_f64 v[225:226], v[227:228], v[21:22], v[225:226]
	v_add_f64 v[15:16], v[15:16], -v[225:226]
	ds_read2_b64 v[225:228], v253 offset0:94 offset1:95
	;; [unrolled: 8-line block ×4, first 2 shown]
	s_waitcnt lgkmcnt(0)
	v_mul_f64 v[23:24], v[227:228], v[229:230]
	v_fma_f64 v[23:24], v[225:226], v[21:22], -v[23:24]
	v_mul_f64 v[225:226], v[225:226], v[229:230]
	v_add_f64 v[1:2], v[1:2], -v[23:24]
	v_fma_f64 v[225:226], v[227:228], v[21:22], v[225:226]
	v_mov_b32_e32 v23, v229
	v_mov_b32_e32 v24, v230
	v_add_f64 v[3:4], v[3:4], -v[225:226]
.LBB99_406:
	s_or_b32 exec_lo, exec_lo, s1
	s_mov_b32 s2, exec_lo
	s_waitcnt lgkmcnt(0)
	s_barrier
	buffer_gl0_inv
	v_cmpx_eq_u32_e32 45, v0
	s_cbranch_execz .LBB99_413
; %bb.407:
	ds_write2_b64 v255, v[17:18], v[19:20] offset1:1
	ds_write2_b64 v253, v[13:14], v[15:16] offset0:92 offset1:93
	ds_write2_b64 v253, v[9:10], v[11:12] offset0:94 offset1:95
	;; [unrolled: 1-line block ×4, first 2 shown]
	ds_read2_b64 v[225:228], v255 offset1:1
	s_waitcnt lgkmcnt(0)
	v_cmp_neq_f64_e32 vcc_lo, 0, v[225:226]
	v_cmp_neq_f64_e64 s1, 0, v[227:228]
	s_or_b32 s1, vcc_lo, s1
	s_and_b32 exec_lo, exec_lo, s1
	s_cbranch_execz .LBB99_413
; %bb.408:
	v_cmp_ngt_f64_e64 s1, |v[225:226]|, |v[227:228]|
                                        ; implicit-def: $vgpr229_vgpr230
	s_and_saveexec_b32 s3, s1
	s_xor_b32 s1, exec_lo, s3
                                        ; implicit-def: $vgpr231_vgpr232
	s_cbranch_execz .LBB99_410
; %bb.409:
	v_div_scale_f64 v[229:230], null, v[227:228], v[227:228], v[225:226]
	v_div_scale_f64 v[235:236], vcc_lo, v[225:226], v[227:228], v[225:226]
	v_rcp_f64_e32 v[231:232], v[229:230]
	v_fma_f64 v[233:234], -v[229:230], v[231:232], 1.0
	v_fma_f64 v[231:232], v[231:232], v[233:234], v[231:232]
	v_fma_f64 v[233:234], -v[229:230], v[231:232], 1.0
	v_fma_f64 v[231:232], v[231:232], v[233:234], v[231:232]
	v_mul_f64 v[233:234], v[235:236], v[231:232]
	v_fma_f64 v[229:230], -v[229:230], v[233:234], v[235:236]
	v_div_fmas_f64 v[229:230], v[229:230], v[231:232], v[233:234]
	v_div_fixup_f64 v[229:230], v[229:230], v[227:228], v[225:226]
	v_fma_f64 v[225:226], v[225:226], v[229:230], v[227:228]
	v_div_scale_f64 v[227:228], null, v[225:226], v[225:226], 1.0
	v_rcp_f64_e32 v[231:232], v[227:228]
	v_fma_f64 v[233:234], -v[227:228], v[231:232], 1.0
	v_fma_f64 v[231:232], v[231:232], v[233:234], v[231:232]
	v_fma_f64 v[233:234], -v[227:228], v[231:232], 1.0
	v_fma_f64 v[231:232], v[231:232], v[233:234], v[231:232]
	v_div_scale_f64 v[233:234], vcc_lo, 1.0, v[225:226], 1.0
	v_mul_f64 v[235:236], v[233:234], v[231:232]
	v_fma_f64 v[227:228], -v[227:228], v[235:236], v[233:234]
	v_div_fmas_f64 v[227:228], v[227:228], v[231:232], v[235:236]
	v_div_fixup_f64 v[231:232], v[227:228], v[225:226], 1.0
                                        ; implicit-def: $vgpr225_vgpr226
	v_mul_f64 v[229:230], v[229:230], v[231:232]
	v_xor_b32_e32 v232, 0x80000000, v232
.LBB99_410:
	s_andn2_saveexec_b32 s1, s1
	s_cbranch_execz .LBB99_412
; %bb.411:
	v_div_scale_f64 v[229:230], null, v[225:226], v[225:226], v[227:228]
	v_div_scale_f64 v[235:236], vcc_lo, v[227:228], v[225:226], v[227:228]
	v_rcp_f64_e32 v[231:232], v[229:230]
	v_fma_f64 v[233:234], -v[229:230], v[231:232], 1.0
	v_fma_f64 v[231:232], v[231:232], v[233:234], v[231:232]
	v_fma_f64 v[233:234], -v[229:230], v[231:232], 1.0
	v_fma_f64 v[231:232], v[231:232], v[233:234], v[231:232]
	v_mul_f64 v[233:234], v[235:236], v[231:232]
	v_fma_f64 v[229:230], -v[229:230], v[233:234], v[235:236]
	v_div_fmas_f64 v[229:230], v[229:230], v[231:232], v[233:234]
	v_div_fixup_f64 v[231:232], v[229:230], v[225:226], v[227:228]
	v_fma_f64 v[225:226], v[227:228], v[231:232], v[225:226]
	v_div_scale_f64 v[227:228], null, v[225:226], v[225:226], 1.0
	v_rcp_f64_e32 v[229:230], v[227:228]
	v_fma_f64 v[233:234], -v[227:228], v[229:230], 1.0
	v_fma_f64 v[229:230], v[229:230], v[233:234], v[229:230]
	v_fma_f64 v[233:234], -v[227:228], v[229:230], 1.0
	v_fma_f64 v[229:230], v[229:230], v[233:234], v[229:230]
	v_div_scale_f64 v[233:234], vcc_lo, 1.0, v[225:226], 1.0
	v_mul_f64 v[235:236], v[233:234], v[229:230]
	v_fma_f64 v[227:228], -v[227:228], v[235:236], v[233:234]
	v_div_fmas_f64 v[227:228], v[227:228], v[229:230], v[235:236]
	v_div_fixup_f64 v[229:230], v[227:228], v[225:226], 1.0
	v_mul_f64 v[231:232], v[231:232], -v[229:230]
.LBB99_412:
	s_or_b32 exec_lo, exec_lo, s1
	ds_write2_b64 v255, v[229:230], v[231:232] offset1:1
.LBB99_413:
	s_or_b32 exec_lo, exec_lo, s2
	s_waitcnt lgkmcnt(0)
	s_barrier
	buffer_gl0_inv
	ds_read2_b64 v[225:228], v255 offset1:1
	s_mov_b32 s1, exec_lo
	v_cmpx_lt_u32_e32 45, v0
	s_cbranch_execz .LBB99_415
; %bb.414:
	s_waitcnt lgkmcnt(0)
	v_mul_f64 v[229:230], v[225:226], v[19:20]
	v_mul_f64 v[19:20], v[227:228], v[19:20]
	v_fma_f64 v[233:234], v[227:228], v[17:18], v[229:230]
	ds_read2_b64 v[229:232], v253 offset0:92 offset1:93
	v_fma_f64 v[17:18], v[225:226], v[17:18], -v[19:20]
	s_waitcnt lgkmcnt(0)
	v_mul_f64 v[19:20], v[231:232], v[233:234]
	v_fma_f64 v[19:20], v[229:230], v[17:18], -v[19:20]
	v_mul_f64 v[229:230], v[229:230], v[233:234]
	v_add_f64 v[13:14], v[13:14], -v[19:20]
	v_fma_f64 v[229:230], v[231:232], v[17:18], v[229:230]
	v_add_f64 v[15:16], v[15:16], -v[229:230]
	ds_read2_b64 v[229:232], v253 offset0:94 offset1:95
	s_waitcnt lgkmcnt(0)
	v_mul_f64 v[19:20], v[231:232], v[233:234]
	v_fma_f64 v[19:20], v[229:230], v[17:18], -v[19:20]
	v_mul_f64 v[229:230], v[229:230], v[233:234]
	v_add_f64 v[9:10], v[9:10], -v[19:20]
	v_fma_f64 v[229:230], v[231:232], v[17:18], v[229:230]
	v_add_f64 v[11:12], v[11:12], -v[229:230]
	ds_read2_b64 v[229:232], v253 offset0:96 offset1:97
	s_waitcnt lgkmcnt(0)
	v_mul_f64 v[19:20], v[231:232], v[233:234]
	v_fma_f64 v[19:20], v[229:230], v[17:18], -v[19:20]
	v_mul_f64 v[229:230], v[229:230], v[233:234]
	v_add_f64 v[5:6], v[5:6], -v[19:20]
	v_fma_f64 v[229:230], v[231:232], v[17:18], v[229:230]
	v_add_f64 v[7:8], v[7:8], -v[229:230]
	ds_read2_b64 v[229:232], v253 offset0:98 offset1:99
	s_waitcnt lgkmcnt(0)
	v_mul_f64 v[19:20], v[231:232], v[233:234]
	v_fma_f64 v[19:20], v[229:230], v[17:18], -v[19:20]
	v_mul_f64 v[229:230], v[229:230], v[233:234]
	v_add_f64 v[1:2], v[1:2], -v[19:20]
	v_fma_f64 v[229:230], v[231:232], v[17:18], v[229:230]
	v_mov_b32_e32 v19, v233
	v_mov_b32_e32 v20, v234
	v_add_f64 v[3:4], v[3:4], -v[229:230]
.LBB99_415:
	s_or_b32 exec_lo, exec_lo, s1
	s_mov_b32 s2, exec_lo
	s_waitcnt lgkmcnt(0)
	s_barrier
	buffer_gl0_inv
	v_cmpx_eq_u32_e32 46, v0
	s_cbranch_execz .LBB99_422
; %bb.416:
	ds_write2_b64 v255, v[13:14], v[15:16] offset1:1
	ds_write2_b64 v253, v[9:10], v[11:12] offset0:94 offset1:95
	ds_write2_b64 v253, v[5:6], v[7:8] offset0:96 offset1:97
	;; [unrolled: 1-line block ×3, first 2 shown]
	ds_read2_b64 v[229:232], v255 offset1:1
	s_waitcnt lgkmcnt(0)
	v_cmp_neq_f64_e32 vcc_lo, 0, v[229:230]
	v_cmp_neq_f64_e64 s1, 0, v[231:232]
	s_or_b32 s1, vcc_lo, s1
	s_and_b32 exec_lo, exec_lo, s1
	s_cbranch_execz .LBB99_422
; %bb.417:
	v_cmp_ngt_f64_e64 s1, |v[229:230]|, |v[231:232]|
                                        ; implicit-def: $vgpr233_vgpr234
	s_and_saveexec_b32 s3, s1
	s_xor_b32 s1, exec_lo, s3
                                        ; implicit-def: $vgpr235_vgpr236
	s_cbranch_execz .LBB99_419
; %bb.418:
	v_div_scale_f64 v[233:234], null, v[231:232], v[231:232], v[229:230]
	v_div_scale_f64 v[239:240], vcc_lo, v[229:230], v[231:232], v[229:230]
	v_rcp_f64_e32 v[235:236], v[233:234]
	v_fma_f64 v[237:238], -v[233:234], v[235:236], 1.0
	v_fma_f64 v[235:236], v[235:236], v[237:238], v[235:236]
	v_fma_f64 v[237:238], -v[233:234], v[235:236], 1.0
	v_fma_f64 v[235:236], v[235:236], v[237:238], v[235:236]
	v_mul_f64 v[237:238], v[239:240], v[235:236]
	v_fma_f64 v[233:234], -v[233:234], v[237:238], v[239:240]
	v_div_fmas_f64 v[233:234], v[233:234], v[235:236], v[237:238]
	v_div_fixup_f64 v[233:234], v[233:234], v[231:232], v[229:230]
	v_fma_f64 v[229:230], v[229:230], v[233:234], v[231:232]
	v_div_scale_f64 v[231:232], null, v[229:230], v[229:230], 1.0
	v_rcp_f64_e32 v[235:236], v[231:232]
	v_fma_f64 v[237:238], -v[231:232], v[235:236], 1.0
	v_fma_f64 v[235:236], v[235:236], v[237:238], v[235:236]
	v_fma_f64 v[237:238], -v[231:232], v[235:236], 1.0
	v_fma_f64 v[235:236], v[235:236], v[237:238], v[235:236]
	v_div_scale_f64 v[237:238], vcc_lo, 1.0, v[229:230], 1.0
	v_mul_f64 v[239:240], v[237:238], v[235:236]
	v_fma_f64 v[231:232], -v[231:232], v[239:240], v[237:238]
	v_div_fmas_f64 v[231:232], v[231:232], v[235:236], v[239:240]
	v_div_fixup_f64 v[235:236], v[231:232], v[229:230], 1.0
                                        ; implicit-def: $vgpr229_vgpr230
	v_mul_f64 v[233:234], v[233:234], v[235:236]
	v_xor_b32_e32 v236, 0x80000000, v236
.LBB99_419:
	s_andn2_saveexec_b32 s1, s1
	s_cbranch_execz .LBB99_421
; %bb.420:
	v_div_scale_f64 v[233:234], null, v[229:230], v[229:230], v[231:232]
	v_div_scale_f64 v[239:240], vcc_lo, v[231:232], v[229:230], v[231:232]
	v_rcp_f64_e32 v[235:236], v[233:234]
	v_fma_f64 v[237:238], -v[233:234], v[235:236], 1.0
	v_fma_f64 v[235:236], v[235:236], v[237:238], v[235:236]
	v_fma_f64 v[237:238], -v[233:234], v[235:236], 1.0
	v_fma_f64 v[235:236], v[235:236], v[237:238], v[235:236]
	v_mul_f64 v[237:238], v[239:240], v[235:236]
	v_fma_f64 v[233:234], -v[233:234], v[237:238], v[239:240]
	v_div_fmas_f64 v[233:234], v[233:234], v[235:236], v[237:238]
	v_div_fixup_f64 v[235:236], v[233:234], v[229:230], v[231:232]
	v_fma_f64 v[229:230], v[231:232], v[235:236], v[229:230]
	v_div_scale_f64 v[231:232], null, v[229:230], v[229:230], 1.0
	v_rcp_f64_e32 v[233:234], v[231:232]
	v_fma_f64 v[237:238], -v[231:232], v[233:234], 1.0
	v_fma_f64 v[233:234], v[233:234], v[237:238], v[233:234]
	v_fma_f64 v[237:238], -v[231:232], v[233:234], 1.0
	v_fma_f64 v[233:234], v[233:234], v[237:238], v[233:234]
	v_div_scale_f64 v[237:238], vcc_lo, 1.0, v[229:230], 1.0
	v_mul_f64 v[239:240], v[237:238], v[233:234]
	v_fma_f64 v[231:232], -v[231:232], v[239:240], v[237:238]
	v_div_fmas_f64 v[231:232], v[231:232], v[233:234], v[239:240]
	v_div_fixup_f64 v[233:234], v[231:232], v[229:230], 1.0
	v_mul_f64 v[235:236], v[235:236], -v[233:234]
.LBB99_421:
	s_or_b32 exec_lo, exec_lo, s1
	ds_write2_b64 v255, v[233:234], v[235:236] offset1:1
.LBB99_422:
	s_or_b32 exec_lo, exec_lo, s2
	s_waitcnt lgkmcnt(0)
	s_barrier
	buffer_gl0_inv
	ds_read2_b64 v[229:232], v255 offset1:1
	s_mov_b32 s1, exec_lo
	v_cmpx_lt_u32_e32 46, v0
	s_cbranch_execz .LBB99_424
; %bb.423:
	s_waitcnt lgkmcnt(0)
	v_mul_f64 v[233:234], v[229:230], v[15:16]
	v_mul_f64 v[15:16], v[231:232], v[15:16]
	v_fma_f64 v[237:238], v[231:232], v[13:14], v[233:234]
	ds_read2_b64 v[233:236], v253 offset0:94 offset1:95
	v_fma_f64 v[13:14], v[229:230], v[13:14], -v[15:16]
	s_waitcnt lgkmcnt(0)
	v_mul_f64 v[15:16], v[235:236], v[237:238]
	v_fma_f64 v[15:16], v[233:234], v[13:14], -v[15:16]
	v_mul_f64 v[233:234], v[233:234], v[237:238]
	v_add_f64 v[9:10], v[9:10], -v[15:16]
	v_fma_f64 v[233:234], v[235:236], v[13:14], v[233:234]
	v_add_f64 v[11:12], v[11:12], -v[233:234]
	ds_read2_b64 v[233:236], v253 offset0:96 offset1:97
	s_waitcnt lgkmcnt(0)
	v_mul_f64 v[15:16], v[235:236], v[237:238]
	v_fma_f64 v[15:16], v[233:234], v[13:14], -v[15:16]
	v_mul_f64 v[233:234], v[233:234], v[237:238]
	v_add_f64 v[5:6], v[5:6], -v[15:16]
	v_fma_f64 v[233:234], v[235:236], v[13:14], v[233:234]
	v_add_f64 v[7:8], v[7:8], -v[233:234]
	ds_read2_b64 v[233:236], v253 offset0:98 offset1:99
	s_waitcnt lgkmcnt(0)
	v_mul_f64 v[15:16], v[235:236], v[237:238]
	v_fma_f64 v[15:16], v[233:234], v[13:14], -v[15:16]
	v_mul_f64 v[233:234], v[233:234], v[237:238]
	v_add_f64 v[1:2], v[1:2], -v[15:16]
	v_fma_f64 v[233:234], v[235:236], v[13:14], v[233:234]
	v_mov_b32_e32 v15, v237
	v_mov_b32_e32 v16, v238
	v_add_f64 v[3:4], v[3:4], -v[233:234]
.LBB99_424:
	s_or_b32 exec_lo, exec_lo, s1
	s_mov_b32 s2, exec_lo
	s_waitcnt lgkmcnt(0)
	s_barrier
	buffer_gl0_inv
	v_cmpx_eq_u32_e32 47, v0
	s_cbranch_execz .LBB99_431
; %bb.425:
	ds_write2_b64 v255, v[9:10], v[11:12] offset1:1
	ds_write2_b64 v253, v[5:6], v[7:8] offset0:96 offset1:97
	ds_write2_b64 v253, v[1:2], v[3:4] offset0:98 offset1:99
	ds_read2_b64 v[233:236], v255 offset1:1
	s_waitcnt lgkmcnt(0)
	v_cmp_neq_f64_e32 vcc_lo, 0, v[233:234]
	v_cmp_neq_f64_e64 s1, 0, v[235:236]
	s_or_b32 s1, vcc_lo, s1
	s_and_b32 exec_lo, exec_lo, s1
	s_cbranch_execz .LBB99_431
; %bb.426:
	v_cmp_ngt_f64_e64 s1, |v[233:234]|, |v[235:236]|
                                        ; implicit-def: $vgpr237_vgpr238
	s_and_saveexec_b32 s3, s1
	s_xor_b32 s1, exec_lo, s3
                                        ; implicit-def: $vgpr239_vgpr240
	s_cbranch_execz .LBB99_428
; %bb.427:
	v_div_scale_f64 v[237:238], null, v[235:236], v[235:236], v[233:234]
	v_div_scale_f64 v[243:244], vcc_lo, v[233:234], v[235:236], v[233:234]
	v_rcp_f64_e32 v[239:240], v[237:238]
	v_fma_f64 v[241:242], -v[237:238], v[239:240], 1.0
	v_fma_f64 v[239:240], v[239:240], v[241:242], v[239:240]
	v_fma_f64 v[241:242], -v[237:238], v[239:240], 1.0
	v_fma_f64 v[239:240], v[239:240], v[241:242], v[239:240]
	v_mul_f64 v[241:242], v[243:244], v[239:240]
	v_fma_f64 v[237:238], -v[237:238], v[241:242], v[243:244]
	v_div_fmas_f64 v[237:238], v[237:238], v[239:240], v[241:242]
	v_div_fixup_f64 v[237:238], v[237:238], v[235:236], v[233:234]
	v_fma_f64 v[233:234], v[233:234], v[237:238], v[235:236]
	v_div_scale_f64 v[235:236], null, v[233:234], v[233:234], 1.0
	v_rcp_f64_e32 v[239:240], v[235:236]
	v_fma_f64 v[241:242], -v[235:236], v[239:240], 1.0
	v_fma_f64 v[239:240], v[239:240], v[241:242], v[239:240]
	v_fma_f64 v[241:242], -v[235:236], v[239:240], 1.0
	v_fma_f64 v[239:240], v[239:240], v[241:242], v[239:240]
	v_div_scale_f64 v[241:242], vcc_lo, 1.0, v[233:234], 1.0
	v_mul_f64 v[243:244], v[241:242], v[239:240]
	v_fma_f64 v[235:236], -v[235:236], v[243:244], v[241:242]
	v_div_fmas_f64 v[235:236], v[235:236], v[239:240], v[243:244]
	v_div_fixup_f64 v[239:240], v[235:236], v[233:234], 1.0
                                        ; implicit-def: $vgpr233_vgpr234
	v_mul_f64 v[237:238], v[237:238], v[239:240]
	v_xor_b32_e32 v240, 0x80000000, v240
.LBB99_428:
	s_andn2_saveexec_b32 s1, s1
	s_cbranch_execz .LBB99_430
; %bb.429:
	v_div_scale_f64 v[237:238], null, v[233:234], v[233:234], v[235:236]
	v_div_scale_f64 v[243:244], vcc_lo, v[235:236], v[233:234], v[235:236]
	v_rcp_f64_e32 v[239:240], v[237:238]
	v_fma_f64 v[241:242], -v[237:238], v[239:240], 1.0
	v_fma_f64 v[239:240], v[239:240], v[241:242], v[239:240]
	v_fma_f64 v[241:242], -v[237:238], v[239:240], 1.0
	v_fma_f64 v[239:240], v[239:240], v[241:242], v[239:240]
	v_mul_f64 v[241:242], v[243:244], v[239:240]
	v_fma_f64 v[237:238], -v[237:238], v[241:242], v[243:244]
	v_div_fmas_f64 v[237:238], v[237:238], v[239:240], v[241:242]
	v_div_fixup_f64 v[239:240], v[237:238], v[233:234], v[235:236]
	v_fma_f64 v[233:234], v[235:236], v[239:240], v[233:234]
	v_div_scale_f64 v[235:236], null, v[233:234], v[233:234], 1.0
	v_rcp_f64_e32 v[237:238], v[235:236]
	v_fma_f64 v[241:242], -v[235:236], v[237:238], 1.0
	v_fma_f64 v[237:238], v[237:238], v[241:242], v[237:238]
	v_fma_f64 v[241:242], -v[235:236], v[237:238], 1.0
	v_fma_f64 v[237:238], v[237:238], v[241:242], v[237:238]
	v_div_scale_f64 v[241:242], vcc_lo, 1.0, v[233:234], 1.0
	v_mul_f64 v[243:244], v[241:242], v[237:238]
	v_fma_f64 v[235:236], -v[235:236], v[243:244], v[241:242]
	v_div_fmas_f64 v[235:236], v[235:236], v[237:238], v[243:244]
	v_div_fixup_f64 v[237:238], v[235:236], v[233:234], 1.0
	v_mul_f64 v[239:240], v[239:240], -v[237:238]
.LBB99_430:
	s_or_b32 exec_lo, exec_lo, s1
	ds_write2_b64 v255, v[237:238], v[239:240] offset1:1
.LBB99_431:
	s_or_b32 exec_lo, exec_lo, s2
	s_waitcnt lgkmcnt(0)
	s_barrier
	buffer_gl0_inv
	ds_read2_b64 v[233:236], v255 offset1:1
	s_mov_b32 s1, exec_lo
	v_cmpx_lt_u32_e32 47, v0
	s_cbranch_execz .LBB99_433
; %bb.432:
	s_waitcnt lgkmcnt(0)
	v_mul_f64 v[237:238], v[233:234], v[11:12]
	v_mul_f64 v[11:12], v[235:236], v[11:12]
	v_fma_f64 v[241:242], v[235:236], v[9:10], v[237:238]
	ds_read2_b64 v[237:240], v253 offset0:96 offset1:97
	v_fma_f64 v[9:10], v[233:234], v[9:10], -v[11:12]
	s_waitcnt lgkmcnt(0)
	v_mul_f64 v[11:12], v[239:240], v[241:242]
	v_fma_f64 v[11:12], v[237:238], v[9:10], -v[11:12]
	v_mul_f64 v[237:238], v[237:238], v[241:242]
	v_add_f64 v[5:6], v[5:6], -v[11:12]
	v_fma_f64 v[237:238], v[239:240], v[9:10], v[237:238]
	v_add_f64 v[7:8], v[7:8], -v[237:238]
	ds_read2_b64 v[237:240], v253 offset0:98 offset1:99
	s_waitcnt lgkmcnt(0)
	v_mul_f64 v[11:12], v[239:240], v[241:242]
	v_fma_f64 v[11:12], v[237:238], v[9:10], -v[11:12]
	v_mul_f64 v[237:238], v[237:238], v[241:242]
	v_add_f64 v[1:2], v[1:2], -v[11:12]
	v_fma_f64 v[237:238], v[239:240], v[9:10], v[237:238]
	v_mov_b32_e32 v11, v241
	v_mov_b32_e32 v12, v242
	v_add_f64 v[3:4], v[3:4], -v[237:238]
.LBB99_433:
	s_or_b32 exec_lo, exec_lo, s1
	s_mov_b32 s2, exec_lo
	s_waitcnt lgkmcnt(0)
	s_barrier
	buffer_gl0_inv
	v_cmpx_eq_u32_e32 48, v0
	s_cbranch_execz .LBB99_440
; %bb.434:
	ds_write2_b64 v255, v[5:6], v[7:8] offset1:1
	ds_write2_b64 v253, v[1:2], v[3:4] offset0:98 offset1:99
	ds_read2_b64 v[237:240], v255 offset1:1
	s_waitcnt lgkmcnt(0)
	v_cmp_neq_f64_e32 vcc_lo, 0, v[237:238]
	v_cmp_neq_f64_e64 s1, 0, v[239:240]
	s_or_b32 s1, vcc_lo, s1
	s_and_b32 exec_lo, exec_lo, s1
	s_cbranch_execz .LBB99_440
; %bb.435:
	v_cmp_ngt_f64_e64 s1, |v[237:238]|, |v[239:240]|
                                        ; implicit-def: $vgpr241_vgpr242
	s_and_saveexec_b32 s3, s1
	s_xor_b32 s1, exec_lo, s3
                                        ; implicit-def: $vgpr243_vgpr244
	s_cbranch_execz .LBB99_437
; %bb.436:
	v_div_scale_f64 v[241:242], null, v[239:240], v[239:240], v[237:238]
	v_mov_b32_e32 v201, v247
	v_mov_b32_e32 v202, v248
	v_div_scale_f64 v[247:248], vcc_lo, v[237:238], v[239:240], v[237:238]
	v_rcp_f64_e32 v[243:244], v[241:242]
	v_fma_f64 v[245:246], -v[241:242], v[243:244], 1.0
	v_fma_f64 v[243:244], v[243:244], v[245:246], v[243:244]
	v_fma_f64 v[245:246], -v[241:242], v[243:244], 1.0
	v_fma_f64 v[243:244], v[243:244], v[245:246], v[243:244]
	v_mul_f64 v[245:246], v[247:248], v[243:244]
	v_fma_f64 v[241:242], -v[241:242], v[245:246], v[247:248]
	v_div_fmas_f64 v[241:242], v[241:242], v[243:244], v[245:246]
	v_div_fixup_f64 v[241:242], v[241:242], v[239:240], v[237:238]
	v_fma_f64 v[237:238], v[237:238], v[241:242], v[239:240]
	v_div_scale_f64 v[239:240], null, v[237:238], v[237:238], 1.0
	v_rcp_f64_e32 v[243:244], v[239:240]
	v_fma_f64 v[245:246], -v[239:240], v[243:244], 1.0
	v_fma_f64 v[243:244], v[243:244], v[245:246], v[243:244]
	v_fma_f64 v[245:246], -v[239:240], v[243:244], 1.0
	v_fma_f64 v[243:244], v[243:244], v[245:246], v[243:244]
	v_div_scale_f64 v[245:246], vcc_lo, 1.0, v[237:238], 1.0
	v_mul_f64 v[247:248], v[245:246], v[243:244]
	v_fma_f64 v[239:240], -v[239:240], v[247:248], v[245:246]
	v_div_fmas_f64 v[239:240], v[239:240], v[243:244], v[247:248]
	v_mov_b32_e32 v248, v202
	v_mov_b32_e32 v247, v201
	v_div_fixup_f64 v[243:244], v[239:240], v[237:238], 1.0
                                        ; implicit-def: $vgpr237_vgpr238
	v_mul_f64 v[241:242], v[241:242], v[243:244]
	v_xor_b32_e32 v244, 0x80000000, v244
.LBB99_437:
	s_andn2_saveexec_b32 s1, s1
	s_cbranch_execz .LBB99_439
; %bb.438:
	v_div_scale_f64 v[241:242], null, v[237:238], v[237:238], v[239:240]
	v_mov_b32_e32 v201, v247
	v_mov_b32_e32 v202, v248
	v_div_scale_f64 v[247:248], vcc_lo, v[239:240], v[237:238], v[239:240]
	v_rcp_f64_e32 v[243:244], v[241:242]
	v_fma_f64 v[245:246], -v[241:242], v[243:244], 1.0
	v_fma_f64 v[243:244], v[243:244], v[245:246], v[243:244]
	v_fma_f64 v[245:246], -v[241:242], v[243:244], 1.0
	v_fma_f64 v[243:244], v[243:244], v[245:246], v[243:244]
	v_mul_f64 v[245:246], v[247:248], v[243:244]
	v_fma_f64 v[241:242], -v[241:242], v[245:246], v[247:248]
	v_div_fmas_f64 v[241:242], v[241:242], v[243:244], v[245:246]
	v_div_fixup_f64 v[243:244], v[241:242], v[237:238], v[239:240]
	v_fma_f64 v[237:238], v[239:240], v[243:244], v[237:238]
	v_div_scale_f64 v[239:240], null, v[237:238], v[237:238], 1.0
	v_rcp_f64_e32 v[241:242], v[239:240]
	v_fma_f64 v[245:246], -v[239:240], v[241:242], 1.0
	v_fma_f64 v[241:242], v[241:242], v[245:246], v[241:242]
	v_fma_f64 v[245:246], -v[239:240], v[241:242], 1.0
	v_fma_f64 v[241:242], v[241:242], v[245:246], v[241:242]
	v_div_scale_f64 v[245:246], vcc_lo, 1.0, v[237:238], 1.0
	v_mul_f64 v[247:248], v[245:246], v[241:242]
	v_fma_f64 v[239:240], -v[239:240], v[247:248], v[245:246]
	v_div_fmas_f64 v[239:240], v[239:240], v[241:242], v[247:248]
	v_mov_b32_e32 v248, v202
	v_mov_b32_e32 v247, v201
	v_div_fixup_f64 v[241:242], v[239:240], v[237:238], 1.0
	v_mul_f64 v[243:244], v[243:244], -v[241:242]
.LBB99_439:
	s_or_b32 exec_lo, exec_lo, s1
	ds_write2_b64 v255, v[241:242], v[243:244] offset1:1
.LBB99_440:
	s_or_b32 exec_lo, exec_lo, s2
	s_waitcnt lgkmcnt(0)
	s_barrier
	buffer_gl0_inv
	ds_read2_b64 v[237:240], v255 offset1:1
	s_mov_b32 s1, exec_lo
	v_cmpx_lt_u32_e32 48, v0
	s_cbranch_execz .LBB99_442
; %bb.441:
	s_waitcnt lgkmcnt(0)
	v_mul_f64 v[241:242], v[237:238], v[7:8]
	v_mul_f64 v[7:8], v[239:240], v[7:8]
	v_fma_f64 v[245:246], v[239:240], v[5:6], v[241:242]
	ds_read2_b64 v[241:244], v253 offset0:98 offset1:99
	v_fma_f64 v[5:6], v[237:238], v[5:6], -v[7:8]
	s_waitcnt lgkmcnt(0)
	v_mul_f64 v[7:8], v[243:244], v[245:246]
	v_fma_f64 v[7:8], v[241:242], v[5:6], -v[7:8]
	v_mul_f64 v[241:242], v[241:242], v[245:246]
	v_add_f64 v[1:2], v[1:2], -v[7:8]
	v_fma_f64 v[241:242], v[243:244], v[5:6], v[241:242]
	v_mov_b32_e32 v7, v245
	v_mov_b32_e32 v8, v246
	v_add_f64 v[3:4], v[3:4], -v[241:242]
.LBB99_442:
	s_or_b32 exec_lo, exec_lo, s1
	s_mov_b32 s2, exec_lo
	s_waitcnt lgkmcnt(0)
	s_barrier
	buffer_gl0_inv
	v_cmpx_eq_u32_e32 49, v0
	s_cbranch_execz .LBB99_449
; %bb.443:
	v_cmp_neq_f64_e32 vcc_lo, 0, v[1:2]
	v_cmp_neq_f64_e64 s1, 0, v[3:4]
	ds_write2_b64 v255, v[1:2], v[3:4] offset1:1
	s_or_b32 s1, vcc_lo, s1
	s_and_b32 exec_lo, exec_lo, s1
	s_cbranch_execz .LBB99_449
; %bb.444:
	v_cmp_ngt_f64_e64 s1, |v[1:2]|, |v[3:4]|
                                        ; implicit-def: $vgpr241_vgpr242
	s_and_saveexec_b32 s3, s1
	s_xor_b32 s1, exec_lo, s3
                                        ; implicit-def: $vgpr243_vgpr244
	s_cbranch_execz .LBB99_446
; %bb.445:
	v_div_scale_f64 v[241:242], null, v[3:4], v[3:4], v[1:2]
	v_mov_b32_e32 v203, v247
	v_mov_b32_e32 v204, v248
	v_div_scale_f64 v[247:248], vcc_lo, v[1:2], v[3:4], v[1:2]
	v_mov_b32_e32 v201, v249
	v_mov_b32_e32 v202, v250
	v_rcp_f64_e32 v[243:244], v[241:242]
	v_fma_f64 v[245:246], -v[241:242], v[243:244], 1.0
	v_fma_f64 v[243:244], v[243:244], v[245:246], v[243:244]
	v_fma_f64 v[245:246], -v[241:242], v[243:244], 1.0
	v_fma_f64 v[243:244], v[243:244], v[245:246], v[243:244]
	v_mul_f64 v[245:246], v[247:248], v[243:244]
	v_fma_f64 v[241:242], -v[241:242], v[245:246], v[247:248]
	v_div_fmas_f64 v[241:242], v[241:242], v[243:244], v[245:246]
	v_div_fixup_f64 v[241:242], v[241:242], v[3:4], v[1:2]
	v_fma_f64 v[243:244], v[1:2], v[241:242], v[3:4]
	v_div_scale_f64 v[245:246], null, v[243:244], v[243:244], 1.0
	v_rcp_f64_e32 v[247:248], v[245:246]
	v_fma_f64 v[253:254], -v[245:246], v[247:248], 1.0
	v_fma_f64 v[247:248], v[247:248], v[253:254], v[247:248]
	v_fma_f64 v[253:254], -v[245:246], v[247:248], 1.0
	v_fma_f64 v[247:248], v[247:248], v[253:254], v[247:248]
	v_div_scale_f64 v[253:254], vcc_lo, 1.0, v[243:244], 1.0
	v_mul_f64 v[249:250], v[253:254], v[247:248]
	v_fma_f64 v[245:246], -v[245:246], v[249:250], v[253:254]
	v_div_fmas_f64 v[245:246], v[245:246], v[247:248], v[249:250]
	v_mov_b32_e32 v248, v204
	v_mov_b32_e32 v250, v202
	;; [unrolled: 1-line block ×4, first 2 shown]
	v_div_fixup_f64 v[243:244], v[245:246], v[243:244], 1.0
	v_mul_f64 v[241:242], v[241:242], v[243:244]
	v_xor_b32_e32 v244, 0x80000000, v244
.LBB99_446:
	s_andn2_saveexec_b32 s1, s1
	s_cbranch_execz .LBB99_448
; %bb.447:
	v_div_scale_f64 v[241:242], null, v[1:2], v[1:2], v[3:4]
	v_mov_b32_e32 v203, v247
	v_mov_b32_e32 v204, v248
	v_div_scale_f64 v[247:248], vcc_lo, v[3:4], v[1:2], v[3:4]
	v_mov_b32_e32 v201, v249
	v_mov_b32_e32 v202, v250
	;; [unrolled: 1-line block ×4, first 2 shown]
	v_rcp_f64_e32 v[243:244], v[241:242]
	v_fma_f64 v[245:246], -v[241:242], v[243:244], 1.0
	v_fma_f64 v[243:244], v[243:244], v[245:246], v[243:244]
	v_fma_f64 v[245:246], -v[241:242], v[243:244], 1.0
	v_fma_f64 v[243:244], v[243:244], v[245:246], v[243:244]
	v_mul_f64 v[245:246], v[247:248], v[243:244]
	v_fma_f64 v[241:242], -v[241:242], v[245:246], v[247:248]
	v_div_fmas_f64 v[241:242], v[241:242], v[243:244], v[245:246]
	v_div_fixup_f64 v[243:244], v[241:242], v[1:2], v[3:4]
	v_fma_f64 v[241:242], v[3:4], v[243:244], v[1:2]
	v_div_scale_f64 v[245:246], null, v[241:242], v[241:242], 1.0
	v_rcp_f64_e32 v[247:248], v[245:246]
	v_fma_f64 v[249:250], -v[245:246], v[247:248], 1.0
	v_fma_f64 v[247:248], v[247:248], v[249:250], v[247:248]
	v_fma_f64 v[249:250], -v[245:246], v[247:248], 1.0
	v_fma_f64 v[247:248], v[247:248], v[249:250], v[247:248]
	v_div_scale_f64 v[249:250], vcc_lo, 1.0, v[241:242], 1.0
	v_mul_f64 v[251:252], v[249:250], v[247:248]
	v_fma_f64 v[245:246], -v[245:246], v[251:252], v[249:250]
	v_mov_b32_e32 v250, v202
	v_mov_b32_e32 v249, v201
	v_div_fmas_f64 v[245:246], v[245:246], v[247:248], v[251:252]
	v_mov_b32_e32 v248, v204
	v_mov_b32_e32 v251, v253
	;; [unrolled: 1-line block ×4, first 2 shown]
	v_div_fixup_f64 v[241:242], v[245:246], v[241:242], 1.0
	v_mul_f64 v[243:244], v[243:244], -v[241:242]
.LBB99_448:
	s_or_b32 exec_lo, exec_lo, s1
	ds_write2_b64 v255, v[241:242], v[243:244] offset1:1
.LBB99_449:
	s_or_b32 exec_lo, exec_lo, s2
	s_waitcnt lgkmcnt(0)
	s_barrier
	buffer_gl0_inv
	ds_read2_b64 v[241:244], v255 offset1:1
	s_mov_b32 s1, exec_lo
	v_cmpx_lt_u32_e32 49, v0
	s_cbranch_execz .LBB99_451
; %bb.450:
	s_waitcnt lgkmcnt(0)
	v_mul_f64 v[245:246], v[243:244], v[3:4]
	v_mul_f64 v[3:4], v[241:242], v[3:4]
	v_fma_f64 v[245:246], v[241:242], v[1:2], -v[245:246]
	v_fma_f64 v[3:4], v[243:244], v[1:2], v[3:4]
	v_mov_b32_e32 v1, v245
	v_mov_b32_e32 v2, v246
.LBB99_451:
	s_or_b32 exec_lo, exec_lo, s1
	s_waitcnt lgkmcnt(0)
	s_barrier
	buffer_gl0_inv
	s_and_saveexec_b32 s6, s0
	s_cbranch_execz .LBB99_454
; %bb.452:
	s_clause 0x3
	buffer_load_dword v201, off, s[16:19], 0 offset:376
	buffer_load_dword v202, off, s[16:19], 0 offset:380
	;; [unrolled: 1-line block ×4, first 2 shown]
	s_waitcnt vmcnt(2)
	v_cmp_eq_f64_e32 vcc_lo, 0, v[201:202]
	s_waitcnt vmcnt(0)
	v_cmp_eq_f64_e64 s0, 0, v[203:204]
	s_clause 0x3
	buffer_load_dword v201, off, s[16:19], 0 offset:392
	buffer_load_dword v202, off, s[16:19], 0 offset:396
	buffer_load_dword v203, off, s[16:19], 0 offset:400
	buffer_load_dword v204, off, s[16:19], 0 offset:404
	s_and_b32 s0, vcc_lo, s0
	v_cndmask_b32_e64 v0, 0, 1, s0
	s_waitcnt vmcnt(2)
	v_cmp_neq_f64_e64 s1, 0, v[201:202]
	s_waitcnt vmcnt(0)
	v_cmp_neq_f64_e64 s2, 0, v[203:204]
	s_clause 0x3
	buffer_load_dword v201, off, s[16:19], 0 offset:408
	buffer_load_dword v202, off, s[16:19], 0 offset:412
	buffer_load_dword v203, off, s[16:19], 0 offset:416
	buffer_load_dword v204, off, s[16:19], 0 offset:420
	s_or_b32 s1, s1, s2
	s_or_b32 s0, s1, s0
	v_cndmask_b32_e64 v0, 2, v0, s0
	v_cmp_eq_u32_e64 s0, 0, v0
	s_waitcnt vmcnt(2)
	v_cmp_eq_f64_e64 s3, 0, v[201:202]
	s_waitcnt vmcnt(0)
	v_cmp_eq_f64_e64 s4, 0, v[203:204]
	s_clause 0x3
	buffer_load_dword v201, off, s[16:19], 0 offset:424
	buffer_load_dword v202, off, s[16:19], 0 offset:428
	;; [unrolled: 1-line block ×4, first 2 shown]
	s_and_b32 s3, s3, s4
	s_and_b32 s0, s3, s0
	v_cndmask_b32_e64 v0, v0, 3, s0
	v_cmp_eq_u32_e64 s0, 0, v0
	s_waitcnt vmcnt(2)
	v_cmp_eq_f64_e64 s5, 0, v[201:202]
	s_waitcnt vmcnt(0)
	v_cmp_eq_f64_e32 vcc_lo, 0, v[203:204]
	s_clause 0x3
	buffer_load_dword v201, off, s[16:19], 0 offset:440
	buffer_load_dword v202, off, s[16:19], 0 offset:444
	buffer_load_dword v203, off, s[16:19], 0 offset:448
	buffer_load_dword v204, off, s[16:19], 0 offset:452
	s_and_b32 s5, s5, vcc_lo
	s_and_b32 s0, s5, s0
	v_cndmask_b32_e64 v0, v0, 4, s0
	v_cmp_eq_u32_e32 vcc_lo, 0, v0
	s_waitcnt vmcnt(2)
	v_cmp_eq_f64_e64 s1, 0, v[201:202]
	s_waitcnt vmcnt(0)
	v_cmp_eq_f64_e64 s2, 0, v[203:204]
	s_clause 0x3
	buffer_load_dword v201, off, s[16:19], 0 offset:456
	buffer_load_dword v202, off, s[16:19], 0 offset:460
	buffer_load_dword v203, off, s[16:19], 0 offset:464
	buffer_load_dword v204, off, s[16:19], 0 offset:468
	s_and_b32 s1, s1, s2
	s_and_b32 s1, s1, vcc_lo
	v_cndmask_b32_e64 v0, v0, 5, s1
	v_cmp_eq_u32_e32 vcc_lo, 0, v0
	s_waitcnt vmcnt(2)
	v_cmp_eq_f64_e64 s3, 0, v[201:202]
	s_waitcnt vmcnt(0)
	v_cmp_eq_f64_e64 s4, 0, v[203:204]
	s_clause 0x3
	buffer_load_dword v201, off, s[16:19], 0 offset:472
	buffer_load_dword v202, off, s[16:19], 0 offset:476
	buffer_load_dword v203, off, s[16:19], 0 offset:480
	buffer_load_dword v204, off, s[16:19], 0 offset:484
	s_and_b32 s3, s3, s4
	s_and_b32 s3, s3, vcc_lo
	;; [unrolled: 13-line block ×14, first 2 shown]
	v_cndmask_b32_e64 v0, v0, 18, s3
	v_cmp_eq_u32_e64 s4, 0, v0
	s_waitcnt vmcnt(2)
	v_cmp_eq_f64_e64 s0, 0, v[201:202]
	s_waitcnt vmcnt(0)
	v_cmp_eq_f64_e64 s5, 0, v[203:204]
	s_clause 0x3
	buffer_load_dword v201, off, s[16:19], 0 offset:680
	buffer_load_dword v202, off, s[16:19], 0 offset:684
	;; [unrolled: 1-line block ×4, first 2 shown]
	s_and_b32 s0, s0, s5
	s_and_b32 s0, s0, s4
	v_cndmask_b32_e64 v0, v0, 19, s0
	v_cmp_eq_u32_e64 s0, 0, v0
	s_waitcnt vmcnt(2)
	v_cmp_eq_f64_e64 s1, 0, v[201:202]
	s_waitcnt vmcnt(0)
	v_cmp_eq_f64_e64 s2, 0, v[203:204]
	s_clause 0x3
	buffer_load_dword v201, off, s[16:19], 0 offset:696
	buffer_load_dword v202, off, s[16:19], 0 offset:700
	buffer_load_dword v203, off, s[16:19], 0 offset:704
	buffer_load_dword v204, off, s[16:19], 0 offset:708
	s_and_b32 s1, s1, s2
	s_and_b32 s0, s1, s0
	v_cndmask_b32_e64 v0, v0, 20, s0
	s_waitcnt vmcnt(2)
	v_cmp_eq_f64_e32 vcc_lo, 0, v[201:202]
	s_waitcnt vmcnt(0)
	v_cmp_eq_f64_e64 s3, 0, v[203:204]
	s_clause 0x3
	buffer_load_dword v201, off, s[16:19], 0 offset:712
	buffer_load_dword v202, off, s[16:19], 0 offset:716
	;; [unrolled: 1-line block ×4, first 2 shown]
	s_and_b32 s3, vcc_lo, s3
	v_cmp_eq_u32_e32 vcc_lo, 0, v0
	s_waitcnt vmcnt(2)
	v_cmp_eq_f64_e64 s4, 0, v[201:202]
	s_clause 0x1
	buffer_load_dword v201, off, s[16:19], 0 offset:1016
	buffer_load_dword v202, off, s[16:19], 0 offset:1020
	s_waitcnt vmcnt(2)
	v_cmp_eq_f64_e64 s5, 0, v[203:204]
	s_and_b32 s4, s4, s5
	s_waitcnt vmcnt(0)
	v_lshlrev_b64 v[245:246], 2, v[201:202]
	s_clause 0x3
	buffer_load_dword v201, off, s[16:19], 0 offset:728
	buffer_load_dword v202, off, s[16:19], 0 offset:732
	;; [unrolled: 1-line block ×4, first 2 shown]
	v_add_co_u32 v253, s2, s10, v245
	v_add_co_ci_u32_e64 v254, null, s11, v246, s2
	s_and_b32 s2, s3, vcc_lo
	v_cndmask_b32_e64 v0, v0, 21, s2
	global_load_dword v245, v[253:254], off
	v_cmp_eq_u32_e32 vcc_lo, 0, v0
	s_and_b32 s4, s4, vcc_lo
	v_cndmask_b32_e64 v0, v0, 22, s4
	v_cmp_eq_u32_e32 vcc_lo, 0, v0
	s_waitcnt vmcnt(3)
	v_cmp_eq_f64_e64 s0, 0, v[201:202]
	s_waitcnt vmcnt(1)
	v_cmp_eq_f64_e64 s1, 0, v[203:204]
	s_clause 0x3
	buffer_load_dword v201, off, s[16:19], 0 offset:744
	buffer_load_dword v202, off, s[16:19], 0 offset:748
	buffer_load_dword v203, off, s[16:19], 0 offset:752
	buffer_load_dword v204, off, s[16:19], 0 offset:756
	s_and_b32 s0, s0, s1
	s_and_b32 s0, s0, vcc_lo
	v_cndmask_b32_e64 v0, v0, 23, s0
	v_cmp_eq_u32_e32 vcc_lo, 0, v0
	s_waitcnt vmcnt(2)
	v_cmp_eq_f64_e64 s2, 0, v[201:202]
	s_waitcnt vmcnt(0)
	v_cmp_eq_f64_e64 s3, 0, v[203:204]
	s_clause 0x3
	buffer_load_dword v201, off, s[16:19], 0 offset:760
	buffer_load_dword v202, off, s[16:19], 0 offset:764
	buffer_load_dword v203, off, s[16:19], 0 offset:768
	buffer_load_dword v204, off, s[16:19], 0 offset:772
	s_and_b32 s2, s2, s3
	;; [unrolled: 13-line block ×16, first 2 shown]
	v_cmp_eq_f64_e64 s1, 0, v[207:208]
	s_and_b32 s0, s0, vcc_lo
	v_cndmask_b32_e64 v0, v0, 38, s0
	v_cmp_eq_f64_e64 s0, 0, v[205:206]
	v_cmp_eq_u32_e32 vcc_lo, 0, v0
	s_and_b32 s0, s0, s1
	v_cmp_eq_f64_e64 s1, 0, v[219:220]
	s_waitcnt vmcnt(2)
	v_cmp_eq_f64_e64 s2, 0, v[201:202]
	s_waitcnt vmcnt(0)
	v_cmp_eq_f64_e64 s3, 0, v[203:204]
	s_clause 0x3
	buffer_load_dword v201, off, s[16:19], 0 offset:1000
	buffer_load_dword v202, off, s[16:19], 0 offset:1004
	;; [unrolled: 1-line block ×4, first 2 shown]
	s_and_b32 s2, s2, s3
	v_cmp_eq_f64_e64 s3, 0, v[211:212]
	s_and_b32 s2, s2, vcc_lo
	v_cndmask_b32_e64 v0, v0, 39, s2
	v_cmp_eq_f64_e64 s2, 0, v[209:210]
	v_cmp_eq_u32_e32 vcc_lo, 0, v0
	s_and_b32 s2, s2, s3
	v_cmp_eq_f64_e64 s3, 0, v[223:224]
	s_waitcnt vmcnt(2)
	v_cmp_eq_f64_e64 s4, 0, v[201:202]
	s_waitcnt vmcnt(0)
	v_cmp_eq_f64_e64 s5, 0, v[203:204]
	s_and_b32 s4, s4, s5
	v_cmp_eq_f64_e64 s5, 0, v[215:216]
	s_and_b32 s4, s4, vcc_lo
	v_cndmask_b32_e64 v0, v0, 40, s4
	v_cmp_eq_f64_e64 s4, 0, v[213:214]
	v_cmp_eq_u32_e32 vcc_lo, 0, v0
	s_and_b32 s0, s0, vcc_lo
	v_cndmask_b32_e64 v0, v0, 41, s0
	v_cmp_eq_f64_e64 s0, 0, v[217:218]
	v_cmp_eq_u32_e32 vcc_lo, 0, v0
	s_and_b32 s2, s2, vcc_lo
	s_and_b32 s4, s4, s5
	v_cndmask_b32_e64 v0, v0, 42, s2
	v_cmp_eq_f64_e64 s2, 0, v[221:222]
	v_cmp_eq_f64_e64 s5, 0, v[227:228]
	v_cmp_eq_u32_e32 vcc_lo, 0, v0
	s_and_b32 s4, s4, vcc_lo
	s_and_b32 s0, s0, s1
	v_cndmask_b32_e64 v0, v0, 43, s4
	v_cmp_eq_f64_e64 s4, 0, v[225:226]
	;; [unrolled: 6-line block ×6, first 2 shown]
	v_cmp_eq_u32_e32 vcc_lo, 0, v0
	s_and_b32 s2, s2, vcc_lo
	v_cndmask_b32_e64 v0, v0, 48, s2
	s_and_b32 s2, s4, s5
	v_cmp_eq_u32_e32 vcc_lo, 0, v0
	s_and_b32 s2, s2, vcc_lo
	s_and_b32 s0, s0, s1
	v_cndmask_b32_e64 v0, v0, 49, s2
	v_cmp_eq_u32_e32 vcc_lo, 0, v0
	s_and_b32 s0, s0, vcc_lo
	v_cmp_eq_u32_e32 vcc_lo, 0, v245
	v_cndmask_b32_e64 v0, v0, 50, s0
	v_cmp_ne_u32_e64 s0, 0, v0
	s_and_b32 s0, vcc_lo, s0
	s_and_b32 exec_lo, exec_lo, s0
	s_cbranch_execz .LBB99_454
; %bb.453:
	v_add_nc_u32_e32 v0, s13, v0
	global_store_dword v[253:254], v0, off
.LBB99_454:
	s_or_b32 exec_lo, exec_lo, s6
	s_clause 0x1
	buffer_load_dword v201, off, s[16:19], 0 offset:360
	buffer_load_dword v202, off, s[16:19], 0 offset:364
	s_waitcnt vmcnt(0)
	global_store_dwordx4 v[201:202], v[197:200], off
	s_clause 0x1
	buffer_load_dword v197, off, s[16:19], 0 offset:368
	buffer_load_dword v198, off, s[16:19], 0 offset:372
	s_waitcnt vmcnt(0)
	global_store_dwordx4 v[197:198], v[193:196], off
	global_store_dwordx4 v[247:248], v[189:192], off
	;; [unrolled: 1-line block ×4, first 2 shown]
	s_clause 0x1
	buffer_load_dword v181, off, s[16:19], 0
	buffer_load_dword v182, off, s[16:19], 0 offset:4
	s_waitcnt vmcnt(0)
	global_store_dwordx4 v[181:182], v[177:180], off
	s_clause 0x1
	buffer_load_dword v177, off, s[16:19], 0 offset:8
	buffer_load_dword v178, off, s[16:19], 0 offset:12
	s_waitcnt vmcnt(0)
	global_store_dwordx4 v[177:178], v[173:176], off
	s_clause 0x1
	buffer_load_dword v173, off, s[16:19], 0 offset:16
	;; [unrolled: 5-line block ×44, first 2 shown]
	buffer_load_dword v6, off, s[16:19], 0 offset:356
	s_waitcnt vmcnt(0)
	global_store_dwordx4 v[5:6], v[1:4], off
.LBB99_455:
	s_endpgm
	.section	.rodata,"a",@progbits
	.p2align	6, 0x0
	.amdhsa_kernel _ZN9rocsolver6v33100L23getf2_npvt_small_kernelILi50E19rocblas_complex_numIdEiiPS3_EEvT1_T3_lS5_lPT2_S5_S5_
		.amdhsa_group_segment_fixed_size 0
		.amdhsa_private_segment_fixed_size 1028
		.amdhsa_kernarg_size 312
		.amdhsa_user_sgpr_count 6
		.amdhsa_user_sgpr_private_segment_buffer 1
		.amdhsa_user_sgpr_dispatch_ptr 0
		.amdhsa_user_sgpr_queue_ptr 0
		.amdhsa_user_sgpr_kernarg_segment_ptr 1
		.amdhsa_user_sgpr_dispatch_id 0
		.amdhsa_user_sgpr_flat_scratch_init 0
		.amdhsa_user_sgpr_private_segment_size 0
		.amdhsa_wavefront_size32 1
		.amdhsa_uses_dynamic_stack 0
		.amdhsa_system_sgpr_private_segment_wavefront_offset 1
		.amdhsa_system_sgpr_workgroup_id_x 1
		.amdhsa_system_sgpr_workgroup_id_y 1
		.amdhsa_system_sgpr_workgroup_id_z 0
		.amdhsa_system_sgpr_workgroup_info 0
		.amdhsa_system_vgpr_workitem_id 1
		.amdhsa_next_free_vgpr 256
		.amdhsa_next_free_sgpr 20
		.amdhsa_reserve_vcc 1
		.amdhsa_reserve_flat_scratch 0
		.amdhsa_float_round_mode_32 0
		.amdhsa_float_round_mode_16_64 0
		.amdhsa_float_denorm_mode_32 3
		.amdhsa_float_denorm_mode_16_64 3
		.amdhsa_dx10_clamp 1
		.amdhsa_ieee_mode 1
		.amdhsa_fp16_overflow 0
		.amdhsa_workgroup_processor_mode 1
		.amdhsa_memory_ordered 1
		.amdhsa_forward_progress 1
		.amdhsa_shared_vgpr_count 0
		.amdhsa_exception_fp_ieee_invalid_op 0
		.amdhsa_exception_fp_denorm_src 0
		.amdhsa_exception_fp_ieee_div_zero 0
		.amdhsa_exception_fp_ieee_overflow 0
		.amdhsa_exception_fp_ieee_underflow 0
		.amdhsa_exception_fp_ieee_inexact 0
		.amdhsa_exception_int_div_zero 0
	.end_amdhsa_kernel
	.section	.text._ZN9rocsolver6v33100L23getf2_npvt_small_kernelILi50E19rocblas_complex_numIdEiiPS3_EEvT1_T3_lS5_lPT2_S5_S5_,"axG",@progbits,_ZN9rocsolver6v33100L23getf2_npvt_small_kernelILi50E19rocblas_complex_numIdEiiPS3_EEvT1_T3_lS5_lPT2_S5_S5_,comdat
.Lfunc_end99:
	.size	_ZN9rocsolver6v33100L23getf2_npvt_small_kernelILi50E19rocblas_complex_numIdEiiPS3_EEvT1_T3_lS5_lPT2_S5_S5_, .Lfunc_end99-_ZN9rocsolver6v33100L23getf2_npvt_small_kernelILi50E19rocblas_complex_numIdEiiPS3_EEvT1_T3_lS5_lPT2_S5_S5_
                                        ; -- End function
	.set _ZN9rocsolver6v33100L23getf2_npvt_small_kernelILi50E19rocblas_complex_numIdEiiPS3_EEvT1_T3_lS5_lPT2_S5_S5_.num_vgpr, 256
	.set _ZN9rocsolver6v33100L23getf2_npvt_small_kernelILi50E19rocblas_complex_numIdEiiPS3_EEvT1_T3_lS5_lPT2_S5_S5_.num_agpr, 0
	.set _ZN9rocsolver6v33100L23getf2_npvt_small_kernelILi50E19rocblas_complex_numIdEiiPS3_EEvT1_T3_lS5_lPT2_S5_S5_.numbered_sgpr, 20
	.set _ZN9rocsolver6v33100L23getf2_npvt_small_kernelILi50E19rocblas_complex_numIdEiiPS3_EEvT1_T3_lS5_lPT2_S5_S5_.num_named_barrier, 0
	.set _ZN9rocsolver6v33100L23getf2_npvt_small_kernelILi50E19rocblas_complex_numIdEiiPS3_EEvT1_T3_lS5_lPT2_S5_S5_.private_seg_size, 1028
	.set _ZN9rocsolver6v33100L23getf2_npvt_small_kernelILi50E19rocblas_complex_numIdEiiPS3_EEvT1_T3_lS5_lPT2_S5_S5_.uses_vcc, 1
	.set _ZN9rocsolver6v33100L23getf2_npvt_small_kernelILi50E19rocblas_complex_numIdEiiPS3_EEvT1_T3_lS5_lPT2_S5_S5_.uses_flat_scratch, 0
	.set _ZN9rocsolver6v33100L23getf2_npvt_small_kernelILi50E19rocblas_complex_numIdEiiPS3_EEvT1_T3_lS5_lPT2_S5_S5_.has_dyn_sized_stack, 0
	.set _ZN9rocsolver6v33100L23getf2_npvt_small_kernelILi50E19rocblas_complex_numIdEiiPS3_EEvT1_T3_lS5_lPT2_S5_S5_.has_recursion, 0
	.set _ZN9rocsolver6v33100L23getf2_npvt_small_kernelILi50E19rocblas_complex_numIdEiiPS3_EEvT1_T3_lS5_lPT2_S5_S5_.has_indirect_call, 0
	.section	.AMDGPU.csdata,"",@progbits
; Kernel info:
; codeLenInByte = 123472
; TotalNumSgprs: 22
; NumVgprs: 256
; ScratchSize: 1028
; MemoryBound: 1
; FloatMode: 240
; IeeeMode: 1
; LDSByteSize: 0 bytes/workgroup (compile time only)
; SGPRBlocks: 0
; VGPRBlocks: 31
; NumSGPRsForWavesPerEU: 22
; NumVGPRsForWavesPerEU: 256
; Occupancy: 4
; WaveLimiterHint : 0
; COMPUTE_PGM_RSRC2:SCRATCH_EN: 1
; COMPUTE_PGM_RSRC2:USER_SGPR: 6
; COMPUTE_PGM_RSRC2:TRAP_HANDLER: 0
; COMPUTE_PGM_RSRC2:TGID_X_EN: 1
; COMPUTE_PGM_RSRC2:TGID_Y_EN: 1
; COMPUTE_PGM_RSRC2:TGID_Z_EN: 0
; COMPUTE_PGM_RSRC2:TIDIG_COMP_CNT: 1
	.section	.text._ZN9rocsolver6v33100L18getf2_small_kernelILi51E19rocblas_complex_numIdEiiPS3_EEvT1_T3_lS5_lPS5_llPT2_S5_S5_S7_l,"axG",@progbits,_ZN9rocsolver6v33100L18getf2_small_kernelILi51E19rocblas_complex_numIdEiiPS3_EEvT1_T3_lS5_lPS5_llPT2_S5_S5_S7_l,comdat
	.globl	_ZN9rocsolver6v33100L18getf2_small_kernelILi51E19rocblas_complex_numIdEiiPS3_EEvT1_T3_lS5_lPS5_llPT2_S5_S5_S7_l ; -- Begin function _ZN9rocsolver6v33100L18getf2_small_kernelILi51E19rocblas_complex_numIdEiiPS3_EEvT1_T3_lS5_lPS5_llPT2_S5_S5_S7_l
	.p2align	8
	.type	_ZN9rocsolver6v33100L18getf2_small_kernelILi51E19rocblas_complex_numIdEiiPS3_EEvT1_T3_lS5_lPS5_llPT2_S5_S5_S7_l,@function
_ZN9rocsolver6v33100L18getf2_small_kernelILi51E19rocblas_complex_numIdEiiPS3_EEvT1_T3_lS5_lPS5_llPT2_S5_S5_S7_l: ; @_ZN9rocsolver6v33100L18getf2_small_kernelILi51E19rocblas_complex_numIdEiiPS3_EEvT1_T3_lS5_lPS5_llPT2_S5_S5_S7_l
; %bb.0:
	s_clause 0x1
	s_load_dword s0, s[4:5], 0x6c
	s_load_dwordx2 s[16:17], s[4:5], 0x48
	s_waitcnt lgkmcnt(0)
	s_lshr_b32 s0, s0, 16
	v_mad_u64_u32 v[210:211], null, s7, s0, v[1:2]
	s_mov_b32 s0, exec_lo
	v_cmpx_gt_i32_e64 s16, v210
	s_cbranch_execnz .LBB100_1
; %bb.1075:
	s_getpc_b64 s[18:19]
.Lpost_getpc3:
	s_add_u32 s18, s18, (.LBB100_1074-.Lpost_getpc3)&4294967295
	s_addc_u32 s19, s19, (.LBB100_1074-.Lpost_getpc3)>>32
	s_setpc_b64 s[18:19]
.LBB100_1:
	s_load_dwordx4 s[0:3], s[4:5], 0x50
	v_mov_b32_e32 v212, 0
	v_ashrrev_i32_e32 v211, 31, v210
	v_mov_b32_e32 v213, 0
	s_waitcnt lgkmcnt(0)
	s_cmp_eq_u64 s[0:1], 0
	s_cselect_b32 s16, -1, 0
	s_and_b32 vcc_lo, exec_lo, s16
	s_cbranch_vccnz .LBB100_3
; %bb.2:
	v_mul_lo_u32 v4, s3, v210
	v_mul_lo_u32 v5, s2, v211
	v_mad_u64_u32 v[2:3], null, s2, v210, 0
	v_add3_u32 v3, v3, v5, v4
	v_lshlrev_b64 v[2:3], 2, v[2:3]
	v_add_co_u32 v212, vcc_lo, s0, v2
	v_add_co_ci_u32_e64 v213, null, s1, v3, vcc_lo
.LBB100_3:
	s_clause 0x2
	s_load_dwordx8 s[8:15], s[4:5], 0x20
	s_load_dword s6, s[4:5], 0x18
	s_load_dwordx4 s[0:3], s[4:5], 0x8
	v_lshlrev_b32_e32 v206, 4, v0
	s_waitcnt lgkmcnt(0)
	v_mul_lo_u32 v5, s9, v210
	v_mul_lo_u32 v7, s8, v211
	v_mad_u64_u32 v[2:3], null, s8, v210, 0
	v_add3_u32 v4, s6, s6, v0
	s_lshl_b64 s[2:3], s[2:3], 4
	s_ashr_i32 s7, s6, 31
	s_clause 0x1
	s_load_dword s8, s[4:5], 0x0
	s_load_dwordx2 s[4:5], s[4:5], 0x40
	v_add_nc_u32_e32 v6, s6, v4
	v_add3_u32 v3, v3, v7, v5
	v_ashrrev_i32_e32 v5, 31, v4
	v_add_nc_u32_e32 v8, s6, v6
	v_lshlrev_b64 v[2:3], 4, v[2:3]
	v_ashrrev_i32_e32 v7, 31, v6
	v_lshlrev_b64 v[4:5], 4, v[4:5]
	v_ashrrev_i32_e32 v9, 31, v8
	v_add_nc_u32_e32 v10, s6, v8
	v_add_co_u32 v12, vcc_lo, s0, v2
	v_add_co_ci_u32_e64 v13, null, s1, v3, vcc_lo
	v_lshlrev_b64 v[2:3], 4, v[8:9]
	v_add_nc_u32_e32 v8, s6, v10
	v_add_co_u32 v217, vcc_lo, v12, s2
	v_lshlrev_b64 v[6:7], 4, v[6:7]
	v_ashrrev_i32_e32 v11, 31, v10
	v_add_nc_u32_e32 v12, s6, v8
	v_add_co_ci_u32_e64 v218, null, s3, v13, vcc_lo
	v_ashrrev_i32_e32 v9, 31, v8
	v_add_co_u32 v4, vcc_lo, v217, v4
	v_add_nc_u32_e32 v14, s6, v12
	v_ashrrev_i32_e32 v13, 31, v12
	v_lshlrev_b64 v[10:11], 4, v[10:11]
	v_add_co_ci_u32_e64 v5, null, v218, v5, vcc_lo
	v_add_nc_u32_e32 v18, s6, v14
	v_add_co_u32 v6, vcc_lo, v217, v6
	v_ashrrev_i32_e32 v15, 31, v14
	v_add_co_ci_u32_e64 v7, null, v218, v7, vcc_lo
	v_add_nc_u32_e32 v20, s6, v18
	v_add_co_u32 v2, vcc_lo, v217, v2
	v_lshlrev_b64 v[8:9], 4, v[8:9]
	v_ashrrev_i32_e32 v19, 31, v18
	v_add_nc_u32_e32 v22, s6, v20
	v_add_co_ci_u32_e64 v3, null, v218, v3, vcc_lo
	v_add_co_u32 v16, vcc_lo, v217, v206
	v_add_nc_u32_e32 v24, s6, v22
	v_lshlrev_b64 v[12:13], 4, v[12:13]
	v_ashrrev_i32_e32 v21, 31, v20
	v_add_co_ci_u32_e64 v17, null, 0, v218, vcc_lo
	v_add_nc_u32_e32 v26, s6, v24
	v_add_co_u32 v10, vcc_lo, v217, v10
	v_lshlrev_b64 v[14:15], 4, v[14:15]
	v_ashrrev_i32_e32 v23, 31, v22
	v_add_nc_u32_e32 v28, s6, v26
	v_add_co_ci_u32_e64 v11, null, v218, v11, vcc_lo
	v_add_co_u32 v8, vcc_lo, v217, v8
	v_add_nc_u32_e32 v30, s6, v28
	v_lshlrev_b64 v[18:19], 4, v[18:19]
	;; [unrolled: 11-line block ×7, first 2 shown]
	v_ashrrev_i32_e32 v45, 31, v44
	v_add_co_ci_u32_e64 v33, null, v218, v33, vcc_lo
	v_add_nc_u32_e32 v62, s6, v60
	v_add_co_u32 v34, vcc_lo, v217, v34
	v_lshlrev_b64 v[40:41], 4, v[40:41]
	v_ashrrev_i32_e32 v47, 31, v46
	v_add_co_ci_u32_e64 v35, null, v218, v35, vcc_lo
	v_add_co_u32 v36, vcc_lo, v217, v36
	v_lshlrev_b64 v[42:43], 4, v[42:43]
	v_ashrrev_i32_e32 v49, 31, v48
	v_add_nc_u32_e32 v64, s6, v62
	v_add_co_ci_u32_e64 v37, null, v218, v37, vcc_lo
	v_add_co_u32 v38, vcc_lo, v217, v38
	v_lshlrev_b64 v[44:45], 4, v[44:45]
	v_ashrrev_i32_e32 v51, 31, v50
	v_add_co_ci_u32_e64 v39, null, v218, v39, vcc_lo
	v_add_co_u32 v40, vcc_lo, v217, v40
	v_lshlrev_b64 v[46:47], 4, v[46:47]
	v_ashrrev_i32_e32 v53, 31, v52
	v_add_co_ci_u32_e64 v41, null, v218, v41, vcc_lo
	v_add_co_u32 v42, vcc_lo, v217, v42
	v_lshlrev_b64 v[48:49], 4, v[48:49]
	v_add_nc_u32_e32 v66, s6, v64
	v_ashrrev_i32_e32 v55, 31, v54
	v_add_co_ci_u32_e64 v43, null, v218, v43, vcc_lo
	v_add_co_u32 v44, vcc_lo, v217, v44
	v_lshlrev_b64 v[50:51], 4, v[50:51]
	v_ashrrev_i32_e32 v57, 31, v56
	v_add_co_ci_u32_e64 v45, null, v218, v45, vcc_lo
	v_add_co_u32 v46, vcc_lo, v217, v46
	v_lshlrev_b64 v[52:53], 4, v[52:53]
	v_ashrrev_i32_e32 v59, 31, v58
	v_add_nc_u32_e32 v68, s6, v66
	v_add_co_ci_u32_e64 v47, null, v218, v47, vcc_lo
	v_add_co_u32 v48, vcc_lo, v217, v48
	v_lshlrev_b64 v[54:55], 4, v[54:55]
	v_ashrrev_i32_e32 v61, 31, v60
	v_add_co_ci_u32_e64 v49, null, v218, v49, vcc_lo
	v_add_co_u32 v50, vcc_lo, v217, v50
	v_lshlrev_b64 v[56:57], 4, v[56:57]
	v_ashrrev_i32_e32 v63, 31, v62
	v_add_co_ci_u32_e64 v51, null, v218, v51, vcc_lo
	v_add_co_u32 v52, vcc_lo, v217, v52
	v_lshlrev_b64 v[58:59], 4, v[58:59]
	v_add_nc_u32_e32 v70, s6, v68
	v_ashrrev_i32_e32 v65, 31, v64
	v_add_co_ci_u32_e64 v53, null, v218, v53, vcc_lo
	v_add_co_u32 v54, vcc_lo, v217, v54
	v_lshlrev_b64 v[60:61], 4, v[60:61]
	v_ashrrev_i32_e32 v67, 31, v66
	v_add_co_ci_u32_e64 v55, null, v218, v55, vcc_lo
	v_add_co_u32 v56, vcc_lo, v217, v56
	v_lshlrev_b64 v[62:63], 4, v[62:63]
	v_ashrrev_i32_e32 v69, 31, v68
	v_add_nc_u32_e32 v72, s6, v70
	v_add_co_ci_u32_e64 v57, null, v218, v57, vcc_lo
	v_add_co_u32 v58, vcc_lo, v217, v58
	v_lshlrev_b64 v[64:65], 4, v[64:65]
	v_ashrrev_i32_e32 v71, 31, v70
	v_add_co_ci_u32_e64 v59, null, v218, v59, vcc_lo
	v_add_co_u32 v60, vcc_lo, v217, v60
	v_lshlrev_b64 v[66:67], 4, v[66:67]
	v_add_co_ci_u32_e64 v61, null, v218, v61, vcc_lo
	v_add_co_u32 v62, vcc_lo, v217, v62
	v_lshlrev_b64 v[68:69], 4, v[68:69]
	v_add_nc_u32_e32 v74, s6, v72
	v_add_co_ci_u32_e64 v63, null, v218, v63, vcc_lo
	v_add_co_u32 v64, vcc_lo, v217, v64
	v_lshlrev_b64 v[70:71], 4, v[70:71]
	v_ashrrev_i32_e32 v73, 31, v72
	v_add_co_ci_u32_e64 v65, null, v218, v65, vcc_lo
	v_add_co_u32 v66, vcc_lo, v217, v66
	v_ashrrev_i32_e32 v75, 31, v74
	v_add_nc_u32_e32 v76, s6, v74
	v_add_co_ci_u32_e64 v67, null, v218, v67, vcc_lo
	v_add_co_u32 v68, vcc_lo, v217, v68
	v_lshlrev_b64 v[72:73], 4, v[72:73]
	v_add_co_ci_u32_e64 v69, null, v218, v69, vcc_lo
	v_add_co_u32 v207, vcc_lo, v217, v70
	v_add_co_ci_u32_e64 v208, null, v218, v71, vcc_lo
	v_lshlrev_b64 v[70:71], 4, v[74:75]
	v_ashrrev_i32_e32 v77, 31, v76
	v_add_nc_u32_e32 v74, s6, v76
	v_add_co_u32 v214, vcc_lo, v217, v72
	v_add_co_ci_u32_e64 v215, null, v218, v73, vcc_lo
	v_lshlrev_b64 v[72:73], 4, v[76:77]
	v_ashrrev_i32_e32 v75, 31, v74
	v_add_nc_u32_e32 v76, s6, v74
	;; [unrolled: 5-line block ×9, first 2 shown]
	v_add_co_u32 v233, vcc_lo, v217, v72
	v_add_co_ci_u32_e64 v234, null, v218, v73, vcc_lo
	v_lshlrev_b64 v[72:73], 4, v[76:77]
	v_add_nc_u32_e32 v76, s6, v74
	v_ashrrev_i32_e32 v75, 31, v74
	v_add_co_u32 v235, vcc_lo, v217, v70
	v_add_co_ci_u32_e64 v236, null, v218, v71, vcc_lo
	v_lshlrev_b64 v[70:71], 4, v[74:75]
	v_add_nc_u32_e32 v74, s6, v76
	v_ashrrev_i32_e32 v77, 31, v76
	v_add_co_u32 v237, vcc_lo, v217, v72
	v_add_co_ci_u32_e64 v238, null, v218, v73, vcc_lo
	v_ashrrev_i32_e32 v75, 31, v74
	v_add_co_u32 v239, vcc_lo, v217, v70
	v_add_nc_u32_e32 v70, s6, v74
	v_lshlrev_b64 v[72:73], 4, v[76:77]
	v_lshlrev_b64 v[74:75], 4, v[74:75]
	v_add_co_ci_u32_e64 v240, null, v218, v71, vcc_lo
	v_ashrrev_i32_e32 v71, 31, v70
	s_lshl_b64 s[2:3], s[6:7], 4
	v_add_co_u32 v241, vcc_lo, v217, v72
	v_add_co_ci_u32_e64 v242, null, v218, v73, vcc_lo
	v_add_co_u32 v243, vcc_lo, v217, v74
	v_lshlrev_b64 v[70:71], 4, v[70:71]
	v_add_co_ci_u32_e64 v244, null, v218, v75, vcc_lo
	v_add_co_u32 v72, vcc_lo, v16, s2
	v_add_co_ci_u32_e64 v73, null, s3, v17, vcc_lo
	v_add_co_u32 v245, vcc_lo, v217, v70
	v_add_co_ci_u32_e64 v246, null, v218, v71, vcc_lo
	s_clause 0x32
	global_load_dwordx4 v[202:205], v[16:17], off
	global_load_dwordx4 v[190:193], v[72:73], off
	;; [unrolled: 1-line block ×51, first 2 shown]
	s_waitcnt lgkmcnt(0)
	s_max_i32 s0, s8, 51
	s_cmp_lt_i32 s8, 2
	v_mul_lo_u32 v214, s0, v1
	v_lshl_add_u32 v1, v214, 4, 0
	v_lshlrev_b32_e32 v216, 4, v214
	v_mov_b32_e32 v214, 0
	v_add_nc_u32_e32 v206, v1, v206
	s_waitcnt vmcnt(50)
	ds_write2_b64 v206, v[202:203], v[204:205] offset1:1
	s_waitcnt vmcnt(0) lgkmcnt(0)
	s_barrier
	buffer_gl0_inv
	ds_read2_b64 v[206:209], v1 offset1:1
	s_cbranch_scc1 .LBB100_6
; %bb.4:
	v_add3_u32 v215, v216, 0, 16
	v_mov_b32_e32 v214, 0
	s_mov_b32 s1, 1
	s_inst_prefetch 0x1
	.p2align	6
.LBB100_5:                              ; =>This Inner Loop Header: Depth=1
	s_waitcnt lgkmcnt(0)
	v_cmp_gt_f64_e32 vcc_lo, 0, v[208:209]
	v_cmp_gt_f64_e64 s0, 0, v[206:207]
	ds_read2_b64 v[219:222], v215 offset1:1
	v_xor_b32_e32 v224, 0x80000000, v207
	v_xor_b32_e32 v226, 0x80000000, v209
	v_mov_b32_e32 v223, v206
	v_mov_b32_e32 v225, v208
	v_add_nc_u32_e32 v215, 16, v215
	s_waitcnt lgkmcnt(0)
	v_xor_b32_e32 v228, 0x80000000, v222
	v_cndmask_b32_e64 v224, v207, v224, s0
	v_cndmask_b32_e32 v226, v209, v226, vcc_lo
	v_cmp_gt_f64_e32 vcc_lo, 0, v[221:222]
	v_cmp_gt_f64_e64 s0, 0, v[219:220]
	v_mov_b32_e32 v227, v221
	v_add_f64 v[223:224], v[223:224], v[225:226]
	v_xor_b32_e32 v226, 0x80000000, v220
	v_mov_b32_e32 v225, v219
	v_cndmask_b32_e32 v228, v222, v228, vcc_lo
	v_cndmask_b32_e64 v226, v220, v226, s0
	v_add_f64 v[225:226], v[225:226], v[227:228]
	v_cmp_lt_f64_e32 vcc_lo, v[223:224], v[225:226]
	v_cndmask_b32_e32 v207, v207, v220, vcc_lo
	v_cndmask_b32_e32 v206, v206, v219, vcc_lo
	;; [unrolled: 1-line block ×4, first 2 shown]
	v_cndmask_b32_e64 v214, v214, s1, vcc_lo
	s_add_i32 s1, s1, 1
	s_cmp_eq_u32 s8, s1
	s_cbranch_scc0 .LBB100_5
.LBB100_6:
	s_inst_prefetch 0x2
	s_waitcnt lgkmcnt(0)
	v_cmp_neq_f64_e32 vcc_lo, 0, v[206:207]
	v_cmp_neq_f64_e64 s0, 0, v[208:209]
	v_mov_b32_e32 v219, 1
	v_mov_b32_e32 v221, 1
	s_or_b32 s1, vcc_lo, s0
	s_and_saveexec_b32 s0, s1
	s_cbranch_execz .LBB100_12
; %bb.7:
	v_cmp_ngt_f64_e64 s1, |v[206:207]|, |v[208:209]|
	s_and_saveexec_b32 s7, s1
	s_xor_b32 s1, exec_lo, s7
	s_cbranch_execz .LBB100_9
; %bb.8:
	v_div_scale_f64 v[219:220], null, v[208:209], v[208:209], v[206:207]
	v_div_scale_f64 v[225:226], vcc_lo, v[206:207], v[208:209], v[206:207]
	v_rcp_f64_e32 v[221:222], v[219:220]
	v_fma_f64 v[223:224], -v[219:220], v[221:222], 1.0
	v_fma_f64 v[221:222], v[221:222], v[223:224], v[221:222]
	v_fma_f64 v[223:224], -v[219:220], v[221:222], 1.0
	v_fma_f64 v[221:222], v[221:222], v[223:224], v[221:222]
	v_mul_f64 v[223:224], v[225:226], v[221:222]
	v_fma_f64 v[219:220], -v[219:220], v[223:224], v[225:226]
	v_div_fmas_f64 v[219:220], v[219:220], v[221:222], v[223:224]
	v_div_fixup_f64 v[219:220], v[219:220], v[208:209], v[206:207]
	v_fma_f64 v[206:207], v[206:207], v[219:220], v[208:209]
	v_div_scale_f64 v[208:209], null, v[206:207], v[206:207], 1.0
	v_rcp_f64_e32 v[221:222], v[208:209]
	v_fma_f64 v[223:224], -v[208:209], v[221:222], 1.0
	v_fma_f64 v[221:222], v[221:222], v[223:224], v[221:222]
	v_fma_f64 v[223:224], -v[208:209], v[221:222], 1.0
	v_fma_f64 v[221:222], v[221:222], v[223:224], v[221:222]
	v_div_scale_f64 v[223:224], vcc_lo, 1.0, v[206:207], 1.0
	v_mul_f64 v[225:226], v[223:224], v[221:222]
	v_fma_f64 v[208:209], -v[208:209], v[225:226], v[223:224]
	v_div_fmas_f64 v[208:209], v[208:209], v[221:222], v[225:226]
	v_div_fixup_f64 v[208:209], v[208:209], v[206:207], 1.0
	v_mul_f64 v[206:207], v[219:220], v[208:209]
	v_xor_b32_e32 v209, 0x80000000, v209
.LBB100_9:
	s_andn2_saveexec_b32 s1, s1
	s_cbranch_execz .LBB100_11
; %bb.10:
	v_div_scale_f64 v[219:220], null, v[206:207], v[206:207], v[208:209]
	v_div_scale_f64 v[225:226], vcc_lo, v[208:209], v[206:207], v[208:209]
	v_rcp_f64_e32 v[221:222], v[219:220]
	v_fma_f64 v[223:224], -v[219:220], v[221:222], 1.0
	v_fma_f64 v[221:222], v[221:222], v[223:224], v[221:222]
	v_fma_f64 v[223:224], -v[219:220], v[221:222], 1.0
	v_fma_f64 v[221:222], v[221:222], v[223:224], v[221:222]
	v_mul_f64 v[223:224], v[225:226], v[221:222]
	v_fma_f64 v[219:220], -v[219:220], v[223:224], v[225:226]
	v_div_fmas_f64 v[219:220], v[219:220], v[221:222], v[223:224]
	v_div_fixup_f64 v[219:220], v[219:220], v[206:207], v[208:209]
	v_fma_f64 v[206:207], v[208:209], v[219:220], v[206:207]
	v_div_scale_f64 v[208:209], null, v[206:207], v[206:207], 1.0
	v_rcp_f64_e32 v[221:222], v[208:209]
	v_fma_f64 v[223:224], -v[208:209], v[221:222], 1.0
	v_fma_f64 v[221:222], v[221:222], v[223:224], v[221:222]
	v_fma_f64 v[223:224], -v[208:209], v[221:222], 1.0
	v_fma_f64 v[221:222], v[221:222], v[223:224], v[221:222]
	v_div_scale_f64 v[223:224], vcc_lo, 1.0, v[206:207], 1.0
	v_mul_f64 v[225:226], v[223:224], v[221:222]
	v_fma_f64 v[208:209], -v[208:209], v[225:226], v[223:224]
	v_div_fmas_f64 v[208:209], v[208:209], v[221:222], v[225:226]
	v_div_fixup_f64 v[206:207], v[208:209], v[206:207], 1.0
	v_mul_f64 v[208:209], v[219:220], -v[206:207]
.LBB100_11:
	s_or_b32 exec_lo, exec_lo, s1
	v_mov_b32_e32 v221, 0
	v_mov_b32_e32 v219, 2
.LBB100_12:
	s_or_b32 exec_lo, exec_lo, s0
	s_mov_b32 s0, exec_lo
	v_cmpx_ne_u32_e64 v0, v214
	s_xor_b32 s0, exec_lo, s0
	s_cbranch_execz .LBB100_18
; %bb.13:
	s_mov_b32 s1, exec_lo
	v_cmpx_eq_u32_e32 0, v0
	s_cbranch_execz .LBB100_17
; %bb.14:
	v_cmp_ne_u32_e32 vcc_lo, 0, v214
	s_xor_b32 s7, s16, -1
	s_and_b32 s9, s7, vcc_lo
	s_and_saveexec_b32 s7, s9
	s_cbranch_execz .LBB100_16
; %bb.15:
	v_ashrrev_i32_e32 v215, 31, v214
	v_lshlrev_b64 v[222:223], 2, v[214:215]
	v_add_co_u32 v222, vcc_lo, v212, v222
	v_add_co_ci_u32_e64 v223, null, v213, v223, vcc_lo
	s_clause 0x1
	global_load_dword v0, v[222:223], off
	global_load_dword v215, v[212:213], off
	s_waitcnt vmcnt(1)
	global_store_dword v[212:213], v0, off
	s_waitcnt vmcnt(0)
	global_store_dword v[222:223], v215, off
.LBB100_16:
	s_or_b32 exec_lo, exec_lo, s7
	v_mov_b32_e32 v0, v214
.LBB100_17:
	s_or_b32 exec_lo, exec_lo, s1
.LBB100_18:
	s_or_saveexec_b32 s0, s0
	v_mov_b32_e32 v220, v0
	s_xor_b32 exec_lo, exec_lo, s0
	s_cbranch_execz .LBB100_20
; %bb.19:
	v_mov_b32_e32 v220, 0
	ds_write2_b64 v1, v[190:191], v[192:193] offset0:2 offset1:3
	ds_write2_b64 v1, v[198:199], v[200:201] offset0:4 offset1:5
	;; [unrolled: 1-line block ×50, first 2 shown]
.LBB100_20:
	s_or_b32 exec_lo, exec_lo, s0
	s_mov_b32 s0, exec_lo
	s_waitcnt lgkmcnt(0)
	s_waitcnt_vscnt null, 0x0
	s_barrier
	buffer_gl0_inv
	v_cmpx_lt_i32_e32 0, v220
	s_cbranch_execz .LBB100_22
; %bb.21:
	v_mul_f64 v[214:215], v[208:209], v[204:205]
	v_mul_f64 v[204:205], v[206:207], v[204:205]
	v_fma_f64 v[214:215], v[206:207], v[202:203], -v[214:215]
	v_fma_f64 v[204:205], v[208:209], v[202:203], v[204:205]
	ds_read2_b64 v[206:209], v1 offset0:2 offset1:3
	s_waitcnt lgkmcnt(0)
	v_mul_f64 v[202:203], v[208:209], v[204:205]
	v_fma_f64 v[202:203], v[206:207], v[214:215], -v[202:203]
	v_mul_f64 v[206:207], v[206:207], v[204:205]
	v_add_f64 v[190:191], v[190:191], -v[202:203]
	v_fma_f64 v[206:207], v[208:209], v[214:215], v[206:207]
	v_add_f64 v[192:193], v[192:193], -v[206:207]
	ds_read2_b64 v[206:209], v1 offset0:4 offset1:5
	s_waitcnt lgkmcnt(0)
	v_mul_f64 v[202:203], v[208:209], v[204:205]
	v_fma_f64 v[202:203], v[206:207], v[214:215], -v[202:203]
	v_mul_f64 v[206:207], v[206:207], v[204:205]
	v_add_f64 v[198:199], v[198:199], -v[202:203]
	v_fma_f64 v[206:207], v[208:209], v[214:215], v[206:207]
	v_add_f64 v[200:201], v[200:201], -v[206:207]
	;; [unrolled: 8-line block ×49, first 2 shown]
	ds_read2_b64 v[206:209], v1 offset0:100 offset1:101
	s_waitcnt lgkmcnt(0)
	v_mul_f64 v[202:203], v[208:209], v[204:205]
	v_fma_f64 v[202:203], v[206:207], v[214:215], -v[202:203]
	v_mul_f64 v[206:207], v[206:207], v[204:205]
	v_add_f64 v[2:3], v[2:3], -v[202:203]
	v_fma_f64 v[206:207], v[208:209], v[214:215], v[206:207]
	v_mov_b32_e32 v202, v214
	v_mov_b32_e32 v203, v215
	v_add_f64 v[4:5], v[4:5], -v[206:207]
.LBB100_22:
	s_or_b32 exec_lo, exec_lo, s0
	v_lshl_add_u32 v206, v220, 4, v1
	s_barrier
	buffer_gl0_inv
	v_mov_b32_e32 v214, 1
	ds_write2_b64 v206, v[190:191], v[192:193] offset1:1
	s_waitcnt lgkmcnt(0)
	s_barrier
	buffer_gl0_inv
	ds_read2_b64 v[206:209], v1 offset0:2 offset1:3
	s_cmp_lt_i32 s8, 3
	s_cbranch_scc1 .LBB100_25
; %bb.23:
	v_add3_u32 v215, v216, 0, 32
	v_mov_b32_e32 v214, 1
	s_mov_b32 s1, 2
	s_inst_prefetch 0x1
	.p2align	6
.LBB100_24:                             ; =>This Inner Loop Header: Depth=1
	s_waitcnt lgkmcnt(0)
	v_cmp_gt_f64_e32 vcc_lo, 0, v[208:209]
	v_cmp_gt_f64_e64 s0, 0, v[206:207]
	ds_read2_b64 v[222:225], v215 offset1:1
	v_xor_b32_e32 v227, 0x80000000, v207
	v_xor_b32_e32 v229, 0x80000000, v209
	v_mov_b32_e32 v226, v206
	v_mov_b32_e32 v228, v208
	v_add_nc_u32_e32 v215, 16, v215
	s_waitcnt lgkmcnt(0)
	v_xor_b32_e32 v231, 0x80000000, v225
	v_cndmask_b32_e64 v227, v207, v227, s0
	v_cndmask_b32_e32 v229, v209, v229, vcc_lo
	v_cmp_gt_f64_e32 vcc_lo, 0, v[224:225]
	v_cmp_gt_f64_e64 s0, 0, v[222:223]
	v_mov_b32_e32 v230, v224
	v_add_f64 v[226:227], v[226:227], v[228:229]
	v_xor_b32_e32 v229, 0x80000000, v223
	v_mov_b32_e32 v228, v222
	v_cndmask_b32_e32 v231, v225, v231, vcc_lo
	v_cndmask_b32_e64 v229, v223, v229, s0
	v_add_f64 v[228:229], v[228:229], v[230:231]
	v_cmp_lt_f64_e32 vcc_lo, v[226:227], v[228:229]
	v_cndmask_b32_e32 v207, v207, v223, vcc_lo
	v_cndmask_b32_e32 v206, v206, v222, vcc_lo
	;; [unrolled: 1-line block ×4, first 2 shown]
	v_cndmask_b32_e64 v214, v214, s1, vcc_lo
	s_add_i32 s1, s1, 1
	s_cmp_lg_u32 s8, s1
	s_cbranch_scc1 .LBB100_24
.LBB100_25:
	s_inst_prefetch 0x2
	s_waitcnt lgkmcnt(0)
	v_cmp_neq_f64_e32 vcc_lo, 0, v[206:207]
	v_cmp_neq_f64_e64 s0, 0, v[208:209]
	s_or_b32 s1, vcc_lo, s0
	s_and_saveexec_b32 s0, s1
	s_cbranch_execz .LBB100_31
; %bb.26:
	v_cmp_ngt_f64_e64 s1, |v[206:207]|, |v[208:209]|
	s_and_saveexec_b32 s7, s1
	s_xor_b32 s1, exec_lo, s7
	s_cbranch_execz .LBB100_28
; %bb.27:
	v_div_scale_f64 v[222:223], null, v[208:209], v[208:209], v[206:207]
	v_div_scale_f64 v[228:229], vcc_lo, v[206:207], v[208:209], v[206:207]
	v_rcp_f64_e32 v[224:225], v[222:223]
	v_fma_f64 v[226:227], -v[222:223], v[224:225], 1.0
	v_fma_f64 v[224:225], v[224:225], v[226:227], v[224:225]
	v_fma_f64 v[226:227], -v[222:223], v[224:225], 1.0
	v_fma_f64 v[224:225], v[224:225], v[226:227], v[224:225]
	v_mul_f64 v[226:227], v[228:229], v[224:225]
	v_fma_f64 v[222:223], -v[222:223], v[226:227], v[228:229]
	v_div_fmas_f64 v[222:223], v[222:223], v[224:225], v[226:227]
	v_div_fixup_f64 v[222:223], v[222:223], v[208:209], v[206:207]
	v_fma_f64 v[206:207], v[206:207], v[222:223], v[208:209]
	v_div_scale_f64 v[208:209], null, v[206:207], v[206:207], 1.0
	v_rcp_f64_e32 v[224:225], v[208:209]
	v_fma_f64 v[226:227], -v[208:209], v[224:225], 1.0
	v_fma_f64 v[224:225], v[224:225], v[226:227], v[224:225]
	v_fma_f64 v[226:227], -v[208:209], v[224:225], 1.0
	v_fma_f64 v[224:225], v[224:225], v[226:227], v[224:225]
	v_div_scale_f64 v[226:227], vcc_lo, 1.0, v[206:207], 1.0
	v_mul_f64 v[228:229], v[226:227], v[224:225]
	v_fma_f64 v[208:209], -v[208:209], v[228:229], v[226:227]
	v_div_fmas_f64 v[208:209], v[208:209], v[224:225], v[228:229]
	v_div_fixup_f64 v[208:209], v[208:209], v[206:207], 1.0
	v_mul_f64 v[206:207], v[222:223], v[208:209]
	v_xor_b32_e32 v209, 0x80000000, v209
.LBB100_28:
	s_andn2_saveexec_b32 s1, s1
	s_cbranch_execz .LBB100_30
; %bb.29:
	v_div_scale_f64 v[222:223], null, v[206:207], v[206:207], v[208:209]
	v_div_scale_f64 v[228:229], vcc_lo, v[208:209], v[206:207], v[208:209]
	v_rcp_f64_e32 v[224:225], v[222:223]
	v_fma_f64 v[226:227], -v[222:223], v[224:225], 1.0
	v_fma_f64 v[224:225], v[224:225], v[226:227], v[224:225]
	v_fma_f64 v[226:227], -v[222:223], v[224:225], 1.0
	v_fma_f64 v[224:225], v[224:225], v[226:227], v[224:225]
	v_mul_f64 v[226:227], v[228:229], v[224:225]
	v_fma_f64 v[222:223], -v[222:223], v[226:227], v[228:229]
	v_div_fmas_f64 v[222:223], v[222:223], v[224:225], v[226:227]
	v_div_fixup_f64 v[222:223], v[222:223], v[206:207], v[208:209]
	v_fma_f64 v[206:207], v[208:209], v[222:223], v[206:207]
	v_div_scale_f64 v[208:209], null, v[206:207], v[206:207], 1.0
	v_rcp_f64_e32 v[224:225], v[208:209]
	v_fma_f64 v[226:227], -v[208:209], v[224:225], 1.0
	v_fma_f64 v[224:225], v[224:225], v[226:227], v[224:225]
	v_fma_f64 v[226:227], -v[208:209], v[224:225], 1.0
	v_fma_f64 v[224:225], v[224:225], v[226:227], v[224:225]
	v_div_scale_f64 v[226:227], vcc_lo, 1.0, v[206:207], 1.0
	v_mul_f64 v[228:229], v[226:227], v[224:225]
	v_fma_f64 v[208:209], -v[208:209], v[228:229], v[226:227]
	v_div_fmas_f64 v[208:209], v[208:209], v[224:225], v[228:229]
	v_div_fixup_f64 v[206:207], v[208:209], v[206:207], 1.0
	v_mul_f64 v[208:209], v[222:223], -v[206:207]
.LBB100_30:
	s_or_b32 exec_lo, exec_lo, s1
	v_mov_b32_e32 v219, v221
.LBB100_31:
	s_or_b32 exec_lo, exec_lo, s0
	s_mov_b32 s0, exec_lo
	v_cmpx_ne_u32_e64 v220, v214
	s_xor_b32 s0, exec_lo, s0
	s_cbranch_execz .LBB100_37
; %bb.32:
	s_mov_b32 s1, exec_lo
	v_cmpx_eq_u32_e32 1, v220
	s_cbranch_execz .LBB100_36
; %bb.33:
	v_cmp_ne_u32_e32 vcc_lo, 1, v214
	s_xor_b32 s7, s16, -1
	s_and_b32 s9, s7, vcc_lo
	s_and_saveexec_b32 s7, s9
	s_cbranch_execz .LBB100_35
; %bb.34:
	v_ashrrev_i32_e32 v215, 31, v214
	v_lshlrev_b64 v[220:221], 2, v[214:215]
	v_add_co_u32 v220, vcc_lo, v212, v220
	v_add_co_ci_u32_e64 v221, null, v213, v221, vcc_lo
	s_clause 0x1
	global_load_dword v0, v[220:221], off
	global_load_dword v215, v[212:213], off offset:4
	s_waitcnt vmcnt(1)
	global_store_dword v[212:213], v0, off offset:4
	s_waitcnt vmcnt(0)
	global_store_dword v[220:221], v215, off
.LBB100_35:
	s_or_b32 exec_lo, exec_lo, s7
	v_mov_b32_e32 v220, v214
	v_mov_b32_e32 v0, v214
.LBB100_36:
	s_or_b32 exec_lo, exec_lo, s1
.LBB100_37:
	s_andn2_saveexec_b32 s0, s0
	s_cbranch_execz .LBB100_39
; %bb.38:
	v_mov_b32_e32 v220, 1
	ds_write2_b64 v1, v[198:199], v[200:201] offset0:4 offset1:5
	ds_write2_b64 v1, v[194:195], v[196:197] offset0:6 offset1:7
	ds_write2_b64 v1, v[186:187], v[188:189] offset0:8 offset1:9
	ds_write2_b64 v1, v[182:183], v[184:185] offset0:10 offset1:11
	ds_write2_b64 v1, v[178:179], v[180:181] offset0:12 offset1:13
	ds_write2_b64 v1, v[174:175], v[176:177] offset0:14 offset1:15
	ds_write2_b64 v1, v[170:171], v[172:173] offset0:16 offset1:17
	ds_write2_b64 v1, v[166:167], v[168:169] offset0:18 offset1:19
	ds_write2_b64 v1, v[162:163], v[164:165] offset0:20 offset1:21
	ds_write2_b64 v1, v[158:159], v[160:161] offset0:22 offset1:23
	ds_write2_b64 v1, v[154:155], v[156:157] offset0:24 offset1:25
	ds_write2_b64 v1, v[150:151], v[152:153] offset0:26 offset1:27
	ds_write2_b64 v1, v[146:147], v[148:149] offset0:28 offset1:29
	ds_write2_b64 v1, v[142:143], v[144:145] offset0:30 offset1:31
	ds_write2_b64 v1, v[138:139], v[140:141] offset0:32 offset1:33
	ds_write2_b64 v1, v[134:135], v[136:137] offset0:34 offset1:35
	ds_write2_b64 v1, v[130:131], v[132:133] offset0:36 offset1:37
	ds_write2_b64 v1, v[126:127], v[128:129] offset0:38 offset1:39
	ds_write2_b64 v1, v[122:123], v[124:125] offset0:40 offset1:41
	ds_write2_b64 v1, v[118:119], v[120:121] offset0:42 offset1:43
	ds_write2_b64 v1, v[114:115], v[116:117] offset0:44 offset1:45
	ds_write2_b64 v1, v[110:111], v[112:113] offset0:46 offset1:47
	ds_write2_b64 v1, v[106:107], v[108:109] offset0:48 offset1:49
	ds_write2_b64 v1, v[102:103], v[104:105] offset0:50 offset1:51
	ds_write2_b64 v1, v[98:99], v[100:101] offset0:52 offset1:53
	ds_write2_b64 v1, v[94:95], v[96:97] offset0:54 offset1:55
	ds_write2_b64 v1, v[90:91], v[92:93] offset0:56 offset1:57
	ds_write2_b64 v1, v[86:87], v[88:89] offset0:58 offset1:59
	ds_write2_b64 v1, v[82:83], v[84:85] offset0:60 offset1:61
	ds_write2_b64 v1, v[78:79], v[80:81] offset0:62 offset1:63
	ds_write2_b64 v1, v[74:75], v[76:77] offset0:64 offset1:65
	ds_write2_b64 v1, v[70:71], v[72:73] offset0:66 offset1:67
	ds_write2_b64 v1, v[66:67], v[68:69] offset0:68 offset1:69
	ds_write2_b64 v1, v[62:63], v[64:65] offset0:70 offset1:71
	ds_write2_b64 v1, v[58:59], v[60:61] offset0:72 offset1:73
	ds_write2_b64 v1, v[54:55], v[56:57] offset0:74 offset1:75
	ds_write2_b64 v1, v[50:51], v[52:53] offset0:76 offset1:77
	ds_write2_b64 v1, v[46:47], v[48:49] offset0:78 offset1:79
	ds_write2_b64 v1, v[42:43], v[44:45] offset0:80 offset1:81
	ds_write2_b64 v1, v[38:39], v[40:41] offset0:82 offset1:83
	ds_write2_b64 v1, v[34:35], v[36:37] offset0:84 offset1:85
	ds_write2_b64 v1, v[30:31], v[32:33] offset0:86 offset1:87
	ds_write2_b64 v1, v[26:27], v[28:29] offset0:88 offset1:89
	ds_write2_b64 v1, v[22:23], v[24:25] offset0:90 offset1:91
	ds_write2_b64 v1, v[18:19], v[20:21] offset0:92 offset1:93
	ds_write2_b64 v1, v[14:15], v[16:17] offset0:94 offset1:95
	ds_write2_b64 v1, v[10:11], v[12:13] offset0:96 offset1:97
	ds_write2_b64 v1, v[6:7], v[8:9] offset0:98 offset1:99
	ds_write2_b64 v1, v[2:3], v[4:5] offset0:100 offset1:101
.LBB100_39:
	s_or_b32 exec_lo, exec_lo, s0
	s_mov_b32 s0, exec_lo
	s_waitcnt lgkmcnt(0)
	s_waitcnt_vscnt null, 0x0
	s_barrier
	buffer_gl0_inv
	v_cmpx_lt_i32_e32 1, v220
	s_cbranch_execz .LBB100_41
; %bb.40:
	v_mul_f64 v[214:215], v[208:209], v[192:193]
	v_mul_f64 v[192:193], v[206:207], v[192:193]
	v_fma_f64 v[214:215], v[206:207], v[190:191], -v[214:215]
	v_fma_f64 v[192:193], v[208:209], v[190:191], v[192:193]
	ds_read2_b64 v[206:209], v1 offset0:4 offset1:5
	s_waitcnt lgkmcnt(0)
	v_mul_f64 v[190:191], v[208:209], v[192:193]
	v_fma_f64 v[190:191], v[206:207], v[214:215], -v[190:191]
	v_mul_f64 v[206:207], v[206:207], v[192:193]
	v_add_f64 v[198:199], v[198:199], -v[190:191]
	v_fma_f64 v[206:207], v[208:209], v[214:215], v[206:207]
	v_add_f64 v[200:201], v[200:201], -v[206:207]
	ds_read2_b64 v[206:209], v1 offset0:6 offset1:7
	s_waitcnt lgkmcnt(0)
	v_mul_f64 v[190:191], v[208:209], v[192:193]
	v_fma_f64 v[190:191], v[206:207], v[214:215], -v[190:191]
	v_mul_f64 v[206:207], v[206:207], v[192:193]
	v_add_f64 v[194:195], v[194:195], -v[190:191]
	v_fma_f64 v[206:207], v[208:209], v[214:215], v[206:207]
	v_add_f64 v[196:197], v[196:197], -v[206:207]
	;; [unrolled: 8-line block ×48, first 2 shown]
	ds_read2_b64 v[206:209], v1 offset0:100 offset1:101
	s_waitcnt lgkmcnt(0)
	v_mul_f64 v[190:191], v[208:209], v[192:193]
	v_fma_f64 v[190:191], v[206:207], v[214:215], -v[190:191]
	v_mul_f64 v[206:207], v[206:207], v[192:193]
	v_add_f64 v[2:3], v[2:3], -v[190:191]
	v_fma_f64 v[206:207], v[208:209], v[214:215], v[206:207]
	v_mov_b32_e32 v190, v214
	v_mov_b32_e32 v191, v215
	v_add_f64 v[4:5], v[4:5], -v[206:207]
.LBB100_41:
	s_or_b32 exec_lo, exec_lo, s0
	v_lshl_add_u32 v206, v220, 4, v1
	s_barrier
	buffer_gl0_inv
	v_mov_b32_e32 v214, 2
	ds_write2_b64 v206, v[198:199], v[200:201] offset1:1
	s_waitcnt lgkmcnt(0)
	s_barrier
	buffer_gl0_inv
	ds_read2_b64 v[206:209], v1 offset0:4 offset1:5
	s_cmp_lt_i32 s8, 4
	s_cbranch_scc1 .LBB100_44
; %bb.42:
	v_add3_u32 v215, v216, 0, 48
	v_mov_b32_e32 v214, 2
	s_mov_b32 s1, 3
	s_inst_prefetch 0x1
	.p2align	6
.LBB100_43:                             ; =>This Inner Loop Header: Depth=1
	s_waitcnt lgkmcnt(0)
	v_cmp_gt_f64_e32 vcc_lo, 0, v[208:209]
	v_cmp_gt_f64_e64 s0, 0, v[206:207]
	ds_read2_b64 v[221:224], v215 offset1:1
	v_xor_b32_e32 v226, 0x80000000, v207
	v_xor_b32_e32 v228, 0x80000000, v209
	v_mov_b32_e32 v225, v206
	v_mov_b32_e32 v227, v208
	v_add_nc_u32_e32 v215, 16, v215
	s_waitcnt lgkmcnt(0)
	v_xor_b32_e32 v230, 0x80000000, v224
	v_cndmask_b32_e64 v226, v207, v226, s0
	v_cndmask_b32_e32 v228, v209, v228, vcc_lo
	v_cmp_gt_f64_e32 vcc_lo, 0, v[223:224]
	v_cmp_gt_f64_e64 s0, 0, v[221:222]
	v_mov_b32_e32 v229, v223
	v_add_f64 v[225:226], v[225:226], v[227:228]
	v_xor_b32_e32 v228, 0x80000000, v222
	v_mov_b32_e32 v227, v221
	v_cndmask_b32_e32 v230, v224, v230, vcc_lo
	v_cndmask_b32_e64 v228, v222, v228, s0
	v_add_f64 v[227:228], v[227:228], v[229:230]
	v_cmp_lt_f64_e32 vcc_lo, v[225:226], v[227:228]
	v_cndmask_b32_e32 v207, v207, v222, vcc_lo
	v_cndmask_b32_e32 v206, v206, v221, vcc_lo
	;; [unrolled: 1-line block ×4, first 2 shown]
	v_cndmask_b32_e64 v214, v214, s1, vcc_lo
	s_add_i32 s1, s1, 1
	s_cmp_lg_u32 s8, s1
	s_cbranch_scc1 .LBB100_43
.LBB100_44:
	s_inst_prefetch 0x2
	s_waitcnt lgkmcnt(0)
	v_cmp_eq_f64_e32 vcc_lo, 0, v[206:207]
	v_cmp_eq_f64_e64 s0, 0, v[208:209]
	s_and_b32 s0, vcc_lo, s0
	s_and_saveexec_b32 s1, s0
	s_xor_b32 s0, exec_lo, s1
; %bb.45:
	v_cmp_ne_u32_e32 vcc_lo, 0, v219
	v_cndmask_b32_e32 v219, 3, v219, vcc_lo
; %bb.46:
	s_andn2_saveexec_b32 s0, s0
	s_cbranch_execz .LBB100_52
; %bb.47:
	v_cmp_ngt_f64_e64 s1, |v[206:207]|, |v[208:209]|
	s_and_saveexec_b32 s7, s1
	s_xor_b32 s1, exec_lo, s7
	s_cbranch_execz .LBB100_49
; %bb.48:
	v_div_scale_f64 v[221:222], null, v[208:209], v[208:209], v[206:207]
	v_div_scale_f64 v[227:228], vcc_lo, v[206:207], v[208:209], v[206:207]
	v_rcp_f64_e32 v[223:224], v[221:222]
	v_fma_f64 v[225:226], -v[221:222], v[223:224], 1.0
	v_fma_f64 v[223:224], v[223:224], v[225:226], v[223:224]
	v_fma_f64 v[225:226], -v[221:222], v[223:224], 1.0
	v_fma_f64 v[223:224], v[223:224], v[225:226], v[223:224]
	v_mul_f64 v[225:226], v[227:228], v[223:224]
	v_fma_f64 v[221:222], -v[221:222], v[225:226], v[227:228]
	v_div_fmas_f64 v[221:222], v[221:222], v[223:224], v[225:226]
	v_div_fixup_f64 v[221:222], v[221:222], v[208:209], v[206:207]
	v_fma_f64 v[206:207], v[206:207], v[221:222], v[208:209]
	v_div_scale_f64 v[208:209], null, v[206:207], v[206:207], 1.0
	v_rcp_f64_e32 v[223:224], v[208:209]
	v_fma_f64 v[225:226], -v[208:209], v[223:224], 1.0
	v_fma_f64 v[223:224], v[223:224], v[225:226], v[223:224]
	v_fma_f64 v[225:226], -v[208:209], v[223:224], 1.0
	v_fma_f64 v[223:224], v[223:224], v[225:226], v[223:224]
	v_div_scale_f64 v[225:226], vcc_lo, 1.0, v[206:207], 1.0
	v_mul_f64 v[227:228], v[225:226], v[223:224]
	v_fma_f64 v[208:209], -v[208:209], v[227:228], v[225:226]
	v_div_fmas_f64 v[208:209], v[208:209], v[223:224], v[227:228]
	v_div_fixup_f64 v[208:209], v[208:209], v[206:207], 1.0
	v_mul_f64 v[206:207], v[221:222], v[208:209]
	v_xor_b32_e32 v209, 0x80000000, v209
.LBB100_49:
	s_andn2_saveexec_b32 s1, s1
	s_cbranch_execz .LBB100_51
; %bb.50:
	v_div_scale_f64 v[221:222], null, v[206:207], v[206:207], v[208:209]
	v_div_scale_f64 v[227:228], vcc_lo, v[208:209], v[206:207], v[208:209]
	v_rcp_f64_e32 v[223:224], v[221:222]
	v_fma_f64 v[225:226], -v[221:222], v[223:224], 1.0
	v_fma_f64 v[223:224], v[223:224], v[225:226], v[223:224]
	v_fma_f64 v[225:226], -v[221:222], v[223:224], 1.0
	v_fma_f64 v[223:224], v[223:224], v[225:226], v[223:224]
	v_mul_f64 v[225:226], v[227:228], v[223:224]
	v_fma_f64 v[221:222], -v[221:222], v[225:226], v[227:228]
	v_div_fmas_f64 v[221:222], v[221:222], v[223:224], v[225:226]
	v_div_fixup_f64 v[221:222], v[221:222], v[206:207], v[208:209]
	v_fma_f64 v[206:207], v[208:209], v[221:222], v[206:207]
	v_div_scale_f64 v[208:209], null, v[206:207], v[206:207], 1.0
	v_rcp_f64_e32 v[223:224], v[208:209]
	v_fma_f64 v[225:226], -v[208:209], v[223:224], 1.0
	v_fma_f64 v[223:224], v[223:224], v[225:226], v[223:224]
	v_fma_f64 v[225:226], -v[208:209], v[223:224], 1.0
	v_fma_f64 v[223:224], v[223:224], v[225:226], v[223:224]
	v_div_scale_f64 v[225:226], vcc_lo, 1.0, v[206:207], 1.0
	v_mul_f64 v[227:228], v[225:226], v[223:224]
	v_fma_f64 v[208:209], -v[208:209], v[227:228], v[225:226]
	v_div_fmas_f64 v[208:209], v[208:209], v[223:224], v[227:228]
	v_div_fixup_f64 v[206:207], v[208:209], v[206:207], 1.0
	v_mul_f64 v[208:209], v[221:222], -v[206:207]
.LBB100_51:
	s_or_b32 exec_lo, exec_lo, s1
.LBB100_52:
	s_or_b32 exec_lo, exec_lo, s0
	s_mov_b32 s0, exec_lo
	v_cmpx_ne_u32_e64 v220, v214
	s_xor_b32 s0, exec_lo, s0
	s_cbranch_execz .LBB100_58
; %bb.53:
	s_mov_b32 s1, exec_lo
	v_cmpx_eq_u32_e32 2, v220
	s_cbranch_execz .LBB100_57
; %bb.54:
	v_cmp_ne_u32_e32 vcc_lo, 2, v214
	s_xor_b32 s7, s16, -1
	s_and_b32 s9, s7, vcc_lo
	s_and_saveexec_b32 s7, s9
	s_cbranch_execz .LBB100_56
; %bb.55:
	v_ashrrev_i32_e32 v215, 31, v214
	v_lshlrev_b64 v[220:221], 2, v[214:215]
	v_add_co_u32 v220, vcc_lo, v212, v220
	v_add_co_ci_u32_e64 v221, null, v213, v221, vcc_lo
	s_clause 0x1
	global_load_dword v0, v[220:221], off
	global_load_dword v215, v[212:213], off offset:8
	s_waitcnt vmcnt(1)
	global_store_dword v[212:213], v0, off offset:8
	s_waitcnt vmcnt(0)
	global_store_dword v[220:221], v215, off
.LBB100_56:
	s_or_b32 exec_lo, exec_lo, s7
	v_mov_b32_e32 v220, v214
	v_mov_b32_e32 v0, v214
.LBB100_57:
	s_or_b32 exec_lo, exec_lo, s1
.LBB100_58:
	s_andn2_saveexec_b32 s0, s0
	s_cbranch_execz .LBB100_60
; %bb.59:
	v_mov_b32_e32 v220, 2
	ds_write2_b64 v1, v[194:195], v[196:197] offset0:6 offset1:7
	ds_write2_b64 v1, v[186:187], v[188:189] offset0:8 offset1:9
	;; [unrolled: 1-line block ×48, first 2 shown]
.LBB100_60:
	s_or_b32 exec_lo, exec_lo, s0
	s_mov_b32 s0, exec_lo
	s_waitcnt lgkmcnt(0)
	s_waitcnt_vscnt null, 0x0
	s_barrier
	buffer_gl0_inv
	v_cmpx_lt_i32_e32 2, v220
	s_cbranch_execz .LBB100_62
; %bb.61:
	v_mul_f64 v[214:215], v[208:209], v[200:201]
	v_mul_f64 v[200:201], v[206:207], v[200:201]
	v_fma_f64 v[214:215], v[206:207], v[198:199], -v[214:215]
	v_fma_f64 v[200:201], v[208:209], v[198:199], v[200:201]
	ds_read2_b64 v[206:209], v1 offset0:6 offset1:7
	s_waitcnt lgkmcnt(0)
	v_mul_f64 v[198:199], v[208:209], v[200:201]
	v_fma_f64 v[198:199], v[206:207], v[214:215], -v[198:199]
	v_mul_f64 v[206:207], v[206:207], v[200:201]
	v_add_f64 v[194:195], v[194:195], -v[198:199]
	v_fma_f64 v[206:207], v[208:209], v[214:215], v[206:207]
	v_add_f64 v[196:197], v[196:197], -v[206:207]
	ds_read2_b64 v[206:209], v1 offset0:8 offset1:9
	s_waitcnt lgkmcnt(0)
	v_mul_f64 v[198:199], v[208:209], v[200:201]
	v_fma_f64 v[198:199], v[206:207], v[214:215], -v[198:199]
	v_mul_f64 v[206:207], v[206:207], v[200:201]
	v_add_f64 v[186:187], v[186:187], -v[198:199]
	v_fma_f64 v[206:207], v[208:209], v[214:215], v[206:207]
	v_add_f64 v[188:189], v[188:189], -v[206:207]
	;; [unrolled: 8-line block ×47, first 2 shown]
	ds_read2_b64 v[206:209], v1 offset0:100 offset1:101
	s_waitcnt lgkmcnt(0)
	v_mul_f64 v[198:199], v[208:209], v[200:201]
	v_fma_f64 v[198:199], v[206:207], v[214:215], -v[198:199]
	v_mul_f64 v[206:207], v[206:207], v[200:201]
	v_add_f64 v[2:3], v[2:3], -v[198:199]
	v_fma_f64 v[206:207], v[208:209], v[214:215], v[206:207]
	v_mov_b32_e32 v198, v214
	v_mov_b32_e32 v199, v215
	v_add_f64 v[4:5], v[4:5], -v[206:207]
.LBB100_62:
	s_or_b32 exec_lo, exec_lo, s0
	v_lshl_add_u32 v206, v220, 4, v1
	s_barrier
	buffer_gl0_inv
	v_mov_b32_e32 v214, 3
	ds_write2_b64 v206, v[194:195], v[196:197] offset1:1
	s_waitcnt lgkmcnt(0)
	s_barrier
	buffer_gl0_inv
	ds_read2_b64 v[206:209], v1 offset0:6 offset1:7
	s_cmp_lt_i32 s8, 5
	s_mov_b32 s1, 4
	s_cbranch_scc1 .LBB100_65
; %bb.63:
	v_add3_u32 v215, v216, 0, 64
	v_mov_b32_e32 v214, 3
	s_inst_prefetch 0x1
	.p2align	6
.LBB100_64:                             ; =>This Inner Loop Header: Depth=1
	s_waitcnt lgkmcnt(0)
	v_cmp_gt_f64_e32 vcc_lo, 0, v[208:209]
	v_cmp_gt_f64_e64 s0, 0, v[206:207]
	ds_read2_b64 v[221:224], v215 offset1:1
	v_xor_b32_e32 v226, 0x80000000, v207
	v_xor_b32_e32 v228, 0x80000000, v209
	v_mov_b32_e32 v225, v206
	v_mov_b32_e32 v227, v208
	v_add_nc_u32_e32 v215, 16, v215
	s_waitcnt lgkmcnt(0)
	v_xor_b32_e32 v230, 0x80000000, v224
	v_cndmask_b32_e64 v226, v207, v226, s0
	v_cndmask_b32_e32 v228, v209, v228, vcc_lo
	v_cmp_gt_f64_e32 vcc_lo, 0, v[223:224]
	v_cmp_gt_f64_e64 s0, 0, v[221:222]
	v_mov_b32_e32 v229, v223
	v_add_f64 v[225:226], v[225:226], v[227:228]
	v_xor_b32_e32 v228, 0x80000000, v222
	v_mov_b32_e32 v227, v221
	v_cndmask_b32_e32 v230, v224, v230, vcc_lo
	v_cndmask_b32_e64 v228, v222, v228, s0
	v_add_f64 v[227:228], v[227:228], v[229:230]
	v_cmp_lt_f64_e32 vcc_lo, v[225:226], v[227:228]
	v_cndmask_b32_e32 v207, v207, v222, vcc_lo
	v_cndmask_b32_e32 v206, v206, v221, vcc_lo
	;; [unrolled: 1-line block ×4, first 2 shown]
	v_cndmask_b32_e64 v214, v214, s1, vcc_lo
	s_add_i32 s1, s1, 1
	s_cmp_lg_u32 s8, s1
	s_cbranch_scc1 .LBB100_64
.LBB100_65:
	s_inst_prefetch 0x2
	s_waitcnt lgkmcnt(0)
	v_cmp_eq_f64_e32 vcc_lo, 0, v[206:207]
	v_cmp_eq_f64_e64 s0, 0, v[208:209]
	s_and_b32 s0, vcc_lo, s0
	s_and_saveexec_b32 s1, s0
	s_xor_b32 s0, exec_lo, s1
; %bb.66:
	v_cmp_ne_u32_e32 vcc_lo, 0, v219
	v_cndmask_b32_e32 v219, 4, v219, vcc_lo
; %bb.67:
	s_andn2_saveexec_b32 s0, s0
	s_cbranch_execz .LBB100_73
; %bb.68:
	v_cmp_ngt_f64_e64 s1, |v[206:207]|, |v[208:209]|
	s_and_saveexec_b32 s7, s1
	s_xor_b32 s1, exec_lo, s7
	s_cbranch_execz .LBB100_70
; %bb.69:
	v_div_scale_f64 v[221:222], null, v[208:209], v[208:209], v[206:207]
	v_div_scale_f64 v[227:228], vcc_lo, v[206:207], v[208:209], v[206:207]
	v_rcp_f64_e32 v[223:224], v[221:222]
	v_fma_f64 v[225:226], -v[221:222], v[223:224], 1.0
	v_fma_f64 v[223:224], v[223:224], v[225:226], v[223:224]
	v_fma_f64 v[225:226], -v[221:222], v[223:224], 1.0
	v_fma_f64 v[223:224], v[223:224], v[225:226], v[223:224]
	v_mul_f64 v[225:226], v[227:228], v[223:224]
	v_fma_f64 v[221:222], -v[221:222], v[225:226], v[227:228]
	v_div_fmas_f64 v[221:222], v[221:222], v[223:224], v[225:226]
	v_div_fixup_f64 v[221:222], v[221:222], v[208:209], v[206:207]
	v_fma_f64 v[206:207], v[206:207], v[221:222], v[208:209]
	v_div_scale_f64 v[208:209], null, v[206:207], v[206:207], 1.0
	v_rcp_f64_e32 v[223:224], v[208:209]
	v_fma_f64 v[225:226], -v[208:209], v[223:224], 1.0
	v_fma_f64 v[223:224], v[223:224], v[225:226], v[223:224]
	v_fma_f64 v[225:226], -v[208:209], v[223:224], 1.0
	v_fma_f64 v[223:224], v[223:224], v[225:226], v[223:224]
	v_div_scale_f64 v[225:226], vcc_lo, 1.0, v[206:207], 1.0
	v_mul_f64 v[227:228], v[225:226], v[223:224]
	v_fma_f64 v[208:209], -v[208:209], v[227:228], v[225:226]
	v_div_fmas_f64 v[208:209], v[208:209], v[223:224], v[227:228]
	v_div_fixup_f64 v[208:209], v[208:209], v[206:207], 1.0
	v_mul_f64 v[206:207], v[221:222], v[208:209]
	v_xor_b32_e32 v209, 0x80000000, v209
.LBB100_70:
	s_andn2_saveexec_b32 s1, s1
	s_cbranch_execz .LBB100_72
; %bb.71:
	v_div_scale_f64 v[221:222], null, v[206:207], v[206:207], v[208:209]
	v_div_scale_f64 v[227:228], vcc_lo, v[208:209], v[206:207], v[208:209]
	v_rcp_f64_e32 v[223:224], v[221:222]
	v_fma_f64 v[225:226], -v[221:222], v[223:224], 1.0
	v_fma_f64 v[223:224], v[223:224], v[225:226], v[223:224]
	v_fma_f64 v[225:226], -v[221:222], v[223:224], 1.0
	v_fma_f64 v[223:224], v[223:224], v[225:226], v[223:224]
	v_mul_f64 v[225:226], v[227:228], v[223:224]
	v_fma_f64 v[221:222], -v[221:222], v[225:226], v[227:228]
	v_div_fmas_f64 v[221:222], v[221:222], v[223:224], v[225:226]
	v_div_fixup_f64 v[221:222], v[221:222], v[206:207], v[208:209]
	v_fma_f64 v[206:207], v[208:209], v[221:222], v[206:207]
	v_div_scale_f64 v[208:209], null, v[206:207], v[206:207], 1.0
	v_rcp_f64_e32 v[223:224], v[208:209]
	v_fma_f64 v[225:226], -v[208:209], v[223:224], 1.0
	v_fma_f64 v[223:224], v[223:224], v[225:226], v[223:224]
	v_fma_f64 v[225:226], -v[208:209], v[223:224], 1.0
	v_fma_f64 v[223:224], v[223:224], v[225:226], v[223:224]
	v_div_scale_f64 v[225:226], vcc_lo, 1.0, v[206:207], 1.0
	v_mul_f64 v[227:228], v[225:226], v[223:224]
	v_fma_f64 v[208:209], -v[208:209], v[227:228], v[225:226]
	v_div_fmas_f64 v[208:209], v[208:209], v[223:224], v[227:228]
	v_div_fixup_f64 v[206:207], v[208:209], v[206:207], 1.0
	v_mul_f64 v[208:209], v[221:222], -v[206:207]
.LBB100_72:
	s_or_b32 exec_lo, exec_lo, s1
.LBB100_73:
	s_or_b32 exec_lo, exec_lo, s0
	s_mov_b32 s0, exec_lo
	v_cmpx_ne_u32_e64 v220, v214
	s_xor_b32 s0, exec_lo, s0
	s_cbranch_execz .LBB100_79
; %bb.74:
	s_mov_b32 s1, exec_lo
	v_cmpx_eq_u32_e32 3, v220
	s_cbranch_execz .LBB100_78
; %bb.75:
	v_cmp_ne_u32_e32 vcc_lo, 3, v214
	s_xor_b32 s7, s16, -1
	s_and_b32 s9, s7, vcc_lo
	s_and_saveexec_b32 s7, s9
	s_cbranch_execz .LBB100_77
; %bb.76:
	v_ashrrev_i32_e32 v215, 31, v214
	v_lshlrev_b64 v[220:221], 2, v[214:215]
	v_add_co_u32 v220, vcc_lo, v212, v220
	v_add_co_ci_u32_e64 v221, null, v213, v221, vcc_lo
	s_clause 0x1
	global_load_dword v0, v[220:221], off
	global_load_dword v215, v[212:213], off offset:12
	s_waitcnt vmcnt(1)
	global_store_dword v[212:213], v0, off offset:12
	s_waitcnt vmcnt(0)
	global_store_dword v[220:221], v215, off
.LBB100_77:
	s_or_b32 exec_lo, exec_lo, s7
	v_mov_b32_e32 v220, v214
	v_mov_b32_e32 v0, v214
.LBB100_78:
	s_or_b32 exec_lo, exec_lo, s1
.LBB100_79:
	s_andn2_saveexec_b32 s0, s0
	s_cbranch_execz .LBB100_81
; %bb.80:
	v_mov_b32_e32 v220, 3
	ds_write2_b64 v1, v[186:187], v[188:189] offset0:8 offset1:9
	ds_write2_b64 v1, v[182:183], v[184:185] offset0:10 offset1:11
	;; [unrolled: 1-line block ×47, first 2 shown]
.LBB100_81:
	s_or_b32 exec_lo, exec_lo, s0
	s_mov_b32 s0, exec_lo
	s_waitcnt lgkmcnt(0)
	s_waitcnt_vscnt null, 0x0
	s_barrier
	buffer_gl0_inv
	v_cmpx_lt_i32_e32 3, v220
	s_cbranch_execz .LBB100_83
; %bb.82:
	v_mul_f64 v[214:215], v[208:209], v[196:197]
	v_mul_f64 v[196:197], v[206:207], v[196:197]
	v_fma_f64 v[214:215], v[206:207], v[194:195], -v[214:215]
	v_fma_f64 v[196:197], v[208:209], v[194:195], v[196:197]
	ds_read2_b64 v[206:209], v1 offset0:8 offset1:9
	s_waitcnt lgkmcnt(0)
	v_mul_f64 v[194:195], v[208:209], v[196:197]
	v_fma_f64 v[194:195], v[206:207], v[214:215], -v[194:195]
	v_mul_f64 v[206:207], v[206:207], v[196:197]
	v_add_f64 v[186:187], v[186:187], -v[194:195]
	v_fma_f64 v[206:207], v[208:209], v[214:215], v[206:207]
	v_add_f64 v[188:189], v[188:189], -v[206:207]
	ds_read2_b64 v[206:209], v1 offset0:10 offset1:11
	s_waitcnt lgkmcnt(0)
	v_mul_f64 v[194:195], v[208:209], v[196:197]
	v_fma_f64 v[194:195], v[206:207], v[214:215], -v[194:195]
	v_mul_f64 v[206:207], v[206:207], v[196:197]
	v_add_f64 v[182:183], v[182:183], -v[194:195]
	v_fma_f64 v[206:207], v[208:209], v[214:215], v[206:207]
	v_add_f64 v[184:185], v[184:185], -v[206:207]
	;; [unrolled: 8-line block ×46, first 2 shown]
	ds_read2_b64 v[206:209], v1 offset0:100 offset1:101
	s_waitcnt lgkmcnt(0)
	v_mul_f64 v[194:195], v[208:209], v[196:197]
	v_fma_f64 v[194:195], v[206:207], v[214:215], -v[194:195]
	v_mul_f64 v[206:207], v[206:207], v[196:197]
	v_add_f64 v[2:3], v[2:3], -v[194:195]
	v_fma_f64 v[206:207], v[208:209], v[214:215], v[206:207]
	v_mov_b32_e32 v194, v214
	v_mov_b32_e32 v195, v215
	v_add_f64 v[4:5], v[4:5], -v[206:207]
.LBB100_83:
	s_or_b32 exec_lo, exec_lo, s0
	v_lshl_add_u32 v206, v220, 4, v1
	s_barrier
	buffer_gl0_inv
	v_mov_b32_e32 v214, 4
	ds_write2_b64 v206, v[186:187], v[188:189] offset1:1
	s_waitcnt lgkmcnt(0)
	s_barrier
	buffer_gl0_inv
	ds_read2_b64 v[206:209], v1 offset0:8 offset1:9
	s_cmp_lt_i32 s8, 6
	s_cbranch_scc1 .LBB100_86
; %bb.84:
	v_mov_b32_e32 v214, 4
	v_add3_u32 v215, v216, 0, 0x50
	s_mov_b32 s1, 5
	s_inst_prefetch 0x1
	.p2align	6
.LBB100_85:                             ; =>This Inner Loop Header: Depth=1
	s_waitcnt lgkmcnt(0)
	v_cmp_gt_f64_e32 vcc_lo, 0, v[208:209]
	v_cmp_gt_f64_e64 s0, 0, v[206:207]
	ds_read2_b64 v[221:224], v215 offset1:1
	v_xor_b32_e32 v226, 0x80000000, v207
	v_xor_b32_e32 v228, 0x80000000, v209
	v_mov_b32_e32 v225, v206
	v_mov_b32_e32 v227, v208
	v_add_nc_u32_e32 v215, 16, v215
	s_waitcnt lgkmcnt(0)
	v_xor_b32_e32 v230, 0x80000000, v224
	v_cndmask_b32_e64 v226, v207, v226, s0
	v_cndmask_b32_e32 v228, v209, v228, vcc_lo
	v_cmp_gt_f64_e32 vcc_lo, 0, v[223:224]
	v_cmp_gt_f64_e64 s0, 0, v[221:222]
	v_mov_b32_e32 v229, v223
	v_add_f64 v[225:226], v[225:226], v[227:228]
	v_xor_b32_e32 v228, 0x80000000, v222
	v_mov_b32_e32 v227, v221
	v_cndmask_b32_e32 v230, v224, v230, vcc_lo
	v_cndmask_b32_e64 v228, v222, v228, s0
	v_add_f64 v[227:228], v[227:228], v[229:230]
	v_cmp_lt_f64_e32 vcc_lo, v[225:226], v[227:228]
	v_cndmask_b32_e32 v207, v207, v222, vcc_lo
	v_cndmask_b32_e32 v206, v206, v221, vcc_lo
	;; [unrolled: 1-line block ×4, first 2 shown]
	v_cndmask_b32_e64 v214, v214, s1, vcc_lo
	s_add_i32 s1, s1, 1
	s_cmp_lg_u32 s8, s1
	s_cbranch_scc1 .LBB100_85
.LBB100_86:
	s_inst_prefetch 0x2
	s_waitcnt lgkmcnt(0)
	v_cmp_eq_f64_e32 vcc_lo, 0, v[206:207]
	v_cmp_eq_f64_e64 s0, 0, v[208:209]
	s_and_b32 s0, vcc_lo, s0
	s_and_saveexec_b32 s1, s0
	s_xor_b32 s0, exec_lo, s1
; %bb.87:
	v_cmp_ne_u32_e32 vcc_lo, 0, v219
	v_cndmask_b32_e32 v219, 5, v219, vcc_lo
; %bb.88:
	s_andn2_saveexec_b32 s0, s0
	s_cbranch_execz .LBB100_94
; %bb.89:
	v_cmp_ngt_f64_e64 s1, |v[206:207]|, |v[208:209]|
	s_and_saveexec_b32 s7, s1
	s_xor_b32 s1, exec_lo, s7
	s_cbranch_execz .LBB100_91
; %bb.90:
	v_div_scale_f64 v[221:222], null, v[208:209], v[208:209], v[206:207]
	v_div_scale_f64 v[227:228], vcc_lo, v[206:207], v[208:209], v[206:207]
	v_rcp_f64_e32 v[223:224], v[221:222]
	v_fma_f64 v[225:226], -v[221:222], v[223:224], 1.0
	v_fma_f64 v[223:224], v[223:224], v[225:226], v[223:224]
	v_fma_f64 v[225:226], -v[221:222], v[223:224], 1.0
	v_fma_f64 v[223:224], v[223:224], v[225:226], v[223:224]
	v_mul_f64 v[225:226], v[227:228], v[223:224]
	v_fma_f64 v[221:222], -v[221:222], v[225:226], v[227:228]
	v_div_fmas_f64 v[221:222], v[221:222], v[223:224], v[225:226]
	v_div_fixup_f64 v[221:222], v[221:222], v[208:209], v[206:207]
	v_fma_f64 v[206:207], v[206:207], v[221:222], v[208:209]
	v_div_scale_f64 v[208:209], null, v[206:207], v[206:207], 1.0
	v_rcp_f64_e32 v[223:224], v[208:209]
	v_fma_f64 v[225:226], -v[208:209], v[223:224], 1.0
	v_fma_f64 v[223:224], v[223:224], v[225:226], v[223:224]
	v_fma_f64 v[225:226], -v[208:209], v[223:224], 1.0
	v_fma_f64 v[223:224], v[223:224], v[225:226], v[223:224]
	v_div_scale_f64 v[225:226], vcc_lo, 1.0, v[206:207], 1.0
	v_mul_f64 v[227:228], v[225:226], v[223:224]
	v_fma_f64 v[208:209], -v[208:209], v[227:228], v[225:226]
	v_div_fmas_f64 v[208:209], v[208:209], v[223:224], v[227:228]
	v_div_fixup_f64 v[208:209], v[208:209], v[206:207], 1.0
	v_mul_f64 v[206:207], v[221:222], v[208:209]
	v_xor_b32_e32 v209, 0x80000000, v209
.LBB100_91:
	s_andn2_saveexec_b32 s1, s1
	s_cbranch_execz .LBB100_93
; %bb.92:
	v_div_scale_f64 v[221:222], null, v[206:207], v[206:207], v[208:209]
	v_div_scale_f64 v[227:228], vcc_lo, v[208:209], v[206:207], v[208:209]
	v_rcp_f64_e32 v[223:224], v[221:222]
	v_fma_f64 v[225:226], -v[221:222], v[223:224], 1.0
	v_fma_f64 v[223:224], v[223:224], v[225:226], v[223:224]
	v_fma_f64 v[225:226], -v[221:222], v[223:224], 1.0
	v_fma_f64 v[223:224], v[223:224], v[225:226], v[223:224]
	v_mul_f64 v[225:226], v[227:228], v[223:224]
	v_fma_f64 v[221:222], -v[221:222], v[225:226], v[227:228]
	v_div_fmas_f64 v[221:222], v[221:222], v[223:224], v[225:226]
	v_div_fixup_f64 v[221:222], v[221:222], v[206:207], v[208:209]
	v_fma_f64 v[206:207], v[208:209], v[221:222], v[206:207]
	v_div_scale_f64 v[208:209], null, v[206:207], v[206:207], 1.0
	v_rcp_f64_e32 v[223:224], v[208:209]
	v_fma_f64 v[225:226], -v[208:209], v[223:224], 1.0
	v_fma_f64 v[223:224], v[223:224], v[225:226], v[223:224]
	v_fma_f64 v[225:226], -v[208:209], v[223:224], 1.0
	v_fma_f64 v[223:224], v[223:224], v[225:226], v[223:224]
	v_div_scale_f64 v[225:226], vcc_lo, 1.0, v[206:207], 1.0
	v_mul_f64 v[227:228], v[225:226], v[223:224]
	v_fma_f64 v[208:209], -v[208:209], v[227:228], v[225:226]
	v_div_fmas_f64 v[208:209], v[208:209], v[223:224], v[227:228]
	v_div_fixup_f64 v[206:207], v[208:209], v[206:207], 1.0
	v_mul_f64 v[208:209], v[221:222], -v[206:207]
.LBB100_93:
	s_or_b32 exec_lo, exec_lo, s1
.LBB100_94:
	s_or_b32 exec_lo, exec_lo, s0
	s_mov_b32 s0, exec_lo
	v_cmpx_ne_u32_e64 v220, v214
	s_xor_b32 s0, exec_lo, s0
	s_cbranch_execz .LBB100_100
; %bb.95:
	s_mov_b32 s1, exec_lo
	v_cmpx_eq_u32_e32 4, v220
	s_cbranch_execz .LBB100_99
; %bb.96:
	v_cmp_ne_u32_e32 vcc_lo, 4, v214
	s_xor_b32 s7, s16, -1
	s_and_b32 s9, s7, vcc_lo
	s_and_saveexec_b32 s7, s9
	s_cbranch_execz .LBB100_98
; %bb.97:
	v_ashrrev_i32_e32 v215, 31, v214
	v_lshlrev_b64 v[220:221], 2, v[214:215]
	v_add_co_u32 v220, vcc_lo, v212, v220
	v_add_co_ci_u32_e64 v221, null, v213, v221, vcc_lo
	s_clause 0x1
	global_load_dword v0, v[220:221], off
	global_load_dword v215, v[212:213], off offset:16
	s_waitcnt vmcnt(1)
	global_store_dword v[212:213], v0, off offset:16
	s_waitcnt vmcnt(0)
	global_store_dword v[220:221], v215, off
.LBB100_98:
	s_or_b32 exec_lo, exec_lo, s7
	v_mov_b32_e32 v220, v214
	v_mov_b32_e32 v0, v214
.LBB100_99:
	s_or_b32 exec_lo, exec_lo, s1
.LBB100_100:
	s_andn2_saveexec_b32 s0, s0
	s_cbranch_execz .LBB100_102
; %bb.101:
	v_mov_b32_e32 v220, 4
	ds_write2_b64 v1, v[182:183], v[184:185] offset0:10 offset1:11
	ds_write2_b64 v1, v[178:179], v[180:181] offset0:12 offset1:13
	;; [unrolled: 1-line block ×46, first 2 shown]
.LBB100_102:
	s_or_b32 exec_lo, exec_lo, s0
	s_mov_b32 s0, exec_lo
	s_waitcnt lgkmcnt(0)
	s_waitcnt_vscnt null, 0x0
	s_barrier
	buffer_gl0_inv
	v_cmpx_lt_i32_e32 4, v220
	s_cbranch_execz .LBB100_104
; %bb.103:
	v_mul_f64 v[214:215], v[208:209], v[188:189]
	v_mul_f64 v[188:189], v[206:207], v[188:189]
	v_fma_f64 v[214:215], v[206:207], v[186:187], -v[214:215]
	v_fma_f64 v[188:189], v[208:209], v[186:187], v[188:189]
	ds_read2_b64 v[206:209], v1 offset0:10 offset1:11
	s_waitcnt lgkmcnt(0)
	v_mul_f64 v[186:187], v[208:209], v[188:189]
	v_fma_f64 v[186:187], v[206:207], v[214:215], -v[186:187]
	v_mul_f64 v[206:207], v[206:207], v[188:189]
	v_add_f64 v[182:183], v[182:183], -v[186:187]
	v_fma_f64 v[206:207], v[208:209], v[214:215], v[206:207]
	v_add_f64 v[184:185], v[184:185], -v[206:207]
	ds_read2_b64 v[206:209], v1 offset0:12 offset1:13
	s_waitcnt lgkmcnt(0)
	v_mul_f64 v[186:187], v[208:209], v[188:189]
	v_fma_f64 v[186:187], v[206:207], v[214:215], -v[186:187]
	v_mul_f64 v[206:207], v[206:207], v[188:189]
	v_add_f64 v[178:179], v[178:179], -v[186:187]
	v_fma_f64 v[206:207], v[208:209], v[214:215], v[206:207]
	v_add_f64 v[180:181], v[180:181], -v[206:207]
	;; [unrolled: 8-line block ×45, first 2 shown]
	ds_read2_b64 v[206:209], v1 offset0:100 offset1:101
	s_waitcnt lgkmcnt(0)
	v_mul_f64 v[186:187], v[208:209], v[188:189]
	v_fma_f64 v[186:187], v[206:207], v[214:215], -v[186:187]
	v_mul_f64 v[206:207], v[206:207], v[188:189]
	v_add_f64 v[2:3], v[2:3], -v[186:187]
	v_fma_f64 v[206:207], v[208:209], v[214:215], v[206:207]
	v_mov_b32_e32 v186, v214
	v_mov_b32_e32 v187, v215
	v_add_f64 v[4:5], v[4:5], -v[206:207]
.LBB100_104:
	s_or_b32 exec_lo, exec_lo, s0
	v_lshl_add_u32 v206, v220, 4, v1
	s_barrier
	buffer_gl0_inv
	v_mov_b32_e32 v214, 5
	ds_write2_b64 v206, v[182:183], v[184:185] offset1:1
	s_waitcnt lgkmcnt(0)
	s_barrier
	buffer_gl0_inv
	ds_read2_b64 v[206:209], v1 offset0:10 offset1:11
	s_cmp_lt_i32 s8, 7
	s_cbranch_scc1 .LBB100_107
; %bb.105:
	v_add3_u32 v215, v216, 0, 0x60
	v_mov_b32_e32 v214, 5
	s_mov_b32 s1, 6
	s_inst_prefetch 0x1
	.p2align	6
.LBB100_106:                            ; =>This Inner Loop Header: Depth=1
	s_waitcnt lgkmcnt(0)
	v_cmp_gt_f64_e32 vcc_lo, 0, v[208:209]
	v_cmp_gt_f64_e64 s0, 0, v[206:207]
	ds_read2_b64 v[221:224], v215 offset1:1
	v_xor_b32_e32 v226, 0x80000000, v207
	v_xor_b32_e32 v228, 0x80000000, v209
	v_mov_b32_e32 v225, v206
	v_mov_b32_e32 v227, v208
	v_add_nc_u32_e32 v215, 16, v215
	s_waitcnt lgkmcnt(0)
	v_xor_b32_e32 v230, 0x80000000, v224
	v_cndmask_b32_e64 v226, v207, v226, s0
	v_cndmask_b32_e32 v228, v209, v228, vcc_lo
	v_cmp_gt_f64_e32 vcc_lo, 0, v[223:224]
	v_cmp_gt_f64_e64 s0, 0, v[221:222]
	v_mov_b32_e32 v229, v223
	v_add_f64 v[225:226], v[225:226], v[227:228]
	v_xor_b32_e32 v228, 0x80000000, v222
	v_mov_b32_e32 v227, v221
	v_cndmask_b32_e32 v230, v224, v230, vcc_lo
	v_cndmask_b32_e64 v228, v222, v228, s0
	v_add_f64 v[227:228], v[227:228], v[229:230]
	v_cmp_lt_f64_e32 vcc_lo, v[225:226], v[227:228]
	v_cndmask_b32_e32 v207, v207, v222, vcc_lo
	v_cndmask_b32_e32 v206, v206, v221, vcc_lo
	;; [unrolled: 1-line block ×4, first 2 shown]
	v_cndmask_b32_e64 v214, v214, s1, vcc_lo
	s_add_i32 s1, s1, 1
	s_cmp_lg_u32 s8, s1
	s_cbranch_scc1 .LBB100_106
.LBB100_107:
	s_inst_prefetch 0x2
	s_waitcnt lgkmcnt(0)
	v_cmp_eq_f64_e32 vcc_lo, 0, v[206:207]
	v_cmp_eq_f64_e64 s0, 0, v[208:209]
	s_and_b32 s0, vcc_lo, s0
	s_and_saveexec_b32 s1, s0
	s_xor_b32 s0, exec_lo, s1
; %bb.108:
	v_cmp_ne_u32_e32 vcc_lo, 0, v219
	v_cndmask_b32_e32 v219, 6, v219, vcc_lo
; %bb.109:
	s_andn2_saveexec_b32 s0, s0
	s_cbranch_execz .LBB100_115
; %bb.110:
	v_cmp_ngt_f64_e64 s1, |v[206:207]|, |v[208:209]|
	s_and_saveexec_b32 s7, s1
	s_xor_b32 s1, exec_lo, s7
	s_cbranch_execz .LBB100_112
; %bb.111:
	v_div_scale_f64 v[221:222], null, v[208:209], v[208:209], v[206:207]
	v_div_scale_f64 v[227:228], vcc_lo, v[206:207], v[208:209], v[206:207]
	v_rcp_f64_e32 v[223:224], v[221:222]
	v_fma_f64 v[225:226], -v[221:222], v[223:224], 1.0
	v_fma_f64 v[223:224], v[223:224], v[225:226], v[223:224]
	v_fma_f64 v[225:226], -v[221:222], v[223:224], 1.0
	v_fma_f64 v[223:224], v[223:224], v[225:226], v[223:224]
	v_mul_f64 v[225:226], v[227:228], v[223:224]
	v_fma_f64 v[221:222], -v[221:222], v[225:226], v[227:228]
	v_div_fmas_f64 v[221:222], v[221:222], v[223:224], v[225:226]
	v_div_fixup_f64 v[221:222], v[221:222], v[208:209], v[206:207]
	v_fma_f64 v[206:207], v[206:207], v[221:222], v[208:209]
	v_div_scale_f64 v[208:209], null, v[206:207], v[206:207], 1.0
	v_rcp_f64_e32 v[223:224], v[208:209]
	v_fma_f64 v[225:226], -v[208:209], v[223:224], 1.0
	v_fma_f64 v[223:224], v[223:224], v[225:226], v[223:224]
	v_fma_f64 v[225:226], -v[208:209], v[223:224], 1.0
	v_fma_f64 v[223:224], v[223:224], v[225:226], v[223:224]
	v_div_scale_f64 v[225:226], vcc_lo, 1.0, v[206:207], 1.0
	v_mul_f64 v[227:228], v[225:226], v[223:224]
	v_fma_f64 v[208:209], -v[208:209], v[227:228], v[225:226]
	v_div_fmas_f64 v[208:209], v[208:209], v[223:224], v[227:228]
	v_div_fixup_f64 v[208:209], v[208:209], v[206:207], 1.0
	v_mul_f64 v[206:207], v[221:222], v[208:209]
	v_xor_b32_e32 v209, 0x80000000, v209
.LBB100_112:
	s_andn2_saveexec_b32 s1, s1
	s_cbranch_execz .LBB100_114
; %bb.113:
	v_div_scale_f64 v[221:222], null, v[206:207], v[206:207], v[208:209]
	v_div_scale_f64 v[227:228], vcc_lo, v[208:209], v[206:207], v[208:209]
	v_rcp_f64_e32 v[223:224], v[221:222]
	v_fma_f64 v[225:226], -v[221:222], v[223:224], 1.0
	v_fma_f64 v[223:224], v[223:224], v[225:226], v[223:224]
	v_fma_f64 v[225:226], -v[221:222], v[223:224], 1.0
	v_fma_f64 v[223:224], v[223:224], v[225:226], v[223:224]
	v_mul_f64 v[225:226], v[227:228], v[223:224]
	v_fma_f64 v[221:222], -v[221:222], v[225:226], v[227:228]
	v_div_fmas_f64 v[221:222], v[221:222], v[223:224], v[225:226]
	v_div_fixup_f64 v[221:222], v[221:222], v[206:207], v[208:209]
	v_fma_f64 v[206:207], v[208:209], v[221:222], v[206:207]
	v_div_scale_f64 v[208:209], null, v[206:207], v[206:207], 1.0
	v_rcp_f64_e32 v[223:224], v[208:209]
	v_fma_f64 v[225:226], -v[208:209], v[223:224], 1.0
	v_fma_f64 v[223:224], v[223:224], v[225:226], v[223:224]
	v_fma_f64 v[225:226], -v[208:209], v[223:224], 1.0
	v_fma_f64 v[223:224], v[223:224], v[225:226], v[223:224]
	v_div_scale_f64 v[225:226], vcc_lo, 1.0, v[206:207], 1.0
	v_mul_f64 v[227:228], v[225:226], v[223:224]
	v_fma_f64 v[208:209], -v[208:209], v[227:228], v[225:226]
	v_div_fmas_f64 v[208:209], v[208:209], v[223:224], v[227:228]
	v_div_fixup_f64 v[206:207], v[208:209], v[206:207], 1.0
	v_mul_f64 v[208:209], v[221:222], -v[206:207]
.LBB100_114:
	s_or_b32 exec_lo, exec_lo, s1
.LBB100_115:
	s_or_b32 exec_lo, exec_lo, s0
	s_mov_b32 s0, exec_lo
	v_cmpx_ne_u32_e64 v220, v214
	s_xor_b32 s0, exec_lo, s0
	s_cbranch_execz .LBB100_121
; %bb.116:
	s_mov_b32 s1, exec_lo
	v_cmpx_eq_u32_e32 5, v220
	s_cbranch_execz .LBB100_120
; %bb.117:
	v_cmp_ne_u32_e32 vcc_lo, 5, v214
	s_xor_b32 s7, s16, -1
	s_and_b32 s9, s7, vcc_lo
	s_and_saveexec_b32 s7, s9
	s_cbranch_execz .LBB100_119
; %bb.118:
	v_ashrrev_i32_e32 v215, 31, v214
	v_lshlrev_b64 v[220:221], 2, v[214:215]
	v_add_co_u32 v220, vcc_lo, v212, v220
	v_add_co_ci_u32_e64 v221, null, v213, v221, vcc_lo
	s_clause 0x1
	global_load_dword v0, v[220:221], off
	global_load_dword v215, v[212:213], off offset:20
	s_waitcnt vmcnt(1)
	global_store_dword v[212:213], v0, off offset:20
	s_waitcnt vmcnt(0)
	global_store_dword v[220:221], v215, off
.LBB100_119:
	s_or_b32 exec_lo, exec_lo, s7
	v_mov_b32_e32 v220, v214
	v_mov_b32_e32 v0, v214
.LBB100_120:
	s_or_b32 exec_lo, exec_lo, s1
.LBB100_121:
	s_andn2_saveexec_b32 s0, s0
	s_cbranch_execz .LBB100_123
; %bb.122:
	v_mov_b32_e32 v220, 5
	ds_write2_b64 v1, v[178:179], v[180:181] offset0:12 offset1:13
	ds_write2_b64 v1, v[174:175], v[176:177] offset0:14 offset1:15
	;; [unrolled: 1-line block ×45, first 2 shown]
.LBB100_123:
	s_or_b32 exec_lo, exec_lo, s0
	s_mov_b32 s0, exec_lo
	s_waitcnt lgkmcnt(0)
	s_waitcnt_vscnt null, 0x0
	s_barrier
	buffer_gl0_inv
	v_cmpx_lt_i32_e32 5, v220
	s_cbranch_execz .LBB100_125
; %bb.124:
	v_mul_f64 v[214:215], v[208:209], v[184:185]
	v_mul_f64 v[184:185], v[206:207], v[184:185]
	v_fma_f64 v[214:215], v[206:207], v[182:183], -v[214:215]
	v_fma_f64 v[184:185], v[208:209], v[182:183], v[184:185]
	ds_read2_b64 v[206:209], v1 offset0:12 offset1:13
	s_waitcnt lgkmcnt(0)
	v_mul_f64 v[182:183], v[208:209], v[184:185]
	v_fma_f64 v[182:183], v[206:207], v[214:215], -v[182:183]
	v_mul_f64 v[206:207], v[206:207], v[184:185]
	v_add_f64 v[178:179], v[178:179], -v[182:183]
	v_fma_f64 v[206:207], v[208:209], v[214:215], v[206:207]
	v_add_f64 v[180:181], v[180:181], -v[206:207]
	ds_read2_b64 v[206:209], v1 offset0:14 offset1:15
	s_waitcnt lgkmcnt(0)
	v_mul_f64 v[182:183], v[208:209], v[184:185]
	v_fma_f64 v[182:183], v[206:207], v[214:215], -v[182:183]
	v_mul_f64 v[206:207], v[206:207], v[184:185]
	v_add_f64 v[174:175], v[174:175], -v[182:183]
	v_fma_f64 v[206:207], v[208:209], v[214:215], v[206:207]
	v_add_f64 v[176:177], v[176:177], -v[206:207]
	;; [unrolled: 8-line block ×44, first 2 shown]
	ds_read2_b64 v[206:209], v1 offset0:100 offset1:101
	s_waitcnt lgkmcnt(0)
	v_mul_f64 v[182:183], v[208:209], v[184:185]
	v_fma_f64 v[182:183], v[206:207], v[214:215], -v[182:183]
	v_mul_f64 v[206:207], v[206:207], v[184:185]
	v_add_f64 v[2:3], v[2:3], -v[182:183]
	v_fma_f64 v[206:207], v[208:209], v[214:215], v[206:207]
	v_mov_b32_e32 v182, v214
	v_mov_b32_e32 v183, v215
	v_add_f64 v[4:5], v[4:5], -v[206:207]
.LBB100_125:
	s_or_b32 exec_lo, exec_lo, s0
	v_lshl_add_u32 v206, v220, 4, v1
	s_barrier
	buffer_gl0_inv
	v_mov_b32_e32 v214, 6
	ds_write2_b64 v206, v[178:179], v[180:181] offset1:1
	s_waitcnt lgkmcnt(0)
	s_barrier
	buffer_gl0_inv
	ds_read2_b64 v[206:209], v1 offset0:12 offset1:13
	s_cmp_lt_i32 s8, 8
	s_cbranch_scc1 .LBB100_128
; %bb.126:
	v_add3_u32 v215, v216, 0, 0x70
	v_mov_b32_e32 v214, 6
	s_mov_b32 s1, 7
	s_inst_prefetch 0x1
	.p2align	6
.LBB100_127:                            ; =>This Inner Loop Header: Depth=1
	s_waitcnt lgkmcnt(0)
	v_cmp_gt_f64_e32 vcc_lo, 0, v[208:209]
	v_cmp_gt_f64_e64 s0, 0, v[206:207]
	ds_read2_b64 v[221:224], v215 offset1:1
	v_xor_b32_e32 v226, 0x80000000, v207
	v_xor_b32_e32 v228, 0x80000000, v209
	v_mov_b32_e32 v225, v206
	v_mov_b32_e32 v227, v208
	v_add_nc_u32_e32 v215, 16, v215
	s_waitcnt lgkmcnt(0)
	v_xor_b32_e32 v230, 0x80000000, v224
	v_cndmask_b32_e64 v226, v207, v226, s0
	v_cndmask_b32_e32 v228, v209, v228, vcc_lo
	v_cmp_gt_f64_e32 vcc_lo, 0, v[223:224]
	v_cmp_gt_f64_e64 s0, 0, v[221:222]
	v_mov_b32_e32 v229, v223
	v_add_f64 v[225:226], v[225:226], v[227:228]
	v_xor_b32_e32 v228, 0x80000000, v222
	v_mov_b32_e32 v227, v221
	v_cndmask_b32_e32 v230, v224, v230, vcc_lo
	v_cndmask_b32_e64 v228, v222, v228, s0
	v_add_f64 v[227:228], v[227:228], v[229:230]
	v_cmp_lt_f64_e32 vcc_lo, v[225:226], v[227:228]
	v_cndmask_b32_e32 v207, v207, v222, vcc_lo
	v_cndmask_b32_e32 v206, v206, v221, vcc_lo
	;; [unrolled: 1-line block ×4, first 2 shown]
	v_cndmask_b32_e64 v214, v214, s1, vcc_lo
	s_add_i32 s1, s1, 1
	s_cmp_lg_u32 s8, s1
	s_cbranch_scc1 .LBB100_127
.LBB100_128:
	s_inst_prefetch 0x2
	s_waitcnt lgkmcnt(0)
	v_cmp_eq_f64_e32 vcc_lo, 0, v[206:207]
	v_cmp_eq_f64_e64 s0, 0, v[208:209]
	s_and_b32 s0, vcc_lo, s0
	s_and_saveexec_b32 s1, s0
	s_xor_b32 s0, exec_lo, s1
; %bb.129:
	v_cmp_ne_u32_e32 vcc_lo, 0, v219
	v_cndmask_b32_e32 v219, 7, v219, vcc_lo
; %bb.130:
	s_andn2_saveexec_b32 s0, s0
	s_cbranch_execz .LBB100_136
; %bb.131:
	v_cmp_ngt_f64_e64 s1, |v[206:207]|, |v[208:209]|
	s_and_saveexec_b32 s7, s1
	s_xor_b32 s1, exec_lo, s7
	s_cbranch_execz .LBB100_133
; %bb.132:
	v_div_scale_f64 v[221:222], null, v[208:209], v[208:209], v[206:207]
	v_div_scale_f64 v[227:228], vcc_lo, v[206:207], v[208:209], v[206:207]
	v_rcp_f64_e32 v[223:224], v[221:222]
	v_fma_f64 v[225:226], -v[221:222], v[223:224], 1.0
	v_fma_f64 v[223:224], v[223:224], v[225:226], v[223:224]
	v_fma_f64 v[225:226], -v[221:222], v[223:224], 1.0
	v_fma_f64 v[223:224], v[223:224], v[225:226], v[223:224]
	v_mul_f64 v[225:226], v[227:228], v[223:224]
	v_fma_f64 v[221:222], -v[221:222], v[225:226], v[227:228]
	v_div_fmas_f64 v[221:222], v[221:222], v[223:224], v[225:226]
	v_div_fixup_f64 v[221:222], v[221:222], v[208:209], v[206:207]
	v_fma_f64 v[206:207], v[206:207], v[221:222], v[208:209]
	v_div_scale_f64 v[208:209], null, v[206:207], v[206:207], 1.0
	v_rcp_f64_e32 v[223:224], v[208:209]
	v_fma_f64 v[225:226], -v[208:209], v[223:224], 1.0
	v_fma_f64 v[223:224], v[223:224], v[225:226], v[223:224]
	v_fma_f64 v[225:226], -v[208:209], v[223:224], 1.0
	v_fma_f64 v[223:224], v[223:224], v[225:226], v[223:224]
	v_div_scale_f64 v[225:226], vcc_lo, 1.0, v[206:207], 1.0
	v_mul_f64 v[227:228], v[225:226], v[223:224]
	v_fma_f64 v[208:209], -v[208:209], v[227:228], v[225:226]
	v_div_fmas_f64 v[208:209], v[208:209], v[223:224], v[227:228]
	v_div_fixup_f64 v[208:209], v[208:209], v[206:207], 1.0
	v_mul_f64 v[206:207], v[221:222], v[208:209]
	v_xor_b32_e32 v209, 0x80000000, v209
.LBB100_133:
	s_andn2_saveexec_b32 s1, s1
	s_cbranch_execz .LBB100_135
; %bb.134:
	v_div_scale_f64 v[221:222], null, v[206:207], v[206:207], v[208:209]
	v_div_scale_f64 v[227:228], vcc_lo, v[208:209], v[206:207], v[208:209]
	v_rcp_f64_e32 v[223:224], v[221:222]
	v_fma_f64 v[225:226], -v[221:222], v[223:224], 1.0
	v_fma_f64 v[223:224], v[223:224], v[225:226], v[223:224]
	v_fma_f64 v[225:226], -v[221:222], v[223:224], 1.0
	v_fma_f64 v[223:224], v[223:224], v[225:226], v[223:224]
	v_mul_f64 v[225:226], v[227:228], v[223:224]
	v_fma_f64 v[221:222], -v[221:222], v[225:226], v[227:228]
	v_div_fmas_f64 v[221:222], v[221:222], v[223:224], v[225:226]
	v_div_fixup_f64 v[221:222], v[221:222], v[206:207], v[208:209]
	v_fma_f64 v[206:207], v[208:209], v[221:222], v[206:207]
	v_div_scale_f64 v[208:209], null, v[206:207], v[206:207], 1.0
	v_rcp_f64_e32 v[223:224], v[208:209]
	v_fma_f64 v[225:226], -v[208:209], v[223:224], 1.0
	v_fma_f64 v[223:224], v[223:224], v[225:226], v[223:224]
	v_fma_f64 v[225:226], -v[208:209], v[223:224], 1.0
	v_fma_f64 v[223:224], v[223:224], v[225:226], v[223:224]
	v_div_scale_f64 v[225:226], vcc_lo, 1.0, v[206:207], 1.0
	v_mul_f64 v[227:228], v[225:226], v[223:224]
	v_fma_f64 v[208:209], -v[208:209], v[227:228], v[225:226]
	v_div_fmas_f64 v[208:209], v[208:209], v[223:224], v[227:228]
	v_div_fixup_f64 v[206:207], v[208:209], v[206:207], 1.0
	v_mul_f64 v[208:209], v[221:222], -v[206:207]
.LBB100_135:
	s_or_b32 exec_lo, exec_lo, s1
.LBB100_136:
	s_or_b32 exec_lo, exec_lo, s0
	s_mov_b32 s0, exec_lo
	v_cmpx_ne_u32_e64 v220, v214
	s_xor_b32 s0, exec_lo, s0
	s_cbranch_execz .LBB100_142
; %bb.137:
	s_mov_b32 s1, exec_lo
	v_cmpx_eq_u32_e32 6, v220
	s_cbranch_execz .LBB100_141
; %bb.138:
	v_cmp_ne_u32_e32 vcc_lo, 6, v214
	s_xor_b32 s7, s16, -1
	s_and_b32 s9, s7, vcc_lo
	s_and_saveexec_b32 s7, s9
	s_cbranch_execz .LBB100_140
; %bb.139:
	v_ashrrev_i32_e32 v215, 31, v214
	v_lshlrev_b64 v[220:221], 2, v[214:215]
	v_add_co_u32 v220, vcc_lo, v212, v220
	v_add_co_ci_u32_e64 v221, null, v213, v221, vcc_lo
	s_clause 0x1
	global_load_dword v0, v[220:221], off
	global_load_dword v215, v[212:213], off offset:24
	s_waitcnt vmcnt(1)
	global_store_dword v[212:213], v0, off offset:24
	s_waitcnt vmcnt(0)
	global_store_dword v[220:221], v215, off
.LBB100_140:
	s_or_b32 exec_lo, exec_lo, s7
	v_mov_b32_e32 v220, v214
	v_mov_b32_e32 v0, v214
.LBB100_141:
	s_or_b32 exec_lo, exec_lo, s1
.LBB100_142:
	s_andn2_saveexec_b32 s0, s0
	s_cbranch_execz .LBB100_144
; %bb.143:
	v_mov_b32_e32 v220, 6
	ds_write2_b64 v1, v[174:175], v[176:177] offset0:14 offset1:15
	ds_write2_b64 v1, v[170:171], v[172:173] offset0:16 offset1:17
	;; [unrolled: 1-line block ×44, first 2 shown]
.LBB100_144:
	s_or_b32 exec_lo, exec_lo, s0
	s_mov_b32 s0, exec_lo
	s_waitcnt lgkmcnt(0)
	s_waitcnt_vscnt null, 0x0
	s_barrier
	buffer_gl0_inv
	v_cmpx_lt_i32_e32 6, v220
	s_cbranch_execz .LBB100_146
; %bb.145:
	v_mul_f64 v[214:215], v[208:209], v[180:181]
	v_mul_f64 v[180:181], v[206:207], v[180:181]
	v_fma_f64 v[214:215], v[206:207], v[178:179], -v[214:215]
	v_fma_f64 v[180:181], v[208:209], v[178:179], v[180:181]
	ds_read2_b64 v[206:209], v1 offset0:14 offset1:15
	s_waitcnt lgkmcnt(0)
	v_mul_f64 v[178:179], v[208:209], v[180:181]
	v_fma_f64 v[178:179], v[206:207], v[214:215], -v[178:179]
	v_mul_f64 v[206:207], v[206:207], v[180:181]
	v_add_f64 v[174:175], v[174:175], -v[178:179]
	v_fma_f64 v[206:207], v[208:209], v[214:215], v[206:207]
	v_add_f64 v[176:177], v[176:177], -v[206:207]
	ds_read2_b64 v[206:209], v1 offset0:16 offset1:17
	s_waitcnt lgkmcnt(0)
	v_mul_f64 v[178:179], v[208:209], v[180:181]
	v_fma_f64 v[178:179], v[206:207], v[214:215], -v[178:179]
	v_mul_f64 v[206:207], v[206:207], v[180:181]
	v_add_f64 v[170:171], v[170:171], -v[178:179]
	v_fma_f64 v[206:207], v[208:209], v[214:215], v[206:207]
	v_add_f64 v[172:173], v[172:173], -v[206:207]
	;; [unrolled: 8-line block ×43, first 2 shown]
	ds_read2_b64 v[206:209], v1 offset0:100 offset1:101
	s_waitcnt lgkmcnt(0)
	v_mul_f64 v[178:179], v[208:209], v[180:181]
	v_fma_f64 v[178:179], v[206:207], v[214:215], -v[178:179]
	v_mul_f64 v[206:207], v[206:207], v[180:181]
	v_add_f64 v[2:3], v[2:3], -v[178:179]
	v_fma_f64 v[206:207], v[208:209], v[214:215], v[206:207]
	v_mov_b32_e32 v178, v214
	v_mov_b32_e32 v179, v215
	v_add_f64 v[4:5], v[4:5], -v[206:207]
.LBB100_146:
	s_or_b32 exec_lo, exec_lo, s0
	v_lshl_add_u32 v206, v220, 4, v1
	s_barrier
	buffer_gl0_inv
	v_mov_b32_e32 v214, 7
	ds_write2_b64 v206, v[174:175], v[176:177] offset1:1
	s_waitcnt lgkmcnt(0)
	s_barrier
	buffer_gl0_inv
	ds_read2_b64 v[206:209], v1 offset0:14 offset1:15
	s_cmp_lt_i32 s8, 9
	s_cbranch_scc1 .LBB100_149
; %bb.147:
	v_add3_u32 v215, v216, 0, 0x80
	v_mov_b32_e32 v214, 7
	s_mov_b32 s1, 8
	s_inst_prefetch 0x1
	.p2align	6
.LBB100_148:                            ; =>This Inner Loop Header: Depth=1
	s_waitcnt lgkmcnt(0)
	v_cmp_gt_f64_e32 vcc_lo, 0, v[208:209]
	v_cmp_gt_f64_e64 s0, 0, v[206:207]
	ds_read2_b64 v[221:224], v215 offset1:1
	v_xor_b32_e32 v226, 0x80000000, v207
	v_xor_b32_e32 v228, 0x80000000, v209
	v_mov_b32_e32 v225, v206
	v_mov_b32_e32 v227, v208
	v_add_nc_u32_e32 v215, 16, v215
	s_waitcnt lgkmcnt(0)
	v_xor_b32_e32 v230, 0x80000000, v224
	v_cndmask_b32_e64 v226, v207, v226, s0
	v_cndmask_b32_e32 v228, v209, v228, vcc_lo
	v_cmp_gt_f64_e32 vcc_lo, 0, v[223:224]
	v_cmp_gt_f64_e64 s0, 0, v[221:222]
	v_mov_b32_e32 v229, v223
	v_add_f64 v[225:226], v[225:226], v[227:228]
	v_xor_b32_e32 v228, 0x80000000, v222
	v_mov_b32_e32 v227, v221
	v_cndmask_b32_e32 v230, v224, v230, vcc_lo
	v_cndmask_b32_e64 v228, v222, v228, s0
	v_add_f64 v[227:228], v[227:228], v[229:230]
	v_cmp_lt_f64_e32 vcc_lo, v[225:226], v[227:228]
	v_cndmask_b32_e32 v207, v207, v222, vcc_lo
	v_cndmask_b32_e32 v206, v206, v221, vcc_lo
	;; [unrolled: 1-line block ×4, first 2 shown]
	v_cndmask_b32_e64 v214, v214, s1, vcc_lo
	s_add_i32 s1, s1, 1
	s_cmp_lg_u32 s8, s1
	s_cbranch_scc1 .LBB100_148
.LBB100_149:
	s_inst_prefetch 0x2
	s_waitcnt lgkmcnt(0)
	v_cmp_eq_f64_e32 vcc_lo, 0, v[206:207]
	v_cmp_eq_f64_e64 s0, 0, v[208:209]
	s_and_b32 s0, vcc_lo, s0
	s_and_saveexec_b32 s1, s0
	s_xor_b32 s0, exec_lo, s1
; %bb.150:
	v_cmp_ne_u32_e32 vcc_lo, 0, v219
	v_cndmask_b32_e32 v219, 8, v219, vcc_lo
; %bb.151:
	s_andn2_saveexec_b32 s0, s0
	s_cbranch_execz .LBB100_157
; %bb.152:
	v_cmp_ngt_f64_e64 s1, |v[206:207]|, |v[208:209]|
	s_and_saveexec_b32 s7, s1
	s_xor_b32 s1, exec_lo, s7
	s_cbranch_execz .LBB100_154
; %bb.153:
	v_div_scale_f64 v[221:222], null, v[208:209], v[208:209], v[206:207]
	v_div_scale_f64 v[227:228], vcc_lo, v[206:207], v[208:209], v[206:207]
	v_rcp_f64_e32 v[223:224], v[221:222]
	v_fma_f64 v[225:226], -v[221:222], v[223:224], 1.0
	v_fma_f64 v[223:224], v[223:224], v[225:226], v[223:224]
	v_fma_f64 v[225:226], -v[221:222], v[223:224], 1.0
	v_fma_f64 v[223:224], v[223:224], v[225:226], v[223:224]
	v_mul_f64 v[225:226], v[227:228], v[223:224]
	v_fma_f64 v[221:222], -v[221:222], v[225:226], v[227:228]
	v_div_fmas_f64 v[221:222], v[221:222], v[223:224], v[225:226]
	v_div_fixup_f64 v[221:222], v[221:222], v[208:209], v[206:207]
	v_fma_f64 v[206:207], v[206:207], v[221:222], v[208:209]
	v_div_scale_f64 v[208:209], null, v[206:207], v[206:207], 1.0
	v_rcp_f64_e32 v[223:224], v[208:209]
	v_fma_f64 v[225:226], -v[208:209], v[223:224], 1.0
	v_fma_f64 v[223:224], v[223:224], v[225:226], v[223:224]
	v_fma_f64 v[225:226], -v[208:209], v[223:224], 1.0
	v_fma_f64 v[223:224], v[223:224], v[225:226], v[223:224]
	v_div_scale_f64 v[225:226], vcc_lo, 1.0, v[206:207], 1.0
	v_mul_f64 v[227:228], v[225:226], v[223:224]
	v_fma_f64 v[208:209], -v[208:209], v[227:228], v[225:226]
	v_div_fmas_f64 v[208:209], v[208:209], v[223:224], v[227:228]
	v_div_fixup_f64 v[208:209], v[208:209], v[206:207], 1.0
	v_mul_f64 v[206:207], v[221:222], v[208:209]
	v_xor_b32_e32 v209, 0x80000000, v209
.LBB100_154:
	s_andn2_saveexec_b32 s1, s1
	s_cbranch_execz .LBB100_156
; %bb.155:
	v_div_scale_f64 v[221:222], null, v[206:207], v[206:207], v[208:209]
	v_div_scale_f64 v[227:228], vcc_lo, v[208:209], v[206:207], v[208:209]
	v_rcp_f64_e32 v[223:224], v[221:222]
	v_fma_f64 v[225:226], -v[221:222], v[223:224], 1.0
	v_fma_f64 v[223:224], v[223:224], v[225:226], v[223:224]
	v_fma_f64 v[225:226], -v[221:222], v[223:224], 1.0
	v_fma_f64 v[223:224], v[223:224], v[225:226], v[223:224]
	v_mul_f64 v[225:226], v[227:228], v[223:224]
	v_fma_f64 v[221:222], -v[221:222], v[225:226], v[227:228]
	v_div_fmas_f64 v[221:222], v[221:222], v[223:224], v[225:226]
	v_div_fixup_f64 v[221:222], v[221:222], v[206:207], v[208:209]
	v_fma_f64 v[206:207], v[208:209], v[221:222], v[206:207]
	v_div_scale_f64 v[208:209], null, v[206:207], v[206:207], 1.0
	v_rcp_f64_e32 v[223:224], v[208:209]
	v_fma_f64 v[225:226], -v[208:209], v[223:224], 1.0
	v_fma_f64 v[223:224], v[223:224], v[225:226], v[223:224]
	v_fma_f64 v[225:226], -v[208:209], v[223:224], 1.0
	v_fma_f64 v[223:224], v[223:224], v[225:226], v[223:224]
	v_div_scale_f64 v[225:226], vcc_lo, 1.0, v[206:207], 1.0
	v_mul_f64 v[227:228], v[225:226], v[223:224]
	v_fma_f64 v[208:209], -v[208:209], v[227:228], v[225:226]
	v_div_fmas_f64 v[208:209], v[208:209], v[223:224], v[227:228]
	v_div_fixup_f64 v[206:207], v[208:209], v[206:207], 1.0
	v_mul_f64 v[208:209], v[221:222], -v[206:207]
.LBB100_156:
	s_or_b32 exec_lo, exec_lo, s1
.LBB100_157:
	s_or_b32 exec_lo, exec_lo, s0
	s_mov_b32 s0, exec_lo
	v_cmpx_ne_u32_e64 v220, v214
	s_xor_b32 s0, exec_lo, s0
	s_cbranch_execz .LBB100_163
; %bb.158:
	s_mov_b32 s1, exec_lo
	v_cmpx_eq_u32_e32 7, v220
	s_cbranch_execz .LBB100_162
; %bb.159:
	v_cmp_ne_u32_e32 vcc_lo, 7, v214
	s_xor_b32 s7, s16, -1
	s_and_b32 s9, s7, vcc_lo
	s_and_saveexec_b32 s7, s9
	s_cbranch_execz .LBB100_161
; %bb.160:
	v_ashrrev_i32_e32 v215, 31, v214
	v_lshlrev_b64 v[220:221], 2, v[214:215]
	v_add_co_u32 v220, vcc_lo, v212, v220
	v_add_co_ci_u32_e64 v221, null, v213, v221, vcc_lo
	s_clause 0x1
	global_load_dword v0, v[220:221], off
	global_load_dword v215, v[212:213], off offset:28
	s_waitcnt vmcnt(1)
	global_store_dword v[212:213], v0, off offset:28
	s_waitcnt vmcnt(0)
	global_store_dword v[220:221], v215, off
.LBB100_161:
	s_or_b32 exec_lo, exec_lo, s7
	v_mov_b32_e32 v220, v214
	v_mov_b32_e32 v0, v214
.LBB100_162:
	s_or_b32 exec_lo, exec_lo, s1
.LBB100_163:
	s_andn2_saveexec_b32 s0, s0
	s_cbranch_execz .LBB100_165
; %bb.164:
	v_mov_b32_e32 v220, 7
	ds_write2_b64 v1, v[170:171], v[172:173] offset0:16 offset1:17
	ds_write2_b64 v1, v[166:167], v[168:169] offset0:18 offset1:19
	;; [unrolled: 1-line block ×43, first 2 shown]
.LBB100_165:
	s_or_b32 exec_lo, exec_lo, s0
	s_mov_b32 s0, exec_lo
	s_waitcnt lgkmcnt(0)
	s_waitcnt_vscnt null, 0x0
	s_barrier
	buffer_gl0_inv
	v_cmpx_lt_i32_e32 7, v220
	s_cbranch_execz .LBB100_167
; %bb.166:
	v_mul_f64 v[214:215], v[208:209], v[176:177]
	v_mul_f64 v[176:177], v[206:207], v[176:177]
	v_fma_f64 v[214:215], v[206:207], v[174:175], -v[214:215]
	v_fma_f64 v[176:177], v[208:209], v[174:175], v[176:177]
	ds_read2_b64 v[206:209], v1 offset0:16 offset1:17
	s_waitcnt lgkmcnt(0)
	v_mul_f64 v[174:175], v[208:209], v[176:177]
	v_fma_f64 v[174:175], v[206:207], v[214:215], -v[174:175]
	v_mul_f64 v[206:207], v[206:207], v[176:177]
	v_add_f64 v[170:171], v[170:171], -v[174:175]
	v_fma_f64 v[206:207], v[208:209], v[214:215], v[206:207]
	v_add_f64 v[172:173], v[172:173], -v[206:207]
	ds_read2_b64 v[206:209], v1 offset0:18 offset1:19
	s_waitcnt lgkmcnt(0)
	v_mul_f64 v[174:175], v[208:209], v[176:177]
	v_fma_f64 v[174:175], v[206:207], v[214:215], -v[174:175]
	v_mul_f64 v[206:207], v[206:207], v[176:177]
	v_add_f64 v[166:167], v[166:167], -v[174:175]
	v_fma_f64 v[206:207], v[208:209], v[214:215], v[206:207]
	v_add_f64 v[168:169], v[168:169], -v[206:207]
	;; [unrolled: 8-line block ×42, first 2 shown]
	ds_read2_b64 v[206:209], v1 offset0:100 offset1:101
	s_waitcnt lgkmcnt(0)
	v_mul_f64 v[174:175], v[208:209], v[176:177]
	v_fma_f64 v[174:175], v[206:207], v[214:215], -v[174:175]
	v_mul_f64 v[206:207], v[206:207], v[176:177]
	v_add_f64 v[2:3], v[2:3], -v[174:175]
	v_fma_f64 v[206:207], v[208:209], v[214:215], v[206:207]
	v_mov_b32_e32 v174, v214
	v_mov_b32_e32 v175, v215
	v_add_f64 v[4:5], v[4:5], -v[206:207]
.LBB100_167:
	s_or_b32 exec_lo, exec_lo, s0
	v_lshl_add_u32 v206, v220, 4, v1
	s_barrier
	buffer_gl0_inv
	v_mov_b32_e32 v214, 8
	ds_write2_b64 v206, v[170:171], v[172:173] offset1:1
	s_waitcnt lgkmcnt(0)
	s_barrier
	buffer_gl0_inv
	ds_read2_b64 v[206:209], v1 offset0:16 offset1:17
	s_cmp_lt_i32 s8, 10
	s_cbranch_scc1 .LBB100_170
; %bb.168:
	v_add3_u32 v215, v216, 0, 0x90
	v_mov_b32_e32 v214, 8
	s_mov_b32 s1, 9
	s_inst_prefetch 0x1
	.p2align	6
.LBB100_169:                            ; =>This Inner Loop Header: Depth=1
	s_waitcnt lgkmcnt(0)
	v_cmp_gt_f64_e32 vcc_lo, 0, v[208:209]
	v_cmp_gt_f64_e64 s0, 0, v[206:207]
	ds_read2_b64 v[221:224], v215 offset1:1
	v_xor_b32_e32 v226, 0x80000000, v207
	v_xor_b32_e32 v228, 0x80000000, v209
	v_mov_b32_e32 v225, v206
	v_mov_b32_e32 v227, v208
	v_add_nc_u32_e32 v215, 16, v215
	s_waitcnt lgkmcnt(0)
	v_xor_b32_e32 v230, 0x80000000, v224
	v_cndmask_b32_e64 v226, v207, v226, s0
	v_cndmask_b32_e32 v228, v209, v228, vcc_lo
	v_cmp_gt_f64_e32 vcc_lo, 0, v[223:224]
	v_cmp_gt_f64_e64 s0, 0, v[221:222]
	v_mov_b32_e32 v229, v223
	v_add_f64 v[225:226], v[225:226], v[227:228]
	v_xor_b32_e32 v228, 0x80000000, v222
	v_mov_b32_e32 v227, v221
	v_cndmask_b32_e32 v230, v224, v230, vcc_lo
	v_cndmask_b32_e64 v228, v222, v228, s0
	v_add_f64 v[227:228], v[227:228], v[229:230]
	v_cmp_lt_f64_e32 vcc_lo, v[225:226], v[227:228]
	v_cndmask_b32_e32 v207, v207, v222, vcc_lo
	v_cndmask_b32_e32 v206, v206, v221, vcc_lo
	;; [unrolled: 1-line block ×4, first 2 shown]
	v_cndmask_b32_e64 v214, v214, s1, vcc_lo
	s_add_i32 s1, s1, 1
	s_cmp_lg_u32 s8, s1
	s_cbranch_scc1 .LBB100_169
.LBB100_170:
	s_inst_prefetch 0x2
	s_waitcnt lgkmcnt(0)
	v_cmp_eq_f64_e32 vcc_lo, 0, v[206:207]
	v_cmp_eq_f64_e64 s0, 0, v[208:209]
	s_and_b32 s0, vcc_lo, s0
	s_and_saveexec_b32 s1, s0
	s_xor_b32 s0, exec_lo, s1
; %bb.171:
	v_cmp_ne_u32_e32 vcc_lo, 0, v219
	v_cndmask_b32_e32 v219, 9, v219, vcc_lo
; %bb.172:
	s_andn2_saveexec_b32 s0, s0
	s_cbranch_execz .LBB100_178
; %bb.173:
	v_cmp_ngt_f64_e64 s1, |v[206:207]|, |v[208:209]|
	s_and_saveexec_b32 s7, s1
	s_xor_b32 s1, exec_lo, s7
	s_cbranch_execz .LBB100_175
; %bb.174:
	v_div_scale_f64 v[221:222], null, v[208:209], v[208:209], v[206:207]
	v_div_scale_f64 v[227:228], vcc_lo, v[206:207], v[208:209], v[206:207]
	v_rcp_f64_e32 v[223:224], v[221:222]
	v_fma_f64 v[225:226], -v[221:222], v[223:224], 1.0
	v_fma_f64 v[223:224], v[223:224], v[225:226], v[223:224]
	v_fma_f64 v[225:226], -v[221:222], v[223:224], 1.0
	v_fma_f64 v[223:224], v[223:224], v[225:226], v[223:224]
	v_mul_f64 v[225:226], v[227:228], v[223:224]
	v_fma_f64 v[221:222], -v[221:222], v[225:226], v[227:228]
	v_div_fmas_f64 v[221:222], v[221:222], v[223:224], v[225:226]
	v_div_fixup_f64 v[221:222], v[221:222], v[208:209], v[206:207]
	v_fma_f64 v[206:207], v[206:207], v[221:222], v[208:209]
	v_div_scale_f64 v[208:209], null, v[206:207], v[206:207], 1.0
	v_rcp_f64_e32 v[223:224], v[208:209]
	v_fma_f64 v[225:226], -v[208:209], v[223:224], 1.0
	v_fma_f64 v[223:224], v[223:224], v[225:226], v[223:224]
	v_fma_f64 v[225:226], -v[208:209], v[223:224], 1.0
	v_fma_f64 v[223:224], v[223:224], v[225:226], v[223:224]
	v_div_scale_f64 v[225:226], vcc_lo, 1.0, v[206:207], 1.0
	v_mul_f64 v[227:228], v[225:226], v[223:224]
	v_fma_f64 v[208:209], -v[208:209], v[227:228], v[225:226]
	v_div_fmas_f64 v[208:209], v[208:209], v[223:224], v[227:228]
	v_div_fixup_f64 v[208:209], v[208:209], v[206:207], 1.0
	v_mul_f64 v[206:207], v[221:222], v[208:209]
	v_xor_b32_e32 v209, 0x80000000, v209
.LBB100_175:
	s_andn2_saveexec_b32 s1, s1
	s_cbranch_execz .LBB100_177
; %bb.176:
	v_div_scale_f64 v[221:222], null, v[206:207], v[206:207], v[208:209]
	v_div_scale_f64 v[227:228], vcc_lo, v[208:209], v[206:207], v[208:209]
	v_rcp_f64_e32 v[223:224], v[221:222]
	v_fma_f64 v[225:226], -v[221:222], v[223:224], 1.0
	v_fma_f64 v[223:224], v[223:224], v[225:226], v[223:224]
	v_fma_f64 v[225:226], -v[221:222], v[223:224], 1.0
	v_fma_f64 v[223:224], v[223:224], v[225:226], v[223:224]
	v_mul_f64 v[225:226], v[227:228], v[223:224]
	v_fma_f64 v[221:222], -v[221:222], v[225:226], v[227:228]
	v_div_fmas_f64 v[221:222], v[221:222], v[223:224], v[225:226]
	v_div_fixup_f64 v[221:222], v[221:222], v[206:207], v[208:209]
	v_fma_f64 v[206:207], v[208:209], v[221:222], v[206:207]
	v_div_scale_f64 v[208:209], null, v[206:207], v[206:207], 1.0
	v_rcp_f64_e32 v[223:224], v[208:209]
	v_fma_f64 v[225:226], -v[208:209], v[223:224], 1.0
	v_fma_f64 v[223:224], v[223:224], v[225:226], v[223:224]
	v_fma_f64 v[225:226], -v[208:209], v[223:224], 1.0
	v_fma_f64 v[223:224], v[223:224], v[225:226], v[223:224]
	v_div_scale_f64 v[225:226], vcc_lo, 1.0, v[206:207], 1.0
	v_mul_f64 v[227:228], v[225:226], v[223:224]
	v_fma_f64 v[208:209], -v[208:209], v[227:228], v[225:226]
	v_div_fmas_f64 v[208:209], v[208:209], v[223:224], v[227:228]
	v_div_fixup_f64 v[206:207], v[208:209], v[206:207], 1.0
	v_mul_f64 v[208:209], v[221:222], -v[206:207]
.LBB100_177:
	s_or_b32 exec_lo, exec_lo, s1
.LBB100_178:
	s_or_b32 exec_lo, exec_lo, s0
	s_mov_b32 s0, exec_lo
	v_cmpx_ne_u32_e64 v220, v214
	s_xor_b32 s0, exec_lo, s0
	s_cbranch_execz .LBB100_184
; %bb.179:
	s_mov_b32 s1, exec_lo
	v_cmpx_eq_u32_e32 8, v220
	s_cbranch_execz .LBB100_183
; %bb.180:
	v_cmp_ne_u32_e32 vcc_lo, 8, v214
	s_xor_b32 s7, s16, -1
	s_and_b32 s9, s7, vcc_lo
	s_and_saveexec_b32 s7, s9
	s_cbranch_execz .LBB100_182
; %bb.181:
	v_ashrrev_i32_e32 v215, 31, v214
	v_lshlrev_b64 v[220:221], 2, v[214:215]
	v_add_co_u32 v220, vcc_lo, v212, v220
	v_add_co_ci_u32_e64 v221, null, v213, v221, vcc_lo
	s_clause 0x1
	global_load_dword v0, v[220:221], off
	global_load_dword v215, v[212:213], off offset:32
	s_waitcnt vmcnt(1)
	global_store_dword v[212:213], v0, off offset:32
	s_waitcnt vmcnt(0)
	global_store_dword v[220:221], v215, off
.LBB100_182:
	s_or_b32 exec_lo, exec_lo, s7
	v_mov_b32_e32 v220, v214
	v_mov_b32_e32 v0, v214
.LBB100_183:
	s_or_b32 exec_lo, exec_lo, s1
.LBB100_184:
	s_andn2_saveexec_b32 s0, s0
	s_cbranch_execz .LBB100_186
; %bb.185:
	v_mov_b32_e32 v220, 8
	ds_write2_b64 v1, v[166:167], v[168:169] offset0:18 offset1:19
	ds_write2_b64 v1, v[162:163], v[164:165] offset0:20 offset1:21
	;; [unrolled: 1-line block ×42, first 2 shown]
.LBB100_186:
	s_or_b32 exec_lo, exec_lo, s0
	s_mov_b32 s0, exec_lo
	s_waitcnt lgkmcnt(0)
	s_waitcnt_vscnt null, 0x0
	s_barrier
	buffer_gl0_inv
	v_cmpx_lt_i32_e32 8, v220
	s_cbranch_execz .LBB100_188
; %bb.187:
	v_mul_f64 v[214:215], v[208:209], v[172:173]
	v_mul_f64 v[172:173], v[206:207], v[172:173]
	v_fma_f64 v[214:215], v[206:207], v[170:171], -v[214:215]
	v_fma_f64 v[172:173], v[208:209], v[170:171], v[172:173]
	ds_read2_b64 v[206:209], v1 offset0:18 offset1:19
	s_waitcnt lgkmcnt(0)
	v_mul_f64 v[170:171], v[208:209], v[172:173]
	v_fma_f64 v[170:171], v[206:207], v[214:215], -v[170:171]
	v_mul_f64 v[206:207], v[206:207], v[172:173]
	v_add_f64 v[166:167], v[166:167], -v[170:171]
	v_fma_f64 v[206:207], v[208:209], v[214:215], v[206:207]
	v_add_f64 v[168:169], v[168:169], -v[206:207]
	ds_read2_b64 v[206:209], v1 offset0:20 offset1:21
	s_waitcnt lgkmcnt(0)
	v_mul_f64 v[170:171], v[208:209], v[172:173]
	v_fma_f64 v[170:171], v[206:207], v[214:215], -v[170:171]
	v_mul_f64 v[206:207], v[206:207], v[172:173]
	v_add_f64 v[162:163], v[162:163], -v[170:171]
	v_fma_f64 v[206:207], v[208:209], v[214:215], v[206:207]
	v_add_f64 v[164:165], v[164:165], -v[206:207]
	;; [unrolled: 8-line block ×41, first 2 shown]
	ds_read2_b64 v[206:209], v1 offset0:100 offset1:101
	s_waitcnt lgkmcnt(0)
	v_mul_f64 v[170:171], v[208:209], v[172:173]
	v_fma_f64 v[170:171], v[206:207], v[214:215], -v[170:171]
	v_mul_f64 v[206:207], v[206:207], v[172:173]
	v_add_f64 v[2:3], v[2:3], -v[170:171]
	v_fma_f64 v[206:207], v[208:209], v[214:215], v[206:207]
	v_mov_b32_e32 v170, v214
	v_mov_b32_e32 v171, v215
	v_add_f64 v[4:5], v[4:5], -v[206:207]
.LBB100_188:
	s_or_b32 exec_lo, exec_lo, s0
	v_lshl_add_u32 v206, v220, 4, v1
	s_barrier
	buffer_gl0_inv
	v_mov_b32_e32 v214, 9
	ds_write2_b64 v206, v[166:167], v[168:169] offset1:1
	s_waitcnt lgkmcnt(0)
	s_barrier
	buffer_gl0_inv
	ds_read2_b64 v[206:209], v1 offset0:18 offset1:19
	s_cmp_lt_i32 s8, 11
	s_cbranch_scc1 .LBB100_191
; %bb.189:
	v_add3_u32 v215, v216, 0, 0xa0
	v_mov_b32_e32 v214, 9
	s_mov_b32 s1, 10
	s_inst_prefetch 0x1
	.p2align	6
.LBB100_190:                            ; =>This Inner Loop Header: Depth=1
	s_waitcnt lgkmcnt(0)
	v_cmp_gt_f64_e32 vcc_lo, 0, v[208:209]
	v_cmp_gt_f64_e64 s0, 0, v[206:207]
	ds_read2_b64 v[221:224], v215 offset1:1
	v_xor_b32_e32 v226, 0x80000000, v207
	v_xor_b32_e32 v228, 0x80000000, v209
	v_mov_b32_e32 v225, v206
	v_mov_b32_e32 v227, v208
	v_add_nc_u32_e32 v215, 16, v215
	s_waitcnt lgkmcnt(0)
	v_xor_b32_e32 v230, 0x80000000, v224
	v_cndmask_b32_e64 v226, v207, v226, s0
	v_cndmask_b32_e32 v228, v209, v228, vcc_lo
	v_cmp_gt_f64_e32 vcc_lo, 0, v[223:224]
	v_cmp_gt_f64_e64 s0, 0, v[221:222]
	v_mov_b32_e32 v229, v223
	v_add_f64 v[225:226], v[225:226], v[227:228]
	v_xor_b32_e32 v228, 0x80000000, v222
	v_mov_b32_e32 v227, v221
	v_cndmask_b32_e32 v230, v224, v230, vcc_lo
	v_cndmask_b32_e64 v228, v222, v228, s0
	v_add_f64 v[227:228], v[227:228], v[229:230]
	v_cmp_lt_f64_e32 vcc_lo, v[225:226], v[227:228]
	v_cndmask_b32_e32 v207, v207, v222, vcc_lo
	v_cndmask_b32_e32 v206, v206, v221, vcc_lo
	;; [unrolled: 1-line block ×4, first 2 shown]
	v_cndmask_b32_e64 v214, v214, s1, vcc_lo
	s_add_i32 s1, s1, 1
	s_cmp_lg_u32 s8, s1
	s_cbranch_scc1 .LBB100_190
.LBB100_191:
	s_inst_prefetch 0x2
	s_waitcnt lgkmcnt(0)
	v_cmp_eq_f64_e32 vcc_lo, 0, v[206:207]
	v_cmp_eq_f64_e64 s0, 0, v[208:209]
	s_and_b32 s0, vcc_lo, s0
	s_and_saveexec_b32 s1, s0
	s_xor_b32 s0, exec_lo, s1
; %bb.192:
	v_cmp_ne_u32_e32 vcc_lo, 0, v219
	v_cndmask_b32_e32 v219, 10, v219, vcc_lo
; %bb.193:
	s_andn2_saveexec_b32 s0, s0
	s_cbranch_execz .LBB100_199
; %bb.194:
	v_cmp_ngt_f64_e64 s1, |v[206:207]|, |v[208:209]|
	s_and_saveexec_b32 s7, s1
	s_xor_b32 s1, exec_lo, s7
	s_cbranch_execz .LBB100_196
; %bb.195:
	v_div_scale_f64 v[221:222], null, v[208:209], v[208:209], v[206:207]
	v_div_scale_f64 v[227:228], vcc_lo, v[206:207], v[208:209], v[206:207]
	v_rcp_f64_e32 v[223:224], v[221:222]
	v_fma_f64 v[225:226], -v[221:222], v[223:224], 1.0
	v_fma_f64 v[223:224], v[223:224], v[225:226], v[223:224]
	v_fma_f64 v[225:226], -v[221:222], v[223:224], 1.0
	v_fma_f64 v[223:224], v[223:224], v[225:226], v[223:224]
	v_mul_f64 v[225:226], v[227:228], v[223:224]
	v_fma_f64 v[221:222], -v[221:222], v[225:226], v[227:228]
	v_div_fmas_f64 v[221:222], v[221:222], v[223:224], v[225:226]
	v_div_fixup_f64 v[221:222], v[221:222], v[208:209], v[206:207]
	v_fma_f64 v[206:207], v[206:207], v[221:222], v[208:209]
	v_div_scale_f64 v[208:209], null, v[206:207], v[206:207], 1.0
	v_rcp_f64_e32 v[223:224], v[208:209]
	v_fma_f64 v[225:226], -v[208:209], v[223:224], 1.0
	v_fma_f64 v[223:224], v[223:224], v[225:226], v[223:224]
	v_fma_f64 v[225:226], -v[208:209], v[223:224], 1.0
	v_fma_f64 v[223:224], v[223:224], v[225:226], v[223:224]
	v_div_scale_f64 v[225:226], vcc_lo, 1.0, v[206:207], 1.0
	v_mul_f64 v[227:228], v[225:226], v[223:224]
	v_fma_f64 v[208:209], -v[208:209], v[227:228], v[225:226]
	v_div_fmas_f64 v[208:209], v[208:209], v[223:224], v[227:228]
	v_div_fixup_f64 v[208:209], v[208:209], v[206:207], 1.0
	v_mul_f64 v[206:207], v[221:222], v[208:209]
	v_xor_b32_e32 v209, 0x80000000, v209
.LBB100_196:
	s_andn2_saveexec_b32 s1, s1
	s_cbranch_execz .LBB100_198
; %bb.197:
	v_div_scale_f64 v[221:222], null, v[206:207], v[206:207], v[208:209]
	v_div_scale_f64 v[227:228], vcc_lo, v[208:209], v[206:207], v[208:209]
	v_rcp_f64_e32 v[223:224], v[221:222]
	v_fma_f64 v[225:226], -v[221:222], v[223:224], 1.0
	v_fma_f64 v[223:224], v[223:224], v[225:226], v[223:224]
	v_fma_f64 v[225:226], -v[221:222], v[223:224], 1.0
	v_fma_f64 v[223:224], v[223:224], v[225:226], v[223:224]
	v_mul_f64 v[225:226], v[227:228], v[223:224]
	v_fma_f64 v[221:222], -v[221:222], v[225:226], v[227:228]
	v_div_fmas_f64 v[221:222], v[221:222], v[223:224], v[225:226]
	v_div_fixup_f64 v[221:222], v[221:222], v[206:207], v[208:209]
	v_fma_f64 v[206:207], v[208:209], v[221:222], v[206:207]
	v_div_scale_f64 v[208:209], null, v[206:207], v[206:207], 1.0
	v_rcp_f64_e32 v[223:224], v[208:209]
	v_fma_f64 v[225:226], -v[208:209], v[223:224], 1.0
	v_fma_f64 v[223:224], v[223:224], v[225:226], v[223:224]
	v_fma_f64 v[225:226], -v[208:209], v[223:224], 1.0
	v_fma_f64 v[223:224], v[223:224], v[225:226], v[223:224]
	v_div_scale_f64 v[225:226], vcc_lo, 1.0, v[206:207], 1.0
	v_mul_f64 v[227:228], v[225:226], v[223:224]
	v_fma_f64 v[208:209], -v[208:209], v[227:228], v[225:226]
	v_div_fmas_f64 v[208:209], v[208:209], v[223:224], v[227:228]
	v_div_fixup_f64 v[206:207], v[208:209], v[206:207], 1.0
	v_mul_f64 v[208:209], v[221:222], -v[206:207]
.LBB100_198:
	s_or_b32 exec_lo, exec_lo, s1
.LBB100_199:
	s_or_b32 exec_lo, exec_lo, s0
	s_mov_b32 s0, exec_lo
	v_cmpx_ne_u32_e64 v220, v214
	s_xor_b32 s0, exec_lo, s0
	s_cbranch_execz .LBB100_205
; %bb.200:
	s_mov_b32 s1, exec_lo
	v_cmpx_eq_u32_e32 9, v220
	s_cbranch_execz .LBB100_204
; %bb.201:
	v_cmp_ne_u32_e32 vcc_lo, 9, v214
	s_xor_b32 s7, s16, -1
	s_and_b32 s9, s7, vcc_lo
	s_and_saveexec_b32 s7, s9
	s_cbranch_execz .LBB100_203
; %bb.202:
	v_ashrrev_i32_e32 v215, 31, v214
	v_lshlrev_b64 v[220:221], 2, v[214:215]
	v_add_co_u32 v220, vcc_lo, v212, v220
	v_add_co_ci_u32_e64 v221, null, v213, v221, vcc_lo
	s_clause 0x1
	global_load_dword v0, v[220:221], off
	global_load_dword v215, v[212:213], off offset:36
	s_waitcnt vmcnt(1)
	global_store_dword v[212:213], v0, off offset:36
	s_waitcnt vmcnt(0)
	global_store_dword v[220:221], v215, off
.LBB100_203:
	s_or_b32 exec_lo, exec_lo, s7
	v_mov_b32_e32 v220, v214
	v_mov_b32_e32 v0, v214
.LBB100_204:
	s_or_b32 exec_lo, exec_lo, s1
.LBB100_205:
	s_andn2_saveexec_b32 s0, s0
	s_cbranch_execz .LBB100_207
; %bb.206:
	v_mov_b32_e32 v220, 9
	ds_write2_b64 v1, v[162:163], v[164:165] offset0:20 offset1:21
	ds_write2_b64 v1, v[158:159], v[160:161] offset0:22 offset1:23
	;; [unrolled: 1-line block ×41, first 2 shown]
.LBB100_207:
	s_or_b32 exec_lo, exec_lo, s0
	s_mov_b32 s0, exec_lo
	s_waitcnt lgkmcnt(0)
	s_waitcnt_vscnt null, 0x0
	s_barrier
	buffer_gl0_inv
	v_cmpx_lt_i32_e32 9, v220
	s_cbranch_execz .LBB100_209
; %bb.208:
	v_mul_f64 v[214:215], v[208:209], v[168:169]
	v_mul_f64 v[168:169], v[206:207], v[168:169]
	v_fma_f64 v[214:215], v[206:207], v[166:167], -v[214:215]
	v_fma_f64 v[168:169], v[208:209], v[166:167], v[168:169]
	ds_read2_b64 v[206:209], v1 offset0:20 offset1:21
	s_waitcnt lgkmcnt(0)
	v_mul_f64 v[166:167], v[208:209], v[168:169]
	v_fma_f64 v[166:167], v[206:207], v[214:215], -v[166:167]
	v_mul_f64 v[206:207], v[206:207], v[168:169]
	v_add_f64 v[162:163], v[162:163], -v[166:167]
	v_fma_f64 v[206:207], v[208:209], v[214:215], v[206:207]
	v_add_f64 v[164:165], v[164:165], -v[206:207]
	ds_read2_b64 v[206:209], v1 offset0:22 offset1:23
	s_waitcnt lgkmcnt(0)
	v_mul_f64 v[166:167], v[208:209], v[168:169]
	v_fma_f64 v[166:167], v[206:207], v[214:215], -v[166:167]
	v_mul_f64 v[206:207], v[206:207], v[168:169]
	v_add_f64 v[158:159], v[158:159], -v[166:167]
	v_fma_f64 v[206:207], v[208:209], v[214:215], v[206:207]
	v_add_f64 v[160:161], v[160:161], -v[206:207]
	;; [unrolled: 8-line block ×40, first 2 shown]
	ds_read2_b64 v[206:209], v1 offset0:100 offset1:101
	s_waitcnt lgkmcnt(0)
	v_mul_f64 v[166:167], v[208:209], v[168:169]
	v_fma_f64 v[166:167], v[206:207], v[214:215], -v[166:167]
	v_mul_f64 v[206:207], v[206:207], v[168:169]
	v_add_f64 v[2:3], v[2:3], -v[166:167]
	v_fma_f64 v[206:207], v[208:209], v[214:215], v[206:207]
	v_mov_b32_e32 v166, v214
	v_mov_b32_e32 v167, v215
	v_add_f64 v[4:5], v[4:5], -v[206:207]
.LBB100_209:
	s_or_b32 exec_lo, exec_lo, s0
	v_lshl_add_u32 v206, v220, 4, v1
	s_barrier
	buffer_gl0_inv
	v_mov_b32_e32 v214, 10
	ds_write2_b64 v206, v[162:163], v[164:165] offset1:1
	s_waitcnt lgkmcnt(0)
	s_barrier
	buffer_gl0_inv
	ds_read2_b64 v[206:209], v1 offset0:20 offset1:21
	s_cmp_lt_i32 s8, 12
	s_cbranch_scc1 .LBB100_212
; %bb.210:
	v_add3_u32 v215, v216, 0, 0xb0
	v_mov_b32_e32 v214, 10
	s_mov_b32 s1, 11
	s_inst_prefetch 0x1
	.p2align	6
.LBB100_211:                            ; =>This Inner Loop Header: Depth=1
	s_waitcnt lgkmcnt(0)
	v_cmp_gt_f64_e32 vcc_lo, 0, v[208:209]
	v_cmp_gt_f64_e64 s0, 0, v[206:207]
	ds_read2_b64 v[221:224], v215 offset1:1
	v_xor_b32_e32 v226, 0x80000000, v207
	v_xor_b32_e32 v228, 0x80000000, v209
	v_mov_b32_e32 v225, v206
	v_mov_b32_e32 v227, v208
	v_add_nc_u32_e32 v215, 16, v215
	s_waitcnt lgkmcnt(0)
	v_xor_b32_e32 v230, 0x80000000, v224
	v_cndmask_b32_e64 v226, v207, v226, s0
	v_cndmask_b32_e32 v228, v209, v228, vcc_lo
	v_cmp_gt_f64_e32 vcc_lo, 0, v[223:224]
	v_cmp_gt_f64_e64 s0, 0, v[221:222]
	v_mov_b32_e32 v229, v223
	v_add_f64 v[225:226], v[225:226], v[227:228]
	v_xor_b32_e32 v228, 0x80000000, v222
	v_mov_b32_e32 v227, v221
	v_cndmask_b32_e32 v230, v224, v230, vcc_lo
	v_cndmask_b32_e64 v228, v222, v228, s0
	v_add_f64 v[227:228], v[227:228], v[229:230]
	v_cmp_lt_f64_e32 vcc_lo, v[225:226], v[227:228]
	v_cndmask_b32_e32 v207, v207, v222, vcc_lo
	v_cndmask_b32_e32 v206, v206, v221, vcc_lo
	;; [unrolled: 1-line block ×4, first 2 shown]
	v_cndmask_b32_e64 v214, v214, s1, vcc_lo
	s_add_i32 s1, s1, 1
	s_cmp_lg_u32 s8, s1
	s_cbranch_scc1 .LBB100_211
.LBB100_212:
	s_inst_prefetch 0x2
	s_waitcnt lgkmcnt(0)
	v_cmp_eq_f64_e32 vcc_lo, 0, v[206:207]
	v_cmp_eq_f64_e64 s0, 0, v[208:209]
	s_and_b32 s0, vcc_lo, s0
	s_and_saveexec_b32 s1, s0
	s_xor_b32 s0, exec_lo, s1
; %bb.213:
	v_cmp_ne_u32_e32 vcc_lo, 0, v219
	v_cndmask_b32_e32 v219, 11, v219, vcc_lo
; %bb.214:
	s_andn2_saveexec_b32 s0, s0
	s_cbranch_execz .LBB100_220
; %bb.215:
	v_cmp_ngt_f64_e64 s1, |v[206:207]|, |v[208:209]|
	s_and_saveexec_b32 s7, s1
	s_xor_b32 s1, exec_lo, s7
	s_cbranch_execz .LBB100_217
; %bb.216:
	v_div_scale_f64 v[221:222], null, v[208:209], v[208:209], v[206:207]
	v_div_scale_f64 v[227:228], vcc_lo, v[206:207], v[208:209], v[206:207]
	v_rcp_f64_e32 v[223:224], v[221:222]
	v_fma_f64 v[225:226], -v[221:222], v[223:224], 1.0
	v_fma_f64 v[223:224], v[223:224], v[225:226], v[223:224]
	v_fma_f64 v[225:226], -v[221:222], v[223:224], 1.0
	v_fma_f64 v[223:224], v[223:224], v[225:226], v[223:224]
	v_mul_f64 v[225:226], v[227:228], v[223:224]
	v_fma_f64 v[221:222], -v[221:222], v[225:226], v[227:228]
	v_div_fmas_f64 v[221:222], v[221:222], v[223:224], v[225:226]
	v_div_fixup_f64 v[221:222], v[221:222], v[208:209], v[206:207]
	v_fma_f64 v[206:207], v[206:207], v[221:222], v[208:209]
	v_div_scale_f64 v[208:209], null, v[206:207], v[206:207], 1.0
	v_rcp_f64_e32 v[223:224], v[208:209]
	v_fma_f64 v[225:226], -v[208:209], v[223:224], 1.0
	v_fma_f64 v[223:224], v[223:224], v[225:226], v[223:224]
	v_fma_f64 v[225:226], -v[208:209], v[223:224], 1.0
	v_fma_f64 v[223:224], v[223:224], v[225:226], v[223:224]
	v_div_scale_f64 v[225:226], vcc_lo, 1.0, v[206:207], 1.0
	v_mul_f64 v[227:228], v[225:226], v[223:224]
	v_fma_f64 v[208:209], -v[208:209], v[227:228], v[225:226]
	v_div_fmas_f64 v[208:209], v[208:209], v[223:224], v[227:228]
	v_div_fixup_f64 v[208:209], v[208:209], v[206:207], 1.0
	v_mul_f64 v[206:207], v[221:222], v[208:209]
	v_xor_b32_e32 v209, 0x80000000, v209
.LBB100_217:
	s_andn2_saveexec_b32 s1, s1
	s_cbranch_execz .LBB100_219
; %bb.218:
	v_div_scale_f64 v[221:222], null, v[206:207], v[206:207], v[208:209]
	v_div_scale_f64 v[227:228], vcc_lo, v[208:209], v[206:207], v[208:209]
	v_rcp_f64_e32 v[223:224], v[221:222]
	v_fma_f64 v[225:226], -v[221:222], v[223:224], 1.0
	v_fma_f64 v[223:224], v[223:224], v[225:226], v[223:224]
	v_fma_f64 v[225:226], -v[221:222], v[223:224], 1.0
	v_fma_f64 v[223:224], v[223:224], v[225:226], v[223:224]
	v_mul_f64 v[225:226], v[227:228], v[223:224]
	v_fma_f64 v[221:222], -v[221:222], v[225:226], v[227:228]
	v_div_fmas_f64 v[221:222], v[221:222], v[223:224], v[225:226]
	v_div_fixup_f64 v[221:222], v[221:222], v[206:207], v[208:209]
	v_fma_f64 v[206:207], v[208:209], v[221:222], v[206:207]
	v_div_scale_f64 v[208:209], null, v[206:207], v[206:207], 1.0
	v_rcp_f64_e32 v[223:224], v[208:209]
	v_fma_f64 v[225:226], -v[208:209], v[223:224], 1.0
	v_fma_f64 v[223:224], v[223:224], v[225:226], v[223:224]
	v_fma_f64 v[225:226], -v[208:209], v[223:224], 1.0
	v_fma_f64 v[223:224], v[223:224], v[225:226], v[223:224]
	v_div_scale_f64 v[225:226], vcc_lo, 1.0, v[206:207], 1.0
	v_mul_f64 v[227:228], v[225:226], v[223:224]
	v_fma_f64 v[208:209], -v[208:209], v[227:228], v[225:226]
	v_div_fmas_f64 v[208:209], v[208:209], v[223:224], v[227:228]
	v_div_fixup_f64 v[206:207], v[208:209], v[206:207], 1.0
	v_mul_f64 v[208:209], v[221:222], -v[206:207]
.LBB100_219:
	s_or_b32 exec_lo, exec_lo, s1
.LBB100_220:
	s_or_b32 exec_lo, exec_lo, s0
	s_mov_b32 s0, exec_lo
	v_cmpx_ne_u32_e64 v220, v214
	s_xor_b32 s0, exec_lo, s0
	s_cbranch_execz .LBB100_226
; %bb.221:
	s_mov_b32 s1, exec_lo
	v_cmpx_eq_u32_e32 10, v220
	s_cbranch_execz .LBB100_225
; %bb.222:
	v_cmp_ne_u32_e32 vcc_lo, 10, v214
	s_xor_b32 s7, s16, -1
	s_and_b32 s9, s7, vcc_lo
	s_and_saveexec_b32 s7, s9
	s_cbranch_execz .LBB100_224
; %bb.223:
	v_ashrrev_i32_e32 v215, 31, v214
	v_lshlrev_b64 v[220:221], 2, v[214:215]
	v_add_co_u32 v220, vcc_lo, v212, v220
	v_add_co_ci_u32_e64 v221, null, v213, v221, vcc_lo
	s_clause 0x1
	global_load_dword v0, v[220:221], off
	global_load_dword v215, v[212:213], off offset:40
	s_waitcnt vmcnt(1)
	global_store_dword v[212:213], v0, off offset:40
	s_waitcnt vmcnt(0)
	global_store_dword v[220:221], v215, off
.LBB100_224:
	s_or_b32 exec_lo, exec_lo, s7
	v_mov_b32_e32 v220, v214
	v_mov_b32_e32 v0, v214
.LBB100_225:
	s_or_b32 exec_lo, exec_lo, s1
.LBB100_226:
	s_andn2_saveexec_b32 s0, s0
	s_cbranch_execz .LBB100_228
; %bb.227:
	v_mov_b32_e32 v220, 10
	ds_write2_b64 v1, v[158:159], v[160:161] offset0:22 offset1:23
	ds_write2_b64 v1, v[154:155], v[156:157] offset0:24 offset1:25
	;; [unrolled: 1-line block ×40, first 2 shown]
.LBB100_228:
	s_or_b32 exec_lo, exec_lo, s0
	s_mov_b32 s0, exec_lo
	s_waitcnt lgkmcnt(0)
	s_waitcnt_vscnt null, 0x0
	s_barrier
	buffer_gl0_inv
	v_cmpx_lt_i32_e32 10, v220
	s_cbranch_execz .LBB100_230
; %bb.229:
	v_mul_f64 v[214:215], v[208:209], v[164:165]
	v_mul_f64 v[164:165], v[206:207], v[164:165]
	v_fma_f64 v[214:215], v[206:207], v[162:163], -v[214:215]
	v_fma_f64 v[164:165], v[208:209], v[162:163], v[164:165]
	ds_read2_b64 v[206:209], v1 offset0:22 offset1:23
	s_waitcnt lgkmcnt(0)
	v_mul_f64 v[162:163], v[208:209], v[164:165]
	v_fma_f64 v[162:163], v[206:207], v[214:215], -v[162:163]
	v_mul_f64 v[206:207], v[206:207], v[164:165]
	v_add_f64 v[158:159], v[158:159], -v[162:163]
	v_fma_f64 v[206:207], v[208:209], v[214:215], v[206:207]
	v_add_f64 v[160:161], v[160:161], -v[206:207]
	ds_read2_b64 v[206:209], v1 offset0:24 offset1:25
	s_waitcnt lgkmcnt(0)
	v_mul_f64 v[162:163], v[208:209], v[164:165]
	v_fma_f64 v[162:163], v[206:207], v[214:215], -v[162:163]
	v_mul_f64 v[206:207], v[206:207], v[164:165]
	v_add_f64 v[154:155], v[154:155], -v[162:163]
	v_fma_f64 v[206:207], v[208:209], v[214:215], v[206:207]
	v_add_f64 v[156:157], v[156:157], -v[206:207]
	;; [unrolled: 8-line block ×39, first 2 shown]
	ds_read2_b64 v[206:209], v1 offset0:100 offset1:101
	s_waitcnt lgkmcnt(0)
	v_mul_f64 v[162:163], v[208:209], v[164:165]
	v_fma_f64 v[162:163], v[206:207], v[214:215], -v[162:163]
	v_mul_f64 v[206:207], v[206:207], v[164:165]
	v_add_f64 v[2:3], v[2:3], -v[162:163]
	v_fma_f64 v[206:207], v[208:209], v[214:215], v[206:207]
	v_mov_b32_e32 v162, v214
	v_mov_b32_e32 v163, v215
	v_add_f64 v[4:5], v[4:5], -v[206:207]
.LBB100_230:
	s_or_b32 exec_lo, exec_lo, s0
	v_lshl_add_u32 v206, v220, 4, v1
	s_barrier
	buffer_gl0_inv
	v_mov_b32_e32 v214, 11
	ds_write2_b64 v206, v[158:159], v[160:161] offset1:1
	s_waitcnt lgkmcnt(0)
	s_barrier
	buffer_gl0_inv
	ds_read2_b64 v[206:209], v1 offset0:22 offset1:23
	s_cmp_lt_i32 s8, 13
	s_cbranch_scc1 .LBB100_233
; %bb.231:
	v_add3_u32 v215, v216, 0, 0xc0
	v_mov_b32_e32 v214, 11
	s_mov_b32 s1, 12
	s_inst_prefetch 0x1
	.p2align	6
.LBB100_232:                            ; =>This Inner Loop Header: Depth=1
	s_waitcnt lgkmcnt(0)
	v_cmp_gt_f64_e32 vcc_lo, 0, v[208:209]
	v_cmp_gt_f64_e64 s0, 0, v[206:207]
	ds_read2_b64 v[221:224], v215 offset1:1
	v_xor_b32_e32 v226, 0x80000000, v207
	v_xor_b32_e32 v228, 0x80000000, v209
	v_mov_b32_e32 v225, v206
	v_mov_b32_e32 v227, v208
	v_add_nc_u32_e32 v215, 16, v215
	s_waitcnt lgkmcnt(0)
	v_xor_b32_e32 v230, 0x80000000, v224
	v_cndmask_b32_e64 v226, v207, v226, s0
	v_cndmask_b32_e32 v228, v209, v228, vcc_lo
	v_cmp_gt_f64_e32 vcc_lo, 0, v[223:224]
	v_cmp_gt_f64_e64 s0, 0, v[221:222]
	v_mov_b32_e32 v229, v223
	v_add_f64 v[225:226], v[225:226], v[227:228]
	v_xor_b32_e32 v228, 0x80000000, v222
	v_mov_b32_e32 v227, v221
	v_cndmask_b32_e32 v230, v224, v230, vcc_lo
	v_cndmask_b32_e64 v228, v222, v228, s0
	v_add_f64 v[227:228], v[227:228], v[229:230]
	v_cmp_lt_f64_e32 vcc_lo, v[225:226], v[227:228]
	v_cndmask_b32_e32 v207, v207, v222, vcc_lo
	v_cndmask_b32_e32 v206, v206, v221, vcc_lo
	;; [unrolled: 1-line block ×4, first 2 shown]
	v_cndmask_b32_e64 v214, v214, s1, vcc_lo
	s_add_i32 s1, s1, 1
	s_cmp_lg_u32 s8, s1
	s_cbranch_scc1 .LBB100_232
.LBB100_233:
	s_inst_prefetch 0x2
	s_waitcnt lgkmcnt(0)
	v_cmp_eq_f64_e32 vcc_lo, 0, v[206:207]
	v_cmp_eq_f64_e64 s0, 0, v[208:209]
	s_and_b32 s0, vcc_lo, s0
	s_and_saveexec_b32 s1, s0
	s_xor_b32 s0, exec_lo, s1
; %bb.234:
	v_cmp_ne_u32_e32 vcc_lo, 0, v219
	v_cndmask_b32_e32 v219, 12, v219, vcc_lo
; %bb.235:
	s_andn2_saveexec_b32 s0, s0
	s_cbranch_execz .LBB100_241
; %bb.236:
	v_cmp_ngt_f64_e64 s1, |v[206:207]|, |v[208:209]|
	s_and_saveexec_b32 s7, s1
	s_xor_b32 s1, exec_lo, s7
	s_cbranch_execz .LBB100_238
; %bb.237:
	v_div_scale_f64 v[221:222], null, v[208:209], v[208:209], v[206:207]
	v_div_scale_f64 v[227:228], vcc_lo, v[206:207], v[208:209], v[206:207]
	v_rcp_f64_e32 v[223:224], v[221:222]
	v_fma_f64 v[225:226], -v[221:222], v[223:224], 1.0
	v_fma_f64 v[223:224], v[223:224], v[225:226], v[223:224]
	v_fma_f64 v[225:226], -v[221:222], v[223:224], 1.0
	v_fma_f64 v[223:224], v[223:224], v[225:226], v[223:224]
	v_mul_f64 v[225:226], v[227:228], v[223:224]
	v_fma_f64 v[221:222], -v[221:222], v[225:226], v[227:228]
	v_div_fmas_f64 v[221:222], v[221:222], v[223:224], v[225:226]
	v_div_fixup_f64 v[221:222], v[221:222], v[208:209], v[206:207]
	v_fma_f64 v[206:207], v[206:207], v[221:222], v[208:209]
	v_div_scale_f64 v[208:209], null, v[206:207], v[206:207], 1.0
	v_rcp_f64_e32 v[223:224], v[208:209]
	v_fma_f64 v[225:226], -v[208:209], v[223:224], 1.0
	v_fma_f64 v[223:224], v[223:224], v[225:226], v[223:224]
	v_fma_f64 v[225:226], -v[208:209], v[223:224], 1.0
	v_fma_f64 v[223:224], v[223:224], v[225:226], v[223:224]
	v_div_scale_f64 v[225:226], vcc_lo, 1.0, v[206:207], 1.0
	v_mul_f64 v[227:228], v[225:226], v[223:224]
	v_fma_f64 v[208:209], -v[208:209], v[227:228], v[225:226]
	v_div_fmas_f64 v[208:209], v[208:209], v[223:224], v[227:228]
	v_div_fixup_f64 v[208:209], v[208:209], v[206:207], 1.0
	v_mul_f64 v[206:207], v[221:222], v[208:209]
	v_xor_b32_e32 v209, 0x80000000, v209
.LBB100_238:
	s_andn2_saveexec_b32 s1, s1
	s_cbranch_execz .LBB100_240
; %bb.239:
	v_div_scale_f64 v[221:222], null, v[206:207], v[206:207], v[208:209]
	v_div_scale_f64 v[227:228], vcc_lo, v[208:209], v[206:207], v[208:209]
	v_rcp_f64_e32 v[223:224], v[221:222]
	v_fma_f64 v[225:226], -v[221:222], v[223:224], 1.0
	v_fma_f64 v[223:224], v[223:224], v[225:226], v[223:224]
	v_fma_f64 v[225:226], -v[221:222], v[223:224], 1.0
	v_fma_f64 v[223:224], v[223:224], v[225:226], v[223:224]
	v_mul_f64 v[225:226], v[227:228], v[223:224]
	v_fma_f64 v[221:222], -v[221:222], v[225:226], v[227:228]
	v_div_fmas_f64 v[221:222], v[221:222], v[223:224], v[225:226]
	v_div_fixup_f64 v[221:222], v[221:222], v[206:207], v[208:209]
	v_fma_f64 v[206:207], v[208:209], v[221:222], v[206:207]
	v_div_scale_f64 v[208:209], null, v[206:207], v[206:207], 1.0
	v_rcp_f64_e32 v[223:224], v[208:209]
	v_fma_f64 v[225:226], -v[208:209], v[223:224], 1.0
	v_fma_f64 v[223:224], v[223:224], v[225:226], v[223:224]
	v_fma_f64 v[225:226], -v[208:209], v[223:224], 1.0
	v_fma_f64 v[223:224], v[223:224], v[225:226], v[223:224]
	v_div_scale_f64 v[225:226], vcc_lo, 1.0, v[206:207], 1.0
	v_mul_f64 v[227:228], v[225:226], v[223:224]
	v_fma_f64 v[208:209], -v[208:209], v[227:228], v[225:226]
	v_div_fmas_f64 v[208:209], v[208:209], v[223:224], v[227:228]
	v_div_fixup_f64 v[206:207], v[208:209], v[206:207], 1.0
	v_mul_f64 v[208:209], v[221:222], -v[206:207]
.LBB100_240:
	s_or_b32 exec_lo, exec_lo, s1
.LBB100_241:
	s_or_b32 exec_lo, exec_lo, s0
	s_mov_b32 s0, exec_lo
	v_cmpx_ne_u32_e64 v220, v214
	s_xor_b32 s0, exec_lo, s0
	s_cbranch_execz .LBB100_247
; %bb.242:
	s_mov_b32 s1, exec_lo
	v_cmpx_eq_u32_e32 11, v220
	s_cbranch_execz .LBB100_246
; %bb.243:
	v_cmp_ne_u32_e32 vcc_lo, 11, v214
	s_xor_b32 s7, s16, -1
	s_and_b32 s9, s7, vcc_lo
	s_and_saveexec_b32 s7, s9
	s_cbranch_execz .LBB100_245
; %bb.244:
	v_ashrrev_i32_e32 v215, 31, v214
	v_lshlrev_b64 v[220:221], 2, v[214:215]
	v_add_co_u32 v220, vcc_lo, v212, v220
	v_add_co_ci_u32_e64 v221, null, v213, v221, vcc_lo
	s_clause 0x1
	global_load_dword v0, v[220:221], off
	global_load_dword v215, v[212:213], off offset:44
	s_waitcnt vmcnt(1)
	global_store_dword v[212:213], v0, off offset:44
	s_waitcnt vmcnt(0)
	global_store_dword v[220:221], v215, off
.LBB100_245:
	s_or_b32 exec_lo, exec_lo, s7
	v_mov_b32_e32 v220, v214
	v_mov_b32_e32 v0, v214
.LBB100_246:
	s_or_b32 exec_lo, exec_lo, s1
.LBB100_247:
	s_andn2_saveexec_b32 s0, s0
	s_cbranch_execz .LBB100_249
; %bb.248:
	v_mov_b32_e32 v220, 11
	ds_write2_b64 v1, v[154:155], v[156:157] offset0:24 offset1:25
	ds_write2_b64 v1, v[150:151], v[152:153] offset0:26 offset1:27
	;; [unrolled: 1-line block ×39, first 2 shown]
.LBB100_249:
	s_or_b32 exec_lo, exec_lo, s0
	s_mov_b32 s0, exec_lo
	s_waitcnt lgkmcnt(0)
	s_waitcnt_vscnt null, 0x0
	s_barrier
	buffer_gl0_inv
	v_cmpx_lt_i32_e32 11, v220
	s_cbranch_execz .LBB100_251
; %bb.250:
	v_mul_f64 v[214:215], v[208:209], v[160:161]
	v_mul_f64 v[160:161], v[206:207], v[160:161]
	v_fma_f64 v[214:215], v[206:207], v[158:159], -v[214:215]
	v_fma_f64 v[160:161], v[208:209], v[158:159], v[160:161]
	ds_read2_b64 v[206:209], v1 offset0:24 offset1:25
	s_waitcnt lgkmcnt(0)
	v_mul_f64 v[158:159], v[208:209], v[160:161]
	v_fma_f64 v[158:159], v[206:207], v[214:215], -v[158:159]
	v_mul_f64 v[206:207], v[206:207], v[160:161]
	v_add_f64 v[154:155], v[154:155], -v[158:159]
	v_fma_f64 v[206:207], v[208:209], v[214:215], v[206:207]
	v_add_f64 v[156:157], v[156:157], -v[206:207]
	ds_read2_b64 v[206:209], v1 offset0:26 offset1:27
	s_waitcnt lgkmcnt(0)
	v_mul_f64 v[158:159], v[208:209], v[160:161]
	v_fma_f64 v[158:159], v[206:207], v[214:215], -v[158:159]
	v_mul_f64 v[206:207], v[206:207], v[160:161]
	v_add_f64 v[150:151], v[150:151], -v[158:159]
	v_fma_f64 v[206:207], v[208:209], v[214:215], v[206:207]
	v_add_f64 v[152:153], v[152:153], -v[206:207]
	;; [unrolled: 8-line block ×38, first 2 shown]
	ds_read2_b64 v[206:209], v1 offset0:100 offset1:101
	s_waitcnt lgkmcnt(0)
	v_mul_f64 v[158:159], v[208:209], v[160:161]
	v_fma_f64 v[158:159], v[206:207], v[214:215], -v[158:159]
	v_mul_f64 v[206:207], v[206:207], v[160:161]
	v_add_f64 v[2:3], v[2:3], -v[158:159]
	v_fma_f64 v[206:207], v[208:209], v[214:215], v[206:207]
	v_mov_b32_e32 v158, v214
	v_mov_b32_e32 v159, v215
	v_add_f64 v[4:5], v[4:5], -v[206:207]
.LBB100_251:
	s_or_b32 exec_lo, exec_lo, s0
	v_lshl_add_u32 v206, v220, 4, v1
	s_barrier
	buffer_gl0_inv
	v_mov_b32_e32 v214, 12
	ds_write2_b64 v206, v[154:155], v[156:157] offset1:1
	s_waitcnt lgkmcnt(0)
	s_barrier
	buffer_gl0_inv
	ds_read2_b64 v[206:209], v1 offset0:24 offset1:25
	s_cmp_lt_i32 s8, 14
	s_cbranch_scc1 .LBB100_254
; %bb.252:
	v_add3_u32 v215, v216, 0, 0xd0
	v_mov_b32_e32 v214, 12
	s_mov_b32 s1, 13
	s_inst_prefetch 0x1
	.p2align	6
.LBB100_253:                            ; =>This Inner Loop Header: Depth=1
	s_waitcnt lgkmcnt(0)
	v_cmp_gt_f64_e32 vcc_lo, 0, v[208:209]
	v_cmp_gt_f64_e64 s0, 0, v[206:207]
	ds_read2_b64 v[221:224], v215 offset1:1
	v_xor_b32_e32 v226, 0x80000000, v207
	v_xor_b32_e32 v228, 0x80000000, v209
	v_mov_b32_e32 v225, v206
	v_mov_b32_e32 v227, v208
	v_add_nc_u32_e32 v215, 16, v215
	s_waitcnt lgkmcnt(0)
	v_xor_b32_e32 v230, 0x80000000, v224
	v_cndmask_b32_e64 v226, v207, v226, s0
	v_cndmask_b32_e32 v228, v209, v228, vcc_lo
	v_cmp_gt_f64_e32 vcc_lo, 0, v[223:224]
	v_cmp_gt_f64_e64 s0, 0, v[221:222]
	v_mov_b32_e32 v229, v223
	v_add_f64 v[225:226], v[225:226], v[227:228]
	v_xor_b32_e32 v228, 0x80000000, v222
	v_mov_b32_e32 v227, v221
	v_cndmask_b32_e32 v230, v224, v230, vcc_lo
	v_cndmask_b32_e64 v228, v222, v228, s0
	v_add_f64 v[227:228], v[227:228], v[229:230]
	v_cmp_lt_f64_e32 vcc_lo, v[225:226], v[227:228]
	v_cndmask_b32_e32 v207, v207, v222, vcc_lo
	v_cndmask_b32_e32 v206, v206, v221, vcc_lo
	;; [unrolled: 1-line block ×4, first 2 shown]
	v_cndmask_b32_e64 v214, v214, s1, vcc_lo
	s_add_i32 s1, s1, 1
	s_cmp_lg_u32 s8, s1
	s_cbranch_scc1 .LBB100_253
.LBB100_254:
	s_inst_prefetch 0x2
	s_waitcnt lgkmcnt(0)
	v_cmp_eq_f64_e32 vcc_lo, 0, v[206:207]
	v_cmp_eq_f64_e64 s0, 0, v[208:209]
	s_and_b32 s0, vcc_lo, s0
	s_and_saveexec_b32 s1, s0
	s_xor_b32 s0, exec_lo, s1
; %bb.255:
	v_cmp_ne_u32_e32 vcc_lo, 0, v219
	v_cndmask_b32_e32 v219, 13, v219, vcc_lo
; %bb.256:
	s_andn2_saveexec_b32 s0, s0
	s_cbranch_execz .LBB100_262
; %bb.257:
	v_cmp_ngt_f64_e64 s1, |v[206:207]|, |v[208:209]|
	s_and_saveexec_b32 s7, s1
	s_xor_b32 s1, exec_lo, s7
	s_cbranch_execz .LBB100_259
; %bb.258:
	v_div_scale_f64 v[221:222], null, v[208:209], v[208:209], v[206:207]
	v_div_scale_f64 v[227:228], vcc_lo, v[206:207], v[208:209], v[206:207]
	v_rcp_f64_e32 v[223:224], v[221:222]
	v_fma_f64 v[225:226], -v[221:222], v[223:224], 1.0
	v_fma_f64 v[223:224], v[223:224], v[225:226], v[223:224]
	v_fma_f64 v[225:226], -v[221:222], v[223:224], 1.0
	v_fma_f64 v[223:224], v[223:224], v[225:226], v[223:224]
	v_mul_f64 v[225:226], v[227:228], v[223:224]
	v_fma_f64 v[221:222], -v[221:222], v[225:226], v[227:228]
	v_div_fmas_f64 v[221:222], v[221:222], v[223:224], v[225:226]
	v_div_fixup_f64 v[221:222], v[221:222], v[208:209], v[206:207]
	v_fma_f64 v[206:207], v[206:207], v[221:222], v[208:209]
	v_div_scale_f64 v[208:209], null, v[206:207], v[206:207], 1.0
	v_rcp_f64_e32 v[223:224], v[208:209]
	v_fma_f64 v[225:226], -v[208:209], v[223:224], 1.0
	v_fma_f64 v[223:224], v[223:224], v[225:226], v[223:224]
	v_fma_f64 v[225:226], -v[208:209], v[223:224], 1.0
	v_fma_f64 v[223:224], v[223:224], v[225:226], v[223:224]
	v_div_scale_f64 v[225:226], vcc_lo, 1.0, v[206:207], 1.0
	v_mul_f64 v[227:228], v[225:226], v[223:224]
	v_fma_f64 v[208:209], -v[208:209], v[227:228], v[225:226]
	v_div_fmas_f64 v[208:209], v[208:209], v[223:224], v[227:228]
	v_div_fixup_f64 v[208:209], v[208:209], v[206:207], 1.0
	v_mul_f64 v[206:207], v[221:222], v[208:209]
	v_xor_b32_e32 v209, 0x80000000, v209
.LBB100_259:
	s_andn2_saveexec_b32 s1, s1
	s_cbranch_execz .LBB100_261
; %bb.260:
	v_div_scale_f64 v[221:222], null, v[206:207], v[206:207], v[208:209]
	v_div_scale_f64 v[227:228], vcc_lo, v[208:209], v[206:207], v[208:209]
	v_rcp_f64_e32 v[223:224], v[221:222]
	v_fma_f64 v[225:226], -v[221:222], v[223:224], 1.0
	v_fma_f64 v[223:224], v[223:224], v[225:226], v[223:224]
	v_fma_f64 v[225:226], -v[221:222], v[223:224], 1.0
	v_fma_f64 v[223:224], v[223:224], v[225:226], v[223:224]
	v_mul_f64 v[225:226], v[227:228], v[223:224]
	v_fma_f64 v[221:222], -v[221:222], v[225:226], v[227:228]
	v_div_fmas_f64 v[221:222], v[221:222], v[223:224], v[225:226]
	v_div_fixup_f64 v[221:222], v[221:222], v[206:207], v[208:209]
	v_fma_f64 v[206:207], v[208:209], v[221:222], v[206:207]
	v_div_scale_f64 v[208:209], null, v[206:207], v[206:207], 1.0
	v_rcp_f64_e32 v[223:224], v[208:209]
	v_fma_f64 v[225:226], -v[208:209], v[223:224], 1.0
	v_fma_f64 v[223:224], v[223:224], v[225:226], v[223:224]
	v_fma_f64 v[225:226], -v[208:209], v[223:224], 1.0
	v_fma_f64 v[223:224], v[223:224], v[225:226], v[223:224]
	v_div_scale_f64 v[225:226], vcc_lo, 1.0, v[206:207], 1.0
	v_mul_f64 v[227:228], v[225:226], v[223:224]
	v_fma_f64 v[208:209], -v[208:209], v[227:228], v[225:226]
	v_div_fmas_f64 v[208:209], v[208:209], v[223:224], v[227:228]
	v_div_fixup_f64 v[206:207], v[208:209], v[206:207], 1.0
	v_mul_f64 v[208:209], v[221:222], -v[206:207]
.LBB100_261:
	s_or_b32 exec_lo, exec_lo, s1
.LBB100_262:
	s_or_b32 exec_lo, exec_lo, s0
	s_mov_b32 s0, exec_lo
	v_cmpx_ne_u32_e64 v220, v214
	s_xor_b32 s0, exec_lo, s0
	s_cbranch_execz .LBB100_268
; %bb.263:
	s_mov_b32 s1, exec_lo
	v_cmpx_eq_u32_e32 12, v220
	s_cbranch_execz .LBB100_267
; %bb.264:
	v_cmp_ne_u32_e32 vcc_lo, 12, v214
	s_xor_b32 s7, s16, -1
	s_and_b32 s9, s7, vcc_lo
	s_and_saveexec_b32 s7, s9
	s_cbranch_execz .LBB100_266
; %bb.265:
	v_ashrrev_i32_e32 v215, 31, v214
	v_lshlrev_b64 v[220:221], 2, v[214:215]
	v_add_co_u32 v220, vcc_lo, v212, v220
	v_add_co_ci_u32_e64 v221, null, v213, v221, vcc_lo
	s_clause 0x1
	global_load_dword v0, v[220:221], off
	global_load_dword v215, v[212:213], off offset:48
	s_waitcnt vmcnt(1)
	global_store_dword v[212:213], v0, off offset:48
	s_waitcnt vmcnt(0)
	global_store_dword v[220:221], v215, off
.LBB100_266:
	s_or_b32 exec_lo, exec_lo, s7
	v_mov_b32_e32 v220, v214
	v_mov_b32_e32 v0, v214
.LBB100_267:
	s_or_b32 exec_lo, exec_lo, s1
.LBB100_268:
	s_andn2_saveexec_b32 s0, s0
	s_cbranch_execz .LBB100_270
; %bb.269:
	v_mov_b32_e32 v220, 12
	ds_write2_b64 v1, v[150:151], v[152:153] offset0:26 offset1:27
	ds_write2_b64 v1, v[146:147], v[148:149] offset0:28 offset1:29
	;; [unrolled: 1-line block ×38, first 2 shown]
.LBB100_270:
	s_or_b32 exec_lo, exec_lo, s0
	s_mov_b32 s0, exec_lo
	s_waitcnt lgkmcnt(0)
	s_waitcnt_vscnt null, 0x0
	s_barrier
	buffer_gl0_inv
	v_cmpx_lt_i32_e32 12, v220
	s_cbranch_execz .LBB100_272
; %bb.271:
	v_mul_f64 v[214:215], v[208:209], v[156:157]
	v_mul_f64 v[156:157], v[206:207], v[156:157]
	v_fma_f64 v[214:215], v[206:207], v[154:155], -v[214:215]
	v_fma_f64 v[156:157], v[208:209], v[154:155], v[156:157]
	ds_read2_b64 v[206:209], v1 offset0:26 offset1:27
	s_waitcnt lgkmcnt(0)
	v_mul_f64 v[154:155], v[208:209], v[156:157]
	v_fma_f64 v[154:155], v[206:207], v[214:215], -v[154:155]
	v_mul_f64 v[206:207], v[206:207], v[156:157]
	v_add_f64 v[150:151], v[150:151], -v[154:155]
	v_fma_f64 v[206:207], v[208:209], v[214:215], v[206:207]
	v_add_f64 v[152:153], v[152:153], -v[206:207]
	ds_read2_b64 v[206:209], v1 offset0:28 offset1:29
	s_waitcnt lgkmcnt(0)
	v_mul_f64 v[154:155], v[208:209], v[156:157]
	v_fma_f64 v[154:155], v[206:207], v[214:215], -v[154:155]
	v_mul_f64 v[206:207], v[206:207], v[156:157]
	v_add_f64 v[146:147], v[146:147], -v[154:155]
	v_fma_f64 v[206:207], v[208:209], v[214:215], v[206:207]
	v_add_f64 v[148:149], v[148:149], -v[206:207]
	;; [unrolled: 8-line block ×37, first 2 shown]
	ds_read2_b64 v[206:209], v1 offset0:100 offset1:101
	s_waitcnt lgkmcnt(0)
	v_mul_f64 v[154:155], v[208:209], v[156:157]
	v_fma_f64 v[154:155], v[206:207], v[214:215], -v[154:155]
	v_mul_f64 v[206:207], v[206:207], v[156:157]
	v_add_f64 v[2:3], v[2:3], -v[154:155]
	v_fma_f64 v[206:207], v[208:209], v[214:215], v[206:207]
	v_mov_b32_e32 v154, v214
	v_mov_b32_e32 v155, v215
	v_add_f64 v[4:5], v[4:5], -v[206:207]
.LBB100_272:
	s_or_b32 exec_lo, exec_lo, s0
	v_lshl_add_u32 v206, v220, 4, v1
	s_barrier
	buffer_gl0_inv
	v_mov_b32_e32 v214, 13
	ds_write2_b64 v206, v[150:151], v[152:153] offset1:1
	s_waitcnt lgkmcnt(0)
	s_barrier
	buffer_gl0_inv
	ds_read2_b64 v[206:209], v1 offset0:26 offset1:27
	s_cmp_lt_i32 s8, 15
	s_cbranch_scc1 .LBB100_275
; %bb.273:
	v_add3_u32 v215, v216, 0, 0xe0
	v_mov_b32_e32 v214, 13
	s_mov_b32 s1, 14
	s_inst_prefetch 0x1
	.p2align	6
.LBB100_274:                            ; =>This Inner Loop Header: Depth=1
	s_waitcnt lgkmcnt(0)
	v_cmp_gt_f64_e32 vcc_lo, 0, v[208:209]
	v_cmp_gt_f64_e64 s0, 0, v[206:207]
	ds_read2_b64 v[221:224], v215 offset1:1
	v_xor_b32_e32 v226, 0x80000000, v207
	v_xor_b32_e32 v228, 0x80000000, v209
	v_mov_b32_e32 v225, v206
	v_mov_b32_e32 v227, v208
	v_add_nc_u32_e32 v215, 16, v215
	s_waitcnt lgkmcnt(0)
	v_xor_b32_e32 v230, 0x80000000, v224
	v_cndmask_b32_e64 v226, v207, v226, s0
	v_cndmask_b32_e32 v228, v209, v228, vcc_lo
	v_cmp_gt_f64_e32 vcc_lo, 0, v[223:224]
	v_cmp_gt_f64_e64 s0, 0, v[221:222]
	v_mov_b32_e32 v229, v223
	v_add_f64 v[225:226], v[225:226], v[227:228]
	v_xor_b32_e32 v228, 0x80000000, v222
	v_mov_b32_e32 v227, v221
	v_cndmask_b32_e32 v230, v224, v230, vcc_lo
	v_cndmask_b32_e64 v228, v222, v228, s0
	v_add_f64 v[227:228], v[227:228], v[229:230]
	v_cmp_lt_f64_e32 vcc_lo, v[225:226], v[227:228]
	v_cndmask_b32_e32 v207, v207, v222, vcc_lo
	v_cndmask_b32_e32 v206, v206, v221, vcc_lo
	;; [unrolled: 1-line block ×4, first 2 shown]
	v_cndmask_b32_e64 v214, v214, s1, vcc_lo
	s_add_i32 s1, s1, 1
	s_cmp_lg_u32 s8, s1
	s_cbranch_scc1 .LBB100_274
.LBB100_275:
	s_inst_prefetch 0x2
	s_waitcnt lgkmcnt(0)
	v_cmp_eq_f64_e32 vcc_lo, 0, v[206:207]
	v_cmp_eq_f64_e64 s0, 0, v[208:209]
	s_and_b32 s0, vcc_lo, s0
	s_and_saveexec_b32 s1, s0
	s_xor_b32 s0, exec_lo, s1
; %bb.276:
	v_cmp_ne_u32_e32 vcc_lo, 0, v219
	v_cndmask_b32_e32 v219, 14, v219, vcc_lo
; %bb.277:
	s_andn2_saveexec_b32 s0, s0
	s_cbranch_execz .LBB100_283
; %bb.278:
	v_cmp_ngt_f64_e64 s1, |v[206:207]|, |v[208:209]|
	s_and_saveexec_b32 s7, s1
	s_xor_b32 s1, exec_lo, s7
	s_cbranch_execz .LBB100_280
; %bb.279:
	v_div_scale_f64 v[221:222], null, v[208:209], v[208:209], v[206:207]
	v_div_scale_f64 v[227:228], vcc_lo, v[206:207], v[208:209], v[206:207]
	v_rcp_f64_e32 v[223:224], v[221:222]
	v_fma_f64 v[225:226], -v[221:222], v[223:224], 1.0
	v_fma_f64 v[223:224], v[223:224], v[225:226], v[223:224]
	v_fma_f64 v[225:226], -v[221:222], v[223:224], 1.0
	v_fma_f64 v[223:224], v[223:224], v[225:226], v[223:224]
	v_mul_f64 v[225:226], v[227:228], v[223:224]
	v_fma_f64 v[221:222], -v[221:222], v[225:226], v[227:228]
	v_div_fmas_f64 v[221:222], v[221:222], v[223:224], v[225:226]
	v_div_fixup_f64 v[221:222], v[221:222], v[208:209], v[206:207]
	v_fma_f64 v[206:207], v[206:207], v[221:222], v[208:209]
	v_div_scale_f64 v[208:209], null, v[206:207], v[206:207], 1.0
	v_rcp_f64_e32 v[223:224], v[208:209]
	v_fma_f64 v[225:226], -v[208:209], v[223:224], 1.0
	v_fma_f64 v[223:224], v[223:224], v[225:226], v[223:224]
	v_fma_f64 v[225:226], -v[208:209], v[223:224], 1.0
	v_fma_f64 v[223:224], v[223:224], v[225:226], v[223:224]
	v_div_scale_f64 v[225:226], vcc_lo, 1.0, v[206:207], 1.0
	v_mul_f64 v[227:228], v[225:226], v[223:224]
	v_fma_f64 v[208:209], -v[208:209], v[227:228], v[225:226]
	v_div_fmas_f64 v[208:209], v[208:209], v[223:224], v[227:228]
	v_div_fixup_f64 v[208:209], v[208:209], v[206:207], 1.0
	v_mul_f64 v[206:207], v[221:222], v[208:209]
	v_xor_b32_e32 v209, 0x80000000, v209
.LBB100_280:
	s_andn2_saveexec_b32 s1, s1
	s_cbranch_execz .LBB100_282
; %bb.281:
	v_div_scale_f64 v[221:222], null, v[206:207], v[206:207], v[208:209]
	v_div_scale_f64 v[227:228], vcc_lo, v[208:209], v[206:207], v[208:209]
	v_rcp_f64_e32 v[223:224], v[221:222]
	v_fma_f64 v[225:226], -v[221:222], v[223:224], 1.0
	v_fma_f64 v[223:224], v[223:224], v[225:226], v[223:224]
	v_fma_f64 v[225:226], -v[221:222], v[223:224], 1.0
	v_fma_f64 v[223:224], v[223:224], v[225:226], v[223:224]
	v_mul_f64 v[225:226], v[227:228], v[223:224]
	v_fma_f64 v[221:222], -v[221:222], v[225:226], v[227:228]
	v_div_fmas_f64 v[221:222], v[221:222], v[223:224], v[225:226]
	v_div_fixup_f64 v[221:222], v[221:222], v[206:207], v[208:209]
	v_fma_f64 v[206:207], v[208:209], v[221:222], v[206:207]
	v_div_scale_f64 v[208:209], null, v[206:207], v[206:207], 1.0
	v_rcp_f64_e32 v[223:224], v[208:209]
	v_fma_f64 v[225:226], -v[208:209], v[223:224], 1.0
	v_fma_f64 v[223:224], v[223:224], v[225:226], v[223:224]
	v_fma_f64 v[225:226], -v[208:209], v[223:224], 1.0
	v_fma_f64 v[223:224], v[223:224], v[225:226], v[223:224]
	v_div_scale_f64 v[225:226], vcc_lo, 1.0, v[206:207], 1.0
	v_mul_f64 v[227:228], v[225:226], v[223:224]
	v_fma_f64 v[208:209], -v[208:209], v[227:228], v[225:226]
	v_div_fmas_f64 v[208:209], v[208:209], v[223:224], v[227:228]
	v_div_fixup_f64 v[206:207], v[208:209], v[206:207], 1.0
	v_mul_f64 v[208:209], v[221:222], -v[206:207]
.LBB100_282:
	s_or_b32 exec_lo, exec_lo, s1
.LBB100_283:
	s_or_b32 exec_lo, exec_lo, s0
	s_mov_b32 s0, exec_lo
	v_cmpx_ne_u32_e64 v220, v214
	s_xor_b32 s0, exec_lo, s0
	s_cbranch_execz .LBB100_289
; %bb.284:
	s_mov_b32 s1, exec_lo
	v_cmpx_eq_u32_e32 13, v220
	s_cbranch_execz .LBB100_288
; %bb.285:
	v_cmp_ne_u32_e32 vcc_lo, 13, v214
	s_xor_b32 s7, s16, -1
	s_and_b32 s9, s7, vcc_lo
	s_and_saveexec_b32 s7, s9
	s_cbranch_execz .LBB100_287
; %bb.286:
	v_ashrrev_i32_e32 v215, 31, v214
	v_lshlrev_b64 v[220:221], 2, v[214:215]
	v_add_co_u32 v220, vcc_lo, v212, v220
	v_add_co_ci_u32_e64 v221, null, v213, v221, vcc_lo
	s_clause 0x1
	global_load_dword v0, v[220:221], off
	global_load_dword v215, v[212:213], off offset:52
	s_waitcnt vmcnt(1)
	global_store_dword v[212:213], v0, off offset:52
	s_waitcnt vmcnt(0)
	global_store_dword v[220:221], v215, off
.LBB100_287:
	s_or_b32 exec_lo, exec_lo, s7
	v_mov_b32_e32 v220, v214
	v_mov_b32_e32 v0, v214
.LBB100_288:
	s_or_b32 exec_lo, exec_lo, s1
.LBB100_289:
	s_andn2_saveexec_b32 s0, s0
	s_cbranch_execz .LBB100_291
; %bb.290:
	v_mov_b32_e32 v220, 13
	ds_write2_b64 v1, v[146:147], v[148:149] offset0:28 offset1:29
	ds_write2_b64 v1, v[142:143], v[144:145] offset0:30 offset1:31
	;; [unrolled: 1-line block ×37, first 2 shown]
.LBB100_291:
	s_or_b32 exec_lo, exec_lo, s0
	s_mov_b32 s0, exec_lo
	s_waitcnt lgkmcnt(0)
	s_waitcnt_vscnt null, 0x0
	s_barrier
	buffer_gl0_inv
	v_cmpx_lt_i32_e32 13, v220
	s_cbranch_execz .LBB100_293
; %bb.292:
	v_mul_f64 v[214:215], v[208:209], v[152:153]
	v_mul_f64 v[152:153], v[206:207], v[152:153]
	v_fma_f64 v[214:215], v[206:207], v[150:151], -v[214:215]
	v_fma_f64 v[152:153], v[208:209], v[150:151], v[152:153]
	ds_read2_b64 v[206:209], v1 offset0:28 offset1:29
	s_waitcnt lgkmcnt(0)
	v_mul_f64 v[150:151], v[208:209], v[152:153]
	v_fma_f64 v[150:151], v[206:207], v[214:215], -v[150:151]
	v_mul_f64 v[206:207], v[206:207], v[152:153]
	v_add_f64 v[146:147], v[146:147], -v[150:151]
	v_fma_f64 v[206:207], v[208:209], v[214:215], v[206:207]
	v_add_f64 v[148:149], v[148:149], -v[206:207]
	ds_read2_b64 v[206:209], v1 offset0:30 offset1:31
	s_waitcnt lgkmcnt(0)
	v_mul_f64 v[150:151], v[208:209], v[152:153]
	v_fma_f64 v[150:151], v[206:207], v[214:215], -v[150:151]
	v_mul_f64 v[206:207], v[206:207], v[152:153]
	v_add_f64 v[142:143], v[142:143], -v[150:151]
	v_fma_f64 v[206:207], v[208:209], v[214:215], v[206:207]
	v_add_f64 v[144:145], v[144:145], -v[206:207]
	;; [unrolled: 8-line block ×36, first 2 shown]
	ds_read2_b64 v[206:209], v1 offset0:100 offset1:101
	s_waitcnt lgkmcnt(0)
	v_mul_f64 v[150:151], v[208:209], v[152:153]
	v_fma_f64 v[150:151], v[206:207], v[214:215], -v[150:151]
	v_mul_f64 v[206:207], v[206:207], v[152:153]
	v_add_f64 v[2:3], v[2:3], -v[150:151]
	v_fma_f64 v[206:207], v[208:209], v[214:215], v[206:207]
	v_mov_b32_e32 v150, v214
	v_mov_b32_e32 v151, v215
	v_add_f64 v[4:5], v[4:5], -v[206:207]
.LBB100_293:
	s_or_b32 exec_lo, exec_lo, s0
	v_lshl_add_u32 v206, v220, 4, v1
	s_barrier
	buffer_gl0_inv
	v_mov_b32_e32 v214, 14
	ds_write2_b64 v206, v[146:147], v[148:149] offset1:1
	s_waitcnt lgkmcnt(0)
	s_barrier
	buffer_gl0_inv
	ds_read2_b64 v[206:209], v1 offset0:28 offset1:29
	s_cmp_lt_i32 s8, 16
	s_cbranch_scc1 .LBB100_296
; %bb.294:
	v_add3_u32 v215, v216, 0, 0xf0
	v_mov_b32_e32 v214, 14
	s_mov_b32 s1, 15
	s_inst_prefetch 0x1
	.p2align	6
.LBB100_295:                            ; =>This Inner Loop Header: Depth=1
	s_waitcnt lgkmcnt(0)
	v_cmp_gt_f64_e32 vcc_lo, 0, v[208:209]
	v_cmp_gt_f64_e64 s0, 0, v[206:207]
	ds_read2_b64 v[221:224], v215 offset1:1
	v_xor_b32_e32 v226, 0x80000000, v207
	v_xor_b32_e32 v228, 0x80000000, v209
	v_mov_b32_e32 v225, v206
	v_mov_b32_e32 v227, v208
	v_add_nc_u32_e32 v215, 16, v215
	s_waitcnt lgkmcnt(0)
	v_xor_b32_e32 v230, 0x80000000, v224
	v_cndmask_b32_e64 v226, v207, v226, s0
	v_cndmask_b32_e32 v228, v209, v228, vcc_lo
	v_cmp_gt_f64_e32 vcc_lo, 0, v[223:224]
	v_cmp_gt_f64_e64 s0, 0, v[221:222]
	v_mov_b32_e32 v229, v223
	v_add_f64 v[225:226], v[225:226], v[227:228]
	v_xor_b32_e32 v228, 0x80000000, v222
	v_mov_b32_e32 v227, v221
	v_cndmask_b32_e32 v230, v224, v230, vcc_lo
	v_cndmask_b32_e64 v228, v222, v228, s0
	v_add_f64 v[227:228], v[227:228], v[229:230]
	v_cmp_lt_f64_e32 vcc_lo, v[225:226], v[227:228]
	v_cndmask_b32_e32 v207, v207, v222, vcc_lo
	v_cndmask_b32_e32 v206, v206, v221, vcc_lo
	;; [unrolled: 1-line block ×4, first 2 shown]
	v_cndmask_b32_e64 v214, v214, s1, vcc_lo
	s_add_i32 s1, s1, 1
	s_cmp_lg_u32 s8, s1
	s_cbranch_scc1 .LBB100_295
.LBB100_296:
	s_inst_prefetch 0x2
	s_waitcnt lgkmcnt(0)
	v_cmp_eq_f64_e32 vcc_lo, 0, v[206:207]
	v_cmp_eq_f64_e64 s0, 0, v[208:209]
	s_and_b32 s0, vcc_lo, s0
	s_and_saveexec_b32 s1, s0
	s_xor_b32 s0, exec_lo, s1
; %bb.297:
	v_cmp_ne_u32_e32 vcc_lo, 0, v219
	v_cndmask_b32_e32 v219, 15, v219, vcc_lo
; %bb.298:
	s_andn2_saveexec_b32 s0, s0
	s_cbranch_execz .LBB100_304
; %bb.299:
	v_cmp_ngt_f64_e64 s1, |v[206:207]|, |v[208:209]|
	s_and_saveexec_b32 s7, s1
	s_xor_b32 s1, exec_lo, s7
	s_cbranch_execz .LBB100_301
; %bb.300:
	v_div_scale_f64 v[221:222], null, v[208:209], v[208:209], v[206:207]
	v_div_scale_f64 v[227:228], vcc_lo, v[206:207], v[208:209], v[206:207]
	v_rcp_f64_e32 v[223:224], v[221:222]
	v_fma_f64 v[225:226], -v[221:222], v[223:224], 1.0
	v_fma_f64 v[223:224], v[223:224], v[225:226], v[223:224]
	v_fma_f64 v[225:226], -v[221:222], v[223:224], 1.0
	v_fma_f64 v[223:224], v[223:224], v[225:226], v[223:224]
	v_mul_f64 v[225:226], v[227:228], v[223:224]
	v_fma_f64 v[221:222], -v[221:222], v[225:226], v[227:228]
	v_div_fmas_f64 v[221:222], v[221:222], v[223:224], v[225:226]
	v_div_fixup_f64 v[221:222], v[221:222], v[208:209], v[206:207]
	v_fma_f64 v[206:207], v[206:207], v[221:222], v[208:209]
	v_div_scale_f64 v[208:209], null, v[206:207], v[206:207], 1.0
	v_rcp_f64_e32 v[223:224], v[208:209]
	v_fma_f64 v[225:226], -v[208:209], v[223:224], 1.0
	v_fma_f64 v[223:224], v[223:224], v[225:226], v[223:224]
	v_fma_f64 v[225:226], -v[208:209], v[223:224], 1.0
	v_fma_f64 v[223:224], v[223:224], v[225:226], v[223:224]
	v_div_scale_f64 v[225:226], vcc_lo, 1.0, v[206:207], 1.0
	v_mul_f64 v[227:228], v[225:226], v[223:224]
	v_fma_f64 v[208:209], -v[208:209], v[227:228], v[225:226]
	v_div_fmas_f64 v[208:209], v[208:209], v[223:224], v[227:228]
	v_div_fixup_f64 v[208:209], v[208:209], v[206:207], 1.0
	v_mul_f64 v[206:207], v[221:222], v[208:209]
	v_xor_b32_e32 v209, 0x80000000, v209
.LBB100_301:
	s_andn2_saveexec_b32 s1, s1
	s_cbranch_execz .LBB100_303
; %bb.302:
	v_div_scale_f64 v[221:222], null, v[206:207], v[206:207], v[208:209]
	v_div_scale_f64 v[227:228], vcc_lo, v[208:209], v[206:207], v[208:209]
	v_rcp_f64_e32 v[223:224], v[221:222]
	v_fma_f64 v[225:226], -v[221:222], v[223:224], 1.0
	v_fma_f64 v[223:224], v[223:224], v[225:226], v[223:224]
	v_fma_f64 v[225:226], -v[221:222], v[223:224], 1.0
	v_fma_f64 v[223:224], v[223:224], v[225:226], v[223:224]
	v_mul_f64 v[225:226], v[227:228], v[223:224]
	v_fma_f64 v[221:222], -v[221:222], v[225:226], v[227:228]
	v_div_fmas_f64 v[221:222], v[221:222], v[223:224], v[225:226]
	v_div_fixup_f64 v[221:222], v[221:222], v[206:207], v[208:209]
	v_fma_f64 v[206:207], v[208:209], v[221:222], v[206:207]
	v_div_scale_f64 v[208:209], null, v[206:207], v[206:207], 1.0
	v_rcp_f64_e32 v[223:224], v[208:209]
	v_fma_f64 v[225:226], -v[208:209], v[223:224], 1.0
	v_fma_f64 v[223:224], v[223:224], v[225:226], v[223:224]
	v_fma_f64 v[225:226], -v[208:209], v[223:224], 1.0
	v_fma_f64 v[223:224], v[223:224], v[225:226], v[223:224]
	v_div_scale_f64 v[225:226], vcc_lo, 1.0, v[206:207], 1.0
	v_mul_f64 v[227:228], v[225:226], v[223:224]
	v_fma_f64 v[208:209], -v[208:209], v[227:228], v[225:226]
	v_div_fmas_f64 v[208:209], v[208:209], v[223:224], v[227:228]
	v_div_fixup_f64 v[206:207], v[208:209], v[206:207], 1.0
	v_mul_f64 v[208:209], v[221:222], -v[206:207]
.LBB100_303:
	s_or_b32 exec_lo, exec_lo, s1
.LBB100_304:
	s_or_b32 exec_lo, exec_lo, s0
	s_mov_b32 s0, exec_lo
	v_cmpx_ne_u32_e64 v220, v214
	s_xor_b32 s0, exec_lo, s0
	s_cbranch_execz .LBB100_310
; %bb.305:
	s_mov_b32 s1, exec_lo
	v_cmpx_eq_u32_e32 14, v220
	s_cbranch_execz .LBB100_309
; %bb.306:
	v_cmp_ne_u32_e32 vcc_lo, 14, v214
	s_xor_b32 s7, s16, -1
	s_and_b32 s9, s7, vcc_lo
	s_and_saveexec_b32 s7, s9
	s_cbranch_execz .LBB100_308
; %bb.307:
	v_ashrrev_i32_e32 v215, 31, v214
	v_lshlrev_b64 v[220:221], 2, v[214:215]
	v_add_co_u32 v220, vcc_lo, v212, v220
	v_add_co_ci_u32_e64 v221, null, v213, v221, vcc_lo
	s_clause 0x1
	global_load_dword v0, v[220:221], off
	global_load_dword v215, v[212:213], off offset:56
	s_waitcnt vmcnt(1)
	global_store_dword v[212:213], v0, off offset:56
	s_waitcnt vmcnt(0)
	global_store_dword v[220:221], v215, off
.LBB100_308:
	s_or_b32 exec_lo, exec_lo, s7
	v_mov_b32_e32 v220, v214
	v_mov_b32_e32 v0, v214
.LBB100_309:
	s_or_b32 exec_lo, exec_lo, s1
.LBB100_310:
	s_andn2_saveexec_b32 s0, s0
	s_cbranch_execz .LBB100_312
; %bb.311:
	v_mov_b32_e32 v220, 14
	ds_write2_b64 v1, v[142:143], v[144:145] offset0:30 offset1:31
	ds_write2_b64 v1, v[138:139], v[140:141] offset0:32 offset1:33
	;; [unrolled: 1-line block ×36, first 2 shown]
.LBB100_312:
	s_or_b32 exec_lo, exec_lo, s0
	s_mov_b32 s0, exec_lo
	s_waitcnt lgkmcnt(0)
	s_waitcnt_vscnt null, 0x0
	s_barrier
	buffer_gl0_inv
	v_cmpx_lt_i32_e32 14, v220
	s_cbranch_execz .LBB100_314
; %bb.313:
	v_mul_f64 v[214:215], v[208:209], v[148:149]
	v_mul_f64 v[148:149], v[206:207], v[148:149]
	v_fma_f64 v[214:215], v[206:207], v[146:147], -v[214:215]
	v_fma_f64 v[148:149], v[208:209], v[146:147], v[148:149]
	ds_read2_b64 v[206:209], v1 offset0:30 offset1:31
	s_waitcnt lgkmcnt(0)
	v_mul_f64 v[146:147], v[208:209], v[148:149]
	v_fma_f64 v[146:147], v[206:207], v[214:215], -v[146:147]
	v_mul_f64 v[206:207], v[206:207], v[148:149]
	v_add_f64 v[142:143], v[142:143], -v[146:147]
	v_fma_f64 v[206:207], v[208:209], v[214:215], v[206:207]
	v_add_f64 v[144:145], v[144:145], -v[206:207]
	ds_read2_b64 v[206:209], v1 offset0:32 offset1:33
	s_waitcnt lgkmcnt(0)
	v_mul_f64 v[146:147], v[208:209], v[148:149]
	v_fma_f64 v[146:147], v[206:207], v[214:215], -v[146:147]
	v_mul_f64 v[206:207], v[206:207], v[148:149]
	v_add_f64 v[138:139], v[138:139], -v[146:147]
	v_fma_f64 v[206:207], v[208:209], v[214:215], v[206:207]
	v_add_f64 v[140:141], v[140:141], -v[206:207]
	;; [unrolled: 8-line block ×35, first 2 shown]
	ds_read2_b64 v[206:209], v1 offset0:100 offset1:101
	s_waitcnt lgkmcnt(0)
	v_mul_f64 v[146:147], v[208:209], v[148:149]
	v_fma_f64 v[146:147], v[206:207], v[214:215], -v[146:147]
	v_mul_f64 v[206:207], v[206:207], v[148:149]
	v_add_f64 v[2:3], v[2:3], -v[146:147]
	v_fma_f64 v[206:207], v[208:209], v[214:215], v[206:207]
	v_mov_b32_e32 v146, v214
	v_mov_b32_e32 v147, v215
	v_add_f64 v[4:5], v[4:5], -v[206:207]
.LBB100_314:
	s_or_b32 exec_lo, exec_lo, s0
	v_lshl_add_u32 v206, v220, 4, v1
	s_barrier
	buffer_gl0_inv
	v_mov_b32_e32 v214, 15
	ds_write2_b64 v206, v[142:143], v[144:145] offset1:1
	s_waitcnt lgkmcnt(0)
	s_barrier
	buffer_gl0_inv
	ds_read2_b64 v[206:209], v1 offset0:30 offset1:31
	s_cmp_lt_i32 s8, 17
	s_cbranch_scc1 .LBB100_317
; %bb.315:
	v_add3_u32 v215, v216, 0, 0x100
	v_mov_b32_e32 v214, 15
	s_mov_b32 s1, 16
	s_inst_prefetch 0x1
	.p2align	6
.LBB100_316:                            ; =>This Inner Loop Header: Depth=1
	s_waitcnt lgkmcnt(0)
	v_cmp_gt_f64_e32 vcc_lo, 0, v[208:209]
	v_cmp_gt_f64_e64 s0, 0, v[206:207]
	ds_read2_b64 v[221:224], v215 offset1:1
	v_xor_b32_e32 v226, 0x80000000, v207
	v_xor_b32_e32 v228, 0x80000000, v209
	v_mov_b32_e32 v225, v206
	v_mov_b32_e32 v227, v208
	v_add_nc_u32_e32 v215, 16, v215
	s_waitcnt lgkmcnt(0)
	v_xor_b32_e32 v230, 0x80000000, v224
	v_cndmask_b32_e64 v226, v207, v226, s0
	v_cndmask_b32_e32 v228, v209, v228, vcc_lo
	v_cmp_gt_f64_e32 vcc_lo, 0, v[223:224]
	v_cmp_gt_f64_e64 s0, 0, v[221:222]
	v_mov_b32_e32 v229, v223
	v_add_f64 v[225:226], v[225:226], v[227:228]
	v_xor_b32_e32 v228, 0x80000000, v222
	v_mov_b32_e32 v227, v221
	v_cndmask_b32_e32 v230, v224, v230, vcc_lo
	v_cndmask_b32_e64 v228, v222, v228, s0
	v_add_f64 v[227:228], v[227:228], v[229:230]
	v_cmp_lt_f64_e32 vcc_lo, v[225:226], v[227:228]
	v_cndmask_b32_e32 v207, v207, v222, vcc_lo
	v_cndmask_b32_e32 v206, v206, v221, vcc_lo
	;; [unrolled: 1-line block ×4, first 2 shown]
	v_cndmask_b32_e64 v214, v214, s1, vcc_lo
	s_add_i32 s1, s1, 1
	s_cmp_lg_u32 s8, s1
	s_cbranch_scc1 .LBB100_316
.LBB100_317:
	s_inst_prefetch 0x2
	s_waitcnt lgkmcnt(0)
	v_cmp_eq_f64_e32 vcc_lo, 0, v[206:207]
	v_cmp_eq_f64_e64 s0, 0, v[208:209]
	s_and_b32 s0, vcc_lo, s0
	s_and_saveexec_b32 s1, s0
	s_xor_b32 s0, exec_lo, s1
; %bb.318:
	v_cmp_ne_u32_e32 vcc_lo, 0, v219
	v_cndmask_b32_e32 v219, 16, v219, vcc_lo
; %bb.319:
	s_andn2_saveexec_b32 s0, s0
	s_cbranch_execz .LBB100_325
; %bb.320:
	v_cmp_ngt_f64_e64 s1, |v[206:207]|, |v[208:209]|
	s_and_saveexec_b32 s7, s1
	s_xor_b32 s1, exec_lo, s7
	s_cbranch_execz .LBB100_322
; %bb.321:
	v_div_scale_f64 v[221:222], null, v[208:209], v[208:209], v[206:207]
	v_div_scale_f64 v[227:228], vcc_lo, v[206:207], v[208:209], v[206:207]
	v_rcp_f64_e32 v[223:224], v[221:222]
	v_fma_f64 v[225:226], -v[221:222], v[223:224], 1.0
	v_fma_f64 v[223:224], v[223:224], v[225:226], v[223:224]
	v_fma_f64 v[225:226], -v[221:222], v[223:224], 1.0
	v_fma_f64 v[223:224], v[223:224], v[225:226], v[223:224]
	v_mul_f64 v[225:226], v[227:228], v[223:224]
	v_fma_f64 v[221:222], -v[221:222], v[225:226], v[227:228]
	v_div_fmas_f64 v[221:222], v[221:222], v[223:224], v[225:226]
	v_div_fixup_f64 v[221:222], v[221:222], v[208:209], v[206:207]
	v_fma_f64 v[206:207], v[206:207], v[221:222], v[208:209]
	v_div_scale_f64 v[208:209], null, v[206:207], v[206:207], 1.0
	v_rcp_f64_e32 v[223:224], v[208:209]
	v_fma_f64 v[225:226], -v[208:209], v[223:224], 1.0
	v_fma_f64 v[223:224], v[223:224], v[225:226], v[223:224]
	v_fma_f64 v[225:226], -v[208:209], v[223:224], 1.0
	v_fma_f64 v[223:224], v[223:224], v[225:226], v[223:224]
	v_div_scale_f64 v[225:226], vcc_lo, 1.0, v[206:207], 1.0
	v_mul_f64 v[227:228], v[225:226], v[223:224]
	v_fma_f64 v[208:209], -v[208:209], v[227:228], v[225:226]
	v_div_fmas_f64 v[208:209], v[208:209], v[223:224], v[227:228]
	v_div_fixup_f64 v[208:209], v[208:209], v[206:207], 1.0
	v_mul_f64 v[206:207], v[221:222], v[208:209]
	v_xor_b32_e32 v209, 0x80000000, v209
.LBB100_322:
	s_andn2_saveexec_b32 s1, s1
	s_cbranch_execz .LBB100_324
; %bb.323:
	v_div_scale_f64 v[221:222], null, v[206:207], v[206:207], v[208:209]
	v_div_scale_f64 v[227:228], vcc_lo, v[208:209], v[206:207], v[208:209]
	v_rcp_f64_e32 v[223:224], v[221:222]
	v_fma_f64 v[225:226], -v[221:222], v[223:224], 1.0
	v_fma_f64 v[223:224], v[223:224], v[225:226], v[223:224]
	v_fma_f64 v[225:226], -v[221:222], v[223:224], 1.0
	v_fma_f64 v[223:224], v[223:224], v[225:226], v[223:224]
	v_mul_f64 v[225:226], v[227:228], v[223:224]
	v_fma_f64 v[221:222], -v[221:222], v[225:226], v[227:228]
	v_div_fmas_f64 v[221:222], v[221:222], v[223:224], v[225:226]
	v_div_fixup_f64 v[221:222], v[221:222], v[206:207], v[208:209]
	v_fma_f64 v[206:207], v[208:209], v[221:222], v[206:207]
	v_div_scale_f64 v[208:209], null, v[206:207], v[206:207], 1.0
	v_rcp_f64_e32 v[223:224], v[208:209]
	v_fma_f64 v[225:226], -v[208:209], v[223:224], 1.0
	v_fma_f64 v[223:224], v[223:224], v[225:226], v[223:224]
	v_fma_f64 v[225:226], -v[208:209], v[223:224], 1.0
	v_fma_f64 v[223:224], v[223:224], v[225:226], v[223:224]
	v_div_scale_f64 v[225:226], vcc_lo, 1.0, v[206:207], 1.0
	v_mul_f64 v[227:228], v[225:226], v[223:224]
	v_fma_f64 v[208:209], -v[208:209], v[227:228], v[225:226]
	v_div_fmas_f64 v[208:209], v[208:209], v[223:224], v[227:228]
	v_div_fixup_f64 v[206:207], v[208:209], v[206:207], 1.0
	v_mul_f64 v[208:209], v[221:222], -v[206:207]
.LBB100_324:
	s_or_b32 exec_lo, exec_lo, s1
.LBB100_325:
	s_or_b32 exec_lo, exec_lo, s0
	s_mov_b32 s0, exec_lo
	v_cmpx_ne_u32_e64 v220, v214
	s_xor_b32 s0, exec_lo, s0
	s_cbranch_execz .LBB100_331
; %bb.326:
	s_mov_b32 s1, exec_lo
	v_cmpx_eq_u32_e32 15, v220
	s_cbranch_execz .LBB100_330
; %bb.327:
	v_cmp_ne_u32_e32 vcc_lo, 15, v214
	s_xor_b32 s7, s16, -1
	s_and_b32 s9, s7, vcc_lo
	s_and_saveexec_b32 s7, s9
	s_cbranch_execz .LBB100_329
; %bb.328:
	v_ashrrev_i32_e32 v215, 31, v214
	v_lshlrev_b64 v[220:221], 2, v[214:215]
	v_add_co_u32 v220, vcc_lo, v212, v220
	v_add_co_ci_u32_e64 v221, null, v213, v221, vcc_lo
	s_clause 0x1
	global_load_dword v0, v[220:221], off
	global_load_dword v215, v[212:213], off offset:60
	s_waitcnt vmcnt(1)
	global_store_dword v[212:213], v0, off offset:60
	s_waitcnt vmcnt(0)
	global_store_dword v[220:221], v215, off
.LBB100_329:
	s_or_b32 exec_lo, exec_lo, s7
	v_mov_b32_e32 v220, v214
	v_mov_b32_e32 v0, v214
.LBB100_330:
	s_or_b32 exec_lo, exec_lo, s1
.LBB100_331:
	s_andn2_saveexec_b32 s0, s0
	s_cbranch_execz .LBB100_333
; %bb.332:
	v_mov_b32_e32 v220, 15
	ds_write2_b64 v1, v[138:139], v[140:141] offset0:32 offset1:33
	ds_write2_b64 v1, v[134:135], v[136:137] offset0:34 offset1:35
	ds_write2_b64 v1, v[130:131], v[132:133] offset0:36 offset1:37
	ds_write2_b64 v1, v[126:127], v[128:129] offset0:38 offset1:39
	ds_write2_b64 v1, v[122:123], v[124:125] offset0:40 offset1:41
	ds_write2_b64 v1, v[118:119], v[120:121] offset0:42 offset1:43
	ds_write2_b64 v1, v[114:115], v[116:117] offset0:44 offset1:45
	ds_write2_b64 v1, v[110:111], v[112:113] offset0:46 offset1:47
	ds_write2_b64 v1, v[106:107], v[108:109] offset0:48 offset1:49
	ds_write2_b64 v1, v[102:103], v[104:105] offset0:50 offset1:51
	ds_write2_b64 v1, v[98:99], v[100:101] offset0:52 offset1:53
	ds_write2_b64 v1, v[94:95], v[96:97] offset0:54 offset1:55
	ds_write2_b64 v1, v[90:91], v[92:93] offset0:56 offset1:57
	ds_write2_b64 v1, v[86:87], v[88:89] offset0:58 offset1:59
	ds_write2_b64 v1, v[82:83], v[84:85] offset0:60 offset1:61
	ds_write2_b64 v1, v[78:79], v[80:81] offset0:62 offset1:63
	ds_write2_b64 v1, v[74:75], v[76:77] offset0:64 offset1:65
	ds_write2_b64 v1, v[70:71], v[72:73] offset0:66 offset1:67
	ds_write2_b64 v1, v[66:67], v[68:69] offset0:68 offset1:69
	ds_write2_b64 v1, v[62:63], v[64:65] offset0:70 offset1:71
	ds_write2_b64 v1, v[58:59], v[60:61] offset0:72 offset1:73
	ds_write2_b64 v1, v[54:55], v[56:57] offset0:74 offset1:75
	ds_write2_b64 v1, v[50:51], v[52:53] offset0:76 offset1:77
	ds_write2_b64 v1, v[46:47], v[48:49] offset0:78 offset1:79
	ds_write2_b64 v1, v[42:43], v[44:45] offset0:80 offset1:81
	ds_write2_b64 v1, v[38:39], v[40:41] offset0:82 offset1:83
	ds_write2_b64 v1, v[34:35], v[36:37] offset0:84 offset1:85
	ds_write2_b64 v1, v[30:31], v[32:33] offset0:86 offset1:87
	ds_write2_b64 v1, v[26:27], v[28:29] offset0:88 offset1:89
	ds_write2_b64 v1, v[22:23], v[24:25] offset0:90 offset1:91
	ds_write2_b64 v1, v[18:19], v[20:21] offset0:92 offset1:93
	ds_write2_b64 v1, v[14:15], v[16:17] offset0:94 offset1:95
	ds_write2_b64 v1, v[10:11], v[12:13] offset0:96 offset1:97
	ds_write2_b64 v1, v[6:7], v[8:9] offset0:98 offset1:99
	ds_write2_b64 v1, v[2:3], v[4:5] offset0:100 offset1:101
.LBB100_333:
	s_or_b32 exec_lo, exec_lo, s0
	s_mov_b32 s0, exec_lo
	s_waitcnt lgkmcnt(0)
	s_waitcnt_vscnt null, 0x0
	s_barrier
	buffer_gl0_inv
	v_cmpx_lt_i32_e32 15, v220
	s_cbranch_execz .LBB100_335
; %bb.334:
	v_mul_f64 v[214:215], v[208:209], v[144:145]
	v_mul_f64 v[144:145], v[206:207], v[144:145]
	v_fma_f64 v[214:215], v[206:207], v[142:143], -v[214:215]
	v_fma_f64 v[144:145], v[208:209], v[142:143], v[144:145]
	ds_read2_b64 v[206:209], v1 offset0:32 offset1:33
	s_waitcnt lgkmcnt(0)
	v_mul_f64 v[142:143], v[208:209], v[144:145]
	v_fma_f64 v[142:143], v[206:207], v[214:215], -v[142:143]
	v_mul_f64 v[206:207], v[206:207], v[144:145]
	v_add_f64 v[138:139], v[138:139], -v[142:143]
	v_fma_f64 v[206:207], v[208:209], v[214:215], v[206:207]
	v_add_f64 v[140:141], v[140:141], -v[206:207]
	ds_read2_b64 v[206:209], v1 offset0:34 offset1:35
	s_waitcnt lgkmcnt(0)
	v_mul_f64 v[142:143], v[208:209], v[144:145]
	v_fma_f64 v[142:143], v[206:207], v[214:215], -v[142:143]
	v_mul_f64 v[206:207], v[206:207], v[144:145]
	v_add_f64 v[134:135], v[134:135], -v[142:143]
	v_fma_f64 v[206:207], v[208:209], v[214:215], v[206:207]
	v_add_f64 v[136:137], v[136:137], -v[206:207]
	;; [unrolled: 8-line block ×34, first 2 shown]
	ds_read2_b64 v[206:209], v1 offset0:100 offset1:101
	s_waitcnt lgkmcnt(0)
	v_mul_f64 v[142:143], v[208:209], v[144:145]
	v_fma_f64 v[142:143], v[206:207], v[214:215], -v[142:143]
	v_mul_f64 v[206:207], v[206:207], v[144:145]
	v_add_f64 v[2:3], v[2:3], -v[142:143]
	v_fma_f64 v[206:207], v[208:209], v[214:215], v[206:207]
	v_mov_b32_e32 v142, v214
	v_mov_b32_e32 v143, v215
	v_add_f64 v[4:5], v[4:5], -v[206:207]
.LBB100_335:
	s_or_b32 exec_lo, exec_lo, s0
	v_lshl_add_u32 v206, v220, 4, v1
	s_barrier
	buffer_gl0_inv
	v_mov_b32_e32 v214, 16
	ds_write2_b64 v206, v[138:139], v[140:141] offset1:1
	s_waitcnt lgkmcnt(0)
	s_barrier
	buffer_gl0_inv
	ds_read2_b64 v[206:209], v1 offset0:32 offset1:33
	s_cmp_lt_i32 s8, 18
	s_cbranch_scc1 .LBB100_338
; %bb.336:
	v_add3_u32 v215, v216, 0, 0x110
	v_mov_b32_e32 v214, 16
	s_mov_b32 s1, 17
	s_inst_prefetch 0x1
	.p2align	6
.LBB100_337:                            ; =>This Inner Loop Header: Depth=1
	s_waitcnt lgkmcnt(0)
	v_cmp_gt_f64_e32 vcc_lo, 0, v[208:209]
	v_cmp_gt_f64_e64 s0, 0, v[206:207]
	ds_read2_b64 v[221:224], v215 offset1:1
	v_xor_b32_e32 v226, 0x80000000, v207
	v_xor_b32_e32 v228, 0x80000000, v209
	v_mov_b32_e32 v225, v206
	v_mov_b32_e32 v227, v208
	v_add_nc_u32_e32 v215, 16, v215
	s_waitcnt lgkmcnt(0)
	v_xor_b32_e32 v230, 0x80000000, v224
	v_cndmask_b32_e64 v226, v207, v226, s0
	v_cndmask_b32_e32 v228, v209, v228, vcc_lo
	v_cmp_gt_f64_e32 vcc_lo, 0, v[223:224]
	v_cmp_gt_f64_e64 s0, 0, v[221:222]
	v_mov_b32_e32 v229, v223
	v_add_f64 v[225:226], v[225:226], v[227:228]
	v_xor_b32_e32 v228, 0x80000000, v222
	v_mov_b32_e32 v227, v221
	v_cndmask_b32_e32 v230, v224, v230, vcc_lo
	v_cndmask_b32_e64 v228, v222, v228, s0
	v_add_f64 v[227:228], v[227:228], v[229:230]
	v_cmp_lt_f64_e32 vcc_lo, v[225:226], v[227:228]
	v_cndmask_b32_e32 v207, v207, v222, vcc_lo
	v_cndmask_b32_e32 v206, v206, v221, vcc_lo
	;; [unrolled: 1-line block ×4, first 2 shown]
	v_cndmask_b32_e64 v214, v214, s1, vcc_lo
	s_add_i32 s1, s1, 1
	s_cmp_lg_u32 s8, s1
	s_cbranch_scc1 .LBB100_337
.LBB100_338:
	s_inst_prefetch 0x2
	s_waitcnt lgkmcnt(0)
	v_cmp_eq_f64_e32 vcc_lo, 0, v[206:207]
	v_cmp_eq_f64_e64 s0, 0, v[208:209]
	s_and_b32 s0, vcc_lo, s0
	s_and_saveexec_b32 s1, s0
	s_xor_b32 s0, exec_lo, s1
; %bb.339:
	v_cmp_ne_u32_e32 vcc_lo, 0, v219
	v_cndmask_b32_e32 v219, 17, v219, vcc_lo
; %bb.340:
	s_andn2_saveexec_b32 s0, s0
	s_cbranch_execz .LBB100_346
; %bb.341:
	v_cmp_ngt_f64_e64 s1, |v[206:207]|, |v[208:209]|
	s_and_saveexec_b32 s7, s1
	s_xor_b32 s1, exec_lo, s7
	s_cbranch_execz .LBB100_343
; %bb.342:
	v_div_scale_f64 v[221:222], null, v[208:209], v[208:209], v[206:207]
	v_div_scale_f64 v[227:228], vcc_lo, v[206:207], v[208:209], v[206:207]
	v_rcp_f64_e32 v[223:224], v[221:222]
	v_fma_f64 v[225:226], -v[221:222], v[223:224], 1.0
	v_fma_f64 v[223:224], v[223:224], v[225:226], v[223:224]
	v_fma_f64 v[225:226], -v[221:222], v[223:224], 1.0
	v_fma_f64 v[223:224], v[223:224], v[225:226], v[223:224]
	v_mul_f64 v[225:226], v[227:228], v[223:224]
	v_fma_f64 v[221:222], -v[221:222], v[225:226], v[227:228]
	v_div_fmas_f64 v[221:222], v[221:222], v[223:224], v[225:226]
	v_div_fixup_f64 v[221:222], v[221:222], v[208:209], v[206:207]
	v_fma_f64 v[206:207], v[206:207], v[221:222], v[208:209]
	v_div_scale_f64 v[208:209], null, v[206:207], v[206:207], 1.0
	v_rcp_f64_e32 v[223:224], v[208:209]
	v_fma_f64 v[225:226], -v[208:209], v[223:224], 1.0
	v_fma_f64 v[223:224], v[223:224], v[225:226], v[223:224]
	v_fma_f64 v[225:226], -v[208:209], v[223:224], 1.0
	v_fma_f64 v[223:224], v[223:224], v[225:226], v[223:224]
	v_div_scale_f64 v[225:226], vcc_lo, 1.0, v[206:207], 1.0
	v_mul_f64 v[227:228], v[225:226], v[223:224]
	v_fma_f64 v[208:209], -v[208:209], v[227:228], v[225:226]
	v_div_fmas_f64 v[208:209], v[208:209], v[223:224], v[227:228]
	v_div_fixup_f64 v[208:209], v[208:209], v[206:207], 1.0
	v_mul_f64 v[206:207], v[221:222], v[208:209]
	v_xor_b32_e32 v209, 0x80000000, v209
.LBB100_343:
	s_andn2_saveexec_b32 s1, s1
	s_cbranch_execz .LBB100_345
; %bb.344:
	v_div_scale_f64 v[221:222], null, v[206:207], v[206:207], v[208:209]
	v_div_scale_f64 v[227:228], vcc_lo, v[208:209], v[206:207], v[208:209]
	v_rcp_f64_e32 v[223:224], v[221:222]
	v_fma_f64 v[225:226], -v[221:222], v[223:224], 1.0
	v_fma_f64 v[223:224], v[223:224], v[225:226], v[223:224]
	v_fma_f64 v[225:226], -v[221:222], v[223:224], 1.0
	v_fma_f64 v[223:224], v[223:224], v[225:226], v[223:224]
	v_mul_f64 v[225:226], v[227:228], v[223:224]
	v_fma_f64 v[221:222], -v[221:222], v[225:226], v[227:228]
	v_div_fmas_f64 v[221:222], v[221:222], v[223:224], v[225:226]
	v_div_fixup_f64 v[221:222], v[221:222], v[206:207], v[208:209]
	v_fma_f64 v[206:207], v[208:209], v[221:222], v[206:207]
	v_div_scale_f64 v[208:209], null, v[206:207], v[206:207], 1.0
	v_rcp_f64_e32 v[223:224], v[208:209]
	v_fma_f64 v[225:226], -v[208:209], v[223:224], 1.0
	v_fma_f64 v[223:224], v[223:224], v[225:226], v[223:224]
	v_fma_f64 v[225:226], -v[208:209], v[223:224], 1.0
	v_fma_f64 v[223:224], v[223:224], v[225:226], v[223:224]
	v_div_scale_f64 v[225:226], vcc_lo, 1.0, v[206:207], 1.0
	v_mul_f64 v[227:228], v[225:226], v[223:224]
	v_fma_f64 v[208:209], -v[208:209], v[227:228], v[225:226]
	v_div_fmas_f64 v[208:209], v[208:209], v[223:224], v[227:228]
	v_div_fixup_f64 v[206:207], v[208:209], v[206:207], 1.0
	v_mul_f64 v[208:209], v[221:222], -v[206:207]
.LBB100_345:
	s_or_b32 exec_lo, exec_lo, s1
.LBB100_346:
	s_or_b32 exec_lo, exec_lo, s0
	s_mov_b32 s0, exec_lo
	v_cmpx_ne_u32_e64 v220, v214
	s_xor_b32 s0, exec_lo, s0
	s_cbranch_execz .LBB100_352
; %bb.347:
	s_mov_b32 s1, exec_lo
	v_cmpx_eq_u32_e32 16, v220
	s_cbranch_execz .LBB100_351
; %bb.348:
	v_cmp_ne_u32_e32 vcc_lo, 16, v214
	s_xor_b32 s7, s16, -1
	s_and_b32 s9, s7, vcc_lo
	s_and_saveexec_b32 s7, s9
	s_cbranch_execz .LBB100_350
; %bb.349:
	v_ashrrev_i32_e32 v215, 31, v214
	v_lshlrev_b64 v[220:221], 2, v[214:215]
	v_add_co_u32 v220, vcc_lo, v212, v220
	v_add_co_ci_u32_e64 v221, null, v213, v221, vcc_lo
	s_clause 0x1
	global_load_dword v0, v[220:221], off
	global_load_dword v215, v[212:213], off offset:64
	s_waitcnt vmcnt(1)
	global_store_dword v[212:213], v0, off offset:64
	s_waitcnt vmcnt(0)
	global_store_dword v[220:221], v215, off
.LBB100_350:
	s_or_b32 exec_lo, exec_lo, s7
	v_mov_b32_e32 v220, v214
	v_mov_b32_e32 v0, v214
.LBB100_351:
	s_or_b32 exec_lo, exec_lo, s1
.LBB100_352:
	s_andn2_saveexec_b32 s0, s0
	s_cbranch_execz .LBB100_354
; %bb.353:
	v_mov_b32_e32 v220, 16
	ds_write2_b64 v1, v[134:135], v[136:137] offset0:34 offset1:35
	ds_write2_b64 v1, v[130:131], v[132:133] offset0:36 offset1:37
	;; [unrolled: 1-line block ×34, first 2 shown]
.LBB100_354:
	s_or_b32 exec_lo, exec_lo, s0
	s_mov_b32 s0, exec_lo
	s_waitcnt lgkmcnt(0)
	s_waitcnt_vscnt null, 0x0
	s_barrier
	buffer_gl0_inv
	v_cmpx_lt_i32_e32 16, v220
	s_cbranch_execz .LBB100_356
; %bb.355:
	v_mul_f64 v[214:215], v[208:209], v[140:141]
	v_mul_f64 v[140:141], v[206:207], v[140:141]
	v_fma_f64 v[214:215], v[206:207], v[138:139], -v[214:215]
	v_fma_f64 v[140:141], v[208:209], v[138:139], v[140:141]
	ds_read2_b64 v[206:209], v1 offset0:34 offset1:35
	s_waitcnt lgkmcnt(0)
	v_mul_f64 v[138:139], v[208:209], v[140:141]
	v_fma_f64 v[138:139], v[206:207], v[214:215], -v[138:139]
	v_mul_f64 v[206:207], v[206:207], v[140:141]
	v_add_f64 v[134:135], v[134:135], -v[138:139]
	v_fma_f64 v[206:207], v[208:209], v[214:215], v[206:207]
	v_add_f64 v[136:137], v[136:137], -v[206:207]
	ds_read2_b64 v[206:209], v1 offset0:36 offset1:37
	s_waitcnt lgkmcnt(0)
	v_mul_f64 v[138:139], v[208:209], v[140:141]
	v_fma_f64 v[138:139], v[206:207], v[214:215], -v[138:139]
	v_mul_f64 v[206:207], v[206:207], v[140:141]
	v_add_f64 v[130:131], v[130:131], -v[138:139]
	v_fma_f64 v[206:207], v[208:209], v[214:215], v[206:207]
	v_add_f64 v[132:133], v[132:133], -v[206:207]
	;; [unrolled: 8-line block ×33, first 2 shown]
	ds_read2_b64 v[206:209], v1 offset0:100 offset1:101
	s_waitcnt lgkmcnt(0)
	v_mul_f64 v[138:139], v[208:209], v[140:141]
	v_fma_f64 v[138:139], v[206:207], v[214:215], -v[138:139]
	v_mul_f64 v[206:207], v[206:207], v[140:141]
	v_add_f64 v[2:3], v[2:3], -v[138:139]
	v_fma_f64 v[206:207], v[208:209], v[214:215], v[206:207]
	v_mov_b32_e32 v138, v214
	v_mov_b32_e32 v139, v215
	v_add_f64 v[4:5], v[4:5], -v[206:207]
.LBB100_356:
	s_or_b32 exec_lo, exec_lo, s0
	v_lshl_add_u32 v206, v220, 4, v1
	s_barrier
	buffer_gl0_inv
	v_mov_b32_e32 v214, 17
	ds_write2_b64 v206, v[134:135], v[136:137] offset1:1
	s_waitcnt lgkmcnt(0)
	s_barrier
	buffer_gl0_inv
	ds_read2_b64 v[206:209], v1 offset0:34 offset1:35
	s_cmp_lt_i32 s8, 19
	s_cbranch_scc1 .LBB100_359
; %bb.357:
	v_add3_u32 v215, v216, 0, 0x120
	v_mov_b32_e32 v214, 17
	s_mov_b32 s1, 18
	s_inst_prefetch 0x1
	.p2align	6
.LBB100_358:                            ; =>This Inner Loop Header: Depth=1
	s_waitcnt lgkmcnt(0)
	v_cmp_gt_f64_e32 vcc_lo, 0, v[208:209]
	v_cmp_gt_f64_e64 s0, 0, v[206:207]
	ds_read2_b64 v[221:224], v215 offset1:1
	v_xor_b32_e32 v226, 0x80000000, v207
	v_xor_b32_e32 v228, 0x80000000, v209
	v_mov_b32_e32 v225, v206
	v_mov_b32_e32 v227, v208
	v_add_nc_u32_e32 v215, 16, v215
	s_waitcnt lgkmcnt(0)
	v_xor_b32_e32 v230, 0x80000000, v224
	v_cndmask_b32_e64 v226, v207, v226, s0
	v_cndmask_b32_e32 v228, v209, v228, vcc_lo
	v_cmp_gt_f64_e32 vcc_lo, 0, v[223:224]
	v_cmp_gt_f64_e64 s0, 0, v[221:222]
	v_mov_b32_e32 v229, v223
	v_add_f64 v[225:226], v[225:226], v[227:228]
	v_xor_b32_e32 v228, 0x80000000, v222
	v_mov_b32_e32 v227, v221
	v_cndmask_b32_e32 v230, v224, v230, vcc_lo
	v_cndmask_b32_e64 v228, v222, v228, s0
	v_add_f64 v[227:228], v[227:228], v[229:230]
	v_cmp_lt_f64_e32 vcc_lo, v[225:226], v[227:228]
	v_cndmask_b32_e32 v207, v207, v222, vcc_lo
	v_cndmask_b32_e32 v206, v206, v221, vcc_lo
	;; [unrolled: 1-line block ×4, first 2 shown]
	v_cndmask_b32_e64 v214, v214, s1, vcc_lo
	s_add_i32 s1, s1, 1
	s_cmp_lg_u32 s8, s1
	s_cbranch_scc1 .LBB100_358
.LBB100_359:
	s_inst_prefetch 0x2
	s_waitcnt lgkmcnt(0)
	v_cmp_eq_f64_e32 vcc_lo, 0, v[206:207]
	v_cmp_eq_f64_e64 s0, 0, v[208:209]
	s_and_b32 s0, vcc_lo, s0
	s_and_saveexec_b32 s1, s0
	s_xor_b32 s0, exec_lo, s1
; %bb.360:
	v_cmp_ne_u32_e32 vcc_lo, 0, v219
	v_cndmask_b32_e32 v219, 18, v219, vcc_lo
; %bb.361:
	s_andn2_saveexec_b32 s0, s0
	s_cbranch_execz .LBB100_367
; %bb.362:
	v_cmp_ngt_f64_e64 s1, |v[206:207]|, |v[208:209]|
	s_and_saveexec_b32 s7, s1
	s_xor_b32 s1, exec_lo, s7
	s_cbranch_execz .LBB100_364
; %bb.363:
	v_div_scale_f64 v[221:222], null, v[208:209], v[208:209], v[206:207]
	v_div_scale_f64 v[227:228], vcc_lo, v[206:207], v[208:209], v[206:207]
	v_rcp_f64_e32 v[223:224], v[221:222]
	v_fma_f64 v[225:226], -v[221:222], v[223:224], 1.0
	v_fma_f64 v[223:224], v[223:224], v[225:226], v[223:224]
	v_fma_f64 v[225:226], -v[221:222], v[223:224], 1.0
	v_fma_f64 v[223:224], v[223:224], v[225:226], v[223:224]
	v_mul_f64 v[225:226], v[227:228], v[223:224]
	v_fma_f64 v[221:222], -v[221:222], v[225:226], v[227:228]
	v_div_fmas_f64 v[221:222], v[221:222], v[223:224], v[225:226]
	v_div_fixup_f64 v[221:222], v[221:222], v[208:209], v[206:207]
	v_fma_f64 v[206:207], v[206:207], v[221:222], v[208:209]
	v_div_scale_f64 v[208:209], null, v[206:207], v[206:207], 1.0
	v_rcp_f64_e32 v[223:224], v[208:209]
	v_fma_f64 v[225:226], -v[208:209], v[223:224], 1.0
	v_fma_f64 v[223:224], v[223:224], v[225:226], v[223:224]
	v_fma_f64 v[225:226], -v[208:209], v[223:224], 1.0
	v_fma_f64 v[223:224], v[223:224], v[225:226], v[223:224]
	v_div_scale_f64 v[225:226], vcc_lo, 1.0, v[206:207], 1.0
	v_mul_f64 v[227:228], v[225:226], v[223:224]
	v_fma_f64 v[208:209], -v[208:209], v[227:228], v[225:226]
	v_div_fmas_f64 v[208:209], v[208:209], v[223:224], v[227:228]
	v_div_fixup_f64 v[208:209], v[208:209], v[206:207], 1.0
	v_mul_f64 v[206:207], v[221:222], v[208:209]
	v_xor_b32_e32 v209, 0x80000000, v209
.LBB100_364:
	s_andn2_saveexec_b32 s1, s1
	s_cbranch_execz .LBB100_366
; %bb.365:
	v_div_scale_f64 v[221:222], null, v[206:207], v[206:207], v[208:209]
	v_div_scale_f64 v[227:228], vcc_lo, v[208:209], v[206:207], v[208:209]
	v_rcp_f64_e32 v[223:224], v[221:222]
	v_fma_f64 v[225:226], -v[221:222], v[223:224], 1.0
	v_fma_f64 v[223:224], v[223:224], v[225:226], v[223:224]
	v_fma_f64 v[225:226], -v[221:222], v[223:224], 1.0
	v_fma_f64 v[223:224], v[223:224], v[225:226], v[223:224]
	v_mul_f64 v[225:226], v[227:228], v[223:224]
	v_fma_f64 v[221:222], -v[221:222], v[225:226], v[227:228]
	v_div_fmas_f64 v[221:222], v[221:222], v[223:224], v[225:226]
	v_div_fixup_f64 v[221:222], v[221:222], v[206:207], v[208:209]
	v_fma_f64 v[206:207], v[208:209], v[221:222], v[206:207]
	v_div_scale_f64 v[208:209], null, v[206:207], v[206:207], 1.0
	v_rcp_f64_e32 v[223:224], v[208:209]
	v_fma_f64 v[225:226], -v[208:209], v[223:224], 1.0
	v_fma_f64 v[223:224], v[223:224], v[225:226], v[223:224]
	v_fma_f64 v[225:226], -v[208:209], v[223:224], 1.0
	v_fma_f64 v[223:224], v[223:224], v[225:226], v[223:224]
	v_div_scale_f64 v[225:226], vcc_lo, 1.0, v[206:207], 1.0
	v_mul_f64 v[227:228], v[225:226], v[223:224]
	v_fma_f64 v[208:209], -v[208:209], v[227:228], v[225:226]
	v_div_fmas_f64 v[208:209], v[208:209], v[223:224], v[227:228]
	v_div_fixup_f64 v[206:207], v[208:209], v[206:207], 1.0
	v_mul_f64 v[208:209], v[221:222], -v[206:207]
.LBB100_366:
	s_or_b32 exec_lo, exec_lo, s1
.LBB100_367:
	s_or_b32 exec_lo, exec_lo, s0
	s_mov_b32 s0, exec_lo
	v_cmpx_ne_u32_e64 v220, v214
	s_xor_b32 s0, exec_lo, s0
	s_cbranch_execz .LBB100_373
; %bb.368:
	s_mov_b32 s1, exec_lo
	v_cmpx_eq_u32_e32 17, v220
	s_cbranch_execz .LBB100_372
; %bb.369:
	v_cmp_ne_u32_e32 vcc_lo, 17, v214
	s_xor_b32 s7, s16, -1
	s_and_b32 s9, s7, vcc_lo
	s_and_saveexec_b32 s7, s9
	s_cbranch_execz .LBB100_371
; %bb.370:
	v_ashrrev_i32_e32 v215, 31, v214
	v_lshlrev_b64 v[220:221], 2, v[214:215]
	v_add_co_u32 v220, vcc_lo, v212, v220
	v_add_co_ci_u32_e64 v221, null, v213, v221, vcc_lo
	s_clause 0x1
	global_load_dword v0, v[220:221], off
	global_load_dword v215, v[212:213], off offset:68
	s_waitcnt vmcnt(1)
	global_store_dword v[212:213], v0, off offset:68
	s_waitcnt vmcnt(0)
	global_store_dword v[220:221], v215, off
.LBB100_371:
	s_or_b32 exec_lo, exec_lo, s7
	v_mov_b32_e32 v220, v214
	v_mov_b32_e32 v0, v214
.LBB100_372:
	s_or_b32 exec_lo, exec_lo, s1
.LBB100_373:
	s_andn2_saveexec_b32 s0, s0
	s_cbranch_execz .LBB100_375
; %bb.374:
	v_mov_b32_e32 v220, 17
	ds_write2_b64 v1, v[130:131], v[132:133] offset0:36 offset1:37
	ds_write2_b64 v1, v[126:127], v[128:129] offset0:38 offset1:39
	;; [unrolled: 1-line block ×33, first 2 shown]
.LBB100_375:
	s_or_b32 exec_lo, exec_lo, s0
	s_mov_b32 s0, exec_lo
	s_waitcnt lgkmcnt(0)
	s_waitcnt_vscnt null, 0x0
	s_barrier
	buffer_gl0_inv
	v_cmpx_lt_i32_e32 17, v220
	s_cbranch_execz .LBB100_377
; %bb.376:
	v_mul_f64 v[214:215], v[208:209], v[136:137]
	v_mul_f64 v[136:137], v[206:207], v[136:137]
	v_fma_f64 v[214:215], v[206:207], v[134:135], -v[214:215]
	v_fma_f64 v[136:137], v[208:209], v[134:135], v[136:137]
	ds_read2_b64 v[206:209], v1 offset0:36 offset1:37
	s_waitcnt lgkmcnt(0)
	v_mul_f64 v[134:135], v[208:209], v[136:137]
	v_fma_f64 v[134:135], v[206:207], v[214:215], -v[134:135]
	v_mul_f64 v[206:207], v[206:207], v[136:137]
	v_add_f64 v[130:131], v[130:131], -v[134:135]
	v_fma_f64 v[206:207], v[208:209], v[214:215], v[206:207]
	v_add_f64 v[132:133], v[132:133], -v[206:207]
	ds_read2_b64 v[206:209], v1 offset0:38 offset1:39
	s_waitcnt lgkmcnt(0)
	v_mul_f64 v[134:135], v[208:209], v[136:137]
	v_fma_f64 v[134:135], v[206:207], v[214:215], -v[134:135]
	v_mul_f64 v[206:207], v[206:207], v[136:137]
	v_add_f64 v[126:127], v[126:127], -v[134:135]
	v_fma_f64 v[206:207], v[208:209], v[214:215], v[206:207]
	v_add_f64 v[128:129], v[128:129], -v[206:207]
	;; [unrolled: 8-line block ×32, first 2 shown]
	ds_read2_b64 v[206:209], v1 offset0:100 offset1:101
	s_waitcnt lgkmcnt(0)
	v_mul_f64 v[134:135], v[208:209], v[136:137]
	v_fma_f64 v[134:135], v[206:207], v[214:215], -v[134:135]
	v_mul_f64 v[206:207], v[206:207], v[136:137]
	v_add_f64 v[2:3], v[2:3], -v[134:135]
	v_fma_f64 v[206:207], v[208:209], v[214:215], v[206:207]
	v_mov_b32_e32 v134, v214
	v_mov_b32_e32 v135, v215
	v_add_f64 v[4:5], v[4:5], -v[206:207]
.LBB100_377:
	s_or_b32 exec_lo, exec_lo, s0
	v_lshl_add_u32 v206, v220, 4, v1
	s_barrier
	buffer_gl0_inv
	v_mov_b32_e32 v214, 18
	ds_write2_b64 v206, v[130:131], v[132:133] offset1:1
	s_waitcnt lgkmcnt(0)
	s_barrier
	buffer_gl0_inv
	ds_read2_b64 v[206:209], v1 offset0:36 offset1:37
	s_cmp_lt_i32 s8, 20
	s_cbranch_scc1 .LBB100_380
; %bb.378:
	v_add3_u32 v215, v216, 0, 0x130
	v_mov_b32_e32 v214, 18
	s_mov_b32 s1, 19
	s_inst_prefetch 0x1
	.p2align	6
.LBB100_379:                            ; =>This Inner Loop Header: Depth=1
	s_waitcnt lgkmcnt(0)
	v_cmp_gt_f64_e32 vcc_lo, 0, v[208:209]
	v_cmp_gt_f64_e64 s0, 0, v[206:207]
	ds_read2_b64 v[221:224], v215 offset1:1
	v_xor_b32_e32 v226, 0x80000000, v207
	v_xor_b32_e32 v228, 0x80000000, v209
	v_mov_b32_e32 v225, v206
	v_mov_b32_e32 v227, v208
	v_add_nc_u32_e32 v215, 16, v215
	s_waitcnt lgkmcnt(0)
	v_xor_b32_e32 v230, 0x80000000, v224
	v_cndmask_b32_e64 v226, v207, v226, s0
	v_cndmask_b32_e32 v228, v209, v228, vcc_lo
	v_cmp_gt_f64_e32 vcc_lo, 0, v[223:224]
	v_cmp_gt_f64_e64 s0, 0, v[221:222]
	v_mov_b32_e32 v229, v223
	v_add_f64 v[225:226], v[225:226], v[227:228]
	v_xor_b32_e32 v228, 0x80000000, v222
	v_mov_b32_e32 v227, v221
	v_cndmask_b32_e32 v230, v224, v230, vcc_lo
	v_cndmask_b32_e64 v228, v222, v228, s0
	v_add_f64 v[227:228], v[227:228], v[229:230]
	v_cmp_lt_f64_e32 vcc_lo, v[225:226], v[227:228]
	v_cndmask_b32_e32 v207, v207, v222, vcc_lo
	v_cndmask_b32_e32 v206, v206, v221, vcc_lo
	v_cndmask_b32_e32 v209, v209, v224, vcc_lo
	v_cndmask_b32_e32 v208, v208, v223, vcc_lo
	v_cndmask_b32_e64 v214, v214, s1, vcc_lo
	s_add_i32 s1, s1, 1
	s_cmp_lg_u32 s8, s1
	s_cbranch_scc1 .LBB100_379
.LBB100_380:
	s_inst_prefetch 0x2
	s_waitcnt lgkmcnt(0)
	v_cmp_eq_f64_e32 vcc_lo, 0, v[206:207]
	v_cmp_eq_f64_e64 s0, 0, v[208:209]
	s_and_b32 s0, vcc_lo, s0
	s_and_saveexec_b32 s1, s0
	s_xor_b32 s0, exec_lo, s1
; %bb.381:
	v_cmp_ne_u32_e32 vcc_lo, 0, v219
	v_cndmask_b32_e32 v219, 19, v219, vcc_lo
; %bb.382:
	s_andn2_saveexec_b32 s0, s0
	s_cbranch_execz .LBB100_388
; %bb.383:
	v_cmp_ngt_f64_e64 s1, |v[206:207]|, |v[208:209]|
	s_and_saveexec_b32 s7, s1
	s_xor_b32 s1, exec_lo, s7
	s_cbranch_execz .LBB100_385
; %bb.384:
	v_div_scale_f64 v[221:222], null, v[208:209], v[208:209], v[206:207]
	v_div_scale_f64 v[227:228], vcc_lo, v[206:207], v[208:209], v[206:207]
	v_rcp_f64_e32 v[223:224], v[221:222]
	v_fma_f64 v[225:226], -v[221:222], v[223:224], 1.0
	v_fma_f64 v[223:224], v[223:224], v[225:226], v[223:224]
	v_fma_f64 v[225:226], -v[221:222], v[223:224], 1.0
	v_fma_f64 v[223:224], v[223:224], v[225:226], v[223:224]
	v_mul_f64 v[225:226], v[227:228], v[223:224]
	v_fma_f64 v[221:222], -v[221:222], v[225:226], v[227:228]
	v_div_fmas_f64 v[221:222], v[221:222], v[223:224], v[225:226]
	v_div_fixup_f64 v[221:222], v[221:222], v[208:209], v[206:207]
	v_fma_f64 v[206:207], v[206:207], v[221:222], v[208:209]
	v_div_scale_f64 v[208:209], null, v[206:207], v[206:207], 1.0
	v_rcp_f64_e32 v[223:224], v[208:209]
	v_fma_f64 v[225:226], -v[208:209], v[223:224], 1.0
	v_fma_f64 v[223:224], v[223:224], v[225:226], v[223:224]
	v_fma_f64 v[225:226], -v[208:209], v[223:224], 1.0
	v_fma_f64 v[223:224], v[223:224], v[225:226], v[223:224]
	v_div_scale_f64 v[225:226], vcc_lo, 1.0, v[206:207], 1.0
	v_mul_f64 v[227:228], v[225:226], v[223:224]
	v_fma_f64 v[208:209], -v[208:209], v[227:228], v[225:226]
	v_div_fmas_f64 v[208:209], v[208:209], v[223:224], v[227:228]
	v_div_fixup_f64 v[208:209], v[208:209], v[206:207], 1.0
	v_mul_f64 v[206:207], v[221:222], v[208:209]
	v_xor_b32_e32 v209, 0x80000000, v209
.LBB100_385:
	s_andn2_saveexec_b32 s1, s1
	s_cbranch_execz .LBB100_387
; %bb.386:
	v_div_scale_f64 v[221:222], null, v[206:207], v[206:207], v[208:209]
	v_div_scale_f64 v[227:228], vcc_lo, v[208:209], v[206:207], v[208:209]
	v_rcp_f64_e32 v[223:224], v[221:222]
	v_fma_f64 v[225:226], -v[221:222], v[223:224], 1.0
	v_fma_f64 v[223:224], v[223:224], v[225:226], v[223:224]
	v_fma_f64 v[225:226], -v[221:222], v[223:224], 1.0
	v_fma_f64 v[223:224], v[223:224], v[225:226], v[223:224]
	v_mul_f64 v[225:226], v[227:228], v[223:224]
	v_fma_f64 v[221:222], -v[221:222], v[225:226], v[227:228]
	v_div_fmas_f64 v[221:222], v[221:222], v[223:224], v[225:226]
	v_div_fixup_f64 v[221:222], v[221:222], v[206:207], v[208:209]
	v_fma_f64 v[206:207], v[208:209], v[221:222], v[206:207]
	v_div_scale_f64 v[208:209], null, v[206:207], v[206:207], 1.0
	v_rcp_f64_e32 v[223:224], v[208:209]
	v_fma_f64 v[225:226], -v[208:209], v[223:224], 1.0
	v_fma_f64 v[223:224], v[223:224], v[225:226], v[223:224]
	v_fma_f64 v[225:226], -v[208:209], v[223:224], 1.0
	v_fma_f64 v[223:224], v[223:224], v[225:226], v[223:224]
	v_div_scale_f64 v[225:226], vcc_lo, 1.0, v[206:207], 1.0
	v_mul_f64 v[227:228], v[225:226], v[223:224]
	v_fma_f64 v[208:209], -v[208:209], v[227:228], v[225:226]
	v_div_fmas_f64 v[208:209], v[208:209], v[223:224], v[227:228]
	v_div_fixup_f64 v[206:207], v[208:209], v[206:207], 1.0
	v_mul_f64 v[208:209], v[221:222], -v[206:207]
.LBB100_387:
	s_or_b32 exec_lo, exec_lo, s1
.LBB100_388:
	s_or_b32 exec_lo, exec_lo, s0
	s_mov_b32 s0, exec_lo
	v_cmpx_ne_u32_e64 v220, v214
	s_xor_b32 s0, exec_lo, s0
	s_cbranch_execz .LBB100_394
; %bb.389:
	s_mov_b32 s1, exec_lo
	v_cmpx_eq_u32_e32 18, v220
	s_cbranch_execz .LBB100_393
; %bb.390:
	v_cmp_ne_u32_e32 vcc_lo, 18, v214
	s_xor_b32 s7, s16, -1
	s_and_b32 s9, s7, vcc_lo
	s_and_saveexec_b32 s7, s9
	s_cbranch_execz .LBB100_392
; %bb.391:
	v_ashrrev_i32_e32 v215, 31, v214
	v_lshlrev_b64 v[220:221], 2, v[214:215]
	v_add_co_u32 v220, vcc_lo, v212, v220
	v_add_co_ci_u32_e64 v221, null, v213, v221, vcc_lo
	s_clause 0x1
	global_load_dword v0, v[220:221], off
	global_load_dword v215, v[212:213], off offset:72
	s_waitcnt vmcnt(1)
	global_store_dword v[212:213], v0, off offset:72
	s_waitcnt vmcnt(0)
	global_store_dword v[220:221], v215, off
.LBB100_392:
	s_or_b32 exec_lo, exec_lo, s7
	v_mov_b32_e32 v220, v214
	v_mov_b32_e32 v0, v214
.LBB100_393:
	s_or_b32 exec_lo, exec_lo, s1
.LBB100_394:
	s_andn2_saveexec_b32 s0, s0
	s_cbranch_execz .LBB100_396
; %bb.395:
	v_mov_b32_e32 v220, 18
	ds_write2_b64 v1, v[126:127], v[128:129] offset0:38 offset1:39
	ds_write2_b64 v1, v[122:123], v[124:125] offset0:40 offset1:41
	;; [unrolled: 1-line block ×32, first 2 shown]
.LBB100_396:
	s_or_b32 exec_lo, exec_lo, s0
	s_mov_b32 s0, exec_lo
	s_waitcnt lgkmcnt(0)
	s_waitcnt_vscnt null, 0x0
	s_barrier
	buffer_gl0_inv
	v_cmpx_lt_i32_e32 18, v220
	s_cbranch_execz .LBB100_398
; %bb.397:
	v_mul_f64 v[214:215], v[208:209], v[132:133]
	v_mul_f64 v[132:133], v[206:207], v[132:133]
	v_fma_f64 v[214:215], v[206:207], v[130:131], -v[214:215]
	v_fma_f64 v[132:133], v[208:209], v[130:131], v[132:133]
	ds_read2_b64 v[206:209], v1 offset0:38 offset1:39
	s_waitcnt lgkmcnt(0)
	v_mul_f64 v[130:131], v[208:209], v[132:133]
	v_fma_f64 v[130:131], v[206:207], v[214:215], -v[130:131]
	v_mul_f64 v[206:207], v[206:207], v[132:133]
	v_add_f64 v[126:127], v[126:127], -v[130:131]
	v_fma_f64 v[206:207], v[208:209], v[214:215], v[206:207]
	v_add_f64 v[128:129], v[128:129], -v[206:207]
	ds_read2_b64 v[206:209], v1 offset0:40 offset1:41
	s_waitcnt lgkmcnt(0)
	v_mul_f64 v[130:131], v[208:209], v[132:133]
	v_fma_f64 v[130:131], v[206:207], v[214:215], -v[130:131]
	v_mul_f64 v[206:207], v[206:207], v[132:133]
	v_add_f64 v[122:123], v[122:123], -v[130:131]
	v_fma_f64 v[206:207], v[208:209], v[214:215], v[206:207]
	v_add_f64 v[124:125], v[124:125], -v[206:207]
	;; [unrolled: 8-line block ×31, first 2 shown]
	ds_read2_b64 v[206:209], v1 offset0:100 offset1:101
	s_waitcnt lgkmcnt(0)
	v_mul_f64 v[130:131], v[208:209], v[132:133]
	v_fma_f64 v[130:131], v[206:207], v[214:215], -v[130:131]
	v_mul_f64 v[206:207], v[206:207], v[132:133]
	v_add_f64 v[2:3], v[2:3], -v[130:131]
	v_fma_f64 v[206:207], v[208:209], v[214:215], v[206:207]
	v_mov_b32_e32 v130, v214
	v_mov_b32_e32 v131, v215
	v_add_f64 v[4:5], v[4:5], -v[206:207]
.LBB100_398:
	s_or_b32 exec_lo, exec_lo, s0
	v_lshl_add_u32 v206, v220, 4, v1
	s_barrier
	buffer_gl0_inv
	v_mov_b32_e32 v214, 19
	ds_write2_b64 v206, v[126:127], v[128:129] offset1:1
	s_waitcnt lgkmcnt(0)
	s_barrier
	buffer_gl0_inv
	ds_read2_b64 v[206:209], v1 offset0:38 offset1:39
	s_cmp_lt_i32 s8, 21
	s_cbranch_scc1 .LBB100_401
; %bb.399:
	v_add3_u32 v215, v216, 0, 0x140
	v_mov_b32_e32 v214, 19
	s_mov_b32 s1, 20
	s_inst_prefetch 0x1
	.p2align	6
.LBB100_400:                            ; =>This Inner Loop Header: Depth=1
	s_waitcnt lgkmcnt(0)
	v_cmp_gt_f64_e32 vcc_lo, 0, v[208:209]
	v_cmp_gt_f64_e64 s0, 0, v[206:207]
	ds_read2_b64 v[221:224], v215 offset1:1
	v_xor_b32_e32 v226, 0x80000000, v207
	v_xor_b32_e32 v228, 0x80000000, v209
	v_mov_b32_e32 v225, v206
	v_mov_b32_e32 v227, v208
	v_add_nc_u32_e32 v215, 16, v215
	s_waitcnt lgkmcnt(0)
	v_xor_b32_e32 v230, 0x80000000, v224
	v_cndmask_b32_e64 v226, v207, v226, s0
	v_cndmask_b32_e32 v228, v209, v228, vcc_lo
	v_cmp_gt_f64_e32 vcc_lo, 0, v[223:224]
	v_cmp_gt_f64_e64 s0, 0, v[221:222]
	v_mov_b32_e32 v229, v223
	v_add_f64 v[225:226], v[225:226], v[227:228]
	v_xor_b32_e32 v228, 0x80000000, v222
	v_mov_b32_e32 v227, v221
	v_cndmask_b32_e32 v230, v224, v230, vcc_lo
	v_cndmask_b32_e64 v228, v222, v228, s0
	v_add_f64 v[227:228], v[227:228], v[229:230]
	v_cmp_lt_f64_e32 vcc_lo, v[225:226], v[227:228]
	v_cndmask_b32_e32 v207, v207, v222, vcc_lo
	v_cndmask_b32_e32 v206, v206, v221, vcc_lo
	;; [unrolled: 1-line block ×4, first 2 shown]
	v_cndmask_b32_e64 v214, v214, s1, vcc_lo
	s_add_i32 s1, s1, 1
	s_cmp_lg_u32 s8, s1
	s_cbranch_scc1 .LBB100_400
.LBB100_401:
	s_inst_prefetch 0x2
	s_waitcnt lgkmcnt(0)
	v_cmp_eq_f64_e32 vcc_lo, 0, v[206:207]
	v_cmp_eq_f64_e64 s0, 0, v[208:209]
	s_and_b32 s0, vcc_lo, s0
	s_and_saveexec_b32 s1, s0
	s_xor_b32 s0, exec_lo, s1
; %bb.402:
	v_cmp_ne_u32_e32 vcc_lo, 0, v219
	v_cndmask_b32_e32 v219, 20, v219, vcc_lo
; %bb.403:
	s_andn2_saveexec_b32 s0, s0
	s_cbranch_execz .LBB100_409
; %bb.404:
	v_cmp_ngt_f64_e64 s1, |v[206:207]|, |v[208:209]|
	s_and_saveexec_b32 s7, s1
	s_xor_b32 s1, exec_lo, s7
	s_cbranch_execz .LBB100_406
; %bb.405:
	v_div_scale_f64 v[221:222], null, v[208:209], v[208:209], v[206:207]
	v_div_scale_f64 v[227:228], vcc_lo, v[206:207], v[208:209], v[206:207]
	v_rcp_f64_e32 v[223:224], v[221:222]
	v_fma_f64 v[225:226], -v[221:222], v[223:224], 1.0
	v_fma_f64 v[223:224], v[223:224], v[225:226], v[223:224]
	v_fma_f64 v[225:226], -v[221:222], v[223:224], 1.0
	v_fma_f64 v[223:224], v[223:224], v[225:226], v[223:224]
	v_mul_f64 v[225:226], v[227:228], v[223:224]
	v_fma_f64 v[221:222], -v[221:222], v[225:226], v[227:228]
	v_div_fmas_f64 v[221:222], v[221:222], v[223:224], v[225:226]
	v_div_fixup_f64 v[221:222], v[221:222], v[208:209], v[206:207]
	v_fma_f64 v[206:207], v[206:207], v[221:222], v[208:209]
	v_div_scale_f64 v[208:209], null, v[206:207], v[206:207], 1.0
	v_rcp_f64_e32 v[223:224], v[208:209]
	v_fma_f64 v[225:226], -v[208:209], v[223:224], 1.0
	v_fma_f64 v[223:224], v[223:224], v[225:226], v[223:224]
	v_fma_f64 v[225:226], -v[208:209], v[223:224], 1.0
	v_fma_f64 v[223:224], v[223:224], v[225:226], v[223:224]
	v_div_scale_f64 v[225:226], vcc_lo, 1.0, v[206:207], 1.0
	v_mul_f64 v[227:228], v[225:226], v[223:224]
	v_fma_f64 v[208:209], -v[208:209], v[227:228], v[225:226]
	v_div_fmas_f64 v[208:209], v[208:209], v[223:224], v[227:228]
	v_div_fixup_f64 v[208:209], v[208:209], v[206:207], 1.0
	v_mul_f64 v[206:207], v[221:222], v[208:209]
	v_xor_b32_e32 v209, 0x80000000, v209
.LBB100_406:
	s_andn2_saveexec_b32 s1, s1
	s_cbranch_execz .LBB100_408
; %bb.407:
	v_div_scale_f64 v[221:222], null, v[206:207], v[206:207], v[208:209]
	v_div_scale_f64 v[227:228], vcc_lo, v[208:209], v[206:207], v[208:209]
	v_rcp_f64_e32 v[223:224], v[221:222]
	v_fma_f64 v[225:226], -v[221:222], v[223:224], 1.0
	v_fma_f64 v[223:224], v[223:224], v[225:226], v[223:224]
	v_fma_f64 v[225:226], -v[221:222], v[223:224], 1.0
	v_fma_f64 v[223:224], v[223:224], v[225:226], v[223:224]
	v_mul_f64 v[225:226], v[227:228], v[223:224]
	v_fma_f64 v[221:222], -v[221:222], v[225:226], v[227:228]
	v_div_fmas_f64 v[221:222], v[221:222], v[223:224], v[225:226]
	v_div_fixup_f64 v[221:222], v[221:222], v[206:207], v[208:209]
	v_fma_f64 v[206:207], v[208:209], v[221:222], v[206:207]
	v_div_scale_f64 v[208:209], null, v[206:207], v[206:207], 1.0
	v_rcp_f64_e32 v[223:224], v[208:209]
	v_fma_f64 v[225:226], -v[208:209], v[223:224], 1.0
	v_fma_f64 v[223:224], v[223:224], v[225:226], v[223:224]
	v_fma_f64 v[225:226], -v[208:209], v[223:224], 1.0
	v_fma_f64 v[223:224], v[223:224], v[225:226], v[223:224]
	v_div_scale_f64 v[225:226], vcc_lo, 1.0, v[206:207], 1.0
	v_mul_f64 v[227:228], v[225:226], v[223:224]
	v_fma_f64 v[208:209], -v[208:209], v[227:228], v[225:226]
	v_div_fmas_f64 v[208:209], v[208:209], v[223:224], v[227:228]
	v_div_fixup_f64 v[206:207], v[208:209], v[206:207], 1.0
	v_mul_f64 v[208:209], v[221:222], -v[206:207]
.LBB100_408:
	s_or_b32 exec_lo, exec_lo, s1
.LBB100_409:
	s_or_b32 exec_lo, exec_lo, s0
	s_mov_b32 s0, exec_lo
	v_cmpx_ne_u32_e64 v220, v214
	s_xor_b32 s0, exec_lo, s0
	s_cbranch_execz .LBB100_415
; %bb.410:
	s_mov_b32 s1, exec_lo
	v_cmpx_eq_u32_e32 19, v220
	s_cbranch_execz .LBB100_414
; %bb.411:
	v_cmp_ne_u32_e32 vcc_lo, 19, v214
	s_xor_b32 s7, s16, -1
	s_and_b32 s9, s7, vcc_lo
	s_and_saveexec_b32 s7, s9
	s_cbranch_execz .LBB100_413
; %bb.412:
	v_ashrrev_i32_e32 v215, 31, v214
	v_lshlrev_b64 v[220:221], 2, v[214:215]
	v_add_co_u32 v220, vcc_lo, v212, v220
	v_add_co_ci_u32_e64 v221, null, v213, v221, vcc_lo
	s_clause 0x1
	global_load_dword v0, v[220:221], off
	global_load_dword v215, v[212:213], off offset:76
	s_waitcnt vmcnt(1)
	global_store_dword v[212:213], v0, off offset:76
	s_waitcnt vmcnt(0)
	global_store_dword v[220:221], v215, off
.LBB100_413:
	s_or_b32 exec_lo, exec_lo, s7
	v_mov_b32_e32 v220, v214
	v_mov_b32_e32 v0, v214
.LBB100_414:
	s_or_b32 exec_lo, exec_lo, s1
.LBB100_415:
	s_andn2_saveexec_b32 s0, s0
	s_cbranch_execz .LBB100_417
; %bb.416:
	v_mov_b32_e32 v220, 19
	ds_write2_b64 v1, v[122:123], v[124:125] offset0:40 offset1:41
	ds_write2_b64 v1, v[118:119], v[120:121] offset0:42 offset1:43
	;; [unrolled: 1-line block ×31, first 2 shown]
.LBB100_417:
	s_or_b32 exec_lo, exec_lo, s0
	s_mov_b32 s0, exec_lo
	s_waitcnt lgkmcnt(0)
	s_waitcnt_vscnt null, 0x0
	s_barrier
	buffer_gl0_inv
	v_cmpx_lt_i32_e32 19, v220
	s_cbranch_execz .LBB100_419
; %bb.418:
	v_mul_f64 v[214:215], v[208:209], v[128:129]
	v_mul_f64 v[128:129], v[206:207], v[128:129]
	v_fma_f64 v[214:215], v[206:207], v[126:127], -v[214:215]
	v_fma_f64 v[128:129], v[208:209], v[126:127], v[128:129]
	ds_read2_b64 v[206:209], v1 offset0:40 offset1:41
	s_waitcnt lgkmcnt(0)
	v_mul_f64 v[126:127], v[208:209], v[128:129]
	v_fma_f64 v[126:127], v[206:207], v[214:215], -v[126:127]
	v_mul_f64 v[206:207], v[206:207], v[128:129]
	v_add_f64 v[122:123], v[122:123], -v[126:127]
	v_fma_f64 v[206:207], v[208:209], v[214:215], v[206:207]
	v_add_f64 v[124:125], v[124:125], -v[206:207]
	ds_read2_b64 v[206:209], v1 offset0:42 offset1:43
	s_waitcnt lgkmcnt(0)
	v_mul_f64 v[126:127], v[208:209], v[128:129]
	v_fma_f64 v[126:127], v[206:207], v[214:215], -v[126:127]
	v_mul_f64 v[206:207], v[206:207], v[128:129]
	v_add_f64 v[118:119], v[118:119], -v[126:127]
	v_fma_f64 v[206:207], v[208:209], v[214:215], v[206:207]
	v_add_f64 v[120:121], v[120:121], -v[206:207]
	;; [unrolled: 8-line block ×30, first 2 shown]
	ds_read2_b64 v[206:209], v1 offset0:100 offset1:101
	s_waitcnt lgkmcnt(0)
	v_mul_f64 v[126:127], v[208:209], v[128:129]
	v_fma_f64 v[126:127], v[206:207], v[214:215], -v[126:127]
	v_mul_f64 v[206:207], v[206:207], v[128:129]
	v_add_f64 v[2:3], v[2:3], -v[126:127]
	v_fma_f64 v[206:207], v[208:209], v[214:215], v[206:207]
	v_mov_b32_e32 v126, v214
	v_mov_b32_e32 v127, v215
	v_add_f64 v[4:5], v[4:5], -v[206:207]
.LBB100_419:
	s_or_b32 exec_lo, exec_lo, s0
	v_lshl_add_u32 v206, v220, 4, v1
	s_barrier
	buffer_gl0_inv
	v_mov_b32_e32 v214, 20
	ds_write2_b64 v206, v[122:123], v[124:125] offset1:1
	s_waitcnt lgkmcnt(0)
	s_barrier
	buffer_gl0_inv
	ds_read2_b64 v[206:209], v1 offset0:40 offset1:41
	s_cmp_lt_i32 s8, 22
	s_cbranch_scc1 .LBB100_422
; %bb.420:
	v_add3_u32 v215, v216, 0, 0x150
	v_mov_b32_e32 v214, 20
	s_mov_b32 s1, 21
	s_inst_prefetch 0x1
	.p2align	6
.LBB100_421:                            ; =>This Inner Loop Header: Depth=1
	s_waitcnt lgkmcnt(0)
	v_cmp_gt_f64_e32 vcc_lo, 0, v[208:209]
	v_cmp_gt_f64_e64 s0, 0, v[206:207]
	ds_read2_b64 v[221:224], v215 offset1:1
	v_xor_b32_e32 v226, 0x80000000, v207
	v_xor_b32_e32 v228, 0x80000000, v209
	v_mov_b32_e32 v225, v206
	v_mov_b32_e32 v227, v208
	v_add_nc_u32_e32 v215, 16, v215
	s_waitcnt lgkmcnt(0)
	v_xor_b32_e32 v230, 0x80000000, v224
	v_cndmask_b32_e64 v226, v207, v226, s0
	v_cndmask_b32_e32 v228, v209, v228, vcc_lo
	v_cmp_gt_f64_e32 vcc_lo, 0, v[223:224]
	v_cmp_gt_f64_e64 s0, 0, v[221:222]
	v_mov_b32_e32 v229, v223
	v_add_f64 v[225:226], v[225:226], v[227:228]
	v_xor_b32_e32 v228, 0x80000000, v222
	v_mov_b32_e32 v227, v221
	v_cndmask_b32_e32 v230, v224, v230, vcc_lo
	v_cndmask_b32_e64 v228, v222, v228, s0
	v_add_f64 v[227:228], v[227:228], v[229:230]
	v_cmp_lt_f64_e32 vcc_lo, v[225:226], v[227:228]
	v_cndmask_b32_e32 v207, v207, v222, vcc_lo
	v_cndmask_b32_e32 v206, v206, v221, vcc_lo
	;; [unrolled: 1-line block ×4, first 2 shown]
	v_cndmask_b32_e64 v214, v214, s1, vcc_lo
	s_add_i32 s1, s1, 1
	s_cmp_lg_u32 s8, s1
	s_cbranch_scc1 .LBB100_421
.LBB100_422:
	s_inst_prefetch 0x2
	s_waitcnt lgkmcnt(0)
	v_cmp_eq_f64_e32 vcc_lo, 0, v[206:207]
	v_cmp_eq_f64_e64 s0, 0, v[208:209]
	s_and_b32 s0, vcc_lo, s0
	s_and_saveexec_b32 s1, s0
	s_xor_b32 s0, exec_lo, s1
; %bb.423:
	v_cmp_ne_u32_e32 vcc_lo, 0, v219
	v_cndmask_b32_e32 v219, 21, v219, vcc_lo
; %bb.424:
	s_andn2_saveexec_b32 s0, s0
	s_cbranch_execz .LBB100_430
; %bb.425:
	v_cmp_ngt_f64_e64 s1, |v[206:207]|, |v[208:209]|
	s_and_saveexec_b32 s7, s1
	s_xor_b32 s1, exec_lo, s7
	s_cbranch_execz .LBB100_427
; %bb.426:
	v_div_scale_f64 v[221:222], null, v[208:209], v[208:209], v[206:207]
	v_div_scale_f64 v[227:228], vcc_lo, v[206:207], v[208:209], v[206:207]
	v_rcp_f64_e32 v[223:224], v[221:222]
	v_fma_f64 v[225:226], -v[221:222], v[223:224], 1.0
	v_fma_f64 v[223:224], v[223:224], v[225:226], v[223:224]
	v_fma_f64 v[225:226], -v[221:222], v[223:224], 1.0
	v_fma_f64 v[223:224], v[223:224], v[225:226], v[223:224]
	v_mul_f64 v[225:226], v[227:228], v[223:224]
	v_fma_f64 v[221:222], -v[221:222], v[225:226], v[227:228]
	v_div_fmas_f64 v[221:222], v[221:222], v[223:224], v[225:226]
	v_div_fixup_f64 v[221:222], v[221:222], v[208:209], v[206:207]
	v_fma_f64 v[206:207], v[206:207], v[221:222], v[208:209]
	v_div_scale_f64 v[208:209], null, v[206:207], v[206:207], 1.0
	v_rcp_f64_e32 v[223:224], v[208:209]
	v_fma_f64 v[225:226], -v[208:209], v[223:224], 1.0
	v_fma_f64 v[223:224], v[223:224], v[225:226], v[223:224]
	v_fma_f64 v[225:226], -v[208:209], v[223:224], 1.0
	v_fma_f64 v[223:224], v[223:224], v[225:226], v[223:224]
	v_div_scale_f64 v[225:226], vcc_lo, 1.0, v[206:207], 1.0
	v_mul_f64 v[227:228], v[225:226], v[223:224]
	v_fma_f64 v[208:209], -v[208:209], v[227:228], v[225:226]
	v_div_fmas_f64 v[208:209], v[208:209], v[223:224], v[227:228]
	v_div_fixup_f64 v[208:209], v[208:209], v[206:207], 1.0
	v_mul_f64 v[206:207], v[221:222], v[208:209]
	v_xor_b32_e32 v209, 0x80000000, v209
.LBB100_427:
	s_andn2_saveexec_b32 s1, s1
	s_cbranch_execz .LBB100_429
; %bb.428:
	v_div_scale_f64 v[221:222], null, v[206:207], v[206:207], v[208:209]
	v_div_scale_f64 v[227:228], vcc_lo, v[208:209], v[206:207], v[208:209]
	v_rcp_f64_e32 v[223:224], v[221:222]
	v_fma_f64 v[225:226], -v[221:222], v[223:224], 1.0
	v_fma_f64 v[223:224], v[223:224], v[225:226], v[223:224]
	v_fma_f64 v[225:226], -v[221:222], v[223:224], 1.0
	v_fma_f64 v[223:224], v[223:224], v[225:226], v[223:224]
	v_mul_f64 v[225:226], v[227:228], v[223:224]
	v_fma_f64 v[221:222], -v[221:222], v[225:226], v[227:228]
	v_div_fmas_f64 v[221:222], v[221:222], v[223:224], v[225:226]
	v_div_fixup_f64 v[221:222], v[221:222], v[206:207], v[208:209]
	v_fma_f64 v[206:207], v[208:209], v[221:222], v[206:207]
	v_div_scale_f64 v[208:209], null, v[206:207], v[206:207], 1.0
	v_rcp_f64_e32 v[223:224], v[208:209]
	v_fma_f64 v[225:226], -v[208:209], v[223:224], 1.0
	v_fma_f64 v[223:224], v[223:224], v[225:226], v[223:224]
	v_fma_f64 v[225:226], -v[208:209], v[223:224], 1.0
	v_fma_f64 v[223:224], v[223:224], v[225:226], v[223:224]
	v_div_scale_f64 v[225:226], vcc_lo, 1.0, v[206:207], 1.0
	v_mul_f64 v[227:228], v[225:226], v[223:224]
	v_fma_f64 v[208:209], -v[208:209], v[227:228], v[225:226]
	v_div_fmas_f64 v[208:209], v[208:209], v[223:224], v[227:228]
	v_div_fixup_f64 v[206:207], v[208:209], v[206:207], 1.0
	v_mul_f64 v[208:209], v[221:222], -v[206:207]
.LBB100_429:
	s_or_b32 exec_lo, exec_lo, s1
.LBB100_430:
	s_or_b32 exec_lo, exec_lo, s0
	s_mov_b32 s0, exec_lo
	v_cmpx_ne_u32_e64 v220, v214
	s_xor_b32 s0, exec_lo, s0
	s_cbranch_execz .LBB100_436
; %bb.431:
	s_mov_b32 s1, exec_lo
	v_cmpx_eq_u32_e32 20, v220
	s_cbranch_execz .LBB100_435
; %bb.432:
	v_cmp_ne_u32_e32 vcc_lo, 20, v214
	s_xor_b32 s7, s16, -1
	s_and_b32 s9, s7, vcc_lo
	s_and_saveexec_b32 s7, s9
	s_cbranch_execz .LBB100_434
; %bb.433:
	v_ashrrev_i32_e32 v215, 31, v214
	v_lshlrev_b64 v[220:221], 2, v[214:215]
	v_add_co_u32 v220, vcc_lo, v212, v220
	v_add_co_ci_u32_e64 v221, null, v213, v221, vcc_lo
	s_clause 0x1
	global_load_dword v0, v[220:221], off
	global_load_dword v215, v[212:213], off offset:80
	s_waitcnt vmcnt(1)
	global_store_dword v[212:213], v0, off offset:80
	s_waitcnt vmcnt(0)
	global_store_dword v[220:221], v215, off
.LBB100_434:
	s_or_b32 exec_lo, exec_lo, s7
	v_mov_b32_e32 v220, v214
	v_mov_b32_e32 v0, v214
.LBB100_435:
	s_or_b32 exec_lo, exec_lo, s1
.LBB100_436:
	s_andn2_saveexec_b32 s0, s0
	s_cbranch_execz .LBB100_438
; %bb.437:
	v_mov_b32_e32 v220, 20
	ds_write2_b64 v1, v[118:119], v[120:121] offset0:42 offset1:43
	ds_write2_b64 v1, v[114:115], v[116:117] offset0:44 offset1:45
	;; [unrolled: 1-line block ×30, first 2 shown]
.LBB100_438:
	s_or_b32 exec_lo, exec_lo, s0
	s_mov_b32 s0, exec_lo
	s_waitcnt lgkmcnt(0)
	s_waitcnt_vscnt null, 0x0
	s_barrier
	buffer_gl0_inv
	v_cmpx_lt_i32_e32 20, v220
	s_cbranch_execz .LBB100_440
; %bb.439:
	v_mul_f64 v[214:215], v[208:209], v[124:125]
	v_mul_f64 v[124:125], v[206:207], v[124:125]
	v_fma_f64 v[214:215], v[206:207], v[122:123], -v[214:215]
	v_fma_f64 v[124:125], v[208:209], v[122:123], v[124:125]
	ds_read2_b64 v[206:209], v1 offset0:42 offset1:43
	s_waitcnt lgkmcnt(0)
	v_mul_f64 v[122:123], v[208:209], v[124:125]
	v_fma_f64 v[122:123], v[206:207], v[214:215], -v[122:123]
	v_mul_f64 v[206:207], v[206:207], v[124:125]
	v_add_f64 v[118:119], v[118:119], -v[122:123]
	v_fma_f64 v[206:207], v[208:209], v[214:215], v[206:207]
	v_add_f64 v[120:121], v[120:121], -v[206:207]
	ds_read2_b64 v[206:209], v1 offset0:44 offset1:45
	s_waitcnt lgkmcnt(0)
	v_mul_f64 v[122:123], v[208:209], v[124:125]
	v_fma_f64 v[122:123], v[206:207], v[214:215], -v[122:123]
	v_mul_f64 v[206:207], v[206:207], v[124:125]
	v_add_f64 v[114:115], v[114:115], -v[122:123]
	v_fma_f64 v[206:207], v[208:209], v[214:215], v[206:207]
	v_add_f64 v[116:117], v[116:117], -v[206:207]
	;; [unrolled: 8-line block ×29, first 2 shown]
	ds_read2_b64 v[206:209], v1 offset0:100 offset1:101
	s_waitcnt lgkmcnt(0)
	v_mul_f64 v[122:123], v[208:209], v[124:125]
	v_fma_f64 v[122:123], v[206:207], v[214:215], -v[122:123]
	v_mul_f64 v[206:207], v[206:207], v[124:125]
	v_add_f64 v[2:3], v[2:3], -v[122:123]
	v_fma_f64 v[206:207], v[208:209], v[214:215], v[206:207]
	v_mov_b32_e32 v122, v214
	v_mov_b32_e32 v123, v215
	v_add_f64 v[4:5], v[4:5], -v[206:207]
.LBB100_440:
	s_or_b32 exec_lo, exec_lo, s0
	v_lshl_add_u32 v206, v220, 4, v1
	s_barrier
	buffer_gl0_inv
	v_mov_b32_e32 v214, 21
	ds_write2_b64 v206, v[118:119], v[120:121] offset1:1
	s_waitcnt lgkmcnt(0)
	s_barrier
	buffer_gl0_inv
	ds_read2_b64 v[206:209], v1 offset0:42 offset1:43
	s_cmp_lt_i32 s8, 23
	s_cbranch_scc1 .LBB100_443
; %bb.441:
	v_add3_u32 v215, v216, 0, 0x160
	v_mov_b32_e32 v214, 21
	s_mov_b32 s1, 22
	s_inst_prefetch 0x1
	.p2align	6
.LBB100_442:                            ; =>This Inner Loop Header: Depth=1
	s_waitcnt lgkmcnt(0)
	v_cmp_gt_f64_e32 vcc_lo, 0, v[208:209]
	v_cmp_gt_f64_e64 s0, 0, v[206:207]
	ds_read2_b64 v[221:224], v215 offset1:1
	v_xor_b32_e32 v226, 0x80000000, v207
	v_xor_b32_e32 v228, 0x80000000, v209
	v_mov_b32_e32 v225, v206
	v_mov_b32_e32 v227, v208
	v_add_nc_u32_e32 v215, 16, v215
	s_waitcnt lgkmcnt(0)
	v_xor_b32_e32 v230, 0x80000000, v224
	v_cndmask_b32_e64 v226, v207, v226, s0
	v_cndmask_b32_e32 v228, v209, v228, vcc_lo
	v_cmp_gt_f64_e32 vcc_lo, 0, v[223:224]
	v_cmp_gt_f64_e64 s0, 0, v[221:222]
	v_mov_b32_e32 v229, v223
	v_add_f64 v[225:226], v[225:226], v[227:228]
	v_xor_b32_e32 v228, 0x80000000, v222
	v_mov_b32_e32 v227, v221
	v_cndmask_b32_e32 v230, v224, v230, vcc_lo
	v_cndmask_b32_e64 v228, v222, v228, s0
	v_add_f64 v[227:228], v[227:228], v[229:230]
	v_cmp_lt_f64_e32 vcc_lo, v[225:226], v[227:228]
	v_cndmask_b32_e32 v207, v207, v222, vcc_lo
	v_cndmask_b32_e32 v206, v206, v221, vcc_lo
	;; [unrolled: 1-line block ×4, first 2 shown]
	v_cndmask_b32_e64 v214, v214, s1, vcc_lo
	s_add_i32 s1, s1, 1
	s_cmp_lg_u32 s8, s1
	s_cbranch_scc1 .LBB100_442
.LBB100_443:
	s_inst_prefetch 0x2
	s_waitcnt lgkmcnt(0)
	v_cmp_eq_f64_e32 vcc_lo, 0, v[206:207]
	v_cmp_eq_f64_e64 s0, 0, v[208:209]
	s_and_b32 s0, vcc_lo, s0
	s_and_saveexec_b32 s1, s0
	s_xor_b32 s0, exec_lo, s1
; %bb.444:
	v_cmp_ne_u32_e32 vcc_lo, 0, v219
	v_cndmask_b32_e32 v219, 22, v219, vcc_lo
; %bb.445:
	s_andn2_saveexec_b32 s0, s0
	s_cbranch_execz .LBB100_451
; %bb.446:
	v_cmp_ngt_f64_e64 s1, |v[206:207]|, |v[208:209]|
	s_and_saveexec_b32 s7, s1
	s_xor_b32 s1, exec_lo, s7
	s_cbranch_execz .LBB100_448
; %bb.447:
	v_div_scale_f64 v[221:222], null, v[208:209], v[208:209], v[206:207]
	v_div_scale_f64 v[227:228], vcc_lo, v[206:207], v[208:209], v[206:207]
	v_rcp_f64_e32 v[223:224], v[221:222]
	v_fma_f64 v[225:226], -v[221:222], v[223:224], 1.0
	v_fma_f64 v[223:224], v[223:224], v[225:226], v[223:224]
	v_fma_f64 v[225:226], -v[221:222], v[223:224], 1.0
	v_fma_f64 v[223:224], v[223:224], v[225:226], v[223:224]
	v_mul_f64 v[225:226], v[227:228], v[223:224]
	v_fma_f64 v[221:222], -v[221:222], v[225:226], v[227:228]
	v_div_fmas_f64 v[221:222], v[221:222], v[223:224], v[225:226]
	v_div_fixup_f64 v[221:222], v[221:222], v[208:209], v[206:207]
	v_fma_f64 v[206:207], v[206:207], v[221:222], v[208:209]
	v_div_scale_f64 v[208:209], null, v[206:207], v[206:207], 1.0
	v_rcp_f64_e32 v[223:224], v[208:209]
	v_fma_f64 v[225:226], -v[208:209], v[223:224], 1.0
	v_fma_f64 v[223:224], v[223:224], v[225:226], v[223:224]
	v_fma_f64 v[225:226], -v[208:209], v[223:224], 1.0
	v_fma_f64 v[223:224], v[223:224], v[225:226], v[223:224]
	v_div_scale_f64 v[225:226], vcc_lo, 1.0, v[206:207], 1.0
	v_mul_f64 v[227:228], v[225:226], v[223:224]
	v_fma_f64 v[208:209], -v[208:209], v[227:228], v[225:226]
	v_div_fmas_f64 v[208:209], v[208:209], v[223:224], v[227:228]
	v_div_fixup_f64 v[208:209], v[208:209], v[206:207], 1.0
	v_mul_f64 v[206:207], v[221:222], v[208:209]
	v_xor_b32_e32 v209, 0x80000000, v209
.LBB100_448:
	s_andn2_saveexec_b32 s1, s1
	s_cbranch_execz .LBB100_450
; %bb.449:
	v_div_scale_f64 v[221:222], null, v[206:207], v[206:207], v[208:209]
	v_div_scale_f64 v[227:228], vcc_lo, v[208:209], v[206:207], v[208:209]
	v_rcp_f64_e32 v[223:224], v[221:222]
	v_fma_f64 v[225:226], -v[221:222], v[223:224], 1.0
	v_fma_f64 v[223:224], v[223:224], v[225:226], v[223:224]
	v_fma_f64 v[225:226], -v[221:222], v[223:224], 1.0
	v_fma_f64 v[223:224], v[223:224], v[225:226], v[223:224]
	v_mul_f64 v[225:226], v[227:228], v[223:224]
	v_fma_f64 v[221:222], -v[221:222], v[225:226], v[227:228]
	v_div_fmas_f64 v[221:222], v[221:222], v[223:224], v[225:226]
	v_div_fixup_f64 v[221:222], v[221:222], v[206:207], v[208:209]
	v_fma_f64 v[206:207], v[208:209], v[221:222], v[206:207]
	v_div_scale_f64 v[208:209], null, v[206:207], v[206:207], 1.0
	v_rcp_f64_e32 v[223:224], v[208:209]
	v_fma_f64 v[225:226], -v[208:209], v[223:224], 1.0
	v_fma_f64 v[223:224], v[223:224], v[225:226], v[223:224]
	v_fma_f64 v[225:226], -v[208:209], v[223:224], 1.0
	v_fma_f64 v[223:224], v[223:224], v[225:226], v[223:224]
	v_div_scale_f64 v[225:226], vcc_lo, 1.0, v[206:207], 1.0
	v_mul_f64 v[227:228], v[225:226], v[223:224]
	v_fma_f64 v[208:209], -v[208:209], v[227:228], v[225:226]
	v_div_fmas_f64 v[208:209], v[208:209], v[223:224], v[227:228]
	v_div_fixup_f64 v[206:207], v[208:209], v[206:207], 1.0
	v_mul_f64 v[208:209], v[221:222], -v[206:207]
.LBB100_450:
	s_or_b32 exec_lo, exec_lo, s1
.LBB100_451:
	s_or_b32 exec_lo, exec_lo, s0
	s_mov_b32 s0, exec_lo
	v_cmpx_ne_u32_e64 v220, v214
	s_xor_b32 s0, exec_lo, s0
	s_cbranch_execz .LBB100_457
; %bb.452:
	s_mov_b32 s1, exec_lo
	v_cmpx_eq_u32_e32 21, v220
	s_cbranch_execz .LBB100_456
; %bb.453:
	v_cmp_ne_u32_e32 vcc_lo, 21, v214
	s_xor_b32 s7, s16, -1
	s_and_b32 s9, s7, vcc_lo
	s_and_saveexec_b32 s7, s9
	s_cbranch_execz .LBB100_455
; %bb.454:
	v_ashrrev_i32_e32 v215, 31, v214
	v_lshlrev_b64 v[220:221], 2, v[214:215]
	v_add_co_u32 v220, vcc_lo, v212, v220
	v_add_co_ci_u32_e64 v221, null, v213, v221, vcc_lo
	s_clause 0x1
	global_load_dword v0, v[220:221], off
	global_load_dword v215, v[212:213], off offset:84
	s_waitcnt vmcnt(1)
	global_store_dword v[212:213], v0, off offset:84
	s_waitcnt vmcnt(0)
	global_store_dword v[220:221], v215, off
.LBB100_455:
	s_or_b32 exec_lo, exec_lo, s7
	v_mov_b32_e32 v220, v214
	v_mov_b32_e32 v0, v214
.LBB100_456:
	s_or_b32 exec_lo, exec_lo, s1
.LBB100_457:
	s_andn2_saveexec_b32 s0, s0
	s_cbranch_execz .LBB100_459
; %bb.458:
	v_mov_b32_e32 v220, 21
	ds_write2_b64 v1, v[114:115], v[116:117] offset0:44 offset1:45
	ds_write2_b64 v1, v[110:111], v[112:113] offset0:46 offset1:47
	;; [unrolled: 1-line block ×29, first 2 shown]
.LBB100_459:
	s_or_b32 exec_lo, exec_lo, s0
	s_mov_b32 s0, exec_lo
	s_waitcnt lgkmcnt(0)
	s_waitcnt_vscnt null, 0x0
	s_barrier
	buffer_gl0_inv
	v_cmpx_lt_i32_e32 21, v220
	s_cbranch_execz .LBB100_461
; %bb.460:
	v_mul_f64 v[214:215], v[208:209], v[120:121]
	v_mul_f64 v[120:121], v[206:207], v[120:121]
	v_fma_f64 v[214:215], v[206:207], v[118:119], -v[214:215]
	v_fma_f64 v[120:121], v[208:209], v[118:119], v[120:121]
	ds_read2_b64 v[206:209], v1 offset0:44 offset1:45
	s_waitcnt lgkmcnt(0)
	v_mul_f64 v[118:119], v[208:209], v[120:121]
	v_fma_f64 v[118:119], v[206:207], v[214:215], -v[118:119]
	v_mul_f64 v[206:207], v[206:207], v[120:121]
	v_add_f64 v[114:115], v[114:115], -v[118:119]
	v_fma_f64 v[206:207], v[208:209], v[214:215], v[206:207]
	v_add_f64 v[116:117], v[116:117], -v[206:207]
	ds_read2_b64 v[206:209], v1 offset0:46 offset1:47
	s_waitcnt lgkmcnt(0)
	v_mul_f64 v[118:119], v[208:209], v[120:121]
	v_fma_f64 v[118:119], v[206:207], v[214:215], -v[118:119]
	v_mul_f64 v[206:207], v[206:207], v[120:121]
	v_add_f64 v[110:111], v[110:111], -v[118:119]
	v_fma_f64 v[206:207], v[208:209], v[214:215], v[206:207]
	v_add_f64 v[112:113], v[112:113], -v[206:207]
	;; [unrolled: 8-line block ×28, first 2 shown]
	ds_read2_b64 v[206:209], v1 offset0:100 offset1:101
	s_waitcnt lgkmcnt(0)
	v_mul_f64 v[118:119], v[208:209], v[120:121]
	v_fma_f64 v[118:119], v[206:207], v[214:215], -v[118:119]
	v_mul_f64 v[206:207], v[206:207], v[120:121]
	v_add_f64 v[2:3], v[2:3], -v[118:119]
	v_fma_f64 v[206:207], v[208:209], v[214:215], v[206:207]
	v_mov_b32_e32 v118, v214
	v_mov_b32_e32 v119, v215
	v_add_f64 v[4:5], v[4:5], -v[206:207]
.LBB100_461:
	s_or_b32 exec_lo, exec_lo, s0
	v_lshl_add_u32 v206, v220, 4, v1
	s_barrier
	buffer_gl0_inv
	v_mov_b32_e32 v214, 22
	ds_write2_b64 v206, v[114:115], v[116:117] offset1:1
	s_waitcnt lgkmcnt(0)
	s_barrier
	buffer_gl0_inv
	ds_read2_b64 v[206:209], v1 offset0:44 offset1:45
	s_cmp_lt_i32 s8, 24
	s_cbranch_scc1 .LBB100_464
; %bb.462:
	v_add3_u32 v215, v216, 0, 0x170
	v_mov_b32_e32 v214, 22
	s_mov_b32 s1, 23
	s_inst_prefetch 0x1
	.p2align	6
.LBB100_463:                            ; =>This Inner Loop Header: Depth=1
	s_waitcnt lgkmcnt(0)
	v_cmp_gt_f64_e32 vcc_lo, 0, v[208:209]
	v_cmp_gt_f64_e64 s0, 0, v[206:207]
	ds_read2_b64 v[221:224], v215 offset1:1
	v_xor_b32_e32 v226, 0x80000000, v207
	v_xor_b32_e32 v228, 0x80000000, v209
	v_mov_b32_e32 v225, v206
	v_mov_b32_e32 v227, v208
	v_add_nc_u32_e32 v215, 16, v215
	s_waitcnt lgkmcnt(0)
	v_xor_b32_e32 v230, 0x80000000, v224
	v_cndmask_b32_e64 v226, v207, v226, s0
	v_cndmask_b32_e32 v228, v209, v228, vcc_lo
	v_cmp_gt_f64_e32 vcc_lo, 0, v[223:224]
	v_cmp_gt_f64_e64 s0, 0, v[221:222]
	v_mov_b32_e32 v229, v223
	v_add_f64 v[225:226], v[225:226], v[227:228]
	v_xor_b32_e32 v228, 0x80000000, v222
	v_mov_b32_e32 v227, v221
	v_cndmask_b32_e32 v230, v224, v230, vcc_lo
	v_cndmask_b32_e64 v228, v222, v228, s0
	v_add_f64 v[227:228], v[227:228], v[229:230]
	v_cmp_lt_f64_e32 vcc_lo, v[225:226], v[227:228]
	v_cndmask_b32_e32 v207, v207, v222, vcc_lo
	v_cndmask_b32_e32 v206, v206, v221, vcc_lo
	;; [unrolled: 1-line block ×4, first 2 shown]
	v_cndmask_b32_e64 v214, v214, s1, vcc_lo
	s_add_i32 s1, s1, 1
	s_cmp_lg_u32 s8, s1
	s_cbranch_scc1 .LBB100_463
.LBB100_464:
	s_inst_prefetch 0x2
	s_waitcnt lgkmcnt(0)
	v_cmp_eq_f64_e32 vcc_lo, 0, v[206:207]
	v_cmp_eq_f64_e64 s0, 0, v[208:209]
	s_and_b32 s0, vcc_lo, s0
	s_and_saveexec_b32 s1, s0
	s_xor_b32 s0, exec_lo, s1
; %bb.465:
	v_cmp_ne_u32_e32 vcc_lo, 0, v219
	v_cndmask_b32_e32 v219, 23, v219, vcc_lo
; %bb.466:
	s_andn2_saveexec_b32 s0, s0
	s_cbranch_execz .LBB100_472
; %bb.467:
	v_cmp_ngt_f64_e64 s1, |v[206:207]|, |v[208:209]|
	s_and_saveexec_b32 s7, s1
	s_xor_b32 s1, exec_lo, s7
	s_cbranch_execz .LBB100_469
; %bb.468:
	v_div_scale_f64 v[221:222], null, v[208:209], v[208:209], v[206:207]
	v_div_scale_f64 v[227:228], vcc_lo, v[206:207], v[208:209], v[206:207]
	v_rcp_f64_e32 v[223:224], v[221:222]
	v_fma_f64 v[225:226], -v[221:222], v[223:224], 1.0
	v_fma_f64 v[223:224], v[223:224], v[225:226], v[223:224]
	v_fma_f64 v[225:226], -v[221:222], v[223:224], 1.0
	v_fma_f64 v[223:224], v[223:224], v[225:226], v[223:224]
	v_mul_f64 v[225:226], v[227:228], v[223:224]
	v_fma_f64 v[221:222], -v[221:222], v[225:226], v[227:228]
	v_div_fmas_f64 v[221:222], v[221:222], v[223:224], v[225:226]
	v_div_fixup_f64 v[221:222], v[221:222], v[208:209], v[206:207]
	v_fma_f64 v[206:207], v[206:207], v[221:222], v[208:209]
	v_div_scale_f64 v[208:209], null, v[206:207], v[206:207], 1.0
	v_rcp_f64_e32 v[223:224], v[208:209]
	v_fma_f64 v[225:226], -v[208:209], v[223:224], 1.0
	v_fma_f64 v[223:224], v[223:224], v[225:226], v[223:224]
	v_fma_f64 v[225:226], -v[208:209], v[223:224], 1.0
	v_fma_f64 v[223:224], v[223:224], v[225:226], v[223:224]
	v_div_scale_f64 v[225:226], vcc_lo, 1.0, v[206:207], 1.0
	v_mul_f64 v[227:228], v[225:226], v[223:224]
	v_fma_f64 v[208:209], -v[208:209], v[227:228], v[225:226]
	v_div_fmas_f64 v[208:209], v[208:209], v[223:224], v[227:228]
	v_div_fixup_f64 v[208:209], v[208:209], v[206:207], 1.0
	v_mul_f64 v[206:207], v[221:222], v[208:209]
	v_xor_b32_e32 v209, 0x80000000, v209
.LBB100_469:
	s_andn2_saveexec_b32 s1, s1
	s_cbranch_execz .LBB100_471
; %bb.470:
	v_div_scale_f64 v[221:222], null, v[206:207], v[206:207], v[208:209]
	v_div_scale_f64 v[227:228], vcc_lo, v[208:209], v[206:207], v[208:209]
	v_rcp_f64_e32 v[223:224], v[221:222]
	v_fma_f64 v[225:226], -v[221:222], v[223:224], 1.0
	v_fma_f64 v[223:224], v[223:224], v[225:226], v[223:224]
	v_fma_f64 v[225:226], -v[221:222], v[223:224], 1.0
	v_fma_f64 v[223:224], v[223:224], v[225:226], v[223:224]
	v_mul_f64 v[225:226], v[227:228], v[223:224]
	v_fma_f64 v[221:222], -v[221:222], v[225:226], v[227:228]
	v_div_fmas_f64 v[221:222], v[221:222], v[223:224], v[225:226]
	v_div_fixup_f64 v[221:222], v[221:222], v[206:207], v[208:209]
	v_fma_f64 v[206:207], v[208:209], v[221:222], v[206:207]
	v_div_scale_f64 v[208:209], null, v[206:207], v[206:207], 1.0
	v_rcp_f64_e32 v[223:224], v[208:209]
	v_fma_f64 v[225:226], -v[208:209], v[223:224], 1.0
	v_fma_f64 v[223:224], v[223:224], v[225:226], v[223:224]
	v_fma_f64 v[225:226], -v[208:209], v[223:224], 1.0
	v_fma_f64 v[223:224], v[223:224], v[225:226], v[223:224]
	v_div_scale_f64 v[225:226], vcc_lo, 1.0, v[206:207], 1.0
	v_mul_f64 v[227:228], v[225:226], v[223:224]
	v_fma_f64 v[208:209], -v[208:209], v[227:228], v[225:226]
	v_div_fmas_f64 v[208:209], v[208:209], v[223:224], v[227:228]
	v_div_fixup_f64 v[206:207], v[208:209], v[206:207], 1.0
	v_mul_f64 v[208:209], v[221:222], -v[206:207]
.LBB100_471:
	s_or_b32 exec_lo, exec_lo, s1
.LBB100_472:
	s_or_b32 exec_lo, exec_lo, s0
	s_mov_b32 s0, exec_lo
	v_cmpx_ne_u32_e64 v220, v214
	s_xor_b32 s0, exec_lo, s0
	s_cbranch_execz .LBB100_478
; %bb.473:
	s_mov_b32 s1, exec_lo
	v_cmpx_eq_u32_e32 22, v220
	s_cbranch_execz .LBB100_477
; %bb.474:
	v_cmp_ne_u32_e32 vcc_lo, 22, v214
	s_xor_b32 s7, s16, -1
	s_and_b32 s9, s7, vcc_lo
	s_and_saveexec_b32 s7, s9
	s_cbranch_execz .LBB100_476
; %bb.475:
	v_ashrrev_i32_e32 v215, 31, v214
	v_lshlrev_b64 v[220:221], 2, v[214:215]
	v_add_co_u32 v220, vcc_lo, v212, v220
	v_add_co_ci_u32_e64 v221, null, v213, v221, vcc_lo
	s_clause 0x1
	global_load_dword v0, v[220:221], off
	global_load_dword v215, v[212:213], off offset:88
	s_waitcnt vmcnt(1)
	global_store_dword v[212:213], v0, off offset:88
	s_waitcnt vmcnt(0)
	global_store_dword v[220:221], v215, off
.LBB100_476:
	s_or_b32 exec_lo, exec_lo, s7
	v_mov_b32_e32 v220, v214
	v_mov_b32_e32 v0, v214
.LBB100_477:
	s_or_b32 exec_lo, exec_lo, s1
.LBB100_478:
	s_andn2_saveexec_b32 s0, s0
	s_cbranch_execz .LBB100_480
; %bb.479:
	v_mov_b32_e32 v220, 22
	ds_write2_b64 v1, v[110:111], v[112:113] offset0:46 offset1:47
	ds_write2_b64 v1, v[106:107], v[108:109] offset0:48 offset1:49
	;; [unrolled: 1-line block ×28, first 2 shown]
.LBB100_480:
	s_or_b32 exec_lo, exec_lo, s0
	s_mov_b32 s0, exec_lo
	s_waitcnt lgkmcnt(0)
	s_waitcnt_vscnt null, 0x0
	s_barrier
	buffer_gl0_inv
	v_cmpx_lt_i32_e32 22, v220
	s_cbranch_execz .LBB100_482
; %bb.481:
	v_mul_f64 v[214:215], v[208:209], v[116:117]
	v_mul_f64 v[116:117], v[206:207], v[116:117]
	v_fma_f64 v[214:215], v[206:207], v[114:115], -v[214:215]
	v_fma_f64 v[116:117], v[208:209], v[114:115], v[116:117]
	ds_read2_b64 v[206:209], v1 offset0:46 offset1:47
	s_waitcnt lgkmcnt(0)
	v_mul_f64 v[114:115], v[208:209], v[116:117]
	v_fma_f64 v[114:115], v[206:207], v[214:215], -v[114:115]
	v_mul_f64 v[206:207], v[206:207], v[116:117]
	v_add_f64 v[110:111], v[110:111], -v[114:115]
	v_fma_f64 v[206:207], v[208:209], v[214:215], v[206:207]
	v_add_f64 v[112:113], v[112:113], -v[206:207]
	ds_read2_b64 v[206:209], v1 offset0:48 offset1:49
	s_waitcnt lgkmcnt(0)
	v_mul_f64 v[114:115], v[208:209], v[116:117]
	v_fma_f64 v[114:115], v[206:207], v[214:215], -v[114:115]
	v_mul_f64 v[206:207], v[206:207], v[116:117]
	v_add_f64 v[106:107], v[106:107], -v[114:115]
	v_fma_f64 v[206:207], v[208:209], v[214:215], v[206:207]
	v_add_f64 v[108:109], v[108:109], -v[206:207]
	;; [unrolled: 8-line block ×27, first 2 shown]
	ds_read2_b64 v[206:209], v1 offset0:100 offset1:101
	s_waitcnt lgkmcnt(0)
	v_mul_f64 v[114:115], v[208:209], v[116:117]
	v_fma_f64 v[114:115], v[206:207], v[214:215], -v[114:115]
	v_mul_f64 v[206:207], v[206:207], v[116:117]
	v_add_f64 v[2:3], v[2:3], -v[114:115]
	v_fma_f64 v[206:207], v[208:209], v[214:215], v[206:207]
	v_mov_b32_e32 v114, v214
	v_mov_b32_e32 v115, v215
	v_add_f64 v[4:5], v[4:5], -v[206:207]
.LBB100_482:
	s_or_b32 exec_lo, exec_lo, s0
	v_lshl_add_u32 v206, v220, 4, v1
	s_barrier
	buffer_gl0_inv
	v_mov_b32_e32 v214, 23
	ds_write2_b64 v206, v[110:111], v[112:113] offset1:1
	s_waitcnt lgkmcnt(0)
	s_barrier
	buffer_gl0_inv
	ds_read2_b64 v[206:209], v1 offset0:46 offset1:47
	s_cmp_lt_i32 s8, 25
	s_cbranch_scc1 .LBB100_485
; %bb.483:
	v_add3_u32 v215, v216, 0, 0x180
	v_mov_b32_e32 v214, 23
	s_mov_b32 s1, 24
	s_inst_prefetch 0x1
	.p2align	6
.LBB100_484:                            ; =>This Inner Loop Header: Depth=1
	s_waitcnt lgkmcnt(0)
	v_cmp_gt_f64_e32 vcc_lo, 0, v[208:209]
	v_cmp_gt_f64_e64 s0, 0, v[206:207]
	ds_read2_b64 v[221:224], v215 offset1:1
	v_xor_b32_e32 v226, 0x80000000, v207
	v_xor_b32_e32 v228, 0x80000000, v209
	v_mov_b32_e32 v225, v206
	v_mov_b32_e32 v227, v208
	v_add_nc_u32_e32 v215, 16, v215
	s_waitcnt lgkmcnt(0)
	v_xor_b32_e32 v230, 0x80000000, v224
	v_cndmask_b32_e64 v226, v207, v226, s0
	v_cndmask_b32_e32 v228, v209, v228, vcc_lo
	v_cmp_gt_f64_e32 vcc_lo, 0, v[223:224]
	v_cmp_gt_f64_e64 s0, 0, v[221:222]
	v_mov_b32_e32 v229, v223
	v_add_f64 v[225:226], v[225:226], v[227:228]
	v_xor_b32_e32 v228, 0x80000000, v222
	v_mov_b32_e32 v227, v221
	v_cndmask_b32_e32 v230, v224, v230, vcc_lo
	v_cndmask_b32_e64 v228, v222, v228, s0
	v_add_f64 v[227:228], v[227:228], v[229:230]
	v_cmp_lt_f64_e32 vcc_lo, v[225:226], v[227:228]
	v_cndmask_b32_e32 v207, v207, v222, vcc_lo
	v_cndmask_b32_e32 v206, v206, v221, vcc_lo
	;; [unrolled: 1-line block ×4, first 2 shown]
	v_cndmask_b32_e64 v214, v214, s1, vcc_lo
	s_add_i32 s1, s1, 1
	s_cmp_lg_u32 s8, s1
	s_cbranch_scc1 .LBB100_484
.LBB100_485:
	s_inst_prefetch 0x2
	s_waitcnt lgkmcnt(0)
	v_cmp_eq_f64_e32 vcc_lo, 0, v[206:207]
	v_cmp_eq_f64_e64 s0, 0, v[208:209]
	s_and_b32 s0, vcc_lo, s0
	s_and_saveexec_b32 s1, s0
	s_xor_b32 s0, exec_lo, s1
; %bb.486:
	v_cmp_ne_u32_e32 vcc_lo, 0, v219
	v_cndmask_b32_e32 v219, 24, v219, vcc_lo
; %bb.487:
	s_andn2_saveexec_b32 s0, s0
	s_cbranch_execz .LBB100_493
; %bb.488:
	v_cmp_ngt_f64_e64 s1, |v[206:207]|, |v[208:209]|
	s_and_saveexec_b32 s7, s1
	s_xor_b32 s1, exec_lo, s7
	s_cbranch_execz .LBB100_490
; %bb.489:
	v_div_scale_f64 v[221:222], null, v[208:209], v[208:209], v[206:207]
	v_div_scale_f64 v[227:228], vcc_lo, v[206:207], v[208:209], v[206:207]
	v_rcp_f64_e32 v[223:224], v[221:222]
	v_fma_f64 v[225:226], -v[221:222], v[223:224], 1.0
	v_fma_f64 v[223:224], v[223:224], v[225:226], v[223:224]
	v_fma_f64 v[225:226], -v[221:222], v[223:224], 1.0
	v_fma_f64 v[223:224], v[223:224], v[225:226], v[223:224]
	v_mul_f64 v[225:226], v[227:228], v[223:224]
	v_fma_f64 v[221:222], -v[221:222], v[225:226], v[227:228]
	v_div_fmas_f64 v[221:222], v[221:222], v[223:224], v[225:226]
	v_div_fixup_f64 v[221:222], v[221:222], v[208:209], v[206:207]
	v_fma_f64 v[206:207], v[206:207], v[221:222], v[208:209]
	v_div_scale_f64 v[208:209], null, v[206:207], v[206:207], 1.0
	v_rcp_f64_e32 v[223:224], v[208:209]
	v_fma_f64 v[225:226], -v[208:209], v[223:224], 1.0
	v_fma_f64 v[223:224], v[223:224], v[225:226], v[223:224]
	v_fma_f64 v[225:226], -v[208:209], v[223:224], 1.0
	v_fma_f64 v[223:224], v[223:224], v[225:226], v[223:224]
	v_div_scale_f64 v[225:226], vcc_lo, 1.0, v[206:207], 1.0
	v_mul_f64 v[227:228], v[225:226], v[223:224]
	v_fma_f64 v[208:209], -v[208:209], v[227:228], v[225:226]
	v_div_fmas_f64 v[208:209], v[208:209], v[223:224], v[227:228]
	v_div_fixup_f64 v[208:209], v[208:209], v[206:207], 1.0
	v_mul_f64 v[206:207], v[221:222], v[208:209]
	v_xor_b32_e32 v209, 0x80000000, v209
.LBB100_490:
	s_andn2_saveexec_b32 s1, s1
	s_cbranch_execz .LBB100_492
; %bb.491:
	v_div_scale_f64 v[221:222], null, v[206:207], v[206:207], v[208:209]
	v_div_scale_f64 v[227:228], vcc_lo, v[208:209], v[206:207], v[208:209]
	v_rcp_f64_e32 v[223:224], v[221:222]
	v_fma_f64 v[225:226], -v[221:222], v[223:224], 1.0
	v_fma_f64 v[223:224], v[223:224], v[225:226], v[223:224]
	v_fma_f64 v[225:226], -v[221:222], v[223:224], 1.0
	v_fma_f64 v[223:224], v[223:224], v[225:226], v[223:224]
	v_mul_f64 v[225:226], v[227:228], v[223:224]
	v_fma_f64 v[221:222], -v[221:222], v[225:226], v[227:228]
	v_div_fmas_f64 v[221:222], v[221:222], v[223:224], v[225:226]
	v_div_fixup_f64 v[221:222], v[221:222], v[206:207], v[208:209]
	v_fma_f64 v[206:207], v[208:209], v[221:222], v[206:207]
	v_div_scale_f64 v[208:209], null, v[206:207], v[206:207], 1.0
	v_rcp_f64_e32 v[223:224], v[208:209]
	v_fma_f64 v[225:226], -v[208:209], v[223:224], 1.0
	v_fma_f64 v[223:224], v[223:224], v[225:226], v[223:224]
	v_fma_f64 v[225:226], -v[208:209], v[223:224], 1.0
	v_fma_f64 v[223:224], v[223:224], v[225:226], v[223:224]
	v_div_scale_f64 v[225:226], vcc_lo, 1.0, v[206:207], 1.0
	v_mul_f64 v[227:228], v[225:226], v[223:224]
	v_fma_f64 v[208:209], -v[208:209], v[227:228], v[225:226]
	v_div_fmas_f64 v[208:209], v[208:209], v[223:224], v[227:228]
	v_div_fixup_f64 v[206:207], v[208:209], v[206:207], 1.0
	v_mul_f64 v[208:209], v[221:222], -v[206:207]
.LBB100_492:
	s_or_b32 exec_lo, exec_lo, s1
.LBB100_493:
	s_or_b32 exec_lo, exec_lo, s0
	s_mov_b32 s0, exec_lo
	v_cmpx_ne_u32_e64 v220, v214
	s_xor_b32 s0, exec_lo, s0
	s_cbranch_execz .LBB100_499
; %bb.494:
	s_mov_b32 s1, exec_lo
	v_cmpx_eq_u32_e32 23, v220
	s_cbranch_execz .LBB100_498
; %bb.495:
	v_cmp_ne_u32_e32 vcc_lo, 23, v214
	s_xor_b32 s7, s16, -1
	s_and_b32 s9, s7, vcc_lo
	s_and_saveexec_b32 s7, s9
	s_cbranch_execz .LBB100_497
; %bb.496:
	v_ashrrev_i32_e32 v215, 31, v214
	v_lshlrev_b64 v[220:221], 2, v[214:215]
	v_add_co_u32 v220, vcc_lo, v212, v220
	v_add_co_ci_u32_e64 v221, null, v213, v221, vcc_lo
	s_clause 0x1
	global_load_dword v0, v[220:221], off
	global_load_dword v215, v[212:213], off offset:92
	s_waitcnt vmcnt(1)
	global_store_dword v[212:213], v0, off offset:92
	s_waitcnt vmcnt(0)
	global_store_dword v[220:221], v215, off
.LBB100_497:
	s_or_b32 exec_lo, exec_lo, s7
	v_mov_b32_e32 v220, v214
	v_mov_b32_e32 v0, v214
.LBB100_498:
	s_or_b32 exec_lo, exec_lo, s1
.LBB100_499:
	s_andn2_saveexec_b32 s0, s0
	s_cbranch_execz .LBB100_501
; %bb.500:
	v_mov_b32_e32 v220, 23
	ds_write2_b64 v1, v[106:107], v[108:109] offset0:48 offset1:49
	ds_write2_b64 v1, v[102:103], v[104:105] offset0:50 offset1:51
	ds_write2_b64 v1, v[98:99], v[100:101] offset0:52 offset1:53
	ds_write2_b64 v1, v[94:95], v[96:97] offset0:54 offset1:55
	ds_write2_b64 v1, v[90:91], v[92:93] offset0:56 offset1:57
	ds_write2_b64 v1, v[86:87], v[88:89] offset0:58 offset1:59
	ds_write2_b64 v1, v[82:83], v[84:85] offset0:60 offset1:61
	ds_write2_b64 v1, v[78:79], v[80:81] offset0:62 offset1:63
	ds_write2_b64 v1, v[74:75], v[76:77] offset0:64 offset1:65
	ds_write2_b64 v1, v[70:71], v[72:73] offset0:66 offset1:67
	ds_write2_b64 v1, v[66:67], v[68:69] offset0:68 offset1:69
	ds_write2_b64 v1, v[62:63], v[64:65] offset0:70 offset1:71
	ds_write2_b64 v1, v[58:59], v[60:61] offset0:72 offset1:73
	ds_write2_b64 v1, v[54:55], v[56:57] offset0:74 offset1:75
	ds_write2_b64 v1, v[50:51], v[52:53] offset0:76 offset1:77
	ds_write2_b64 v1, v[46:47], v[48:49] offset0:78 offset1:79
	ds_write2_b64 v1, v[42:43], v[44:45] offset0:80 offset1:81
	ds_write2_b64 v1, v[38:39], v[40:41] offset0:82 offset1:83
	ds_write2_b64 v1, v[34:35], v[36:37] offset0:84 offset1:85
	ds_write2_b64 v1, v[30:31], v[32:33] offset0:86 offset1:87
	ds_write2_b64 v1, v[26:27], v[28:29] offset0:88 offset1:89
	ds_write2_b64 v1, v[22:23], v[24:25] offset0:90 offset1:91
	ds_write2_b64 v1, v[18:19], v[20:21] offset0:92 offset1:93
	ds_write2_b64 v1, v[14:15], v[16:17] offset0:94 offset1:95
	ds_write2_b64 v1, v[10:11], v[12:13] offset0:96 offset1:97
	ds_write2_b64 v1, v[6:7], v[8:9] offset0:98 offset1:99
	ds_write2_b64 v1, v[2:3], v[4:5] offset0:100 offset1:101
.LBB100_501:
	s_or_b32 exec_lo, exec_lo, s0
	s_mov_b32 s0, exec_lo
	s_waitcnt lgkmcnt(0)
	s_waitcnt_vscnt null, 0x0
	s_barrier
	buffer_gl0_inv
	v_cmpx_lt_i32_e32 23, v220
	s_cbranch_execz .LBB100_503
; %bb.502:
	v_mul_f64 v[214:215], v[208:209], v[112:113]
	v_mul_f64 v[112:113], v[206:207], v[112:113]
	v_fma_f64 v[214:215], v[206:207], v[110:111], -v[214:215]
	v_fma_f64 v[112:113], v[208:209], v[110:111], v[112:113]
	ds_read2_b64 v[206:209], v1 offset0:48 offset1:49
	s_waitcnt lgkmcnt(0)
	v_mul_f64 v[110:111], v[208:209], v[112:113]
	v_fma_f64 v[110:111], v[206:207], v[214:215], -v[110:111]
	v_mul_f64 v[206:207], v[206:207], v[112:113]
	v_add_f64 v[106:107], v[106:107], -v[110:111]
	v_fma_f64 v[206:207], v[208:209], v[214:215], v[206:207]
	v_add_f64 v[108:109], v[108:109], -v[206:207]
	ds_read2_b64 v[206:209], v1 offset0:50 offset1:51
	s_waitcnt lgkmcnt(0)
	v_mul_f64 v[110:111], v[208:209], v[112:113]
	v_fma_f64 v[110:111], v[206:207], v[214:215], -v[110:111]
	v_mul_f64 v[206:207], v[206:207], v[112:113]
	v_add_f64 v[102:103], v[102:103], -v[110:111]
	v_fma_f64 v[206:207], v[208:209], v[214:215], v[206:207]
	v_add_f64 v[104:105], v[104:105], -v[206:207]
	ds_read2_b64 v[206:209], v1 offset0:52 offset1:53
	s_waitcnt lgkmcnt(0)
	v_mul_f64 v[110:111], v[208:209], v[112:113]
	v_fma_f64 v[110:111], v[206:207], v[214:215], -v[110:111]
	v_mul_f64 v[206:207], v[206:207], v[112:113]
	v_add_f64 v[98:99], v[98:99], -v[110:111]
	v_fma_f64 v[206:207], v[208:209], v[214:215], v[206:207]
	v_add_f64 v[100:101], v[100:101], -v[206:207]
	ds_read2_b64 v[206:209], v1 offset0:54 offset1:55
	s_waitcnt lgkmcnt(0)
	v_mul_f64 v[110:111], v[208:209], v[112:113]
	v_fma_f64 v[110:111], v[206:207], v[214:215], -v[110:111]
	v_mul_f64 v[206:207], v[206:207], v[112:113]
	v_add_f64 v[94:95], v[94:95], -v[110:111]
	v_fma_f64 v[206:207], v[208:209], v[214:215], v[206:207]
	v_add_f64 v[96:97], v[96:97], -v[206:207]
	ds_read2_b64 v[206:209], v1 offset0:56 offset1:57
	s_waitcnt lgkmcnt(0)
	v_mul_f64 v[110:111], v[208:209], v[112:113]
	v_fma_f64 v[110:111], v[206:207], v[214:215], -v[110:111]
	v_mul_f64 v[206:207], v[206:207], v[112:113]
	v_add_f64 v[90:91], v[90:91], -v[110:111]
	v_fma_f64 v[206:207], v[208:209], v[214:215], v[206:207]
	v_add_f64 v[92:93], v[92:93], -v[206:207]
	ds_read2_b64 v[206:209], v1 offset0:58 offset1:59
	s_waitcnt lgkmcnt(0)
	v_mul_f64 v[110:111], v[208:209], v[112:113]
	v_fma_f64 v[110:111], v[206:207], v[214:215], -v[110:111]
	v_mul_f64 v[206:207], v[206:207], v[112:113]
	v_add_f64 v[86:87], v[86:87], -v[110:111]
	v_fma_f64 v[206:207], v[208:209], v[214:215], v[206:207]
	v_add_f64 v[88:89], v[88:89], -v[206:207]
	ds_read2_b64 v[206:209], v1 offset0:60 offset1:61
	s_waitcnt lgkmcnt(0)
	v_mul_f64 v[110:111], v[208:209], v[112:113]
	v_fma_f64 v[110:111], v[206:207], v[214:215], -v[110:111]
	v_mul_f64 v[206:207], v[206:207], v[112:113]
	v_add_f64 v[82:83], v[82:83], -v[110:111]
	v_fma_f64 v[206:207], v[208:209], v[214:215], v[206:207]
	v_add_f64 v[84:85], v[84:85], -v[206:207]
	ds_read2_b64 v[206:209], v1 offset0:62 offset1:63
	s_waitcnt lgkmcnt(0)
	v_mul_f64 v[110:111], v[208:209], v[112:113]
	v_fma_f64 v[110:111], v[206:207], v[214:215], -v[110:111]
	v_mul_f64 v[206:207], v[206:207], v[112:113]
	v_add_f64 v[78:79], v[78:79], -v[110:111]
	v_fma_f64 v[206:207], v[208:209], v[214:215], v[206:207]
	v_add_f64 v[80:81], v[80:81], -v[206:207]
	ds_read2_b64 v[206:209], v1 offset0:64 offset1:65
	s_waitcnt lgkmcnt(0)
	v_mul_f64 v[110:111], v[208:209], v[112:113]
	v_fma_f64 v[110:111], v[206:207], v[214:215], -v[110:111]
	v_mul_f64 v[206:207], v[206:207], v[112:113]
	v_add_f64 v[74:75], v[74:75], -v[110:111]
	v_fma_f64 v[206:207], v[208:209], v[214:215], v[206:207]
	v_add_f64 v[76:77], v[76:77], -v[206:207]
	ds_read2_b64 v[206:209], v1 offset0:66 offset1:67
	s_waitcnt lgkmcnt(0)
	v_mul_f64 v[110:111], v[208:209], v[112:113]
	v_fma_f64 v[110:111], v[206:207], v[214:215], -v[110:111]
	v_mul_f64 v[206:207], v[206:207], v[112:113]
	v_add_f64 v[70:71], v[70:71], -v[110:111]
	v_fma_f64 v[206:207], v[208:209], v[214:215], v[206:207]
	v_add_f64 v[72:73], v[72:73], -v[206:207]
	ds_read2_b64 v[206:209], v1 offset0:68 offset1:69
	s_waitcnt lgkmcnt(0)
	v_mul_f64 v[110:111], v[208:209], v[112:113]
	v_fma_f64 v[110:111], v[206:207], v[214:215], -v[110:111]
	v_mul_f64 v[206:207], v[206:207], v[112:113]
	v_add_f64 v[66:67], v[66:67], -v[110:111]
	v_fma_f64 v[206:207], v[208:209], v[214:215], v[206:207]
	v_add_f64 v[68:69], v[68:69], -v[206:207]
	ds_read2_b64 v[206:209], v1 offset0:70 offset1:71
	s_waitcnt lgkmcnt(0)
	v_mul_f64 v[110:111], v[208:209], v[112:113]
	v_fma_f64 v[110:111], v[206:207], v[214:215], -v[110:111]
	v_mul_f64 v[206:207], v[206:207], v[112:113]
	v_add_f64 v[62:63], v[62:63], -v[110:111]
	v_fma_f64 v[206:207], v[208:209], v[214:215], v[206:207]
	v_add_f64 v[64:65], v[64:65], -v[206:207]
	ds_read2_b64 v[206:209], v1 offset0:72 offset1:73
	s_waitcnt lgkmcnt(0)
	v_mul_f64 v[110:111], v[208:209], v[112:113]
	v_fma_f64 v[110:111], v[206:207], v[214:215], -v[110:111]
	v_mul_f64 v[206:207], v[206:207], v[112:113]
	v_add_f64 v[58:59], v[58:59], -v[110:111]
	v_fma_f64 v[206:207], v[208:209], v[214:215], v[206:207]
	v_add_f64 v[60:61], v[60:61], -v[206:207]
	ds_read2_b64 v[206:209], v1 offset0:74 offset1:75
	s_waitcnt lgkmcnt(0)
	v_mul_f64 v[110:111], v[208:209], v[112:113]
	v_fma_f64 v[110:111], v[206:207], v[214:215], -v[110:111]
	v_mul_f64 v[206:207], v[206:207], v[112:113]
	v_add_f64 v[54:55], v[54:55], -v[110:111]
	v_fma_f64 v[206:207], v[208:209], v[214:215], v[206:207]
	v_add_f64 v[56:57], v[56:57], -v[206:207]
	ds_read2_b64 v[206:209], v1 offset0:76 offset1:77
	s_waitcnt lgkmcnt(0)
	v_mul_f64 v[110:111], v[208:209], v[112:113]
	v_fma_f64 v[110:111], v[206:207], v[214:215], -v[110:111]
	v_mul_f64 v[206:207], v[206:207], v[112:113]
	v_add_f64 v[50:51], v[50:51], -v[110:111]
	v_fma_f64 v[206:207], v[208:209], v[214:215], v[206:207]
	v_add_f64 v[52:53], v[52:53], -v[206:207]
	ds_read2_b64 v[206:209], v1 offset0:78 offset1:79
	s_waitcnt lgkmcnt(0)
	v_mul_f64 v[110:111], v[208:209], v[112:113]
	v_fma_f64 v[110:111], v[206:207], v[214:215], -v[110:111]
	v_mul_f64 v[206:207], v[206:207], v[112:113]
	v_add_f64 v[46:47], v[46:47], -v[110:111]
	v_fma_f64 v[206:207], v[208:209], v[214:215], v[206:207]
	v_add_f64 v[48:49], v[48:49], -v[206:207]
	ds_read2_b64 v[206:209], v1 offset0:80 offset1:81
	s_waitcnt lgkmcnt(0)
	v_mul_f64 v[110:111], v[208:209], v[112:113]
	v_fma_f64 v[110:111], v[206:207], v[214:215], -v[110:111]
	v_mul_f64 v[206:207], v[206:207], v[112:113]
	v_add_f64 v[42:43], v[42:43], -v[110:111]
	v_fma_f64 v[206:207], v[208:209], v[214:215], v[206:207]
	v_add_f64 v[44:45], v[44:45], -v[206:207]
	ds_read2_b64 v[206:209], v1 offset0:82 offset1:83
	s_waitcnt lgkmcnt(0)
	v_mul_f64 v[110:111], v[208:209], v[112:113]
	v_fma_f64 v[110:111], v[206:207], v[214:215], -v[110:111]
	v_mul_f64 v[206:207], v[206:207], v[112:113]
	v_add_f64 v[38:39], v[38:39], -v[110:111]
	v_fma_f64 v[206:207], v[208:209], v[214:215], v[206:207]
	v_add_f64 v[40:41], v[40:41], -v[206:207]
	ds_read2_b64 v[206:209], v1 offset0:84 offset1:85
	s_waitcnt lgkmcnt(0)
	v_mul_f64 v[110:111], v[208:209], v[112:113]
	v_fma_f64 v[110:111], v[206:207], v[214:215], -v[110:111]
	v_mul_f64 v[206:207], v[206:207], v[112:113]
	v_add_f64 v[34:35], v[34:35], -v[110:111]
	v_fma_f64 v[206:207], v[208:209], v[214:215], v[206:207]
	v_add_f64 v[36:37], v[36:37], -v[206:207]
	ds_read2_b64 v[206:209], v1 offset0:86 offset1:87
	s_waitcnt lgkmcnt(0)
	v_mul_f64 v[110:111], v[208:209], v[112:113]
	v_fma_f64 v[110:111], v[206:207], v[214:215], -v[110:111]
	v_mul_f64 v[206:207], v[206:207], v[112:113]
	v_add_f64 v[30:31], v[30:31], -v[110:111]
	v_fma_f64 v[206:207], v[208:209], v[214:215], v[206:207]
	v_add_f64 v[32:33], v[32:33], -v[206:207]
	ds_read2_b64 v[206:209], v1 offset0:88 offset1:89
	s_waitcnt lgkmcnt(0)
	v_mul_f64 v[110:111], v[208:209], v[112:113]
	v_fma_f64 v[110:111], v[206:207], v[214:215], -v[110:111]
	v_mul_f64 v[206:207], v[206:207], v[112:113]
	v_add_f64 v[26:27], v[26:27], -v[110:111]
	v_fma_f64 v[206:207], v[208:209], v[214:215], v[206:207]
	v_add_f64 v[28:29], v[28:29], -v[206:207]
	ds_read2_b64 v[206:209], v1 offset0:90 offset1:91
	s_waitcnt lgkmcnt(0)
	v_mul_f64 v[110:111], v[208:209], v[112:113]
	v_fma_f64 v[110:111], v[206:207], v[214:215], -v[110:111]
	v_mul_f64 v[206:207], v[206:207], v[112:113]
	v_add_f64 v[22:23], v[22:23], -v[110:111]
	v_fma_f64 v[206:207], v[208:209], v[214:215], v[206:207]
	v_add_f64 v[24:25], v[24:25], -v[206:207]
	ds_read2_b64 v[206:209], v1 offset0:92 offset1:93
	s_waitcnt lgkmcnt(0)
	v_mul_f64 v[110:111], v[208:209], v[112:113]
	v_fma_f64 v[110:111], v[206:207], v[214:215], -v[110:111]
	v_mul_f64 v[206:207], v[206:207], v[112:113]
	v_add_f64 v[18:19], v[18:19], -v[110:111]
	v_fma_f64 v[206:207], v[208:209], v[214:215], v[206:207]
	v_add_f64 v[20:21], v[20:21], -v[206:207]
	ds_read2_b64 v[206:209], v1 offset0:94 offset1:95
	s_waitcnt lgkmcnt(0)
	v_mul_f64 v[110:111], v[208:209], v[112:113]
	v_fma_f64 v[110:111], v[206:207], v[214:215], -v[110:111]
	v_mul_f64 v[206:207], v[206:207], v[112:113]
	v_add_f64 v[14:15], v[14:15], -v[110:111]
	v_fma_f64 v[206:207], v[208:209], v[214:215], v[206:207]
	v_add_f64 v[16:17], v[16:17], -v[206:207]
	ds_read2_b64 v[206:209], v1 offset0:96 offset1:97
	s_waitcnt lgkmcnt(0)
	v_mul_f64 v[110:111], v[208:209], v[112:113]
	v_fma_f64 v[110:111], v[206:207], v[214:215], -v[110:111]
	v_mul_f64 v[206:207], v[206:207], v[112:113]
	v_add_f64 v[10:11], v[10:11], -v[110:111]
	v_fma_f64 v[206:207], v[208:209], v[214:215], v[206:207]
	v_add_f64 v[12:13], v[12:13], -v[206:207]
	ds_read2_b64 v[206:209], v1 offset0:98 offset1:99
	s_waitcnt lgkmcnt(0)
	v_mul_f64 v[110:111], v[208:209], v[112:113]
	v_fma_f64 v[110:111], v[206:207], v[214:215], -v[110:111]
	v_mul_f64 v[206:207], v[206:207], v[112:113]
	v_add_f64 v[6:7], v[6:7], -v[110:111]
	v_fma_f64 v[206:207], v[208:209], v[214:215], v[206:207]
	v_add_f64 v[8:9], v[8:9], -v[206:207]
	ds_read2_b64 v[206:209], v1 offset0:100 offset1:101
	s_waitcnt lgkmcnt(0)
	v_mul_f64 v[110:111], v[208:209], v[112:113]
	v_fma_f64 v[110:111], v[206:207], v[214:215], -v[110:111]
	v_mul_f64 v[206:207], v[206:207], v[112:113]
	v_add_f64 v[2:3], v[2:3], -v[110:111]
	v_fma_f64 v[206:207], v[208:209], v[214:215], v[206:207]
	v_mov_b32_e32 v110, v214
	v_mov_b32_e32 v111, v215
	v_add_f64 v[4:5], v[4:5], -v[206:207]
.LBB100_503:
	s_or_b32 exec_lo, exec_lo, s0
	v_lshl_add_u32 v206, v220, 4, v1
	s_barrier
	buffer_gl0_inv
	v_mov_b32_e32 v214, 24
	ds_write2_b64 v206, v[106:107], v[108:109] offset1:1
	s_waitcnt lgkmcnt(0)
	s_barrier
	buffer_gl0_inv
	ds_read2_b64 v[206:209], v1 offset0:48 offset1:49
	s_cmp_lt_i32 s8, 26
	s_cbranch_scc1 .LBB100_506
; %bb.504:
	v_add3_u32 v215, v216, 0, 0x190
	v_mov_b32_e32 v214, 24
	s_mov_b32 s1, 25
	s_inst_prefetch 0x1
	.p2align	6
.LBB100_505:                            ; =>This Inner Loop Header: Depth=1
	s_waitcnt lgkmcnt(0)
	v_cmp_gt_f64_e32 vcc_lo, 0, v[208:209]
	v_cmp_gt_f64_e64 s0, 0, v[206:207]
	ds_read2_b64 v[221:224], v215 offset1:1
	v_xor_b32_e32 v226, 0x80000000, v207
	v_xor_b32_e32 v228, 0x80000000, v209
	v_mov_b32_e32 v225, v206
	v_mov_b32_e32 v227, v208
	v_add_nc_u32_e32 v215, 16, v215
	s_waitcnt lgkmcnt(0)
	v_xor_b32_e32 v230, 0x80000000, v224
	v_cndmask_b32_e64 v226, v207, v226, s0
	v_cndmask_b32_e32 v228, v209, v228, vcc_lo
	v_cmp_gt_f64_e32 vcc_lo, 0, v[223:224]
	v_cmp_gt_f64_e64 s0, 0, v[221:222]
	v_mov_b32_e32 v229, v223
	v_add_f64 v[225:226], v[225:226], v[227:228]
	v_xor_b32_e32 v228, 0x80000000, v222
	v_mov_b32_e32 v227, v221
	v_cndmask_b32_e32 v230, v224, v230, vcc_lo
	v_cndmask_b32_e64 v228, v222, v228, s0
	v_add_f64 v[227:228], v[227:228], v[229:230]
	v_cmp_lt_f64_e32 vcc_lo, v[225:226], v[227:228]
	v_cndmask_b32_e32 v207, v207, v222, vcc_lo
	v_cndmask_b32_e32 v206, v206, v221, vcc_lo
	;; [unrolled: 1-line block ×4, first 2 shown]
	v_cndmask_b32_e64 v214, v214, s1, vcc_lo
	s_add_i32 s1, s1, 1
	s_cmp_lg_u32 s8, s1
	s_cbranch_scc1 .LBB100_505
.LBB100_506:
	s_inst_prefetch 0x2
	s_waitcnt lgkmcnt(0)
	v_cmp_eq_f64_e32 vcc_lo, 0, v[206:207]
	v_cmp_eq_f64_e64 s0, 0, v[208:209]
	s_and_b32 s0, vcc_lo, s0
	s_and_saveexec_b32 s1, s0
	s_xor_b32 s0, exec_lo, s1
; %bb.507:
	v_cmp_ne_u32_e32 vcc_lo, 0, v219
	v_cndmask_b32_e32 v219, 25, v219, vcc_lo
; %bb.508:
	s_andn2_saveexec_b32 s0, s0
	s_cbranch_execz .LBB100_514
; %bb.509:
	v_cmp_ngt_f64_e64 s1, |v[206:207]|, |v[208:209]|
	s_and_saveexec_b32 s7, s1
	s_xor_b32 s1, exec_lo, s7
	s_cbranch_execz .LBB100_511
; %bb.510:
	v_div_scale_f64 v[221:222], null, v[208:209], v[208:209], v[206:207]
	v_div_scale_f64 v[227:228], vcc_lo, v[206:207], v[208:209], v[206:207]
	v_rcp_f64_e32 v[223:224], v[221:222]
	v_fma_f64 v[225:226], -v[221:222], v[223:224], 1.0
	v_fma_f64 v[223:224], v[223:224], v[225:226], v[223:224]
	v_fma_f64 v[225:226], -v[221:222], v[223:224], 1.0
	v_fma_f64 v[223:224], v[223:224], v[225:226], v[223:224]
	v_mul_f64 v[225:226], v[227:228], v[223:224]
	v_fma_f64 v[221:222], -v[221:222], v[225:226], v[227:228]
	v_div_fmas_f64 v[221:222], v[221:222], v[223:224], v[225:226]
	v_div_fixup_f64 v[221:222], v[221:222], v[208:209], v[206:207]
	v_fma_f64 v[206:207], v[206:207], v[221:222], v[208:209]
	v_div_scale_f64 v[208:209], null, v[206:207], v[206:207], 1.0
	v_rcp_f64_e32 v[223:224], v[208:209]
	v_fma_f64 v[225:226], -v[208:209], v[223:224], 1.0
	v_fma_f64 v[223:224], v[223:224], v[225:226], v[223:224]
	v_fma_f64 v[225:226], -v[208:209], v[223:224], 1.0
	v_fma_f64 v[223:224], v[223:224], v[225:226], v[223:224]
	v_div_scale_f64 v[225:226], vcc_lo, 1.0, v[206:207], 1.0
	v_mul_f64 v[227:228], v[225:226], v[223:224]
	v_fma_f64 v[208:209], -v[208:209], v[227:228], v[225:226]
	v_div_fmas_f64 v[208:209], v[208:209], v[223:224], v[227:228]
	v_div_fixup_f64 v[208:209], v[208:209], v[206:207], 1.0
	v_mul_f64 v[206:207], v[221:222], v[208:209]
	v_xor_b32_e32 v209, 0x80000000, v209
.LBB100_511:
	s_andn2_saveexec_b32 s1, s1
	s_cbranch_execz .LBB100_513
; %bb.512:
	v_div_scale_f64 v[221:222], null, v[206:207], v[206:207], v[208:209]
	v_div_scale_f64 v[227:228], vcc_lo, v[208:209], v[206:207], v[208:209]
	v_rcp_f64_e32 v[223:224], v[221:222]
	v_fma_f64 v[225:226], -v[221:222], v[223:224], 1.0
	v_fma_f64 v[223:224], v[223:224], v[225:226], v[223:224]
	v_fma_f64 v[225:226], -v[221:222], v[223:224], 1.0
	v_fma_f64 v[223:224], v[223:224], v[225:226], v[223:224]
	v_mul_f64 v[225:226], v[227:228], v[223:224]
	v_fma_f64 v[221:222], -v[221:222], v[225:226], v[227:228]
	v_div_fmas_f64 v[221:222], v[221:222], v[223:224], v[225:226]
	v_div_fixup_f64 v[221:222], v[221:222], v[206:207], v[208:209]
	v_fma_f64 v[206:207], v[208:209], v[221:222], v[206:207]
	v_div_scale_f64 v[208:209], null, v[206:207], v[206:207], 1.0
	v_rcp_f64_e32 v[223:224], v[208:209]
	v_fma_f64 v[225:226], -v[208:209], v[223:224], 1.0
	v_fma_f64 v[223:224], v[223:224], v[225:226], v[223:224]
	v_fma_f64 v[225:226], -v[208:209], v[223:224], 1.0
	v_fma_f64 v[223:224], v[223:224], v[225:226], v[223:224]
	v_div_scale_f64 v[225:226], vcc_lo, 1.0, v[206:207], 1.0
	v_mul_f64 v[227:228], v[225:226], v[223:224]
	v_fma_f64 v[208:209], -v[208:209], v[227:228], v[225:226]
	v_div_fmas_f64 v[208:209], v[208:209], v[223:224], v[227:228]
	v_div_fixup_f64 v[206:207], v[208:209], v[206:207], 1.0
	v_mul_f64 v[208:209], v[221:222], -v[206:207]
.LBB100_513:
	s_or_b32 exec_lo, exec_lo, s1
.LBB100_514:
	s_or_b32 exec_lo, exec_lo, s0
	s_mov_b32 s0, exec_lo
	v_cmpx_ne_u32_e64 v220, v214
	s_xor_b32 s0, exec_lo, s0
	s_cbranch_execz .LBB100_520
; %bb.515:
	s_mov_b32 s1, exec_lo
	v_cmpx_eq_u32_e32 24, v220
	s_cbranch_execz .LBB100_519
; %bb.516:
	v_cmp_ne_u32_e32 vcc_lo, 24, v214
	s_xor_b32 s7, s16, -1
	s_and_b32 s9, s7, vcc_lo
	s_and_saveexec_b32 s7, s9
	s_cbranch_execz .LBB100_518
; %bb.517:
	v_ashrrev_i32_e32 v215, 31, v214
	v_lshlrev_b64 v[220:221], 2, v[214:215]
	v_add_co_u32 v220, vcc_lo, v212, v220
	v_add_co_ci_u32_e64 v221, null, v213, v221, vcc_lo
	s_clause 0x1
	global_load_dword v0, v[220:221], off
	global_load_dword v215, v[212:213], off offset:96
	s_waitcnt vmcnt(1)
	global_store_dword v[212:213], v0, off offset:96
	s_waitcnt vmcnt(0)
	global_store_dword v[220:221], v215, off
.LBB100_518:
	s_or_b32 exec_lo, exec_lo, s7
	v_mov_b32_e32 v220, v214
	v_mov_b32_e32 v0, v214
.LBB100_519:
	s_or_b32 exec_lo, exec_lo, s1
.LBB100_520:
	s_andn2_saveexec_b32 s0, s0
	s_cbranch_execz .LBB100_522
; %bb.521:
	v_mov_b32_e32 v220, 24
	ds_write2_b64 v1, v[102:103], v[104:105] offset0:50 offset1:51
	ds_write2_b64 v1, v[98:99], v[100:101] offset0:52 offset1:53
	;; [unrolled: 1-line block ×26, first 2 shown]
.LBB100_522:
	s_or_b32 exec_lo, exec_lo, s0
	s_mov_b32 s0, exec_lo
	s_waitcnt lgkmcnt(0)
	s_waitcnt_vscnt null, 0x0
	s_barrier
	buffer_gl0_inv
	v_cmpx_lt_i32_e32 24, v220
	s_cbranch_execz .LBB100_524
; %bb.523:
	v_mul_f64 v[214:215], v[208:209], v[108:109]
	v_mul_f64 v[108:109], v[206:207], v[108:109]
	v_fma_f64 v[214:215], v[206:207], v[106:107], -v[214:215]
	v_fma_f64 v[108:109], v[208:209], v[106:107], v[108:109]
	ds_read2_b64 v[206:209], v1 offset0:50 offset1:51
	s_waitcnt lgkmcnt(0)
	v_mul_f64 v[106:107], v[208:209], v[108:109]
	v_fma_f64 v[106:107], v[206:207], v[214:215], -v[106:107]
	v_mul_f64 v[206:207], v[206:207], v[108:109]
	v_add_f64 v[102:103], v[102:103], -v[106:107]
	v_fma_f64 v[206:207], v[208:209], v[214:215], v[206:207]
	v_add_f64 v[104:105], v[104:105], -v[206:207]
	ds_read2_b64 v[206:209], v1 offset0:52 offset1:53
	s_waitcnt lgkmcnt(0)
	v_mul_f64 v[106:107], v[208:209], v[108:109]
	v_fma_f64 v[106:107], v[206:207], v[214:215], -v[106:107]
	v_mul_f64 v[206:207], v[206:207], v[108:109]
	v_add_f64 v[98:99], v[98:99], -v[106:107]
	v_fma_f64 v[206:207], v[208:209], v[214:215], v[206:207]
	v_add_f64 v[100:101], v[100:101], -v[206:207]
	;; [unrolled: 8-line block ×25, first 2 shown]
	ds_read2_b64 v[206:209], v1 offset0:100 offset1:101
	s_waitcnt lgkmcnt(0)
	v_mul_f64 v[106:107], v[208:209], v[108:109]
	v_fma_f64 v[106:107], v[206:207], v[214:215], -v[106:107]
	v_mul_f64 v[206:207], v[206:207], v[108:109]
	v_add_f64 v[2:3], v[2:3], -v[106:107]
	v_fma_f64 v[206:207], v[208:209], v[214:215], v[206:207]
	v_mov_b32_e32 v106, v214
	v_mov_b32_e32 v107, v215
	v_add_f64 v[4:5], v[4:5], -v[206:207]
.LBB100_524:
	s_or_b32 exec_lo, exec_lo, s0
	v_lshl_add_u32 v206, v220, 4, v1
	s_barrier
	buffer_gl0_inv
	v_mov_b32_e32 v214, 25
	ds_write2_b64 v206, v[102:103], v[104:105] offset1:1
	s_waitcnt lgkmcnt(0)
	s_barrier
	buffer_gl0_inv
	ds_read2_b64 v[206:209], v1 offset0:50 offset1:51
	s_cmp_lt_i32 s8, 27
	s_cbranch_scc1 .LBB100_527
; %bb.525:
	v_add3_u32 v215, v216, 0, 0x1a0
	v_mov_b32_e32 v214, 25
	s_mov_b32 s1, 26
	s_inst_prefetch 0x1
	.p2align	6
.LBB100_526:                            ; =>This Inner Loop Header: Depth=1
	s_waitcnt lgkmcnt(0)
	v_cmp_gt_f64_e32 vcc_lo, 0, v[208:209]
	v_cmp_gt_f64_e64 s0, 0, v[206:207]
	ds_read2_b64 v[221:224], v215 offset1:1
	v_xor_b32_e32 v226, 0x80000000, v207
	v_xor_b32_e32 v228, 0x80000000, v209
	v_mov_b32_e32 v225, v206
	v_mov_b32_e32 v227, v208
	v_add_nc_u32_e32 v215, 16, v215
	s_waitcnt lgkmcnt(0)
	v_xor_b32_e32 v230, 0x80000000, v224
	v_cndmask_b32_e64 v226, v207, v226, s0
	v_cndmask_b32_e32 v228, v209, v228, vcc_lo
	v_cmp_gt_f64_e32 vcc_lo, 0, v[223:224]
	v_cmp_gt_f64_e64 s0, 0, v[221:222]
	v_mov_b32_e32 v229, v223
	v_add_f64 v[225:226], v[225:226], v[227:228]
	v_xor_b32_e32 v228, 0x80000000, v222
	v_mov_b32_e32 v227, v221
	v_cndmask_b32_e32 v230, v224, v230, vcc_lo
	v_cndmask_b32_e64 v228, v222, v228, s0
	v_add_f64 v[227:228], v[227:228], v[229:230]
	v_cmp_lt_f64_e32 vcc_lo, v[225:226], v[227:228]
	v_cndmask_b32_e32 v207, v207, v222, vcc_lo
	v_cndmask_b32_e32 v206, v206, v221, vcc_lo
	;; [unrolled: 1-line block ×4, first 2 shown]
	v_cndmask_b32_e64 v214, v214, s1, vcc_lo
	s_add_i32 s1, s1, 1
	s_cmp_lg_u32 s8, s1
	s_cbranch_scc1 .LBB100_526
.LBB100_527:
	s_inst_prefetch 0x2
	s_waitcnt lgkmcnt(0)
	v_cmp_eq_f64_e32 vcc_lo, 0, v[206:207]
	v_cmp_eq_f64_e64 s0, 0, v[208:209]
	s_and_b32 s0, vcc_lo, s0
	s_and_saveexec_b32 s1, s0
	s_xor_b32 s0, exec_lo, s1
; %bb.528:
	v_cmp_ne_u32_e32 vcc_lo, 0, v219
	v_cndmask_b32_e32 v219, 26, v219, vcc_lo
; %bb.529:
	s_andn2_saveexec_b32 s0, s0
	s_cbranch_execz .LBB100_535
; %bb.530:
	v_cmp_ngt_f64_e64 s1, |v[206:207]|, |v[208:209]|
	s_and_saveexec_b32 s7, s1
	s_xor_b32 s1, exec_lo, s7
	s_cbranch_execz .LBB100_532
; %bb.531:
	v_div_scale_f64 v[221:222], null, v[208:209], v[208:209], v[206:207]
	v_div_scale_f64 v[227:228], vcc_lo, v[206:207], v[208:209], v[206:207]
	v_rcp_f64_e32 v[223:224], v[221:222]
	v_fma_f64 v[225:226], -v[221:222], v[223:224], 1.0
	v_fma_f64 v[223:224], v[223:224], v[225:226], v[223:224]
	v_fma_f64 v[225:226], -v[221:222], v[223:224], 1.0
	v_fma_f64 v[223:224], v[223:224], v[225:226], v[223:224]
	v_mul_f64 v[225:226], v[227:228], v[223:224]
	v_fma_f64 v[221:222], -v[221:222], v[225:226], v[227:228]
	v_div_fmas_f64 v[221:222], v[221:222], v[223:224], v[225:226]
	v_div_fixup_f64 v[221:222], v[221:222], v[208:209], v[206:207]
	v_fma_f64 v[206:207], v[206:207], v[221:222], v[208:209]
	v_div_scale_f64 v[208:209], null, v[206:207], v[206:207], 1.0
	v_rcp_f64_e32 v[223:224], v[208:209]
	v_fma_f64 v[225:226], -v[208:209], v[223:224], 1.0
	v_fma_f64 v[223:224], v[223:224], v[225:226], v[223:224]
	v_fma_f64 v[225:226], -v[208:209], v[223:224], 1.0
	v_fma_f64 v[223:224], v[223:224], v[225:226], v[223:224]
	v_div_scale_f64 v[225:226], vcc_lo, 1.0, v[206:207], 1.0
	v_mul_f64 v[227:228], v[225:226], v[223:224]
	v_fma_f64 v[208:209], -v[208:209], v[227:228], v[225:226]
	v_div_fmas_f64 v[208:209], v[208:209], v[223:224], v[227:228]
	v_div_fixup_f64 v[208:209], v[208:209], v[206:207], 1.0
	v_mul_f64 v[206:207], v[221:222], v[208:209]
	v_xor_b32_e32 v209, 0x80000000, v209
.LBB100_532:
	s_andn2_saveexec_b32 s1, s1
	s_cbranch_execz .LBB100_534
; %bb.533:
	v_div_scale_f64 v[221:222], null, v[206:207], v[206:207], v[208:209]
	v_div_scale_f64 v[227:228], vcc_lo, v[208:209], v[206:207], v[208:209]
	v_rcp_f64_e32 v[223:224], v[221:222]
	v_fma_f64 v[225:226], -v[221:222], v[223:224], 1.0
	v_fma_f64 v[223:224], v[223:224], v[225:226], v[223:224]
	v_fma_f64 v[225:226], -v[221:222], v[223:224], 1.0
	v_fma_f64 v[223:224], v[223:224], v[225:226], v[223:224]
	v_mul_f64 v[225:226], v[227:228], v[223:224]
	v_fma_f64 v[221:222], -v[221:222], v[225:226], v[227:228]
	v_div_fmas_f64 v[221:222], v[221:222], v[223:224], v[225:226]
	v_div_fixup_f64 v[221:222], v[221:222], v[206:207], v[208:209]
	v_fma_f64 v[206:207], v[208:209], v[221:222], v[206:207]
	v_div_scale_f64 v[208:209], null, v[206:207], v[206:207], 1.0
	v_rcp_f64_e32 v[223:224], v[208:209]
	v_fma_f64 v[225:226], -v[208:209], v[223:224], 1.0
	v_fma_f64 v[223:224], v[223:224], v[225:226], v[223:224]
	v_fma_f64 v[225:226], -v[208:209], v[223:224], 1.0
	v_fma_f64 v[223:224], v[223:224], v[225:226], v[223:224]
	v_div_scale_f64 v[225:226], vcc_lo, 1.0, v[206:207], 1.0
	v_mul_f64 v[227:228], v[225:226], v[223:224]
	v_fma_f64 v[208:209], -v[208:209], v[227:228], v[225:226]
	v_div_fmas_f64 v[208:209], v[208:209], v[223:224], v[227:228]
	v_div_fixup_f64 v[206:207], v[208:209], v[206:207], 1.0
	v_mul_f64 v[208:209], v[221:222], -v[206:207]
.LBB100_534:
	s_or_b32 exec_lo, exec_lo, s1
.LBB100_535:
	s_or_b32 exec_lo, exec_lo, s0
	s_mov_b32 s0, exec_lo
	v_cmpx_ne_u32_e64 v220, v214
	s_xor_b32 s0, exec_lo, s0
	s_cbranch_execz .LBB100_541
; %bb.536:
	s_mov_b32 s1, exec_lo
	v_cmpx_eq_u32_e32 25, v220
	s_cbranch_execz .LBB100_540
; %bb.537:
	v_cmp_ne_u32_e32 vcc_lo, 25, v214
	s_xor_b32 s7, s16, -1
	s_and_b32 s9, s7, vcc_lo
	s_and_saveexec_b32 s7, s9
	s_cbranch_execz .LBB100_539
; %bb.538:
	v_ashrrev_i32_e32 v215, 31, v214
	v_lshlrev_b64 v[220:221], 2, v[214:215]
	v_add_co_u32 v220, vcc_lo, v212, v220
	v_add_co_ci_u32_e64 v221, null, v213, v221, vcc_lo
	s_clause 0x1
	global_load_dword v0, v[220:221], off
	global_load_dword v215, v[212:213], off offset:100
	s_waitcnt vmcnt(1)
	global_store_dword v[212:213], v0, off offset:100
	s_waitcnt vmcnt(0)
	global_store_dword v[220:221], v215, off
.LBB100_539:
	s_or_b32 exec_lo, exec_lo, s7
	v_mov_b32_e32 v220, v214
	v_mov_b32_e32 v0, v214
.LBB100_540:
	s_or_b32 exec_lo, exec_lo, s1
.LBB100_541:
	s_andn2_saveexec_b32 s0, s0
	s_cbranch_execz .LBB100_543
; %bb.542:
	v_mov_b32_e32 v220, 25
	ds_write2_b64 v1, v[98:99], v[100:101] offset0:52 offset1:53
	ds_write2_b64 v1, v[94:95], v[96:97] offset0:54 offset1:55
	;; [unrolled: 1-line block ×25, first 2 shown]
.LBB100_543:
	s_or_b32 exec_lo, exec_lo, s0
	s_mov_b32 s0, exec_lo
	s_waitcnt lgkmcnt(0)
	s_waitcnt_vscnt null, 0x0
	s_barrier
	buffer_gl0_inv
	v_cmpx_lt_i32_e32 25, v220
	s_cbranch_execz .LBB100_545
; %bb.544:
	v_mul_f64 v[214:215], v[208:209], v[104:105]
	v_mul_f64 v[104:105], v[206:207], v[104:105]
	v_fma_f64 v[214:215], v[206:207], v[102:103], -v[214:215]
	v_fma_f64 v[104:105], v[208:209], v[102:103], v[104:105]
	ds_read2_b64 v[206:209], v1 offset0:52 offset1:53
	s_waitcnt lgkmcnt(0)
	v_mul_f64 v[102:103], v[208:209], v[104:105]
	v_fma_f64 v[102:103], v[206:207], v[214:215], -v[102:103]
	v_mul_f64 v[206:207], v[206:207], v[104:105]
	v_add_f64 v[98:99], v[98:99], -v[102:103]
	v_fma_f64 v[206:207], v[208:209], v[214:215], v[206:207]
	v_add_f64 v[100:101], v[100:101], -v[206:207]
	ds_read2_b64 v[206:209], v1 offset0:54 offset1:55
	s_waitcnt lgkmcnt(0)
	v_mul_f64 v[102:103], v[208:209], v[104:105]
	v_fma_f64 v[102:103], v[206:207], v[214:215], -v[102:103]
	v_mul_f64 v[206:207], v[206:207], v[104:105]
	v_add_f64 v[94:95], v[94:95], -v[102:103]
	v_fma_f64 v[206:207], v[208:209], v[214:215], v[206:207]
	v_add_f64 v[96:97], v[96:97], -v[206:207]
	;; [unrolled: 8-line block ×24, first 2 shown]
	ds_read2_b64 v[206:209], v1 offset0:100 offset1:101
	s_waitcnt lgkmcnt(0)
	v_mul_f64 v[102:103], v[208:209], v[104:105]
	v_fma_f64 v[102:103], v[206:207], v[214:215], -v[102:103]
	v_mul_f64 v[206:207], v[206:207], v[104:105]
	v_add_f64 v[2:3], v[2:3], -v[102:103]
	v_fma_f64 v[206:207], v[208:209], v[214:215], v[206:207]
	v_mov_b32_e32 v102, v214
	v_mov_b32_e32 v103, v215
	v_add_f64 v[4:5], v[4:5], -v[206:207]
.LBB100_545:
	s_or_b32 exec_lo, exec_lo, s0
	v_lshl_add_u32 v206, v220, 4, v1
	s_barrier
	buffer_gl0_inv
	v_mov_b32_e32 v214, 26
	ds_write2_b64 v206, v[98:99], v[100:101] offset1:1
	s_waitcnt lgkmcnt(0)
	s_barrier
	buffer_gl0_inv
	ds_read2_b64 v[206:209], v1 offset0:52 offset1:53
	s_cmp_lt_i32 s8, 28
	s_cbranch_scc1 .LBB100_548
; %bb.546:
	v_add3_u32 v215, v216, 0, 0x1b0
	v_mov_b32_e32 v214, 26
	s_mov_b32 s1, 27
	s_inst_prefetch 0x1
	.p2align	6
.LBB100_547:                            ; =>This Inner Loop Header: Depth=1
	s_waitcnt lgkmcnt(0)
	v_cmp_gt_f64_e32 vcc_lo, 0, v[208:209]
	v_cmp_gt_f64_e64 s0, 0, v[206:207]
	ds_read2_b64 v[221:224], v215 offset1:1
	v_xor_b32_e32 v226, 0x80000000, v207
	v_xor_b32_e32 v228, 0x80000000, v209
	v_mov_b32_e32 v225, v206
	v_mov_b32_e32 v227, v208
	v_add_nc_u32_e32 v215, 16, v215
	s_waitcnt lgkmcnt(0)
	v_xor_b32_e32 v230, 0x80000000, v224
	v_cndmask_b32_e64 v226, v207, v226, s0
	v_cndmask_b32_e32 v228, v209, v228, vcc_lo
	v_cmp_gt_f64_e32 vcc_lo, 0, v[223:224]
	v_cmp_gt_f64_e64 s0, 0, v[221:222]
	v_mov_b32_e32 v229, v223
	v_add_f64 v[225:226], v[225:226], v[227:228]
	v_xor_b32_e32 v228, 0x80000000, v222
	v_mov_b32_e32 v227, v221
	v_cndmask_b32_e32 v230, v224, v230, vcc_lo
	v_cndmask_b32_e64 v228, v222, v228, s0
	v_add_f64 v[227:228], v[227:228], v[229:230]
	v_cmp_lt_f64_e32 vcc_lo, v[225:226], v[227:228]
	v_cndmask_b32_e32 v207, v207, v222, vcc_lo
	v_cndmask_b32_e32 v206, v206, v221, vcc_lo
	;; [unrolled: 1-line block ×4, first 2 shown]
	v_cndmask_b32_e64 v214, v214, s1, vcc_lo
	s_add_i32 s1, s1, 1
	s_cmp_lg_u32 s8, s1
	s_cbranch_scc1 .LBB100_547
.LBB100_548:
	s_inst_prefetch 0x2
	s_waitcnt lgkmcnt(0)
	v_cmp_eq_f64_e32 vcc_lo, 0, v[206:207]
	v_cmp_eq_f64_e64 s0, 0, v[208:209]
	s_and_b32 s0, vcc_lo, s0
	s_and_saveexec_b32 s1, s0
	s_xor_b32 s0, exec_lo, s1
; %bb.549:
	v_cmp_ne_u32_e32 vcc_lo, 0, v219
	v_cndmask_b32_e32 v219, 27, v219, vcc_lo
; %bb.550:
	s_andn2_saveexec_b32 s0, s0
	s_cbranch_execz .LBB100_556
; %bb.551:
	v_cmp_ngt_f64_e64 s1, |v[206:207]|, |v[208:209]|
	s_and_saveexec_b32 s7, s1
	s_xor_b32 s1, exec_lo, s7
	s_cbranch_execz .LBB100_553
; %bb.552:
	v_div_scale_f64 v[221:222], null, v[208:209], v[208:209], v[206:207]
	v_div_scale_f64 v[227:228], vcc_lo, v[206:207], v[208:209], v[206:207]
	v_rcp_f64_e32 v[223:224], v[221:222]
	v_fma_f64 v[225:226], -v[221:222], v[223:224], 1.0
	v_fma_f64 v[223:224], v[223:224], v[225:226], v[223:224]
	v_fma_f64 v[225:226], -v[221:222], v[223:224], 1.0
	v_fma_f64 v[223:224], v[223:224], v[225:226], v[223:224]
	v_mul_f64 v[225:226], v[227:228], v[223:224]
	v_fma_f64 v[221:222], -v[221:222], v[225:226], v[227:228]
	v_div_fmas_f64 v[221:222], v[221:222], v[223:224], v[225:226]
	v_div_fixup_f64 v[221:222], v[221:222], v[208:209], v[206:207]
	v_fma_f64 v[206:207], v[206:207], v[221:222], v[208:209]
	v_div_scale_f64 v[208:209], null, v[206:207], v[206:207], 1.0
	v_rcp_f64_e32 v[223:224], v[208:209]
	v_fma_f64 v[225:226], -v[208:209], v[223:224], 1.0
	v_fma_f64 v[223:224], v[223:224], v[225:226], v[223:224]
	v_fma_f64 v[225:226], -v[208:209], v[223:224], 1.0
	v_fma_f64 v[223:224], v[223:224], v[225:226], v[223:224]
	v_div_scale_f64 v[225:226], vcc_lo, 1.0, v[206:207], 1.0
	v_mul_f64 v[227:228], v[225:226], v[223:224]
	v_fma_f64 v[208:209], -v[208:209], v[227:228], v[225:226]
	v_div_fmas_f64 v[208:209], v[208:209], v[223:224], v[227:228]
	v_div_fixup_f64 v[208:209], v[208:209], v[206:207], 1.0
	v_mul_f64 v[206:207], v[221:222], v[208:209]
	v_xor_b32_e32 v209, 0x80000000, v209
.LBB100_553:
	s_andn2_saveexec_b32 s1, s1
	s_cbranch_execz .LBB100_555
; %bb.554:
	v_div_scale_f64 v[221:222], null, v[206:207], v[206:207], v[208:209]
	v_div_scale_f64 v[227:228], vcc_lo, v[208:209], v[206:207], v[208:209]
	v_rcp_f64_e32 v[223:224], v[221:222]
	v_fma_f64 v[225:226], -v[221:222], v[223:224], 1.0
	v_fma_f64 v[223:224], v[223:224], v[225:226], v[223:224]
	v_fma_f64 v[225:226], -v[221:222], v[223:224], 1.0
	v_fma_f64 v[223:224], v[223:224], v[225:226], v[223:224]
	v_mul_f64 v[225:226], v[227:228], v[223:224]
	v_fma_f64 v[221:222], -v[221:222], v[225:226], v[227:228]
	v_div_fmas_f64 v[221:222], v[221:222], v[223:224], v[225:226]
	v_div_fixup_f64 v[221:222], v[221:222], v[206:207], v[208:209]
	v_fma_f64 v[206:207], v[208:209], v[221:222], v[206:207]
	v_div_scale_f64 v[208:209], null, v[206:207], v[206:207], 1.0
	v_rcp_f64_e32 v[223:224], v[208:209]
	v_fma_f64 v[225:226], -v[208:209], v[223:224], 1.0
	v_fma_f64 v[223:224], v[223:224], v[225:226], v[223:224]
	v_fma_f64 v[225:226], -v[208:209], v[223:224], 1.0
	v_fma_f64 v[223:224], v[223:224], v[225:226], v[223:224]
	v_div_scale_f64 v[225:226], vcc_lo, 1.0, v[206:207], 1.0
	v_mul_f64 v[227:228], v[225:226], v[223:224]
	v_fma_f64 v[208:209], -v[208:209], v[227:228], v[225:226]
	v_div_fmas_f64 v[208:209], v[208:209], v[223:224], v[227:228]
	v_div_fixup_f64 v[206:207], v[208:209], v[206:207], 1.0
	v_mul_f64 v[208:209], v[221:222], -v[206:207]
.LBB100_555:
	s_or_b32 exec_lo, exec_lo, s1
.LBB100_556:
	s_or_b32 exec_lo, exec_lo, s0
	s_mov_b32 s0, exec_lo
	v_cmpx_ne_u32_e64 v220, v214
	s_xor_b32 s0, exec_lo, s0
	s_cbranch_execz .LBB100_562
; %bb.557:
	s_mov_b32 s1, exec_lo
	v_cmpx_eq_u32_e32 26, v220
	s_cbranch_execz .LBB100_561
; %bb.558:
	v_cmp_ne_u32_e32 vcc_lo, 26, v214
	s_xor_b32 s7, s16, -1
	s_and_b32 s9, s7, vcc_lo
	s_and_saveexec_b32 s7, s9
	s_cbranch_execz .LBB100_560
; %bb.559:
	v_ashrrev_i32_e32 v215, 31, v214
	v_lshlrev_b64 v[220:221], 2, v[214:215]
	v_add_co_u32 v220, vcc_lo, v212, v220
	v_add_co_ci_u32_e64 v221, null, v213, v221, vcc_lo
	s_clause 0x1
	global_load_dword v0, v[220:221], off
	global_load_dword v215, v[212:213], off offset:104
	s_waitcnt vmcnt(1)
	global_store_dword v[212:213], v0, off offset:104
	s_waitcnt vmcnt(0)
	global_store_dword v[220:221], v215, off
.LBB100_560:
	s_or_b32 exec_lo, exec_lo, s7
	v_mov_b32_e32 v220, v214
	v_mov_b32_e32 v0, v214
.LBB100_561:
	s_or_b32 exec_lo, exec_lo, s1
.LBB100_562:
	s_andn2_saveexec_b32 s0, s0
	s_cbranch_execz .LBB100_564
; %bb.563:
	v_mov_b32_e32 v220, 26
	ds_write2_b64 v1, v[94:95], v[96:97] offset0:54 offset1:55
	ds_write2_b64 v1, v[90:91], v[92:93] offset0:56 offset1:57
	;; [unrolled: 1-line block ×24, first 2 shown]
.LBB100_564:
	s_or_b32 exec_lo, exec_lo, s0
	s_mov_b32 s0, exec_lo
	s_waitcnt lgkmcnt(0)
	s_waitcnt_vscnt null, 0x0
	s_barrier
	buffer_gl0_inv
	v_cmpx_lt_i32_e32 26, v220
	s_cbranch_execz .LBB100_566
; %bb.565:
	v_mul_f64 v[214:215], v[208:209], v[100:101]
	v_mul_f64 v[100:101], v[206:207], v[100:101]
	v_fma_f64 v[214:215], v[206:207], v[98:99], -v[214:215]
	v_fma_f64 v[100:101], v[208:209], v[98:99], v[100:101]
	ds_read2_b64 v[206:209], v1 offset0:54 offset1:55
	s_waitcnt lgkmcnt(0)
	v_mul_f64 v[98:99], v[208:209], v[100:101]
	v_fma_f64 v[98:99], v[206:207], v[214:215], -v[98:99]
	v_mul_f64 v[206:207], v[206:207], v[100:101]
	v_add_f64 v[94:95], v[94:95], -v[98:99]
	v_fma_f64 v[206:207], v[208:209], v[214:215], v[206:207]
	v_add_f64 v[96:97], v[96:97], -v[206:207]
	ds_read2_b64 v[206:209], v1 offset0:56 offset1:57
	s_waitcnt lgkmcnt(0)
	v_mul_f64 v[98:99], v[208:209], v[100:101]
	v_fma_f64 v[98:99], v[206:207], v[214:215], -v[98:99]
	v_mul_f64 v[206:207], v[206:207], v[100:101]
	v_add_f64 v[90:91], v[90:91], -v[98:99]
	v_fma_f64 v[206:207], v[208:209], v[214:215], v[206:207]
	v_add_f64 v[92:93], v[92:93], -v[206:207]
	;; [unrolled: 8-line block ×23, first 2 shown]
	ds_read2_b64 v[206:209], v1 offset0:100 offset1:101
	s_waitcnt lgkmcnt(0)
	v_mul_f64 v[98:99], v[208:209], v[100:101]
	v_fma_f64 v[98:99], v[206:207], v[214:215], -v[98:99]
	v_mul_f64 v[206:207], v[206:207], v[100:101]
	v_add_f64 v[2:3], v[2:3], -v[98:99]
	v_fma_f64 v[206:207], v[208:209], v[214:215], v[206:207]
	v_mov_b32_e32 v98, v214
	v_mov_b32_e32 v99, v215
	v_add_f64 v[4:5], v[4:5], -v[206:207]
.LBB100_566:
	s_or_b32 exec_lo, exec_lo, s0
	v_lshl_add_u32 v206, v220, 4, v1
	s_barrier
	buffer_gl0_inv
	v_mov_b32_e32 v214, 27
	ds_write2_b64 v206, v[94:95], v[96:97] offset1:1
	s_waitcnt lgkmcnt(0)
	s_barrier
	buffer_gl0_inv
	ds_read2_b64 v[206:209], v1 offset0:54 offset1:55
	s_cmp_lt_i32 s8, 29
	s_cbranch_scc1 .LBB100_569
; %bb.567:
	v_add3_u32 v215, v216, 0, 0x1c0
	v_mov_b32_e32 v214, 27
	s_mov_b32 s1, 28
	s_inst_prefetch 0x1
	.p2align	6
.LBB100_568:                            ; =>This Inner Loop Header: Depth=1
	s_waitcnt lgkmcnt(0)
	v_cmp_gt_f64_e32 vcc_lo, 0, v[208:209]
	v_cmp_gt_f64_e64 s0, 0, v[206:207]
	ds_read2_b64 v[221:224], v215 offset1:1
	v_xor_b32_e32 v226, 0x80000000, v207
	v_xor_b32_e32 v228, 0x80000000, v209
	v_mov_b32_e32 v225, v206
	v_mov_b32_e32 v227, v208
	v_add_nc_u32_e32 v215, 16, v215
	s_waitcnt lgkmcnt(0)
	v_xor_b32_e32 v230, 0x80000000, v224
	v_cndmask_b32_e64 v226, v207, v226, s0
	v_cndmask_b32_e32 v228, v209, v228, vcc_lo
	v_cmp_gt_f64_e32 vcc_lo, 0, v[223:224]
	v_cmp_gt_f64_e64 s0, 0, v[221:222]
	v_mov_b32_e32 v229, v223
	v_add_f64 v[225:226], v[225:226], v[227:228]
	v_xor_b32_e32 v228, 0x80000000, v222
	v_mov_b32_e32 v227, v221
	v_cndmask_b32_e32 v230, v224, v230, vcc_lo
	v_cndmask_b32_e64 v228, v222, v228, s0
	v_add_f64 v[227:228], v[227:228], v[229:230]
	v_cmp_lt_f64_e32 vcc_lo, v[225:226], v[227:228]
	v_cndmask_b32_e32 v207, v207, v222, vcc_lo
	v_cndmask_b32_e32 v206, v206, v221, vcc_lo
	;; [unrolled: 1-line block ×4, first 2 shown]
	v_cndmask_b32_e64 v214, v214, s1, vcc_lo
	s_add_i32 s1, s1, 1
	s_cmp_lg_u32 s8, s1
	s_cbranch_scc1 .LBB100_568
.LBB100_569:
	s_inst_prefetch 0x2
	s_waitcnt lgkmcnt(0)
	v_cmp_eq_f64_e32 vcc_lo, 0, v[206:207]
	v_cmp_eq_f64_e64 s0, 0, v[208:209]
	s_and_b32 s0, vcc_lo, s0
	s_and_saveexec_b32 s1, s0
	s_xor_b32 s0, exec_lo, s1
; %bb.570:
	v_cmp_ne_u32_e32 vcc_lo, 0, v219
	v_cndmask_b32_e32 v219, 28, v219, vcc_lo
; %bb.571:
	s_andn2_saveexec_b32 s0, s0
	s_cbranch_execz .LBB100_577
; %bb.572:
	v_cmp_ngt_f64_e64 s1, |v[206:207]|, |v[208:209]|
	s_and_saveexec_b32 s7, s1
	s_xor_b32 s1, exec_lo, s7
	s_cbranch_execz .LBB100_574
; %bb.573:
	v_div_scale_f64 v[221:222], null, v[208:209], v[208:209], v[206:207]
	v_div_scale_f64 v[227:228], vcc_lo, v[206:207], v[208:209], v[206:207]
	v_rcp_f64_e32 v[223:224], v[221:222]
	v_fma_f64 v[225:226], -v[221:222], v[223:224], 1.0
	v_fma_f64 v[223:224], v[223:224], v[225:226], v[223:224]
	v_fma_f64 v[225:226], -v[221:222], v[223:224], 1.0
	v_fma_f64 v[223:224], v[223:224], v[225:226], v[223:224]
	v_mul_f64 v[225:226], v[227:228], v[223:224]
	v_fma_f64 v[221:222], -v[221:222], v[225:226], v[227:228]
	v_div_fmas_f64 v[221:222], v[221:222], v[223:224], v[225:226]
	v_div_fixup_f64 v[221:222], v[221:222], v[208:209], v[206:207]
	v_fma_f64 v[206:207], v[206:207], v[221:222], v[208:209]
	v_div_scale_f64 v[208:209], null, v[206:207], v[206:207], 1.0
	v_rcp_f64_e32 v[223:224], v[208:209]
	v_fma_f64 v[225:226], -v[208:209], v[223:224], 1.0
	v_fma_f64 v[223:224], v[223:224], v[225:226], v[223:224]
	v_fma_f64 v[225:226], -v[208:209], v[223:224], 1.0
	v_fma_f64 v[223:224], v[223:224], v[225:226], v[223:224]
	v_div_scale_f64 v[225:226], vcc_lo, 1.0, v[206:207], 1.0
	v_mul_f64 v[227:228], v[225:226], v[223:224]
	v_fma_f64 v[208:209], -v[208:209], v[227:228], v[225:226]
	v_div_fmas_f64 v[208:209], v[208:209], v[223:224], v[227:228]
	v_div_fixup_f64 v[208:209], v[208:209], v[206:207], 1.0
	v_mul_f64 v[206:207], v[221:222], v[208:209]
	v_xor_b32_e32 v209, 0x80000000, v209
.LBB100_574:
	s_andn2_saveexec_b32 s1, s1
	s_cbranch_execz .LBB100_576
; %bb.575:
	v_div_scale_f64 v[221:222], null, v[206:207], v[206:207], v[208:209]
	v_div_scale_f64 v[227:228], vcc_lo, v[208:209], v[206:207], v[208:209]
	v_rcp_f64_e32 v[223:224], v[221:222]
	v_fma_f64 v[225:226], -v[221:222], v[223:224], 1.0
	v_fma_f64 v[223:224], v[223:224], v[225:226], v[223:224]
	v_fma_f64 v[225:226], -v[221:222], v[223:224], 1.0
	v_fma_f64 v[223:224], v[223:224], v[225:226], v[223:224]
	v_mul_f64 v[225:226], v[227:228], v[223:224]
	v_fma_f64 v[221:222], -v[221:222], v[225:226], v[227:228]
	v_div_fmas_f64 v[221:222], v[221:222], v[223:224], v[225:226]
	v_div_fixup_f64 v[221:222], v[221:222], v[206:207], v[208:209]
	v_fma_f64 v[206:207], v[208:209], v[221:222], v[206:207]
	v_div_scale_f64 v[208:209], null, v[206:207], v[206:207], 1.0
	v_rcp_f64_e32 v[223:224], v[208:209]
	v_fma_f64 v[225:226], -v[208:209], v[223:224], 1.0
	v_fma_f64 v[223:224], v[223:224], v[225:226], v[223:224]
	v_fma_f64 v[225:226], -v[208:209], v[223:224], 1.0
	v_fma_f64 v[223:224], v[223:224], v[225:226], v[223:224]
	v_div_scale_f64 v[225:226], vcc_lo, 1.0, v[206:207], 1.0
	v_mul_f64 v[227:228], v[225:226], v[223:224]
	v_fma_f64 v[208:209], -v[208:209], v[227:228], v[225:226]
	v_div_fmas_f64 v[208:209], v[208:209], v[223:224], v[227:228]
	v_div_fixup_f64 v[206:207], v[208:209], v[206:207], 1.0
	v_mul_f64 v[208:209], v[221:222], -v[206:207]
.LBB100_576:
	s_or_b32 exec_lo, exec_lo, s1
.LBB100_577:
	s_or_b32 exec_lo, exec_lo, s0
	s_mov_b32 s0, exec_lo
	v_cmpx_ne_u32_e64 v220, v214
	s_xor_b32 s0, exec_lo, s0
	s_cbranch_execz .LBB100_583
; %bb.578:
	s_mov_b32 s1, exec_lo
	v_cmpx_eq_u32_e32 27, v220
	s_cbranch_execz .LBB100_582
; %bb.579:
	v_cmp_ne_u32_e32 vcc_lo, 27, v214
	s_xor_b32 s7, s16, -1
	s_and_b32 s9, s7, vcc_lo
	s_and_saveexec_b32 s7, s9
	s_cbranch_execz .LBB100_581
; %bb.580:
	v_ashrrev_i32_e32 v215, 31, v214
	v_lshlrev_b64 v[220:221], 2, v[214:215]
	v_add_co_u32 v220, vcc_lo, v212, v220
	v_add_co_ci_u32_e64 v221, null, v213, v221, vcc_lo
	s_clause 0x1
	global_load_dword v0, v[220:221], off
	global_load_dword v215, v[212:213], off offset:108
	s_waitcnt vmcnt(1)
	global_store_dword v[212:213], v0, off offset:108
	s_waitcnt vmcnt(0)
	global_store_dword v[220:221], v215, off
.LBB100_581:
	s_or_b32 exec_lo, exec_lo, s7
	v_mov_b32_e32 v220, v214
	v_mov_b32_e32 v0, v214
.LBB100_582:
	s_or_b32 exec_lo, exec_lo, s1
.LBB100_583:
	s_andn2_saveexec_b32 s0, s0
	s_cbranch_execz .LBB100_585
; %bb.584:
	v_mov_b32_e32 v220, 27
	ds_write2_b64 v1, v[90:91], v[92:93] offset0:56 offset1:57
	ds_write2_b64 v1, v[86:87], v[88:89] offset0:58 offset1:59
	;; [unrolled: 1-line block ×23, first 2 shown]
.LBB100_585:
	s_or_b32 exec_lo, exec_lo, s0
	s_mov_b32 s0, exec_lo
	s_waitcnt lgkmcnt(0)
	s_waitcnt_vscnt null, 0x0
	s_barrier
	buffer_gl0_inv
	v_cmpx_lt_i32_e32 27, v220
	s_cbranch_execz .LBB100_587
; %bb.586:
	v_mul_f64 v[214:215], v[208:209], v[96:97]
	v_mul_f64 v[96:97], v[206:207], v[96:97]
	v_fma_f64 v[214:215], v[206:207], v[94:95], -v[214:215]
	v_fma_f64 v[96:97], v[208:209], v[94:95], v[96:97]
	ds_read2_b64 v[206:209], v1 offset0:56 offset1:57
	s_waitcnt lgkmcnt(0)
	v_mul_f64 v[94:95], v[208:209], v[96:97]
	v_fma_f64 v[94:95], v[206:207], v[214:215], -v[94:95]
	v_mul_f64 v[206:207], v[206:207], v[96:97]
	v_add_f64 v[90:91], v[90:91], -v[94:95]
	v_fma_f64 v[206:207], v[208:209], v[214:215], v[206:207]
	v_add_f64 v[92:93], v[92:93], -v[206:207]
	ds_read2_b64 v[206:209], v1 offset0:58 offset1:59
	s_waitcnt lgkmcnt(0)
	v_mul_f64 v[94:95], v[208:209], v[96:97]
	v_fma_f64 v[94:95], v[206:207], v[214:215], -v[94:95]
	v_mul_f64 v[206:207], v[206:207], v[96:97]
	v_add_f64 v[86:87], v[86:87], -v[94:95]
	v_fma_f64 v[206:207], v[208:209], v[214:215], v[206:207]
	v_add_f64 v[88:89], v[88:89], -v[206:207]
	;; [unrolled: 8-line block ×22, first 2 shown]
	ds_read2_b64 v[206:209], v1 offset0:100 offset1:101
	s_waitcnt lgkmcnt(0)
	v_mul_f64 v[94:95], v[208:209], v[96:97]
	v_fma_f64 v[94:95], v[206:207], v[214:215], -v[94:95]
	v_mul_f64 v[206:207], v[206:207], v[96:97]
	v_add_f64 v[2:3], v[2:3], -v[94:95]
	v_fma_f64 v[206:207], v[208:209], v[214:215], v[206:207]
	v_mov_b32_e32 v94, v214
	v_mov_b32_e32 v95, v215
	v_add_f64 v[4:5], v[4:5], -v[206:207]
.LBB100_587:
	s_or_b32 exec_lo, exec_lo, s0
	v_lshl_add_u32 v206, v220, 4, v1
	s_barrier
	buffer_gl0_inv
	v_mov_b32_e32 v214, 28
	ds_write2_b64 v206, v[90:91], v[92:93] offset1:1
	s_waitcnt lgkmcnt(0)
	s_barrier
	buffer_gl0_inv
	ds_read2_b64 v[206:209], v1 offset0:56 offset1:57
	s_cmp_lt_i32 s8, 30
	s_cbranch_scc1 .LBB100_590
; %bb.588:
	v_add3_u32 v215, v216, 0, 0x1d0
	v_mov_b32_e32 v214, 28
	s_mov_b32 s1, 29
	s_inst_prefetch 0x1
	.p2align	6
.LBB100_589:                            ; =>This Inner Loop Header: Depth=1
	s_waitcnt lgkmcnt(0)
	v_cmp_gt_f64_e32 vcc_lo, 0, v[208:209]
	v_cmp_gt_f64_e64 s0, 0, v[206:207]
	ds_read2_b64 v[221:224], v215 offset1:1
	v_xor_b32_e32 v226, 0x80000000, v207
	v_xor_b32_e32 v228, 0x80000000, v209
	v_mov_b32_e32 v225, v206
	v_mov_b32_e32 v227, v208
	v_add_nc_u32_e32 v215, 16, v215
	s_waitcnt lgkmcnt(0)
	v_xor_b32_e32 v230, 0x80000000, v224
	v_cndmask_b32_e64 v226, v207, v226, s0
	v_cndmask_b32_e32 v228, v209, v228, vcc_lo
	v_cmp_gt_f64_e32 vcc_lo, 0, v[223:224]
	v_cmp_gt_f64_e64 s0, 0, v[221:222]
	v_mov_b32_e32 v229, v223
	v_add_f64 v[225:226], v[225:226], v[227:228]
	v_xor_b32_e32 v228, 0x80000000, v222
	v_mov_b32_e32 v227, v221
	v_cndmask_b32_e32 v230, v224, v230, vcc_lo
	v_cndmask_b32_e64 v228, v222, v228, s0
	v_add_f64 v[227:228], v[227:228], v[229:230]
	v_cmp_lt_f64_e32 vcc_lo, v[225:226], v[227:228]
	v_cndmask_b32_e32 v207, v207, v222, vcc_lo
	v_cndmask_b32_e32 v206, v206, v221, vcc_lo
	;; [unrolled: 1-line block ×4, first 2 shown]
	v_cndmask_b32_e64 v214, v214, s1, vcc_lo
	s_add_i32 s1, s1, 1
	s_cmp_lg_u32 s8, s1
	s_cbranch_scc1 .LBB100_589
.LBB100_590:
	s_inst_prefetch 0x2
	s_waitcnt lgkmcnt(0)
	v_cmp_eq_f64_e32 vcc_lo, 0, v[206:207]
	v_cmp_eq_f64_e64 s0, 0, v[208:209]
	s_and_b32 s0, vcc_lo, s0
	s_and_saveexec_b32 s1, s0
	s_xor_b32 s0, exec_lo, s1
; %bb.591:
	v_cmp_ne_u32_e32 vcc_lo, 0, v219
	v_cndmask_b32_e32 v219, 29, v219, vcc_lo
; %bb.592:
	s_andn2_saveexec_b32 s0, s0
	s_cbranch_execz .LBB100_598
; %bb.593:
	v_cmp_ngt_f64_e64 s1, |v[206:207]|, |v[208:209]|
	s_and_saveexec_b32 s7, s1
	s_xor_b32 s1, exec_lo, s7
	s_cbranch_execz .LBB100_595
; %bb.594:
	v_div_scale_f64 v[221:222], null, v[208:209], v[208:209], v[206:207]
	v_div_scale_f64 v[227:228], vcc_lo, v[206:207], v[208:209], v[206:207]
	v_rcp_f64_e32 v[223:224], v[221:222]
	v_fma_f64 v[225:226], -v[221:222], v[223:224], 1.0
	v_fma_f64 v[223:224], v[223:224], v[225:226], v[223:224]
	v_fma_f64 v[225:226], -v[221:222], v[223:224], 1.0
	v_fma_f64 v[223:224], v[223:224], v[225:226], v[223:224]
	v_mul_f64 v[225:226], v[227:228], v[223:224]
	v_fma_f64 v[221:222], -v[221:222], v[225:226], v[227:228]
	v_div_fmas_f64 v[221:222], v[221:222], v[223:224], v[225:226]
	v_div_fixup_f64 v[221:222], v[221:222], v[208:209], v[206:207]
	v_fma_f64 v[206:207], v[206:207], v[221:222], v[208:209]
	v_div_scale_f64 v[208:209], null, v[206:207], v[206:207], 1.0
	v_rcp_f64_e32 v[223:224], v[208:209]
	v_fma_f64 v[225:226], -v[208:209], v[223:224], 1.0
	v_fma_f64 v[223:224], v[223:224], v[225:226], v[223:224]
	v_fma_f64 v[225:226], -v[208:209], v[223:224], 1.0
	v_fma_f64 v[223:224], v[223:224], v[225:226], v[223:224]
	v_div_scale_f64 v[225:226], vcc_lo, 1.0, v[206:207], 1.0
	v_mul_f64 v[227:228], v[225:226], v[223:224]
	v_fma_f64 v[208:209], -v[208:209], v[227:228], v[225:226]
	v_div_fmas_f64 v[208:209], v[208:209], v[223:224], v[227:228]
	v_div_fixup_f64 v[208:209], v[208:209], v[206:207], 1.0
	v_mul_f64 v[206:207], v[221:222], v[208:209]
	v_xor_b32_e32 v209, 0x80000000, v209
.LBB100_595:
	s_andn2_saveexec_b32 s1, s1
	s_cbranch_execz .LBB100_597
; %bb.596:
	v_div_scale_f64 v[221:222], null, v[206:207], v[206:207], v[208:209]
	v_div_scale_f64 v[227:228], vcc_lo, v[208:209], v[206:207], v[208:209]
	v_rcp_f64_e32 v[223:224], v[221:222]
	v_fma_f64 v[225:226], -v[221:222], v[223:224], 1.0
	v_fma_f64 v[223:224], v[223:224], v[225:226], v[223:224]
	v_fma_f64 v[225:226], -v[221:222], v[223:224], 1.0
	v_fma_f64 v[223:224], v[223:224], v[225:226], v[223:224]
	v_mul_f64 v[225:226], v[227:228], v[223:224]
	v_fma_f64 v[221:222], -v[221:222], v[225:226], v[227:228]
	v_div_fmas_f64 v[221:222], v[221:222], v[223:224], v[225:226]
	v_div_fixup_f64 v[221:222], v[221:222], v[206:207], v[208:209]
	v_fma_f64 v[206:207], v[208:209], v[221:222], v[206:207]
	v_div_scale_f64 v[208:209], null, v[206:207], v[206:207], 1.0
	v_rcp_f64_e32 v[223:224], v[208:209]
	v_fma_f64 v[225:226], -v[208:209], v[223:224], 1.0
	v_fma_f64 v[223:224], v[223:224], v[225:226], v[223:224]
	v_fma_f64 v[225:226], -v[208:209], v[223:224], 1.0
	v_fma_f64 v[223:224], v[223:224], v[225:226], v[223:224]
	v_div_scale_f64 v[225:226], vcc_lo, 1.0, v[206:207], 1.0
	v_mul_f64 v[227:228], v[225:226], v[223:224]
	v_fma_f64 v[208:209], -v[208:209], v[227:228], v[225:226]
	v_div_fmas_f64 v[208:209], v[208:209], v[223:224], v[227:228]
	v_div_fixup_f64 v[206:207], v[208:209], v[206:207], 1.0
	v_mul_f64 v[208:209], v[221:222], -v[206:207]
.LBB100_597:
	s_or_b32 exec_lo, exec_lo, s1
.LBB100_598:
	s_or_b32 exec_lo, exec_lo, s0
	s_mov_b32 s0, exec_lo
	v_cmpx_ne_u32_e64 v220, v214
	s_xor_b32 s0, exec_lo, s0
	s_cbranch_execz .LBB100_604
; %bb.599:
	s_mov_b32 s1, exec_lo
	v_cmpx_eq_u32_e32 28, v220
	s_cbranch_execz .LBB100_603
; %bb.600:
	v_cmp_ne_u32_e32 vcc_lo, 28, v214
	s_xor_b32 s7, s16, -1
	s_and_b32 s9, s7, vcc_lo
	s_and_saveexec_b32 s7, s9
	s_cbranch_execz .LBB100_602
; %bb.601:
	v_ashrrev_i32_e32 v215, 31, v214
	v_lshlrev_b64 v[220:221], 2, v[214:215]
	v_add_co_u32 v220, vcc_lo, v212, v220
	v_add_co_ci_u32_e64 v221, null, v213, v221, vcc_lo
	s_clause 0x1
	global_load_dword v0, v[220:221], off
	global_load_dword v215, v[212:213], off offset:112
	s_waitcnt vmcnt(1)
	global_store_dword v[212:213], v0, off offset:112
	s_waitcnt vmcnt(0)
	global_store_dword v[220:221], v215, off
.LBB100_602:
	s_or_b32 exec_lo, exec_lo, s7
	v_mov_b32_e32 v220, v214
	v_mov_b32_e32 v0, v214
.LBB100_603:
	s_or_b32 exec_lo, exec_lo, s1
.LBB100_604:
	s_andn2_saveexec_b32 s0, s0
	s_cbranch_execz .LBB100_606
; %bb.605:
	v_mov_b32_e32 v220, 28
	ds_write2_b64 v1, v[86:87], v[88:89] offset0:58 offset1:59
	ds_write2_b64 v1, v[82:83], v[84:85] offset0:60 offset1:61
	;; [unrolled: 1-line block ×22, first 2 shown]
.LBB100_606:
	s_or_b32 exec_lo, exec_lo, s0
	s_mov_b32 s0, exec_lo
	s_waitcnt lgkmcnt(0)
	s_waitcnt_vscnt null, 0x0
	s_barrier
	buffer_gl0_inv
	v_cmpx_lt_i32_e32 28, v220
	s_cbranch_execz .LBB100_608
; %bb.607:
	v_mul_f64 v[214:215], v[208:209], v[92:93]
	v_mul_f64 v[92:93], v[206:207], v[92:93]
	v_fma_f64 v[214:215], v[206:207], v[90:91], -v[214:215]
	v_fma_f64 v[92:93], v[208:209], v[90:91], v[92:93]
	ds_read2_b64 v[206:209], v1 offset0:58 offset1:59
	s_waitcnt lgkmcnt(0)
	v_mul_f64 v[90:91], v[208:209], v[92:93]
	v_fma_f64 v[90:91], v[206:207], v[214:215], -v[90:91]
	v_mul_f64 v[206:207], v[206:207], v[92:93]
	v_add_f64 v[86:87], v[86:87], -v[90:91]
	v_fma_f64 v[206:207], v[208:209], v[214:215], v[206:207]
	v_add_f64 v[88:89], v[88:89], -v[206:207]
	ds_read2_b64 v[206:209], v1 offset0:60 offset1:61
	s_waitcnt lgkmcnt(0)
	v_mul_f64 v[90:91], v[208:209], v[92:93]
	v_fma_f64 v[90:91], v[206:207], v[214:215], -v[90:91]
	v_mul_f64 v[206:207], v[206:207], v[92:93]
	v_add_f64 v[82:83], v[82:83], -v[90:91]
	v_fma_f64 v[206:207], v[208:209], v[214:215], v[206:207]
	v_add_f64 v[84:85], v[84:85], -v[206:207]
	ds_read2_b64 v[206:209], v1 offset0:62 offset1:63
	s_waitcnt lgkmcnt(0)
	v_mul_f64 v[90:91], v[208:209], v[92:93]
	v_fma_f64 v[90:91], v[206:207], v[214:215], -v[90:91]
	v_mul_f64 v[206:207], v[206:207], v[92:93]
	v_add_f64 v[78:79], v[78:79], -v[90:91]
	v_fma_f64 v[206:207], v[208:209], v[214:215], v[206:207]
	v_add_f64 v[80:81], v[80:81], -v[206:207]
	ds_read2_b64 v[206:209], v1 offset0:64 offset1:65
	s_waitcnt lgkmcnt(0)
	v_mul_f64 v[90:91], v[208:209], v[92:93]
	v_fma_f64 v[90:91], v[206:207], v[214:215], -v[90:91]
	v_mul_f64 v[206:207], v[206:207], v[92:93]
	v_add_f64 v[74:75], v[74:75], -v[90:91]
	v_fma_f64 v[206:207], v[208:209], v[214:215], v[206:207]
	v_add_f64 v[76:77], v[76:77], -v[206:207]
	ds_read2_b64 v[206:209], v1 offset0:66 offset1:67
	s_waitcnt lgkmcnt(0)
	v_mul_f64 v[90:91], v[208:209], v[92:93]
	v_fma_f64 v[90:91], v[206:207], v[214:215], -v[90:91]
	v_mul_f64 v[206:207], v[206:207], v[92:93]
	v_add_f64 v[70:71], v[70:71], -v[90:91]
	v_fma_f64 v[206:207], v[208:209], v[214:215], v[206:207]
	v_add_f64 v[72:73], v[72:73], -v[206:207]
	ds_read2_b64 v[206:209], v1 offset0:68 offset1:69
	s_waitcnt lgkmcnt(0)
	v_mul_f64 v[90:91], v[208:209], v[92:93]
	v_fma_f64 v[90:91], v[206:207], v[214:215], -v[90:91]
	v_mul_f64 v[206:207], v[206:207], v[92:93]
	v_add_f64 v[66:67], v[66:67], -v[90:91]
	v_fma_f64 v[206:207], v[208:209], v[214:215], v[206:207]
	v_add_f64 v[68:69], v[68:69], -v[206:207]
	ds_read2_b64 v[206:209], v1 offset0:70 offset1:71
	s_waitcnt lgkmcnt(0)
	v_mul_f64 v[90:91], v[208:209], v[92:93]
	v_fma_f64 v[90:91], v[206:207], v[214:215], -v[90:91]
	v_mul_f64 v[206:207], v[206:207], v[92:93]
	v_add_f64 v[62:63], v[62:63], -v[90:91]
	v_fma_f64 v[206:207], v[208:209], v[214:215], v[206:207]
	v_add_f64 v[64:65], v[64:65], -v[206:207]
	ds_read2_b64 v[206:209], v1 offset0:72 offset1:73
	s_waitcnt lgkmcnt(0)
	v_mul_f64 v[90:91], v[208:209], v[92:93]
	v_fma_f64 v[90:91], v[206:207], v[214:215], -v[90:91]
	v_mul_f64 v[206:207], v[206:207], v[92:93]
	v_add_f64 v[58:59], v[58:59], -v[90:91]
	v_fma_f64 v[206:207], v[208:209], v[214:215], v[206:207]
	v_add_f64 v[60:61], v[60:61], -v[206:207]
	ds_read2_b64 v[206:209], v1 offset0:74 offset1:75
	s_waitcnt lgkmcnt(0)
	v_mul_f64 v[90:91], v[208:209], v[92:93]
	v_fma_f64 v[90:91], v[206:207], v[214:215], -v[90:91]
	v_mul_f64 v[206:207], v[206:207], v[92:93]
	v_add_f64 v[54:55], v[54:55], -v[90:91]
	v_fma_f64 v[206:207], v[208:209], v[214:215], v[206:207]
	v_add_f64 v[56:57], v[56:57], -v[206:207]
	ds_read2_b64 v[206:209], v1 offset0:76 offset1:77
	s_waitcnt lgkmcnt(0)
	v_mul_f64 v[90:91], v[208:209], v[92:93]
	v_fma_f64 v[90:91], v[206:207], v[214:215], -v[90:91]
	v_mul_f64 v[206:207], v[206:207], v[92:93]
	v_add_f64 v[50:51], v[50:51], -v[90:91]
	v_fma_f64 v[206:207], v[208:209], v[214:215], v[206:207]
	v_add_f64 v[52:53], v[52:53], -v[206:207]
	ds_read2_b64 v[206:209], v1 offset0:78 offset1:79
	s_waitcnt lgkmcnt(0)
	v_mul_f64 v[90:91], v[208:209], v[92:93]
	v_fma_f64 v[90:91], v[206:207], v[214:215], -v[90:91]
	v_mul_f64 v[206:207], v[206:207], v[92:93]
	v_add_f64 v[46:47], v[46:47], -v[90:91]
	v_fma_f64 v[206:207], v[208:209], v[214:215], v[206:207]
	v_add_f64 v[48:49], v[48:49], -v[206:207]
	ds_read2_b64 v[206:209], v1 offset0:80 offset1:81
	s_waitcnt lgkmcnt(0)
	v_mul_f64 v[90:91], v[208:209], v[92:93]
	v_fma_f64 v[90:91], v[206:207], v[214:215], -v[90:91]
	v_mul_f64 v[206:207], v[206:207], v[92:93]
	v_add_f64 v[42:43], v[42:43], -v[90:91]
	v_fma_f64 v[206:207], v[208:209], v[214:215], v[206:207]
	v_add_f64 v[44:45], v[44:45], -v[206:207]
	ds_read2_b64 v[206:209], v1 offset0:82 offset1:83
	s_waitcnt lgkmcnt(0)
	v_mul_f64 v[90:91], v[208:209], v[92:93]
	v_fma_f64 v[90:91], v[206:207], v[214:215], -v[90:91]
	v_mul_f64 v[206:207], v[206:207], v[92:93]
	v_add_f64 v[38:39], v[38:39], -v[90:91]
	v_fma_f64 v[206:207], v[208:209], v[214:215], v[206:207]
	v_add_f64 v[40:41], v[40:41], -v[206:207]
	ds_read2_b64 v[206:209], v1 offset0:84 offset1:85
	s_waitcnt lgkmcnt(0)
	v_mul_f64 v[90:91], v[208:209], v[92:93]
	v_fma_f64 v[90:91], v[206:207], v[214:215], -v[90:91]
	v_mul_f64 v[206:207], v[206:207], v[92:93]
	v_add_f64 v[34:35], v[34:35], -v[90:91]
	v_fma_f64 v[206:207], v[208:209], v[214:215], v[206:207]
	v_add_f64 v[36:37], v[36:37], -v[206:207]
	ds_read2_b64 v[206:209], v1 offset0:86 offset1:87
	s_waitcnt lgkmcnt(0)
	v_mul_f64 v[90:91], v[208:209], v[92:93]
	v_fma_f64 v[90:91], v[206:207], v[214:215], -v[90:91]
	v_mul_f64 v[206:207], v[206:207], v[92:93]
	v_add_f64 v[30:31], v[30:31], -v[90:91]
	v_fma_f64 v[206:207], v[208:209], v[214:215], v[206:207]
	v_add_f64 v[32:33], v[32:33], -v[206:207]
	ds_read2_b64 v[206:209], v1 offset0:88 offset1:89
	s_waitcnt lgkmcnt(0)
	v_mul_f64 v[90:91], v[208:209], v[92:93]
	v_fma_f64 v[90:91], v[206:207], v[214:215], -v[90:91]
	v_mul_f64 v[206:207], v[206:207], v[92:93]
	v_add_f64 v[26:27], v[26:27], -v[90:91]
	v_fma_f64 v[206:207], v[208:209], v[214:215], v[206:207]
	v_add_f64 v[28:29], v[28:29], -v[206:207]
	ds_read2_b64 v[206:209], v1 offset0:90 offset1:91
	s_waitcnt lgkmcnt(0)
	v_mul_f64 v[90:91], v[208:209], v[92:93]
	v_fma_f64 v[90:91], v[206:207], v[214:215], -v[90:91]
	v_mul_f64 v[206:207], v[206:207], v[92:93]
	v_add_f64 v[22:23], v[22:23], -v[90:91]
	v_fma_f64 v[206:207], v[208:209], v[214:215], v[206:207]
	v_add_f64 v[24:25], v[24:25], -v[206:207]
	ds_read2_b64 v[206:209], v1 offset0:92 offset1:93
	s_waitcnt lgkmcnt(0)
	v_mul_f64 v[90:91], v[208:209], v[92:93]
	v_fma_f64 v[90:91], v[206:207], v[214:215], -v[90:91]
	v_mul_f64 v[206:207], v[206:207], v[92:93]
	v_add_f64 v[18:19], v[18:19], -v[90:91]
	v_fma_f64 v[206:207], v[208:209], v[214:215], v[206:207]
	v_add_f64 v[20:21], v[20:21], -v[206:207]
	ds_read2_b64 v[206:209], v1 offset0:94 offset1:95
	s_waitcnt lgkmcnt(0)
	v_mul_f64 v[90:91], v[208:209], v[92:93]
	v_fma_f64 v[90:91], v[206:207], v[214:215], -v[90:91]
	v_mul_f64 v[206:207], v[206:207], v[92:93]
	v_add_f64 v[14:15], v[14:15], -v[90:91]
	v_fma_f64 v[206:207], v[208:209], v[214:215], v[206:207]
	v_add_f64 v[16:17], v[16:17], -v[206:207]
	ds_read2_b64 v[206:209], v1 offset0:96 offset1:97
	s_waitcnt lgkmcnt(0)
	v_mul_f64 v[90:91], v[208:209], v[92:93]
	v_fma_f64 v[90:91], v[206:207], v[214:215], -v[90:91]
	v_mul_f64 v[206:207], v[206:207], v[92:93]
	v_add_f64 v[10:11], v[10:11], -v[90:91]
	v_fma_f64 v[206:207], v[208:209], v[214:215], v[206:207]
	v_add_f64 v[12:13], v[12:13], -v[206:207]
	ds_read2_b64 v[206:209], v1 offset0:98 offset1:99
	s_waitcnt lgkmcnt(0)
	v_mul_f64 v[90:91], v[208:209], v[92:93]
	v_fma_f64 v[90:91], v[206:207], v[214:215], -v[90:91]
	v_mul_f64 v[206:207], v[206:207], v[92:93]
	v_add_f64 v[6:7], v[6:7], -v[90:91]
	v_fma_f64 v[206:207], v[208:209], v[214:215], v[206:207]
	v_add_f64 v[8:9], v[8:9], -v[206:207]
	ds_read2_b64 v[206:209], v1 offset0:100 offset1:101
	s_waitcnt lgkmcnt(0)
	v_mul_f64 v[90:91], v[208:209], v[92:93]
	v_fma_f64 v[90:91], v[206:207], v[214:215], -v[90:91]
	v_mul_f64 v[206:207], v[206:207], v[92:93]
	v_add_f64 v[2:3], v[2:3], -v[90:91]
	v_fma_f64 v[206:207], v[208:209], v[214:215], v[206:207]
	v_mov_b32_e32 v90, v214
	v_mov_b32_e32 v91, v215
	v_add_f64 v[4:5], v[4:5], -v[206:207]
.LBB100_608:
	s_or_b32 exec_lo, exec_lo, s0
	v_lshl_add_u32 v206, v220, 4, v1
	s_barrier
	buffer_gl0_inv
	v_mov_b32_e32 v214, 29
	ds_write2_b64 v206, v[86:87], v[88:89] offset1:1
	s_waitcnt lgkmcnt(0)
	s_barrier
	buffer_gl0_inv
	ds_read2_b64 v[206:209], v1 offset0:58 offset1:59
	s_cmp_lt_i32 s8, 31
	s_cbranch_scc1 .LBB100_611
; %bb.609:
	v_add3_u32 v215, v216, 0, 0x1e0
	v_mov_b32_e32 v214, 29
	s_mov_b32 s1, 30
	s_inst_prefetch 0x1
	.p2align	6
.LBB100_610:                            ; =>This Inner Loop Header: Depth=1
	s_waitcnt lgkmcnt(0)
	v_cmp_gt_f64_e32 vcc_lo, 0, v[208:209]
	v_cmp_gt_f64_e64 s0, 0, v[206:207]
	ds_read2_b64 v[221:224], v215 offset1:1
	v_xor_b32_e32 v226, 0x80000000, v207
	v_xor_b32_e32 v228, 0x80000000, v209
	v_mov_b32_e32 v225, v206
	v_mov_b32_e32 v227, v208
	v_add_nc_u32_e32 v215, 16, v215
	s_waitcnt lgkmcnt(0)
	v_xor_b32_e32 v230, 0x80000000, v224
	v_cndmask_b32_e64 v226, v207, v226, s0
	v_cndmask_b32_e32 v228, v209, v228, vcc_lo
	v_cmp_gt_f64_e32 vcc_lo, 0, v[223:224]
	v_cmp_gt_f64_e64 s0, 0, v[221:222]
	v_mov_b32_e32 v229, v223
	v_add_f64 v[225:226], v[225:226], v[227:228]
	v_xor_b32_e32 v228, 0x80000000, v222
	v_mov_b32_e32 v227, v221
	v_cndmask_b32_e32 v230, v224, v230, vcc_lo
	v_cndmask_b32_e64 v228, v222, v228, s0
	v_add_f64 v[227:228], v[227:228], v[229:230]
	v_cmp_lt_f64_e32 vcc_lo, v[225:226], v[227:228]
	v_cndmask_b32_e32 v207, v207, v222, vcc_lo
	v_cndmask_b32_e32 v206, v206, v221, vcc_lo
	;; [unrolled: 1-line block ×4, first 2 shown]
	v_cndmask_b32_e64 v214, v214, s1, vcc_lo
	s_add_i32 s1, s1, 1
	s_cmp_lg_u32 s8, s1
	s_cbranch_scc1 .LBB100_610
.LBB100_611:
	s_inst_prefetch 0x2
	s_waitcnt lgkmcnt(0)
	v_cmp_eq_f64_e32 vcc_lo, 0, v[206:207]
	v_cmp_eq_f64_e64 s0, 0, v[208:209]
	s_and_b32 s0, vcc_lo, s0
	s_and_saveexec_b32 s1, s0
	s_xor_b32 s0, exec_lo, s1
; %bb.612:
	v_cmp_ne_u32_e32 vcc_lo, 0, v219
	v_cndmask_b32_e32 v219, 30, v219, vcc_lo
; %bb.613:
	s_andn2_saveexec_b32 s0, s0
	s_cbranch_execz .LBB100_619
; %bb.614:
	v_cmp_ngt_f64_e64 s1, |v[206:207]|, |v[208:209]|
	s_and_saveexec_b32 s7, s1
	s_xor_b32 s1, exec_lo, s7
	s_cbranch_execz .LBB100_616
; %bb.615:
	v_div_scale_f64 v[221:222], null, v[208:209], v[208:209], v[206:207]
	v_div_scale_f64 v[227:228], vcc_lo, v[206:207], v[208:209], v[206:207]
	v_rcp_f64_e32 v[223:224], v[221:222]
	v_fma_f64 v[225:226], -v[221:222], v[223:224], 1.0
	v_fma_f64 v[223:224], v[223:224], v[225:226], v[223:224]
	v_fma_f64 v[225:226], -v[221:222], v[223:224], 1.0
	v_fma_f64 v[223:224], v[223:224], v[225:226], v[223:224]
	v_mul_f64 v[225:226], v[227:228], v[223:224]
	v_fma_f64 v[221:222], -v[221:222], v[225:226], v[227:228]
	v_div_fmas_f64 v[221:222], v[221:222], v[223:224], v[225:226]
	v_div_fixup_f64 v[221:222], v[221:222], v[208:209], v[206:207]
	v_fma_f64 v[206:207], v[206:207], v[221:222], v[208:209]
	v_div_scale_f64 v[208:209], null, v[206:207], v[206:207], 1.0
	v_rcp_f64_e32 v[223:224], v[208:209]
	v_fma_f64 v[225:226], -v[208:209], v[223:224], 1.0
	v_fma_f64 v[223:224], v[223:224], v[225:226], v[223:224]
	v_fma_f64 v[225:226], -v[208:209], v[223:224], 1.0
	v_fma_f64 v[223:224], v[223:224], v[225:226], v[223:224]
	v_div_scale_f64 v[225:226], vcc_lo, 1.0, v[206:207], 1.0
	v_mul_f64 v[227:228], v[225:226], v[223:224]
	v_fma_f64 v[208:209], -v[208:209], v[227:228], v[225:226]
	v_div_fmas_f64 v[208:209], v[208:209], v[223:224], v[227:228]
	v_div_fixup_f64 v[208:209], v[208:209], v[206:207], 1.0
	v_mul_f64 v[206:207], v[221:222], v[208:209]
	v_xor_b32_e32 v209, 0x80000000, v209
.LBB100_616:
	s_andn2_saveexec_b32 s1, s1
	s_cbranch_execz .LBB100_618
; %bb.617:
	v_div_scale_f64 v[221:222], null, v[206:207], v[206:207], v[208:209]
	v_div_scale_f64 v[227:228], vcc_lo, v[208:209], v[206:207], v[208:209]
	v_rcp_f64_e32 v[223:224], v[221:222]
	v_fma_f64 v[225:226], -v[221:222], v[223:224], 1.0
	v_fma_f64 v[223:224], v[223:224], v[225:226], v[223:224]
	v_fma_f64 v[225:226], -v[221:222], v[223:224], 1.0
	v_fma_f64 v[223:224], v[223:224], v[225:226], v[223:224]
	v_mul_f64 v[225:226], v[227:228], v[223:224]
	v_fma_f64 v[221:222], -v[221:222], v[225:226], v[227:228]
	v_div_fmas_f64 v[221:222], v[221:222], v[223:224], v[225:226]
	v_div_fixup_f64 v[221:222], v[221:222], v[206:207], v[208:209]
	v_fma_f64 v[206:207], v[208:209], v[221:222], v[206:207]
	v_div_scale_f64 v[208:209], null, v[206:207], v[206:207], 1.0
	v_rcp_f64_e32 v[223:224], v[208:209]
	v_fma_f64 v[225:226], -v[208:209], v[223:224], 1.0
	v_fma_f64 v[223:224], v[223:224], v[225:226], v[223:224]
	v_fma_f64 v[225:226], -v[208:209], v[223:224], 1.0
	v_fma_f64 v[223:224], v[223:224], v[225:226], v[223:224]
	v_div_scale_f64 v[225:226], vcc_lo, 1.0, v[206:207], 1.0
	v_mul_f64 v[227:228], v[225:226], v[223:224]
	v_fma_f64 v[208:209], -v[208:209], v[227:228], v[225:226]
	v_div_fmas_f64 v[208:209], v[208:209], v[223:224], v[227:228]
	v_div_fixup_f64 v[206:207], v[208:209], v[206:207], 1.0
	v_mul_f64 v[208:209], v[221:222], -v[206:207]
.LBB100_618:
	s_or_b32 exec_lo, exec_lo, s1
.LBB100_619:
	s_or_b32 exec_lo, exec_lo, s0
	s_mov_b32 s0, exec_lo
	v_cmpx_ne_u32_e64 v220, v214
	s_xor_b32 s0, exec_lo, s0
	s_cbranch_execz .LBB100_625
; %bb.620:
	s_mov_b32 s1, exec_lo
	v_cmpx_eq_u32_e32 29, v220
	s_cbranch_execz .LBB100_624
; %bb.621:
	v_cmp_ne_u32_e32 vcc_lo, 29, v214
	s_xor_b32 s7, s16, -1
	s_and_b32 s9, s7, vcc_lo
	s_and_saveexec_b32 s7, s9
	s_cbranch_execz .LBB100_623
; %bb.622:
	v_ashrrev_i32_e32 v215, 31, v214
	v_lshlrev_b64 v[220:221], 2, v[214:215]
	v_add_co_u32 v220, vcc_lo, v212, v220
	v_add_co_ci_u32_e64 v221, null, v213, v221, vcc_lo
	s_clause 0x1
	global_load_dword v0, v[220:221], off
	global_load_dword v215, v[212:213], off offset:116
	s_waitcnt vmcnt(1)
	global_store_dword v[212:213], v0, off offset:116
	s_waitcnt vmcnt(0)
	global_store_dword v[220:221], v215, off
.LBB100_623:
	s_or_b32 exec_lo, exec_lo, s7
	v_mov_b32_e32 v220, v214
	v_mov_b32_e32 v0, v214
.LBB100_624:
	s_or_b32 exec_lo, exec_lo, s1
.LBB100_625:
	s_andn2_saveexec_b32 s0, s0
	s_cbranch_execz .LBB100_627
; %bb.626:
	v_mov_b32_e32 v220, 29
	ds_write2_b64 v1, v[82:83], v[84:85] offset0:60 offset1:61
	ds_write2_b64 v1, v[78:79], v[80:81] offset0:62 offset1:63
	;; [unrolled: 1-line block ×21, first 2 shown]
.LBB100_627:
	s_or_b32 exec_lo, exec_lo, s0
	s_mov_b32 s0, exec_lo
	s_waitcnt lgkmcnt(0)
	s_waitcnt_vscnt null, 0x0
	s_barrier
	buffer_gl0_inv
	v_cmpx_lt_i32_e32 29, v220
	s_cbranch_execz .LBB100_629
; %bb.628:
	v_mul_f64 v[214:215], v[208:209], v[88:89]
	v_mul_f64 v[88:89], v[206:207], v[88:89]
	v_fma_f64 v[214:215], v[206:207], v[86:87], -v[214:215]
	v_fma_f64 v[88:89], v[208:209], v[86:87], v[88:89]
	ds_read2_b64 v[206:209], v1 offset0:60 offset1:61
	s_waitcnt lgkmcnt(0)
	v_mul_f64 v[86:87], v[208:209], v[88:89]
	v_fma_f64 v[86:87], v[206:207], v[214:215], -v[86:87]
	v_mul_f64 v[206:207], v[206:207], v[88:89]
	v_add_f64 v[82:83], v[82:83], -v[86:87]
	v_fma_f64 v[206:207], v[208:209], v[214:215], v[206:207]
	v_add_f64 v[84:85], v[84:85], -v[206:207]
	ds_read2_b64 v[206:209], v1 offset0:62 offset1:63
	s_waitcnt lgkmcnt(0)
	v_mul_f64 v[86:87], v[208:209], v[88:89]
	v_fma_f64 v[86:87], v[206:207], v[214:215], -v[86:87]
	v_mul_f64 v[206:207], v[206:207], v[88:89]
	v_add_f64 v[78:79], v[78:79], -v[86:87]
	v_fma_f64 v[206:207], v[208:209], v[214:215], v[206:207]
	v_add_f64 v[80:81], v[80:81], -v[206:207]
	;; [unrolled: 8-line block ×20, first 2 shown]
	ds_read2_b64 v[206:209], v1 offset0:100 offset1:101
	s_waitcnt lgkmcnt(0)
	v_mul_f64 v[86:87], v[208:209], v[88:89]
	v_fma_f64 v[86:87], v[206:207], v[214:215], -v[86:87]
	v_mul_f64 v[206:207], v[206:207], v[88:89]
	v_add_f64 v[2:3], v[2:3], -v[86:87]
	v_fma_f64 v[206:207], v[208:209], v[214:215], v[206:207]
	v_mov_b32_e32 v86, v214
	v_mov_b32_e32 v87, v215
	v_add_f64 v[4:5], v[4:5], -v[206:207]
.LBB100_629:
	s_or_b32 exec_lo, exec_lo, s0
	v_lshl_add_u32 v206, v220, 4, v1
	s_barrier
	buffer_gl0_inv
	v_mov_b32_e32 v214, 30
	ds_write2_b64 v206, v[82:83], v[84:85] offset1:1
	s_waitcnt lgkmcnt(0)
	s_barrier
	buffer_gl0_inv
	ds_read2_b64 v[206:209], v1 offset0:60 offset1:61
	s_cmp_lt_i32 s8, 32
	s_cbranch_scc1 .LBB100_632
; %bb.630:
	v_add3_u32 v215, v216, 0, 0x1f0
	v_mov_b32_e32 v214, 30
	s_mov_b32 s1, 31
	s_inst_prefetch 0x1
	.p2align	6
.LBB100_631:                            ; =>This Inner Loop Header: Depth=1
	s_waitcnt lgkmcnt(0)
	v_cmp_gt_f64_e32 vcc_lo, 0, v[208:209]
	v_cmp_gt_f64_e64 s0, 0, v[206:207]
	ds_read2_b64 v[221:224], v215 offset1:1
	v_xor_b32_e32 v226, 0x80000000, v207
	v_xor_b32_e32 v228, 0x80000000, v209
	v_mov_b32_e32 v225, v206
	v_mov_b32_e32 v227, v208
	v_add_nc_u32_e32 v215, 16, v215
	s_waitcnt lgkmcnt(0)
	v_xor_b32_e32 v230, 0x80000000, v224
	v_cndmask_b32_e64 v226, v207, v226, s0
	v_cndmask_b32_e32 v228, v209, v228, vcc_lo
	v_cmp_gt_f64_e32 vcc_lo, 0, v[223:224]
	v_cmp_gt_f64_e64 s0, 0, v[221:222]
	v_mov_b32_e32 v229, v223
	v_add_f64 v[225:226], v[225:226], v[227:228]
	v_xor_b32_e32 v228, 0x80000000, v222
	v_mov_b32_e32 v227, v221
	v_cndmask_b32_e32 v230, v224, v230, vcc_lo
	v_cndmask_b32_e64 v228, v222, v228, s0
	v_add_f64 v[227:228], v[227:228], v[229:230]
	v_cmp_lt_f64_e32 vcc_lo, v[225:226], v[227:228]
	v_cndmask_b32_e32 v207, v207, v222, vcc_lo
	v_cndmask_b32_e32 v206, v206, v221, vcc_lo
	;; [unrolled: 1-line block ×4, first 2 shown]
	v_cndmask_b32_e64 v214, v214, s1, vcc_lo
	s_add_i32 s1, s1, 1
	s_cmp_lg_u32 s8, s1
	s_cbranch_scc1 .LBB100_631
.LBB100_632:
	s_inst_prefetch 0x2
	s_waitcnt lgkmcnt(0)
	v_cmp_eq_f64_e32 vcc_lo, 0, v[206:207]
	v_cmp_eq_f64_e64 s0, 0, v[208:209]
	s_and_b32 s0, vcc_lo, s0
	s_and_saveexec_b32 s1, s0
	s_xor_b32 s0, exec_lo, s1
; %bb.633:
	v_cmp_ne_u32_e32 vcc_lo, 0, v219
	v_cndmask_b32_e32 v219, 31, v219, vcc_lo
; %bb.634:
	s_andn2_saveexec_b32 s0, s0
	s_cbranch_execz .LBB100_640
; %bb.635:
	v_cmp_ngt_f64_e64 s1, |v[206:207]|, |v[208:209]|
	s_and_saveexec_b32 s7, s1
	s_xor_b32 s1, exec_lo, s7
	s_cbranch_execz .LBB100_637
; %bb.636:
	v_div_scale_f64 v[221:222], null, v[208:209], v[208:209], v[206:207]
	v_div_scale_f64 v[227:228], vcc_lo, v[206:207], v[208:209], v[206:207]
	v_rcp_f64_e32 v[223:224], v[221:222]
	v_fma_f64 v[225:226], -v[221:222], v[223:224], 1.0
	v_fma_f64 v[223:224], v[223:224], v[225:226], v[223:224]
	v_fma_f64 v[225:226], -v[221:222], v[223:224], 1.0
	v_fma_f64 v[223:224], v[223:224], v[225:226], v[223:224]
	v_mul_f64 v[225:226], v[227:228], v[223:224]
	v_fma_f64 v[221:222], -v[221:222], v[225:226], v[227:228]
	v_div_fmas_f64 v[221:222], v[221:222], v[223:224], v[225:226]
	v_div_fixup_f64 v[221:222], v[221:222], v[208:209], v[206:207]
	v_fma_f64 v[206:207], v[206:207], v[221:222], v[208:209]
	v_div_scale_f64 v[208:209], null, v[206:207], v[206:207], 1.0
	v_rcp_f64_e32 v[223:224], v[208:209]
	v_fma_f64 v[225:226], -v[208:209], v[223:224], 1.0
	v_fma_f64 v[223:224], v[223:224], v[225:226], v[223:224]
	v_fma_f64 v[225:226], -v[208:209], v[223:224], 1.0
	v_fma_f64 v[223:224], v[223:224], v[225:226], v[223:224]
	v_div_scale_f64 v[225:226], vcc_lo, 1.0, v[206:207], 1.0
	v_mul_f64 v[227:228], v[225:226], v[223:224]
	v_fma_f64 v[208:209], -v[208:209], v[227:228], v[225:226]
	v_div_fmas_f64 v[208:209], v[208:209], v[223:224], v[227:228]
	v_div_fixup_f64 v[208:209], v[208:209], v[206:207], 1.0
	v_mul_f64 v[206:207], v[221:222], v[208:209]
	v_xor_b32_e32 v209, 0x80000000, v209
.LBB100_637:
	s_andn2_saveexec_b32 s1, s1
	s_cbranch_execz .LBB100_639
; %bb.638:
	v_div_scale_f64 v[221:222], null, v[206:207], v[206:207], v[208:209]
	v_div_scale_f64 v[227:228], vcc_lo, v[208:209], v[206:207], v[208:209]
	v_rcp_f64_e32 v[223:224], v[221:222]
	v_fma_f64 v[225:226], -v[221:222], v[223:224], 1.0
	v_fma_f64 v[223:224], v[223:224], v[225:226], v[223:224]
	v_fma_f64 v[225:226], -v[221:222], v[223:224], 1.0
	v_fma_f64 v[223:224], v[223:224], v[225:226], v[223:224]
	v_mul_f64 v[225:226], v[227:228], v[223:224]
	v_fma_f64 v[221:222], -v[221:222], v[225:226], v[227:228]
	v_div_fmas_f64 v[221:222], v[221:222], v[223:224], v[225:226]
	v_div_fixup_f64 v[221:222], v[221:222], v[206:207], v[208:209]
	v_fma_f64 v[206:207], v[208:209], v[221:222], v[206:207]
	v_div_scale_f64 v[208:209], null, v[206:207], v[206:207], 1.0
	v_rcp_f64_e32 v[223:224], v[208:209]
	v_fma_f64 v[225:226], -v[208:209], v[223:224], 1.0
	v_fma_f64 v[223:224], v[223:224], v[225:226], v[223:224]
	v_fma_f64 v[225:226], -v[208:209], v[223:224], 1.0
	v_fma_f64 v[223:224], v[223:224], v[225:226], v[223:224]
	v_div_scale_f64 v[225:226], vcc_lo, 1.0, v[206:207], 1.0
	v_mul_f64 v[227:228], v[225:226], v[223:224]
	v_fma_f64 v[208:209], -v[208:209], v[227:228], v[225:226]
	v_div_fmas_f64 v[208:209], v[208:209], v[223:224], v[227:228]
	v_div_fixup_f64 v[206:207], v[208:209], v[206:207], 1.0
	v_mul_f64 v[208:209], v[221:222], -v[206:207]
.LBB100_639:
	s_or_b32 exec_lo, exec_lo, s1
.LBB100_640:
	s_or_b32 exec_lo, exec_lo, s0
	s_mov_b32 s0, exec_lo
	v_cmpx_ne_u32_e64 v220, v214
	s_xor_b32 s0, exec_lo, s0
	s_cbranch_execz .LBB100_646
; %bb.641:
	s_mov_b32 s1, exec_lo
	v_cmpx_eq_u32_e32 30, v220
	s_cbranch_execz .LBB100_645
; %bb.642:
	v_cmp_ne_u32_e32 vcc_lo, 30, v214
	s_xor_b32 s7, s16, -1
	s_and_b32 s9, s7, vcc_lo
	s_and_saveexec_b32 s7, s9
	s_cbranch_execz .LBB100_644
; %bb.643:
	v_ashrrev_i32_e32 v215, 31, v214
	v_lshlrev_b64 v[220:221], 2, v[214:215]
	v_add_co_u32 v220, vcc_lo, v212, v220
	v_add_co_ci_u32_e64 v221, null, v213, v221, vcc_lo
	s_clause 0x1
	global_load_dword v0, v[220:221], off
	global_load_dword v215, v[212:213], off offset:120
	s_waitcnt vmcnt(1)
	global_store_dword v[212:213], v0, off offset:120
	s_waitcnt vmcnt(0)
	global_store_dword v[220:221], v215, off
.LBB100_644:
	s_or_b32 exec_lo, exec_lo, s7
	v_mov_b32_e32 v220, v214
	v_mov_b32_e32 v0, v214
.LBB100_645:
	s_or_b32 exec_lo, exec_lo, s1
.LBB100_646:
	s_andn2_saveexec_b32 s0, s0
	s_cbranch_execz .LBB100_648
; %bb.647:
	v_mov_b32_e32 v220, 30
	ds_write2_b64 v1, v[78:79], v[80:81] offset0:62 offset1:63
	ds_write2_b64 v1, v[74:75], v[76:77] offset0:64 offset1:65
	;; [unrolled: 1-line block ×20, first 2 shown]
.LBB100_648:
	s_or_b32 exec_lo, exec_lo, s0
	s_mov_b32 s0, exec_lo
	s_waitcnt lgkmcnt(0)
	s_waitcnt_vscnt null, 0x0
	s_barrier
	buffer_gl0_inv
	v_cmpx_lt_i32_e32 30, v220
	s_cbranch_execz .LBB100_650
; %bb.649:
	v_mul_f64 v[214:215], v[208:209], v[84:85]
	v_mul_f64 v[84:85], v[206:207], v[84:85]
	v_fma_f64 v[214:215], v[206:207], v[82:83], -v[214:215]
	v_fma_f64 v[84:85], v[208:209], v[82:83], v[84:85]
	ds_read2_b64 v[206:209], v1 offset0:62 offset1:63
	s_waitcnt lgkmcnt(0)
	v_mul_f64 v[82:83], v[208:209], v[84:85]
	v_fma_f64 v[82:83], v[206:207], v[214:215], -v[82:83]
	v_mul_f64 v[206:207], v[206:207], v[84:85]
	v_add_f64 v[78:79], v[78:79], -v[82:83]
	v_fma_f64 v[206:207], v[208:209], v[214:215], v[206:207]
	v_add_f64 v[80:81], v[80:81], -v[206:207]
	ds_read2_b64 v[206:209], v1 offset0:64 offset1:65
	s_waitcnt lgkmcnt(0)
	v_mul_f64 v[82:83], v[208:209], v[84:85]
	v_fma_f64 v[82:83], v[206:207], v[214:215], -v[82:83]
	v_mul_f64 v[206:207], v[206:207], v[84:85]
	v_add_f64 v[74:75], v[74:75], -v[82:83]
	v_fma_f64 v[206:207], v[208:209], v[214:215], v[206:207]
	v_add_f64 v[76:77], v[76:77], -v[206:207]
	;; [unrolled: 8-line block ×19, first 2 shown]
	ds_read2_b64 v[206:209], v1 offset0:100 offset1:101
	s_waitcnt lgkmcnt(0)
	v_mul_f64 v[82:83], v[208:209], v[84:85]
	v_fma_f64 v[82:83], v[206:207], v[214:215], -v[82:83]
	v_mul_f64 v[206:207], v[206:207], v[84:85]
	v_add_f64 v[2:3], v[2:3], -v[82:83]
	v_fma_f64 v[206:207], v[208:209], v[214:215], v[206:207]
	v_mov_b32_e32 v82, v214
	v_mov_b32_e32 v83, v215
	v_add_f64 v[4:5], v[4:5], -v[206:207]
.LBB100_650:
	s_or_b32 exec_lo, exec_lo, s0
	v_lshl_add_u32 v206, v220, 4, v1
	s_barrier
	buffer_gl0_inv
	v_mov_b32_e32 v214, 31
	ds_write2_b64 v206, v[78:79], v[80:81] offset1:1
	s_waitcnt lgkmcnt(0)
	s_barrier
	buffer_gl0_inv
	ds_read2_b64 v[206:209], v1 offset0:62 offset1:63
	s_cmp_lt_i32 s8, 33
	s_cbranch_scc1 .LBB100_653
; %bb.651:
	v_add3_u32 v215, v216, 0, 0x200
	v_mov_b32_e32 v214, 31
	s_mov_b32 s1, 32
	s_inst_prefetch 0x1
	.p2align	6
.LBB100_652:                            ; =>This Inner Loop Header: Depth=1
	s_waitcnt lgkmcnt(0)
	v_cmp_gt_f64_e32 vcc_lo, 0, v[208:209]
	v_cmp_gt_f64_e64 s0, 0, v[206:207]
	ds_read2_b64 v[221:224], v215 offset1:1
	v_xor_b32_e32 v226, 0x80000000, v207
	v_xor_b32_e32 v228, 0x80000000, v209
	v_mov_b32_e32 v225, v206
	v_mov_b32_e32 v227, v208
	v_add_nc_u32_e32 v215, 16, v215
	s_waitcnt lgkmcnt(0)
	v_xor_b32_e32 v230, 0x80000000, v224
	v_cndmask_b32_e64 v226, v207, v226, s0
	v_cndmask_b32_e32 v228, v209, v228, vcc_lo
	v_cmp_gt_f64_e32 vcc_lo, 0, v[223:224]
	v_cmp_gt_f64_e64 s0, 0, v[221:222]
	v_mov_b32_e32 v229, v223
	v_add_f64 v[225:226], v[225:226], v[227:228]
	v_xor_b32_e32 v228, 0x80000000, v222
	v_mov_b32_e32 v227, v221
	v_cndmask_b32_e32 v230, v224, v230, vcc_lo
	v_cndmask_b32_e64 v228, v222, v228, s0
	v_add_f64 v[227:228], v[227:228], v[229:230]
	v_cmp_lt_f64_e32 vcc_lo, v[225:226], v[227:228]
	v_cndmask_b32_e32 v207, v207, v222, vcc_lo
	v_cndmask_b32_e32 v206, v206, v221, vcc_lo
	;; [unrolled: 1-line block ×4, first 2 shown]
	v_cndmask_b32_e64 v214, v214, s1, vcc_lo
	s_add_i32 s1, s1, 1
	s_cmp_lg_u32 s8, s1
	s_cbranch_scc1 .LBB100_652
.LBB100_653:
	s_inst_prefetch 0x2
	s_waitcnt lgkmcnt(0)
	v_cmp_eq_f64_e32 vcc_lo, 0, v[206:207]
	v_cmp_eq_f64_e64 s0, 0, v[208:209]
	s_and_b32 s0, vcc_lo, s0
	s_and_saveexec_b32 s1, s0
	s_xor_b32 s0, exec_lo, s1
; %bb.654:
	v_cmp_ne_u32_e32 vcc_lo, 0, v219
	v_cndmask_b32_e32 v219, 32, v219, vcc_lo
; %bb.655:
	s_andn2_saveexec_b32 s0, s0
	s_cbranch_execz .LBB100_661
; %bb.656:
	v_cmp_ngt_f64_e64 s1, |v[206:207]|, |v[208:209]|
	s_and_saveexec_b32 s7, s1
	s_xor_b32 s1, exec_lo, s7
	s_cbranch_execz .LBB100_658
; %bb.657:
	v_div_scale_f64 v[221:222], null, v[208:209], v[208:209], v[206:207]
	v_div_scale_f64 v[227:228], vcc_lo, v[206:207], v[208:209], v[206:207]
	v_rcp_f64_e32 v[223:224], v[221:222]
	v_fma_f64 v[225:226], -v[221:222], v[223:224], 1.0
	v_fma_f64 v[223:224], v[223:224], v[225:226], v[223:224]
	v_fma_f64 v[225:226], -v[221:222], v[223:224], 1.0
	v_fma_f64 v[223:224], v[223:224], v[225:226], v[223:224]
	v_mul_f64 v[225:226], v[227:228], v[223:224]
	v_fma_f64 v[221:222], -v[221:222], v[225:226], v[227:228]
	v_div_fmas_f64 v[221:222], v[221:222], v[223:224], v[225:226]
	v_div_fixup_f64 v[221:222], v[221:222], v[208:209], v[206:207]
	v_fma_f64 v[206:207], v[206:207], v[221:222], v[208:209]
	v_div_scale_f64 v[208:209], null, v[206:207], v[206:207], 1.0
	v_rcp_f64_e32 v[223:224], v[208:209]
	v_fma_f64 v[225:226], -v[208:209], v[223:224], 1.0
	v_fma_f64 v[223:224], v[223:224], v[225:226], v[223:224]
	v_fma_f64 v[225:226], -v[208:209], v[223:224], 1.0
	v_fma_f64 v[223:224], v[223:224], v[225:226], v[223:224]
	v_div_scale_f64 v[225:226], vcc_lo, 1.0, v[206:207], 1.0
	v_mul_f64 v[227:228], v[225:226], v[223:224]
	v_fma_f64 v[208:209], -v[208:209], v[227:228], v[225:226]
	v_div_fmas_f64 v[208:209], v[208:209], v[223:224], v[227:228]
	v_div_fixup_f64 v[208:209], v[208:209], v[206:207], 1.0
	v_mul_f64 v[206:207], v[221:222], v[208:209]
	v_xor_b32_e32 v209, 0x80000000, v209
.LBB100_658:
	s_andn2_saveexec_b32 s1, s1
	s_cbranch_execz .LBB100_660
; %bb.659:
	v_div_scale_f64 v[221:222], null, v[206:207], v[206:207], v[208:209]
	v_div_scale_f64 v[227:228], vcc_lo, v[208:209], v[206:207], v[208:209]
	v_rcp_f64_e32 v[223:224], v[221:222]
	v_fma_f64 v[225:226], -v[221:222], v[223:224], 1.0
	v_fma_f64 v[223:224], v[223:224], v[225:226], v[223:224]
	v_fma_f64 v[225:226], -v[221:222], v[223:224], 1.0
	v_fma_f64 v[223:224], v[223:224], v[225:226], v[223:224]
	v_mul_f64 v[225:226], v[227:228], v[223:224]
	v_fma_f64 v[221:222], -v[221:222], v[225:226], v[227:228]
	v_div_fmas_f64 v[221:222], v[221:222], v[223:224], v[225:226]
	v_div_fixup_f64 v[221:222], v[221:222], v[206:207], v[208:209]
	v_fma_f64 v[206:207], v[208:209], v[221:222], v[206:207]
	v_div_scale_f64 v[208:209], null, v[206:207], v[206:207], 1.0
	v_rcp_f64_e32 v[223:224], v[208:209]
	v_fma_f64 v[225:226], -v[208:209], v[223:224], 1.0
	v_fma_f64 v[223:224], v[223:224], v[225:226], v[223:224]
	v_fma_f64 v[225:226], -v[208:209], v[223:224], 1.0
	v_fma_f64 v[223:224], v[223:224], v[225:226], v[223:224]
	v_div_scale_f64 v[225:226], vcc_lo, 1.0, v[206:207], 1.0
	v_mul_f64 v[227:228], v[225:226], v[223:224]
	v_fma_f64 v[208:209], -v[208:209], v[227:228], v[225:226]
	v_div_fmas_f64 v[208:209], v[208:209], v[223:224], v[227:228]
	v_div_fixup_f64 v[206:207], v[208:209], v[206:207], 1.0
	v_mul_f64 v[208:209], v[221:222], -v[206:207]
.LBB100_660:
	s_or_b32 exec_lo, exec_lo, s1
.LBB100_661:
	s_or_b32 exec_lo, exec_lo, s0
	s_mov_b32 s0, exec_lo
	v_cmpx_ne_u32_e64 v220, v214
	s_xor_b32 s0, exec_lo, s0
	s_cbranch_execz .LBB100_667
; %bb.662:
	s_mov_b32 s1, exec_lo
	v_cmpx_eq_u32_e32 31, v220
	s_cbranch_execz .LBB100_666
; %bb.663:
	v_cmp_ne_u32_e32 vcc_lo, 31, v214
	s_xor_b32 s7, s16, -1
	s_and_b32 s9, s7, vcc_lo
	s_and_saveexec_b32 s7, s9
	s_cbranch_execz .LBB100_665
; %bb.664:
	v_ashrrev_i32_e32 v215, 31, v214
	v_lshlrev_b64 v[220:221], 2, v[214:215]
	v_add_co_u32 v220, vcc_lo, v212, v220
	v_add_co_ci_u32_e64 v221, null, v213, v221, vcc_lo
	s_clause 0x1
	global_load_dword v0, v[220:221], off
	global_load_dword v215, v[212:213], off offset:124
	s_waitcnt vmcnt(1)
	global_store_dword v[212:213], v0, off offset:124
	s_waitcnt vmcnt(0)
	global_store_dword v[220:221], v215, off
.LBB100_665:
	s_or_b32 exec_lo, exec_lo, s7
	v_mov_b32_e32 v220, v214
	v_mov_b32_e32 v0, v214
.LBB100_666:
	s_or_b32 exec_lo, exec_lo, s1
.LBB100_667:
	s_andn2_saveexec_b32 s0, s0
	s_cbranch_execz .LBB100_669
; %bb.668:
	v_mov_b32_e32 v220, 31
	ds_write2_b64 v1, v[74:75], v[76:77] offset0:64 offset1:65
	ds_write2_b64 v1, v[70:71], v[72:73] offset0:66 offset1:67
	;; [unrolled: 1-line block ×19, first 2 shown]
.LBB100_669:
	s_or_b32 exec_lo, exec_lo, s0
	s_mov_b32 s0, exec_lo
	s_waitcnt lgkmcnt(0)
	s_waitcnt_vscnt null, 0x0
	s_barrier
	buffer_gl0_inv
	v_cmpx_lt_i32_e32 31, v220
	s_cbranch_execz .LBB100_671
; %bb.670:
	v_mul_f64 v[214:215], v[208:209], v[80:81]
	v_mul_f64 v[80:81], v[206:207], v[80:81]
	v_fma_f64 v[214:215], v[206:207], v[78:79], -v[214:215]
	v_fma_f64 v[80:81], v[208:209], v[78:79], v[80:81]
	ds_read2_b64 v[206:209], v1 offset0:64 offset1:65
	s_waitcnt lgkmcnt(0)
	v_mul_f64 v[78:79], v[208:209], v[80:81]
	v_fma_f64 v[78:79], v[206:207], v[214:215], -v[78:79]
	v_mul_f64 v[206:207], v[206:207], v[80:81]
	v_add_f64 v[74:75], v[74:75], -v[78:79]
	v_fma_f64 v[206:207], v[208:209], v[214:215], v[206:207]
	v_add_f64 v[76:77], v[76:77], -v[206:207]
	ds_read2_b64 v[206:209], v1 offset0:66 offset1:67
	s_waitcnt lgkmcnt(0)
	v_mul_f64 v[78:79], v[208:209], v[80:81]
	v_fma_f64 v[78:79], v[206:207], v[214:215], -v[78:79]
	v_mul_f64 v[206:207], v[206:207], v[80:81]
	v_add_f64 v[70:71], v[70:71], -v[78:79]
	v_fma_f64 v[206:207], v[208:209], v[214:215], v[206:207]
	v_add_f64 v[72:73], v[72:73], -v[206:207]
	;; [unrolled: 8-line block ×18, first 2 shown]
	ds_read2_b64 v[206:209], v1 offset0:100 offset1:101
	s_waitcnt lgkmcnt(0)
	v_mul_f64 v[78:79], v[208:209], v[80:81]
	v_fma_f64 v[78:79], v[206:207], v[214:215], -v[78:79]
	v_mul_f64 v[206:207], v[206:207], v[80:81]
	v_add_f64 v[2:3], v[2:3], -v[78:79]
	v_fma_f64 v[206:207], v[208:209], v[214:215], v[206:207]
	v_mov_b32_e32 v78, v214
	v_mov_b32_e32 v79, v215
	v_add_f64 v[4:5], v[4:5], -v[206:207]
.LBB100_671:
	s_or_b32 exec_lo, exec_lo, s0
	v_lshl_add_u32 v206, v220, 4, v1
	s_barrier
	buffer_gl0_inv
	v_mov_b32_e32 v214, 32
	ds_write2_b64 v206, v[74:75], v[76:77] offset1:1
	s_waitcnt lgkmcnt(0)
	s_barrier
	buffer_gl0_inv
	ds_read2_b64 v[206:209], v1 offset0:64 offset1:65
	s_cmp_lt_i32 s8, 34
	s_cbranch_scc1 .LBB100_674
; %bb.672:
	v_add3_u32 v215, v216, 0, 0x210
	v_mov_b32_e32 v214, 32
	s_mov_b32 s1, 33
	s_inst_prefetch 0x1
	.p2align	6
.LBB100_673:                            ; =>This Inner Loop Header: Depth=1
	s_waitcnt lgkmcnt(0)
	v_cmp_gt_f64_e32 vcc_lo, 0, v[208:209]
	v_cmp_gt_f64_e64 s0, 0, v[206:207]
	ds_read2_b64 v[221:224], v215 offset1:1
	v_xor_b32_e32 v226, 0x80000000, v207
	v_xor_b32_e32 v228, 0x80000000, v209
	v_mov_b32_e32 v225, v206
	v_mov_b32_e32 v227, v208
	v_add_nc_u32_e32 v215, 16, v215
	s_waitcnt lgkmcnt(0)
	v_xor_b32_e32 v230, 0x80000000, v224
	v_cndmask_b32_e64 v226, v207, v226, s0
	v_cndmask_b32_e32 v228, v209, v228, vcc_lo
	v_cmp_gt_f64_e32 vcc_lo, 0, v[223:224]
	v_cmp_gt_f64_e64 s0, 0, v[221:222]
	v_mov_b32_e32 v229, v223
	v_add_f64 v[225:226], v[225:226], v[227:228]
	v_xor_b32_e32 v228, 0x80000000, v222
	v_mov_b32_e32 v227, v221
	v_cndmask_b32_e32 v230, v224, v230, vcc_lo
	v_cndmask_b32_e64 v228, v222, v228, s0
	v_add_f64 v[227:228], v[227:228], v[229:230]
	v_cmp_lt_f64_e32 vcc_lo, v[225:226], v[227:228]
	v_cndmask_b32_e32 v207, v207, v222, vcc_lo
	v_cndmask_b32_e32 v206, v206, v221, vcc_lo
	;; [unrolled: 1-line block ×4, first 2 shown]
	v_cndmask_b32_e64 v214, v214, s1, vcc_lo
	s_add_i32 s1, s1, 1
	s_cmp_lg_u32 s8, s1
	s_cbranch_scc1 .LBB100_673
.LBB100_674:
	s_inst_prefetch 0x2
	s_waitcnt lgkmcnt(0)
	v_cmp_eq_f64_e32 vcc_lo, 0, v[206:207]
	v_cmp_eq_f64_e64 s0, 0, v[208:209]
	s_and_b32 s0, vcc_lo, s0
	s_and_saveexec_b32 s1, s0
	s_xor_b32 s0, exec_lo, s1
; %bb.675:
	v_cmp_ne_u32_e32 vcc_lo, 0, v219
	v_cndmask_b32_e32 v219, 33, v219, vcc_lo
; %bb.676:
	s_andn2_saveexec_b32 s0, s0
	s_cbranch_execz .LBB100_682
; %bb.677:
	v_cmp_ngt_f64_e64 s1, |v[206:207]|, |v[208:209]|
	s_and_saveexec_b32 s7, s1
	s_xor_b32 s1, exec_lo, s7
	s_cbranch_execz .LBB100_679
; %bb.678:
	v_div_scale_f64 v[221:222], null, v[208:209], v[208:209], v[206:207]
	v_div_scale_f64 v[227:228], vcc_lo, v[206:207], v[208:209], v[206:207]
	v_rcp_f64_e32 v[223:224], v[221:222]
	v_fma_f64 v[225:226], -v[221:222], v[223:224], 1.0
	v_fma_f64 v[223:224], v[223:224], v[225:226], v[223:224]
	v_fma_f64 v[225:226], -v[221:222], v[223:224], 1.0
	v_fma_f64 v[223:224], v[223:224], v[225:226], v[223:224]
	v_mul_f64 v[225:226], v[227:228], v[223:224]
	v_fma_f64 v[221:222], -v[221:222], v[225:226], v[227:228]
	v_div_fmas_f64 v[221:222], v[221:222], v[223:224], v[225:226]
	v_div_fixup_f64 v[221:222], v[221:222], v[208:209], v[206:207]
	v_fma_f64 v[206:207], v[206:207], v[221:222], v[208:209]
	v_div_scale_f64 v[208:209], null, v[206:207], v[206:207], 1.0
	v_rcp_f64_e32 v[223:224], v[208:209]
	v_fma_f64 v[225:226], -v[208:209], v[223:224], 1.0
	v_fma_f64 v[223:224], v[223:224], v[225:226], v[223:224]
	v_fma_f64 v[225:226], -v[208:209], v[223:224], 1.0
	v_fma_f64 v[223:224], v[223:224], v[225:226], v[223:224]
	v_div_scale_f64 v[225:226], vcc_lo, 1.0, v[206:207], 1.0
	v_mul_f64 v[227:228], v[225:226], v[223:224]
	v_fma_f64 v[208:209], -v[208:209], v[227:228], v[225:226]
	v_div_fmas_f64 v[208:209], v[208:209], v[223:224], v[227:228]
	v_div_fixup_f64 v[208:209], v[208:209], v[206:207], 1.0
	v_mul_f64 v[206:207], v[221:222], v[208:209]
	v_xor_b32_e32 v209, 0x80000000, v209
.LBB100_679:
	s_andn2_saveexec_b32 s1, s1
	s_cbranch_execz .LBB100_681
; %bb.680:
	v_div_scale_f64 v[221:222], null, v[206:207], v[206:207], v[208:209]
	v_div_scale_f64 v[227:228], vcc_lo, v[208:209], v[206:207], v[208:209]
	v_rcp_f64_e32 v[223:224], v[221:222]
	v_fma_f64 v[225:226], -v[221:222], v[223:224], 1.0
	v_fma_f64 v[223:224], v[223:224], v[225:226], v[223:224]
	v_fma_f64 v[225:226], -v[221:222], v[223:224], 1.0
	v_fma_f64 v[223:224], v[223:224], v[225:226], v[223:224]
	v_mul_f64 v[225:226], v[227:228], v[223:224]
	v_fma_f64 v[221:222], -v[221:222], v[225:226], v[227:228]
	v_div_fmas_f64 v[221:222], v[221:222], v[223:224], v[225:226]
	v_div_fixup_f64 v[221:222], v[221:222], v[206:207], v[208:209]
	v_fma_f64 v[206:207], v[208:209], v[221:222], v[206:207]
	v_div_scale_f64 v[208:209], null, v[206:207], v[206:207], 1.0
	v_rcp_f64_e32 v[223:224], v[208:209]
	v_fma_f64 v[225:226], -v[208:209], v[223:224], 1.0
	v_fma_f64 v[223:224], v[223:224], v[225:226], v[223:224]
	v_fma_f64 v[225:226], -v[208:209], v[223:224], 1.0
	v_fma_f64 v[223:224], v[223:224], v[225:226], v[223:224]
	v_div_scale_f64 v[225:226], vcc_lo, 1.0, v[206:207], 1.0
	v_mul_f64 v[227:228], v[225:226], v[223:224]
	v_fma_f64 v[208:209], -v[208:209], v[227:228], v[225:226]
	v_div_fmas_f64 v[208:209], v[208:209], v[223:224], v[227:228]
	v_div_fixup_f64 v[206:207], v[208:209], v[206:207], 1.0
	v_mul_f64 v[208:209], v[221:222], -v[206:207]
.LBB100_681:
	s_or_b32 exec_lo, exec_lo, s1
.LBB100_682:
	s_or_b32 exec_lo, exec_lo, s0
	s_mov_b32 s0, exec_lo
	v_cmpx_ne_u32_e64 v220, v214
	s_xor_b32 s0, exec_lo, s0
	s_cbranch_execz .LBB100_688
; %bb.683:
	s_mov_b32 s1, exec_lo
	v_cmpx_eq_u32_e32 32, v220
	s_cbranch_execz .LBB100_687
; %bb.684:
	v_cmp_ne_u32_e32 vcc_lo, 32, v214
	s_xor_b32 s7, s16, -1
	s_and_b32 s9, s7, vcc_lo
	s_and_saveexec_b32 s7, s9
	s_cbranch_execz .LBB100_686
; %bb.685:
	v_ashrrev_i32_e32 v215, 31, v214
	v_lshlrev_b64 v[220:221], 2, v[214:215]
	v_add_co_u32 v220, vcc_lo, v212, v220
	v_add_co_ci_u32_e64 v221, null, v213, v221, vcc_lo
	s_clause 0x1
	global_load_dword v0, v[220:221], off
	global_load_dword v215, v[212:213], off offset:128
	s_waitcnt vmcnt(1)
	global_store_dword v[212:213], v0, off offset:128
	s_waitcnt vmcnt(0)
	global_store_dword v[220:221], v215, off
.LBB100_686:
	s_or_b32 exec_lo, exec_lo, s7
	v_mov_b32_e32 v220, v214
	v_mov_b32_e32 v0, v214
.LBB100_687:
	s_or_b32 exec_lo, exec_lo, s1
.LBB100_688:
	s_andn2_saveexec_b32 s0, s0
	s_cbranch_execz .LBB100_690
; %bb.689:
	v_mov_b32_e32 v220, 32
	ds_write2_b64 v1, v[70:71], v[72:73] offset0:66 offset1:67
	ds_write2_b64 v1, v[66:67], v[68:69] offset0:68 offset1:69
	;; [unrolled: 1-line block ×18, first 2 shown]
.LBB100_690:
	s_or_b32 exec_lo, exec_lo, s0
	s_mov_b32 s0, exec_lo
	s_waitcnt lgkmcnt(0)
	s_waitcnt_vscnt null, 0x0
	s_barrier
	buffer_gl0_inv
	v_cmpx_lt_i32_e32 32, v220
	s_cbranch_execz .LBB100_692
; %bb.691:
	v_mul_f64 v[214:215], v[208:209], v[76:77]
	v_mul_f64 v[76:77], v[206:207], v[76:77]
	v_fma_f64 v[214:215], v[206:207], v[74:75], -v[214:215]
	v_fma_f64 v[76:77], v[208:209], v[74:75], v[76:77]
	ds_read2_b64 v[206:209], v1 offset0:66 offset1:67
	s_waitcnt lgkmcnt(0)
	v_mul_f64 v[74:75], v[208:209], v[76:77]
	v_fma_f64 v[74:75], v[206:207], v[214:215], -v[74:75]
	v_mul_f64 v[206:207], v[206:207], v[76:77]
	v_add_f64 v[70:71], v[70:71], -v[74:75]
	v_fma_f64 v[206:207], v[208:209], v[214:215], v[206:207]
	v_add_f64 v[72:73], v[72:73], -v[206:207]
	ds_read2_b64 v[206:209], v1 offset0:68 offset1:69
	s_waitcnt lgkmcnt(0)
	v_mul_f64 v[74:75], v[208:209], v[76:77]
	v_fma_f64 v[74:75], v[206:207], v[214:215], -v[74:75]
	v_mul_f64 v[206:207], v[206:207], v[76:77]
	v_add_f64 v[66:67], v[66:67], -v[74:75]
	v_fma_f64 v[206:207], v[208:209], v[214:215], v[206:207]
	v_add_f64 v[68:69], v[68:69], -v[206:207]
	ds_read2_b64 v[206:209], v1 offset0:70 offset1:71
	s_waitcnt lgkmcnt(0)
	v_mul_f64 v[74:75], v[208:209], v[76:77]
	v_fma_f64 v[74:75], v[206:207], v[214:215], -v[74:75]
	v_mul_f64 v[206:207], v[206:207], v[76:77]
	v_add_f64 v[62:63], v[62:63], -v[74:75]
	v_fma_f64 v[206:207], v[208:209], v[214:215], v[206:207]
	v_add_f64 v[64:65], v[64:65], -v[206:207]
	ds_read2_b64 v[206:209], v1 offset0:72 offset1:73
	s_waitcnt lgkmcnt(0)
	v_mul_f64 v[74:75], v[208:209], v[76:77]
	v_fma_f64 v[74:75], v[206:207], v[214:215], -v[74:75]
	v_mul_f64 v[206:207], v[206:207], v[76:77]
	v_add_f64 v[58:59], v[58:59], -v[74:75]
	v_fma_f64 v[206:207], v[208:209], v[214:215], v[206:207]
	v_add_f64 v[60:61], v[60:61], -v[206:207]
	ds_read2_b64 v[206:209], v1 offset0:74 offset1:75
	s_waitcnt lgkmcnt(0)
	v_mul_f64 v[74:75], v[208:209], v[76:77]
	v_fma_f64 v[74:75], v[206:207], v[214:215], -v[74:75]
	v_mul_f64 v[206:207], v[206:207], v[76:77]
	v_add_f64 v[54:55], v[54:55], -v[74:75]
	v_fma_f64 v[206:207], v[208:209], v[214:215], v[206:207]
	v_add_f64 v[56:57], v[56:57], -v[206:207]
	ds_read2_b64 v[206:209], v1 offset0:76 offset1:77
	s_waitcnt lgkmcnt(0)
	v_mul_f64 v[74:75], v[208:209], v[76:77]
	v_fma_f64 v[74:75], v[206:207], v[214:215], -v[74:75]
	v_mul_f64 v[206:207], v[206:207], v[76:77]
	v_add_f64 v[50:51], v[50:51], -v[74:75]
	v_fma_f64 v[206:207], v[208:209], v[214:215], v[206:207]
	v_add_f64 v[52:53], v[52:53], -v[206:207]
	ds_read2_b64 v[206:209], v1 offset0:78 offset1:79
	s_waitcnt lgkmcnt(0)
	v_mul_f64 v[74:75], v[208:209], v[76:77]
	v_fma_f64 v[74:75], v[206:207], v[214:215], -v[74:75]
	v_mul_f64 v[206:207], v[206:207], v[76:77]
	v_add_f64 v[46:47], v[46:47], -v[74:75]
	v_fma_f64 v[206:207], v[208:209], v[214:215], v[206:207]
	v_add_f64 v[48:49], v[48:49], -v[206:207]
	ds_read2_b64 v[206:209], v1 offset0:80 offset1:81
	s_waitcnt lgkmcnt(0)
	v_mul_f64 v[74:75], v[208:209], v[76:77]
	v_fma_f64 v[74:75], v[206:207], v[214:215], -v[74:75]
	v_mul_f64 v[206:207], v[206:207], v[76:77]
	v_add_f64 v[42:43], v[42:43], -v[74:75]
	v_fma_f64 v[206:207], v[208:209], v[214:215], v[206:207]
	v_add_f64 v[44:45], v[44:45], -v[206:207]
	ds_read2_b64 v[206:209], v1 offset0:82 offset1:83
	s_waitcnt lgkmcnt(0)
	v_mul_f64 v[74:75], v[208:209], v[76:77]
	v_fma_f64 v[74:75], v[206:207], v[214:215], -v[74:75]
	v_mul_f64 v[206:207], v[206:207], v[76:77]
	v_add_f64 v[38:39], v[38:39], -v[74:75]
	v_fma_f64 v[206:207], v[208:209], v[214:215], v[206:207]
	v_add_f64 v[40:41], v[40:41], -v[206:207]
	ds_read2_b64 v[206:209], v1 offset0:84 offset1:85
	s_waitcnt lgkmcnt(0)
	v_mul_f64 v[74:75], v[208:209], v[76:77]
	v_fma_f64 v[74:75], v[206:207], v[214:215], -v[74:75]
	v_mul_f64 v[206:207], v[206:207], v[76:77]
	v_add_f64 v[34:35], v[34:35], -v[74:75]
	v_fma_f64 v[206:207], v[208:209], v[214:215], v[206:207]
	v_add_f64 v[36:37], v[36:37], -v[206:207]
	ds_read2_b64 v[206:209], v1 offset0:86 offset1:87
	s_waitcnt lgkmcnt(0)
	v_mul_f64 v[74:75], v[208:209], v[76:77]
	v_fma_f64 v[74:75], v[206:207], v[214:215], -v[74:75]
	v_mul_f64 v[206:207], v[206:207], v[76:77]
	v_add_f64 v[30:31], v[30:31], -v[74:75]
	v_fma_f64 v[206:207], v[208:209], v[214:215], v[206:207]
	v_add_f64 v[32:33], v[32:33], -v[206:207]
	ds_read2_b64 v[206:209], v1 offset0:88 offset1:89
	s_waitcnt lgkmcnt(0)
	v_mul_f64 v[74:75], v[208:209], v[76:77]
	v_fma_f64 v[74:75], v[206:207], v[214:215], -v[74:75]
	v_mul_f64 v[206:207], v[206:207], v[76:77]
	v_add_f64 v[26:27], v[26:27], -v[74:75]
	v_fma_f64 v[206:207], v[208:209], v[214:215], v[206:207]
	v_add_f64 v[28:29], v[28:29], -v[206:207]
	ds_read2_b64 v[206:209], v1 offset0:90 offset1:91
	s_waitcnt lgkmcnt(0)
	v_mul_f64 v[74:75], v[208:209], v[76:77]
	v_fma_f64 v[74:75], v[206:207], v[214:215], -v[74:75]
	v_mul_f64 v[206:207], v[206:207], v[76:77]
	v_add_f64 v[22:23], v[22:23], -v[74:75]
	v_fma_f64 v[206:207], v[208:209], v[214:215], v[206:207]
	v_add_f64 v[24:25], v[24:25], -v[206:207]
	ds_read2_b64 v[206:209], v1 offset0:92 offset1:93
	s_waitcnt lgkmcnt(0)
	v_mul_f64 v[74:75], v[208:209], v[76:77]
	v_fma_f64 v[74:75], v[206:207], v[214:215], -v[74:75]
	v_mul_f64 v[206:207], v[206:207], v[76:77]
	v_add_f64 v[18:19], v[18:19], -v[74:75]
	v_fma_f64 v[206:207], v[208:209], v[214:215], v[206:207]
	v_add_f64 v[20:21], v[20:21], -v[206:207]
	ds_read2_b64 v[206:209], v1 offset0:94 offset1:95
	s_waitcnt lgkmcnt(0)
	v_mul_f64 v[74:75], v[208:209], v[76:77]
	v_fma_f64 v[74:75], v[206:207], v[214:215], -v[74:75]
	v_mul_f64 v[206:207], v[206:207], v[76:77]
	v_add_f64 v[14:15], v[14:15], -v[74:75]
	v_fma_f64 v[206:207], v[208:209], v[214:215], v[206:207]
	v_add_f64 v[16:17], v[16:17], -v[206:207]
	ds_read2_b64 v[206:209], v1 offset0:96 offset1:97
	s_waitcnt lgkmcnt(0)
	v_mul_f64 v[74:75], v[208:209], v[76:77]
	v_fma_f64 v[74:75], v[206:207], v[214:215], -v[74:75]
	v_mul_f64 v[206:207], v[206:207], v[76:77]
	v_add_f64 v[10:11], v[10:11], -v[74:75]
	v_fma_f64 v[206:207], v[208:209], v[214:215], v[206:207]
	v_add_f64 v[12:13], v[12:13], -v[206:207]
	ds_read2_b64 v[206:209], v1 offset0:98 offset1:99
	s_waitcnt lgkmcnt(0)
	v_mul_f64 v[74:75], v[208:209], v[76:77]
	v_fma_f64 v[74:75], v[206:207], v[214:215], -v[74:75]
	v_mul_f64 v[206:207], v[206:207], v[76:77]
	v_add_f64 v[6:7], v[6:7], -v[74:75]
	v_fma_f64 v[206:207], v[208:209], v[214:215], v[206:207]
	v_add_f64 v[8:9], v[8:9], -v[206:207]
	ds_read2_b64 v[206:209], v1 offset0:100 offset1:101
	s_waitcnt lgkmcnt(0)
	v_mul_f64 v[74:75], v[208:209], v[76:77]
	v_fma_f64 v[74:75], v[206:207], v[214:215], -v[74:75]
	v_mul_f64 v[206:207], v[206:207], v[76:77]
	v_add_f64 v[2:3], v[2:3], -v[74:75]
	v_fma_f64 v[206:207], v[208:209], v[214:215], v[206:207]
	v_mov_b32_e32 v74, v214
	v_mov_b32_e32 v75, v215
	v_add_f64 v[4:5], v[4:5], -v[206:207]
.LBB100_692:
	s_or_b32 exec_lo, exec_lo, s0
	v_lshl_add_u32 v206, v220, 4, v1
	s_barrier
	buffer_gl0_inv
	v_mov_b32_e32 v214, 33
	ds_write2_b64 v206, v[70:71], v[72:73] offset1:1
	s_waitcnt lgkmcnt(0)
	s_barrier
	buffer_gl0_inv
	ds_read2_b64 v[206:209], v1 offset0:66 offset1:67
	s_cmp_lt_i32 s8, 35
	s_cbranch_scc1 .LBB100_695
; %bb.693:
	v_add3_u32 v215, v216, 0, 0x220
	v_mov_b32_e32 v214, 33
	s_mov_b32 s1, 34
	s_inst_prefetch 0x1
	.p2align	6
.LBB100_694:                            ; =>This Inner Loop Header: Depth=1
	s_waitcnt lgkmcnt(0)
	v_cmp_gt_f64_e32 vcc_lo, 0, v[208:209]
	v_cmp_gt_f64_e64 s0, 0, v[206:207]
	ds_read2_b64 v[221:224], v215 offset1:1
	v_xor_b32_e32 v226, 0x80000000, v207
	v_xor_b32_e32 v228, 0x80000000, v209
	v_mov_b32_e32 v225, v206
	v_mov_b32_e32 v227, v208
	v_add_nc_u32_e32 v215, 16, v215
	s_waitcnt lgkmcnt(0)
	v_xor_b32_e32 v230, 0x80000000, v224
	v_cndmask_b32_e64 v226, v207, v226, s0
	v_cndmask_b32_e32 v228, v209, v228, vcc_lo
	v_cmp_gt_f64_e32 vcc_lo, 0, v[223:224]
	v_cmp_gt_f64_e64 s0, 0, v[221:222]
	v_mov_b32_e32 v229, v223
	v_add_f64 v[225:226], v[225:226], v[227:228]
	v_xor_b32_e32 v228, 0x80000000, v222
	v_mov_b32_e32 v227, v221
	v_cndmask_b32_e32 v230, v224, v230, vcc_lo
	v_cndmask_b32_e64 v228, v222, v228, s0
	v_add_f64 v[227:228], v[227:228], v[229:230]
	v_cmp_lt_f64_e32 vcc_lo, v[225:226], v[227:228]
	v_cndmask_b32_e32 v207, v207, v222, vcc_lo
	v_cndmask_b32_e32 v206, v206, v221, vcc_lo
	;; [unrolled: 1-line block ×4, first 2 shown]
	v_cndmask_b32_e64 v214, v214, s1, vcc_lo
	s_add_i32 s1, s1, 1
	s_cmp_lg_u32 s8, s1
	s_cbranch_scc1 .LBB100_694
.LBB100_695:
	s_inst_prefetch 0x2
	s_waitcnt lgkmcnt(0)
	v_cmp_eq_f64_e32 vcc_lo, 0, v[206:207]
	v_cmp_eq_f64_e64 s0, 0, v[208:209]
	s_and_b32 s0, vcc_lo, s0
	s_and_saveexec_b32 s1, s0
	s_xor_b32 s0, exec_lo, s1
; %bb.696:
	v_cmp_ne_u32_e32 vcc_lo, 0, v219
	v_cndmask_b32_e32 v219, 34, v219, vcc_lo
; %bb.697:
	s_andn2_saveexec_b32 s0, s0
	s_cbranch_execz .LBB100_703
; %bb.698:
	v_cmp_ngt_f64_e64 s1, |v[206:207]|, |v[208:209]|
	s_and_saveexec_b32 s7, s1
	s_xor_b32 s1, exec_lo, s7
	s_cbranch_execz .LBB100_700
; %bb.699:
	v_div_scale_f64 v[221:222], null, v[208:209], v[208:209], v[206:207]
	v_div_scale_f64 v[227:228], vcc_lo, v[206:207], v[208:209], v[206:207]
	v_rcp_f64_e32 v[223:224], v[221:222]
	v_fma_f64 v[225:226], -v[221:222], v[223:224], 1.0
	v_fma_f64 v[223:224], v[223:224], v[225:226], v[223:224]
	v_fma_f64 v[225:226], -v[221:222], v[223:224], 1.0
	v_fma_f64 v[223:224], v[223:224], v[225:226], v[223:224]
	v_mul_f64 v[225:226], v[227:228], v[223:224]
	v_fma_f64 v[221:222], -v[221:222], v[225:226], v[227:228]
	v_div_fmas_f64 v[221:222], v[221:222], v[223:224], v[225:226]
	v_div_fixup_f64 v[221:222], v[221:222], v[208:209], v[206:207]
	v_fma_f64 v[206:207], v[206:207], v[221:222], v[208:209]
	v_div_scale_f64 v[208:209], null, v[206:207], v[206:207], 1.0
	v_rcp_f64_e32 v[223:224], v[208:209]
	v_fma_f64 v[225:226], -v[208:209], v[223:224], 1.0
	v_fma_f64 v[223:224], v[223:224], v[225:226], v[223:224]
	v_fma_f64 v[225:226], -v[208:209], v[223:224], 1.0
	v_fma_f64 v[223:224], v[223:224], v[225:226], v[223:224]
	v_div_scale_f64 v[225:226], vcc_lo, 1.0, v[206:207], 1.0
	v_mul_f64 v[227:228], v[225:226], v[223:224]
	v_fma_f64 v[208:209], -v[208:209], v[227:228], v[225:226]
	v_div_fmas_f64 v[208:209], v[208:209], v[223:224], v[227:228]
	v_div_fixup_f64 v[208:209], v[208:209], v[206:207], 1.0
	v_mul_f64 v[206:207], v[221:222], v[208:209]
	v_xor_b32_e32 v209, 0x80000000, v209
.LBB100_700:
	s_andn2_saveexec_b32 s1, s1
	s_cbranch_execz .LBB100_702
; %bb.701:
	v_div_scale_f64 v[221:222], null, v[206:207], v[206:207], v[208:209]
	v_div_scale_f64 v[227:228], vcc_lo, v[208:209], v[206:207], v[208:209]
	v_rcp_f64_e32 v[223:224], v[221:222]
	v_fma_f64 v[225:226], -v[221:222], v[223:224], 1.0
	v_fma_f64 v[223:224], v[223:224], v[225:226], v[223:224]
	v_fma_f64 v[225:226], -v[221:222], v[223:224], 1.0
	v_fma_f64 v[223:224], v[223:224], v[225:226], v[223:224]
	v_mul_f64 v[225:226], v[227:228], v[223:224]
	v_fma_f64 v[221:222], -v[221:222], v[225:226], v[227:228]
	v_div_fmas_f64 v[221:222], v[221:222], v[223:224], v[225:226]
	v_div_fixup_f64 v[221:222], v[221:222], v[206:207], v[208:209]
	v_fma_f64 v[206:207], v[208:209], v[221:222], v[206:207]
	v_div_scale_f64 v[208:209], null, v[206:207], v[206:207], 1.0
	v_rcp_f64_e32 v[223:224], v[208:209]
	v_fma_f64 v[225:226], -v[208:209], v[223:224], 1.0
	v_fma_f64 v[223:224], v[223:224], v[225:226], v[223:224]
	v_fma_f64 v[225:226], -v[208:209], v[223:224], 1.0
	v_fma_f64 v[223:224], v[223:224], v[225:226], v[223:224]
	v_div_scale_f64 v[225:226], vcc_lo, 1.0, v[206:207], 1.0
	v_mul_f64 v[227:228], v[225:226], v[223:224]
	v_fma_f64 v[208:209], -v[208:209], v[227:228], v[225:226]
	v_div_fmas_f64 v[208:209], v[208:209], v[223:224], v[227:228]
	v_div_fixup_f64 v[206:207], v[208:209], v[206:207], 1.0
	v_mul_f64 v[208:209], v[221:222], -v[206:207]
.LBB100_702:
	s_or_b32 exec_lo, exec_lo, s1
.LBB100_703:
	s_or_b32 exec_lo, exec_lo, s0
	s_mov_b32 s0, exec_lo
	v_cmpx_ne_u32_e64 v220, v214
	s_xor_b32 s0, exec_lo, s0
	s_cbranch_execz .LBB100_709
; %bb.704:
	s_mov_b32 s1, exec_lo
	v_cmpx_eq_u32_e32 33, v220
	s_cbranch_execz .LBB100_708
; %bb.705:
	v_cmp_ne_u32_e32 vcc_lo, 33, v214
	s_xor_b32 s7, s16, -1
	s_and_b32 s9, s7, vcc_lo
	s_and_saveexec_b32 s7, s9
	s_cbranch_execz .LBB100_707
; %bb.706:
	v_ashrrev_i32_e32 v215, 31, v214
	v_lshlrev_b64 v[220:221], 2, v[214:215]
	v_add_co_u32 v220, vcc_lo, v212, v220
	v_add_co_ci_u32_e64 v221, null, v213, v221, vcc_lo
	s_clause 0x1
	global_load_dword v0, v[220:221], off
	global_load_dword v215, v[212:213], off offset:132
	s_waitcnt vmcnt(1)
	global_store_dword v[212:213], v0, off offset:132
	s_waitcnt vmcnt(0)
	global_store_dword v[220:221], v215, off
.LBB100_707:
	s_or_b32 exec_lo, exec_lo, s7
	v_mov_b32_e32 v220, v214
	v_mov_b32_e32 v0, v214
.LBB100_708:
	s_or_b32 exec_lo, exec_lo, s1
.LBB100_709:
	s_andn2_saveexec_b32 s0, s0
	s_cbranch_execz .LBB100_711
; %bb.710:
	v_mov_b32_e32 v220, 33
	ds_write2_b64 v1, v[66:67], v[68:69] offset0:68 offset1:69
	ds_write2_b64 v1, v[62:63], v[64:65] offset0:70 offset1:71
	ds_write2_b64 v1, v[58:59], v[60:61] offset0:72 offset1:73
	ds_write2_b64 v1, v[54:55], v[56:57] offset0:74 offset1:75
	ds_write2_b64 v1, v[50:51], v[52:53] offset0:76 offset1:77
	ds_write2_b64 v1, v[46:47], v[48:49] offset0:78 offset1:79
	ds_write2_b64 v1, v[42:43], v[44:45] offset0:80 offset1:81
	ds_write2_b64 v1, v[38:39], v[40:41] offset0:82 offset1:83
	ds_write2_b64 v1, v[34:35], v[36:37] offset0:84 offset1:85
	ds_write2_b64 v1, v[30:31], v[32:33] offset0:86 offset1:87
	ds_write2_b64 v1, v[26:27], v[28:29] offset0:88 offset1:89
	ds_write2_b64 v1, v[22:23], v[24:25] offset0:90 offset1:91
	ds_write2_b64 v1, v[18:19], v[20:21] offset0:92 offset1:93
	ds_write2_b64 v1, v[14:15], v[16:17] offset0:94 offset1:95
	ds_write2_b64 v1, v[10:11], v[12:13] offset0:96 offset1:97
	ds_write2_b64 v1, v[6:7], v[8:9] offset0:98 offset1:99
	ds_write2_b64 v1, v[2:3], v[4:5] offset0:100 offset1:101
.LBB100_711:
	s_or_b32 exec_lo, exec_lo, s0
	s_mov_b32 s0, exec_lo
	s_waitcnt lgkmcnt(0)
	s_waitcnt_vscnt null, 0x0
	s_barrier
	buffer_gl0_inv
	v_cmpx_lt_i32_e32 33, v220
	s_cbranch_execz .LBB100_713
; %bb.712:
	v_mul_f64 v[214:215], v[208:209], v[72:73]
	v_mul_f64 v[72:73], v[206:207], v[72:73]
	v_fma_f64 v[214:215], v[206:207], v[70:71], -v[214:215]
	v_fma_f64 v[72:73], v[208:209], v[70:71], v[72:73]
	ds_read2_b64 v[206:209], v1 offset0:68 offset1:69
	s_waitcnt lgkmcnt(0)
	v_mul_f64 v[70:71], v[208:209], v[72:73]
	v_fma_f64 v[70:71], v[206:207], v[214:215], -v[70:71]
	v_mul_f64 v[206:207], v[206:207], v[72:73]
	v_add_f64 v[66:67], v[66:67], -v[70:71]
	v_fma_f64 v[206:207], v[208:209], v[214:215], v[206:207]
	v_add_f64 v[68:69], v[68:69], -v[206:207]
	ds_read2_b64 v[206:209], v1 offset0:70 offset1:71
	s_waitcnt lgkmcnt(0)
	v_mul_f64 v[70:71], v[208:209], v[72:73]
	v_fma_f64 v[70:71], v[206:207], v[214:215], -v[70:71]
	v_mul_f64 v[206:207], v[206:207], v[72:73]
	v_add_f64 v[62:63], v[62:63], -v[70:71]
	v_fma_f64 v[206:207], v[208:209], v[214:215], v[206:207]
	v_add_f64 v[64:65], v[64:65], -v[206:207]
	;; [unrolled: 8-line block ×16, first 2 shown]
	ds_read2_b64 v[206:209], v1 offset0:100 offset1:101
	s_waitcnt lgkmcnt(0)
	v_mul_f64 v[70:71], v[208:209], v[72:73]
	v_fma_f64 v[70:71], v[206:207], v[214:215], -v[70:71]
	v_mul_f64 v[206:207], v[206:207], v[72:73]
	v_add_f64 v[2:3], v[2:3], -v[70:71]
	v_fma_f64 v[206:207], v[208:209], v[214:215], v[206:207]
	v_mov_b32_e32 v70, v214
	v_mov_b32_e32 v71, v215
	v_add_f64 v[4:5], v[4:5], -v[206:207]
.LBB100_713:
	s_or_b32 exec_lo, exec_lo, s0
	v_lshl_add_u32 v206, v220, 4, v1
	s_barrier
	buffer_gl0_inv
	v_mov_b32_e32 v214, 34
	ds_write2_b64 v206, v[66:67], v[68:69] offset1:1
	s_waitcnt lgkmcnt(0)
	s_barrier
	buffer_gl0_inv
	ds_read2_b64 v[206:209], v1 offset0:68 offset1:69
	s_cmp_lt_i32 s8, 36
	s_cbranch_scc1 .LBB100_716
; %bb.714:
	v_add3_u32 v215, v216, 0, 0x230
	v_mov_b32_e32 v214, 34
	s_mov_b32 s1, 35
	s_inst_prefetch 0x1
	.p2align	6
.LBB100_715:                            ; =>This Inner Loop Header: Depth=1
	s_waitcnt lgkmcnt(0)
	v_cmp_gt_f64_e32 vcc_lo, 0, v[208:209]
	v_cmp_gt_f64_e64 s0, 0, v[206:207]
	ds_read2_b64 v[221:224], v215 offset1:1
	v_xor_b32_e32 v226, 0x80000000, v207
	v_xor_b32_e32 v228, 0x80000000, v209
	v_mov_b32_e32 v225, v206
	v_mov_b32_e32 v227, v208
	v_add_nc_u32_e32 v215, 16, v215
	s_waitcnt lgkmcnt(0)
	v_xor_b32_e32 v230, 0x80000000, v224
	v_cndmask_b32_e64 v226, v207, v226, s0
	v_cndmask_b32_e32 v228, v209, v228, vcc_lo
	v_cmp_gt_f64_e32 vcc_lo, 0, v[223:224]
	v_cmp_gt_f64_e64 s0, 0, v[221:222]
	v_mov_b32_e32 v229, v223
	v_add_f64 v[225:226], v[225:226], v[227:228]
	v_xor_b32_e32 v228, 0x80000000, v222
	v_mov_b32_e32 v227, v221
	v_cndmask_b32_e32 v230, v224, v230, vcc_lo
	v_cndmask_b32_e64 v228, v222, v228, s0
	v_add_f64 v[227:228], v[227:228], v[229:230]
	v_cmp_lt_f64_e32 vcc_lo, v[225:226], v[227:228]
	v_cndmask_b32_e32 v207, v207, v222, vcc_lo
	v_cndmask_b32_e32 v206, v206, v221, vcc_lo
	;; [unrolled: 1-line block ×4, first 2 shown]
	v_cndmask_b32_e64 v214, v214, s1, vcc_lo
	s_add_i32 s1, s1, 1
	s_cmp_lg_u32 s8, s1
	s_cbranch_scc1 .LBB100_715
.LBB100_716:
	s_inst_prefetch 0x2
	s_waitcnt lgkmcnt(0)
	v_cmp_eq_f64_e32 vcc_lo, 0, v[206:207]
	v_cmp_eq_f64_e64 s0, 0, v[208:209]
	s_and_b32 s0, vcc_lo, s0
	s_and_saveexec_b32 s1, s0
	s_xor_b32 s0, exec_lo, s1
; %bb.717:
	v_cmp_ne_u32_e32 vcc_lo, 0, v219
	v_cndmask_b32_e32 v219, 35, v219, vcc_lo
; %bb.718:
	s_andn2_saveexec_b32 s0, s0
	s_cbranch_execz .LBB100_724
; %bb.719:
	v_cmp_ngt_f64_e64 s1, |v[206:207]|, |v[208:209]|
	s_and_saveexec_b32 s7, s1
	s_xor_b32 s1, exec_lo, s7
	s_cbranch_execz .LBB100_721
; %bb.720:
	v_div_scale_f64 v[221:222], null, v[208:209], v[208:209], v[206:207]
	v_div_scale_f64 v[227:228], vcc_lo, v[206:207], v[208:209], v[206:207]
	v_rcp_f64_e32 v[223:224], v[221:222]
	v_fma_f64 v[225:226], -v[221:222], v[223:224], 1.0
	v_fma_f64 v[223:224], v[223:224], v[225:226], v[223:224]
	v_fma_f64 v[225:226], -v[221:222], v[223:224], 1.0
	v_fma_f64 v[223:224], v[223:224], v[225:226], v[223:224]
	v_mul_f64 v[225:226], v[227:228], v[223:224]
	v_fma_f64 v[221:222], -v[221:222], v[225:226], v[227:228]
	v_div_fmas_f64 v[221:222], v[221:222], v[223:224], v[225:226]
	v_div_fixup_f64 v[221:222], v[221:222], v[208:209], v[206:207]
	v_fma_f64 v[206:207], v[206:207], v[221:222], v[208:209]
	v_div_scale_f64 v[208:209], null, v[206:207], v[206:207], 1.0
	v_rcp_f64_e32 v[223:224], v[208:209]
	v_fma_f64 v[225:226], -v[208:209], v[223:224], 1.0
	v_fma_f64 v[223:224], v[223:224], v[225:226], v[223:224]
	v_fma_f64 v[225:226], -v[208:209], v[223:224], 1.0
	v_fma_f64 v[223:224], v[223:224], v[225:226], v[223:224]
	v_div_scale_f64 v[225:226], vcc_lo, 1.0, v[206:207], 1.0
	v_mul_f64 v[227:228], v[225:226], v[223:224]
	v_fma_f64 v[208:209], -v[208:209], v[227:228], v[225:226]
	v_div_fmas_f64 v[208:209], v[208:209], v[223:224], v[227:228]
	v_div_fixup_f64 v[208:209], v[208:209], v[206:207], 1.0
	v_mul_f64 v[206:207], v[221:222], v[208:209]
	v_xor_b32_e32 v209, 0x80000000, v209
.LBB100_721:
	s_andn2_saveexec_b32 s1, s1
	s_cbranch_execz .LBB100_723
; %bb.722:
	v_div_scale_f64 v[221:222], null, v[206:207], v[206:207], v[208:209]
	v_div_scale_f64 v[227:228], vcc_lo, v[208:209], v[206:207], v[208:209]
	v_rcp_f64_e32 v[223:224], v[221:222]
	v_fma_f64 v[225:226], -v[221:222], v[223:224], 1.0
	v_fma_f64 v[223:224], v[223:224], v[225:226], v[223:224]
	v_fma_f64 v[225:226], -v[221:222], v[223:224], 1.0
	v_fma_f64 v[223:224], v[223:224], v[225:226], v[223:224]
	v_mul_f64 v[225:226], v[227:228], v[223:224]
	v_fma_f64 v[221:222], -v[221:222], v[225:226], v[227:228]
	v_div_fmas_f64 v[221:222], v[221:222], v[223:224], v[225:226]
	v_div_fixup_f64 v[221:222], v[221:222], v[206:207], v[208:209]
	v_fma_f64 v[206:207], v[208:209], v[221:222], v[206:207]
	v_div_scale_f64 v[208:209], null, v[206:207], v[206:207], 1.0
	v_rcp_f64_e32 v[223:224], v[208:209]
	v_fma_f64 v[225:226], -v[208:209], v[223:224], 1.0
	v_fma_f64 v[223:224], v[223:224], v[225:226], v[223:224]
	v_fma_f64 v[225:226], -v[208:209], v[223:224], 1.0
	v_fma_f64 v[223:224], v[223:224], v[225:226], v[223:224]
	v_div_scale_f64 v[225:226], vcc_lo, 1.0, v[206:207], 1.0
	v_mul_f64 v[227:228], v[225:226], v[223:224]
	v_fma_f64 v[208:209], -v[208:209], v[227:228], v[225:226]
	v_div_fmas_f64 v[208:209], v[208:209], v[223:224], v[227:228]
	v_div_fixup_f64 v[206:207], v[208:209], v[206:207], 1.0
	v_mul_f64 v[208:209], v[221:222], -v[206:207]
.LBB100_723:
	s_or_b32 exec_lo, exec_lo, s1
.LBB100_724:
	s_or_b32 exec_lo, exec_lo, s0
	s_mov_b32 s0, exec_lo
	v_cmpx_ne_u32_e64 v220, v214
	s_xor_b32 s0, exec_lo, s0
	s_cbranch_execz .LBB100_730
; %bb.725:
	s_mov_b32 s1, exec_lo
	v_cmpx_eq_u32_e32 34, v220
	s_cbranch_execz .LBB100_729
; %bb.726:
	v_cmp_ne_u32_e32 vcc_lo, 34, v214
	s_xor_b32 s7, s16, -1
	s_and_b32 s9, s7, vcc_lo
	s_and_saveexec_b32 s7, s9
	s_cbranch_execz .LBB100_728
; %bb.727:
	v_ashrrev_i32_e32 v215, 31, v214
	v_lshlrev_b64 v[220:221], 2, v[214:215]
	v_add_co_u32 v220, vcc_lo, v212, v220
	v_add_co_ci_u32_e64 v221, null, v213, v221, vcc_lo
	s_clause 0x1
	global_load_dword v0, v[220:221], off
	global_load_dword v215, v[212:213], off offset:136
	s_waitcnt vmcnt(1)
	global_store_dword v[212:213], v0, off offset:136
	s_waitcnt vmcnt(0)
	global_store_dword v[220:221], v215, off
.LBB100_728:
	s_or_b32 exec_lo, exec_lo, s7
	v_mov_b32_e32 v220, v214
	v_mov_b32_e32 v0, v214
.LBB100_729:
	s_or_b32 exec_lo, exec_lo, s1
.LBB100_730:
	s_andn2_saveexec_b32 s0, s0
	s_cbranch_execz .LBB100_732
; %bb.731:
	v_mov_b32_e32 v220, 34
	ds_write2_b64 v1, v[62:63], v[64:65] offset0:70 offset1:71
	ds_write2_b64 v1, v[58:59], v[60:61] offset0:72 offset1:73
	;; [unrolled: 1-line block ×16, first 2 shown]
.LBB100_732:
	s_or_b32 exec_lo, exec_lo, s0
	s_mov_b32 s0, exec_lo
	s_waitcnt lgkmcnt(0)
	s_waitcnt_vscnt null, 0x0
	s_barrier
	buffer_gl0_inv
	v_cmpx_lt_i32_e32 34, v220
	s_cbranch_execz .LBB100_734
; %bb.733:
	v_mul_f64 v[214:215], v[206:207], v[68:69]
	v_mul_f64 v[68:69], v[208:209], v[68:69]
	v_fma_f64 v[214:215], v[208:209], v[66:67], v[214:215]
	v_fma_f64 v[66:67], v[206:207], v[66:67], -v[68:69]
	ds_read2_b64 v[206:209], v1 offset0:70 offset1:71
	s_waitcnt lgkmcnt(0)
	v_mul_f64 v[68:69], v[208:209], v[214:215]
	v_fma_f64 v[68:69], v[206:207], v[66:67], -v[68:69]
	v_mul_f64 v[206:207], v[206:207], v[214:215]
	v_add_f64 v[62:63], v[62:63], -v[68:69]
	v_fma_f64 v[206:207], v[208:209], v[66:67], v[206:207]
	v_add_f64 v[64:65], v[64:65], -v[206:207]
	ds_read2_b64 v[206:209], v1 offset0:72 offset1:73
	s_waitcnt lgkmcnt(0)
	v_mul_f64 v[68:69], v[208:209], v[214:215]
	v_fma_f64 v[68:69], v[206:207], v[66:67], -v[68:69]
	v_mul_f64 v[206:207], v[206:207], v[214:215]
	v_add_f64 v[58:59], v[58:59], -v[68:69]
	v_fma_f64 v[206:207], v[208:209], v[66:67], v[206:207]
	v_add_f64 v[60:61], v[60:61], -v[206:207]
	;; [unrolled: 8-line block ×15, first 2 shown]
	ds_read2_b64 v[206:209], v1 offset0:100 offset1:101
	s_waitcnt lgkmcnt(0)
	v_mul_f64 v[68:69], v[208:209], v[214:215]
	v_fma_f64 v[68:69], v[206:207], v[66:67], -v[68:69]
	v_mul_f64 v[206:207], v[206:207], v[214:215]
	v_add_f64 v[2:3], v[2:3], -v[68:69]
	v_fma_f64 v[206:207], v[208:209], v[66:67], v[206:207]
	v_mov_b32_e32 v68, v214
	v_mov_b32_e32 v69, v215
	v_add_f64 v[4:5], v[4:5], -v[206:207]
.LBB100_734:
	s_or_b32 exec_lo, exec_lo, s0
	v_lshl_add_u32 v206, v220, 4, v1
	s_barrier
	buffer_gl0_inv
	v_mov_b32_e32 v214, 35
	ds_write2_b64 v206, v[62:63], v[64:65] offset1:1
	s_waitcnt lgkmcnt(0)
	s_barrier
	buffer_gl0_inv
	ds_read2_b64 v[206:209], v1 offset0:70 offset1:71
	s_cmp_lt_i32 s8, 37
	s_cbranch_scc1 .LBB100_737
; %bb.735:
	v_add3_u32 v215, v216, 0, 0x240
	v_mov_b32_e32 v214, 35
	s_mov_b32 s1, 36
	s_inst_prefetch 0x1
	.p2align	6
.LBB100_736:                            ; =>This Inner Loop Header: Depth=1
	s_waitcnt lgkmcnt(0)
	v_cmp_gt_f64_e32 vcc_lo, 0, v[208:209]
	v_cmp_gt_f64_e64 s0, 0, v[206:207]
	ds_read2_b64 v[221:224], v215 offset1:1
	v_xor_b32_e32 v226, 0x80000000, v207
	v_xor_b32_e32 v228, 0x80000000, v209
	v_mov_b32_e32 v225, v206
	v_mov_b32_e32 v227, v208
	v_add_nc_u32_e32 v215, 16, v215
	s_waitcnt lgkmcnt(0)
	v_xor_b32_e32 v230, 0x80000000, v224
	v_cndmask_b32_e64 v226, v207, v226, s0
	v_cndmask_b32_e32 v228, v209, v228, vcc_lo
	v_cmp_gt_f64_e32 vcc_lo, 0, v[223:224]
	v_cmp_gt_f64_e64 s0, 0, v[221:222]
	v_mov_b32_e32 v229, v223
	v_add_f64 v[225:226], v[225:226], v[227:228]
	v_xor_b32_e32 v228, 0x80000000, v222
	v_mov_b32_e32 v227, v221
	v_cndmask_b32_e32 v230, v224, v230, vcc_lo
	v_cndmask_b32_e64 v228, v222, v228, s0
	v_add_f64 v[227:228], v[227:228], v[229:230]
	v_cmp_lt_f64_e32 vcc_lo, v[225:226], v[227:228]
	v_cndmask_b32_e32 v207, v207, v222, vcc_lo
	v_cndmask_b32_e32 v206, v206, v221, vcc_lo
	v_cndmask_b32_e32 v209, v209, v224, vcc_lo
	v_cndmask_b32_e32 v208, v208, v223, vcc_lo
	v_cndmask_b32_e64 v214, v214, s1, vcc_lo
	s_add_i32 s1, s1, 1
	s_cmp_lg_u32 s8, s1
	s_cbranch_scc1 .LBB100_736
.LBB100_737:
	s_inst_prefetch 0x2
	s_waitcnt lgkmcnt(0)
	v_cmp_eq_f64_e32 vcc_lo, 0, v[206:207]
	v_cmp_eq_f64_e64 s0, 0, v[208:209]
	s_and_b32 s0, vcc_lo, s0
	s_and_saveexec_b32 s1, s0
	s_xor_b32 s0, exec_lo, s1
; %bb.738:
	v_cmp_ne_u32_e32 vcc_lo, 0, v219
	v_cndmask_b32_e32 v219, 36, v219, vcc_lo
; %bb.739:
	s_andn2_saveexec_b32 s0, s0
	s_cbranch_execz .LBB100_745
; %bb.740:
	v_cmp_ngt_f64_e64 s1, |v[206:207]|, |v[208:209]|
	s_and_saveexec_b32 s7, s1
	s_xor_b32 s1, exec_lo, s7
	s_cbranch_execz .LBB100_742
; %bb.741:
	v_div_scale_f64 v[221:222], null, v[208:209], v[208:209], v[206:207]
	v_div_scale_f64 v[227:228], vcc_lo, v[206:207], v[208:209], v[206:207]
	v_rcp_f64_e32 v[223:224], v[221:222]
	v_fma_f64 v[225:226], -v[221:222], v[223:224], 1.0
	v_fma_f64 v[223:224], v[223:224], v[225:226], v[223:224]
	v_fma_f64 v[225:226], -v[221:222], v[223:224], 1.0
	v_fma_f64 v[223:224], v[223:224], v[225:226], v[223:224]
	v_mul_f64 v[225:226], v[227:228], v[223:224]
	v_fma_f64 v[221:222], -v[221:222], v[225:226], v[227:228]
	v_div_fmas_f64 v[221:222], v[221:222], v[223:224], v[225:226]
	v_div_fixup_f64 v[221:222], v[221:222], v[208:209], v[206:207]
	v_fma_f64 v[206:207], v[206:207], v[221:222], v[208:209]
	v_div_scale_f64 v[208:209], null, v[206:207], v[206:207], 1.0
	v_rcp_f64_e32 v[223:224], v[208:209]
	v_fma_f64 v[225:226], -v[208:209], v[223:224], 1.0
	v_fma_f64 v[223:224], v[223:224], v[225:226], v[223:224]
	v_fma_f64 v[225:226], -v[208:209], v[223:224], 1.0
	v_fma_f64 v[223:224], v[223:224], v[225:226], v[223:224]
	v_div_scale_f64 v[225:226], vcc_lo, 1.0, v[206:207], 1.0
	v_mul_f64 v[227:228], v[225:226], v[223:224]
	v_fma_f64 v[208:209], -v[208:209], v[227:228], v[225:226]
	v_div_fmas_f64 v[208:209], v[208:209], v[223:224], v[227:228]
	v_div_fixup_f64 v[208:209], v[208:209], v[206:207], 1.0
	v_mul_f64 v[206:207], v[221:222], v[208:209]
	v_xor_b32_e32 v209, 0x80000000, v209
.LBB100_742:
	s_andn2_saveexec_b32 s1, s1
	s_cbranch_execz .LBB100_744
; %bb.743:
	v_div_scale_f64 v[221:222], null, v[206:207], v[206:207], v[208:209]
	v_div_scale_f64 v[227:228], vcc_lo, v[208:209], v[206:207], v[208:209]
	v_rcp_f64_e32 v[223:224], v[221:222]
	v_fma_f64 v[225:226], -v[221:222], v[223:224], 1.0
	v_fma_f64 v[223:224], v[223:224], v[225:226], v[223:224]
	v_fma_f64 v[225:226], -v[221:222], v[223:224], 1.0
	v_fma_f64 v[223:224], v[223:224], v[225:226], v[223:224]
	v_mul_f64 v[225:226], v[227:228], v[223:224]
	v_fma_f64 v[221:222], -v[221:222], v[225:226], v[227:228]
	v_div_fmas_f64 v[221:222], v[221:222], v[223:224], v[225:226]
	v_div_fixup_f64 v[221:222], v[221:222], v[206:207], v[208:209]
	v_fma_f64 v[206:207], v[208:209], v[221:222], v[206:207]
	v_div_scale_f64 v[208:209], null, v[206:207], v[206:207], 1.0
	v_rcp_f64_e32 v[223:224], v[208:209]
	v_fma_f64 v[225:226], -v[208:209], v[223:224], 1.0
	v_fma_f64 v[223:224], v[223:224], v[225:226], v[223:224]
	v_fma_f64 v[225:226], -v[208:209], v[223:224], 1.0
	v_fma_f64 v[223:224], v[223:224], v[225:226], v[223:224]
	v_div_scale_f64 v[225:226], vcc_lo, 1.0, v[206:207], 1.0
	v_mul_f64 v[227:228], v[225:226], v[223:224]
	v_fma_f64 v[208:209], -v[208:209], v[227:228], v[225:226]
	v_div_fmas_f64 v[208:209], v[208:209], v[223:224], v[227:228]
	v_div_fixup_f64 v[206:207], v[208:209], v[206:207], 1.0
	v_mul_f64 v[208:209], v[221:222], -v[206:207]
.LBB100_744:
	s_or_b32 exec_lo, exec_lo, s1
.LBB100_745:
	s_or_b32 exec_lo, exec_lo, s0
	s_mov_b32 s0, exec_lo
	v_cmpx_ne_u32_e64 v220, v214
	s_xor_b32 s0, exec_lo, s0
	s_cbranch_execz .LBB100_751
; %bb.746:
	s_mov_b32 s1, exec_lo
	v_cmpx_eq_u32_e32 35, v220
	s_cbranch_execz .LBB100_750
; %bb.747:
	v_cmp_ne_u32_e32 vcc_lo, 35, v214
	s_xor_b32 s7, s16, -1
	s_and_b32 s9, s7, vcc_lo
	s_and_saveexec_b32 s7, s9
	s_cbranch_execz .LBB100_749
; %bb.748:
	v_ashrrev_i32_e32 v215, 31, v214
	v_lshlrev_b64 v[220:221], 2, v[214:215]
	v_add_co_u32 v220, vcc_lo, v212, v220
	v_add_co_ci_u32_e64 v221, null, v213, v221, vcc_lo
	s_clause 0x1
	global_load_dword v0, v[220:221], off
	global_load_dword v215, v[212:213], off offset:140
	s_waitcnt vmcnt(1)
	global_store_dword v[212:213], v0, off offset:140
	s_waitcnt vmcnt(0)
	global_store_dword v[220:221], v215, off
.LBB100_749:
	s_or_b32 exec_lo, exec_lo, s7
	v_mov_b32_e32 v220, v214
	v_mov_b32_e32 v0, v214
.LBB100_750:
	s_or_b32 exec_lo, exec_lo, s1
.LBB100_751:
	s_andn2_saveexec_b32 s0, s0
	s_cbranch_execz .LBB100_753
; %bb.752:
	v_mov_b32_e32 v220, 35
	ds_write2_b64 v1, v[58:59], v[60:61] offset0:72 offset1:73
	ds_write2_b64 v1, v[54:55], v[56:57] offset0:74 offset1:75
	;; [unrolled: 1-line block ×15, first 2 shown]
.LBB100_753:
	s_or_b32 exec_lo, exec_lo, s0
	s_mov_b32 s0, exec_lo
	s_waitcnt lgkmcnt(0)
	s_waitcnt_vscnt null, 0x0
	s_barrier
	buffer_gl0_inv
	v_cmpx_lt_i32_e32 35, v220
	s_cbranch_execz .LBB100_755
; %bb.754:
	v_mul_f64 v[214:215], v[206:207], v[64:65]
	v_mul_f64 v[64:65], v[208:209], v[64:65]
	v_fma_f64 v[214:215], v[208:209], v[62:63], v[214:215]
	v_fma_f64 v[62:63], v[206:207], v[62:63], -v[64:65]
	ds_read2_b64 v[206:209], v1 offset0:72 offset1:73
	s_waitcnt lgkmcnt(0)
	v_mul_f64 v[64:65], v[208:209], v[214:215]
	v_fma_f64 v[64:65], v[206:207], v[62:63], -v[64:65]
	v_mul_f64 v[206:207], v[206:207], v[214:215]
	v_add_f64 v[58:59], v[58:59], -v[64:65]
	v_fma_f64 v[206:207], v[208:209], v[62:63], v[206:207]
	v_add_f64 v[60:61], v[60:61], -v[206:207]
	ds_read2_b64 v[206:209], v1 offset0:74 offset1:75
	s_waitcnt lgkmcnt(0)
	v_mul_f64 v[64:65], v[208:209], v[214:215]
	v_fma_f64 v[64:65], v[206:207], v[62:63], -v[64:65]
	v_mul_f64 v[206:207], v[206:207], v[214:215]
	v_add_f64 v[54:55], v[54:55], -v[64:65]
	v_fma_f64 v[206:207], v[208:209], v[62:63], v[206:207]
	v_add_f64 v[56:57], v[56:57], -v[206:207]
	;; [unrolled: 8-line block ×14, first 2 shown]
	ds_read2_b64 v[206:209], v1 offset0:100 offset1:101
	s_waitcnt lgkmcnt(0)
	v_mul_f64 v[64:65], v[208:209], v[214:215]
	v_fma_f64 v[64:65], v[206:207], v[62:63], -v[64:65]
	v_mul_f64 v[206:207], v[206:207], v[214:215]
	v_add_f64 v[2:3], v[2:3], -v[64:65]
	v_fma_f64 v[206:207], v[208:209], v[62:63], v[206:207]
	v_mov_b32_e32 v64, v214
	v_mov_b32_e32 v65, v215
	v_add_f64 v[4:5], v[4:5], -v[206:207]
.LBB100_755:
	s_or_b32 exec_lo, exec_lo, s0
	v_lshl_add_u32 v206, v220, 4, v1
	s_barrier
	buffer_gl0_inv
	v_mov_b32_e32 v214, 36
	ds_write2_b64 v206, v[58:59], v[60:61] offset1:1
	s_waitcnt lgkmcnt(0)
	s_barrier
	buffer_gl0_inv
	ds_read2_b64 v[206:209], v1 offset0:72 offset1:73
	s_cmp_lt_i32 s8, 38
	s_cbranch_scc1 .LBB100_758
; %bb.756:
	v_add3_u32 v215, v216, 0, 0x250
	v_mov_b32_e32 v214, 36
	s_mov_b32 s1, 37
	s_inst_prefetch 0x1
	.p2align	6
.LBB100_757:                            ; =>This Inner Loop Header: Depth=1
	s_waitcnt lgkmcnt(0)
	v_cmp_gt_f64_e32 vcc_lo, 0, v[208:209]
	v_cmp_gt_f64_e64 s0, 0, v[206:207]
	ds_read2_b64 v[221:224], v215 offset1:1
	v_xor_b32_e32 v226, 0x80000000, v207
	v_xor_b32_e32 v228, 0x80000000, v209
	v_mov_b32_e32 v225, v206
	v_mov_b32_e32 v227, v208
	v_add_nc_u32_e32 v215, 16, v215
	s_waitcnt lgkmcnt(0)
	v_xor_b32_e32 v230, 0x80000000, v224
	v_cndmask_b32_e64 v226, v207, v226, s0
	v_cndmask_b32_e32 v228, v209, v228, vcc_lo
	v_cmp_gt_f64_e32 vcc_lo, 0, v[223:224]
	v_cmp_gt_f64_e64 s0, 0, v[221:222]
	v_mov_b32_e32 v229, v223
	v_add_f64 v[225:226], v[225:226], v[227:228]
	v_xor_b32_e32 v228, 0x80000000, v222
	v_mov_b32_e32 v227, v221
	v_cndmask_b32_e32 v230, v224, v230, vcc_lo
	v_cndmask_b32_e64 v228, v222, v228, s0
	v_add_f64 v[227:228], v[227:228], v[229:230]
	v_cmp_lt_f64_e32 vcc_lo, v[225:226], v[227:228]
	v_cndmask_b32_e32 v207, v207, v222, vcc_lo
	v_cndmask_b32_e32 v206, v206, v221, vcc_lo
	;; [unrolled: 1-line block ×4, first 2 shown]
	v_cndmask_b32_e64 v214, v214, s1, vcc_lo
	s_add_i32 s1, s1, 1
	s_cmp_lg_u32 s8, s1
	s_cbranch_scc1 .LBB100_757
.LBB100_758:
	s_inst_prefetch 0x2
	s_waitcnt lgkmcnt(0)
	v_cmp_eq_f64_e32 vcc_lo, 0, v[206:207]
	v_cmp_eq_f64_e64 s0, 0, v[208:209]
	s_and_b32 s0, vcc_lo, s0
	s_and_saveexec_b32 s1, s0
	s_xor_b32 s0, exec_lo, s1
; %bb.759:
	v_cmp_ne_u32_e32 vcc_lo, 0, v219
	v_cndmask_b32_e32 v219, 37, v219, vcc_lo
; %bb.760:
	s_andn2_saveexec_b32 s0, s0
	s_cbranch_execz .LBB100_766
; %bb.761:
	v_cmp_ngt_f64_e64 s1, |v[206:207]|, |v[208:209]|
	s_and_saveexec_b32 s7, s1
	s_xor_b32 s1, exec_lo, s7
	s_cbranch_execz .LBB100_763
; %bb.762:
	v_div_scale_f64 v[221:222], null, v[208:209], v[208:209], v[206:207]
	v_div_scale_f64 v[227:228], vcc_lo, v[206:207], v[208:209], v[206:207]
	v_rcp_f64_e32 v[223:224], v[221:222]
	v_fma_f64 v[225:226], -v[221:222], v[223:224], 1.0
	v_fma_f64 v[223:224], v[223:224], v[225:226], v[223:224]
	v_fma_f64 v[225:226], -v[221:222], v[223:224], 1.0
	v_fma_f64 v[223:224], v[223:224], v[225:226], v[223:224]
	v_mul_f64 v[225:226], v[227:228], v[223:224]
	v_fma_f64 v[221:222], -v[221:222], v[225:226], v[227:228]
	v_div_fmas_f64 v[221:222], v[221:222], v[223:224], v[225:226]
	v_div_fixup_f64 v[221:222], v[221:222], v[208:209], v[206:207]
	v_fma_f64 v[206:207], v[206:207], v[221:222], v[208:209]
	v_div_scale_f64 v[208:209], null, v[206:207], v[206:207], 1.0
	v_rcp_f64_e32 v[223:224], v[208:209]
	v_fma_f64 v[225:226], -v[208:209], v[223:224], 1.0
	v_fma_f64 v[223:224], v[223:224], v[225:226], v[223:224]
	v_fma_f64 v[225:226], -v[208:209], v[223:224], 1.0
	v_fma_f64 v[223:224], v[223:224], v[225:226], v[223:224]
	v_div_scale_f64 v[225:226], vcc_lo, 1.0, v[206:207], 1.0
	v_mul_f64 v[227:228], v[225:226], v[223:224]
	v_fma_f64 v[208:209], -v[208:209], v[227:228], v[225:226]
	v_div_fmas_f64 v[208:209], v[208:209], v[223:224], v[227:228]
	v_div_fixup_f64 v[208:209], v[208:209], v[206:207], 1.0
	v_mul_f64 v[206:207], v[221:222], v[208:209]
	v_xor_b32_e32 v209, 0x80000000, v209
.LBB100_763:
	s_andn2_saveexec_b32 s1, s1
	s_cbranch_execz .LBB100_765
; %bb.764:
	v_div_scale_f64 v[221:222], null, v[206:207], v[206:207], v[208:209]
	v_div_scale_f64 v[227:228], vcc_lo, v[208:209], v[206:207], v[208:209]
	v_rcp_f64_e32 v[223:224], v[221:222]
	v_fma_f64 v[225:226], -v[221:222], v[223:224], 1.0
	v_fma_f64 v[223:224], v[223:224], v[225:226], v[223:224]
	v_fma_f64 v[225:226], -v[221:222], v[223:224], 1.0
	v_fma_f64 v[223:224], v[223:224], v[225:226], v[223:224]
	v_mul_f64 v[225:226], v[227:228], v[223:224]
	v_fma_f64 v[221:222], -v[221:222], v[225:226], v[227:228]
	v_div_fmas_f64 v[221:222], v[221:222], v[223:224], v[225:226]
	v_div_fixup_f64 v[221:222], v[221:222], v[206:207], v[208:209]
	v_fma_f64 v[206:207], v[208:209], v[221:222], v[206:207]
	v_div_scale_f64 v[208:209], null, v[206:207], v[206:207], 1.0
	v_rcp_f64_e32 v[223:224], v[208:209]
	v_fma_f64 v[225:226], -v[208:209], v[223:224], 1.0
	v_fma_f64 v[223:224], v[223:224], v[225:226], v[223:224]
	v_fma_f64 v[225:226], -v[208:209], v[223:224], 1.0
	v_fma_f64 v[223:224], v[223:224], v[225:226], v[223:224]
	v_div_scale_f64 v[225:226], vcc_lo, 1.0, v[206:207], 1.0
	v_mul_f64 v[227:228], v[225:226], v[223:224]
	v_fma_f64 v[208:209], -v[208:209], v[227:228], v[225:226]
	v_div_fmas_f64 v[208:209], v[208:209], v[223:224], v[227:228]
	v_div_fixup_f64 v[206:207], v[208:209], v[206:207], 1.0
	v_mul_f64 v[208:209], v[221:222], -v[206:207]
.LBB100_765:
	s_or_b32 exec_lo, exec_lo, s1
.LBB100_766:
	s_or_b32 exec_lo, exec_lo, s0
	s_mov_b32 s0, exec_lo
	v_cmpx_ne_u32_e64 v220, v214
	s_xor_b32 s0, exec_lo, s0
	s_cbranch_execz .LBB100_772
; %bb.767:
	s_mov_b32 s1, exec_lo
	v_cmpx_eq_u32_e32 36, v220
	s_cbranch_execz .LBB100_771
; %bb.768:
	v_cmp_ne_u32_e32 vcc_lo, 36, v214
	s_xor_b32 s7, s16, -1
	s_and_b32 s9, s7, vcc_lo
	s_and_saveexec_b32 s7, s9
	s_cbranch_execz .LBB100_770
; %bb.769:
	v_ashrrev_i32_e32 v215, 31, v214
	v_lshlrev_b64 v[220:221], 2, v[214:215]
	v_add_co_u32 v220, vcc_lo, v212, v220
	v_add_co_ci_u32_e64 v221, null, v213, v221, vcc_lo
	s_clause 0x1
	global_load_dword v0, v[220:221], off
	global_load_dword v215, v[212:213], off offset:144
	s_waitcnt vmcnt(1)
	global_store_dword v[212:213], v0, off offset:144
	s_waitcnt vmcnt(0)
	global_store_dword v[220:221], v215, off
.LBB100_770:
	s_or_b32 exec_lo, exec_lo, s7
	v_mov_b32_e32 v220, v214
	v_mov_b32_e32 v0, v214
.LBB100_771:
	s_or_b32 exec_lo, exec_lo, s1
.LBB100_772:
	s_andn2_saveexec_b32 s0, s0
	s_cbranch_execz .LBB100_774
; %bb.773:
	v_mov_b32_e32 v220, 36
	ds_write2_b64 v1, v[54:55], v[56:57] offset0:74 offset1:75
	ds_write2_b64 v1, v[50:51], v[52:53] offset0:76 offset1:77
	;; [unrolled: 1-line block ×14, first 2 shown]
.LBB100_774:
	s_or_b32 exec_lo, exec_lo, s0
	s_mov_b32 s0, exec_lo
	s_waitcnt lgkmcnt(0)
	s_waitcnt_vscnt null, 0x0
	s_barrier
	buffer_gl0_inv
	v_cmpx_lt_i32_e32 36, v220
	s_cbranch_execz .LBB100_776
; %bb.775:
	v_mul_f64 v[214:215], v[206:207], v[60:61]
	v_mul_f64 v[60:61], v[208:209], v[60:61]
	v_fma_f64 v[214:215], v[208:209], v[58:59], v[214:215]
	v_fma_f64 v[58:59], v[206:207], v[58:59], -v[60:61]
	ds_read2_b64 v[206:209], v1 offset0:74 offset1:75
	s_waitcnt lgkmcnt(0)
	v_mul_f64 v[60:61], v[208:209], v[214:215]
	v_fma_f64 v[60:61], v[206:207], v[58:59], -v[60:61]
	v_mul_f64 v[206:207], v[206:207], v[214:215]
	v_add_f64 v[54:55], v[54:55], -v[60:61]
	v_fma_f64 v[206:207], v[208:209], v[58:59], v[206:207]
	v_add_f64 v[56:57], v[56:57], -v[206:207]
	ds_read2_b64 v[206:209], v1 offset0:76 offset1:77
	s_waitcnt lgkmcnt(0)
	v_mul_f64 v[60:61], v[208:209], v[214:215]
	v_fma_f64 v[60:61], v[206:207], v[58:59], -v[60:61]
	v_mul_f64 v[206:207], v[206:207], v[214:215]
	v_add_f64 v[50:51], v[50:51], -v[60:61]
	v_fma_f64 v[206:207], v[208:209], v[58:59], v[206:207]
	v_add_f64 v[52:53], v[52:53], -v[206:207]
	;; [unrolled: 8-line block ×13, first 2 shown]
	ds_read2_b64 v[206:209], v1 offset0:100 offset1:101
	s_waitcnt lgkmcnt(0)
	v_mul_f64 v[60:61], v[208:209], v[214:215]
	v_fma_f64 v[60:61], v[206:207], v[58:59], -v[60:61]
	v_mul_f64 v[206:207], v[206:207], v[214:215]
	v_add_f64 v[2:3], v[2:3], -v[60:61]
	v_fma_f64 v[206:207], v[208:209], v[58:59], v[206:207]
	v_mov_b32_e32 v60, v214
	v_mov_b32_e32 v61, v215
	v_add_f64 v[4:5], v[4:5], -v[206:207]
.LBB100_776:
	s_or_b32 exec_lo, exec_lo, s0
	v_lshl_add_u32 v206, v220, 4, v1
	s_barrier
	buffer_gl0_inv
	v_mov_b32_e32 v214, 37
	ds_write2_b64 v206, v[54:55], v[56:57] offset1:1
	s_waitcnt lgkmcnt(0)
	s_barrier
	buffer_gl0_inv
	ds_read2_b64 v[206:209], v1 offset0:74 offset1:75
	s_cmp_lt_i32 s8, 39
	s_cbranch_scc1 .LBB100_779
; %bb.777:
	v_add3_u32 v215, v216, 0, 0x260
	v_mov_b32_e32 v214, 37
	s_mov_b32 s1, 38
	s_inst_prefetch 0x1
	.p2align	6
.LBB100_778:                            ; =>This Inner Loop Header: Depth=1
	s_waitcnt lgkmcnt(0)
	v_cmp_gt_f64_e32 vcc_lo, 0, v[208:209]
	v_cmp_gt_f64_e64 s0, 0, v[206:207]
	ds_read2_b64 v[221:224], v215 offset1:1
	v_xor_b32_e32 v226, 0x80000000, v207
	v_xor_b32_e32 v228, 0x80000000, v209
	v_mov_b32_e32 v225, v206
	v_mov_b32_e32 v227, v208
	v_add_nc_u32_e32 v215, 16, v215
	s_waitcnt lgkmcnt(0)
	v_xor_b32_e32 v230, 0x80000000, v224
	v_cndmask_b32_e64 v226, v207, v226, s0
	v_cndmask_b32_e32 v228, v209, v228, vcc_lo
	v_cmp_gt_f64_e32 vcc_lo, 0, v[223:224]
	v_cmp_gt_f64_e64 s0, 0, v[221:222]
	v_mov_b32_e32 v229, v223
	v_add_f64 v[225:226], v[225:226], v[227:228]
	v_xor_b32_e32 v228, 0x80000000, v222
	v_mov_b32_e32 v227, v221
	v_cndmask_b32_e32 v230, v224, v230, vcc_lo
	v_cndmask_b32_e64 v228, v222, v228, s0
	v_add_f64 v[227:228], v[227:228], v[229:230]
	v_cmp_lt_f64_e32 vcc_lo, v[225:226], v[227:228]
	v_cndmask_b32_e32 v207, v207, v222, vcc_lo
	v_cndmask_b32_e32 v206, v206, v221, vcc_lo
	;; [unrolled: 1-line block ×4, first 2 shown]
	v_cndmask_b32_e64 v214, v214, s1, vcc_lo
	s_add_i32 s1, s1, 1
	s_cmp_lg_u32 s8, s1
	s_cbranch_scc1 .LBB100_778
.LBB100_779:
	s_inst_prefetch 0x2
	s_waitcnt lgkmcnt(0)
	v_cmp_eq_f64_e32 vcc_lo, 0, v[206:207]
	v_cmp_eq_f64_e64 s0, 0, v[208:209]
	s_and_b32 s0, vcc_lo, s0
	s_and_saveexec_b32 s1, s0
	s_xor_b32 s0, exec_lo, s1
; %bb.780:
	v_cmp_ne_u32_e32 vcc_lo, 0, v219
	v_cndmask_b32_e32 v219, 38, v219, vcc_lo
; %bb.781:
	s_andn2_saveexec_b32 s0, s0
	s_cbranch_execz .LBB100_787
; %bb.782:
	v_cmp_ngt_f64_e64 s1, |v[206:207]|, |v[208:209]|
	s_and_saveexec_b32 s7, s1
	s_xor_b32 s1, exec_lo, s7
	s_cbranch_execz .LBB100_784
; %bb.783:
	v_div_scale_f64 v[221:222], null, v[208:209], v[208:209], v[206:207]
	v_div_scale_f64 v[227:228], vcc_lo, v[206:207], v[208:209], v[206:207]
	v_rcp_f64_e32 v[223:224], v[221:222]
	v_fma_f64 v[225:226], -v[221:222], v[223:224], 1.0
	v_fma_f64 v[223:224], v[223:224], v[225:226], v[223:224]
	v_fma_f64 v[225:226], -v[221:222], v[223:224], 1.0
	v_fma_f64 v[223:224], v[223:224], v[225:226], v[223:224]
	v_mul_f64 v[225:226], v[227:228], v[223:224]
	v_fma_f64 v[221:222], -v[221:222], v[225:226], v[227:228]
	v_div_fmas_f64 v[221:222], v[221:222], v[223:224], v[225:226]
	v_div_fixup_f64 v[221:222], v[221:222], v[208:209], v[206:207]
	v_fma_f64 v[206:207], v[206:207], v[221:222], v[208:209]
	v_div_scale_f64 v[208:209], null, v[206:207], v[206:207], 1.0
	v_rcp_f64_e32 v[223:224], v[208:209]
	v_fma_f64 v[225:226], -v[208:209], v[223:224], 1.0
	v_fma_f64 v[223:224], v[223:224], v[225:226], v[223:224]
	v_fma_f64 v[225:226], -v[208:209], v[223:224], 1.0
	v_fma_f64 v[223:224], v[223:224], v[225:226], v[223:224]
	v_div_scale_f64 v[225:226], vcc_lo, 1.0, v[206:207], 1.0
	v_mul_f64 v[227:228], v[225:226], v[223:224]
	v_fma_f64 v[208:209], -v[208:209], v[227:228], v[225:226]
	v_div_fmas_f64 v[208:209], v[208:209], v[223:224], v[227:228]
	v_div_fixup_f64 v[208:209], v[208:209], v[206:207], 1.0
	v_mul_f64 v[206:207], v[221:222], v[208:209]
	v_xor_b32_e32 v209, 0x80000000, v209
.LBB100_784:
	s_andn2_saveexec_b32 s1, s1
	s_cbranch_execz .LBB100_786
; %bb.785:
	v_div_scale_f64 v[221:222], null, v[206:207], v[206:207], v[208:209]
	v_div_scale_f64 v[227:228], vcc_lo, v[208:209], v[206:207], v[208:209]
	v_rcp_f64_e32 v[223:224], v[221:222]
	v_fma_f64 v[225:226], -v[221:222], v[223:224], 1.0
	v_fma_f64 v[223:224], v[223:224], v[225:226], v[223:224]
	v_fma_f64 v[225:226], -v[221:222], v[223:224], 1.0
	v_fma_f64 v[223:224], v[223:224], v[225:226], v[223:224]
	v_mul_f64 v[225:226], v[227:228], v[223:224]
	v_fma_f64 v[221:222], -v[221:222], v[225:226], v[227:228]
	v_div_fmas_f64 v[221:222], v[221:222], v[223:224], v[225:226]
	v_div_fixup_f64 v[221:222], v[221:222], v[206:207], v[208:209]
	v_fma_f64 v[206:207], v[208:209], v[221:222], v[206:207]
	v_div_scale_f64 v[208:209], null, v[206:207], v[206:207], 1.0
	v_rcp_f64_e32 v[223:224], v[208:209]
	v_fma_f64 v[225:226], -v[208:209], v[223:224], 1.0
	v_fma_f64 v[223:224], v[223:224], v[225:226], v[223:224]
	v_fma_f64 v[225:226], -v[208:209], v[223:224], 1.0
	v_fma_f64 v[223:224], v[223:224], v[225:226], v[223:224]
	v_div_scale_f64 v[225:226], vcc_lo, 1.0, v[206:207], 1.0
	v_mul_f64 v[227:228], v[225:226], v[223:224]
	v_fma_f64 v[208:209], -v[208:209], v[227:228], v[225:226]
	v_div_fmas_f64 v[208:209], v[208:209], v[223:224], v[227:228]
	v_div_fixup_f64 v[206:207], v[208:209], v[206:207], 1.0
	v_mul_f64 v[208:209], v[221:222], -v[206:207]
.LBB100_786:
	s_or_b32 exec_lo, exec_lo, s1
.LBB100_787:
	s_or_b32 exec_lo, exec_lo, s0
	s_mov_b32 s0, exec_lo
	v_cmpx_ne_u32_e64 v220, v214
	s_xor_b32 s0, exec_lo, s0
	s_cbranch_execz .LBB100_793
; %bb.788:
	s_mov_b32 s1, exec_lo
	v_cmpx_eq_u32_e32 37, v220
	s_cbranch_execz .LBB100_792
; %bb.789:
	v_cmp_ne_u32_e32 vcc_lo, 37, v214
	s_xor_b32 s7, s16, -1
	s_and_b32 s9, s7, vcc_lo
	s_and_saveexec_b32 s7, s9
	s_cbranch_execz .LBB100_791
; %bb.790:
	v_ashrrev_i32_e32 v215, 31, v214
	v_lshlrev_b64 v[220:221], 2, v[214:215]
	v_add_co_u32 v220, vcc_lo, v212, v220
	v_add_co_ci_u32_e64 v221, null, v213, v221, vcc_lo
	s_clause 0x1
	global_load_dword v0, v[220:221], off
	global_load_dword v215, v[212:213], off offset:148
	s_waitcnt vmcnt(1)
	global_store_dword v[212:213], v0, off offset:148
	s_waitcnt vmcnt(0)
	global_store_dword v[220:221], v215, off
.LBB100_791:
	s_or_b32 exec_lo, exec_lo, s7
	v_mov_b32_e32 v220, v214
	v_mov_b32_e32 v0, v214
.LBB100_792:
	s_or_b32 exec_lo, exec_lo, s1
.LBB100_793:
	s_andn2_saveexec_b32 s0, s0
	s_cbranch_execz .LBB100_795
; %bb.794:
	v_mov_b32_e32 v220, 37
	ds_write2_b64 v1, v[50:51], v[52:53] offset0:76 offset1:77
	ds_write2_b64 v1, v[46:47], v[48:49] offset0:78 offset1:79
	;; [unrolled: 1-line block ×13, first 2 shown]
.LBB100_795:
	s_or_b32 exec_lo, exec_lo, s0
	s_mov_b32 s0, exec_lo
	s_waitcnt lgkmcnt(0)
	s_waitcnt_vscnt null, 0x0
	s_barrier
	buffer_gl0_inv
	v_cmpx_lt_i32_e32 37, v220
	s_cbranch_execz .LBB100_797
; %bb.796:
	v_mul_f64 v[214:215], v[206:207], v[56:57]
	v_mul_f64 v[56:57], v[208:209], v[56:57]
	v_fma_f64 v[214:215], v[208:209], v[54:55], v[214:215]
	v_fma_f64 v[54:55], v[206:207], v[54:55], -v[56:57]
	ds_read2_b64 v[206:209], v1 offset0:76 offset1:77
	s_waitcnt lgkmcnt(0)
	v_mul_f64 v[56:57], v[208:209], v[214:215]
	v_fma_f64 v[56:57], v[206:207], v[54:55], -v[56:57]
	v_mul_f64 v[206:207], v[206:207], v[214:215]
	v_add_f64 v[50:51], v[50:51], -v[56:57]
	v_fma_f64 v[206:207], v[208:209], v[54:55], v[206:207]
	v_add_f64 v[52:53], v[52:53], -v[206:207]
	ds_read2_b64 v[206:209], v1 offset0:78 offset1:79
	s_waitcnt lgkmcnt(0)
	v_mul_f64 v[56:57], v[208:209], v[214:215]
	v_fma_f64 v[56:57], v[206:207], v[54:55], -v[56:57]
	v_mul_f64 v[206:207], v[206:207], v[214:215]
	v_add_f64 v[46:47], v[46:47], -v[56:57]
	v_fma_f64 v[206:207], v[208:209], v[54:55], v[206:207]
	v_add_f64 v[48:49], v[48:49], -v[206:207]
	ds_read2_b64 v[206:209], v1 offset0:80 offset1:81
	s_waitcnt lgkmcnt(0)
	v_mul_f64 v[56:57], v[208:209], v[214:215]
	v_fma_f64 v[56:57], v[206:207], v[54:55], -v[56:57]
	v_mul_f64 v[206:207], v[206:207], v[214:215]
	v_add_f64 v[42:43], v[42:43], -v[56:57]
	v_fma_f64 v[206:207], v[208:209], v[54:55], v[206:207]
	v_add_f64 v[44:45], v[44:45], -v[206:207]
	ds_read2_b64 v[206:209], v1 offset0:82 offset1:83
	s_waitcnt lgkmcnt(0)
	v_mul_f64 v[56:57], v[208:209], v[214:215]
	v_fma_f64 v[56:57], v[206:207], v[54:55], -v[56:57]
	v_mul_f64 v[206:207], v[206:207], v[214:215]
	v_add_f64 v[38:39], v[38:39], -v[56:57]
	v_fma_f64 v[206:207], v[208:209], v[54:55], v[206:207]
	v_add_f64 v[40:41], v[40:41], -v[206:207]
	ds_read2_b64 v[206:209], v1 offset0:84 offset1:85
	s_waitcnt lgkmcnt(0)
	v_mul_f64 v[56:57], v[208:209], v[214:215]
	v_fma_f64 v[56:57], v[206:207], v[54:55], -v[56:57]
	v_mul_f64 v[206:207], v[206:207], v[214:215]
	v_add_f64 v[34:35], v[34:35], -v[56:57]
	v_fma_f64 v[206:207], v[208:209], v[54:55], v[206:207]
	v_add_f64 v[36:37], v[36:37], -v[206:207]
	ds_read2_b64 v[206:209], v1 offset0:86 offset1:87
	s_waitcnt lgkmcnt(0)
	v_mul_f64 v[56:57], v[208:209], v[214:215]
	v_fma_f64 v[56:57], v[206:207], v[54:55], -v[56:57]
	v_mul_f64 v[206:207], v[206:207], v[214:215]
	v_add_f64 v[30:31], v[30:31], -v[56:57]
	v_fma_f64 v[206:207], v[208:209], v[54:55], v[206:207]
	v_add_f64 v[32:33], v[32:33], -v[206:207]
	ds_read2_b64 v[206:209], v1 offset0:88 offset1:89
	s_waitcnt lgkmcnt(0)
	v_mul_f64 v[56:57], v[208:209], v[214:215]
	v_fma_f64 v[56:57], v[206:207], v[54:55], -v[56:57]
	v_mul_f64 v[206:207], v[206:207], v[214:215]
	v_add_f64 v[26:27], v[26:27], -v[56:57]
	v_fma_f64 v[206:207], v[208:209], v[54:55], v[206:207]
	v_add_f64 v[28:29], v[28:29], -v[206:207]
	ds_read2_b64 v[206:209], v1 offset0:90 offset1:91
	s_waitcnt lgkmcnt(0)
	v_mul_f64 v[56:57], v[208:209], v[214:215]
	v_fma_f64 v[56:57], v[206:207], v[54:55], -v[56:57]
	v_mul_f64 v[206:207], v[206:207], v[214:215]
	v_add_f64 v[22:23], v[22:23], -v[56:57]
	v_fma_f64 v[206:207], v[208:209], v[54:55], v[206:207]
	v_add_f64 v[24:25], v[24:25], -v[206:207]
	ds_read2_b64 v[206:209], v1 offset0:92 offset1:93
	s_waitcnt lgkmcnt(0)
	v_mul_f64 v[56:57], v[208:209], v[214:215]
	v_fma_f64 v[56:57], v[206:207], v[54:55], -v[56:57]
	v_mul_f64 v[206:207], v[206:207], v[214:215]
	v_add_f64 v[18:19], v[18:19], -v[56:57]
	v_fma_f64 v[206:207], v[208:209], v[54:55], v[206:207]
	v_add_f64 v[20:21], v[20:21], -v[206:207]
	ds_read2_b64 v[206:209], v1 offset0:94 offset1:95
	s_waitcnt lgkmcnt(0)
	v_mul_f64 v[56:57], v[208:209], v[214:215]
	v_fma_f64 v[56:57], v[206:207], v[54:55], -v[56:57]
	v_mul_f64 v[206:207], v[206:207], v[214:215]
	v_add_f64 v[14:15], v[14:15], -v[56:57]
	v_fma_f64 v[206:207], v[208:209], v[54:55], v[206:207]
	v_add_f64 v[16:17], v[16:17], -v[206:207]
	ds_read2_b64 v[206:209], v1 offset0:96 offset1:97
	s_waitcnt lgkmcnt(0)
	v_mul_f64 v[56:57], v[208:209], v[214:215]
	v_fma_f64 v[56:57], v[206:207], v[54:55], -v[56:57]
	v_mul_f64 v[206:207], v[206:207], v[214:215]
	v_add_f64 v[10:11], v[10:11], -v[56:57]
	v_fma_f64 v[206:207], v[208:209], v[54:55], v[206:207]
	v_add_f64 v[12:13], v[12:13], -v[206:207]
	ds_read2_b64 v[206:209], v1 offset0:98 offset1:99
	s_waitcnt lgkmcnt(0)
	v_mul_f64 v[56:57], v[208:209], v[214:215]
	v_fma_f64 v[56:57], v[206:207], v[54:55], -v[56:57]
	v_mul_f64 v[206:207], v[206:207], v[214:215]
	v_add_f64 v[6:7], v[6:7], -v[56:57]
	v_fma_f64 v[206:207], v[208:209], v[54:55], v[206:207]
	v_add_f64 v[8:9], v[8:9], -v[206:207]
	ds_read2_b64 v[206:209], v1 offset0:100 offset1:101
	s_waitcnt lgkmcnt(0)
	v_mul_f64 v[56:57], v[208:209], v[214:215]
	v_fma_f64 v[56:57], v[206:207], v[54:55], -v[56:57]
	v_mul_f64 v[206:207], v[206:207], v[214:215]
	v_add_f64 v[2:3], v[2:3], -v[56:57]
	v_fma_f64 v[206:207], v[208:209], v[54:55], v[206:207]
	v_mov_b32_e32 v56, v214
	v_mov_b32_e32 v57, v215
	v_add_f64 v[4:5], v[4:5], -v[206:207]
.LBB100_797:
	s_or_b32 exec_lo, exec_lo, s0
	v_lshl_add_u32 v206, v220, 4, v1
	s_barrier
	buffer_gl0_inv
	v_mov_b32_e32 v214, 38
	ds_write2_b64 v206, v[50:51], v[52:53] offset1:1
	s_waitcnt lgkmcnt(0)
	s_barrier
	buffer_gl0_inv
	ds_read2_b64 v[206:209], v1 offset0:76 offset1:77
	s_cmp_lt_i32 s8, 40
	s_cbranch_scc1 .LBB100_800
; %bb.798:
	v_add3_u32 v215, v216, 0, 0x270
	v_mov_b32_e32 v214, 38
	s_mov_b32 s1, 39
	s_inst_prefetch 0x1
	.p2align	6
.LBB100_799:                            ; =>This Inner Loop Header: Depth=1
	s_waitcnt lgkmcnt(0)
	v_cmp_gt_f64_e32 vcc_lo, 0, v[208:209]
	v_cmp_gt_f64_e64 s0, 0, v[206:207]
	ds_read2_b64 v[221:224], v215 offset1:1
	v_xor_b32_e32 v226, 0x80000000, v207
	v_xor_b32_e32 v228, 0x80000000, v209
	v_mov_b32_e32 v225, v206
	v_mov_b32_e32 v227, v208
	v_add_nc_u32_e32 v215, 16, v215
	s_waitcnt lgkmcnt(0)
	v_xor_b32_e32 v230, 0x80000000, v224
	v_cndmask_b32_e64 v226, v207, v226, s0
	v_cndmask_b32_e32 v228, v209, v228, vcc_lo
	v_cmp_gt_f64_e32 vcc_lo, 0, v[223:224]
	v_cmp_gt_f64_e64 s0, 0, v[221:222]
	v_mov_b32_e32 v229, v223
	v_add_f64 v[225:226], v[225:226], v[227:228]
	v_xor_b32_e32 v228, 0x80000000, v222
	v_mov_b32_e32 v227, v221
	v_cndmask_b32_e32 v230, v224, v230, vcc_lo
	v_cndmask_b32_e64 v228, v222, v228, s0
	v_add_f64 v[227:228], v[227:228], v[229:230]
	v_cmp_lt_f64_e32 vcc_lo, v[225:226], v[227:228]
	v_cndmask_b32_e32 v207, v207, v222, vcc_lo
	v_cndmask_b32_e32 v206, v206, v221, vcc_lo
	;; [unrolled: 1-line block ×4, first 2 shown]
	v_cndmask_b32_e64 v214, v214, s1, vcc_lo
	s_add_i32 s1, s1, 1
	s_cmp_lg_u32 s8, s1
	s_cbranch_scc1 .LBB100_799
.LBB100_800:
	s_inst_prefetch 0x2
	s_waitcnt lgkmcnt(0)
	v_cmp_eq_f64_e32 vcc_lo, 0, v[206:207]
	v_cmp_eq_f64_e64 s0, 0, v[208:209]
	s_and_b32 s0, vcc_lo, s0
	s_and_saveexec_b32 s1, s0
	s_xor_b32 s0, exec_lo, s1
; %bb.801:
	v_cmp_ne_u32_e32 vcc_lo, 0, v219
	v_cndmask_b32_e32 v219, 39, v219, vcc_lo
; %bb.802:
	s_andn2_saveexec_b32 s0, s0
	s_cbranch_execz .LBB100_808
; %bb.803:
	v_cmp_ngt_f64_e64 s1, |v[206:207]|, |v[208:209]|
	s_and_saveexec_b32 s7, s1
	s_xor_b32 s1, exec_lo, s7
	s_cbranch_execz .LBB100_805
; %bb.804:
	v_div_scale_f64 v[221:222], null, v[208:209], v[208:209], v[206:207]
	v_div_scale_f64 v[227:228], vcc_lo, v[206:207], v[208:209], v[206:207]
	v_rcp_f64_e32 v[223:224], v[221:222]
	v_fma_f64 v[225:226], -v[221:222], v[223:224], 1.0
	v_fma_f64 v[223:224], v[223:224], v[225:226], v[223:224]
	v_fma_f64 v[225:226], -v[221:222], v[223:224], 1.0
	v_fma_f64 v[223:224], v[223:224], v[225:226], v[223:224]
	v_mul_f64 v[225:226], v[227:228], v[223:224]
	v_fma_f64 v[221:222], -v[221:222], v[225:226], v[227:228]
	v_div_fmas_f64 v[221:222], v[221:222], v[223:224], v[225:226]
	v_div_fixup_f64 v[221:222], v[221:222], v[208:209], v[206:207]
	v_fma_f64 v[206:207], v[206:207], v[221:222], v[208:209]
	v_div_scale_f64 v[208:209], null, v[206:207], v[206:207], 1.0
	v_rcp_f64_e32 v[223:224], v[208:209]
	v_fma_f64 v[225:226], -v[208:209], v[223:224], 1.0
	v_fma_f64 v[223:224], v[223:224], v[225:226], v[223:224]
	v_fma_f64 v[225:226], -v[208:209], v[223:224], 1.0
	v_fma_f64 v[223:224], v[223:224], v[225:226], v[223:224]
	v_div_scale_f64 v[225:226], vcc_lo, 1.0, v[206:207], 1.0
	v_mul_f64 v[227:228], v[225:226], v[223:224]
	v_fma_f64 v[208:209], -v[208:209], v[227:228], v[225:226]
	v_div_fmas_f64 v[208:209], v[208:209], v[223:224], v[227:228]
	v_div_fixup_f64 v[208:209], v[208:209], v[206:207], 1.0
	v_mul_f64 v[206:207], v[221:222], v[208:209]
	v_xor_b32_e32 v209, 0x80000000, v209
.LBB100_805:
	s_andn2_saveexec_b32 s1, s1
	s_cbranch_execz .LBB100_807
; %bb.806:
	v_div_scale_f64 v[221:222], null, v[206:207], v[206:207], v[208:209]
	v_div_scale_f64 v[227:228], vcc_lo, v[208:209], v[206:207], v[208:209]
	v_rcp_f64_e32 v[223:224], v[221:222]
	v_fma_f64 v[225:226], -v[221:222], v[223:224], 1.0
	v_fma_f64 v[223:224], v[223:224], v[225:226], v[223:224]
	v_fma_f64 v[225:226], -v[221:222], v[223:224], 1.0
	v_fma_f64 v[223:224], v[223:224], v[225:226], v[223:224]
	v_mul_f64 v[225:226], v[227:228], v[223:224]
	v_fma_f64 v[221:222], -v[221:222], v[225:226], v[227:228]
	v_div_fmas_f64 v[221:222], v[221:222], v[223:224], v[225:226]
	v_div_fixup_f64 v[221:222], v[221:222], v[206:207], v[208:209]
	v_fma_f64 v[206:207], v[208:209], v[221:222], v[206:207]
	v_div_scale_f64 v[208:209], null, v[206:207], v[206:207], 1.0
	v_rcp_f64_e32 v[223:224], v[208:209]
	v_fma_f64 v[225:226], -v[208:209], v[223:224], 1.0
	v_fma_f64 v[223:224], v[223:224], v[225:226], v[223:224]
	v_fma_f64 v[225:226], -v[208:209], v[223:224], 1.0
	v_fma_f64 v[223:224], v[223:224], v[225:226], v[223:224]
	v_div_scale_f64 v[225:226], vcc_lo, 1.0, v[206:207], 1.0
	v_mul_f64 v[227:228], v[225:226], v[223:224]
	v_fma_f64 v[208:209], -v[208:209], v[227:228], v[225:226]
	v_div_fmas_f64 v[208:209], v[208:209], v[223:224], v[227:228]
	v_div_fixup_f64 v[206:207], v[208:209], v[206:207], 1.0
	v_mul_f64 v[208:209], v[221:222], -v[206:207]
.LBB100_807:
	s_or_b32 exec_lo, exec_lo, s1
.LBB100_808:
	s_or_b32 exec_lo, exec_lo, s0
	s_mov_b32 s0, exec_lo
	v_cmpx_ne_u32_e64 v220, v214
	s_xor_b32 s0, exec_lo, s0
	s_cbranch_execz .LBB100_814
; %bb.809:
	s_mov_b32 s1, exec_lo
	v_cmpx_eq_u32_e32 38, v220
	s_cbranch_execz .LBB100_813
; %bb.810:
	v_cmp_ne_u32_e32 vcc_lo, 38, v214
	s_xor_b32 s7, s16, -1
	s_and_b32 s9, s7, vcc_lo
	s_and_saveexec_b32 s7, s9
	s_cbranch_execz .LBB100_812
; %bb.811:
	v_ashrrev_i32_e32 v215, 31, v214
	v_lshlrev_b64 v[220:221], 2, v[214:215]
	v_add_co_u32 v220, vcc_lo, v212, v220
	v_add_co_ci_u32_e64 v221, null, v213, v221, vcc_lo
	s_clause 0x1
	global_load_dword v0, v[220:221], off
	global_load_dword v215, v[212:213], off offset:152
	s_waitcnt vmcnt(1)
	global_store_dword v[212:213], v0, off offset:152
	s_waitcnt vmcnt(0)
	global_store_dword v[220:221], v215, off
.LBB100_812:
	s_or_b32 exec_lo, exec_lo, s7
	v_mov_b32_e32 v220, v214
	v_mov_b32_e32 v0, v214
.LBB100_813:
	s_or_b32 exec_lo, exec_lo, s1
.LBB100_814:
	s_andn2_saveexec_b32 s0, s0
	s_cbranch_execz .LBB100_816
; %bb.815:
	v_mov_b32_e32 v220, 38
	ds_write2_b64 v1, v[46:47], v[48:49] offset0:78 offset1:79
	ds_write2_b64 v1, v[42:43], v[44:45] offset0:80 offset1:81
	;; [unrolled: 1-line block ×12, first 2 shown]
.LBB100_816:
	s_or_b32 exec_lo, exec_lo, s0
	s_mov_b32 s0, exec_lo
	s_waitcnt lgkmcnt(0)
	s_waitcnt_vscnt null, 0x0
	s_barrier
	buffer_gl0_inv
	v_cmpx_lt_i32_e32 38, v220
	s_cbranch_execz .LBB100_818
; %bb.817:
	v_mul_f64 v[214:215], v[206:207], v[52:53]
	v_mul_f64 v[52:53], v[208:209], v[52:53]
	v_fma_f64 v[214:215], v[208:209], v[50:51], v[214:215]
	v_fma_f64 v[50:51], v[206:207], v[50:51], -v[52:53]
	ds_read2_b64 v[206:209], v1 offset0:78 offset1:79
	s_waitcnt lgkmcnt(0)
	v_mul_f64 v[52:53], v[208:209], v[214:215]
	v_fma_f64 v[52:53], v[206:207], v[50:51], -v[52:53]
	v_mul_f64 v[206:207], v[206:207], v[214:215]
	v_add_f64 v[46:47], v[46:47], -v[52:53]
	v_fma_f64 v[206:207], v[208:209], v[50:51], v[206:207]
	v_add_f64 v[48:49], v[48:49], -v[206:207]
	ds_read2_b64 v[206:209], v1 offset0:80 offset1:81
	s_waitcnt lgkmcnt(0)
	v_mul_f64 v[52:53], v[208:209], v[214:215]
	v_fma_f64 v[52:53], v[206:207], v[50:51], -v[52:53]
	v_mul_f64 v[206:207], v[206:207], v[214:215]
	v_add_f64 v[42:43], v[42:43], -v[52:53]
	v_fma_f64 v[206:207], v[208:209], v[50:51], v[206:207]
	v_add_f64 v[44:45], v[44:45], -v[206:207]
	;; [unrolled: 8-line block ×11, first 2 shown]
	ds_read2_b64 v[206:209], v1 offset0:100 offset1:101
	s_waitcnt lgkmcnt(0)
	v_mul_f64 v[52:53], v[208:209], v[214:215]
	v_fma_f64 v[52:53], v[206:207], v[50:51], -v[52:53]
	v_mul_f64 v[206:207], v[206:207], v[214:215]
	v_add_f64 v[2:3], v[2:3], -v[52:53]
	v_fma_f64 v[206:207], v[208:209], v[50:51], v[206:207]
	v_mov_b32_e32 v52, v214
	v_mov_b32_e32 v53, v215
	v_add_f64 v[4:5], v[4:5], -v[206:207]
.LBB100_818:
	s_or_b32 exec_lo, exec_lo, s0
	v_lshl_add_u32 v206, v220, 4, v1
	s_barrier
	buffer_gl0_inv
	v_mov_b32_e32 v214, 39
	ds_write2_b64 v206, v[46:47], v[48:49] offset1:1
	s_waitcnt lgkmcnt(0)
	s_barrier
	buffer_gl0_inv
	ds_read2_b64 v[206:209], v1 offset0:78 offset1:79
	s_cmp_lt_i32 s8, 41
	s_cbranch_scc1 .LBB100_821
; %bb.819:
	v_add3_u32 v215, v216, 0, 0x280
	v_mov_b32_e32 v214, 39
	s_mov_b32 s1, 40
	s_inst_prefetch 0x1
	.p2align	6
.LBB100_820:                            ; =>This Inner Loop Header: Depth=1
	s_waitcnt lgkmcnt(0)
	v_cmp_gt_f64_e32 vcc_lo, 0, v[208:209]
	v_cmp_gt_f64_e64 s0, 0, v[206:207]
	ds_read2_b64 v[221:224], v215 offset1:1
	v_xor_b32_e32 v226, 0x80000000, v207
	v_xor_b32_e32 v228, 0x80000000, v209
	v_mov_b32_e32 v225, v206
	v_mov_b32_e32 v227, v208
	v_add_nc_u32_e32 v215, 16, v215
	s_waitcnt lgkmcnt(0)
	v_xor_b32_e32 v230, 0x80000000, v224
	v_cndmask_b32_e64 v226, v207, v226, s0
	v_cndmask_b32_e32 v228, v209, v228, vcc_lo
	v_cmp_gt_f64_e32 vcc_lo, 0, v[223:224]
	v_cmp_gt_f64_e64 s0, 0, v[221:222]
	v_mov_b32_e32 v229, v223
	v_add_f64 v[225:226], v[225:226], v[227:228]
	v_xor_b32_e32 v228, 0x80000000, v222
	v_mov_b32_e32 v227, v221
	v_cndmask_b32_e32 v230, v224, v230, vcc_lo
	v_cndmask_b32_e64 v228, v222, v228, s0
	v_add_f64 v[227:228], v[227:228], v[229:230]
	v_cmp_lt_f64_e32 vcc_lo, v[225:226], v[227:228]
	v_cndmask_b32_e32 v207, v207, v222, vcc_lo
	v_cndmask_b32_e32 v206, v206, v221, vcc_lo
	;; [unrolled: 1-line block ×4, first 2 shown]
	v_cndmask_b32_e64 v214, v214, s1, vcc_lo
	s_add_i32 s1, s1, 1
	s_cmp_lg_u32 s8, s1
	s_cbranch_scc1 .LBB100_820
.LBB100_821:
	s_inst_prefetch 0x2
	s_waitcnt lgkmcnt(0)
	v_cmp_eq_f64_e32 vcc_lo, 0, v[206:207]
	v_cmp_eq_f64_e64 s0, 0, v[208:209]
	s_and_b32 s0, vcc_lo, s0
	s_and_saveexec_b32 s1, s0
	s_xor_b32 s0, exec_lo, s1
; %bb.822:
	v_cmp_ne_u32_e32 vcc_lo, 0, v219
	v_cndmask_b32_e32 v219, 40, v219, vcc_lo
; %bb.823:
	s_andn2_saveexec_b32 s0, s0
	s_cbranch_execz .LBB100_829
; %bb.824:
	v_cmp_ngt_f64_e64 s1, |v[206:207]|, |v[208:209]|
	s_and_saveexec_b32 s7, s1
	s_xor_b32 s1, exec_lo, s7
	s_cbranch_execz .LBB100_826
; %bb.825:
	v_div_scale_f64 v[221:222], null, v[208:209], v[208:209], v[206:207]
	v_div_scale_f64 v[227:228], vcc_lo, v[206:207], v[208:209], v[206:207]
	v_rcp_f64_e32 v[223:224], v[221:222]
	v_fma_f64 v[225:226], -v[221:222], v[223:224], 1.0
	v_fma_f64 v[223:224], v[223:224], v[225:226], v[223:224]
	v_fma_f64 v[225:226], -v[221:222], v[223:224], 1.0
	v_fma_f64 v[223:224], v[223:224], v[225:226], v[223:224]
	v_mul_f64 v[225:226], v[227:228], v[223:224]
	v_fma_f64 v[221:222], -v[221:222], v[225:226], v[227:228]
	v_div_fmas_f64 v[221:222], v[221:222], v[223:224], v[225:226]
	v_div_fixup_f64 v[221:222], v[221:222], v[208:209], v[206:207]
	v_fma_f64 v[206:207], v[206:207], v[221:222], v[208:209]
	v_div_scale_f64 v[208:209], null, v[206:207], v[206:207], 1.0
	v_rcp_f64_e32 v[223:224], v[208:209]
	v_fma_f64 v[225:226], -v[208:209], v[223:224], 1.0
	v_fma_f64 v[223:224], v[223:224], v[225:226], v[223:224]
	v_fma_f64 v[225:226], -v[208:209], v[223:224], 1.0
	v_fma_f64 v[223:224], v[223:224], v[225:226], v[223:224]
	v_div_scale_f64 v[225:226], vcc_lo, 1.0, v[206:207], 1.0
	v_mul_f64 v[227:228], v[225:226], v[223:224]
	v_fma_f64 v[208:209], -v[208:209], v[227:228], v[225:226]
	v_div_fmas_f64 v[208:209], v[208:209], v[223:224], v[227:228]
	v_div_fixup_f64 v[208:209], v[208:209], v[206:207], 1.0
	v_mul_f64 v[206:207], v[221:222], v[208:209]
	v_xor_b32_e32 v209, 0x80000000, v209
.LBB100_826:
	s_andn2_saveexec_b32 s1, s1
	s_cbranch_execz .LBB100_828
; %bb.827:
	v_div_scale_f64 v[221:222], null, v[206:207], v[206:207], v[208:209]
	v_div_scale_f64 v[227:228], vcc_lo, v[208:209], v[206:207], v[208:209]
	v_rcp_f64_e32 v[223:224], v[221:222]
	v_fma_f64 v[225:226], -v[221:222], v[223:224], 1.0
	v_fma_f64 v[223:224], v[223:224], v[225:226], v[223:224]
	v_fma_f64 v[225:226], -v[221:222], v[223:224], 1.0
	v_fma_f64 v[223:224], v[223:224], v[225:226], v[223:224]
	v_mul_f64 v[225:226], v[227:228], v[223:224]
	v_fma_f64 v[221:222], -v[221:222], v[225:226], v[227:228]
	v_div_fmas_f64 v[221:222], v[221:222], v[223:224], v[225:226]
	v_div_fixup_f64 v[221:222], v[221:222], v[206:207], v[208:209]
	v_fma_f64 v[206:207], v[208:209], v[221:222], v[206:207]
	v_div_scale_f64 v[208:209], null, v[206:207], v[206:207], 1.0
	v_rcp_f64_e32 v[223:224], v[208:209]
	v_fma_f64 v[225:226], -v[208:209], v[223:224], 1.0
	v_fma_f64 v[223:224], v[223:224], v[225:226], v[223:224]
	v_fma_f64 v[225:226], -v[208:209], v[223:224], 1.0
	v_fma_f64 v[223:224], v[223:224], v[225:226], v[223:224]
	v_div_scale_f64 v[225:226], vcc_lo, 1.0, v[206:207], 1.0
	v_mul_f64 v[227:228], v[225:226], v[223:224]
	v_fma_f64 v[208:209], -v[208:209], v[227:228], v[225:226]
	v_div_fmas_f64 v[208:209], v[208:209], v[223:224], v[227:228]
	v_div_fixup_f64 v[206:207], v[208:209], v[206:207], 1.0
	v_mul_f64 v[208:209], v[221:222], -v[206:207]
.LBB100_828:
	s_or_b32 exec_lo, exec_lo, s1
.LBB100_829:
	s_or_b32 exec_lo, exec_lo, s0
	s_mov_b32 s0, exec_lo
	v_cmpx_ne_u32_e64 v220, v214
	s_xor_b32 s0, exec_lo, s0
	s_cbranch_execz .LBB100_835
; %bb.830:
	s_mov_b32 s1, exec_lo
	v_cmpx_eq_u32_e32 39, v220
	s_cbranch_execz .LBB100_834
; %bb.831:
	v_cmp_ne_u32_e32 vcc_lo, 39, v214
	s_xor_b32 s7, s16, -1
	s_and_b32 s9, s7, vcc_lo
	s_and_saveexec_b32 s7, s9
	s_cbranch_execz .LBB100_833
; %bb.832:
	v_ashrrev_i32_e32 v215, 31, v214
	v_lshlrev_b64 v[220:221], 2, v[214:215]
	v_add_co_u32 v220, vcc_lo, v212, v220
	v_add_co_ci_u32_e64 v221, null, v213, v221, vcc_lo
	s_clause 0x1
	global_load_dword v0, v[220:221], off
	global_load_dword v215, v[212:213], off offset:156
	s_waitcnt vmcnt(1)
	global_store_dword v[212:213], v0, off offset:156
	s_waitcnt vmcnt(0)
	global_store_dword v[220:221], v215, off
.LBB100_833:
	s_or_b32 exec_lo, exec_lo, s7
	v_mov_b32_e32 v220, v214
	v_mov_b32_e32 v0, v214
.LBB100_834:
	s_or_b32 exec_lo, exec_lo, s1
.LBB100_835:
	s_andn2_saveexec_b32 s0, s0
	s_cbranch_execz .LBB100_837
; %bb.836:
	v_mov_b32_e32 v220, 39
	ds_write2_b64 v1, v[42:43], v[44:45] offset0:80 offset1:81
	ds_write2_b64 v1, v[38:39], v[40:41] offset0:82 offset1:83
	;; [unrolled: 1-line block ×11, first 2 shown]
.LBB100_837:
	s_or_b32 exec_lo, exec_lo, s0
	s_mov_b32 s0, exec_lo
	s_waitcnt lgkmcnt(0)
	s_waitcnt_vscnt null, 0x0
	s_barrier
	buffer_gl0_inv
	v_cmpx_lt_i32_e32 39, v220
	s_cbranch_execz .LBB100_839
; %bb.838:
	v_mul_f64 v[214:215], v[206:207], v[48:49]
	v_mul_f64 v[48:49], v[208:209], v[48:49]
	v_fma_f64 v[214:215], v[208:209], v[46:47], v[214:215]
	v_fma_f64 v[46:47], v[206:207], v[46:47], -v[48:49]
	ds_read2_b64 v[206:209], v1 offset0:80 offset1:81
	s_waitcnt lgkmcnt(0)
	v_mul_f64 v[48:49], v[208:209], v[214:215]
	v_fma_f64 v[48:49], v[206:207], v[46:47], -v[48:49]
	v_mul_f64 v[206:207], v[206:207], v[214:215]
	v_add_f64 v[42:43], v[42:43], -v[48:49]
	v_fma_f64 v[206:207], v[208:209], v[46:47], v[206:207]
	v_add_f64 v[44:45], v[44:45], -v[206:207]
	ds_read2_b64 v[206:209], v1 offset0:82 offset1:83
	s_waitcnt lgkmcnt(0)
	v_mul_f64 v[48:49], v[208:209], v[214:215]
	v_fma_f64 v[48:49], v[206:207], v[46:47], -v[48:49]
	v_mul_f64 v[206:207], v[206:207], v[214:215]
	v_add_f64 v[38:39], v[38:39], -v[48:49]
	v_fma_f64 v[206:207], v[208:209], v[46:47], v[206:207]
	v_add_f64 v[40:41], v[40:41], -v[206:207]
	;; [unrolled: 8-line block ×10, first 2 shown]
	ds_read2_b64 v[206:209], v1 offset0:100 offset1:101
	s_waitcnt lgkmcnt(0)
	v_mul_f64 v[48:49], v[208:209], v[214:215]
	v_fma_f64 v[48:49], v[206:207], v[46:47], -v[48:49]
	v_mul_f64 v[206:207], v[206:207], v[214:215]
	v_add_f64 v[2:3], v[2:3], -v[48:49]
	v_fma_f64 v[206:207], v[208:209], v[46:47], v[206:207]
	v_mov_b32_e32 v48, v214
	v_mov_b32_e32 v49, v215
	v_add_f64 v[4:5], v[4:5], -v[206:207]
.LBB100_839:
	s_or_b32 exec_lo, exec_lo, s0
	v_lshl_add_u32 v206, v220, 4, v1
	s_barrier
	buffer_gl0_inv
	v_mov_b32_e32 v214, 40
	ds_write2_b64 v206, v[42:43], v[44:45] offset1:1
	s_waitcnt lgkmcnt(0)
	s_barrier
	buffer_gl0_inv
	ds_read2_b64 v[206:209], v1 offset0:80 offset1:81
	s_cmp_lt_i32 s8, 42
	s_cbranch_scc1 .LBB100_842
; %bb.840:
	v_add3_u32 v215, v216, 0, 0x290
	v_mov_b32_e32 v214, 40
	s_mov_b32 s1, 41
	s_inst_prefetch 0x1
	.p2align	6
.LBB100_841:                            ; =>This Inner Loop Header: Depth=1
	s_waitcnt lgkmcnt(0)
	v_cmp_gt_f64_e32 vcc_lo, 0, v[208:209]
	v_cmp_gt_f64_e64 s0, 0, v[206:207]
	ds_read2_b64 v[221:224], v215 offset1:1
	v_xor_b32_e32 v226, 0x80000000, v207
	v_xor_b32_e32 v228, 0x80000000, v209
	v_mov_b32_e32 v225, v206
	v_mov_b32_e32 v227, v208
	v_add_nc_u32_e32 v215, 16, v215
	s_waitcnt lgkmcnt(0)
	v_xor_b32_e32 v230, 0x80000000, v224
	v_cndmask_b32_e64 v226, v207, v226, s0
	v_cndmask_b32_e32 v228, v209, v228, vcc_lo
	v_cmp_gt_f64_e32 vcc_lo, 0, v[223:224]
	v_cmp_gt_f64_e64 s0, 0, v[221:222]
	v_mov_b32_e32 v229, v223
	v_add_f64 v[225:226], v[225:226], v[227:228]
	v_xor_b32_e32 v228, 0x80000000, v222
	v_mov_b32_e32 v227, v221
	v_cndmask_b32_e32 v230, v224, v230, vcc_lo
	v_cndmask_b32_e64 v228, v222, v228, s0
	v_add_f64 v[227:228], v[227:228], v[229:230]
	v_cmp_lt_f64_e32 vcc_lo, v[225:226], v[227:228]
	v_cndmask_b32_e32 v207, v207, v222, vcc_lo
	v_cndmask_b32_e32 v206, v206, v221, vcc_lo
	;; [unrolled: 1-line block ×4, first 2 shown]
	v_cndmask_b32_e64 v214, v214, s1, vcc_lo
	s_add_i32 s1, s1, 1
	s_cmp_lg_u32 s8, s1
	s_cbranch_scc1 .LBB100_841
.LBB100_842:
	s_inst_prefetch 0x2
	s_waitcnt lgkmcnt(0)
	v_cmp_eq_f64_e32 vcc_lo, 0, v[206:207]
	v_cmp_eq_f64_e64 s0, 0, v[208:209]
	s_and_b32 s0, vcc_lo, s0
	s_and_saveexec_b32 s1, s0
	s_xor_b32 s0, exec_lo, s1
; %bb.843:
	v_cmp_ne_u32_e32 vcc_lo, 0, v219
	v_cndmask_b32_e32 v219, 41, v219, vcc_lo
; %bb.844:
	s_andn2_saveexec_b32 s0, s0
	s_cbranch_execz .LBB100_850
; %bb.845:
	v_cmp_ngt_f64_e64 s1, |v[206:207]|, |v[208:209]|
	s_and_saveexec_b32 s7, s1
	s_xor_b32 s1, exec_lo, s7
	s_cbranch_execz .LBB100_847
; %bb.846:
	v_div_scale_f64 v[221:222], null, v[208:209], v[208:209], v[206:207]
	v_div_scale_f64 v[227:228], vcc_lo, v[206:207], v[208:209], v[206:207]
	v_rcp_f64_e32 v[223:224], v[221:222]
	v_fma_f64 v[225:226], -v[221:222], v[223:224], 1.0
	v_fma_f64 v[223:224], v[223:224], v[225:226], v[223:224]
	v_fma_f64 v[225:226], -v[221:222], v[223:224], 1.0
	v_fma_f64 v[223:224], v[223:224], v[225:226], v[223:224]
	v_mul_f64 v[225:226], v[227:228], v[223:224]
	v_fma_f64 v[221:222], -v[221:222], v[225:226], v[227:228]
	v_div_fmas_f64 v[221:222], v[221:222], v[223:224], v[225:226]
	v_div_fixup_f64 v[221:222], v[221:222], v[208:209], v[206:207]
	v_fma_f64 v[206:207], v[206:207], v[221:222], v[208:209]
	v_div_scale_f64 v[208:209], null, v[206:207], v[206:207], 1.0
	v_rcp_f64_e32 v[223:224], v[208:209]
	v_fma_f64 v[225:226], -v[208:209], v[223:224], 1.0
	v_fma_f64 v[223:224], v[223:224], v[225:226], v[223:224]
	v_fma_f64 v[225:226], -v[208:209], v[223:224], 1.0
	v_fma_f64 v[223:224], v[223:224], v[225:226], v[223:224]
	v_div_scale_f64 v[225:226], vcc_lo, 1.0, v[206:207], 1.0
	v_mul_f64 v[227:228], v[225:226], v[223:224]
	v_fma_f64 v[208:209], -v[208:209], v[227:228], v[225:226]
	v_div_fmas_f64 v[208:209], v[208:209], v[223:224], v[227:228]
	v_div_fixup_f64 v[208:209], v[208:209], v[206:207], 1.0
	v_mul_f64 v[206:207], v[221:222], v[208:209]
	v_xor_b32_e32 v209, 0x80000000, v209
.LBB100_847:
	s_andn2_saveexec_b32 s1, s1
	s_cbranch_execz .LBB100_849
; %bb.848:
	v_div_scale_f64 v[221:222], null, v[206:207], v[206:207], v[208:209]
	v_div_scale_f64 v[227:228], vcc_lo, v[208:209], v[206:207], v[208:209]
	v_rcp_f64_e32 v[223:224], v[221:222]
	v_fma_f64 v[225:226], -v[221:222], v[223:224], 1.0
	v_fma_f64 v[223:224], v[223:224], v[225:226], v[223:224]
	v_fma_f64 v[225:226], -v[221:222], v[223:224], 1.0
	v_fma_f64 v[223:224], v[223:224], v[225:226], v[223:224]
	v_mul_f64 v[225:226], v[227:228], v[223:224]
	v_fma_f64 v[221:222], -v[221:222], v[225:226], v[227:228]
	v_div_fmas_f64 v[221:222], v[221:222], v[223:224], v[225:226]
	v_div_fixup_f64 v[221:222], v[221:222], v[206:207], v[208:209]
	v_fma_f64 v[206:207], v[208:209], v[221:222], v[206:207]
	v_div_scale_f64 v[208:209], null, v[206:207], v[206:207], 1.0
	v_rcp_f64_e32 v[223:224], v[208:209]
	v_fma_f64 v[225:226], -v[208:209], v[223:224], 1.0
	v_fma_f64 v[223:224], v[223:224], v[225:226], v[223:224]
	v_fma_f64 v[225:226], -v[208:209], v[223:224], 1.0
	v_fma_f64 v[223:224], v[223:224], v[225:226], v[223:224]
	v_div_scale_f64 v[225:226], vcc_lo, 1.0, v[206:207], 1.0
	v_mul_f64 v[227:228], v[225:226], v[223:224]
	v_fma_f64 v[208:209], -v[208:209], v[227:228], v[225:226]
	v_div_fmas_f64 v[208:209], v[208:209], v[223:224], v[227:228]
	v_div_fixup_f64 v[206:207], v[208:209], v[206:207], 1.0
	v_mul_f64 v[208:209], v[221:222], -v[206:207]
.LBB100_849:
	s_or_b32 exec_lo, exec_lo, s1
.LBB100_850:
	s_or_b32 exec_lo, exec_lo, s0
	s_mov_b32 s0, exec_lo
	v_cmpx_ne_u32_e64 v220, v214
	s_xor_b32 s0, exec_lo, s0
	s_cbranch_execz .LBB100_856
; %bb.851:
	s_mov_b32 s1, exec_lo
	v_cmpx_eq_u32_e32 40, v220
	s_cbranch_execz .LBB100_855
; %bb.852:
	v_cmp_ne_u32_e32 vcc_lo, 40, v214
	s_xor_b32 s7, s16, -1
	s_and_b32 s9, s7, vcc_lo
	s_and_saveexec_b32 s7, s9
	s_cbranch_execz .LBB100_854
; %bb.853:
	v_ashrrev_i32_e32 v215, 31, v214
	v_lshlrev_b64 v[220:221], 2, v[214:215]
	v_add_co_u32 v220, vcc_lo, v212, v220
	v_add_co_ci_u32_e64 v221, null, v213, v221, vcc_lo
	s_clause 0x1
	global_load_dword v0, v[220:221], off
	global_load_dword v215, v[212:213], off offset:160
	s_waitcnt vmcnt(1)
	global_store_dword v[212:213], v0, off offset:160
	s_waitcnt vmcnt(0)
	global_store_dword v[220:221], v215, off
.LBB100_854:
	s_or_b32 exec_lo, exec_lo, s7
	v_mov_b32_e32 v220, v214
	v_mov_b32_e32 v0, v214
.LBB100_855:
	s_or_b32 exec_lo, exec_lo, s1
.LBB100_856:
	s_andn2_saveexec_b32 s0, s0
	s_cbranch_execz .LBB100_858
; %bb.857:
	v_mov_b32_e32 v220, 40
	ds_write2_b64 v1, v[38:39], v[40:41] offset0:82 offset1:83
	ds_write2_b64 v1, v[34:35], v[36:37] offset0:84 offset1:85
	;; [unrolled: 1-line block ×10, first 2 shown]
.LBB100_858:
	s_or_b32 exec_lo, exec_lo, s0
	s_mov_b32 s0, exec_lo
	s_waitcnt lgkmcnt(0)
	s_waitcnt_vscnt null, 0x0
	s_barrier
	buffer_gl0_inv
	v_cmpx_lt_i32_e32 40, v220
	s_cbranch_execz .LBB100_860
; %bb.859:
	v_mul_f64 v[214:215], v[206:207], v[44:45]
	v_mul_f64 v[44:45], v[208:209], v[44:45]
	v_fma_f64 v[214:215], v[208:209], v[42:43], v[214:215]
	v_fma_f64 v[42:43], v[206:207], v[42:43], -v[44:45]
	ds_read2_b64 v[206:209], v1 offset0:82 offset1:83
	s_waitcnt lgkmcnt(0)
	v_mul_f64 v[44:45], v[208:209], v[214:215]
	v_fma_f64 v[44:45], v[206:207], v[42:43], -v[44:45]
	v_mul_f64 v[206:207], v[206:207], v[214:215]
	v_add_f64 v[38:39], v[38:39], -v[44:45]
	v_fma_f64 v[206:207], v[208:209], v[42:43], v[206:207]
	v_add_f64 v[40:41], v[40:41], -v[206:207]
	ds_read2_b64 v[206:209], v1 offset0:84 offset1:85
	s_waitcnt lgkmcnt(0)
	v_mul_f64 v[44:45], v[208:209], v[214:215]
	v_fma_f64 v[44:45], v[206:207], v[42:43], -v[44:45]
	v_mul_f64 v[206:207], v[206:207], v[214:215]
	v_add_f64 v[34:35], v[34:35], -v[44:45]
	v_fma_f64 v[206:207], v[208:209], v[42:43], v[206:207]
	v_add_f64 v[36:37], v[36:37], -v[206:207]
	;; [unrolled: 8-line block ×9, first 2 shown]
	ds_read2_b64 v[206:209], v1 offset0:100 offset1:101
	s_waitcnt lgkmcnt(0)
	v_mul_f64 v[44:45], v[208:209], v[214:215]
	v_fma_f64 v[44:45], v[206:207], v[42:43], -v[44:45]
	v_mul_f64 v[206:207], v[206:207], v[214:215]
	v_add_f64 v[2:3], v[2:3], -v[44:45]
	v_fma_f64 v[206:207], v[208:209], v[42:43], v[206:207]
	v_mov_b32_e32 v44, v214
	v_mov_b32_e32 v45, v215
	v_add_f64 v[4:5], v[4:5], -v[206:207]
.LBB100_860:
	s_or_b32 exec_lo, exec_lo, s0
	v_lshl_add_u32 v206, v220, 4, v1
	s_barrier
	buffer_gl0_inv
	v_mov_b32_e32 v214, 41
	ds_write2_b64 v206, v[38:39], v[40:41] offset1:1
	s_waitcnt lgkmcnt(0)
	s_barrier
	buffer_gl0_inv
	ds_read2_b64 v[206:209], v1 offset0:82 offset1:83
	s_cmp_lt_i32 s8, 43
	s_cbranch_scc1 .LBB100_863
; %bb.861:
	v_add3_u32 v215, v216, 0, 0x2a0
	v_mov_b32_e32 v214, 41
	s_mov_b32 s1, 42
	s_inst_prefetch 0x1
	.p2align	6
.LBB100_862:                            ; =>This Inner Loop Header: Depth=1
	s_waitcnt lgkmcnt(0)
	v_cmp_gt_f64_e32 vcc_lo, 0, v[208:209]
	v_cmp_gt_f64_e64 s0, 0, v[206:207]
	ds_read2_b64 v[221:224], v215 offset1:1
	v_xor_b32_e32 v226, 0x80000000, v207
	v_xor_b32_e32 v228, 0x80000000, v209
	v_mov_b32_e32 v225, v206
	v_mov_b32_e32 v227, v208
	v_add_nc_u32_e32 v215, 16, v215
	s_waitcnt lgkmcnt(0)
	v_xor_b32_e32 v230, 0x80000000, v224
	v_cndmask_b32_e64 v226, v207, v226, s0
	v_cndmask_b32_e32 v228, v209, v228, vcc_lo
	v_cmp_gt_f64_e32 vcc_lo, 0, v[223:224]
	v_cmp_gt_f64_e64 s0, 0, v[221:222]
	v_mov_b32_e32 v229, v223
	v_add_f64 v[225:226], v[225:226], v[227:228]
	v_xor_b32_e32 v228, 0x80000000, v222
	v_mov_b32_e32 v227, v221
	v_cndmask_b32_e32 v230, v224, v230, vcc_lo
	v_cndmask_b32_e64 v228, v222, v228, s0
	v_add_f64 v[227:228], v[227:228], v[229:230]
	v_cmp_lt_f64_e32 vcc_lo, v[225:226], v[227:228]
	v_cndmask_b32_e32 v207, v207, v222, vcc_lo
	v_cndmask_b32_e32 v206, v206, v221, vcc_lo
	;; [unrolled: 1-line block ×4, first 2 shown]
	v_cndmask_b32_e64 v214, v214, s1, vcc_lo
	s_add_i32 s1, s1, 1
	s_cmp_lg_u32 s8, s1
	s_cbranch_scc1 .LBB100_862
.LBB100_863:
	s_inst_prefetch 0x2
	s_waitcnt lgkmcnt(0)
	v_cmp_eq_f64_e32 vcc_lo, 0, v[206:207]
	v_cmp_eq_f64_e64 s0, 0, v[208:209]
	s_and_b32 s0, vcc_lo, s0
	s_and_saveexec_b32 s1, s0
	s_xor_b32 s0, exec_lo, s1
; %bb.864:
	v_cmp_ne_u32_e32 vcc_lo, 0, v219
	v_cndmask_b32_e32 v219, 42, v219, vcc_lo
; %bb.865:
	s_andn2_saveexec_b32 s0, s0
	s_cbranch_execz .LBB100_871
; %bb.866:
	v_cmp_ngt_f64_e64 s1, |v[206:207]|, |v[208:209]|
	s_and_saveexec_b32 s7, s1
	s_xor_b32 s1, exec_lo, s7
	s_cbranch_execz .LBB100_868
; %bb.867:
	v_div_scale_f64 v[221:222], null, v[208:209], v[208:209], v[206:207]
	v_div_scale_f64 v[227:228], vcc_lo, v[206:207], v[208:209], v[206:207]
	v_rcp_f64_e32 v[223:224], v[221:222]
	v_fma_f64 v[225:226], -v[221:222], v[223:224], 1.0
	v_fma_f64 v[223:224], v[223:224], v[225:226], v[223:224]
	v_fma_f64 v[225:226], -v[221:222], v[223:224], 1.0
	v_fma_f64 v[223:224], v[223:224], v[225:226], v[223:224]
	v_mul_f64 v[225:226], v[227:228], v[223:224]
	v_fma_f64 v[221:222], -v[221:222], v[225:226], v[227:228]
	v_div_fmas_f64 v[221:222], v[221:222], v[223:224], v[225:226]
	v_div_fixup_f64 v[221:222], v[221:222], v[208:209], v[206:207]
	v_fma_f64 v[206:207], v[206:207], v[221:222], v[208:209]
	v_div_scale_f64 v[208:209], null, v[206:207], v[206:207], 1.0
	v_rcp_f64_e32 v[223:224], v[208:209]
	v_fma_f64 v[225:226], -v[208:209], v[223:224], 1.0
	v_fma_f64 v[223:224], v[223:224], v[225:226], v[223:224]
	v_fma_f64 v[225:226], -v[208:209], v[223:224], 1.0
	v_fma_f64 v[223:224], v[223:224], v[225:226], v[223:224]
	v_div_scale_f64 v[225:226], vcc_lo, 1.0, v[206:207], 1.0
	v_mul_f64 v[227:228], v[225:226], v[223:224]
	v_fma_f64 v[208:209], -v[208:209], v[227:228], v[225:226]
	v_div_fmas_f64 v[208:209], v[208:209], v[223:224], v[227:228]
	v_div_fixup_f64 v[208:209], v[208:209], v[206:207], 1.0
	v_mul_f64 v[206:207], v[221:222], v[208:209]
	v_xor_b32_e32 v209, 0x80000000, v209
.LBB100_868:
	s_andn2_saveexec_b32 s1, s1
	s_cbranch_execz .LBB100_870
; %bb.869:
	v_div_scale_f64 v[221:222], null, v[206:207], v[206:207], v[208:209]
	v_div_scale_f64 v[227:228], vcc_lo, v[208:209], v[206:207], v[208:209]
	v_rcp_f64_e32 v[223:224], v[221:222]
	v_fma_f64 v[225:226], -v[221:222], v[223:224], 1.0
	v_fma_f64 v[223:224], v[223:224], v[225:226], v[223:224]
	v_fma_f64 v[225:226], -v[221:222], v[223:224], 1.0
	v_fma_f64 v[223:224], v[223:224], v[225:226], v[223:224]
	v_mul_f64 v[225:226], v[227:228], v[223:224]
	v_fma_f64 v[221:222], -v[221:222], v[225:226], v[227:228]
	v_div_fmas_f64 v[221:222], v[221:222], v[223:224], v[225:226]
	v_div_fixup_f64 v[221:222], v[221:222], v[206:207], v[208:209]
	v_fma_f64 v[206:207], v[208:209], v[221:222], v[206:207]
	v_div_scale_f64 v[208:209], null, v[206:207], v[206:207], 1.0
	v_rcp_f64_e32 v[223:224], v[208:209]
	v_fma_f64 v[225:226], -v[208:209], v[223:224], 1.0
	v_fma_f64 v[223:224], v[223:224], v[225:226], v[223:224]
	v_fma_f64 v[225:226], -v[208:209], v[223:224], 1.0
	v_fma_f64 v[223:224], v[223:224], v[225:226], v[223:224]
	v_div_scale_f64 v[225:226], vcc_lo, 1.0, v[206:207], 1.0
	v_mul_f64 v[227:228], v[225:226], v[223:224]
	v_fma_f64 v[208:209], -v[208:209], v[227:228], v[225:226]
	v_div_fmas_f64 v[208:209], v[208:209], v[223:224], v[227:228]
	v_div_fixup_f64 v[206:207], v[208:209], v[206:207], 1.0
	v_mul_f64 v[208:209], v[221:222], -v[206:207]
.LBB100_870:
	s_or_b32 exec_lo, exec_lo, s1
.LBB100_871:
	s_or_b32 exec_lo, exec_lo, s0
	s_mov_b32 s0, exec_lo
	v_cmpx_ne_u32_e64 v220, v214
	s_xor_b32 s0, exec_lo, s0
	s_cbranch_execz .LBB100_877
; %bb.872:
	s_mov_b32 s1, exec_lo
	v_cmpx_eq_u32_e32 41, v220
	s_cbranch_execz .LBB100_876
; %bb.873:
	v_cmp_ne_u32_e32 vcc_lo, 41, v214
	s_xor_b32 s7, s16, -1
	s_and_b32 s9, s7, vcc_lo
	s_and_saveexec_b32 s7, s9
	s_cbranch_execz .LBB100_875
; %bb.874:
	v_ashrrev_i32_e32 v215, 31, v214
	v_lshlrev_b64 v[220:221], 2, v[214:215]
	v_add_co_u32 v220, vcc_lo, v212, v220
	v_add_co_ci_u32_e64 v221, null, v213, v221, vcc_lo
	s_clause 0x1
	global_load_dword v0, v[220:221], off
	global_load_dword v215, v[212:213], off offset:164
	s_waitcnt vmcnt(1)
	global_store_dword v[212:213], v0, off offset:164
	s_waitcnt vmcnt(0)
	global_store_dword v[220:221], v215, off
.LBB100_875:
	s_or_b32 exec_lo, exec_lo, s7
	v_mov_b32_e32 v220, v214
	v_mov_b32_e32 v0, v214
.LBB100_876:
	s_or_b32 exec_lo, exec_lo, s1
.LBB100_877:
	s_andn2_saveexec_b32 s0, s0
	s_cbranch_execz .LBB100_879
; %bb.878:
	v_mov_b32_e32 v220, 41
	ds_write2_b64 v1, v[34:35], v[36:37] offset0:84 offset1:85
	ds_write2_b64 v1, v[30:31], v[32:33] offset0:86 offset1:87
	ds_write2_b64 v1, v[26:27], v[28:29] offset0:88 offset1:89
	ds_write2_b64 v1, v[22:23], v[24:25] offset0:90 offset1:91
	ds_write2_b64 v1, v[18:19], v[20:21] offset0:92 offset1:93
	ds_write2_b64 v1, v[14:15], v[16:17] offset0:94 offset1:95
	ds_write2_b64 v1, v[10:11], v[12:13] offset0:96 offset1:97
	ds_write2_b64 v1, v[6:7], v[8:9] offset0:98 offset1:99
	ds_write2_b64 v1, v[2:3], v[4:5] offset0:100 offset1:101
.LBB100_879:
	s_or_b32 exec_lo, exec_lo, s0
	s_mov_b32 s0, exec_lo
	s_waitcnt lgkmcnt(0)
	s_waitcnt_vscnt null, 0x0
	s_barrier
	buffer_gl0_inv
	v_cmpx_lt_i32_e32 41, v220
	s_cbranch_execz .LBB100_881
; %bb.880:
	v_mul_f64 v[214:215], v[206:207], v[40:41]
	v_mul_f64 v[40:41], v[208:209], v[40:41]
	v_fma_f64 v[214:215], v[208:209], v[38:39], v[214:215]
	v_fma_f64 v[38:39], v[206:207], v[38:39], -v[40:41]
	ds_read2_b64 v[206:209], v1 offset0:84 offset1:85
	s_waitcnt lgkmcnt(0)
	v_mul_f64 v[40:41], v[208:209], v[214:215]
	v_fma_f64 v[40:41], v[206:207], v[38:39], -v[40:41]
	v_mul_f64 v[206:207], v[206:207], v[214:215]
	v_add_f64 v[34:35], v[34:35], -v[40:41]
	v_fma_f64 v[206:207], v[208:209], v[38:39], v[206:207]
	v_add_f64 v[36:37], v[36:37], -v[206:207]
	ds_read2_b64 v[206:209], v1 offset0:86 offset1:87
	s_waitcnt lgkmcnt(0)
	v_mul_f64 v[40:41], v[208:209], v[214:215]
	v_fma_f64 v[40:41], v[206:207], v[38:39], -v[40:41]
	v_mul_f64 v[206:207], v[206:207], v[214:215]
	v_add_f64 v[30:31], v[30:31], -v[40:41]
	v_fma_f64 v[206:207], v[208:209], v[38:39], v[206:207]
	v_add_f64 v[32:33], v[32:33], -v[206:207]
	;; [unrolled: 8-line block ×8, first 2 shown]
	ds_read2_b64 v[206:209], v1 offset0:100 offset1:101
	s_waitcnt lgkmcnt(0)
	v_mul_f64 v[40:41], v[208:209], v[214:215]
	v_fma_f64 v[40:41], v[206:207], v[38:39], -v[40:41]
	v_mul_f64 v[206:207], v[206:207], v[214:215]
	v_add_f64 v[2:3], v[2:3], -v[40:41]
	v_fma_f64 v[206:207], v[208:209], v[38:39], v[206:207]
	v_mov_b32_e32 v40, v214
	v_mov_b32_e32 v41, v215
	v_add_f64 v[4:5], v[4:5], -v[206:207]
.LBB100_881:
	s_or_b32 exec_lo, exec_lo, s0
	v_lshl_add_u32 v206, v220, 4, v1
	s_barrier
	buffer_gl0_inv
	v_mov_b32_e32 v214, 42
	ds_write2_b64 v206, v[34:35], v[36:37] offset1:1
	s_waitcnt lgkmcnt(0)
	s_barrier
	buffer_gl0_inv
	ds_read2_b64 v[206:209], v1 offset0:84 offset1:85
	s_cmp_lt_i32 s8, 44
	s_cbranch_scc1 .LBB100_884
; %bb.882:
	v_add3_u32 v215, v216, 0, 0x2b0
	v_mov_b32_e32 v214, 42
	s_mov_b32 s1, 43
	s_inst_prefetch 0x1
	.p2align	6
.LBB100_883:                            ; =>This Inner Loop Header: Depth=1
	s_waitcnt lgkmcnt(0)
	v_cmp_gt_f64_e32 vcc_lo, 0, v[208:209]
	v_cmp_gt_f64_e64 s0, 0, v[206:207]
	ds_read2_b64 v[221:224], v215 offset1:1
	v_xor_b32_e32 v226, 0x80000000, v207
	v_xor_b32_e32 v228, 0x80000000, v209
	v_mov_b32_e32 v225, v206
	v_mov_b32_e32 v227, v208
	v_add_nc_u32_e32 v215, 16, v215
	s_waitcnt lgkmcnt(0)
	v_xor_b32_e32 v230, 0x80000000, v224
	v_cndmask_b32_e64 v226, v207, v226, s0
	v_cndmask_b32_e32 v228, v209, v228, vcc_lo
	v_cmp_gt_f64_e32 vcc_lo, 0, v[223:224]
	v_cmp_gt_f64_e64 s0, 0, v[221:222]
	v_mov_b32_e32 v229, v223
	v_add_f64 v[225:226], v[225:226], v[227:228]
	v_xor_b32_e32 v228, 0x80000000, v222
	v_mov_b32_e32 v227, v221
	v_cndmask_b32_e32 v230, v224, v230, vcc_lo
	v_cndmask_b32_e64 v228, v222, v228, s0
	v_add_f64 v[227:228], v[227:228], v[229:230]
	v_cmp_lt_f64_e32 vcc_lo, v[225:226], v[227:228]
	v_cndmask_b32_e32 v207, v207, v222, vcc_lo
	v_cndmask_b32_e32 v206, v206, v221, vcc_lo
	;; [unrolled: 1-line block ×4, first 2 shown]
	v_cndmask_b32_e64 v214, v214, s1, vcc_lo
	s_add_i32 s1, s1, 1
	s_cmp_lg_u32 s8, s1
	s_cbranch_scc1 .LBB100_883
.LBB100_884:
	s_inst_prefetch 0x2
	s_waitcnt lgkmcnt(0)
	v_cmp_eq_f64_e32 vcc_lo, 0, v[206:207]
	v_cmp_eq_f64_e64 s0, 0, v[208:209]
	s_and_b32 s0, vcc_lo, s0
	s_and_saveexec_b32 s1, s0
	s_xor_b32 s0, exec_lo, s1
; %bb.885:
	v_cmp_ne_u32_e32 vcc_lo, 0, v219
	v_cndmask_b32_e32 v219, 43, v219, vcc_lo
; %bb.886:
	s_andn2_saveexec_b32 s0, s0
	s_cbranch_execz .LBB100_892
; %bb.887:
	v_cmp_ngt_f64_e64 s1, |v[206:207]|, |v[208:209]|
	s_and_saveexec_b32 s7, s1
	s_xor_b32 s1, exec_lo, s7
	s_cbranch_execz .LBB100_889
; %bb.888:
	v_div_scale_f64 v[221:222], null, v[208:209], v[208:209], v[206:207]
	v_div_scale_f64 v[227:228], vcc_lo, v[206:207], v[208:209], v[206:207]
	v_rcp_f64_e32 v[223:224], v[221:222]
	v_fma_f64 v[225:226], -v[221:222], v[223:224], 1.0
	v_fma_f64 v[223:224], v[223:224], v[225:226], v[223:224]
	v_fma_f64 v[225:226], -v[221:222], v[223:224], 1.0
	v_fma_f64 v[223:224], v[223:224], v[225:226], v[223:224]
	v_mul_f64 v[225:226], v[227:228], v[223:224]
	v_fma_f64 v[221:222], -v[221:222], v[225:226], v[227:228]
	v_div_fmas_f64 v[221:222], v[221:222], v[223:224], v[225:226]
	v_div_fixup_f64 v[221:222], v[221:222], v[208:209], v[206:207]
	v_fma_f64 v[206:207], v[206:207], v[221:222], v[208:209]
	v_div_scale_f64 v[208:209], null, v[206:207], v[206:207], 1.0
	v_rcp_f64_e32 v[223:224], v[208:209]
	v_fma_f64 v[225:226], -v[208:209], v[223:224], 1.0
	v_fma_f64 v[223:224], v[223:224], v[225:226], v[223:224]
	v_fma_f64 v[225:226], -v[208:209], v[223:224], 1.0
	v_fma_f64 v[223:224], v[223:224], v[225:226], v[223:224]
	v_div_scale_f64 v[225:226], vcc_lo, 1.0, v[206:207], 1.0
	v_mul_f64 v[227:228], v[225:226], v[223:224]
	v_fma_f64 v[208:209], -v[208:209], v[227:228], v[225:226]
	v_div_fmas_f64 v[208:209], v[208:209], v[223:224], v[227:228]
	v_div_fixup_f64 v[208:209], v[208:209], v[206:207], 1.0
	v_mul_f64 v[206:207], v[221:222], v[208:209]
	v_xor_b32_e32 v209, 0x80000000, v209
.LBB100_889:
	s_andn2_saveexec_b32 s1, s1
	s_cbranch_execz .LBB100_891
; %bb.890:
	v_div_scale_f64 v[221:222], null, v[206:207], v[206:207], v[208:209]
	v_div_scale_f64 v[227:228], vcc_lo, v[208:209], v[206:207], v[208:209]
	v_rcp_f64_e32 v[223:224], v[221:222]
	v_fma_f64 v[225:226], -v[221:222], v[223:224], 1.0
	v_fma_f64 v[223:224], v[223:224], v[225:226], v[223:224]
	v_fma_f64 v[225:226], -v[221:222], v[223:224], 1.0
	v_fma_f64 v[223:224], v[223:224], v[225:226], v[223:224]
	v_mul_f64 v[225:226], v[227:228], v[223:224]
	v_fma_f64 v[221:222], -v[221:222], v[225:226], v[227:228]
	v_div_fmas_f64 v[221:222], v[221:222], v[223:224], v[225:226]
	v_div_fixup_f64 v[221:222], v[221:222], v[206:207], v[208:209]
	v_fma_f64 v[206:207], v[208:209], v[221:222], v[206:207]
	v_div_scale_f64 v[208:209], null, v[206:207], v[206:207], 1.0
	v_rcp_f64_e32 v[223:224], v[208:209]
	v_fma_f64 v[225:226], -v[208:209], v[223:224], 1.0
	v_fma_f64 v[223:224], v[223:224], v[225:226], v[223:224]
	v_fma_f64 v[225:226], -v[208:209], v[223:224], 1.0
	v_fma_f64 v[223:224], v[223:224], v[225:226], v[223:224]
	v_div_scale_f64 v[225:226], vcc_lo, 1.0, v[206:207], 1.0
	v_mul_f64 v[227:228], v[225:226], v[223:224]
	v_fma_f64 v[208:209], -v[208:209], v[227:228], v[225:226]
	v_div_fmas_f64 v[208:209], v[208:209], v[223:224], v[227:228]
	v_div_fixup_f64 v[206:207], v[208:209], v[206:207], 1.0
	v_mul_f64 v[208:209], v[221:222], -v[206:207]
.LBB100_891:
	s_or_b32 exec_lo, exec_lo, s1
.LBB100_892:
	s_or_b32 exec_lo, exec_lo, s0
	s_mov_b32 s0, exec_lo
	v_cmpx_ne_u32_e64 v220, v214
	s_xor_b32 s0, exec_lo, s0
	s_cbranch_execz .LBB100_898
; %bb.893:
	s_mov_b32 s1, exec_lo
	v_cmpx_eq_u32_e32 42, v220
	s_cbranch_execz .LBB100_897
; %bb.894:
	v_cmp_ne_u32_e32 vcc_lo, 42, v214
	s_xor_b32 s7, s16, -1
	s_and_b32 s9, s7, vcc_lo
	s_and_saveexec_b32 s7, s9
	s_cbranch_execz .LBB100_896
; %bb.895:
	v_ashrrev_i32_e32 v215, 31, v214
	v_lshlrev_b64 v[220:221], 2, v[214:215]
	v_add_co_u32 v220, vcc_lo, v212, v220
	v_add_co_ci_u32_e64 v221, null, v213, v221, vcc_lo
	s_clause 0x1
	global_load_dword v0, v[220:221], off
	global_load_dword v215, v[212:213], off offset:168
	s_waitcnt vmcnt(1)
	global_store_dword v[212:213], v0, off offset:168
	s_waitcnt vmcnt(0)
	global_store_dword v[220:221], v215, off
.LBB100_896:
	s_or_b32 exec_lo, exec_lo, s7
	v_mov_b32_e32 v220, v214
	v_mov_b32_e32 v0, v214
.LBB100_897:
	s_or_b32 exec_lo, exec_lo, s1
.LBB100_898:
	s_andn2_saveexec_b32 s0, s0
	s_cbranch_execz .LBB100_900
; %bb.899:
	v_mov_b32_e32 v220, 42
	ds_write2_b64 v1, v[30:31], v[32:33] offset0:86 offset1:87
	ds_write2_b64 v1, v[26:27], v[28:29] offset0:88 offset1:89
	;; [unrolled: 1-line block ×8, first 2 shown]
.LBB100_900:
	s_or_b32 exec_lo, exec_lo, s0
	s_mov_b32 s0, exec_lo
	s_waitcnt lgkmcnt(0)
	s_waitcnt_vscnt null, 0x0
	s_barrier
	buffer_gl0_inv
	v_cmpx_lt_i32_e32 42, v220
	s_cbranch_execz .LBB100_902
; %bb.901:
	v_mul_f64 v[214:215], v[206:207], v[36:37]
	v_mul_f64 v[36:37], v[208:209], v[36:37]
	v_fma_f64 v[214:215], v[208:209], v[34:35], v[214:215]
	v_fma_f64 v[34:35], v[206:207], v[34:35], -v[36:37]
	ds_read2_b64 v[206:209], v1 offset0:86 offset1:87
	s_waitcnt lgkmcnt(0)
	v_mul_f64 v[36:37], v[208:209], v[214:215]
	v_fma_f64 v[36:37], v[206:207], v[34:35], -v[36:37]
	v_mul_f64 v[206:207], v[206:207], v[214:215]
	v_add_f64 v[30:31], v[30:31], -v[36:37]
	v_fma_f64 v[206:207], v[208:209], v[34:35], v[206:207]
	v_add_f64 v[32:33], v[32:33], -v[206:207]
	ds_read2_b64 v[206:209], v1 offset0:88 offset1:89
	s_waitcnt lgkmcnt(0)
	v_mul_f64 v[36:37], v[208:209], v[214:215]
	v_fma_f64 v[36:37], v[206:207], v[34:35], -v[36:37]
	v_mul_f64 v[206:207], v[206:207], v[214:215]
	v_add_f64 v[26:27], v[26:27], -v[36:37]
	v_fma_f64 v[206:207], v[208:209], v[34:35], v[206:207]
	v_add_f64 v[28:29], v[28:29], -v[206:207]
	;; [unrolled: 8-line block ×7, first 2 shown]
	ds_read2_b64 v[206:209], v1 offset0:100 offset1:101
	s_waitcnt lgkmcnt(0)
	v_mul_f64 v[36:37], v[208:209], v[214:215]
	v_fma_f64 v[36:37], v[206:207], v[34:35], -v[36:37]
	v_mul_f64 v[206:207], v[206:207], v[214:215]
	v_add_f64 v[2:3], v[2:3], -v[36:37]
	v_fma_f64 v[206:207], v[208:209], v[34:35], v[206:207]
	v_mov_b32_e32 v36, v214
	v_mov_b32_e32 v37, v215
	v_add_f64 v[4:5], v[4:5], -v[206:207]
.LBB100_902:
	s_or_b32 exec_lo, exec_lo, s0
	v_lshl_add_u32 v206, v220, 4, v1
	s_barrier
	buffer_gl0_inv
	v_mov_b32_e32 v214, 43
	ds_write2_b64 v206, v[30:31], v[32:33] offset1:1
	s_waitcnt lgkmcnt(0)
	s_barrier
	buffer_gl0_inv
	ds_read2_b64 v[206:209], v1 offset0:86 offset1:87
	s_cmp_lt_i32 s8, 45
	s_cbranch_scc1 .LBB100_905
; %bb.903:
	v_add3_u32 v215, v216, 0, 0x2c0
	v_mov_b32_e32 v214, 43
	s_mov_b32 s1, 44
	s_inst_prefetch 0x1
	.p2align	6
.LBB100_904:                            ; =>This Inner Loop Header: Depth=1
	s_waitcnt lgkmcnt(0)
	v_cmp_gt_f64_e32 vcc_lo, 0, v[208:209]
	v_cmp_gt_f64_e64 s0, 0, v[206:207]
	ds_read2_b64 v[221:224], v215 offset1:1
	v_xor_b32_e32 v226, 0x80000000, v207
	v_xor_b32_e32 v228, 0x80000000, v209
	v_mov_b32_e32 v225, v206
	v_mov_b32_e32 v227, v208
	v_add_nc_u32_e32 v215, 16, v215
	s_waitcnt lgkmcnt(0)
	v_xor_b32_e32 v230, 0x80000000, v224
	v_cndmask_b32_e64 v226, v207, v226, s0
	v_cndmask_b32_e32 v228, v209, v228, vcc_lo
	v_cmp_gt_f64_e32 vcc_lo, 0, v[223:224]
	v_cmp_gt_f64_e64 s0, 0, v[221:222]
	v_mov_b32_e32 v229, v223
	v_add_f64 v[225:226], v[225:226], v[227:228]
	v_xor_b32_e32 v228, 0x80000000, v222
	v_mov_b32_e32 v227, v221
	v_cndmask_b32_e32 v230, v224, v230, vcc_lo
	v_cndmask_b32_e64 v228, v222, v228, s0
	v_add_f64 v[227:228], v[227:228], v[229:230]
	v_cmp_lt_f64_e32 vcc_lo, v[225:226], v[227:228]
	v_cndmask_b32_e32 v207, v207, v222, vcc_lo
	v_cndmask_b32_e32 v206, v206, v221, vcc_lo
	;; [unrolled: 1-line block ×4, first 2 shown]
	v_cndmask_b32_e64 v214, v214, s1, vcc_lo
	s_add_i32 s1, s1, 1
	s_cmp_lg_u32 s8, s1
	s_cbranch_scc1 .LBB100_904
.LBB100_905:
	s_inst_prefetch 0x2
	s_waitcnt lgkmcnt(0)
	v_cmp_eq_f64_e32 vcc_lo, 0, v[206:207]
	v_cmp_eq_f64_e64 s0, 0, v[208:209]
	s_and_b32 s0, vcc_lo, s0
	s_and_saveexec_b32 s1, s0
	s_xor_b32 s0, exec_lo, s1
; %bb.906:
	v_cmp_ne_u32_e32 vcc_lo, 0, v219
	v_cndmask_b32_e32 v219, 44, v219, vcc_lo
; %bb.907:
	s_andn2_saveexec_b32 s0, s0
	s_cbranch_execz .LBB100_913
; %bb.908:
	v_cmp_ngt_f64_e64 s1, |v[206:207]|, |v[208:209]|
	s_and_saveexec_b32 s7, s1
	s_xor_b32 s1, exec_lo, s7
	s_cbranch_execz .LBB100_910
; %bb.909:
	v_div_scale_f64 v[221:222], null, v[208:209], v[208:209], v[206:207]
	v_div_scale_f64 v[227:228], vcc_lo, v[206:207], v[208:209], v[206:207]
	v_rcp_f64_e32 v[223:224], v[221:222]
	v_fma_f64 v[225:226], -v[221:222], v[223:224], 1.0
	v_fma_f64 v[223:224], v[223:224], v[225:226], v[223:224]
	v_fma_f64 v[225:226], -v[221:222], v[223:224], 1.0
	v_fma_f64 v[223:224], v[223:224], v[225:226], v[223:224]
	v_mul_f64 v[225:226], v[227:228], v[223:224]
	v_fma_f64 v[221:222], -v[221:222], v[225:226], v[227:228]
	v_div_fmas_f64 v[221:222], v[221:222], v[223:224], v[225:226]
	v_div_fixup_f64 v[221:222], v[221:222], v[208:209], v[206:207]
	v_fma_f64 v[206:207], v[206:207], v[221:222], v[208:209]
	v_div_scale_f64 v[208:209], null, v[206:207], v[206:207], 1.0
	v_rcp_f64_e32 v[223:224], v[208:209]
	v_fma_f64 v[225:226], -v[208:209], v[223:224], 1.0
	v_fma_f64 v[223:224], v[223:224], v[225:226], v[223:224]
	v_fma_f64 v[225:226], -v[208:209], v[223:224], 1.0
	v_fma_f64 v[223:224], v[223:224], v[225:226], v[223:224]
	v_div_scale_f64 v[225:226], vcc_lo, 1.0, v[206:207], 1.0
	v_mul_f64 v[227:228], v[225:226], v[223:224]
	v_fma_f64 v[208:209], -v[208:209], v[227:228], v[225:226]
	v_div_fmas_f64 v[208:209], v[208:209], v[223:224], v[227:228]
	v_div_fixup_f64 v[208:209], v[208:209], v[206:207], 1.0
	v_mul_f64 v[206:207], v[221:222], v[208:209]
	v_xor_b32_e32 v209, 0x80000000, v209
.LBB100_910:
	s_andn2_saveexec_b32 s1, s1
	s_cbranch_execz .LBB100_912
; %bb.911:
	v_div_scale_f64 v[221:222], null, v[206:207], v[206:207], v[208:209]
	v_div_scale_f64 v[227:228], vcc_lo, v[208:209], v[206:207], v[208:209]
	v_rcp_f64_e32 v[223:224], v[221:222]
	v_fma_f64 v[225:226], -v[221:222], v[223:224], 1.0
	v_fma_f64 v[223:224], v[223:224], v[225:226], v[223:224]
	v_fma_f64 v[225:226], -v[221:222], v[223:224], 1.0
	v_fma_f64 v[223:224], v[223:224], v[225:226], v[223:224]
	v_mul_f64 v[225:226], v[227:228], v[223:224]
	v_fma_f64 v[221:222], -v[221:222], v[225:226], v[227:228]
	v_div_fmas_f64 v[221:222], v[221:222], v[223:224], v[225:226]
	v_div_fixup_f64 v[221:222], v[221:222], v[206:207], v[208:209]
	v_fma_f64 v[206:207], v[208:209], v[221:222], v[206:207]
	v_div_scale_f64 v[208:209], null, v[206:207], v[206:207], 1.0
	v_rcp_f64_e32 v[223:224], v[208:209]
	v_fma_f64 v[225:226], -v[208:209], v[223:224], 1.0
	v_fma_f64 v[223:224], v[223:224], v[225:226], v[223:224]
	v_fma_f64 v[225:226], -v[208:209], v[223:224], 1.0
	v_fma_f64 v[223:224], v[223:224], v[225:226], v[223:224]
	v_div_scale_f64 v[225:226], vcc_lo, 1.0, v[206:207], 1.0
	v_mul_f64 v[227:228], v[225:226], v[223:224]
	v_fma_f64 v[208:209], -v[208:209], v[227:228], v[225:226]
	v_div_fmas_f64 v[208:209], v[208:209], v[223:224], v[227:228]
	v_div_fixup_f64 v[206:207], v[208:209], v[206:207], 1.0
	v_mul_f64 v[208:209], v[221:222], -v[206:207]
.LBB100_912:
	s_or_b32 exec_lo, exec_lo, s1
.LBB100_913:
	s_or_b32 exec_lo, exec_lo, s0
	s_mov_b32 s0, exec_lo
	v_cmpx_ne_u32_e64 v220, v214
	s_xor_b32 s0, exec_lo, s0
	s_cbranch_execz .LBB100_919
; %bb.914:
	s_mov_b32 s1, exec_lo
	v_cmpx_eq_u32_e32 43, v220
	s_cbranch_execz .LBB100_918
; %bb.915:
	v_cmp_ne_u32_e32 vcc_lo, 43, v214
	s_xor_b32 s7, s16, -1
	s_and_b32 s9, s7, vcc_lo
	s_and_saveexec_b32 s7, s9
	s_cbranch_execz .LBB100_917
; %bb.916:
	v_ashrrev_i32_e32 v215, 31, v214
	v_lshlrev_b64 v[220:221], 2, v[214:215]
	v_add_co_u32 v220, vcc_lo, v212, v220
	v_add_co_ci_u32_e64 v221, null, v213, v221, vcc_lo
	s_clause 0x1
	global_load_dword v0, v[220:221], off
	global_load_dword v215, v[212:213], off offset:172
	s_waitcnt vmcnt(1)
	global_store_dword v[212:213], v0, off offset:172
	s_waitcnt vmcnt(0)
	global_store_dword v[220:221], v215, off
.LBB100_917:
	s_or_b32 exec_lo, exec_lo, s7
	v_mov_b32_e32 v220, v214
	v_mov_b32_e32 v0, v214
.LBB100_918:
	s_or_b32 exec_lo, exec_lo, s1
.LBB100_919:
	s_andn2_saveexec_b32 s0, s0
	s_cbranch_execz .LBB100_921
; %bb.920:
	v_mov_b32_e32 v220, 43
	ds_write2_b64 v1, v[26:27], v[28:29] offset0:88 offset1:89
	ds_write2_b64 v1, v[22:23], v[24:25] offset0:90 offset1:91
	;; [unrolled: 1-line block ×7, first 2 shown]
.LBB100_921:
	s_or_b32 exec_lo, exec_lo, s0
	s_mov_b32 s0, exec_lo
	s_waitcnt lgkmcnt(0)
	s_waitcnt_vscnt null, 0x0
	s_barrier
	buffer_gl0_inv
	v_cmpx_lt_i32_e32 43, v220
	s_cbranch_execz .LBB100_923
; %bb.922:
	v_mul_f64 v[214:215], v[206:207], v[32:33]
	v_mul_f64 v[32:33], v[208:209], v[32:33]
	v_fma_f64 v[214:215], v[208:209], v[30:31], v[214:215]
	v_fma_f64 v[30:31], v[206:207], v[30:31], -v[32:33]
	ds_read2_b64 v[206:209], v1 offset0:88 offset1:89
	s_waitcnt lgkmcnt(0)
	v_mul_f64 v[32:33], v[208:209], v[214:215]
	v_fma_f64 v[32:33], v[206:207], v[30:31], -v[32:33]
	v_mul_f64 v[206:207], v[206:207], v[214:215]
	v_add_f64 v[26:27], v[26:27], -v[32:33]
	v_fma_f64 v[206:207], v[208:209], v[30:31], v[206:207]
	v_add_f64 v[28:29], v[28:29], -v[206:207]
	ds_read2_b64 v[206:209], v1 offset0:90 offset1:91
	s_waitcnt lgkmcnt(0)
	v_mul_f64 v[32:33], v[208:209], v[214:215]
	v_fma_f64 v[32:33], v[206:207], v[30:31], -v[32:33]
	v_mul_f64 v[206:207], v[206:207], v[214:215]
	v_add_f64 v[22:23], v[22:23], -v[32:33]
	v_fma_f64 v[206:207], v[208:209], v[30:31], v[206:207]
	v_add_f64 v[24:25], v[24:25], -v[206:207]
	;; [unrolled: 8-line block ×6, first 2 shown]
	ds_read2_b64 v[206:209], v1 offset0:100 offset1:101
	s_waitcnt lgkmcnt(0)
	v_mul_f64 v[32:33], v[208:209], v[214:215]
	v_fma_f64 v[32:33], v[206:207], v[30:31], -v[32:33]
	v_mul_f64 v[206:207], v[206:207], v[214:215]
	v_add_f64 v[2:3], v[2:3], -v[32:33]
	v_fma_f64 v[206:207], v[208:209], v[30:31], v[206:207]
	v_mov_b32_e32 v32, v214
	v_mov_b32_e32 v33, v215
	v_add_f64 v[4:5], v[4:5], -v[206:207]
.LBB100_923:
	s_or_b32 exec_lo, exec_lo, s0
	v_lshl_add_u32 v206, v220, 4, v1
	s_barrier
	buffer_gl0_inv
	v_mov_b32_e32 v214, 44
	ds_write2_b64 v206, v[26:27], v[28:29] offset1:1
	s_waitcnt lgkmcnt(0)
	s_barrier
	buffer_gl0_inv
	ds_read2_b64 v[206:209], v1 offset0:88 offset1:89
	s_cmp_lt_i32 s8, 46
	s_cbranch_scc1 .LBB100_926
; %bb.924:
	v_add3_u32 v215, v216, 0, 0x2d0
	v_mov_b32_e32 v214, 44
	s_mov_b32 s1, 45
	s_inst_prefetch 0x1
	.p2align	6
.LBB100_925:                            ; =>This Inner Loop Header: Depth=1
	s_waitcnt lgkmcnt(0)
	v_cmp_gt_f64_e32 vcc_lo, 0, v[208:209]
	v_cmp_gt_f64_e64 s0, 0, v[206:207]
	ds_read2_b64 v[221:224], v215 offset1:1
	v_xor_b32_e32 v226, 0x80000000, v207
	v_xor_b32_e32 v228, 0x80000000, v209
	v_mov_b32_e32 v225, v206
	v_mov_b32_e32 v227, v208
	v_add_nc_u32_e32 v215, 16, v215
	s_waitcnt lgkmcnt(0)
	v_xor_b32_e32 v230, 0x80000000, v224
	v_cndmask_b32_e64 v226, v207, v226, s0
	v_cndmask_b32_e32 v228, v209, v228, vcc_lo
	v_cmp_gt_f64_e32 vcc_lo, 0, v[223:224]
	v_cmp_gt_f64_e64 s0, 0, v[221:222]
	v_mov_b32_e32 v229, v223
	v_add_f64 v[225:226], v[225:226], v[227:228]
	v_xor_b32_e32 v228, 0x80000000, v222
	v_mov_b32_e32 v227, v221
	v_cndmask_b32_e32 v230, v224, v230, vcc_lo
	v_cndmask_b32_e64 v228, v222, v228, s0
	v_add_f64 v[227:228], v[227:228], v[229:230]
	v_cmp_lt_f64_e32 vcc_lo, v[225:226], v[227:228]
	v_cndmask_b32_e32 v207, v207, v222, vcc_lo
	v_cndmask_b32_e32 v206, v206, v221, vcc_lo
	;; [unrolled: 1-line block ×4, first 2 shown]
	v_cndmask_b32_e64 v214, v214, s1, vcc_lo
	s_add_i32 s1, s1, 1
	s_cmp_lg_u32 s8, s1
	s_cbranch_scc1 .LBB100_925
.LBB100_926:
	s_inst_prefetch 0x2
	s_waitcnt lgkmcnt(0)
	v_cmp_eq_f64_e32 vcc_lo, 0, v[206:207]
	v_cmp_eq_f64_e64 s0, 0, v[208:209]
	s_and_b32 s0, vcc_lo, s0
	s_and_saveexec_b32 s1, s0
	s_xor_b32 s0, exec_lo, s1
; %bb.927:
	v_cmp_ne_u32_e32 vcc_lo, 0, v219
	v_cndmask_b32_e32 v219, 45, v219, vcc_lo
; %bb.928:
	s_andn2_saveexec_b32 s0, s0
	s_cbranch_execz .LBB100_934
; %bb.929:
	v_cmp_ngt_f64_e64 s1, |v[206:207]|, |v[208:209]|
	s_and_saveexec_b32 s7, s1
	s_xor_b32 s1, exec_lo, s7
	s_cbranch_execz .LBB100_931
; %bb.930:
	v_div_scale_f64 v[221:222], null, v[208:209], v[208:209], v[206:207]
	v_div_scale_f64 v[227:228], vcc_lo, v[206:207], v[208:209], v[206:207]
	v_rcp_f64_e32 v[223:224], v[221:222]
	v_fma_f64 v[225:226], -v[221:222], v[223:224], 1.0
	v_fma_f64 v[223:224], v[223:224], v[225:226], v[223:224]
	v_fma_f64 v[225:226], -v[221:222], v[223:224], 1.0
	v_fma_f64 v[223:224], v[223:224], v[225:226], v[223:224]
	v_mul_f64 v[225:226], v[227:228], v[223:224]
	v_fma_f64 v[221:222], -v[221:222], v[225:226], v[227:228]
	v_div_fmas_f64 v[221:222], v[221:222], v[223:224], v[225:226]
	v_div_fixup_f64 v[221:222], v[221:222], v[208:209], v[206:207]
	v_fma_f64 v[206:207], v[206:207], v[221:222], v[208:209]
	v_div_scale_f64 v[208:209], null, v[206:207], v[206:207], 1.0
	v_rcp_f64_e32 v[223:224], v[208:209]
	v_fma_f64 v[225:226], -v[208:209], v[223:224], 1.0
	v_fma_f64 v[223:224], v[223:224], v[225:226], v[223:224]
	v_fma_f64 v[225:226], -v[208:209], v[223:224], 1.0
	v_fma_f64 v[223:224], v[223:224], v[225:226], v[223:224]
	v_div_scale_f64 v[225:226], vcc_lo, 1.0, v[206:207], 1.0
	v_mul_f64 v[227:228], v[225:226], v[223:224]
	v_fma_f64 v[208:209], -v[208:209], v[227:228], v[225:226]
	v_div_fmas_f64 v[208:209], v[208:209], v[223:224], v[227:228]
	v_div_fixup_f64 v[208:209], v[208:209], v[206:207], 1.0
	v_mul_f64 v[206:207], v[221:222], v[208:209]
	v_xor_b32_e32 v209, 0x80000000, v209
.LBB100_931:
	s_andn2_saveexec_b32 s1, s1
	s_cbranch_execz .LBB100_933
; %bb.932:
	v_div_scale_f64 v[221:222], null, v[206:207], v[206:207], v[208:209]
	v_div_scale_f64 v[227:228], vcc_lo, v[208:209], v[206:207], v[208:209]
	v_rcp_f64_e32 v[223:224], v[221:222]
	v_fma_f64 v[225:226], -v[221:222], v[223:224], 1.0
	v_fma_f64 v[223:224], v[223:224], v[225:226], v[223:224]
	v_fma_f64 v[225:226], -v[221:222], v[223:224], 1.0
	v_fma_f64 v[223:224], v[223:224], v[225:226], v[223:224]
	v_mul_f64 v[225:226], v[227:228], v[223:224]
	v_fma_f64 v[221:222], -v[221:222], v[225:226], v[227:228]
	v_div_fmas_f64 v[221:222], v[221:222], v[223:224], v[225:226]
	v_div_fixup_f64 v[221:222], v[221:222], v[206:207], v[208:209]
	v_fma_f64 v[206:207], v[208:209], v[221:222], v[206:207]
	v_div_scale_f64 v[208:209], null, v[206:207], v[206:207], 1.0
	v_rcp_f64_e32 v[223:224], v[208:209]
	v_fma_f64 v[225:226], -v[208:209], v[223:224], 1.0
	v_fma_f64 v[223:224], v[223:224], v[225:226], v[223:224]
	v_fma_f64 v[225:226], -v[208:209], v[223:224], 1.0
	v_fma_f64 v[223:224], v[223:224], v[225:226], v[223:224]
	v_div_scale_f64 v[225:226], vcc_lo, 1.0, v[206:207], 1.0
	v_mul_f64 v[227:228], v[225:226], v[223:224]
	v_fma_f64 v[208:209], -v[208:209], v[227:228], v[225:226]
	v_div_fmas_f64 v[208:209], v[208:209], v[223:224], v[227:228]
	v_div_fixup_f64 v[206:207], v[208:209], v[206:207], 1.0
	v_mul_f64 v[208:209], v[221:222], -v[206:207]
.LBB100_933:
	s_or_b32 exec_lo, exec_lo, s1
.LBB100_934:
	s_or_b32 exec_lo, exec_lo, s0
	s_mov_b32 s0, exec_lo
	v_cmpx_ne_u32_e64 v220, v214
	s_xor_b32 s0, exec_lo, s0
	s_cbranch_execz .LBB100_940
; %bb.935:
	s_mov_b32 s1, exec_lo
	v_cmpx_eq_u32_e32 44, v220
	s_cbranch_execz .LBB100_939
; %bb.936:
	v_cmp_ne_u32_e32 vcc_lo, 44, v214
	s_xor_b32 s7, s16, -1
	s_and_b32 s9, s7, vcc_lo
	s_and_saveexec_b32 s7, s9
	s_cbranch_execz .LBB100_938
; %bb.937:
	v_ashrrev_i32_e32 v215, 31, v214
	v_lshlrev_b64 v[220:221], 2, v[214:215]
	v_add_co_u32 v220, vcc_lo, v212, v220
	v_add_co_ci_u32_e64 v221, null, v213, v221, vcc_lo
	s_clause 0x1
	global_load_dword v0, v[220:221], off
	global_load_dword v215, v[212:213], off offset:176
	s_waitcnt vmcnt(1)
	global_store_dword v[212:213], v0, off offset:176
	s_waitcnt vmcnt(0)
	global_store_dword v[220:221], v215, off
.LBB100_938:
	s_or_b32 exec_lo, exec_lo, s7
	v_mov_b32_e32 v220, v214
	v_mov_b32_e32 v0, v214
.LBB100_939:
	s_or_b32 exec_lo, exec_lo, s1
.LBB100_940:
	s_andn2_saveexec_b32 s0, s0
	s_cbranch_execz .LBB100_942
; %bb.941:
	v_mov_b32_e32 v220, 44
	ds_write2_b64 v1, v[22:23], v[24:25] offset0:90 offset1:91
	ds_write2_b64 v1, v[18:19], v[20:21] offset0:92 offset1:93
	;; [unrolled: 1-line block ×6, first 2 shown]
.LBB100_942:
	s_or_b32 exec_lo, exec_lo, s0
	s_mov_b32 s0, exec_lo
	s_waitcnt lgkmcnt(0)
	s_waitcnt_vscnt null, 0x0
	s_barrier
	buffer_gl0_inv
	v_cmpx_lt_i32_e32 44, v220
	s_cbranch_execz .LBB100_944
; %bb.943:
	v_mul_f64 v[214:215], v[206:207], v[28:29]
	v_mul_f64 v[28:29], v[208:209], v[28:29]
	v_fma_f64 v[214:215], v[208:209], v[26:27], v[214:215]
	v_fma_f64 v[26:27], v[206:207], v[26:27], -v[28:29]
	ds_read2_b64 v[206:209], v1 offset0:90 offset1:91
	s_waitcnt lgkmcnt(0)
	v_mul_f64 v[28:29], v[208:209], v[214:215]
	v_fma_f64 v[28:29], v[206:207], v[26:27], -v[28:29]
	v_mul_f64 v[206:207], v[206:207], v[214:215]
	v_add_f64 v[22:23], v[22:23], -v[28:29]
	v_fma_f64 v[206:207], v[208:209], v[26:27], v[206:207]
	v_add_f64 v[24:25], v[24:25], -v[206:207]
	ds_read2_b64 v[206:209], v1 offset0:92 offset1:93
	s_waitcnt lgkmcnt(0)
	v_mul_f64 v[28:29], v[208:209], v[214:215]
	v_fma_f64 v[28:29], v[206:207], v[26:27], -v[28:29]
	v_mul_f64 v[206:207], v[206:207], v[214:215]
	v_add_f64 v[18:19], v[18:19], -v[28:29]
	v_fma_f64 v[206:207], v[208:209], v[26:27], v[206:207]
	v_add_f64 v[20:21], v[20:21], -v[206:207]
	;; [unrolled: 8-line block ×5, first 2 shown]
	ds_read2_b64 v[206:209], v1 offset0:100 offset1:101
	s_waitcnt lgkmcnt(0)
	v_mul_f64 v[28:29], v[208:209], v[214:215]
	v_fma_f64 v[28:29], v[206:207], v[26:27], -v[28:29]
	v_mul_f64 v[206:207], v[206:207], v[214:215]
	v_add_f64 v[2:3], v[2:3], -v[28:29]
	v_fma_f64 v[206:207], v[208:209], v[26:27], v[206:207]
	v_mov_b32_e32 v28, v214
	v_mov_b32_e32 v29, v215
	v_add_f64 v[4:5], v[4:5], -v[206:207]
.LBB100_944:
	s_or_b32 exec_lo, exec_lo, s0
	v_lshl_add_u32 v206, v220, 4, v1
	s_barrier
	buffer_gl0_inv
	v_mov_b32_e32 v214, 45
	ds_write2_b64 v206, v[22:23], v[24:25] offset1:1
	s_waitcnt lgkmcnt(0)
	s_barrier
	buffer_gl0_inv
	ds_read2_b64 v[206:209], v1 offset0:90 offset1:91
	s_cmp_lt_i32 s8, 47
	s_cbranch_scc1 .LBB100_947
; %bb.945:
	v_add3_u32 v215, v216, 0, 0x2e0
	v_mov_b32_e32 v214, 45
	s_mov_b32 s1, 46
	s_inst_prefetch 0x1
	.p2align	6
.LBB100_946:                            ; =>This Inner Loop Header: Depth=1
	s_waitcnt lgkmcnt(0)
	v_cmp_gt_f64_e32 vcc_lo, 0, v[208:209]
	v_cmp_gt_f64_e64 s0, 0, v[206:207]
	ds_read2_b64 v[221:224], v215 offset1:1
	v_xor_b32_e32 v226, 0x80000000, v207
	v_xor_b32_e32 v228, 0x80000000, v209
	v_mov_b32_e32 v225, v206
	v_mov_b32_e32 v227, v208
	v_add_nc_u32_e32 v215, 16, v215
	s_waitcnt lgkmcnt(0)
	v_xor_b32_e32 v230, 0x80000000, v224
	v_cndmask_b32_e64 v226, v207, v226, s0
	v_cndmask_b32_e32 v228, v209, v228, vcc_lo
	v_cmp_gt_f64_e32 vcc_lo, 0, v[223:224]
	v_cmp_gt_f64_e64 s0, 0, v[221:222]
	v_mov_b32_e32 v229, v223
	v_add_f64 v[225:226], v[225:226], v[227:228]
	v_xor_b32_e32 v228, 0x80000000, v222
	v_mov_b32_e32 v227, v221
	v_cndmask_b32_e32 v230, v224, v230, vcc_lo
	v_cndmask_b32_e64 v228, v222, v228, s0
	v_add_f64 v[227:228], v[227:228], v[229:230]
	v_cmp_lt_f64_e32 vcc_lo, v[225:226], v[227:228]
	v_cndmask_b32_e32 v207, v207, v222, vcc_lo
	v_cndmask_b32_e32 v206, v206, v221, vcc_lo
	;; [unrolled: 1-line block ×4, first 2 shown]
	v_cndmask_b32_e64 v214, v214, s1, vcc_lo
	s_add_i32 s1, s1, 1
	s_cmp_lg_u32 s8, s1
	s_cbranch_scc1 .LBB100_946
.LBB100_947:
	s_inst_prefetch 0x2
	s_waitcnt lgkmcnt(0)
	v_cmp_eq_f64_e32 vcc_lo, 0, v[206:207]
	v_cmp_eq_f64_e64 s0, 0, v[208:209]
	s_and_b32 s0, vcc_lo, s0
	s_and_saveexec_b32 s1, s0
	s_xor_b32 s0, exec_lo, s1
; %bb.948:
	v_cmp_ne_u32_e32 vcc_lo, 0, v219
	v_cndmask_b32_e32 v219, 46, v219, vcc_lo
; %bb.949:
	s_andn2_saveexec_b32 s0, s0
	s_cbranch_execz .LBB100_955
; %bb.950:
	v_cmp_ngt_f64_e64 s1, |v[206:207]|, |v[208:209]|
	s_and_saveexec_b32 s7, s1
	s_xor_b32 s1, exec_lo, s7
	s_cbranch_execz .LBB100_952
; %bb.951:
	v_div_scale_f64 v[221:222], null, v[208:209], v[208:209], v[206:207]
	v_div_scale_f64 v[227:228], vcc_lo, v[206:207], v[208:209], v[206:207]
	v_rcp_f64_e32 v[223:224], v[221:222]
	v_fma_f64 v[225:226], -v[221:222], v[223:224], 1.0
	v_fma_f64 v[223:224], v[223:224], v[225:226], v[223:224]
	v_fma_f64 v[225:226], -v[221:222], v[223:224], 1.0
	v_fma_f64 v[223:224], v[223:224], v[225:226], v[223:224]
	v_mul_f64 v[225:226], v[227:228], v[223:224]
	v_fma_f64 v[221:222], -v[221:222], v[225:226], v[227:228]
	v_div_fmas_f64 v[221:222], v[221:222], v[223:224], v[225:226]
	v_div_fixup_f64 v[221:222], v[221:222], v[208:209], v[206:207]
	v_fma_f64 v[206:207], v[206:207], v[221:222], v[208:209]
	v_div_scale_f64 v[208:209], null, v[206:207], v[206:207], 1.0
	v_rcp_f64_e32 v[223:224], v[208:209]
	v_fma_f64 v[225:226], -v[208:209], v[223:224], 1.0
	v_fma_f64 v[223:224], v[223:224], v[225:226], v[223:224]
	v_fma_f64 v[225:226], -v[208:209], v[223:224], 1.0
	v_fma_f64 v[223:224], v[223:224], v[225:226], v[223:224]
	v_div_scale_f64 v[225:226], vcc_lo, 1.0, v[206:207], 1.0
	v_mul_f64 v[227:228], v[225:226], v[223:224]
	v_fma_f64 v[208:209], -v[208:209], v[227:228], v[225:226]
	v_div_fmas_f64 v[208:209], v[208:209], v[223:224], v[227:228]
	v_div_fixup_f64 v[208:209], v[208:209], v[206:207], 1.0
	v_mul_f64 v[206:207], v[221:222], v[208:209]
	v_xor_b32_e32 v209, 0x80000000, v209
.LBB100_952:
	s_andn2_saveexec_b32 s1, s1
	s_cbranch_execz .LBB100_954
; %bb.953:
	v_div_scale_f64 v[221:222], null, v[206:207], v[206:207], v[208:209]
	v_div_scale_f64 v[227:228], vcc_lo, v[208:209], v[206:207], v[208:209]
	v_rcp_f64_e32 v[223:224], v[221:222]
	v_fma_f64 v[225:226], -v[221:222], v[223:224], 1.0
	v_fma_f64 v[223:224], v[223:224], v[225:226], v[223:224]
	v_fma_f64 v[225:226], -v[221:222], v[223:224], 1.0
	v_fma_f64 v[223:224], v[223:224], v[225:226], v[223:224]
	v_mul_f64 v[225:226], v[227:228], v[223:224]
	v_fma_f64 v[221:222], -v[221:222], v[225:226], v[227:228]
	v_div_fmas_f64 v[221:222], v[221:222], v[223:224], v[225:226]
	v_div_fixup_f64 v[221:222], v[221:222], v[206:207], v[208:209]
	v_fma_f64 v[206:207], v[208:209], v[221:222], v[206:207]
	v_div_scale_f64 v[208:209], null, v[206:207], v[206:207], 1.0
	v_rcp_f64_e32 v[223:224], v[208:209]
	v_fma_f64 v[225:226], -v[208:209], v[223:224], 1.0
	v_fma_f64 v[223:224], v[223:224], v[225:226], v[223:224]
	v_fma_f64 v[225:226], -v[208:209], v[223:224], 1.0
	v_fma_f64 v[223:224], v[223:224], v[225:226], v[223:224]
	v_div_scale_f64 v[225:226], vcc_lo, 1.0, v[206:207], 1.0
	v_mul_f64 v[227:228], v[225:226], v[223:224]
	v_fma_f64 v[208:209], -v[208:209], v[227:228], v[225:226]
	v_div_fmas_f64 v[208:209], v[208:209], v[223:224], v[227:228]
	v_div_fixup_f64 v[206:207], v[208:209], v[206:207], 1.0
	v_mul_f64 v[208:209], v[221:222], -v[206:207]
.LBB100_954:
	s_or_b32 exec_lo, exec_lo, s1
.LBB100_955:
	s_or_b32 exec_lo, exec_lo, s0
	s_mov_b32 s0, exec_lo
	v_cmpx_ne_u32_e64 v220, v214
	s_xor_b32 s0, exec_lo, s0
	s_cbranch_execz .LBB100_961
; %bb.956:
	s_mov_b32 s1, exec_lo
	v_cmpx_eq_u32_e32 45, v220
	s_cbranch_execz .LBB100_960
; %bb.957:
	v_cmp_ne_u32_e32 vcc_lo, 45, v214
	s_xor_b32 s7, s16, -1
	s_and_b32 s9, s7, vcc_lo
	s_and_saveexec_b32 s7, s9
	s_cbranch_execz .LBB100_959
; %bb.958:
	v_ashrrev_i32_e32 v215, 31, v214
	v_lshlrev_b64 v[220:221], 2, v[214:215]
	v_add_co_u32 v220, vcc_lo, v212, v220
	v_add_co_ci_u32_e64 v221, null, v213, v221, vcc_lo
	s_clause 0x1
	global_load_dword v0, v[220:221], off
	global_load_dword v215, v[212:213], off offset:180
	s_waitcnt vmcnt(1)
	global_store_dword v[212:213], v0, off offset:180
	s_waitcnt vmcnt(0)
	global_store_dword v[220:221], v215, off
.LBB100_959:
	s_or_b32 exec_lo, exec_lo, s7
	v_mov_b32_e32 v220, v214
	v_mov_b32_e32 v0, v214
.LBB100_960:
	s_or_b32 exec_lo, exec_lo, s1
.LBB100_961:
	s_andn2_saveexec_b32 s0, s0
	s_cbranch_execz .LBB100_963
; %bb.962:
	v_mov_b32_e32 v220, 45
	ds_write2_b64 v1, v[18:19], v[20:21] offset0:92 offset1:93
	ds_write2_b64 v1, v[14:15], v[16:17] offset0:94 offset1:95
	;; [unrolled: 1-line block ×5, first 2 shown]
.LBB100_963:
	s_or_b32 exec_lo, exec_lo, s0
	s_mov_b32 s0, exec_lo
	s_waitcnt lgkmcnt(0)
	s_waitcnt_vscnt null, 0x0
	s_barrier
	buffer_gl0_inv
	v_cmpx_lt_i32_e32 45, v220
	s_cbranch_execz .LBB100_965
; %bb.964:
	v_mul_f64 v[214:215], v[206:207], v[24:25]
	v_mul_f64 v[24:25], v[208:209], v[24:25]
	v_fma_f64 v[214:215], v[208:209], v[22:23], v[214:215]
	v_fma_f64 v[22:23], v[206:207], v[22:23], -v[24:25]
	ds_read2_b64 v[206:209], v1 offset0:92 offset1:93
	s_waitcnt lgkmcnt(0)
	v_mul_f64 v[24:25], v[208:209], v[214:215]
	v_fma_f64 v[24:25], v[206:207], v[22:23], -v[24:25]
	v_mul_f64 v[206:207], v[206:207], v[214:215]
	v_add_f64 v[18:19], v[18:19], -v[24:25]
	v_fma_f64 v[206:207], v[208:209], v[22:23], v[206:207]
	v_add_f64 v[20:21], v[20:21], -v[206:207]
	ds_read2_b64 v[206:209], v1 offset0:94 offset1:95
	s_waitcnt lgkmcnt(0)
	v_mul_f64 v[24:25], v[208:209], v[214:215]
	v_fma_f64 v[24:25], v[206:207], v[22:23], -v[24:25]
	v_mul_f64 v[206:207], v[206:207], v[214:215]
	v_add_f64 v[14:15], v[14:15], -v[24:25]
	v_fma_f64 v[206:207], v[208:209], v[22:23], v[206:207]
	v_add_f64 v[16:17], v[16:17], -v[206:207]
	;; [unrolled: 8-line block ×4, first 2 shown]
	ds_read2_b64 v[206:209], v1 offset0:100 offset1:101
	s_waitcnt lgkmcnt(0)
	v_mul_f64 v[24:25], v[208:209], v[214:215]
	v_fma_f64 v[24:25], v[206:207], v[22:23], -v[24:25]
	v_mul_f64 v[206:207], v[206:207], v[214:215]
	v_add_f64 v[2:3], v[2:3], -v[24:25]
	v_fma_f64 v[206:207], v[208:209], v[22:23], v[206:207]
	v_mov_b32_e32 v24, v214
	v_mov_b32_e32 v25, v215
	v_add_f64 v[4:5], v[4:5], -v[206:207]
.LBB100_965:
	s_or_b32 exec_lo, exec_lo, s0
	v_lshl_add_u32 v206, v220, 4, v1
	s_barrier
	buffer_gl0_inv
	v_mov_b32_e32 v214, 46
	ds_write2_b64 v206, v[18:19], v[20:21] offset1:1
	s_waitcnt lgkmcnt(0)
	s_barrier
	buffer_gl0_inv
	ds_read2_b64 v[206:209], v1 offset0:92 offset1:93
	s_cmp_lt_i32 s8, 48
	s_cbranch_scc1 .LBB100_968
; %bb.966:
	v_add3_u32 v215, v216, 0, 0x2f0
	v_mov_b32_e32 v214, 46
	s_mov_b32 s1, 47
	s_inst_prefetch 0x1
	.p2align	6
.LBB100_967:                            ; =>This Inner Loop Header: Depth=1
	s_waitcnt lgkmcnt(0)
	v_cmp_gt_f64_e32 vcc_lo, 0, v[208:209]
	v_cmp_gt_f64_e64 s0, 0, v[206:207]
	ds_read2_b64 v[221:224], v215 offset1:1
	v_xor_b32_e32 v226, 0x80000000, v207
	v_xor_b32_e32 v228, 0x80000000, v209
	v_mov_b32_e32 v225, v206
	v_mov_b32_e32 v227, v208
	v_add_nc_u32_e32 v215, 16, v215
	s_waitcnt lgkmcnt(0)
	v_xor_b32_e32 v230, 0x80000000, v224
	v_cndmask_b32_e64 v226, v207, v226, s0
	v_cndmask_b32_e32 v228, v209, v228, vcc_lo
	v_cmp_gt_f64_e32 vcc_lo, 0, v[223:224]
	v_cmp_gt_f64_e64 s0, 0, v[221:222]
	v_mov_b32_e32 v229, v223
	v_add_f64 v[225:226], v[225:226], v[227:228]
	v_xor_b32_e32 v228, 0x80000000, v222
	v_mov_b32_e32 v227, v221
	v_cndmask_b32_e32 v230, v224, v230, vcc_lo
	v_cndmask_b32_e64 v228, v222, v228, s0
	v_add_f64 v[227:228], v[227:228], v[229:230]
	v_cmp_lt_f64_e32 vcc_lo, v[225:226], v[227:228]
	v_cndmask_b32_e32 v207, v207, v222, vcc_lo
	v_cndmask_b32_e32 v206, v206, v221, vcc_lo
	;; [unrolled: 1-line block ×4, first 2 shown]
	v_cndmask_b32_e64 v214, v214, s1, vcc_lo
	s_add_i32 s1, s1, 1
	s_cmp_lg_u32 s8, s1
	s_cbranch_scc1 .LBB100_967
.LBB100_968:
	s_inst_prefetch 0x2
	s_waitcnt lgkmcnt(0)
	v_cmp_eq_f64_e32 vcc_lo, 0, v[206:207]
	v_cmp_eq_f64_e64 s0, 0, v[208:209]
	s_and_b32 s0, vcc_lo, s0
	s_and_saveexec_b32 s1, s0
	s_xor_b32 s0, exec_lo, s1
; %bb.969:
	v_cmp_ne_u32_e32 vcc_lo, 0, v219
	v_cndmask_b32_e32 v219, 47, v219, vcc_lo
; %bb.970:
	s_andn2_saveexec_b32 s0, s0
	s_cbranch_execz .LBB100_976
; %bb.971:
	v_cmp_ngt_f64_e64 s1, |v[206:207]|, |v[208:209]|
	s_and_saveexec_b32 s7, s1
	s_xor_b32 s1, exec_lo, s7
	s_cbranch_execz .LBB100_973
; %bb.972:
	v_div_scale_f64 v[221:222], null, v[208:209], v[208:209], v[206:207]
	v_div_scale_f64 v[227:228], vcc_lo, v[206:207], v[208:209], v[206:207]
	v_rcp_f64_e32 v[223:224], v[221:222]
	v_fma_f64 v[225:226], -v[221:222], v[223:224], 1.0
	v_fma_f64 v[223:224], v[223:224], v[225:226], v[223:224]
	v_fma_f64 v[225:226], -v[221:222], v[223:224], 1.0
	v_fma_f64 v[223:224], v[223:224], v[225:226], v[223:224]
	v_mul_f64 v[225:226], v[227:228], v[223:224]
	v_fma_f64 v[221:222], -v[221:222], v[225:226], v[227:228]
	v_div_fmas_f64 v[221:222], v[221:222], v[223:224], v[225:226]
	v_div_fixup_f64 v[221:222], v[221:222], v[208:209], v[206:207]
	v_fma_f64 v[206:207], v[206:207], v[221:222], v[208:209]
	v_div_scale_f64 v[208:209], null, v[206:207], v[206:207], 1.0
	v_rcp_f64_e32 v[223:224], v[208:209]
	v_fma_f64 v[225:226], -v[208:209], v[223:224], 1.0
	v_fma_f64 v[223:224], v[223:224], v[225:226], v[223:224]
	v_fma_f64 v[225:226], -v[208:209], v[223:224], 1.0
	v_fma_f64 v[223:224], v[223:224], v[225:226], v[223:224]
	v_div_scale_f64 v[225:226], vcc_lo, 1.0, v[206:207], 1.0
	v_mul_f64 v[227:228], v[225:226], v[223:224]
	v_fma_f64 v[208:209], -v[208:209], v[227:228], v[225:226]
	v_div_fmas_f64 v[208:209], v[208:209], v[223:224], v[227:228]
	v_div_fixup_f64 v[208:209], v[208:209], v[206:207], 1.0
	v_mul_f64 v[206:207], v[221:222], v[208:209]
	v_xor_b32_e32 v209, 0x80000000, v209
.LBB100_973:
	s_andn2_saveexec_b32 s1, s1
	s_cbranch_execz .LBB100_975
; %bb.974:
	v_div_scale_f64 v[221:222], null, v[206:207], v[206:207], v[208:209]
	v_div_scale_f64 v[227:228], vcc_lo, v[208:209], v[206:207], v[208:209]
	v_rcp_f64_e32 v[223:224], v[221:222]
	v_fma_f64 v[225:226], -v[221:222], v[223:224], 1.0
	v_fma_f64 v[223:224], v[223:224], v[225:226], v[223:224]
	v_fma_f64 v[225:226], -v[221:222], v[223:224], 1.0
	v_fma_f64 v[223:224], v[223:224], v[225:226], v[223:224]
	v_mul_f64 v[225:226], v[227:228], v[223:224]
	v_fma_f64 v[221:222], -v[221:222], v[225:226], v[227:228]
	v_div_fmas_f64 v[221:222], v[221:222], v[223:224], v[225:226]
	v_div_fixup_f64 v[221:222], v[221:222], v[206:207], v[208:209]
	v_fma_f64 v[206:207], v[208:209], v[221:222], v[206:207]
	v_div_scale_f64 v[208:209], null, v[206:207], v[206:207], 1.0
	v_rcp_f64_e32 v[223:224], v[208:209]
	v_fma_f64 v[225:226], -v[208:209], v[223:224], 1.0
	v_fma_f64 v[223:224], v[223:224], v[225:226], v[223:224]
	v_fma_f64 v[225:226], -v[208:209], v[223:224], 1.0
	v_fma_f64 v[223:224], v[223:224], v[225:226], v[223:224]
	v_div_scale_f64 v[225:226], vcc_lo, 1.0, v[206:207], 1.0
	v_mul_f64 v[227:228], v[225:226], v[223:224]
	v_fma_f64 v[208:209], -v[208:209], v[227:228], v[225:226]
	v_div_fmas_f64 v[208:209], v[208:209], v[223:224], v[227:228]
	v_div_fixup_f64 v[206:207], v[208:209], v[206:207], 1.0
	v_mul_f64 v[208:209], v[221:222], -v[206:207]
.LBB100_975:
	s_or_b32 exec_lo, exec_lo, s1
.LBB100_976:
	s_or_b32 exec_lo, exec_lo, s0
	s_mov_b32 s0, exec_lo
	v_cmpx_ne_u32_e64 v220, v214
	s_xor_b32 s0, exec_lo, s0
	s_cbranch_execz .LBB100_982
; %bb.977:
	s_mov_b32 s1, exec_lo
	v_cmpx_eq_u32_e32 46, v220
	s_cbranch_execz .LBB100_981
; %bb.978:
	v_cmp_ne_u32_e32 vcc_lo, 46, v214
	s_xor_b32 s7, s16, -1
	s_and_b32 s9, s7, vcc_lo
	s_and_saveexec_b32 s7, s9
	s_cbranch_execz .LBB100_980
; %bb.979:
	v_ashrrev_i32_e32 v215, 31, v214
	v_lshlrev_b64 v[220:221], 2, v[214:215]
	v_add_co_u32 v220, vcc_lo, v212, v220
	v_add_co_ci_u32_e64 v221, null, v213, v221, vcc_lo
	s_clause 0x1
	global_load_dword v0, v[220:221], off
	global_load_dword v215, v[212:213], off offset:184
	s_waitcnt vmcnt(1)
	global_store_dword v[212:213], v0, off offset:184
	s_waitcnt vmcnt(0)
	global_store_dword v[220:221], v215, off
.LBB100_980:
	s_or_b32 exec_lo, exec_lo, s7
	v_mov_b32_e32 v220, v214
	v_mov_b32_e32 v0, v214
.LBB100_981:
	s_or_b32 exec_lo, exec_lo, s1
.LBB100_982:
	s_andn2_saveexec_b32 s0, s0
	s_cbranch_execz .LBB100_984
; %bb.983:
	v_mov_b32_e32 v220, 46
	ds_write2_b64 v1, v[14:15], v[16:17] offset0:94 offset1:95
	ds_write2_b64 v1, v[10:11], v[12:13] offset0:96 offset1:97
	;; [unrolled: 1-line block ×4, first 2 shown]
.LBB100_984:
	s_or_b32 exec_lo, exec_lo, s0
	s_mov_b32 s0, exec_lo
	s_waitcnt lgkmcnt(0)
	s_waitcnt_vscnt null, 0x0
	s_barrier
	buffer_gl0_inv
	v_cmpx_lt_i32_e32 46, v220
	s_cbranch_execz .LBB100_986
; %bb.985:
	v_mul_f64 v[214:215], v[206:207], v[20:21]
	v_mul_f64 v[20:21], v[208:209], v[20:21]
	ds_read2_b64 v[221:224], v1 offset0:94 offset1:95
	ds_read2_b64 v[225:228], v1 offset0:96 offset1:97
	;; [unrolled: 1-line block ×4, first 2 shown]
	v_fma_f64 v[208:209], v[208:209], v[18:19], v[214:215]
	v_fma_f64 v[18:19], v[206:207], v[18:19], -v[20:21]
	s_waitcnt lgkmcnt(3)
	v_mul_f64 v[20:21], v[223:224], v[208:209]
	v_mul_f64 v[206:207], v[221:222], v[208:209]
	s_waitcnt lgkmcnt(2)
	v_mul_f64 v[214:215], v[227:228], v[208:209]
	v_mul_f64 v[237:238], v[225:226], v[208:209]
	s_waitcnt lgkmcnt(1)
	v_mul_f64 v[239:240], v[231:232], v[208:209]
	v_mul_f64 v[241:242], v[229:230], v[208:209]
	s_waitcnt lgkmcnt(0)
	v_mul_f64 v[243:244], v[235:236], v[208:209]
	v_mul_f64 v[245:246], v[233:234], v[208:209]
	v_fma_f64 v[20:21], v[221:222], v[18:19], -v[20:21]
	v_fma_f64 v[206:207], v[223:224], v[18:19], v[206:207]
	v_fma_f64 v[214:215], v[225:226], v[18:19], -v[214:215]
	v_fma_f64 v[221:222], v[227:228], v[18:19], v[237:238]
	;; [unrolled: 2-line block ×4, first 2 shown]
	v_add_f64 v[14:15], v[14:15], -v[20:21]
	v_add_f64 v[16:17], v[16:17], -v[206:207]
	;; [unrolled: 1-line block ×8, first 2 shown]
	v_mov_b32_e32 v20, v208
	v_mov_b32_e32 v21, v209
.LBB100_986:
	s_or_b32 exec_lo, exec_lo, s0
	v_lshl_add_u32 v206, v220, 4, v1
	s_barrier
	buffer_gl0_inv
	v_mov_b32_e32 v214, 47
	ds_write2_b64 v206, v[14:15], v[16:17] offset1:1
	s_waitcnt lgkmcnt(0)
	s_barrier
	buffer_gl0_inv
	ds_read2_b64 v[206:209], v1 offset0:94 offset1:95
	s_cmp_lt_i32 s8, 49
	s_cbranch_scc1 .LBB100_989
; %bb.987:
	v_add3_u32 v215, v216, 0, 0x300
	v_mov_b32_e32 v214, 47
	s_mov_b32 s1, 48
	s_inst_prefetch 0x1
	.p2align	6
.LBB100_988:                            ; =>This Inner Loop Header: Depth=1
	s_waitcnt lgkmcnt(0)
	v_cmp_gt_f64_e32 vcc_lo, 0, v[208:209]
	v_cmp_gt_f64_e64 s0, 0, v[206:207]
	ds_read2_b64 v[221:224], v215 offset1:1
	v_xor_b32_e32 v226, 0x80000000, v207
	v_xor_b32_e32 v228, 0x80000000, v209
	v_mov_b32_e32 v225, v206
	v_mov_b32_e32 v227, v208
	v_add_nc_u32_e32 v215, 16, v215
	s_waitcnt lgkmcnt(0)
	v_xor_b32_e32 v230, 0x80000000, v224
	v_cndmask_b32_e64 v226, v207, v226, s0
	v_cndmask_b32_e32 v228, v209, v228, vcc_lo
	v_cmp_gt_f64_e32 vcc_lo, 0, v[223:224]
	v_cmp_gt_f64_e64 s0, 0, v[221:222]
	v_mov_b32_e32 v229, v223
	v_add_f64 v[225:226], v[225:226], v[227:228]
	v_xor_b32_e32 v228, 0x80000000, v222
	v_mov_b32_e32 v227, v221
	v_cndmask_b32_e32 v230, v224, v230, vcc_lo
	v_cndmask_b32_e64 v228, v222, v228, s0
	v_add_f64 v[227:228], v[227:228], v[229:230]
	v_cmp_lt_f64_e32 vcc_lo, v[225:226], v[227:228]
	v_cndmask_b32_e32 v207, v207, v222, vcc_lo
	v_cndmask_b32_e32 v206, v206, v221, vcc_lo
	;; [unrolled: 1-line block ×4, first 2 shown]
	v_cndmask_b32_e64 v214, v214, s1, vcc_lo
	s_add_i32 s1, s1, 1
	s_cmp_lg_u32 s8, s1
	s_cbranch_scc1 .LBB100_988
.LBB100_989:
	s_inst_prefetch 0x2
	s_waitcnt lgkmcnt(0)
	v_cmp_eq_f64_e32 vcc_lo, 0, v[206:207]
	v_cmp_eq_f64_e64 s0, 0, v[208:209]
	s_and_b32 s0, vcc_lo, s0
	s_and_saveexec_b32 s1, s0
	s_xor_b32 s0, exec_lo, s1
; %bb.990:
	v_cmp_ne_u32_e32 vcc_lo, 0, v219
	v_cndmask_b32_e32 v219, 48, v219, vcc_lo
; %bb.991:
	s_andn2_saveexec_b32 s0, s0
	s_cbranch_execz .LBB100_997
; %bb.992:
	v_cmp_ngt_f64_e64 s1, |v[206:207]|, |v[208:209]|
	s_and_saveexec_b32 s7, s1
	s_xor_b32 s1, exec_lo, s7
	s_cbranch_execz .LBB100_994
; %bb.993:
	v_div_scale_f64 v[221:222], null, v[208:209], v[208:209], v[206:207]
	v_div_scale_f64 v[227:228], vcc_lo, v[206:207], v[208:209], v[206:207]
	v_rcp_f64_e32 v[223:224], v[221:222]
	v_fma_f64 v[225:226], -v[221:222], v[223:224], 1.0
	v_fma_f64 v[223:224], v[223:224], v[225:226], v[223:224]
	v_fma_f64 v[225:226], -v[221:222], v[223:224], 1.0
	v_fma_f64 v[223:224], v[223:224], v[225:226], v[223:224]
	v_mul_f64 v[225:226], v[227:228], v[223:224]
	v_fma_f64 v[221:222], -v[221:222], v[225:226], v[227:228]
	v_div_fmas_f64 v[221:222], v[221:222], v[223:224], v[225:226]
	v_div_fixup_f64 v[221:222], v[221:222], v[208:209], v[206:207]
	v_fma_f64 v[206:207], v[206:207], v[221:222], v[208:209]
	v_div_scale_f64 v[208:209], null, v[206:207], v[206:207], 1.0
	v_rcp_f64_e32 v[223:224], v[208:209]
	v_fma_f64 v[225:226], -v[208:209], v[223:224], 1.0
	v_fma_f64 v[223:224], v[223:224], v[225:226], v[223:224]
	v_fma_f64 v[225:226], -v[208:209], v[223:224], 1.0
	v_fma_f64 v[223:224], v[223:224], v[225:226], v[223:224]
	v_div_scale_f64 v[225:226], vcc_lo, 1.0, v[206:207], 1.0
	v_mul_f64 v[227:228], v[225:226], v[223:224]
	v_fma_f64 v[208:209], -v[208:209], v[227:228], v[225:226]
	v_div_fmas_f64 v[208:209], v[208:209], v[223:224], v[227:228]
	v_div_fixup_f64 v[208:209], v[208:209], v[206:207], 1.0
	v_mul_f64 v[206:207], v[221:222], v[208:209]
	v_xor_b32_e32 v209, 0x80000000, v209
.LBB100_994:
	s_andn2_saveexec_b32 s1, s1
	s_cbranch_execz .LBB100_996
; %bb.995:
	v_div_scale_f64 v[221:222], null, v[206:207], v[206:207], v[208:209]
	v_div_scale_f64 v[227:228], vcc_lo, v[208:209], v[206:207], v[208:209]
	v_rcp_f64_e32 v[223:224], v[221:222]
	v_fma_f64 v[225:226], -v[221:222], v[223:224], 1.0
	v_fma_f64 v[223:224], v[223:224], v[225:226], v[223:224]
	v_fma_f64 v[225:226], -v[221:222], v[223:224], 1.0
	v_fma_f64 v[223:224], v[223:224], v[225:226], v[223:224]
	v_mul_f64 v[225:226], v[227:228], v[223:224]
	v_fma_f64 v[221:222], -v[221:222], v[225:226], v[227:228]
	v_div_fmas_f64 v[221:222], v[221:222], v[223:224], v[225:226]
	v_div_fixup_f64 v[221:222], v[221:222], v[206:207], v[208:209]
	v_fma_f64 v[206:207], v[208:209], v[221:222], v[206:207]
	v_div_scale_f64 v[208:209], null, v[206:207], v[206:207], 1.0
	v_rcp_f64_e32 v[223:224], v[208:209]
	v_fma_f64 v[225:226], -v[208:209], v[223:224], 1.0
	v_fma_f64 v[223:224], v[223:224], v[225:226], v[223:224]
	v_fma_f64 v[225:226], -v[208:209], v[223:224], 1.0
	v_fma_f64 v[223:224], v[223:224], v[225:226], v[223:224]
	v_div_scale_f64 v[225:226], vcc_lo, 1.0, v[206:207], 1.0
	v_mul_f64 v[227:228], v[225:226], v[223:224]
	v_fma_f64 v[208:209], -v[208:209], v[227:228], v[225:226]
	v_div_fmas_f64 v[208:209], v[208:209], v[223:224], v[227:228]
	v_div_fixup_f64 v[206:207], v[208:209], v[206:207], 1.0
	v_mul_f64 v[208:209], v[221:222], -v[206:207]
.LBB100_996:
	s_or_b32 exec_lo, exec_lo, s1
.LBB100_997:
	s_or_b32 exec_lo, exec_lo, s0
	s_mov_b32 s0, exec_lo
	v_cmpx_ne_u32_e64 v220, v214
	s_xor_b32 s0, exec_lo, s0
	s_cbranch_execz .LBB100_1003
; %bb.998:
	s_mov_b32 s1, exec_lo
	v_cmpx_eq_u32_e32 47, v220
	s_cbranch_execz .LBB100_1002
; %bb.999:
	v_cmp_ne_u32_e32 vcc_lo, 47, v214
	s_xor_b32 s7, s16, -1
	s_and_b32 s9, s7, vcc_lo
	s_and_saveexec_b32 s7, s9
	s_cbranch_execz .LBB100_1001
; %bb.1000:
	v_ashrrev_i32_e32 v215, 31, v214
	v_lshlrev_b64 v[220:221], 2, v[214:215]
	v_add_co_u32 v220, vcc_lo, v212, v220
	v_add_co_ci_u32_e64 v221, null, v213, v221, vcc_lo
	s_clause 0x1
	global_load_dword v0, v[220:221], off
	global_load_dword v215, v[212:213], off offset:188
	s_waitcnt vmcnt(1)
	global_store_dword v[212:213], v0, off offset:188
	s_waitcnt vmcnt(0)
	global_store_dword v[220:221], v215, off
.LBB100_1001:
	s_or_b32 exec_lo, exec_lo, s7
	v_mov_b32_e32 v220, v214
	v_mov_b32_e32 v0, v214
.LBB100_1002:
	s_or_b32 exec_lo, exec_lo, s1
.LBB100_1003:
	s_andn2_saveexec_b32 s0, s0
	s_cbranch_execz .LBB100_1005
; %bb.1004:
	v_mov_b32_e32 v220, 47
	ds_write2_b64 v1, v[10:11], v[12:13] offset0:96 offset1:97
	ds_write2_b64 v1, v[6:7], v[8:9] offset0:98 offset1:99
	;; [unrolled: 1-line block ×3, first 2 shown]
.LBB100_1005:
	s_or_b32 exec_lo, exec_lo, s0
	s_mov_b32 s0, exec_lo
	s_waitcnt lgkmcnt(0)
	s_waitcnt_vscnt null, 0x0
	s_barrier
	buffer_gl0_inv
	v_cmpx_lt_i32_e32 47, v220
	s_cbranch_execz .LBB100_1007
; %bb.1006:
	v_mul_f64 v[214:215], v[206:207], v[16:17]
	v_mul_f64 v[16:17], v[208:209], v[16:17]
	ds_read2_b64 v[221:224], v1 offset0:96 offset1:97
	ds_read2_b64 v[225:228], v1 offset0:98 offset1:99
	;; [unrolled: 1-line block ×3, first 2 shown]
	v_fma_f64 v[208:209], v[208:209], v[14:15], v[214:215]
	v_fma_f64 v[14:15], v[206:207], v[14:15], -v[16:17]
	s_waitcnt lgkmcnt(2)
	v_mul_f64 v[16:17], v[223:224], v[208:209]
	v_mul_f64 v[206:207], v[221:222], v[208:209]
	s_waitcnt lgkmcnt(1)
	v_mul_f64 v[214:215], v[227:228], v[208:209]
	v_mul_f64 v[233:234], v[225:226], v[208:209]
	;; [unrolled: 3-line block ×3, first 2 shown]
	v_fma_f64 v[16:17], v[221:222], v[14:15], -v[16:17]
	v_fma_f64 v[206:207], v[223:224], v[14:15], v[206:207]
	v_fma_f64 v[214:215], v[225:226], v[14:15], -v[214:215]
	v_fma_f64 v[221:222], v[227:228], v[14:15], v[233:234]
	;; [unrolled: 2-line block ×3, first 2 shown]
	v_add_f64 v[10:11], v[10:11], -v[16:17]
	v_add_f64 v[12:13], v[12:13], -v[206:207]
	;; [unrolled: 1-line block ×6, first 2 shown]
	v_mov_b32_e32 v16, v208
	v_mov_b32_e32 v17, v209
.LBB100_1007:
	s_or_b32 exec_lo, exec_lo, s0
	v_lshl_add_u32 v206, v220, 4, v1
	s_barrier
	buffer_gl0_inv
	v_mov_b32_e32 v214, 48
	ds_write2_b64 v206, v[10:11], v[12:13] offset1:1
	s_waitcnt lgkmcnt(0)
	s_barrier
	buffer_gl0_inv
	ds_read2_b64 v[206:209], v1 offset0:96 offset1:97
	s_cmp_lt_i32 s8, 50
	s_cbranch_scc1 .LBB100_1010
; %bb.1008:
	v_add3_u32 v215, v216, 0, 0x310
	v_mov_b32_e32 v214, 48
	s_mov_b32 s1, 49
	s_inst_prefetch 0x1
	.p2align	6
.LBB100_1009:                           ; =>This Inner Loop Header: Depth=1
	s_waitcnt lgkmcnt(0)
	v_cmp_gt_f64_e32 vcc_lo, 0, v[208:209]
	v_cmp_gt_f64_e64 s0, 0, v[206:207]
	ds_read2_b64 v[221:224], v215 offset1:1
	v_xor_b32_e32 v226, 0x80000000, v207
	v_xor_b32_e32 v228, 0x80000000, v209
	v_mov_b32_e32 v225, v206
	v_mov_b32_e32 v227, v208
	v_add_nc_u32_e32 v215, 16, v215
	s_waitcnt lgkmcnt(0)
	v_xor_b32_e32 v230, 0x80000000, v224
	v_cndmask_b32_e64 v226, v207, v226, s0
	v_cndmask_b32_e32 v228, v209, v228, vcc_lo
	v_cmp_gt_f64_e32 vcc_lo, 0, v[223:224]
	v_cmp_gt_f64_e64 s0, 0, v[221:222]
	v_mov_b32_e32 v229, v223
	v_add_f64 v[225:226], v[225:226], v[227:228]
	v_xor_b32_e32 v228, 0x80000000, v222
	v_mov_b32_e32 v227, v221
	v_cndmask_b32_e32 v230, v224, v230, vcc_lo
	v_cndmask_b32_e64 v228, v222, v228, s0
	v_add_f64 v[227:228], v[227:228], v[229:230]
	v_cmp_lt_f64_e32 vcc_lo, v[225:226], v[227:228]
	v_cndmask_b32_e32 v207, v207, v222, vcc_lo
	v_cndmask_b32_e32 v206, v206, v221, vcc_lo
	;; [unrolled: 1-line block ×4, first 2 shown]
	v_cndmask_b32_e64 v214, v214, s1, vcc_lo
	s_add_i32 s1, s1, 1
	s_cmp_lg_u32 s8, s1
	s_cbranch_scc1 .LBB100_1009
.LBB100_1010:
	s_inst_prefetch 0x2
	s_waitcnt lgkmcnt(0)
	v_cmp_eq_f64_e32 vcc_lo, 0, v[206:207]
	v_cmp_eq_f64_e64 s0, 0, v[208:209]
	s_and_b32 s0, vcc_lo, s0
	s_and_saveexec_b32 s1, s0
	s_xor_b32 s0, exec_lo, s1
; %bb.1011:
	v_cmp_ne_u32_e32 vcc_lo, 0, v219
	v_cndmask_b32_e32 v219, 49, v219, vcc_lo
; %bb.1012:
	s_andn2_saveexec_b32 s0, s0
	s_cbranch_execz .LBB100_1018
; %bb.1013:
	v_cmp_ngt_f64_e64 s1, |v[206:207]|, |v[208:209]|
	s_and_saveexec_b32 s7, s1
	s_xor_b32 s1, exec_lo, s7
	s_cbranch_execz .LBB100_1015
; %bb.1014:
	v_div_scale_f64 v[221:222], null, v[208:209], v[208:209], v[206:207]
	v_div_scale_f64 v[227:228], vcc_lo, v[206:207], v[208:209], v[206:207]
	v_rcp_f64_e32 v[223:224], v[221:222]
	v_fma_f64 v[225:226], -v[221:222], v[223:224], 1.0
	v_fma_f64 v[223:224], v[223:224], v[225:226], v[223:224]
	v_fma_f64 v[225:226], -v[221:222], v[223:224], 1.0
	v_fma_f64 v[223:224], v[223:224], v[225:226], v[223:224]
	v_mul_f64 v[225:226], v[227:228], v[223:224]
	v_fma_f64 v[221:222], -v[221:222], v[225:226], v[227:228]
	v_div_fmas_f64 v[221:222], v[221:222], v[223:224], v[225:226]
	v_div_fixup_f64 v[221:222], v[221:222], v[208:209], v[206:207]
	v_fma_f64 v[206:207], v[206:207], v[221:222], v[208:209]
	v_div_scale_f64 v[208:209], null, v[206:207], v[206:207], 1.0
	v_rcp_f64_e32 v[223:224], v[208:209]
	v_fma_f64 v[225:226], -v[208:209], v[223:224], 1.0
	v_fma_f64 v[223:224], v[223:224], v[225:226], v[223:224]
	v_fma_f64 v[225:226], -v[208:209], v[223:224], 1.0
	v_fma_f64 v[223:224], v[223:224], v[225:226], v[223:224]
	v_div_scale_f64 v[225:226], vcc_lo, 1.0, v[206:207], 1.0
	v_mul_f64 v[227:228], v[225:226], v[223:224]
	v_fma_f64 v[208:209], -v[208:209], v[227:228], v[225:226]
	v_div_fmas_f64 v[208:209], v[208:209], v[223:224], v[227:228]
	v_div_fixup_f64 v[208:209], v[208:209], v[206:207], 1.0
	v_mul_f64 v[206:207], v[221:222], v[208:209]
	v_xor_b32_e32 v209, 0x80000000, v209
.LBB100_1015:
	s_andn2_saveexec_b32 s1, s1
	s_cbranch_execz .LBB100_1017
; %bb.1016:
	v_div_scale_f64 v[221:222], null, v[206:207], v[206:207], v[208:209]
	v_div_scale_f64 v[227:228], vcc_lo, v[208:209], v[206:207], v[208:209]
	v_rcp_f64_e32 v[223:224], v[221:222]
	v_fma_f64 v[225:226], -v[221:222], v[223:224], 1.0
	v_fma_f64 v[223:224], v[223:224], v[225:226], v[223:224]
	v_fma_f64 v[225:226], -v[221:222], v[223:224], 1.0
	v_fma_f64 v[223:224], v[223:224], v[225:226], v[223:224]
	v_mul_f64 v[225:226], v[227:228], v[223:224]
	v_fma_f64 v[221:222], -v[221:222], v[225:226], v[227:228]
	v_div_fmas_f64 v[221:222], v[221:222], v[223:224], v[225:226]
	v_div_fixup_f64 v[221:222], v[221:222], v[206:207], v[208:209]
	v_fma_f64 v[206:207], v[208:209], v[221:222], v[206:207]
	v_div_scale_f64 v[208:209], null, v[206:207], v[206:207], 1.0
	v_rcp_f64_e32 v[223:224], v[208:209]
	v_fma_f64 v[225:226], -v[208:209], v[223:224], 1.0
	v_fma_f64 v[223:224], v[223:224], v[225:226], v[223:224]
	v_fma_f64 v[225:226], -v[208:209], v[223:224], 1.0
	v_fma_f64 v[223:224], v[223:224], v[225:226], v[223:224]
	v_div_scale_f64 v[225:226], vcc_lo, 1.0, v[206:207], 1.0
	v_mul_f64 v[227:228], v[225:226], v[223:224]
	v_fma_f64 v[208:209], -v[208:209], v[227:228], v[225:226]
	v_div_fmas_f64 v[208:209], v[208:209], v[223:224], v[227:228]
	v_div_fixup_f64 v[206:207], v[208:209], v[206:207], 1.0
	v_mul_f64 v[208:209], v[221:222], -v[206:207]
.LBB100_1017:
	s_or_b32 exec_lo, exec_lo, s1
.LBB100_1018:
	s_or_b32 exec_lo, exec_lo, s0
	s_mov_b32 s0, exec_lo
	v_cmpx_ne_u32_e64 v220, v214
	s_xor_b32 s0, exec_lo, s0
	s_cbranch_execz .LBB100_1024
; %bb.1019:
	s_mov_b32 s1, exec_lo
	v_cmpx_eq_u32_e32 48, v220
	s_cbranch_execz .LBB100_1023
; %bb.1020:
	v_cmp_ne_u32_e32 vcc_lo, 48, v214
	s_xor_b32 s7, s16, -1
	s_and_b32 s9, s7, vcc_lo
	s_and_saveexec_b32 s7, s9
	s_cbranch_execz .LBB100_1022
; %bb.1021:
	v_ashrrev_i32_e32 v215, 31, v214
	v_lshlrev_b64 v[220:221], 2, v[214:215]
	v_add_co_u32 v220, vcc_lo, v212, v220
	v_add_co_ci_u32_e64 v221, null, v213, v221, vcc_lo
	s_clause 0x1
	global_load_dword v0, v[220:221], off
	global_load_dword v215, v[212:213], off offset:192
	s_waitcnt vmcnt(1)
	global_store_dword v[212:213], v0, off offset:192
	s_waitcnt vmcnt(0)
	global_store_dword v[220:221], v215, off
.LBB100_1022:
	s_or_b32 exec_lo, exec_lo, s7
	v_mov_b32_e32 v220, v214
	v_mov_b32_e32 v0, v214
.LBB100_1023:
	s_or_b32 exec_lo, exec_lo, s1
.LBB100_1024:
	s_andn2_saveexec_b32 s0, s0
	s_cbranch_execz .LBB100_1026
; %bb.1025:
	v_mov_b32_e32 v220, 48
	ds_write2_b64 v1, v[6:7], v[8:9] offset0:98 offset1:99
	ds_write2_b64 v1, v[2:3], v[4:5] offset0:100 offset1:101
.LBB100_1026:
	s_or_b32 exec_lo, exec_lo, s0
	s_mov_b32 s0, exec_lo
	s_waitcnt lgkmcnt(0)
	s_waitcnt_vscnt null, 0x0
	s_barrier
	buffer_gl0_inv
	v_cmpx_lt_i32_e32 48, v220
	s_cbranch_execz .LBB100_1028
; %bb.1027:
	v_mul_f64 v[214:215], v[206:207], v[12:13]
	v_mul_f64 v[12:13], v[208:209], v[12:13]
	ds_read2_b64 v[221:224], v1 offset0:98 offset1:99
	ds_read2_b64 v[225:228], v1 offset0:100 offset1:101
	v_fma_f64 v[208:209], v[208:209], v[10:11], v[214:215]
	v_fma_f64 v[10:11], v[206:207], v[10:11], -v[12:13]
	s_waitcnt lgkmcnt(1)
	v_mul_f64 v[12:13], v[223:224], v[208:209]
	v_mul_f64 v[206:207], v[221:222], v[208:209]
	s_waitcnt lgkmcnt(0)
	v_mul_f64 v[214:215], v[227:228], v[208:209]
	v_mul_f64 v[229:230], v[225:226], v[208:209]
	v_fma_f64 v[12:13], v[221:222], v[10:11], -v[12:13]
	v_fma_f64 v[206:207], v[223:224], v[10:11], v[206:207]
	v_fma_f64 v[214:215], v[225:226], v[10:11], -v[214:215]
	v_fma_f64 v[221:222], v[227:228], v[10:11], v[229:230]
	v_add_f64 v[6:7], v[6:7], -v[12:13]
	v_add_f64 v[8:9], v[8:9], -v[206:207]
	;; [unrolled: 1-line block ×4, first 2 shown]
	v_mov_b32_e32 v12, v208
	v_mov_b32_e32 v13, v209
.LBB100_1028:
	s_or_b32 exec_lo, exec_lo, s0
	v_lshl_add_u32 v206, v220, 4, v1
	s_barrier
	buffer_gl0_inv
	v_mov_b32_e32 v214, 49
	ds_write2_b64 v206, v[6:7], v[8:9] offset1:1
	s_waitcnt lgkmcnt(0)
	s_barrier
	buffer_gl0_inv
	ds_read2_b64 v[206:209], v1 offset0:98 offset1:99
	s_cmp_lt_i32 s8, 51
	s_cbranch_scc1 .LBB100_1031
; %bb.1029:
	v_add3_u32 v215, v216, 0, 0x320
	v_mov_b32_e32 v214, 49
	s_mov_b32 s1, 50
	s_inst_prefetch 0x1
	.p2align	6
.LBB100_1030:                           ; =>This Inner Loop Header: Depth=1
	s_waitcnt lgkmcnt(0)
	v_cmp_gt_f64_e32 vcc_lo, 0, v[208:209]
	v_cmp_gt_f64_e64 s0, 0, v[206:207]
	ds_read2_b64 v[221:224], v215 offset1:1
	v_xor_b32_e32 v226, 0x80000000, v207
	v_xor_b32_e32 v228, 0x80000000, v209
	v_mov_b32_e32 v225, v206
	v_mov_b32_e32 v227, v208
	v_add_nc_u32_e32 v215, 16, v215
	s_waitcnt lgkmcnt(0)
	v_xor_b32_e32 v230, 0x80000000, v224
	v_cndmask_b32_e64 v226, v207, v226, s0
	v_cndmask_b32_e32 v228, v209, v228, vcc_lo
	v_cmp_gt_f64_e32 vcc_lo, 0, v[223:224]
	v_cmp_gt_f64_e64 s0, 0, v[221:222]
	v_mov_b32_e32 v229, v223
	v_add_f64 v[225:226], v[225:226], v[227:228]
	v_xor_b32_e32 v228, 0x80000000, v222
	v_mov_b32_e32 v227, v221
	v_cndmask_b32_e32 v230, v224, v230, vcc_lo
	v_cndmask_b32_e64 v228, v222, v228, s0
	v_add_f64 v[227:228], v[227:228], v[229:230]
	v_cmp_lt_f64_e32 vcc_lo, v[225:226], v[227:228]
	v_cndmask_b32_e32 v207, v207, v222, vcc_lo
	v_cndmask_b32_e32 v206, v206, v221, vcc_lo
	;; [unrolled: 1-line block ×4, first 2 shown]
	v_cndmask_b32_e64 v214, v214, s1, vcc_lo
	s_add_i32 s1, s1, 1
	s_cmp_lg_u32 s8, s1
	s_cbranch_scc1 .LBB100_1030
.LBB100_1031:
	s_inst_prefetch 0x2
	s_waitcnt lgkmcnt(0)
	v_cmp_eq_f64_e32 vcc_lo, 0, v[206:207]
	v_cmp_eq_f64_e64 s0, 0, v[208:209]
	s_and_b32 s0, vcc_lo, s0
	s_and_saveexec_b32 s1, s0
	s_xor_b32 s0, exec_lo, s1
; %bb.1032:
	v_cmp_ne_u32_e32 vcc_lo, 0, v219
	v_cndmask_b32_e32 v219, 50, v219, vcc_lo
; %bb.1033:
	s_andn2_saveexec_b32 s0, s0
	s_cbranch_execz .LBB100_1039
; %bb.1034:
	v_cmp_ngt_f64_e64 s1, |v[206:207]|, |v[208:209]|
	s_and_saveexec_b32 s7, s1
	s_xor_b32 s1, exec_lo, s7
	s_cbranch_execz .LBB100_1036
; %bb.1035:
	v_div_scale_f64 v[221:222], null, v[208:209], v[208:209], v[206:207]
	v_div_scale_f64 v[227:228], vcc_lo, v[206:207], v[208:209], v[206:207]
	v_rcp_f64_e32 v[223:224], v[221:222]
	v_fma_f64 v[225:226], -v[221:222], v[223:224], 1.0
	v_fma_f64 v[223:224], v[223:224], v[225:226], v[223:224]
	v_fma_f64 v[225:226], -v[221:222], v[223:224], 1.0
	v_fma_f64 v[223:224], v[223:224], v[225:226], v[223:224]
	v_mul_f64 v[225:226], v[227:228], v[223:224]
	v_fma_f64 v[221:222], -v[221:222], v[225:226], v[227:228]
	v_div_fmas_f64 v[221:222], v[221:222], v[223:224], v[225:226]
	v_div_fixup_f64 v[221:222], v[221:222], v[208:209], v[206:207]
	v_fma_f64 v[206:207], v[206:207], v[221:222], v[208:209]
	v_div_scale_f64 v[208:209], null, v[206:207], v[206:207], 1.0
	v_rcp_f64_e32 v[223:224], v[208:209]
	v_fma_f64 v[225:226], -v[208:209], v[223:224], 1.0
	v_fma_f64 v[223:224], v[223:224], v[225:226], v[223:224]
	v_fma_f64 v[225:226], -v[208:209], v[223:224], 1.0
	v_fma_f64 v[223:224], v[223:224], v[225:226], v[223:224]
	v_div_scale_f64 v[225:226], vcc_lo, 1.0, v[206:207], 1.0
	v_mul_f64 v[227:228], v[225:226], v[223:224]
	v_fma_f64 v[208:209], -v[208:209], v[227:228], v[225:226]
	v_div_fmas_f64 v[208:209], v[208:209], v[223:224], v[227:228]
	v_div_fixup_f64 v[208:209], v[208:209], v[206:207], 1.0
	v_mul_f64 v[206:207], v[221:222], v[208:209]
	v_xor_b32_e32 v209, 0x80000000, v209
.LBB100_1036:
	s_andn2_saveexec_b32 s1, s1
	s_cbranch_execz .LBB100_1038
; %bb.1037:
	v_div_scale_f64 v[221:222], null, v[206:207], v[206:207], v[208:209]
	v_div_scale_f64 v[227:228], vcc_lo, v[208:209], v[206:207], v[208:209]
	v_rcp_f64_e32 v[223:224], v[221:222]
	v_fma_f64 v[225:226], -v[221:222], v[223:224], 1.0
	v_fma_f64 v[223:224], v[223:224], v[225:226], v[223:224]
	v_fma_f64 v[225:226], -v[221:222], v[223:224], 1.0
	v_fma_f64 v[223:224], v[223:224], v[225:226], v[223:224]
	v_mul_f64 v[225:226], v[227:228], v[223:224]
	v_fma_f64 v[221:222], -v[221:222], v[225:226], v[227:228]
	v_div_fmas_f64 v[221:222], v[221:222], v[223:224], v[225:226]
	v_div_fixup_f64 v[221:222], v[221:222], v[206:207], v[208:209]
	v_fma_f64 v[206:207], v[208:209], v[221:222], v[206:207]
	v_div_scale_f64 v[208:209], null, v[206:207], v[206:207], 1.0
	v_rcp_f64_e32 v[223:224], v[208:209]
	v_fma_f64 v[225:226], -v[208:209], v[223:224], 1.0
	v_fma_f64 v[223:224], v[223:224], v[225:226], v[223:224]
	v_fma_f64 v[225:226], -v[208:209], v[223:224], 1.0
	v_fma_f64 v[223:224], v[223:224], v[225:226], v[223:224]
	v_div_scale_f64 v[225:226], vcc_lo, 1.0, v[206:207], 1.0
	v_mul_f64 v[227:228], v[225:226], v[223:224]
	v_fma_f64 v[208:209], -v[208:209], v[227:228], v[225:226]
	v_div_fmas_f64 v[208:209], v[208:209], v[223:224], v[227:228]
	v_div_fixup_f64 v[206:207], v[208:209], v[206:207], 1.0
	v_mul_f64 v[208:209], v[221:222], -v[206:207]
.LBB100_1038:
	s_or_b32 exec_lo, exec_lo, s1
.LBB100_1039:
	s_or_b32 exec_lo, exec_lo, s0
	s_mov_b32 s0, exec_lo
	v_cmpx_ne_u32_e64 v220, v214
	s_xor_b32 s0, exec_lo, s0
	s_cbranch_execz .LBB100_1045
; %bb.1040:
	s_mov_b32 s1, exec_lo
	v_cmpx_eq_u32_e32 49, v220
	s_cbranch_execz .LBB100_1044
; %bb.1041:
	v_cmp_ne_u32_e32 vcc_lo, 49, v214
	s_xor_b32 s7, s16, -1
	s_and_b32 s9, s7, vcc_lo
	s_and_saveexec_b32 s7, s9
	s_cbranch_execz .LBB100_1043
; %bb.1042:
	v_ashrrev_i32_e32 v215, 31, v214
	v_lshlrev_b64 v[220:221], 2, v[214:215]
	v_add_co_u32 v220, vcc_lo, v212, v220
	v_add_co_ci_u32_e64 v221, null, v213, v221, vcc_lo
	s_clause 0x1
	global_load_dword v0, v[220:221], off
	global_load_dword v215, v[212:213], off offset:196
	s_waitcnt vmcnt(1)
	global_store_dword v[212:213], v0, off offset:196
	s_waitcnt vmcnt(0)
	global_store_dword v[220:221], v215, off
.LBB100_1043:
	s_or_b32 exec_lo, exec_lo, s7
	v_mov_b32_e32 v220, v214
	v_mov_b32_e32 v0, v214
.LBB100_1044:
	s_or_b32 exec_lo, exec_lo, s1
.LBB100_1045:
	s_andn2_saveexec_b32 s0, s0
; %bb.1046:
	v_mov_b32_e32 v220, 49
	ds_write2_b64 v1, v[2:3], v[4:5] offset0:100 offset1:101
; %bb.1047:
	s_or_b32 exec_lo, exec_lo, s0
	s_mov_b32 s0, exec_lo
	s_waitcnt lgkmcnt(0)
	s_waitcnt_vscnt null, 0x0
	s_barrier
	buffer_gl0_inv
	v_cmpx_lt_i32_e32 49, v220
	s_cbranch_execz .LBB100_1049
; %bb.1048:
	v_mul_f64 v[214:215], v[206:207], v[8:9]
	v_mul_f64 v[8:9], v[208:209], v[8:9]
	ds_read2_b64 v[221:224], v1 offset0:100 offset1:101
	v_fma_f64 v[208:209], v[208:209], v[6:7], v[214:215]
	v_fma_f64 v[6:7], v[206:207], v[6:7], -v[8:9]
	s_waitcnt lgkmcnt(0)
	v_mul_f64 v[8:9], v[223:224], v[208:209]
	v_mul_f64 v[206:207], v[221:222], v[208:209]
	v_fma_f64 v[8:9], v[221:222], v[6:7], -v[8:9]
	v_fma_f64 v[206:207], v[223:224], v[6:7], v[206:207]
	v_add_f64 v[2:3], v[2:3], -v[8:9]
	v_add_f64 v[4:5], v[4:5], -v[206:207]
	v_mov_b32_e32 v8, v208
	v_mov_b32_e32 v9, v209
.LBB100_1049:
	s_or_b32 exec_lo, exec_lo, s0
	v_lshl_add_u32 v206, v220, 4, v1
	s_barrier
	buffer_gl0_inv
	v_mov_b32_e32 v214, 50
	ds_write2_b64 v206, v[2:3], v[4:5] offset1:1
	s_waitcnt lgkmcnt(0)
	s_barrier
	buffer_gl0_inv
	ds_read2_b64 v[206:209], v1 offset0:100 offset1:101
	s_cmp_lt_i32 s8, 52
	s_cbranch_scc1 .LBB100_1052
; %bb.1050:
	v_add3_u32 v1, v216, 0, 0x330
	v_mov_b32_e32 v214, 50
	s_mov_b32 s1, 51
	s_inst_prefetch 0x1
	.p2align	6
.LBB100_1051:                           ; =>This Inner Loop Header: Depth=1
	s_waitcnt lgkmcnt(0)
	v_cmp_gt_f64_e32 vcc_lo, 0, v[208:209]
	v_cmp_gt_f64_e64 s0, 0, v[206:207]
	ds_read2_b64 v[221:224], v1 offset1:1
	v_xor_b32_e32 v216, 0x80000000, v207
	v_xor_b32_e32 v226, 0x80000000, v209
	v_mov_b32_e32 v215, v206
	v_mov_b32_e32 v225, v208
	v_add_nc_u32_e32 v1, 16, v1
	s_waitcnt lgkmcnt(0)
	v_xor_b32_e32 v228, 0x80000000, v224
	v_cndmask_b32_e64 v216, v207, v216, s0
	v_cndmask_b32_e32 v226, v209, v226, vcc_lo
	v_cmp_gt_f64_e32 vcc_lo, 0, v[223:224]
	v_cmp_gt_f64_e64 s0, 0, v[221:222]
	v_mov_b32_e32 v227, v223
	v_add_f64 v[215:216], v[215:216], v[225:226]
	v_xor_b32_e32 v226, 0x80000000, v222
	v_mov_b32_e32 v225, v221
	v_cndmask_b32_e32 v228, v224, v228, vcc_lo
	v_cndmask_b32_e64 v226, v222, v226, s0
	v_add_f64 v[225:226], v[225:226], v[227:228]
	v_cmp_lt_f64_e32 vcc_lo, v[215:216], v[225:226]
	v_cndmask_b32_e32 v207, v207, v222, vcc_lo
	v_cndmask_b32_e32 v206, v206, v221, vcc_lo
	v_cndmask_b32_e32 v209, v209, v224, vcc_lo
	v_cndmask_b32_e32 v208, v208, v223, vcc_lo
	v_cndmask_b32_e64 v214, v214, s1, vcc_lo
	s_add_i32 s1, s1, 1
	s_cmp_lg_u32 s8, s1
	s_cbranch_scc1 .LBB100_1051
.LBB100_1052:
	s_inst_prefetch 0x2
	s_waitcnt lgkmcnt(0)
	v_cmp_eq_f64_e32 vcc_lo, 0, v[206:207]
	v_cmp_eq_f64_e64 s0, 0, v[208:209]
	s_and_b32 s0, vcc_lo, s0
	s_and_saveexec_b32 s1, s0
	s_xor_b32 s0, exec_lo, s1
; %bb.1053:
	v_cmp_ne_u32_e32 vcc_lo, 0, v219
	v_cndmask_b32_e32 v219, 51, v219, vcc_lo
; %bb.1054:
	s_andn2_saveexec_b32 s0, s0
	s_cbranch_execz .LBB100_1060
; %bb.1055:
	v_cmp_ngt_f64_e64 s1, |v[206:207]|, |v[208:209]|
	s_and_saveexec_b32 s7, s1
	s_xor_b32 s1, exec_lo, s7
	s_cbranch_execz .LBB100_1057
; %bb.1056:
	v_div_scale_f64 v[215:216], null, v[208:209], v[208:209], v[206:207]
	v_div_scale_f64 v[225:226], vcc_lo, v[206:207], v[208:209], v[206:207]
	v_rcp_f64_e32 v[221:222], v[215:216]
	v_fma_f64 v[223:224], -v[215:216], v[221:222], 1.0
	v_fma_f64 v[221:222], v[221:222], v[223:224], v[221:222]
	v_fma_f64 v[223:224], -v[215:216], v[221:222], 1.0
	v_fma_f64 v[221:222], v[221:222], v[223:224], v[221:222]
	v_mul_f64 v[223:224], v[225:226], v[221:222]
	v_fma_f64 v[215:216], -v[215:216], v[223:224], v[225:226]
	v_div_fmas_f64 v[215:216], v[215:216], v[221:222], v[223:224]
	v_div_fixup_f64 v[215:216], v[215:216], v[208:209], v[206:207]
	v_fma_f64 v[206:207], v[206:207], v[215:216], v[208:209]
	v_div_scale_f64 v[208:209], null, v[206:207], v[206:207], 1.0
	v_rcp_f64_e32 v[221:222], v[208:209]
	v_fma_f64 v[223:224], -v[208:209], v[221:222], 1.0
	v_fma_f64 v[221:222], v[221:222], v[223:224], v[221:222]
	v_fma_f64 v[223:224], -v[208:209], v[221:222], 1.0
	v_fma_f64 v[221:222], v[221:222], v[223:224], v[221:222]
	v_div_scale_f64 v[223:224], vcc_lo, 1.0, v[206:207], 1.0
	v_mul_f64 v[225:226], v[223:224], v[221:222]
	v_fma_f64 v[208:209], -v[208:209], v[225:226], v[223:224]
	v_div_fmas_f64 v[208:209], v[208:209], v[221:222], v[225:226]
	v_div_fixup_f64 v[208:209], v[208:209], v[206:207], 1.0
	v_mul_f64 v[206:207], v[215:216], v[208:209]
	v_xor_b32_e32 v209, 0x80000000, v209
.LBB100_1057:
	s_andn2_saveexec_b32 s1, s1
	s_cbranch_execz .LBB100_1059
; %bb.1058:
	v_div_scale_f64 v[215:216], null, v[206:207], v[206:207], v[208:209]
	v_div_scale_f64 v[225:226], vcc_lo, v[208:209], v[206:207], v[208:209]
	v_rcp_f64_e32 v[221:222], v[215:216]
	v_fma_f64 v[223:224], -v[215:216], v[221:222], 1.0
	v_fma_f64 v[221:222], v[221:222], v[223:224], v[221:222]
	v_fma_f64 v[223:224], -v[215:216], v[221:222], 1.0
	v_fma_f64 v[221:222], v[221:222], v[223:224], v[221:222]
	v_mul_f64 v[223:224], v[225:226], v[221:222]
	v_fma_f64 v[215:216], -v[215:216], v[223:224], v[225:226]
	v_div_fmas_f64 v[215:216], v[215:216], v[221:222], v[223:224]
	v_div_fixup_f64 v[215:216], v[215:216], v[206:207], v[208:209]
	v_fma_f64 v[206:207], v[208:209], v[215:216], v[206:207]
	v_div_scale_f64 v[208:209], null, v[206:207], v[206:207], 1.0
	v_rcp_f64_e32 v[221:222], v[208:209]
	v_fma_f64 v[223:224], -v[208:209], v[221:222], 1.0
	v_fma_f64 v[221:222], v[221:222], v[223:224], v[221:222]
	v_fma_f64 v[223:224], -v[208:209], v[221:222], 1.0
	v_fma_f64 v[221:222], v[221:222], v[223:224], v[221:222]
	v_div_scale_f64 v[223:224], vcc_lo, 1.0, v[206:207], 1.0
	v_mul_f64 v[225:226], v[223:224], v[221:222]
	v_fma_f64 v[208:209], -v[208:209], v[225:226], v[223:224]
	v_div_fmas_f64 v[208:209], v[208:209], v[221:222], v[225:226]
	v_div_fixup_f64 v[206:207], v[208:209], v[206:207], 1.0
	v_mul_f64 v[208:209], v[215:216], -v[206:207]
.LBB100_1059:
	s_or_b32 exec_lo, exec_lo, s1
.LBB100_1060:
	s_or_b32 exec_lo, exec_lo, s0
	v_mov_b32_e32 v215, 50
	s_mov_b32 s0, exec_lo
	v_cmpx_ne_u32_e64 v220, v214
	s_cbranch_execz .LBB100_1066
; %bb.1061:
	s_mov_b32 s1, exec_lo
	v_cmpx_eq_u32_e32 50, v220
	s_cbranch_execz .LBB100_1065
; %bb.1062:
	v_cmp_ne_u32_e32 vcc_lo, 50, v214
	s_xor_b32 s7, s16, -1
	s_and_b32 s8, s7, vcc_lo
	s_and_saveexec_b32 s7, s8
	s_cbranch_execz .LBB100_1064
; %bb.1063:
	v_ashrrev_i32_e32 v215, 31, v214
	v_lshlrev_b64 v[0:1], 2, v[214:215]
	v_add_co_u32 v0, vcc_lo, v212, v0
	v_add_co_ci_u32_e64 v1, null, v213, v1, vcc_lo
	s_clause 0x1
	global_load_dword v215, v[0:1], off
	global_load_dword v216, v[212:213], off offset:200
	s_waitcnt vmcnt(1)
	global_store_dword v[212:213], v215, off offset:200
	s_waitcnt vmcnt(0)
	global_store_dword v[0:1], v216, off
.LBB100_1064:
	s_or_b32 exec_lo, exec_lo, s7
	v_mov_b32_e32 v220, v214
	v_mov_b32_e32 v0, v214
.LBB100_1065:
	s_or_b32 exec_lo, exec_lo, s1
	v_mov_b32_e32 v215, v220
.LBB100_1066:
	s_or_b32 exec_lo, exec_lo, s0
	s_mov_b32 s0, exec_lo
	s_waitcnt_vscnt null, 0x0
	s_barrier
	buffer_gl0_inv
	v_cmpx_lt_i32_e32 50, v215
	s_cbranch_execz .LBB100_1068
; %bb.1067:
	v_mul_f64 v[212:213], v[208:209], v[4:5]
	v_mul_f64 v[4:5], v[206:207], v[4:5]
	v_fma_f64 v[206:207], v[206:207], v[2:3], -v[212:213]
	v_fma_f64 v[4:5], v[208:209], v[2:3], v[4:5]
	v_mov_b32_e32 v2, v206
	v_mov_b32_e32 v3, v207
.LBB100_1068:
	s_or_b32 exec_lo, exec_lo, s0
	v_ashrrev_i32_e32 v216, 31, v215
	s_mov_b32 s0, exec_lo
	s_barrier
	buffer_gl0_inv
	v_cmpx_gt_i32_e32 51, v215
	s_cbranch_execz .LBB100_1070
; %bb.1069:
	v_mul_lo_u32 v1, s15, v210
	v_mul_lo_u32 v208, s14, v211
	v_mad_u64_u32 v[206:207], null, s14, v210, 0
	s_lshl_b64 s[8:9], s[12:13], 2
	v_add3_u32 v0, v0, s17, 1
	v_add3_u32 v207, v207, v208, v1
	v_lshlrev_b64 v[206:207], 2, v[206:207]
	v_add_co_u32 v1, vcc_lo, s10, v206
	v_add_co_ci_u32_e64 v208, null, s11, v207, vcc_lo
	v_lshlrev_b64 v[206:207], 2, v[215:216]
	v_add_co_u32 v1, vcc_lo, v1, s8
	v_add_co_ci_u32_e64 v208, null, s9, v208, vcc_lo
	v_add_co_u32 v206, vcc_lo, v1, v206
	v_add_co_ci_u32_e64 v207, null, v208, v207, vcc_lo
	global_store_dword v[206:207], v0, off
.LBB100_1070:
	s_or_b32 exec_lo, exec_lo, s0
	s_mov_b32 s1, exec_lo
	v_cmpx_eq_u32_e32 0, v215
	s_cbranch_execz .LBB100_1073
; %bb.1071:
	v_lshlrev_b64 v[0:1], 2, v[210:211]
	v_cmp_ne_u32_e64 s0, 0, v219
	v_add_co_u32 v0, vcc_lo, s4, v0
	v_add_co_ci_u32_e64 v1, null, s5, v1, vcc_lo
	global_load_dword v206, v[0:1], off
	s_waitcnt vmcnt(0)
	v_cmp_eq_u32_e32 vcc_lo, 0, v206
	s_and_b32 s0, vcc_lo, s0
	s_and_b32 exec_lo, exec_lo, s0
	s_cbranch_execz .LBB100_1073
; %bb.1072:
	v_add_nc_u32_e32 v206, s17, v219
	global_store_dword v[0:1], v206, off
.LBB100_1073:
	s_or_b32 exec_lo, exec_lo, s1
	v_lshlrev_b64 v[206:207], 4, v[215:216]
	v_add3_u32 v0, s6, s6, v215
	v_add_nc_u32_e32 v208, s6, v0
	v_add_co_u32 v206, vcc_lo, v217, v206
	v_add_co_ci_u32_e64 v207, null, v218, v207, vcc_lo
	v_ashrrev_i32_e32 v1, 31, v0
	v_ashrrev_i32_e32 v209, 31, v208
	global_store_dwordx4 v[206:207], v[202:205], off
	v_add_co_u32 v202, vcc_lo, v206, s2
	v_add_nc_u32_e32 v206, s6, v208
	v_lshlrev_b64 v[0:1], 4, v[0:1]
	v_lshlrev_b64 v[204:205], 4, v[208:209]
	v_add_co_ci_u32_e64 v203, null, s3, v207, vcc_lo
	v_add_nc_u32_e32 v208, s6, v206
	v_ashrrev_i32_e32 v207, 31, v206
	v_add_co_u32 v0, vcc_lo, v217, v0
	v_add_co_ci_u32_e64 v1, null, v218, v1, vcc_lo
	v_add_co_u32 v204, vcc_lo, v217, v204
	global_store_dwordx4 v[202:203], v[190:193], off
	v_add_nc_u32_e32 v192, s6, v208
	v_add_co_ci_u32_e64 v205, null, v218, v205, vcc_lo
	v_ashrrev_i32_e32 v209, 31, v208
	v_lshlrev_b64 v[190:191], 4, v[206:207]
	global_store_dwordx4 v[0:1], v[198:201], off
	global_store_dwordx4 v[204:205], v[194:197], off
	v_add_nc_u32_e32 v194, s6, v192
	v_ashrrev_i32_e32 v193, 31, v192
	v_lshlrev_b64 v[0:1], 4, v[208:209]
	v_add_co_u32 v190, vcc_lo, v217, v190
	v_add_nc_u32_e32 v196, s6, v194
	v_add_co_ci_u32_e64 v191, null, v218, v191, vcc_lo
	v_add_co_u32 v0, vcc_lo, v217, v0
	v_ashrrev_i32_e32 v195, 31, v194
	v_add_co_ci_u32_e64 v1, null, v218, v1, vcc_lo
	v_ashrrev_i32_e32 v197, 31, v196
	v_lshlrev_b64 v[192:193], 4, v[192:193]
	global_store_dwordx4 v[190:191], v[186:189], off
	global_store_dwordx4 v[0:1], v[182:185], off
	v_lshlrev_b64 v[0:1], 4, v[194:195]
	v_add_nc_u32_e32 v186, s6, v196
	v_lshlrev_b64 v[184:185], 4, v[196:197]
	v_add_co_u32 v182, vcc_lo, v217, v192
	v_add_co_ci_u32_e64 v183, null, v218, v193, vcc_lo
	v_add_co_u32 v0, vcc_lo, v217, v0
	v_add_co_ci_u32_e64 v1, null, v218, v1, vcc_lo
	v_add_co_u32 v184, vcc_lo, v217, v184
	v_add_nc_u32_e32 v188, s6, v186
	v_add_co_ci_u32_e64 v185, null, v218, v185, vcc_lo
	v_ashrrev_i32_e32 v187, 31, v186
	global_store_dwordx4 v[182:183], v[178:181], off
	global_store_dwordx4 v[0:1], v[174:177], off
	global_store_dwordx4 v[184:185], v[170:173], off
	v_add_nc_u32_e32 v170, s6, v188
	v_ashrrev_i32_e32 v189, 31, v188
	v_lshlrev_b64 v[178:179], 4, v[186:187]
	v_add_nc_u32_e32 v174, s6, v170
	v_lshlrev_b64 v[0:1], 4, v[188:189]
	v_ashrrev_i32_e32 v171, 31, v170
	v_add_co_u32 v172, vcc_lo, v217, v178
	v_add_nc_u32_e32 v176, s6, v174
	v_add_co_ci_u32_e64 v173, null, v218, v179, vcc_lo
	v_add_co_u32 v0, vcc_lo, v217, v0
	v_ashrrev_i32_e32 v175, 31, v174
	v_add_co_ci_u32_e64 v1, null, v218, v1, vcc_lo
	v_ashrrev_i32_e32 v177, 31, v176
	v_lshlrev_b64 v[170:171], 4, v[170:171]
	global_store_dwordx4 v[172:173], v[166:169], off
	global_store_dwordx4 v[0:1], v[162:165], off
	v_lshlrev_b64 v[0:1], 4, v[174:175]
	v_add_nc_u32_e32 v166, s6, v176
	v_lshlrev_b64 v[164:165], 4, v[176:177]
	v_add_co_u32 v162, vcc_lo, v217, v170
	v_add_co_ci_u32_e64 v163, null, v218, v171, vcc_lo
	v_add_co_u32 v0, vcc_lo, v217, v0
	v_add_co_ci_u32_e64 v1, null, v218, v1, vcc_lo
	v_add_co_u32 v164, vcc_lo, v217, v164
	v_add_nc_u32_e32 v168, s6, v166
	v_add_co_ci_u32_e64 v165, null, v218, v165, vcc_lo
	v_ashrrev_i32_e32 v167, 31, v166
	global_store_dwordx4 v[162:163], v[158:161], off
	global_store_dwordx4 v[0:1], v[154:157], off
	global_store_dwordx4 v[164:165], v[150:153], off
	v_add_nc_u32_e32 v150, s6, v168
	v_ashrrev_i32_e32 v169, 31, v168
	v_lshlrev_b64 v[158:159], 4, v[166:167]
	v_add_nc_u32_e32 v154, s6, v150
	v_lshlrev_b64 v[0:1], 4, v[168:169]
	v_ashrrev_i32_e32 v151, 31, v150
	;; [unrolled: 30-line block ×7, first 2 shown]
	v_add_co_u32 v52, vcc_lo, v217, v58
	v_add_nc_u32_e32 v56, s6, v54
	v_add_co_ci_u32_e64 v53, null, v218, v59, vcc_lo
	v_add_co_u32 v0, vcc_lo, v217, v0
	v_ashrrev_i32_e32 v55, 31, v54
	v_add_co_ci_u32_e64 v1, null, v218, v1, vcc_lo
	v_ashrrev_i32_e32 v57, 31, v56
	v_lshlrev_b64 v[50:51], 4, v[50:51]
	global_store_dwordx4 v[52:53], v[46:49], off
	global_store_dwordx4 v[0:1], v[42:45], off
	v_lshlrev_b64 v[0:1], 4, v[54:55]
	v_add_nc_u32_e32 v46, s6, v56
	v_lshlrev_b64 v[44:45], 4, v[56:57]
	v_add_co_u32 v42, vcc_lo, v217, v50
	v_add_co_ci_u32_e64 v43, null, v218, v51, vcc_lo
	v_add_co_u32 v0, vcc_lo, v217, v0
	v_add_nc_u32_e32 v48, s6, v46
	v_add_co_ci_u32_e64 v1, null, v218, v1, vcc_lo
	v_add_co_u32 v44, vcc_lo, v217, v44
	v_ashrrev_i32_e32 v47, 31, v46
	v_add_co_ci_u32_e64 v45, null, v218, v45, vcc_lo
	v_ashrrev_i32_e32 v49, 31, v48
	global_store_dwordx4 v[42:43], v[38:41], off
	v_lshlrev_b64 v[38:39], 4, v[46:47]
	global_store_dwordx4 v[0:1], v[34:37], off
	global_store_dwordx4 v[44:45], v[30:33], off
	v_add_nc_u32_e32 v30, s6, v48
	v_lshlrev_b64 v[0:1], 4, v[48:49]
	v_add_co_u32 v32, vcc_lo, v217, v38
	v_add_nc_u32_e32 v34, s6, v30
	v_add_co_ci_u32_e64 v33, null, v218, v39, vcc_lo
	v_add_co_u32 v0, vcc_lo, v217, v0
	v_add_co_ci_u32_e64 v1, null, v218, v1, vcc_lo
	v_add_nc_u32_e32 v36, s6, v34
	v_ashrrev_i32_e32 v31, 31, v30
	global_store_dwordx4 v[32:33], v[26:29], off
	global_store_dwordx4 v[0:1], v[22:25], off
	v_ashrrev_i32_e32 v35, 31, v34
	v_add_nc_u32_e32 v22, s6, v36
	v_lshlrev_b64 v[26:27], 4, v[30:31]
	v_ashrrev_i32_e32 v37, 31, v36
	v_lshlrev_b64 v[0:1], 4, v[34:35]
	v_add_nc_u32_e32 v28, s6, v22
	v_ashrrev_i32_e32 v23, 31, v22
	v_add_co_u32 v24, vcc_lo, v217, v26
	v_add_co_ci_u32_e64 v25, null, v218, v27, vcc_lo
	v_ashrrev_i32_e32 v29, 31, v28
	v_lshlrev_b64 v[26:27], 4, v[36:37]
	v_lshlrev_b64 v[22:23], 4, v[22:23]
	v_add_co_u32 v0, vcc_lo, v217, v0
	v_lshlrev_b64 v[28:29], 4, v[28:29]
	v_add_co_ci_u32_e64 v1, null, v218, v1, vcc_lo
	v_add_co_u32 v26, vcc_lo, v217, v26
	v_add_co_ci_u32_e64 v27, null, v218, v27, vcc_lo
	v_add_co_u32 v22, vcc_lo, v217, v22
	;; [unrolled: 2-line block ×3, first 2 shown]
	v_add_co_ci_u32_e64 v29, null, v218, v29, vcc_lo
	global_store_dwordx4 v[24:25], v[18:21], off
	global_store_dwordx4 v[0:1], v[14:17], off
	global_store_dwordx4 v[26:27], v[10:13], off
	global_store_dwordx4 v[22:23], v[6:9], off
	global_store_dwordx4 v[28:29], v[2:5], off
.LBB100_1074:
	s_endpgm
	.section	.rodata,"a",@progbits
	.p2align	6, 0x0
	.amdhsa_kernel _ZN9rocsolver6v33100L18getf2_small_kernelILi51E19rocblas_complex_numIdEiiPS3_EEvT1_T3_lS5_lPS5_llPT2_S5_S5_S7_l
		.amdhsa_group_segment_fixed_size 0
		.amdhsa_private_segment_fixed_size 0
		.amdhsa_kernarg_size 352
		.amdhsa_user_sgpr_count 6
		.amdhsa_user_sgpr_private_segment_buffer 1
		.amdhsa_user_sgpr_dispatch_ptr 0
		.amdhsa_user_sgpr_queue_ptr 0
		.amdhsa_user_sgpr_kernarg_segment_ptr 1
		.amdhsa_user_sgpr_dispatch_id 0
		.amdhsa_user_sgpr_flat_scratch_init 0
		.amdhsa_user_sgpr_private_segment_size 0
		.amdhsa_wavefront_size32 1
		.amdhsa_uses_dynamic_stack 0
		.amdhsa_system_sgpr_private_segment_wavefront_offset 0
		.amdhsa_system_sgpr_workgroup_id_x 1
		.amdhsa_system_sgpr_workgroup_id_y 1
		.amdhsa_system_sgpr_workgroup_id_z 0
		.amdhsa_system_sgpr_workgroup_info 0
		.amdhsa_system_vgpr_workitem_id 1
		.amdhsa_next_free_vgpr 247
		.amdhsa_next_free_sgpr 20
		.amdhsa_reserve_vcc 1
		.amdhsa_reserve_flat_scratch 0
		.amdhsa_float_round_mode_32 0
		.amdhsa_float_round_mode_16_64 0
		.amdhsa_float_denorm_mode_32 3
		.amdhsa_float_denorm_mode_16_64 3
		.amdhsa_dx10_clamp 1
		.amdhsa_ieee_mode 1
		.amdhsa_fp16_overflow 0
		.amdhsa_workgroup_processor_mode 1
		.amdhsa_memory_ordered 1
		.amdhsa_forward_progress 1
		.amdhsa_shared_vgpr_count 0
		.amdhsa_exception_fp_ieee_invalid_op 0
		.amdhsa_exception_fp_denorm_src 0
		.amdhsa_exception_fp_ieee_div_zero 0
		.amdhsa_exception_fp_ieee_overflow 0
		.amdhsa_exception_fp_ieee_underflow 0
		.amdhsa_exception_fp_ieee_inexact 0
		.amdhsa_exception_int_div_zero 0
	.end_amdhsa_kernel
	.section	.text._ZN9rocsolver6v33100L18getf2_small_kernelILi51E19rocblas_complex_numIdEiiPS3_EEvT1_T3_lS5_lPS5_llPT2_S5_S5_S7_l,"axG",@progbits,_ZN9rocsolver6v33100L18getf2_small_kernelILi51E19rocblas_complex_numIdEiiPS3_EEvT1_T3_lS5_lPS5_llPT2_S5_S5_S7_l,comdat
.Lfunc_end100:
	.size	_ZN9rocsolver6v33100L18getf2_small_kernelILi51E19rocblas_complex_numIdEiiPS3_EEvT1_T3_lS5_lPS5_llPT2_S5_S5_S7_l, .Lfunc_end100-_ZN9rocsolver6v33100L18getf2_small_kernelILi51E19rocblas_complex_numIdEiiPS3_EEvT1_T3_lS5_lPS5_llPT2_S5_S5_S7_l
                                        ; -- End function
	.set _ZN9rocsolver6v33100L18getf2_small_kernelILi51E19rocblas_complex_numIdEiiPS3_EEvT1_T3_lS5_lPS5_llPT2_S5_S5_S7_l.num_vgpr, 247
	.set _ZN9rocsolver6v33100L18getf2_small_kernelILi51E19rocblas_complex_numIdEiiPS3_EEvT1_T3_lS5_lPS5_llPT2_S5_S5_S7_l.num_agpr, 0
	.set _ZN9rocsolver6v33100L18getf2_small_kernelILi51E19rocblas_complex_numIdEiiPS3_EEvT1_T3_lS5_lPS5_llPT2_S5_S5_S7_l.numbered_sgpr, 20
	.set _ZN9rocsolver6v33100L18getf2_small_kernelILi51E19rocblas_complex_numIdEiiPS3_EEvT1_T3_lS5_lPS5_llPT2_S5_S5_S7_l.num_named_barrier, 0
	.set _ZN9rocsolver6v33100L18getf2_small_kernelILi51E19rocblas_complex_numIdEiiPS3_EEvT1_T3_lS5_lPS5_llPT2_S5_S5_S7_l.private_seg_size, 0
	.set _ZN9rocsolver6v33100L18getf2_small_kernelILi51E19rocblas_complex_numIdEiiPS3_EEvT1_T3_lS5_lPS5_llPT2_S5_S5_S7_l.uses_vcc, 1
	.set _ZN9rocsolver6v33100L18getf2_small_kernelILi51E19rocblas_complex_numIdEiiPS3_EEvT1_T3_lS5_lPS5_llPT2_S5_S5_S7_l.uses_flat_scratch, 0
	.set _ZN9rocsolver6v33100L18getf2_small_kernelILi51E19rocblas_complex_numIdEiiPS3_EEvT1_T3_lS5_lPS5_llPT2_S5_S5_S7_l.has_dyn_sized_stack, 0
	.set _ZN9rocsolver6v33100L18getf2_small_kernelILi51E19rocblas_complex_numIdEiiPS3_EEvT1_T3_lS5_lPS5_llPT2_S5_S5_S7_l.has_recursion, 0
	.set _ZN9rocsolver6v33100L18getf2_small_kernelILi51E19rocblas_complex_numIdEiiPS3_EEvT1_T3_lS5_lPS5_llPT2_S5_S5_S7_l.has_indirect_call, 0
	.section	.AMDGPU.csdata,"",@progbits
; Kernel info:
; codeLenInByte = 141288
; TotalNumSgprs: 22
; NumVgprs: 247
; ScratchSize: 0
; MemoryBound: 0
; FloatMode: 240
; IeeeMode: 1
; LDSByteSize: 0 bytes/workgroup (compile time only)
; SGPRBlocks: 0
; VGPRBlocks: 30
; NumSGPRsForWavesPerEU: 22
; NumVGPRsForWavesPerEU: 247
; Occupancy: 4
; WaveLimiterHint : 0
; COMPUTE_PGM_RSRC2:SCRATCH_EN: 0
; COMPUTE_PGM_RSRC2:USER_SGPR: 6
; COMPUTE_PGM_RSRC2:TRAP_HANDLER: 0
; COMPUTE_PGM_RSRC2:TGID_X_EN: 1
; COMPUTE_PGM_RSRC2:TGID_Y_EN: 1
; COMPUTE_PGM_RSRC2:TGID_Z_EN: 0
; COMPUTE_PGM_RSRC2:TIDIG_COMP_CNT: 1
	.section	.text._ZN9rocsolver6v33100L23getf2_npvt_small_kernelILi51E19rocblas_complex_numIdEiiPS3_EEvT1_T3_lS5_lPT2_S5_S5_,"axG",@progbits,_ZN9rocsolver6v33100L23getf2_npvt_small_kernelILi51E19rocblas_complex_numIdEiiPS3_EEvT1_T3_lS5_lPT2_S5_S5_,comdat
	.globl	_ZN9rocsolver6v33100L23getf2_npvt_small_kernelILi51E19rocblas_complex_numIdEiiPS3_EEvT1_T3_lS5_lPT2_S5_S5_ ; -- Begin function _ZN9rocsolver6v33100L23getf2_npvt_small_kernelILi51E19rocblas_complex_numIdEiiPS3_EEvT1_T3_lS5_lPT2_S5_S5_
	.p2align	8
	.type	_ZN9rocsolver6v33100L23getf2_npvt_small_kernelILi51E19rocblas_complex_numIdEiiPS3_EEvT1_T3_lS5_lPT2_S5_S5_,@function
_ZN9rocsolver6v33100L23getf2_npvt_small_kernelILi51E19rocblas_complex_numIdEiiPS3_EEvT1_T3_lS5_lPT2_S5_S5_: ; @_ZN9rocsolver6v33100L23getf2_npvt_small_kernelILi51E19rocblas_complex_numIdEiiPS3_EEvT1_T3_lS5_lPT2_S5_S5_
; %bb.0:
	s_mov_b64 s[18:19], s[2:3]
	s_mov_b64 s[16:17], s[0:1]
	s_clause 0x1
	s_load_dword s0, s[4:5], 0x44
	s_load_dwordx2 s[12:13], s[4:5], 0x30
	s_add_u32 s16, s16, s8
	s_addc_u32 s17, s17, 0
	s_waitcnt lgkmcnt(0)
	s_lshr_b32 s14, s0, 16
	s_mov_b32 s0, exec_lo
	v_mad_u64_u32 v[2:3], null, s7, s14, v[1:2]
	v_cmpx_gt_i32_e64 s12, v2
	s_cbranch_execz .LBB101_464
; %bb.1:
	s_clause 0x2
	s_load_dwordx4 s[8:11], s[4:5], 0x20
	s_load_dword s6, s[4:5], 0x18
	s_load_dwordx4 s[0:3], s[4:5], 0x8
	v_ashrrev_i32_e32 v3, 31, v2
	v_mad_u32_u24 v253, 0x330, v1, 0
	v_lshlrev_b32_e32 v1, 4, v1
	s_mulk_i32 s14, 0x330
	v_add3_u32 v255, 0, s14, v1
	s_waitcnt lgkmcnt(0)
	v_mul_lo_u32 v5, s9, v2
	v_mul_lo_u32 v7, s8, v3
	buffer_store_dword v2, off, s[16:19], 0 offset:1064 ; 4-byte Folded Spill
	buffer_store_dword v3, off, s[16:19], 0 offset:1068 ; 4-byte Folded Spill
	v_add3_u32 v4, s6, s6, v0
	s_lshl_b64 s[2:3], s[2:3], 4
	s_ashr_i32 s7, s6, 31
	v_add_nc_u32_e32 v6, s6, v4
	v_add_nc_u32_e32 v8, s6, v6
	;; [unrolled: 1-line block ×3, first 2 shown]
	v_ashrrev_i32_e32 v9, 31, v8
	v_add_nc_u32_e32 v12, s6, v10
	v_ashrrev_i32_e32 v11, 31, v10
	v_lshlrev_b64 v[8:9], 4, v[8:9]
	v_add_nc_u32_e32 v14, s6, v12
	v_ashrrev_i32_e32 v13, 31, v12
	v_lshlrev_b64 v[10:11], 4, v[10:11]
	v_ashrrev_i32_e32 v15, 31, v14
	v_mad_u64_u32 v[2:3], null, s8, v2, 0
	v_add3_u32 v3, v3, v7, v5
	v_ashrrev_i32_e32 v5, 31, v4
	v_ashrrev_i32_e32 v7, 31, v6
	v_lshlrev_b64 v[2:3], 4, v[2:3]
	v_lshlrev_b64 v[4:5], 4, v[4:5]
	;; [unrolled: 1-line block ×3, first 2 shown]
	v_add_co_u32 v2, vcc_lo, s0, v2
	v_add_co_ci_u32_e64 v3, null, s1, v3, vcc_lo
	s_lshl_b64 s[0:1], s[6:7], 4
	v_add_co_u32 v2, vcc_lo, v2, s2
	v_add_co_ci_u32_e64 v3, null, s3, v3, vcc_lo
	v_add_co_u32 v18, vcc_lo, v2, v4
	v_add_co_ci_u32_e64 v19, null, v3, v5, vcc_lo
	v_add_co_u32 v72, vcc_lo, v2, v6
	v_add_nc_u32_e32 v6, s6, v14
	v_lshlrev_b64 v[4:5], 4, v[12:13]
	v_add_co_ci_u32_e64 v73, null, v3, v7, vcc_lo
	v_add_co_u32 v16, vcc_lo, v2, v8
	v_add_co_ci_u32_e64 v17, null, v3, v9, vcc_lo
	v_add_co_u32 v78, vcc_lo, v2, v10
	v_ashrrev_i32_e32 v7, 31, v6
	v_add_nc_u32_e32 v10, s6, v6
	v_lshlrev_b64 v[8:9], 4, v[14:15]
	v_add_co_ci_u32_e64 v79, null, v3, v11, vcc_lo
	v_add_co_u32 v74, vcc_lo, v2, v4
	v_add_co_ci_u32_e64 v75, null, v3, v5, vcc_lo
	v_lshlrev_b64 v[4:5], 4, v[6:7]
	v_ashrrev_i32_e32 v11, 31, v10
	v_add_nc_u32_e32 v6, s6, v10
	v_add_co_u32 v80, vcc_lo, v2, v8
	v_add_co_ci_u32_e64 v81, null, v3, v9, vcc_lo
	v_lshlrev_b64 v[8:9], 4, v[10:11]
	v_ashrrev_i32_e32 v7, 31, v6
	v_add_nc_u32_e32 v10, s6, v6
	;; [unrolled: 5-line block ×40, first 2 shown]
	v_add_co_u32 v229, vcc_lo, v2, v4
	v_add_co_ci_u32_e64 v230, null, v3, v5, vcc_lo
	v_lshlrev_b64 v[4:5], 4, v[6:7]
	v_add_nc_u32_e32 v6, s6, v10
	v_ashrrev_i32_e32 v11, 31, v10
	v_add_co_u32 v231, vcc_lo, v2, v8
	v_add_co_ci_u32_e64 v232, null, v3, v9, vcc_lo
	v_ashrrev_i32_e32 v7, 31, v6
	v_lshlrev_b64 v[8:9], 4, v[10:11]
	v_add_co_u32 v10, vcc_lo, v2, v4
	v_add_co_ci_u32_e64 v11, null, v3, v5, vcc_lo
	v_lshlrev_b64 v[4:5], 4, v[6:7]
	v_lshlrev_b32_e32 v6, 4, v0
	v_add_co_u32 v7, vcc_lo, v2, v8
	v_add_co_ci_u32_e64 v8, null, v3, v9, vcc_lo
	v_add_co_u32 v233, vcc_lo, v2, v4
	v_add_co_ci_u32_e64 v234, null, v3, v5, vcc_lo
	;; [unrolled: 2-line block ×4, first 2 shown]
	buffer_store_dword v2, off, s[16:19], 0 offset:384 ; 4-byte Folded Spill
	buffer_store_dword v3, off, s[16:19], 0 offset:388 ; 4-byte Folded Spill
	v_cmp_ne_u32_e64 s1, 0, v0
	v_cmp_eq_u32_e64 s0, 0, v0
	global_load_dwordx4 v[68:71], v[2:3], off
	s_waitcnt vmcnt(0)
	buffer_store_dword v68, off, s[16:19], 0 offset:16 ; 4-byte Folded Spill
	buffer_store_dword v69, off, s[16:19], 0 offset:20 ; 4-byte Folded Spill
	;; [unrolled: 1-line block ×6, first 2 shown]
	global_load_dwordx4 v[1:4], v[4:5], off
	s_waitcnt vmcnt(0)
	buffer_store_dword v1, off, s[16:19], 0 ; 4-byte Folded Spill
	buffer_store_dword v2, off, s[16:19], 0 offset:4 ; 4-byte Folded Spill
	buffer_store_dword v3, off, s[16:19], 0 offset:8 ; 4-byte Folded Spill
	;; [unrolled: 1-line block ×5, first 2 shown]
	global_load_dwordx4 v[193:196], v[18:19], off
	buffer_store_dword v72, off, s[16:19], 0 offset:424 ; 4-byte Folded Spill
	buffer_store_dword v73, off, s[16:19], 0 offset:428 ; 4-byte Folded Spill
	global_load_dwordx4 v[189:192], v[72:73], off
	buffer_store_dword v16, off, s[16:19], 0 offset:32 ; 4-byte Folded Spill
	buffer_store_dword v17, off, s[16:19], 0 offset:36 ; 4-byte Folded Spill
	;; [unrolled: 3-line block ×48, first 2 shown]
	global_load_dwordx4 v[1:4], v[233:234], off
	s_and_saveexec_b32 s3, s0
	s_cbranch_execz .LBB101_8
; %bb.2:
	s_clause 0x3
	buffer_load_dword v205, off, s[16:19], 0 offset:16
	buffer_load_dword v206, off, s[16:19], 0 offset:20
	;; [unrolled: 1-line block ×4, first 2 shown]
	s_waitcnt vmcnt(0)
	ds_write2_b64 v255, v[205:206], v[207:208] offset1:1
	s_clause 0x3
	buffer_load_dword v205, off, s[16:19], 0
	buffer_load_dword v206, off, s[16:19], 0 offset:4
	buffer_load_dword v207, off, s[16:19], 0 offset:8
	;; [unrolled: 1-line block ×3, first 2 shown]
	s_waitcnt vmcnt(0)
	ds_write2_b64 v253, v[205:206], v[207:208] offset0:2 offset1:3
	ds_write2_b64 v253, v[193:194], v[195:196] offset0:4 offset1:5
	;; [unrolled: 1-line block ×50, first 2 shown]
	ds_read2_b64 v[205:208], v255 offset1:1
	s_waitcnt lgkmcnt(0)
	v_cmp_neq_f64_e32 vcc_lo, 0, v[205:206]
	v_cmp_neq_f64_e64 s2, 0, v[207:208]
	s_or_b32 s2, vcc_lo, s2
	s_and_b32 exec_lo, exec_lo, s2
	s_cbranch_execz .LBB101_8
; %bb.3:
	v_cmp_ngt_f64_e64 s2, |v[205:206]|, |v[207:208]|
                                        ; implicit-def: $vgpr209_vgpr210
	s_and_saveexec_b32 s4, s2
	s_xor_b32 s2, exec_lo, s4
                                        ; implicit-def: $vgpr211_vgpr212
	s_cbranch_execz .LBB101_5
; %bb.4:
	v_div_scale_f64 v[209:210], null, v[207:208], v[207:208], v[205:206]
	v_div_scale_f64 v[215:216], vcc_lo, v[205:206], v[207:208], v[205:206]
	v_rcp_f64_e32 v[211:212], v[209:210]
	v_fma_f64 v[213:214], -v[209:210], v[211:212], 1.0
	v_fma_f64 v[211:212], v[211:212], v[213:214], v[211:212]
	v_fma_f64 v[213:214], -v[209:210], v[211:212], 1.0
	v_fma_f64 v[211:212], v[211:212], v[213:214], v[211:212]
	v_mul_f64 v[213:214], v[215:216], v[211:212]
	v_fma_f64 v[209:210], -v[209:210], v[213:214], v[215:216]
	v_div_fmas_f64 v[209:210], v[209:210], v[211:212], v[213:214]
	v_div_fixup_f64 v[209:210], v[209:210], v[207:208], v[205:206]
	v_fma_f64 v[205:206], v[205:206], v[209:210], v[207:208]
	v_div_scale_f64 v[207:208], null, v[205:206], v[205:206], 1.0
	v_rcp_f64_e32 v[211:212], v[207:208]
	v_fma_f64 v[213:214], -v[207:208], v[211:212], 1.0
	v_fma_f64 v[211:212], v[211:212], v[213:214], v[211:212]
	v_fma_f64 v[213:214], -v[207:208], v[211:212], 1.0
	v_fma_f64 v[211:212], v[211:212], v[213:214], v[211:212]
	v_div_scale_f64 v[213:214], vcc_lo, 1.0, v[205:206], 1.0
	v_mul_f64 v[215:216], v[213:214], v[211:212]
	v_fma_f64 v[207:208], -v[207:208], v[215:216], v[213:214]
	v_div_fmas_f64 v[207:208], v[207:208], v[211:212], v[215:216]
	v_div_fixup_f64 v[211:212], v[207:208], v[205:206], 1.0
                                        ; implicit-def: $vgpr205_vgpr206
	v_mul_f64 v[209:210], v[209:210], v[211:212]
	v_xor_b32_e32 v212, 0x80000000, v212
.LBB101_5:
	s_andn2_saveexec_b32 s2, s2
	s_cbranch_execz .LBB101_7
; %bb.6:
	v_div_scale_f64 v[209:210], null, v[205:206], v[205:206], v[207:208]
	v_div_scale_f64 v[215:216], vcc_lo, v[207:208], v[205:206], v[207:208]
	v_rcp_f64_e32 v[211:212], v[209:210]
	v_fma_f64 v[213:214], -v[209:210], v[211:212], 1.0
	v_fma_f64 v[211:212], v[211:212], v[213:214], v[211:212]
	v_fma_f64 v[213:214], -v[209:210], v[211:212], 1.0
	v_fma_f64 v[211:212], v[211:212], v[213:214], v[211:212]
	v_mul_f64 v[213:214], v[215:216], v[211:212]
	v_fma_f64 v[209:210], -v[209:210], v[213:214], v[215:216]
	v_div_fmas_f64 v[209:210], v[209:210], v[211:212], v[213:214]
	v_div_fixup_f64 v[211:212], v[209:210], v[205:206], v[207:208]
	v_fma_f64 v[205:206], v[207:208], v[211:212], v[205:206]
	v_div_scale_f64 v[207:208], null, v[205:206], v[205:206], 1.0
	v_rcp_f64_e32 v[209:210], v[207:208]
	v_fma_f64 v[213:214], -v[207:208], v[209:210], 1.0
	v_fma_f64 v[209:210], v[209:210], v[213:214], v[209:210]
	v_fma_f64 v[213:214], -v[207:208], v[209:210], 1.0
	v_fma_f64 v[209:210], v[209:210], v[213:214], v[209:210]
	v_div_scale_f64 v[213:214], vcc_lo, 1.0, v[205:206], 1.0
	v_mul_f64 v[215:216], v[213:214], v[209:210]
	v_fma_f64 v[207:208], -v[207:208], v[215:216], v[213:214]
	v_div_fmas_f64 v[207:208], v[207:208], v[209:210], v[215:216]
	v_div_fixup_f64 v[209:210], v[207:208], v[205:206], 1.0
	v_mul_f64 v[211:212], v[211:212], -v[209:210]
.LBB101_7:
	s_or_b32 exec_lo, exec_lo, s2
	ds_write2_b64 v255, v[209:210], v[211:212] offset1:1
.LBB101_8:
	s_or_b32 exec_lo, exec_lo, s3
	s_waitcnt vmcnt(0) lgkmcnt(0)
	s_waitcnt_vscnt null, 0x0
	s_barrier
	buffer_gl0_inv
	ds_read2_b64 v[205:208], v255 offset1:1
	s_waitcnt lgkmcnt(0)
	buffer_store_dword v205, off, s[16:19], 0 offset:400 ; 4-byte Folded Spill
	buffer_store_dword v206, off, s[16:19], 0 offset:404 ; 4-byte Folded Spill
	;; [unrolled: 1-line block ×4, first 2 shown]
	s_and_saveexec_b32 s2, s1
	s_cbranch_execz .LBB101_10
; %bb.9:
	s_clause 0x7
	buffer_load_dword v211, off, s[16:19], 0 offset:16
	buffer_load_dword v212, off, s[16:19], 0 offset:20
	;; [unrolled: 1-line block ×8, first 2 shown]
	s_waitcnt vmcnt(2)
	v_mul_f64 v[203:204], v[207:208], v[213:214]
	s_waitcnt vmcnt(0)
	v_mul_f64 v[205:206], v[209:210], v[213:214]
	v_fma_f64 v[213:214], v[209:210], v[211:212], v[203:204]
	v_fma_f64 v[205:206], v[207:208], v[211:212], -v[205:206]
	ds_read2_b64 v[207:210], v253 offset0:2 offset1:3
	s_waitcnt lgkmcnt(0)
	v_mul_f64 v[201:202], v[209:210], v[213:214]
	v_fma_f64 v[201:202], v[207:208], v[205:206], -v[201:202]
	v_mul_f64 v[207:208], v[207:208], v[213:214]
	v_fma_f64 v[207:208], v[209:210], v[205:206], v[207:208]
	s_clause 0x3
	buffer_load_dword v209, off, s[16:19], 0
	buffer_load_dword v210, off, s[16:19], 0 offset:4
	buffer_load_dword v211, off, s[16:19], 0 offset:8
	;; [unrolled: 1-line block ×3, first 2 shown]
	s_waitcnt vmcnt(2)
	v_add_f64 v[209:210], v[209:210], -v[201:202]
	s_waitcnt vmcnt(0)
	v_add_f64 v[211:212], v[211:212], -v[207:208]
	buffer_store_dword v209, off, s[16:19], 0 ; 4-byte Folded Spill
	buffer_store_dword v210, off, s[16:19], 0 offset:4 ; 4-byte Folded Spill
	buffer_store_dword v211, off, s[16:19], 0 offset:8 ; 4-byte Folded Spill
	;; [unrolled: 1-line block ×3, first 2 shown]
	ds_read2_b64 v[207:210], v253 offset0:4 offset1:5
	v_mov_b32_e32 v212, v206
	v_mov_b32_e32 v211, v205
	s_waitcnt lgkmcnt(0)
	v_mul_f64 v[201:202], v[209:210], v[213:214]
	v_fma_f64 v[201:202], v[207:208], v[205:206], -v[201:202]
	v_mul_f64 v[207:208], v[207:208], v[213:214]
	v_add_f64 v[193:194], v[193:194], -v[201:202]
	v_fma_f64 v[207:208], v[209:210], v[205:206], v[207:208]
	v_add_f64 v[195:196], v[195:196], -v[207:208]
	ds_read2_b64 v[207:210], v253 offset0:6 offset1:7
	s_waitcnt lgkmcnt(0)
	v_mul_f64 v[201:202], v[209:210], v[213:214]
	v_fma_f64 v[201:202], v[207:208], v[205:206], -v[201:202]
	v_mul_f64 v[207:208], v[207:208], v[213:214]
	v_add_f64 v[189:190], v[189:190], -v[201:202]
	v_fma_f64 v[207:208], v[209:210], v[205:206], v[207:208]
	v_add_f64 v[191:192], v[191:192], -v[207:208]
	ds_read2_b64 v[207:210], v253 offset0:8 offset1:9
	;; [unrolled: 8-line block ×48, first 2 shown]
	s_waitcnt lgkmcnt(0)
	v_mul_f64 v[201:202], v[209:210], v[213:214]
	v_fma_f64 v[201:202], v[207:208], v[205:206], -v[201:202]
	v_mul_f64 v[207:208], v[207:208], v[213:214]
	buffer_store_dword v211, off, s[16:19], 0 offset:16 ; 4-byte Folded Spill
	buffer_store_dword v212, off, s[16:19], 0 offset:20 ; 4-byte Folded Spill
	;; [unrolled: 1-line block ×4, first 2 shown]
	v_add_f64 v[1:2], v[1:2], -v[201:202]
	v_fma_f64 v[207:208], v[209:210], v[205:206], v[207:208]
	v_add_f64 v[3:4], v[3:4], -v[207:208]
.LBB101_10:
	s_or_b32 exec_lo, exec_lo, s2
	s_mov_b32 s2, exec_lo
	s_waitcnt_vscnt null, 0x0
	s_barrier
	buffer_gl0_inv
	v_cmpx_eq_u32_e32 1, v0
	s_cbranch_execz .LBB101_17
; %bb.11:
	s_clause 0x3
	buffer_load_dword v205, off, s[16:19], 0
	buffer_load_dword v206, off, s[16:19], 0 offset:4
	buffer_load_dword v207, off, s[16:19], 0 offset:8
	buffer_load_dword v208, off, s[16:19], 0 offset:12
	s_waitcnt vmcnt(0)
	ds_write2_b64 v255, v[205:206], v[207:208] offset1:1
	ds_write2_b64 v253, v[193:194], v[195:196] offset0:4 offset1:5
	ds_write2_b64 v253, v[189:190], v[191:192] offset0:6 offset1:7
	;; [unrolled: 1-line block ×49, first 2 shown]
	ds_read2_b64 v[205:208], v255 offset1:1
	s_waitcnt lgkmcnt(0)
	v_cmp_neq_f64_e32 vcc_lo, 0, v[205:206]
	v_cmp_neq_f64_e64 s1, 0, v[207:208]
	s_or_b32 s1, vcc_lo, s1
	s_and_b32 exec_lo, exec_lo, s1
	s_cbranch_execz .LBB101_17
; %bb.12:
	v_cmp_ngt_f64_e64 s1, |v[205:206]|, |v[207:208]|
                                        ; implicit-def: $vgpr209_vgpr210
	s_and_saveexec_b32 s3, s1
	s_xor_b32 s1, exec_lo, s3
                                        ; implicit-def: $vgpr211_vgpr212
	s_cbranch_execz .LBB101_14
; %bb.13:
	v_div_scale_f64 v[209:210], null, v[207:208], v[207:208], v[205:206]
	v_div_scale_f64 v[215:216], vcc_lo, v[205:206], v[207:208], v[205:206]
	v_rcp_f64_e32 v[211:212], v[209:210]
	v_fma_f64 v[213:214], -v[209:210], v[211:212], 1.0
	v_fma_f64 v[211:212], v[211:212], v[213:214], v[211:212]
	v_fma_f64 v[213:214], -v[209:210], v[211:212], 1.0
	v_fma_f64 v[211:212], v[211:212], v[213:214], v[211:212]
	v_mul_f64 v[213:214], v[215:216], v[211:212]
	v_fma_f64 v[209:210], -v[209:210], v[213:214], v[215:216]
	v_div_fmas_f64 v[209:210], v[209:210], v[211:212], v[213:214]
	v_div_fixup_f64 v[209:210], v[209:210], v[207:208], v[205:206]
	v_fma_f64 v[205:206], v[205:206], v[209:210], v[207:208]
	v_div_scale_f64 v[207:208], null, v[205:206], v[205:206], 1.0
	v_rcp_f64_e32 v[211:212], v[207:208]
	v_fma_f64 v[213:214], -v[207:208], v[211:212], 1.0
	v_fma_f64 v[211:212], v[211:212], v[213:214], v[211:212]
	v_fma_f64 v[213:214], -v[207:208], v[211:212], 1.0
	v_fma_f64 v[211:212], v[211:212], v[213:214], v[211:212]
	v_div_scale_f64 v[213:214], vcc_lo, 1.0, v[205:206], 1.0
	v_mul_f64 v[215:216], v[213:214], v[211:212]
	v_fma_f64 v[207:208], -v[207:208], v[215:216], v[213:214]
	v_div_fmas_f64 v[207:208], v[207:208], v[211:212], v[215:216]
	v_div_fixup_f64 v[211:212], v[207:208], v[205:206], 1.0
                                        ; implicit-def: $vgpr205_vgpr206
	v_mul_f64 v[209:210], v[209:210], v[211:212]
	v_xor_b32_e32 v212, 0x80000000, v212
.LBB101_14:
	s_andn2_saveexec_b32 s1, s1
	s_cbranch_execz .LBB101_16
; %bb.15:
	v_div_scale_f64 v[209:210], null, v[205:206], v[205:206], v[207:208]
	v_div_scale_f64 v[215:216], vcc_lo, v[207:208], v[205:206], v[207:208]
	v_rcp_f64_e32 v[211:212], v[209:210]
	v_fma_f64 v[213:214], -v[209:210], v[211:212], 1.0
	v_fma_f64 v[211:212], v[211:212], v[213:214], v[211:212]
	v_fma_f64 v[213:214], -v[209:210], v[211:212], 1.0
	v_fma_f64 v[211:212], v[211:212], v[213:214], v[211:212]
	v_mul_f64 v[213:214], v[215:216], v[211:212]
	v_fma_f64 v[209:210], -v[209:210], v[213:214], v[215:216]
	v_div_fmas_f64 v[209:210], v[209:210], v[211:212], v[213:214]
	v_div_fixup_f64 v[211:212], v[209:210], v[205:206], v[207:208]
	v_fma_f64 v[205:206], v[207:208], v[211:212], v[205:206]
	v_div_scale_f64 v[207:208], null, v[205:206], v[205:206], 1.0
	v_rcp_f64_e32 v[209:210], v[207:208]
	v_fma_f64 v[213:214], -v[207:208], v[209:210], 1.0
	v_fma_f64 v[209:210], v[209:210], v[213:214], v[209:210]
	v_fma_f64 v[213:214], -v[207:208], v[209:210], 1.0
	v_fma_f64 v[209:210], v[209:210], v[213:214], v[209:210]
	v_div_scale_f64 v[213:214], vcc_lo, 1.0, v[205:206], 1.0
	v_mul_f64 v[215:216], v[213:214], v[209:210]
	v_fma_f64 v[207:208], -v[207:208], v[215:216], v[213:214]
	v_div_fmas_f64 v[207:208], v[207:208], v[209:210], v[215:216]
	v_div_fixup_f64 v[209:210], v[207:208], v[205:206], 1.0
	v_mul_f64 v[211:212], v[211:212], -v[209:210]
.LBB101_16:
	s_or_b32 exec_lo, exec_lo, s1
	ds_write2_b64 v255, v[209:210], v[211:212] offset1:1
.LBB101_17:
	s_or_b32 exec_lo, exec_lo, s2
	s_waitcnt lgkmcnt(0)
	s_barrier
	buffer_gl0_inv
	ds_read2_b64 v[197:200], v255 offset1:1
	s_mov_b32 s1, exec_lo
	s_waitcnt lgkmcnt(0)
	buffer_store_dword v197, off, s[16:19], 0 offset:456 ; 4-byte Folded Spill
	buffer_store_dword v198, off, s[16:19], 0 offset:460 ; 4-byte Folded Spill
	;; [unrolled: 1-line block ×4, first 2 shown]
	v_cmpx_lt_u32_e32 1, v0
	s_cbranch_execz .LBB101_19
; %bb.18:
	s_clause 0x7
	buffer_load_dword v209, off, s[16:19], 0
	buffer_load_dword v210, off, s[16:19], 0 offset:4
	buffer_load_dword v211, off, s[16:19], 0 offset:8
	;; [unrolled: 1-line block ×7, first 2 shown]
	s_waitcnt vmcnt(0)
	v_mul_f64 v[205:206], v[201:202], v[211:212]
	v_fma_f64 v[205:206], v[199:200], v[209:210], -v[205:206]
	v_mul_f64 v[199:200], v[199:200], v[211:212]
	v_fma_f64 v[211:212], v[201:202], v[209:210], v[199:200]
	ds_read2_b64 v[207:210], v253 offset0:4 offset1:5
	s_waitcnt lgkmcnt(0)
	v_mul_f64 v[197:198], v[209:210], v[211:212]
	v_fma_f64 v[197:198], v[207:208], v[205:206], -v[197:198]
	v_mul_f64 v[207:208], v[207:208], v[211:212]
	v_add_f64 v[193:194], v[193:194], -v[197:198]
	v_fma_f64 v[207:208], v[209:210], v[205:206], v[207:208]
	v_add_f64 v[195:196], v[195:196], -v[207:208]
	ds_read2_b64 v[207:210], v253 offset0:6 offset1:7
	s_waitcnt lgkmcnt(0)
	v_mul_f64 v[197:198], v[209:210], v[211:212]
	v_fma_f64 v[197:198], v[207:208], v[205:206], -v[197:198]
	v_mul_f64 v[207:208], v[207:208], v[211:212]
	v_add_f64 v[189:190], v[189:190], -v[197:198]
	v_fma_f64 v[207:208], v[209:210], v[205:206], v[207:208]
	v_add_f64 v[191:192], v[191:192], -v[207:208]
	ds_read2_b64 v[207:210], v253 offset0:8 offset1:9
	s_waitcnt lgkmcnt(0)
	v_mul_f64 v[197:198], v[209:210], v[211:212]
	v_fma_f64 v[197:198], v[207:208], v[205:206], -v[197:198]
	v_mul_f64 v[207:208], v[207:208], v[211:212]
	v_add_f64 v[185:186], v[185:186], -v[197:198]
	v_fma_f64 v[207:208], v[209:210], v[205:206], v[207:208]
	v_add_f64 v[187:188], v[187:188], -v[207:208]
	ds_read2_b64 v[207:210], v253 offset0:10 offset1:11
	s_waitcnt lgkmcnt(0)
	v_mul_f64 v[197:198], v[209:210], v[211:212]
	v_fma_f64 v[197:198], v[207:208], v[205:206], -v[197:198]
	v_mul_f64 v[207:208], v[207:208], v[211:212]
	v_add_f64 v[181:182], v[181:182], -v[197:198]
	v_fma_f64 v[207:208], v[209:210], v[205:206], v[207:208]
	v_add_f64 v[183:184], v[183:184], -v[207:208]
	ds_read2_b64 v[207:210], v253 offset0:12 offset1:13
	s_waitcnt lgkmcnt(0)
	v_mul_f64 v[197:198], v[209:210], v[211:212]
	v_fma_f64 v[197:198], v[207:208], v[205:206], -v[197:198]
	v_mul_f64 v[207:208], v[207:208], v[211:212]
	v_add_f64 v[177:178], v[177:178], -v[197:198]
	v_fma_f64 v[207:208], v[209:210], v[205:206], v[207:208]
	v_add_f64 v[179:180], v[179:180], -v[207:208]
	ds_read2_b64 v[207:210], v253 offset0:14 offset1:15
	s_waitcnt lgkmcnt(0)
	v_mul_f64 v[197:198], v[209:210], v[211:212]
	v_fma_f64 v[197:198], v[207:208], v[205:206], -v[197:198]
	v_mul_f64 v[207:208], v[207:208], v[211:212]
	v_add_f64 v[173:174], v[173:174], -v[197:198]
	v_fma_f64 v[207:208], v[209:210], v[205:206], v[207:208]
	v_add_f64 v[175:176], v[175:176], -v[207:208]
	ds_read2_b64 v[207:210], v253 offset0:16 offset1:17
	s_waitcnt lgkmcnt(0)
	v_mul_f64 v[197:198], v[209:210], v[211:212]
	v_fma_f64 v[197:198], v[207:208], v[205:206], -v[197:198]
	v_mul_f64 v[207:208], v[207:208], v[211:212]
	v_add_f64 v[169:170], v[169:170], -v[197:198]
	v_fma_f64 v[207:208], v[209:210], v[205:206], v[207:208]
	v_add_f64 v[171:172], v[171:172], -v[207:208]
	ds_read2_b64 v[207:210], v253 offset0:18 offset1:19
	s_waitcnt lgkmcnt(0)
	v_mul_f64 v[197:198], v[209:210], v[211:212]
	v_fma_f64 v[197:198], v[207:208], v[205:206], -v[197:198]
	v_mul_f64 v[207:208], v[207:208], v[211:212]
	v_add_f64 v[165:166], v[165:166], -v[197:198]
	v_fma_f64 v[207:208], v[209:210], v[205:206], v[207:208]
	v_add_f64 v[167:168], v[167:168], -v[207:208]
	ds_read2_b64 v[207:210], v253 offset0:20 offset1:21
	s_waitcnt lgkmcnt(0)
	v_mul_f64 v[197:198], v[209:210], v[211:212]
	v_fma_f64 v[197:198], v[207:208], v[205:206], -v[197:198]
	v_mul_f64 v[207:208], v[207:208], v[211:212]
	v_add_f64 v[161:162], v[161:162], -v[197:198]
	v_fma_f64 v[207:208], v[209:210], v[205:206], v[207:208]
	v_add_f64 v[163:164], v[163:164], -v[207:208]
	ds_read2_b64 v[207:210], v253 offset0:22 offset1:23
	s_waitcnt lgkmcnt(0)
	v_mul_f64 v[197:198], v[209:210], v[211:212]
	v_fma_f64 v[197:198], v[207:208], v[205:206], -v[197:198]
	v_mul_f64 v[207:208], v[207:208], v[211:212]
	v_add_f64 v[157:158], v[157:158], -v[197:198]
	v_fma_f64 v[207:208], v[209:210], v[205:206], v[207:208]
	v_add_f64 v[159:160], v[159:160], -v[207:208]
	ds_read2_b64 v[207:210], v253 offset0:24 offset1:25
	s_waitcnt lgkmcnt(0)
	v_mul_f64 v[197:198], v[209:210], v[211:212]
	v_fma_f64 v[197:198], v[207:208], v[205:206], -v[197:198]
	v_mul_f64 v[207:208], v[207:208], v[211:212]
	v_add_f64 v[153:154], v[153:154], -v[197:198]
	v_fma_f64 v[207:208], v[209:210], v[205:206], v[207:208]
	v_add_f64 v[155:156], v[155:156], -v[207:208]
	ds_read2_b64 v[207:210], v253 offset0:26 offset1:27
	s_waitcnt lgkmcnt(0)
	v_mul_f64 v[197:198], v[209:210], v[211:212]
	v_fma_f64 v[197:198], v[207:208], v[205:206], -v[197:198]
	v_mul_f64 v[207:208], v[207:208], v[211:212]
	v_add_f64 v[149:150], v[149:150], -v[197:198]
	v_fma_f64 v[207:208], v[209:210], v[205:206], v[207:208]
	v_add_f64 v[151:152], v[151:152], -v[207:208]
	ds_read2_b64 v[207:210], v253 offset0:28 offset1:29
	s_waitcnt lgkmcnt(0)
	v_mul_f64 v[197:198], v[209:210], v[211:212]
	v_fma_f64 v[197:198], v[207:208], v[205:206], -v[197:198]
	v_mul_f64 v[207:208], v[207:208], v[211:212]
	v_add_f64 v[145:146], v[145:146], -v[197:198]
	v_fma_f64 v[207:208], v[209:210], v[205:206], v[207:208]
	v_add_f64 v[147:148], v[147:148], -v[207:208]
	ds_read2_b64 v[207:210], v253 offset0:30 offset1:31
	s_waitcnt lgkmcnt(0)
	v_mul_f64 v[197:198], v[209:210], v[211:212]
	v_fma_f64 v[197:198], v[207:208], v[205:206], -v[197:198]
	v_mul_f64 v[207:208], v[207:208], v[211:212]
	v_add_f64 v[141:142], v[141:142], -v[197:198]
	v_fma_f64 v[207:208], v[209:210], v[205:206], v[207:208]
	v_add_f64 v[143:144], v[143:144], -v[207:208]
	ds_read2_b64 v[207:210], v253 offset0:32 offset1:33
	s_waitcnt lgkmcnt(0)
	v_mul_f64 v[197:198], v[209:210], v[211:212]
	v_fma_f64 v[197:198], v[207:208], v[205:206], -v[197:198]
	v_mul_f64 v[207:208], v[207:208], v[211:212]
	v_add_f64 v[137:138], v[137:138], -v[197:198]
	v_fma_f64 v[207:208], v[209:210], v[205:206], v[207:208]
	v_add_f64 v[139:140], v[139:140], -v[207:208]
	ds_read2_b64 v[207:210], v253 offset0:34 offset1:35
	s_waitcnt lgkmcnt(0)
	v_mul_f64 v[197:198], v[209:210], v[211:212]
	v_fma_f64 v[197:198], v[207:208], v[205:206], -v[197:198]
	v_mul_f64 v[207:208], v[207:208], v[211:212]
	v_add_f64 v[133:134], v[133:134], -v[197:198]
	v_fma_f64 v[207:208], v[209:210], v[205:206], v[207:208]
	v_add_f64 v[135:136], v[135:136], -v[207:208]
	ds_read2_b64 v[207:210], v253 offset0:36 offset1:37
	s_waitcnt lgkmcnt(0)
	v_mul_f64 v[197:198], v[209:210], v[211:212]
	v_fma_f64 v[197:198], v[207:208], v[205:206], -v[197:198]
	v_mul_f64 v[207:208], v[207:208], v[211:212]
	v_add_f64 v[129:130], v[129:130], -v[197:198]
	v_fma_f64 v[207:208], v[209:210], v[205:206], v[207:208]
	v_add_f64 v[131:132], v[131:132], -v[207:208]
	ds_read2_b64 v[207:210], v253 offset0:38 offset1:39
	s_waitcnt lgkmcnt(0)
	v_mul_f64 v[197:198], v[209:210], v[211:212]
	v_fma_f64 v[197:198], v[207:208], v[205:206], -v[197:198]
	v_mul_f64 v[207:208], v[207:208], v[211:212]
	v_add_f64 v[125:126], v[125:126], -v[197:198]
	v_fma_f64 v[207:208], v[209:210], v[205:206], v[207:208]
	v_add_f64 v[127:128], v[127:128], -v[207:208]
	ds_read2_b64 v[207:210], v253 offset0:40 offset1:41
	s_waitcnt lgkmcnt(0)
	v_mul_f64 v[197:198], v[209:210], v[211:212]
	v_fma_f64 v[197:198], v[207:208], v[205:206], -v[197:198]
	v_mul_f64 v[207:208], v[207:208], v[211:212]
	v_add_f64 v[121:122], v[121:122], -v[197:198]
	v_fma_f64 v[207:208], v[209:210], v[205:206], v[207:208]
	v_add_f64 v[123:124], v[123:124], -v[207:208]
	ds_read2_b64 v[207:210], v253 offset0:42 offset1:43
	s_waitcnt lgkmcnt(0)
	v_mul_f64 v[197:198], v[209:210], v[211:212]
	v_fma_f64 v[197:198], v[207:208], v[205:206], -v[197:198]
	v_mul_f64 v[207:208], v[207:208], v[211:212]
	v_add_f64 v[117:118], v[117:118], -v[197:198]
	v_fma_f64 v[207:208], v[209:210], v[205:206], v[207:208]
	v_add_f64 v[119:120], v[119:120], -v[207:208]
	ds_read2_b64 v[207:210], v253 offset0:44 offset1:45
	s_waitcnt lgkmcnt(0)
	v_mul_f64 v[197:198], v[209:210], v[211:212]
	v_fma_f64 v[197:198], v[207:208], v[205:206], -v[197:198]
	v_mul_f64 v[207:208], v[207:208], v[211:212]
	v_add_f64 v[113:114], v[113:114], -v[197:198]
	v_fma_f64 v[207:208], v[209:210], v[205:206], v[207:208]
	v_add_f64 v[115:116], v[115:116], -v[207:208]
	ds_read2_b64 v[207:210], v253 offset0:46 offset1:47
	s_waitcnt lgkmcnt(0)
	v_mul_f64 v[197:198], v[209:210], v[211:212]
	v_fma_f64 v[197:198], v[207:208], v[205:206], -v[197:198]
	v_mul_f64 v[207:208], v[207:208], v[211:212]
	v_add_f64 v[109:110], v[109:110], -v[197:198]
	v_fma_f64 v[207:208], v[209:210], v[205:206], v[207:208]
	v_add_f64 v[111:112], v[111:112], -v[207:208]
	ds_read2_b64 v[207:210], v253 offset0:48 offset1:49
	s_waitcnt lgkmcnt(0)
	v_mul_f64 v[197:198], v[209:210], v[211:212]
	v_fma_f64 v[197:198], v[207:208], v[205:206], -v[197:198]
	v_mul_f64 v[207:208], v[207:208], v[211:212]
	v_add_f64 v[105:106], v[105:106], -v[197:198]
	v_fma_f64 v[207:208], v[209:210], v[205:206], v[207:208]
	v_add_f64 v[107:108], v[107:108], -v[207:208]
	ds_read2_b64 v[207:210], v253 offset0:50 offset1:51
	s_waitcnt lgkmcnt(0)
	v_mul_f64 v[197:198], v[209:210], v[211:212]
	v_fma_f64 v[197:198], v[207:208], v[205:206], -v[197:198]
	v_mul_f64 v[207:208], v[207:208], v[211:212]
	v_add_f64 v[101:102], v[101:102], -v[197:198]
	v_fma_f64 v[207:208], v[209:210], v[205:206], v[207:208]
	v_add_f64 v[103:104], v[103:104], -v[207:208]
	ds_read2_b64 v[207:210], v253 offset0:52 offset1:53
	s_waitcnt lgkmcnt(0)
	v_mul_f64 v[197:198], v[209:210], v[211:212]
	v_fma_f64 v[197:198], v[207:208], v[205:206], -v[197:198]
	v_mul_f64 v[207:208], v[207:208], v[211:212]
	v_add_f64 v[97:98], v[97:98], -v[197:198]
	v_fma_f64 v[207:208], v[209:210], v[205:206], v[207:208]
	v_add_f64 v[99:100], v[99:100], -v[207:208]
	ds_read2_b64 v[207:210], v253 offset0:54 offset1:55
	s_waitcnt lgkmcnt(0)
	v_mul_f64 v[197:198], v[209:210], v[211:212]
	v_fma_f64 v[197:198], v[207:208], v[205:206], -v[197:198]
	v_mul_f64 v[207:208], v[207:208], v[211:212]
	v_add_f64 v[93:94], v[93:94], -v[197:198]
	v_fma_f64 v[207:208], v[209:210], v[205:206], v[207:208]
	v_add_f64 v[95:96], v[95:96], -v[207:208]
	ds_read2_b64 v[207:210], v253 offset0:56 offset1:57
	s_waitcnt lgkmcnt(0)
	v_mul_f64 v[197:198], v[209:210], v[211:212]
	v_fma_f64 v[197:198], v[207:208], v[205:206], -v[197:198]
	v_mul_f64 v[207:208], v[207:208], v[211:212]
	v_add_f64 v[89:90], v[89:90], -v[197:198]
	v_fma_f64 v[207:208], v[209:210], v[205:206], v[207:208]
	v_add_f64 v[91:92], v[91:92], -v[207:208]
	ds_read2_b64 v[207:210], v253 offset0:58 offset1:59
	s_waitcnt lgkmcnt(0)
	v_mul_f64 v[197:198], v[209:210], v[211:212]
	v_fma_f64 v[197:198], v[207:208], v[205:206], -v[197:198]
	v_mul_f64 v[207:208], v[207:208], v[211:212]
	v_add_f64 v[85:86], v[85:86], -v[197:198]
	v_fma_f64 v[207:208], v[209:210], v[205:206], v[207:208]
	v_add_f64 v[87:88], v[87:88], -v[207:208]
	ds_read2_b64 v[207:210], v253 offset0:60 offset1:61
	s_waitcnt lgkmcnt(0)
	v_mul_f64 v[197:198], v[209:210], v[211:212]
	v_fma_f64 v[197:198], v[207:208], v[205:206], -v[197:198]
	v_mul_f64 v[207:208], v[207:208], v[211:212]
	v_add_f64 v[81:82], v[81:82], -v[197:198]
	v_fma_f64 v[207:208], v[209:210], v[205:206], v[207:208]
	v_add_f64 v[83:84], v[83:84], -v[207:208]
	ds_read2_b64 v[207:210], v253 offset0:62 offset1:63
	s_waitcnt lgkmcnt(0)
	v_mul_f64 v[197:198], v[209:210], v[211:212]
	v_fma_f64 v[197:198], v[207:208], v[205:206], -v[197:198]
	v_mul_f64 v[207:208], v[207:208], v[211:212]
	v_add_f64 v[77:78], v[77:78], -v[197:198]
	v_fma_f64 v[207:208], v[209:210], v[205:206], v[207:208]
	v_add_f64 v[79:80], v[79:80], -v[207:208]
	ds_read2_b64 v[207:210], v253 offset0:64 offset1:65
	s_waitcnt lgkmcnt(0)
	v_mul_f64 v[197:198], v[209:210], v[211:212]
	v_fma_f64 v[197:198], v[207:208], v[205:206], -v[197:198]
	v_mul_f64 v[207:208], v[207:208], v[211:212]
	v_add_f64 v[73:74], v[73:74], -v[197:198]
	v_fma_f64 v[207:208], v[209:210], v[205:206], v[207:208]
	v_add_f64 v[75:76], v[75:76], -v[207:208]
	ds_read2_b64 v[207:210], v253 offset0:66 offset1:67
	s_waitcnt lgkmcnt(0)
	v_mul_f64 v[197:198], v[209:210], v[211:212]
	v_fma_f64 v[197:198], v[207:208], v[205:206], -v[197:198]
	v_mul_f64 v[207:208], v[207:208], v[211:212]
	v_add_f64 v[69:70], v[69:70], -v[197:198]
	v_fma_f64 v[207:208], v[209:210], v[205:206], v[207:208]
	v_add_f64 v[71:72], v[71:72], -v[207:208]
	ds_read2_b64 v[207:210], v253 offset0:68 offset1:69
	s_waitcnt lgkmcnt(0)
	v_mul_f64 v[197:198], v[209:210], v[211:212]
	v_fma_f64 v[197:198], v[207:208], v[205:206], -v[197:198]
	v_mul_f64 v[207:208], v[207:208], v[211:212]
	v_add_f64 v[65:66], v[65:66], -v[197:198]
	v_fma_f64 v[207:208], v[209:210], v[205:206], v[207:208]
	v_add_f64 v[67:68], v[67:68], -v[207:208]
	ds_read2_b64 v[207:210], v253 offset0:70 offset1:71
	s_waitcnt lgkmcnt(0)
	v_mul_f64 v[197:198], v[209:210], v[211:212]
	v_fma_f64 v[197:198], v[207:208], v[205:206], -v[197:198]
	v_mul_f64 v[207:208], v[207:208], v[211:212]
	v_add_f64 v[61:62], v[61:62], -v[197:198]
	v_fma_f64 v[207:208], v[209:210], v[205:206], v[207:208]
	v_add_f64 v[63:64], v[63:64], -v[207:208]
	ds_read2_b64 v[207:210], v253 offset0:72 offset1:73
	s_waitcnt lgkmcnt(0)
	v_mul_f64 v[197:198], v[209:210], v[211:212]
	v_fma_f64 v[197:198], v[207:208], v[205:206], -v[197:198]
	v_mul_f64 v[207:208], v[207:208], v[211:212]
	v_add_f64 v[57:58], v[57:58], -v[197:198]
	v_fma_f64 v[207:208], v[209:210], v[205:206], v[207:208]
	v_add_f64 v[59:60], v[59:60], -v[207:208]
	ds_read2_b64 v[207:210], v253 offset0:74 offset1:75
	s_waitcnt lgkmcnt(0)
	v_mul_f64 v[197:198], v[209:210], v[211:212]
	v_fma_f64 v[197:198], v[207:208], v[205:206], -v[197:198]
	v_mul_f64 v[207:208], v[207:208], v[211:212]
	v_add_f64 v[53:54], v[53:54], -v[197:198]
	v_fma_f64 v[207:208], v[209:210], v[205:206], v[207:208]
	v_add_f64 v[55:56], v[55:56], -v[207:208]
	ds_read2_b64 v[207:210], v253 offset0:76 offset1:77
	s_waitcnt lgkmcnt(0)
	v_mul_f64 v[197:198], v[209:210], v[211:212]
	v_fma_f64 v[197:198], v[207:208], v[205:206], -v[197:198]
	v_mul_f64 v[207:208], v[207:208], v[211:212]
	v_add_f64 v[49:50], v[49:50], -v[197:198]
	v_fma_f64 v[207:208], v[209:210], v[205:206], v[207:208]
	v_add_f64 v[51:52], v[51:52], -v[207:208]
	ds_read2_b64 v[207:210], v253 offset0:78 offset1:79
	s_waitcnt lgkmcnt(0)
	v_mul_f64 v[197:198], v[209:210], v[211:212]
	v_fma_f64 v[197:198], v[207:208], v[205:206], -v[197:198]
	v_mul_f64 v[207:208], v[207:208], v[211:212]
	v_add_f64 v[45:46], v[45:46], -v[197:198]
	v_fma_f64 v[207:208], v[209:210], v[205:206], v[207:208]
	v_add_f64 v[47:48], v[47:48], -v[207:208]
	ds_read2_b64 v[207:210], v253 offset0:80 offset1:81
	s_waitcnt lgkmcnt(0)
	v_mul_f64 v[197:198], v[209:210], v[211:212]
	v_fma_f64 v[197:198], v[207:208], v[205:206], -v[197:198]
	v_mul_f64 v[207:208], v[207:208], v[211:212]
	v_add_f64 v[41:42], v[41:42], -v[197:198]
	v_fma_f64 v[207:208], v[209:210], v[205:206], v[207:208]
	v_add_f64 v[43:44], v[43:44], -v[207:208]
	ds_read2_b64 v[207:210], v253 offset0:82 offset1:83
	s_waitcnt lgkmcnt(0)
	v_mul_f64 v[197:198], v[209:210], v[211:212]
	v_fma_f64 v[197:198], v[207:208], v[205:206], -v[197:198]
	v_mul_f64 v[207:208], v[207:208], v[211:212]
	v_add_f64 v[37:38], v[37:38], -v[197:198]
	v_fma_f64 v[207:208], v[209:210], v[205:206], v[207:208]
	v_add_f64 v[39:40], v[39:40], -v[207:208]
	ds_read2_b64 v[207:210], v253 offset0:84 offset1:85
	s_waitcnt lgkmcnt(0)
	v_mul_f64 v[197:198], v[209:210], v[211:212]
	v_fma_f64 v[197:198], v[207:208], v[205:206], -v[197:198]
	v_mul_f64 v[207:208], v[207:208], v[211:212]
	v_add_f64 v[33:34], v[33:34], -v[197:198]
	v_fma_f64 v[207:208], v[209:210], v[205:206], v[207:208]
	v_add_f64 v[35:36], v[35:36], -v[207:208]
	ds_read2_b64 v[207:210], v253 offset0:86 offset1:87
	s_waitcnt lgkmcnt(0)
	v_mul_f64 v[197:198], v[209:210], v[211:212]
	v_fma_f64 v[197:198], v[207:208], v[205:206], -v[197:198]
	v_mul_f64 v[207:208], v[207:208], v[211:212]
	v_add_f64 v[29:30], v[29:30], -v[197:198]
	v_fma_f64 v[207:208], v[209:210], v[205:206], v[207:208]
	v_add_f64 v[31:32], v[31:32], -v[207:208]
	ds_read2_b64 v[207:210], v253 offset0:88 offset1:89
	s_waitcnt lgkmcnt(0)
	v_mul_f64 v[197:198], v[209:210], v[211:212]
	v_fma_f64 v[197:198], v[207:208], v[205:206], -v[197:198]
	v_mul_f64 v[207:208], v[207:208], v[211:212]
	v_add_f64 v[25:26], v[25:26], -v[197:198]
	v_fma_f64 v[207:208], v[209:210], v[205:206], v[207:208]
	v_add_f64 v[27:28], v[27:28], -v[207:208]
	ds_read2_b64 v[207:210], v253 offset0:90 offset1:91
	s_waitcnt lgkmcnt(0)
	v_mul_f64 v[197:198], v[209:210], v[211:212]
	v_fma_f64 v[197:198], v[207:208], v[205:206], -v[197:198]
	v_mul_f64 v[207:208], v[207:208], v[211:212]
	v_add_f64 v[21:22], v[21:22], -v[197:198]
	v_fma_f64 v[207:208], v[209:210], v[205:206], v[207:208]
	v_add_f64 v[23:24], v[23:24], -v[207:208]
	ds_read2_b64 v[207:210], v253 offset0:92 offset1:93
	s_waitcnt lgkmcnt(0)
	v_mul_f64 v[197:198], v[209:210], v[211:212]
	v_fma_f64 v[197:198], v[207:208], v[205:206], -v[197:198]
	v_mul_f64 v[207:208], v[207:208], v[211:212]
	v_add_f64 v[17:18], v[17:18], -v[197:198]
	v_fma_f64 v[207:208], v[209:210], v[205:206], v[207:208]
	v_add_f64 v[19:20], v[19:20], -v[207:208]
	ds_read2_b64 v[207:210], v253 offset0:94 offset1:95
	s_waitcnt lgkmcnt(0)
	v_mul_f64 v[197:198], v[209:210], v[211:212]
	v_fma_f64 v[197:198], v[207:208], v[205:206], -v[197:198]
	v_mul_f64 v[207:208], v[207:208], v[211:212]
	v_add_f64 v[13:14], v[13:14], -v[197:198]
	v_fma_f64 v[207:208], v[209:210], v[205:206], v[207:208]
	v_add_f64 v[15:16], v[15:16], -v[207:208]
	ds_read2_b64 v[207:210], v253 offset0:96 offset1:97
	s_waitcnt lgkmcnt(0)
	v_mul_f64 v[197:198], v[209:210], v[211:212]
	v_fma_f64 v[197:198], v[207:208], v[205:206], -v[197:198]
	v_mul_f64 v[207:208], v[207:208], v[211:212]
	v_add_f64 v[9:10], v[9:10], -v[197:198]
	v_fma_f64 v[207:208], v[209:210], v[205:206], v[207:208]
	v_add_f64 v[11:12], v[11:12], -v[207:208]
	ds_read2_b64 v[207:210], v253 offset0:98 offset1:99
	s_waitcnt lgkmcnt(0)
	v_mul_f64 v[197:198], v[209:210], v[211:212]
	v_fma_f64 v[197:198], v[207:208], v[205:206], -v[197:198]
	v_mul_f64 v[207:208], v[207:208], v[211:212]
	v_add_f64 v[5:6], v[5:6], -v[197:198]
	v_fma_f64 v[207:208], v[209:210], v[205:206], v[207:208]
	v_add_f64 v[7:8], v[7:8], -v[207:208]
	ds_read2_b64 v[207:210], v253 offset0:100 offset1:101
	s_waitcnt lgkmcnt(0)
	v_mul_f64 v[197:198], v[209:210], v[211:212]
	v_fma_f64 v[197:198], v[207:208], v[205:206], -v[197:198]
	v_mul_f64 v[207:208], v[207:208], v[211:212]
	v_add_f64 v[1:2], v[1:2], -v[197:198]
	v_fma_f64 v[207:208], v[209:210], v[205:206], v[207:208]
	v_mov_b32_e32 v210, v206
	v_mov_b32_e32 v209, v205
	buffer_store_dword v209, off, s[16:19], 0 ; 4-byte Folded Spill
	buffer_store_dword v210, off, s[16:19], 0 offset:4 ; 4-byte Folded Spill
	buffer_store_dword v211, off, s[16:19], 0 offset:8 ; 4-byte Folded Spill
	;; [unrolled: 1-line block ×3, first 2 shown]
	v_add_f64 v[3:4], v[3:4], -v[207:208]
.LBB101_19:
	s_or_b32 exec_lo, exec_lo, s1
	s_mov_b32 s2, exec_lo
	s_waitcnt_vscnt null, 0x0
	s_barrier
	buffer_gl0_inv
	v_cmpx_eq_u32_e32 2, v0
	s_cbranch_execz .LBB101_26
; %bb.20:
	ds_write2_b64 v255, v[193:194], v[195:196] offset1:1
	ds_write2_b64 v253, v[189:190], v[191:192] offset0:6 offset1:7
	ds_write2_b64 v253, v[185:186], v[187:188] offset0:8 offset1:9
	;; [unrolled: 1-line block ×48, first 2 shown]
	ds_read2_b64 v[205:208], v255 offset1:1
	s_waitcnt lgkmcnt(0)
	v_cmp_neq_f64_e32 vcc_lo, 0, v[205:206]
	v_cmp_neq_f64_e64 s1, 0, v[207:208]
	s_or_b32 s1, vcc_lo, s1
	s_and_b32 exec_lo, exec_lo, s1
	s_cbranch_execz .LBB101_26
; %bb.21:
	v_cmp_ngt_f64_e64 s1, |v[205:206]|, |v[207:208]|
                                        ; implicit-def: $vgpr209_vgpr210
	s_and_saveexec_b32 s3, s1
	s_xor_b32 s1, exec_lo, s3
                                        ; implicit-def: $vgpr211_vgpr212
	s_cbranch_execz .LBB101_23
; %bb.22:
	v_div_scale_f64 v[209:210], null, v[207:208], v[207:208], v[205:206]
	v_div_scale_f64 v[215:216], vcc_lo, v[205:206], v[207:208], v[205:206]
	v_rcp_f64_e32 v[211:212], v[209:210]
	v_fma_f64 v[213:214], -v[209:210], v[211:212], 1.0
	v_fma_f64 v[211:212], v[211:212], v[213:214], v[211:212]
	v_fma_f64 v[213:214], -v[209:210], v[211:212], 1.0
	v_fma_f64 v[211:212], v[211:212], v[213:214], v[211:212]
	v_mul_f64 v[213:214], v[215:216], v[211:212]
	v_fma_f64 v[209:210], -v[209:210], v[213:214], v[215:216]
	v_div_fmas_f64 v[209:210], v[209:210], v[211:212], v[213:214]
	v_div_fixup_f64 v[209:210], v[209:210], v[207:208], v[205:206]
	v_fma_f64 v[205:206], v[205:206], v[209:210], v[207:208]
	v_div_scale_f64 v[207:208], null, v[205:206], v[205:206], 1.0
	v_rcp_f64_e32 v[211:212], v[207:208]
	v_fma_f64 v[213:214], -v[207:208], v[211:212], 1.0
	v_fma_f64 v[211:212], v[211:212], v[213:214], v[211:212]
	v_fma_f64 v[213:214], -v[207:208], v[211:212], 1.0
	v_fma_f64 v[211:212], v[211:212], v[213:214], v[211:212]
	v_div_scale_f64 v[213:214], vcc_lo, 1.0, v[205:206], 1.0
	v_mul_f64 v[215:216], v[213:214], v[211:212]
	v_fma_f64 v[207:208], -v[207:208], v[215:216], v[213:214]
	v_div_fmas_f64 v[207:208], v[207:208], v[211:212], v[215:216]
	v_div_fixup_f64 v[211:212], v[207:208], v[205:206], 1.0
                                        ; implicit-def: $vgpr205_vgpr206
	v_mul_f64 v[209:210], v[209:210], v[211:212]
	v_xor_b32_e32 v212, 0x80000000, v212
.LBB101_23:
	s_andn2_saveexec_b32 s1, s1
	s_cbranch_execz .LBB101_25
; %bb.24:
	v_div_scale_f64 v[209:210], null, v[205:206], v[205:206], v[207:208]
	v_div_scale_f64 v[215:216], vcc_lo, v[207:208], v[205:206], v[207:208]
	v_rcp_f64_e32 v[211:212], v[209:210]
	v_fma_f64 v[213:214], -v[209:210], v[211:212], 1.0
	v_fma_f64 v[211:212], v[211:212], v[213:214], v[211:212]
	v_fma_f64 v[213:214], -v[209:210], v[211:212], 1.0
	v_fma_f64 v[211:212], v[211:212], v[213:214], v[211:212]
	v_mul_f64 v[213:214], v[215:216], v[211:212]
	v_fma_f64 v[209:210], -v[209:210], v[213:214], v[215:216]
	v_div_fmas_f64 v[209:210], v[209:210], v[211:212], v[213:214]
	v_div_fixup_f64 v[211:212], v[209:210], v[205:206], v[207:208]
	v_fma_f64 v[205:206], v[207:208], v[211:212], v[205:206]
	v_div_scale_f64 v[207:208], null, v[205:206], v[205:206], 1.0
	v_rcp_f64_e32 v[209:210], v[207:208]
	v_fma_f64 v[213:214], -v[207:208], v[209:210], 1.0
	v_fma_f64 v[209:210], v[209:210], v[213:214], v[209:210]
	v_fma_f64 v[213:214], -v[207:208], v[209:210], 1.0
	v_fma_f64 v[209:210], v[209:210], v[213:214], v[209:210]
	v_div_scale_f64 v[213:214], vcc_lo, 1.0, v[205:206], 1.0
	v_mul_f64 v[215:216], v[213:214], v[209:210]
	v_fma_f64 v[207:208], -v[207:208], v[215:216], v[213:214]
	v_div_fmas_f64 v[207:208], v[207:208], v[209:210], v[215:216]
	v_div_fixup_f64 v[209:210], v[207:208], v[205:206], 1.0
	v_mul_f64 v[211:212], v[211:212], -v[209:210]
.LBB101_25:
	s_or_b32 exec_lo, exec_lo, s1
	ds_write2_b64 v255, v[209:210], v[211:212] offset1:1
.LBB101_26:
	s_or_b32 exec_lo, exec_lo, s2
	s_waitcnt lgkmcnt(0)
	s_barrier
	buffer_gl0_inv
	ds_read2_b64 v[221:224], v255 offset1:1
	s_mov_b32 s1, exec_lo
	v_cmpx_lt_u32_e32 2, v0
	s_cbranch_execz .LBB101_28
; %bb.27:
	s_waitcnt lgkmcnt(0)
	v_mul_f64 v[205:206], v[223:224], v[195:196]
	v_mul_f64 v[195:196], v[221:222], v[195:196]
	ds_read2_b64 v[207:210], v253 offset0:6 offset1:7
	v_fma_f64 v[205:206], v[221:222], v[193:194], -v[205:206]
	v_fma_f64 v[195:196], v[223:224], v[193:194], v[195:196]
	s_waitcnt lgkmcnt(0)
	v_mul_f64 v[193:194], v[209:210], v[195:196]
	v_fma_f64 v[193:194], v[207:208], v[205:206], -v[193:194]
	v_mul_f64 v[207:208], v[207:208], v[195:196]
	v_add_f64 v[189:190], v[189:190], -v[193:194]
	v_fma_f64 v[207:208], v[209:210], v[205:206], v[207:208]
	v_add_f64 v[191:192], v[191:192], -v[207:208]
	ds_read2_b64 v[207:210], v253 offset0:8 offset1:9
	s_waitcnt lgkmcnt(0)
	v_mul_f64 v[193:194], v[209:210], v[195:196]
	v_fma_f64 v[193:194], v[207:208], v[205:206], -v[193:194]
	v_mul_f64 v[207:208], v[207:208], v[195:196]
	v_add_f64 v[185:186], v[185:186], -v[193:194]
	v_fma_f64 v[207:208], v[209:210], v[205:206], v[207:208]
	v_add_f64 v[187:188], v[187:188], -v[207:208]
	ds_read2_b64 v[207:210], v253 offset0:10 offset1:11
	;; [unrolled: 8-line block ×47, first 2 shown]
	s_waitcnt lgkmcnt(0)
	v_mul_f64 v[193:194], v[209:210], v[195:196]
	v_fma_f64 v[193:194], v[207:208], v[205:206], -v[193:194]
	v_mul_f64 v[207:208], v[207:208], v[195:196]
	v_add_f64 v[1:2], v[1:2], -v[193:194]
	v_fma_f64 v[207:208], v[209:210], v[205:206], v[207:208]
	v_mov_b32_e32 v193, v205
	v_mov_b32_e32 v194, v206
	v_add_f64 v[3:4], v[3:4], -v[207:208]
.LBB101_28:
	s_or_b32 exec_lo, exec_lo, s1
	s_mov_b32 s2, exec_lo
	s_waitcnt lgkmcnt(0)
	s_barrier
	buffer_gl0_inv
	v_cmpx_eq_u32_e32 3, v0
	s_cbranch_execz .LBB101_35
; %bb.29:
	ds_write2_b64 v255, v[189:190], v[191:192] offset1:1
	ds_write2_b64 v253, v[185:186], v[187:188] offset0:8 offset1:9
	ds_write2_b64 v253, v[181:182], v[183:184] offset0:10 offset1:11
	;; [unrolled: 1-line block ×47, first 2 shown]
	ds_read2_b64 v[205:208], v255 offset1:1
	s_waitcnt lgkmcnt(0)
	v_cmp_neq_f64_e32 vcc_lo, 0, v[205:206]
	v_cmp_neq_f64_e64 s1, 0, v[207:208]
	s_or_b32 s1, vcc_lo, s1
	s_and_b32 exec_lo, exec_lo, s1
	s_cbranch_execz .LBB101_35
; %bb.30:
	v_cmp_ngt_f64_e64 s1, |v[205:206]|, |v[207:208]|
                                        ; implicit-def: $vgpr209_vgpr210
	s_and_saveexec_b32 s3, s1
	s_xor_b32 s1, exec_lo, s3
                                        ; implicit-def: $vgpr211_vgpr212
	s_cbranch_execz .LBB101_32
; %bb.31:
	v_div_scale_f64 v[209:210], null, v[207:208], v[207:208], v[205:206]
	v_div_scale_f64 v[215:216], vcc_lo, v[205:206], v[207:208], v[205:206]
	v_rcp_f64_e32 v[211:212], v[209:210]
	v_fma_f64 v[213:214], -v[209:210], v[211:212], 1.0
	v_fma_f64 v[211:212], v[211:212], v[213:214], v[211:212]
	v_fma_f64 v[213:214], -v[209:210], v[211:212], 1.0
	v_fma_f64 v[211:212], v[211:212], v[213:214], v[211:212]
	v_mul_f64 v[213:214], v[215:216], v[211:212]
	v_fma_f64 v[209:210], -v[209:210], v[213:214], v[215:216]
	v_div_fmas_f64 v[209:210], v[209:210], v[211:212], v[213:214]
	v_div_fixup_f64 v[209:210], v[209:210], v[207:208], v[205:206]
	v_fma_f64 v[205:206], v[205:206], v[209:210], v[207:208]
	v_div_scale_f64 v[207:208], null, v[205:206], v[205:206], 1.0
	v_rcp_f64_e32 v[211:212], v[207:208]
	v_fma_f64 v[213:214], -v[207:208], v[211:212], 1.0
	v_fma_f64 v[211:212], v[211:212], v[213:214], v[211:212]
	v_fma_f64 v[213:214], -v[207:208], v[211:212], 1.0
	v_fma_f64 v[211:212], v[211:212], v[213:214], v[211:212]
	v_div_scale_f64 v[213:214], vcc_lo, 1.0, v[205:206], 1.0
	v_mul_f64 v[215:216], v[213:214], v[211:212]
	v_fma_f64 v[207:208], -v[207:208], v[215:216], v[213:214]
	v_div_fmas_f64 v[207:208], v[207:208], v[211:212], v[215:216]
	v_div_fixup_f64 v[211:212], v[207:208], v[205:206], 1.0
                                        ; implicit-def: $vgpr205_vgpr206
	v_mul_f64 v[209:210], v[209:210], v[211:212]
	v_xor_b32_e32 v212, 0x80000000, v212
.LBB101_32:
	s_andn2_saveexec_b32 s1, s1
	s_cbranch_execz .LBB101_34
; %bb.33:
	v_div_scale_f64 v[209:210], null, v[205:206], v[205:206], v[207:208]
	v_div_scale_f64 v[215:216], vcc_lo, v[207:208], v[205:206], v[207:208]
	v_rcp_f64_e32 v[211:212], v[209:210]
	v_fma_f64 v[213:214], -v[209:210], v[211:212], 1.0
	v_fma_f64 v[211:212], v[211:212], v[213:214], v[211:212]
	v_fma_f64 v[213:214], -v[209:210], v[211:212], 1.0
	v_fma_f64 v[211:212], v[211:212], v[213:214], v[211:212]
	v_mul_f64 v[213:214], v[215:216], v[211:212]
	v_fma_f64 v[209:210], -v[209:210], v[213:214], v[215:216]
	v_div_fmas_f64 v[209:210], v[209:210], v[211:212], v[213:214]
	v_div_fixup_f64 v[211:212], v[209:210], v[205:206], v[207:208]
	v_fma_f64 v[205:206], v[207:208], v[211:212], v[205:206]
	v_div_scale_f64 v[207:208], null, v[205:206], v[205:206], 1.0
	v_rcp_f64_e32 v[209:210], v[207:208]
	v_fma_f64 v[213:214], -v[207:208], v[209:210], 1.0
	v_fma_f64 v[209:210], v[209:210], v[213:214], v[209:210]
	v_fma_f64 v[213:214], -v[207:208], v[209:210], 1.0
	v_fma_f64 v[209:210], v[209:210], v[213:214], v[209:210]
	v_div_scale_f64 v[213:214], vcc_lo, 1.0, v[205:206], 1.0
	v_mul_f64 v[215:216], v[213:214], v[209:210]
	v_fma_f64 v[207:208], -v[207:208], v[215:216], v[213:214]
	v_div_fmas_f64 v[207:208], v[207:208], v[209:210], v[215:216]
	v_div_fixup_f64 v[209:210], v[207:208], v[205:206], 1.0
	v_mul_f64 v[211:212], v[211:212], -v[209:210]
.LBB101_34:
	s_or_b32 exec_lo, exec_lo, s1
	ds_write2_b64 v255, v[209:210], v[211:212] offset1:1
.LBB101_35:
	s_or_b32 exec_lo, exec_lo, s2
	s_waitcnt lgkmcnt(0)
	s_barrier
	buffer_gl0_inv
	ds_read2_b64 v[225:228], v255 offset1:1
	s_mov_b32 s1, exec_lo
	v_cmpx_lt_u32_e32 3, v0
	s_cbranch_execz .LBB101_37
; %bb.36:
	s_waitcnt lgkmcnt(0)
	v_mul_f64 v[205:206], v[227:228], v[191:192]
	v_mul_f64 v[191:192], v[225:226], v[191:192]
	ds_read2_b64 v[207:210], v253 offset0:8 offset1:9
	v_fma_f64 v[205:206], v[225:226], v[189:190], -v[205:206]
	v_fma_f64 v[191:192], v[227:228], v[189:190], v[191:192]
	s_waitcnt lgkmcnt(0)
	v_mul_f64 v[189:190], v[209:210], v[191:192]
	v_fma_f64 v[189:190], v[207:208], v[205:206], -v[189:190]
	v_mul_f64 v[207:208], v[207:208], v[191:192]
	v_add_f64 v[185:186], v[185:186], -v[189:190]
	v_fma_f64 v[207:208], v[209:210], v[205:206], v[207:208]
	v_add_f64 v[187:188], v[187:188], -v[207:208]
	ds_read2_b64 v[207:210], v253 offset0:10 offset1:11
	s_waitcnt lgkmcnt(0)
	v_mul_f64 v[189:190], v[209:210], v[191:192]
	v_fma_f64 v[189:190], v[207:208], v[205:206], -v[189:190]
	v_mul_f64 v[207:208], v[207:208], v[191:192]
	v_add_f64 v[181:182], v[181:182], -v[189:190]
	v_fma_f64 v[207:208], v[209:210], v[205:206], v[207:208]
	v_add_f64 v[183:184], v[183:184], -v[207:208]
	ds_read2_b64 v[207:210], v253 offset0:12 offset1:13
	;; [unrolled: 8-line block ×46, first 2 shown]
	s_waitcnt lgkmcnt(0)
	v_mul_f64 v[189:190], v[209:210], v[191:192]
	v_fma_f64 v[189:190], v[207:208], v[205:206], -v[189:190]
	v_mul_f64 v[207:208], v[207:208], v[191:192]
	v_add_f64 v[1:2], v[1:2], -v[189:190]
	v_fma_f64 v[207:208], v[209:210], v[205:206], v[207:208]
	v_mov_b32_e32 v189, v205
	v_mov_b32_e32 v190, v206
	v_add_f64 v[3:4], v[3:4], -v[207:208]
.LBB101_37:
	s_or_b32 exec_lo, exec_lo, s1
	s_mov_b32 s2, exec_lo
	s_waitcnt lgkmcnt(0)
	s_barrier
	buffer_gl0_inv
	v_cmpx_eq_u32_e32 4, v0
	s_cbranch_execz .LBB101_44
; %bb.38:
	ds_write2_b64 v255, v[185:186], v[187:188] offset1:1
	ds_write2_b64 v253, v[181:182], v[183:184] offset0:10 offset1:11
	ds_write2_b64 v253, v[177:178], v[179:180] offset0:12 offset1:13
	;; [unrolled: 1-line block ×46, first 2 shown]
	ds_read2_b64 v[205:208], v255 offset1:1
	s_waitcnt lgkmcnt(0)
	v_cmp_neq_f64_e32 vcc_lo, 0, v[205:206]
	v_cmp_neq_f64_e64 s1, 0, v[207:208]
	s_or_b32 s1, vcc_lo, s1
	s_and_b32 exec_lo, exec_lo, s1
	s_cbranch_execz .LBB101_44
; %bb.39:
	v_cmp_ngt_f64_e64 s1, |v[205:206]|, |v[207:208]|
                                        ; implicit-def: $vgpr209_vgpr210
	s_and_saveexec_b32 s3, s1
	s_xor_b32 s1, exec_lo, s3
                                        ; implicit-def: $vgpr211_vgpr212
	s_cbranch_execz .LBB101_41
; %bb.40:
	v_div_scale_f64 v[209:210], null, v[207:208], v[207:208], v[205:206]
	v_div_scale_f64 v[215:216], vcc_lo, v[205:206], v[207:208], v[205:206]
	v_rcp_f64_e32 v[211:212], v[209:210]
	v_fma_f64 v[213:214], -v[209:210], v[211:212], 1.0
	v_fma_f64 v[211:212], v[211:212], v[213:214], v[211:212]
	v_fma_f64 v[213:214], -v[209:210], v[211:212], 1.0
	v_fma_f64 v[211:212], v[211:212], v[213:214], v[211:212]
	v_mul_f64 v[213:214], v[215:216], v[211:212]
	v_fma_f64 v[209:210], -v[209:210], v[213:214], v[215:216]
	v_div_fmas_f64 v[209:210], v[209:210], v[211:212], v[213:214]
	v_div_fixup_f64 v[209:210], v[209:210], v[207:208], v[205:206]
	v_fma_f64 v[205:206], v[205:206], v[209:210], v[207:208]
	v_div_scale_f64 v[207:208], null, v[205:206], v[205:206], 1.0
	v_rcp_f64_e32 v[211:212], v[207:208]
	v_fma_f64 v[213:214], -v[207:208], v[211:212], 1.0
	v_fma_f64 v[211:212], v[211:212], v[213:214], v[211:212]
	v_fma_f64 v[213:214], -v[207:208], v[211:212], 1.0
	v_fma_f64 v[211:212], v[211:212], v[213:214], v[211:212]
	v_div_scale_f64 v[213:214], vcc_lo, 1.0, v[205:206], 1.0
	v_mul_f64 v[215:216], v[213:214], v[211:212]
	v_fma_f64 v[207:208], -v[207:208], v[215:216], v[213:214]
	v_div_fmas_f64 v[207:208], v[207:208], v[211:212], v[215:216]
	v_div_fixup_f64 v[211:212], v[207:208], v[205:206], 1.0
                                        ; implicit-def: $vgpr205_vgpr206
	v_mul_f64 v[209:210], v[209:210], v[211:212]
	v_xor_b32_e32 v212, 0x80000000, v212
.LBB101_41:
	s_andn2_saveexec_b32 s1, s1
	s_cbranch_execz .LBB101_43
; %bb.42:
	v_div_scale_f64 v[209:210], null, v[205:206], v[205:206], v[207:208]
	v_div_scale_f64 v[215:216], vcc_lo, v[207:208], v[205:206], v[207:208]
	v_rcp_f64_e32 v[211:212], v[209:210]
	v_fma_f64 v[213:214], -v[209:210], v[211:212], 1.0
	v_fma_f64 v[211:212], v[211:212], v[213:214], v[211:212]
	v_fma_f64 v[213:214], -v[209:210], v[211:212], 1.0
	v_fma_f64 v[211:212], v[211:212], v[213:214], v[211:212]
	v_mul_f64 v[213:214], v[215:216], v[211:212]
	v_fma_f64 v[209:210], -v[209:210], v[213:214], v[215:216]
	v_div_fmas_f64 v[209:210], v[209:210], v[211:212], v[213:214]
	v_div_fixup_f64 v[211:212], v[209:210], v[205:206], v[207:208]
	v_fma_f64 v[205:206], v[207:208], v[211:212], v[205:206]
	v_div_scale_f64 v[207:208], null, v[205:206], v[205:206], 1.0
	v_rcp_f64_e32 v[209:210], v[207:208]
	v_fma_f64 v[213:214], -v[207:208], v[209:210], 1.0
	v_fma_f64 v[209:210], v[209:210], v[213:214], v[209:210]
	v_fma_f64 v[213:214], -v[207:208], v[209:210], 1.0
	v_fma_f64 v[209:210], v[209:210], v[213:214], v[209:210]
	v_div_scale_f64 v[213:214], vcc_lo, 1.0, v[205:206], 1.0
	v_mul_f64 v[215:216], v[213:214], v[209:210]
	v_fma_f64 v[207:208], -v[207:208], v[215:216], v[213:214]
	v_div_fmas_f64 v[207:208], v[207:208], v[209:210], v[215:216]
	v_div_fixup_f64 v[209:210], v[207:208], v[205:206], 1.0
	v_mul_f64 v[211:212], v[211:212], -v[209:210]
.LBB101_43:
	s_or_b32 exec_lo, exec_lo, s1
	ds_write2_b64 v255, v[209:210], v[211:212] offset1:1
.LBB101_44:
	s_or_b32 exec_lo, exec_lo, s2
	s_waitcnt lgkmcnt(0)
	s_barrier
	buffer_gl0_inv
	ds_read2_b64 v[197:200], v255 offset1:1
	s_mov_b32 s1, exec_lo
	v_cmpx_lt_u32_e32 4, v0
	s_cbranch_execz .LBB101_46
; %bb.45:
	s_waitcnt lgkmcnt(0)
	v_mul_f64 v[205:206], v[199:200], v[187:188]
	v_mul_f64 v[187:188], v[197:198], v[187:188]
	ds_read2_b64 v[207:210], v253 offset0:10 offset1:11
	v_fma_f64 v[205:206], v[197:198], v[185:186], -v[205:206]
	v_fma_f64 v[187:188], v[199:200], v[185:186], v[187:188]
	s_waitcnt lgkmcnt(0)
	v_mul_f64 v[185:186], v[209:210], v[187:188]
	v_fma_f64 v[185:186], v[207:208], v[205:206], -v[185:186]
	v_mul_f64 v[207:208], v[207:208], v[187:188]
	v_add_f64 v[181:182], v[181:182], -v[185:186]
	v_fma_f64 v[207:208], v[209:210], v[205:206], v[207:208]
	v_add_f64 v[183:184], v[183:184], -v[207:208]
	ds_read2_b64 v[207:210], v253 offset0:12 offset1:13
	s_waitcnt lgkmcnt(0)
	v_mul_f64 v[185:186], v[209:210], v[187:188]
	v_fma_f64 v[185:186], v[207:208], v[205:206], -v[185:186]
	v_mul_f64 v[207:208], v[207:208], v[187:188]
	v_add_f64 v[177:178], v[177:178], -v[185:186]
	v_fma_f64 v[207:208], v[209:210], v[205:206], v[207:208]
	v_add_f64 v[179:180], v[179:180], -v[207:208]
	ds_read2_b64 v[207:210], v253 offset0:14 offset1:15
	;; [unrolled: 8-line block ×45, first 2 shown]
	s_waitcnt lgkmcnt(0)
	v_mul_f64 v[185:186], v[209:210], v[187:188]
	v_fma_f64 v[185:186], v[207:208], v[205:206], -v[185:186]
	v_mul_f64 v[207:208], v[207:208], v[187:188]
	v_add_f64 v[1:2], v[1:2], -v[185:186]
	v_fma_f64 v[207:208], v[209:210], v[205:206], v[207:208]
	v_mov_b32_e32 v185, v205
	v_mov_b32_e32 v186, v206
	v_add_f64 v[3:4], v[3:4], -v[207:208]
.LBB101_46:
	s_or_b32 exec_lo, exec_lo, s1
	s_mov_b32 s2, exec_lo
	s_waitcnt lgkmcnt(0)
	s_barrier
	buffer_gl0_inv
	v_cmpx_eq_u32_e32 5, v0
	s_cbranch_execz .LBB101_53
; %bb.47:
	ds_write2_b64 v255, v[181:182], v[183:184] offset1:1
	ds_write2_b64 v253, v[177:178], v[179:180] offset0:12 offset1:13
	ds_write2_b64 v253, v[173:174], v[175:176] offset0:14 offset1:15
	;; [unrolled: 1-line block ×45, first 2 shown]
	ds_read2_b64 v[205:208], v255 offset1:1
	s_waitcnt lgkmcnt(0)
	v_cmp_neq_f64_e32 vcc_lo, 0, v[205:206]
	v_cmp_neq_f64_e64 s1, 0, v[207:208]
	s_or_b32 s1, vcc_lo, s1
	s_and_b32 exec_lo, exec_lo, s1
	s_cbranch_execz .LBB101_53
; %bb.48:
	v_cmp_ngt_f64_e64 s1, |v[205:206]|, |v[207:208]|
                                        ; implicit-def: $vgpr209_vgpr210
	s_and_saveexec_b32 s3, s1
	s_xor_b32 s1, exec_lo, s3
                                        ; implicit-def: $vgpr211_vgpr212
	s_cbranch_execz .LBB101_50
; %bb.49:
	v_div_scale_f64 v[209:210], null, v[207:208], v[207:208], v[205:206]
	v_div_scale_f64 v[215:216], vcc_lo, v[205:206], v[207:208], v[205:206]
	v_rcp_f64_e32 v[211:212], v[209:210]
	v_fma_f64 v[213:214], -v[209:210], v[211:212], 1.0
	v_fma_f64 v[211:212], v[211:212], v[213:214], v[211:212]
	v_fma_f64 v[213:214], -v[209:210], v[211:212], 1.0
	v_fma_f64 v[211:212], v[211:212], v[213:214], v[211:212]
	v_mul_f64 v[213:214], v[215:216], v[211:212]
	v_fma_f64 v[209:210], -v[209:210], v[213:214], v[215:216]
	v_div_fmas_f64 v[209:210], v[209:210], v[211:212], v[213:214]
	v_div_fixup_f64 v[209:210], v[209:210], v[207:208], v[205:206]
	v_fma_f64 v[205:206], v[205:206], v[209:210], v[207:208]
	v_div_scale_f64 v[207:208], null, v[205:206], v[205:206], 1.0
	v_rcp_f64_e32 v[211:212], v[207:208]
	v_fma_f64 v[213:214], -v[207:208], v[211:212], 1.0
	v_fma_f64 v[211:212], v[211:212], v[213:214], v[211:212]
	v_fma_f64 v[213:214], -v[207:208], v[211:212], 1.0
	v_fma_f64 v[211:212], v[211:212], v[213:214], v[211:212]
	v_div_scale_f64 v[213:214], vcc_lo, 1.0, v[205:206], 1.0
	v_mul_f64 v[215:216], v[213:214], v[211:212]
	v_fma_f64 v[207:208], -v[207:208], v[215:216], v[213:214]
	v_div_fmas_f64 v[207:208], v[207:208], v[211:212], v[215:216]
	v_div_fixup_f64 v[211:212], v[207:208], v[205:206], 1.0
                                        ; implicit-def: $vgpr205_vgpr206
	v_mul_f64 v[209:210], v[209:210], v[211:212]
	v_xor_b32_e32 v212, 0x80000000, v212
.LBB101_50:
	s_andn2_saveexec_b32 s1, s1
	s_cbranch_execz .LBB101_52
; %bb.51:
	v_div_scale_f64 v[209:210], null, v[205:206], v[205:206], v[207:208]
	v_div_scale_f64 v[215:216], vcc_lo, v[207:208], v[205:206], v[207:208]
	v_rcp_f64_e32 v[211:212], v[209:210]
	v_fma_f64 v[213:214], -v[209:210], v[211:212], 1.0
	v_fma_f64 v[211:212], v[211:212], v[213:214], v[211:212]
	v_fma_f64 v[213:214], -v[209:210], v[211:212], 1.0
	v_fma_f64 v[211:212], v[211:212], v[213:214], v[211:212]
	v_mul_f64 v[213:214], v[215:216], v[211:212]
	v_fma_f64 v[209:210], -v[209:210], v[213:214], v[215:216]
	v_div_fmas_f64 v[209:210], v[209:210], v[211:212], v[213:214]
	v_div_fixup_f64 v[211:212], v[209:210], v[205:206], v[207:208]
	v_fma_f64 v[205:206], v[207:208], v[211:212], v[205:206]
	v_div_scale_f64 v[207:208], null, v[205:206], v[205:206], 1.0
	v_rcp_f64_e32 v[209:210], v[207:208]
	v_fma_f64 v[213:214], -v[207:208], v[209:210], 1.0
	v_fma_f64 v[209:210], v[209:210], v[213:214], v[209:210]
	v_fma_f64 v[213:214], -v[207:208], v[209:210], 1.0
	v_fma_f64 v[209:210], v[209:210], v[213:214], v[209:210]
	v_div_scale_f64 v[213:214], vcc_lo, 1.0, v[205:206], 1.0
	v_mul_f64 v[215:216], v[213:214], v[209:210]
	v_fma_f64 v[207:208], -v[207:208], v[215:216], v[213:214]
	v_div_fmas_f64 v[207:208], v[207:208], v[209:210], v[215:216]
	v_div_fixup_f64 v[209:210], v[207:208], v[205:206], 1.0
	v_mul_f64 v[211:212], v[211:212], -v[209:210]
.LBB101_52:
	s_or_b32 exec_lo, exec_lo, s1
	ds_write2_b64 v255, v[209:210], v[211:212] offset1:1
.LBB101_53:
	s_or_b32 exec_lo, exec_lo, s2
	s_waitcnt lgkmcnt(0)
	s_barrier
	buffer_gl0_inv
	ds_read2_b64 v[201:204], v255 offset1:1
	s_mov_b32 s1, exec_lo
	s_waitcnt lgkmcnt(0)
	buffer_store_dword v201, off, s[16:19], 0 offset:472 ; 4-byte Folded Spill
	buffer_store_dword v202, off, s[16:19], 0 offset:476 ; 4-byte Folded Spill
	;; [unrolled: 1-line block ×4, first 2 shown]
	v_cmpx_lt_u32_e32 5, v0
	s_cbranch_execz .LBB101_55
; %bb.54:
	s_clause 0x3
	buffer_load_dword v201, off, s[16:19], 0 offset:472
	buffer_load_dword v202, off, s[16:19], 0 offset:476
	;; [unrolled: 1-line block ×4, first 2 shown]
	ds_read2_b64 v[207:210], v253 offset0:12 offset1:13
	s_waitcnt vmcnt(0)
	v_mul_f64 v[205:206], v[203:204], v[183:184]
	v_mul_f64 v[183:184], v[201:202], v[183:184]
	v_fma_f64 v[205:206], v[201:202], v[181:182], -v[205:206]
	v_fma_f64 v[183:184], v[203:204], v[181:182], v[183:184]
	s_waitcnt lgkmcnt(0)
	v_mul_f64 v[181:182], v[209:210], v[183:184]
	v_fma_f64 v[181:182], v[207:208], v[205:206], -v[181:182]
	v_mul_f64 v[207:208], v[207:208], v[183:184]
	v_add_f64 v[177:178], v[177:178], -v[181:182]
	v_fma_f64 v[207:208], v[209:210], v[205:206], v[207:208]
	v_add_f64 v[179:180], v[179:180], -v[207:208]
	ds_read2_b64 v[207:210], v253 offset0:14 offset1:15
	s_waitcnt lgkmcnt(0)
	v_mul_f64 v[181:182], v[209:210], v[183:184]
	v_fma_f64 v[181:182], v[207:208], v[205:206], -v[181:182]
	v_mul_f64 v[207:208], v[207:208], v[183:184]
	v_add_f64 v[173:174], v[173:174], -v[181:182]
	v_fma_f64 v[207:208], v[209:210], v[205:206], v[207:208]
	v_add_f64 v[175:176], v[175:176], -v[207:208]
	ds_read2_b64 v[207:210], v253 offset0:16 offset1:17
	s_waitcnt lgkmcnt(0)
	v_mul_f64 v[181:182], v[209:210], v[183:184]
	v_fma_f64 v[181:182], v[207:208], v[205:206], -v[181:182]
	v_mul_f64 v[207:208], v[207:208], v[183:184]
	v_add_f64 v[169:170], v[169:170], -v[181:182]
	v_fma_f64 v[207:208], v[209:210], v[205:206], v[207:208]
	v_add_f64 v[171:172], v[171:172], -v[207:208]
	ds_read2_b64 v[207:210], v253 offset0:18 offset1:19
	s_waitcnt lgkmcnt(0)
	v_mul_f64 v[181:182], v[209:210], v[183:184]
	v_fma_f64 v[181:182], v[207:208], v[205:206], -v[181:182]
	v_mul_f64 v[207:208], v[207:208], v[183:184]
	v_add_f64 v[165:166], v[165:166], -v[181:182]
	v_fma_f64 v[207:208], v[209:210], v[205:206], v[207:208]
	v_add_f64 v[167:168], v[167:168], -v[207:208]
	ds_read2_b64 v[207:210], v253 offset0:20 offset1:21
	s_waitcnt lgkmcnt(0)
	v_mul_f64 v[181:182], v[209:210], v[183:184]
	v_fma_f64 v[181:182], v[207:208], v[205:206], -v[181:182]
	v_mul_f64 v[207:208], v[207:208], v[183:184]
	v_add_f64 v[161:162], v[161:162], -v[181:182]
	v_fma_f64 v[207:208], v[209:210], v[205:206], v[207:208]
	v_add_f64 v[163:164], v[163:164], -v[207:208]
	ds_read2_b64 v[207:210], v253 offset0:22 offset1:23
	s_waitcnt lgkmcnt(0)
	v_mul_f64 v[181:182], v[209:210], v[183:184]
	v_fma_f64 v[181:182], v[207:208], v[205:206], -v[181:182]
	v_mul_f64 v[207:208], v[207:208], v[183:184]
	v_add_f64 v[157:158], v[157:158], -v[181:182]
	v_fma_f64 v[207:208], v[209:210], v[205:206], v[207:208]
	v_add_f64 v[159:160], v[159:160], -v[207:208]
	ds_read2_b64 v[207:210], v253 offset0:24 offset1:25
	s_waitcnt lgkmcnt(0)
	v_mul_f64 v[181:182], v[209:210], v[183:184]
	v_fma_f64 v[181:182], v[207:208], v[205:206], -v[181:182]
	v_mul_f64 v[207:208], v[207:208], v[183:184]
	v_add_f64 v[153:154], v[153:154], -v[181:182]
	v_fma_f64 v[207:208], v[209:210], v[205:206], v[207:208]
	v_add_f64 v[155:156], v[155:156], -v[207:208]
	ds_read2_b64 v[207:210], v253 offset0:26 offset1:27
	s_waitcnt lgkmcnt(0)
	v_mul_f64 v[181:182], v[209:210], v[183:184]
	v_fma_f64 v[181:182], v[207:208], v[205:206], -v[181:182]
	v_mul_f64 v[207:208], v[207:208], v[183:184]
	v_add_f64 v[149:150], v[149:150], -v[181:182]
	v_fma_f64 v[207:208], v[209:210], v[205:206], v[207:208]
	v_add_f64 v[151:152], v[151:152], -v[207:208]
	ds_read2_b64 v[207:210], v253 offset0:28 offset1:29
	s_waitcnt lgkmcnt(0)
	v_mul_f64 v[181:182], v[209:210], v[183:184]
	v_fma_f64 v[181:182], v[207:208], v[205:206], -v[181:182]
	v_mul_f64 v[207:208], v[207:208], v[183:184]
	v_add_f64 v[145:146], v[145:146], -v[181:182]
	v_fma_f64 v[207:208], v[209:210], v[205:206], v[207:208]
	v_add_f64 v[147:148], v[147:148], -v[207:208]
	ds_read2_b64 v[207:210], v253 offset0:30 offset1:31
	s_waitcnt lgkmcnt(0)
	v_mul_f64 v[181:182], v[209:210], v[183:184]
	v_fma_f64 v[181:182], v[207:208], v[205:206], -v[181:182]
	v_mul_f64 v[207:208], v[207:208], v[183:184]
	v_add_f64 v[141:142], v[141:142], -v[181:182]
	v_fma_f64 v[207:208], v[209:210], v[205:206], v[207:208]
	v_add_f64 v[143:144], v[143:144], -v[207:208]
	ds_read2_b64 v[207:210], v253 offset0:32 offset1:33
	s_waitcnt lgkmcnt(0)
	v_mul_f64 v[181:182], v[209:210], v[183:184]
	v_fma_f64 v[181:182], v[207:208], v[205:206], -v[181:182]
	v_mul_f64 v[207:208], v[207:208], v[183:184]
	v_add_f64 v[137:138], v[137:138], -v[181:182]
	v_fma_f64 v[207:208], v[209:210], v[205:206], v[207:208]
	v_add_f64 v[139:140], v[139:140], -v[207:208]
	ds_read2_b64 v[207:210], v253 offset0:34 offset1:35
	s_waitcnt lgkmcnt(0)
	v_mul_f64 v[181:182], v[209:210], v[183:184]
	v_fma_f64 v[181:182], v[207:208], v[205:206], -v[181:182]
	v_mul_f64 v[207:208], v[207:208], v[183:184]
	v_add_f64 v[133:134], v[133:134], -v[181:182]
	v_fma_f64 v[207:208], v[209:210], v[205:206], v[207:208]
	v_add_f64 v[135:136], v[135:136], -v[207:208]
	ds_read2_b64 v[207:210], v253 offset0:36 offset1:37
	s_waitcnt lgkmcnt(0)
	v_mul_f64 v[181:182], v[209:210], v[183:184]
	v_fma_f64 v[181:182], v[207:208], v[205:206], -v[181:182]
	v_mul_f64 v[207:208], v[207:208], v[183:184]
	v_add_f64 v[129:130], v[129:130], -v[181:182]
	v_fma_f64 v[207:208], v[209:210], v[205:206], v[207:208]
	v_add_f64 v[131:132], v[131:132], -v[207:208]
	ds_read2_b64 v[207:210], v253 offset0:38 offset1:39
	s_waitcnt lgkmcnt(0)
	v_mul_f64 v[181:182], v[209:210], v[183:184]
	v_fma_f64 v[181:182], v[207:208], v[205:206], -v[181:182]
	v_mul_f64 v[207:208], v[207:208], v[183:184]
	v_add_f64 v[125:126], v[125:126], -v[181:182]
	v_fma_f64 v[207:208], v[209:210], v[205:206], v[207:208]
	v_add_f64 v[127:128], v[127:128], -v[207:208]
	ds_read2_b64 v[207:210], v253 offset0:40 offset1:41
	s_waitcnt lgkmcnt(0)
	v_mul_f64 v[181:182], v[209:210], v[183:184]
	v_fma_f64 v[181:182], v[207:208], v[205:206], -v[181:182]
	v_mul_f64 v[207:208], v[207:208], v[183:184]
	v_add_f64 v[121:122], v[121:122], -v[181:182]
	v_fma_f64 v[207:208], v[209:210], v[205:206], v[207:208]
	v_add_f64 v[123:124], v[123:124], -v[207:208]
	ds_read2_b64 v[207:210], v253 offset0:42 offset1:43
	s_waitcnt lgkmcnt(0)
	v_mul_f64 v[181:182], v[209:210], v[183:184]
	v_fma_f64 v[181:182], v[207:208], v[205:206], -v[181:182]
	v_mul_f64 v[207:208], v[207:208], v[183:184]
	v_add_f64 v[117:118], v[117:118], -v[181:182]
	v_fma_f64 v[207:208], v[209:210], v[205:206], v[207:208]
	v_add_f64 v[119:120], v[119:120], -v[207:208]
	ds_read2_b64 v[207:210], v253 offset0:44 offset1:45
	s_waitcnt lgkmcnt(0)
	v_mul_f64 v[181:182], v[209:210], v[183:184]
	v_fma_f64 v[181:182], v[207:208], v[205:206], -v[181:182]
	v_mul_f64 v[207:208], v[207:208], v[183:184]
	v_add_f64 v[113:114], v[113:114], -v[181:182]
	v_fma_f64 v[207:208], v[209:210], v[205:206], v[207:208]
	v_add_f64 v[115:116], v[115:116], -v[207:208]
	ds_read2_b64 v[207:210], v253 offset0:46 offset1:47
	s_waitcnt lgkmcnt(0)
	v_mul_f64 v[181:182], v[209:210], v[183:184]
	v_fma_f64 v[181:182], v[207:208], v[205:206], -v[181:182]
	v_mul_f64 v[207:208], v[207:208], v[183:184]
	v_add_f64 v[109:110], v[109:110], -v[181:182]
	v_fma_f64 v[207:208], v[209:210], v[205:206], v[207:208]
	v_add_f64 v[111:112], v[111:112], -v[207:208]
	ds_read2_b64 v[207:210], v253 offset0:48 offset1:49
	s_waitcnt lgkmcnt(0)
	v_mul_f64 v[181:182], v[209:210], v[183:184]
	v_fma_f64 v[181:182], v[207:208], v[205:206], -v[181:182]
	v_mul_f64 v[207:208], v[207:208], v[183:184]
	v_add_f64 v[105:106], v[105:106], -v[181:182]
	v_fma_f64 v[207:208], v[209:210], v[205:206], v[207:208]
	v_add_f64 v[107:108], v[107:108], -v[207:208]
	ds_read2_b64 v[207:210], v253 offset0:50 offset1:51
	s_waitcnt lgkmcnt(0)
	v_mul_f64 v[181:182], v[209:210], v[183:184]
	v_fma_f64 v[181:182], v[207:208], v[205:206], -v[181:182]
	v_mul_f64 v[207:208], v[207:208], v[183:184]
	v_add_f64 v[101:102], v[101:102], -v[181:182]
	v_fma_f64 v[207:208], v[209:210], v[205:206], v[207:208]
	v_add_f64 v[103:104], v[103:104], -v[207:208]
	ds_read2_b64 v[207:210], v253 offset0:52 offset1:53
	s_waitcnt lgkmcnt(0)
	v_mul_f64 v[181:182], v[209:210], v[183:184]
	v_fma_f64 v[181:182], v[207:208], v[205:206], -v[181:182]
	v_mul_f64 v[207:208], v[207:208], v[183:184]
	v_add_f64 v[97:98], v[97:98], -v[181:182]
	v_fma_f64 v[207:208], v[209:210], v[205:206], v[207:208]
	v_add_f64 v[99:100], v[99:100], -v[207:208]
	ds_read2_b64 v[207:210], v253 offset0:54 offset1:55
	s_waitcnt lgkmcnt(0)
	v_mul_f64 v[181:182], v[209:210], v[183:184]
	v_fma_f64 v[181:182], v[207:208], v[205:206], -v[181:182]
	v_mul_f64 v[207:208], v[207:208], v[183:184]
	v_add_f64 v[93:94], v[93:94], -v[181:182]
	v_fma_f64 v[207:208], v[209:210], v[205:206], v[207:208]
	v_add_f64 v[95:96], v[95:96], -v[207:208]
	ds_read2_b64 v[207:210], v253 offset0:56 offset1:57
	s_waitcnt lgkmcnt(0)
	v_mul_f64 v[181:182], v[209:210], v[183:184]
	v_fma_f64 v[181:182], v[207:208], v[205:206], -v[181:182]
	v_mul_f64 v[207:208], v[207:208], v[183:184]
	v_add_f64 v[89:90], v[89:90], -v[181:182]
	v_fma_f64 v[207:208], v[209:210], v[205:206], v[207:208]
	v_add_f64 v[91:92], v[91:92], -v[207:208]
	ds_read2_b64 v[207:210], v253 offset0:58 offset1:59
	s_waitcnt lgkmcnt(0)
	v_mul_f64 v[181:182], v[209:210], v[183:184]
	v_fma_f64 v[181:182], v[207:208], v[205:206], -v[181:182]
	v_mul_f64 v[207:208], v[207:208], v[183:184]
	v_add_f64 v[85:86], v[85:86], -v[181:182]
	v_fma_f64 v[207:208], v[209:210], v[205:206], v[207:208]
	v_add_f64 v[87:88], v[87:88], -v[207:208]
	ds_read2_b64 v[207:210], v253 offset0:60 offset1:61
	s_waitcnt lgkmcnt(0)
	v_mul_f64 v[181:182], v[209:210], v[183:184]
	v_fma_f64 v[181:182], v[207:208], v[205:206], -v[181:182]
	v_mul_f64 v[207:208], v[207:208], v[183:184]
	v_add_f64 v[81:82], v[81:82], -v[181:182]
	v_fma_f64 v[207:208], v[209:210], v[205:206], v[207:208]
	v_add_f64 v[83:84], v[83:84], -v[207:208]
	ds_read2_b64 v[207:210], v253 offset0:62 offset1:63
	s_waitcnt lgkmcnt(0)
	v_mul_f64 v[181:182], v[209:210], v[183:184]
	v_fma_f64 v[181:182], v[207:208], v[205:206], -v[181:182]
	v_mul_f64 v[207:208], v[207:208], v[183:184]
	v_add_f64 v[77:78], v[77:78], -v[181:182]
	v_fma_f64 v[207:208], v[209:210], v[205:206], v[207:208]
	v_add_f64 v[79:80], v[79:80], -v[207:208]
	ds_read2_b64 v[207:210], v253 offset0:64 offset1:65
	s_waitcnt lgkmcnt(0)
	v_mul_f64 v[181:182], v[209:210], v[183:184]
	v_fma_f64 v[181:182], v[207:208], v[205:206], -v[181:182]
	v_mul_f64 v[207:208], v[207:208], v[183:184]
	v_add_f64 v[73:74], v[73:74], -v[181:182]
	v_fma_f64 v[207:208], v[209:210], v[205:206], v[207:208]
	v_add_f64 v[75:76], v[75:76], -v[207:208]
	ds_read2_b64 v[207:210], v253 offset0:66 offset1:67
	s_waitcnt lgkmcnt(0)
	v_mul_f64 v[181:182], v[209:210], v[183:184]
	v_fma_f64 v[181:182], v[207:208], v[205:206], -v[181:182]
	v_mul_f64 v[207:208], v[207:208], v[183:184]
	v_add_f64 v[69:70], v[69:70], -v[181:182]
	v_fma_f64 v[207:208], v[209:210], v[205:206], v[207:208]
	v_add_f64 v[71:72], v[71:72], -v[207:208]
	ds_read2_b64 v[207:210], v253 offset0:68 offset1:69
	s_waitcnt lgkmcnt(0)
	v_mul_f64 v[181:182], v[209:210], v[183:184]
	v_fma_f64 v[181:182], v[207:208], v[205:206], -v[181:182]
	v_mul_f64 v[207:208], v[207:208], v[183:184]
	v_add_f64 v[65:66], v[65:66], -v[181:182]
	v_fma_f64 v[207:208], v[209:210], v[205:206], v[207:208]
	v_add_f64 v[67:68], v[67:68], -v[207:208]
	ds_read2_b64 v[207:210], v253 offset0:70 offset1:71
	s_waitcnt lgkmcnt(0)
	v_mul_f64 v[181:182], v[209:210], v[183:184]
	v_fma_f64 v[181:182], v[207:208], v[205:206], -v[181:182]
	v_mul_f64 v[207:208], v[207:208], v[183:184]
	v_add_f64 v[61:62], v[61:62], -v[181:182]
	v_fma_f64 v[207:208], v[209:210], v[205:206], v[207:208]
	v_add_f64 v[63:64], v[63:64], -v[207:208]
	ds_read2_b64 v[207:210], v253 offset0:72 offset1:73
	s_waitcnt lgkmcnt(0)
	v_mul_f64 v[181:182], v[209:210], v[183:184]
	v_fma_f64 v[181:182], v[207:208], v[205:206], -v[181:182]
	v_mul_f64 v[207:208], v[207:208], v[183:184]
	v_add_f64 v[57:58], v[57:58], -v[181:182]
	v_fma_f64 v[207:208], v[209:210], v[205:206], v[207:208]
	v_add_f64 v[59:60], v[59:60], -v[207:208]
	ds_read2_b64 v[207:210], v253 offset0:74 offset1:75
	s_waitcnt lgkmcnt(0)
	v_mul_f64 v[181:182], v[209:210], v[183:184]
	v_fma_f64 v[181:182], v[207:208], v[205:206], -v[181:182]
	v_mul_f64 v[207:208], v[207:208], v[183:184]
	v_add_f64 v[53:54], v[53:54], -v[181:182]
	v_fma_f64 v[207:208], v[209:210], v[205:206], v[207:208]
	v_add_f64 v[55:56], v[55:56], -v[207:208]
	ds_read2_b64 v[207:210], v253 offset0:76 offset1:77
	s_waitcnt lgkmcnt(0)
	v_mul_f64 v[181:182], v[209:210], v[183:184]
	v_fma_f64 v[181:182], v[207:208], v[205:206], -v[181:182]
	v_mul_f64 v[207:208], v[207:208], v[183:184]
	v_add_f64 v[49:50], v[49:50], -v[181:182]
	v_fma_f64 v[207:208], v[209:210], v[205:206], v[207:208]
	v_add_f64 v[51:52], v[51:52], -v[207:208]
	ds_read2_b64 v[207:210], v253 offset0:78 offset1:79
	s_waitcnt lgkmcnt(0)
	v_mul_f64 v[181:182], v[209:210], v[183:184]
	v_fma_f64 v[181:182], v[207:208], v[205:206], -v[181:182]
	v_mul_f64 v[207:208], v[207:208], v[183:184]
	v_add_f64 v[45:46], v[45:46], -v[181:182]
	v_fma_f64 v[207:208], v[209:210], v[205:206], v[207:208]
	v_add_f64 v[47:48], v[47:48], -v[207:208]
	ds_read2_b64 v[207:210], v253 offset0:80 offset1:81
	s_waitcnt lgkmcnt(0)
	v_mul_f64 v[181:182], v[209:210], v[183:184]
	v_fma_f64 v[181:182], v[207:208], v[205:206], -v[181:182]
	v_mul_f64 v[207:208], v[207:208], v[183:184]
	v_add_f64 v[41:42], v[41:42], -v[181:182]
	v_fma_f64 v[207:208], v[209:210], v[205:206], v[207:208]
	v_add_f64 v[43:44], v[43:44], -v[207:208]
	ds_read2_b64 v[207:210], v253 offset0:82 offset1:83
	s_waitcnt lgkmcnt(0)
	v_mul_f64 v[181:182], v[209:210], v[183:184]
	v_fma_f64 v[181:182], v[207:208], v[205:206], -v[181:182]
	v_mul_f64 v[207:208], v[207:208], v[183:184]
	v_add_f64 v[37:38], v[37:38], -v[181:182]
	v_fma_f64 v[207:208], v[209:210], v[205:206], v[207:208]
	v_add_f64 v[39:40], v[39:40], -v[207:208]
	ds_read2_b64 v[207:210], v253 offset0:84 offset1:85
	s_waitcnt lgkmcnt(0)
	v_mul_f64 v[181:182], v[209:210], v[183:184]
	v_fma_f64 v[181:182], v[207:208], v[205:206], -v[181:182]
	v_mul_f64 v[207:208], v[207:208], v[183:184]
	v_add_f64 v[33:34], v[33:34], -v[181:182]
	v_fma_f64 v[207:208], v[209:210], v[205:206], v[207:208]
	v_add_f64 v[35:36], v[35:36], -v[207:208]
	ds_read2_b64 v[207:210], v253 offset0:86 offset1:87
	s_waitcnt lgkmcnt(0)
	v_mul_f64 v[181:182], v[209:210], v[183:184]
	v_fma_f64 v[181:182], v[207:208], v[205:206], -v[181:182]
	v_mul_f64 v[207:208], v[207:208], v[183:184]
	v_add_f64 v[29:30], v[29:30], -v[181:182]
	v_fma_f64 v[207:208], v[209:210], v[205:206], v[207:208]
	v_add_f64 v[31:32], v[31:32], -v[207:208]
	ds_read2_b64 v[207:210], v253 offset0:88 offset1:89
	s_waitcnt lgkmcnt(0)
	v_mul_f64 v[181:182], v[209:210], v[183:184]
	v_fma_f64 v[181:182], v[207:208], v[205:206], -v[181:182]
	v_mul_f64 v[207:208], v[207:208], v[183:184]
	v_add_f64 v[25:26], v[25:26], -v[181:182]
	v_fma_f64 v[207:208], v[209:210], v[205:206], v[207:208]
	v_add_f64 v[27:28], v[27:28], -v[207:208]
	ds_read2_b64 v[207:210], v253 offset0:90 offset1:91
	s_waitcnt lgkmcnt(0)
	v_mul_f64 v[181:182], v[209:210], v[183:184]
	v_fma_f64 v[181:182], v[207:208], v[205:206], -v[181:182]
	v_mul_f64 v[207:208], v[207:208], v[183:184]
	v_add_f64 v[21:22], v[21:22], -v[181:182]
	v_fma_f64 v[207:208], v[209:210], v[205:206], v[207:208]
	v_add_f64 v[23:24], v[23:24], -v[207:208]
	ds_read2_b64 v[207:210], v253 offset0:92 offset1:93
	s_waitcnt lgkmcnt(0)
	v_mul_f64 v[181:182], v[209:210], v[183:184]
	v_fma_f64 v[181:182], v[207:208], v[205:206], -v[181:182]
	v_mul_f64 v[207:208], v[207:208], v[183:184]
	v_add_f64 v[17:18], v[17:18], -v[181:182]
	v_fma_f64 v[207:208], v[209:210], v[205:206], v[207:208]
	v_add_f64 v[19:20], v[19:20], -v[207:208]
	ds_read2_b64 v[207:210], v253 offset0:94 offset1:95
	s_waitcnt lgkmcnt(0)
	v_mul_f64 v[181:182], v[209:210], v[183:184]
	v_fma_f64 v[181:182], v[207:208], v[205:206], -v[181:182]
	v_mul_f64 v[207:208], v[207:208], v[183:184]
	v_add_f64 v[13:14], v[13:14], -v[181:182]
	v_fma_f64 v[207:208], v[209:210], v[205:206], v[207:208]
	v_add_f64 v[15:16], v[15:16], -v[207:208]
	ds_read2_b64 v[207:210], v253 offset0:96 offset1:97
	s_waitcnt lgkmcnt(0)
	v_mul_f64 v[181:182], v[209:210], v[183:184]
	v_fma_f64 v[181:182], v[207:208], v[205:206], -v[181:182]
	v_mul_f64 v[207:208], v[207:208], v[183:184]
	v_add_f64 v[9:10], v[9:10], -v[181:182]
	v_fma_f64 v[207:208], v[209:210], v[205:206], v[207:208]
	v_add_f64 v[11:12], v[11:12], -v[207:208]
	ds_read2_b64 v[207:210], v253 offset0:98 offset1:99
	s_waitcnt lgkmcnt(0)
	v_mul_f64 v[181:182], v[209:210], v[183:184]
	v_fma_f64 v[181:182], v[207:208], v[205:206], -v[181:182]
	v_mul_f64 v[207:208], v[207:208], v[183:184]
	v_add_f64 v[5:6], v[5:6], -v[181:182]
	v_fma_f64 v[207:208], v[209:210], v[205:206], v[207:208]
	v_add_f64 v[7:8], v[7:8], -v[207:208]
	ds_read2_b64 v[207:210], v253 offset0:100 offset1:101
	s_waitcnt lgkmcnt(0)
	v_mul_f64 v[181:182], v[209:210], v[183:184]
	v_fma_f64 v[181:182], v[207:208], v[205:206], -v[181:182]
	v_mul_f64 v[207:208], v[207:208], v[183:184]
	v_add_f64 v[1:2], v[1:2], -v[181:182]
	v_fma_f64 v[207:208], v[209:210], v[205:206], v[207:208]
	v_mov_b32_e32 v181, v205
	v_mov_b32_e32 v182, v206
	v_add_f64 v[3:4], v[3:4], -v[207:208]
.LBB101_55:
	s_or_b32 exec_lo, exec_lo, s1
	s_mov_b32 s2, exec_lo
	s_waitcnt_vscnt null, 0x0
	s_barrier
	buffer_gl0_inv
	v_cmpx_eq_u32_e32 6, v0
	s_cbranch_execz .LBB101_62
; %bb.56:
	ds_write2_b64 v255, v[177:178], v[179:180] offset1:1
	ds_write2_b64 v253, v[173:174], v[175:176] offset0:14 offset1:15
	ds_write2_b64 v253, v[169:170], v[171:172] offset0:16 offset1:17
	;; [unrolled: 1-line block ×44, first 2 shown]
	ds_read2_b64 v[205:208], v255 offset1:1
	s_waitcnt lgkmcnt(0)
	v_cmp_neq_f64_e32 vcc_lo, 0, v[205:206]
	v_cmp_neq_f64_e64 s1, 0, v[207:208]
	s_or_b32 s1, vcc_lo, s1
	s_and_b32 exec_lo, exec_lo, s1
	s_cbranch_execz .LBB101_62
; %bb.57:
	v_cmp_ngt_f64_e64 s1, |v[205:206]|, |v[207:208]|
                                        ; implicit-def: $vgpr209_vgpr210
	s_and_saveexec_b32 s3, s1
	s_xor_b32 s1, exec_lo, s3
                                        ; implicit-def: $vgpr211_vgpr212
	s_cbranch_execz .LBB101_59
; %bb.58:
	v_div_scale_f64 v[209:210], null, v[207:208], v[207:208], v[205:206]
	v_div_scale_f64 v[215:216], vcc_lo, v[205:206], v[207:208], v[205:206]
	v_rcp_f64_e32 v[211:212], v[209:210]
	v_fma_f64 v[213:214], -v[209:210], v[211:212], 1.0
	v_fma_f64 v[211:212], v[211:212], v[213:214], v[211:212]
	v_fma_f64 v[213:214], -v[209:210], v[211:212], 1.0
	v_fma_f64 v[211:212], v[211:212], v[213:214], v[211:212]
	v_mul_f64 v[213:214], v[215:216], v[211:212]
	v_fma_f64 v[209:210], -v[209:210], v[213:214], v[215:216]
	v_div_fmas_f64 v[209:210], v[209:210], v[211:212], v[213:214]
	v_div_fixup_f64 v[209:210], v[209:210], v[207:208], v[205:206]
	v_fma_f64 v[205:206], v[205:206], v[209:210], v[207:208]
	v_div_scale_f64 v[207:208], null, v[205:206], v[205:206], 1.0
	v_rcp_f64_e32 v[211:212], v[207:208]
	v_fma_f64 v[213:214], -v[207:208], v[211:212], 1.0
	v_fma_f64 v[211:212], v[211:212], v[213:214], v[211:212]
	v_fma_f64 v[213:214], -v[207:208], v[211:212], 1.0
	v_fma_f64 v[211:212], v[211:212], v[213:214], v[211:212]
	v_div_scale_f64 v[213:214], vcc_lo, 1.0, v[205:206], 1.0
	v_mul_f64 v[215:216], v[213:214], v[211:212]
	v_fma_f64 v[207:208], -v[207:208], v[215:216], v[213:214]
	v_div_fmas_f64 v[207:208], v[207:208], v[211:212], v[215:216]
	v_div_fixup_f64 v[211:212], v[207:208], v[205:206], 1.0
                                        ; implicit-def: $vgpr205_vgpr206
	v_mul_f64 v[209:210], v[209:210], v[211:212]
	v_xor_b32_e32 v212, 0x80000000, v212
.LBB101_59:
	s_andn2_saveexec_b32 s1, s1
	s_cbranch_execz .LBB101_61
; %bb.60:
	v_div_scale_f64 v[209:210], null, v[205:206], v[205:206], v[207:208]
	v_div_scale_f64 v[215:216], vcc_lo, v[207:208], v[205:206], v[207:208]
	v_rcp_f64_e32 v[211:212], v[209:210]
	v_fma_f64 v[213:214], -v[209:210], v[211:212], 1.0
	v_fma_f64 v[211:212], v[211:212], v[213:214], v[211:212]
	v_fma_f64 v[213:214], -v[209:210], v[211:212], 1.0
	v_fma_f64 v[211:212], v[211:212], v[213:214], v[211:212]
	v_mul_f64 v[213:214], v[215:216], v[211:212]
	v_fma_f64 v[209:210], -v[209:210], v[213:214], v[215:216]
	v_div_fmas_f64 v[209:210], v[209:210], v[211:212], v[213:214]
	v_div_fixup_f64 v[211:212], v[209:210], v[205:206], v[207:208]
	v_fma_f64 v[205:206], v[207:208], v[211:212], v[205:206]
	v_div_scale_f64 v[207:208], null, v[205:206], v[205:206], 1.0
	v_rcp_f64_e32 v[209:210], v[207:208]
	v_fma_f64 v[213:214], -v[207:208], v[209:210], 1.0
	v_fma_f64 v[209:210], v[209:210], v[213:214], v[209:210]
	v_fma_f64 v[213:214], -v[207:208], v[209:210], 1.0
	v_fma_f64 v[209:210], v[209:210], v[213:214], v[209:210]
	v_div_scale_f64 v[213:214], vcc_lo, 1.0, v[205:206], 1.0
	v_mul_f64 v[215:216], v[213:214], v[209:210]
	v_fma_f64 v[207:208], -v[207:208], v[215:216], v[213:214]
	v_div_fmas_f64 v[207:208], v[207:208], v[209:210], v[215:216]
	v_div_fixup_f64 v[209:210], v[207:208], v[205:206], 1.0
	v_mul_f64 v[211:212], v[211:212], -v[209:210]
.LBB101_61:
	s_or_b32 exec_lo, exec_lo, s1
	ds_write2_b64 v255, v[209:210], v[211:212] offset1:1
.LBB101_62:
	s_or_b32 exec_lo, exec_lo, s2
	s_waitcnt lgkmcnt(0)
	s_barrier
	buffer_gl0_inv
	ds_read2_b64 v[201:204], v255 offset1:1
	s_mov_b32 s1, exec_lo
	s_waitcnt lgkmcnt(0)
	buffer_store_dword v201, off, s[16:19], 0 offset:488 ; 4-byte Folded Spill
	buffer_store_dword v202, off, s[16:19], 0 offset:492 ; 4-byte Folded Spill
	;; [unrolled: 1-line block ×4, first 2 shown]
	v_cmpx_lt_u32_e32 6, v0
	s_cbranch_execz .LBB101_64
; %bb.63:
	s_clause 0x3
	buffer_load_dword v201, off, s[16:19], 0 offset:488
	buffer_load_dword v202, off, s[16:19], 0 offset:492
	;; [unrolled: 1-line block ×4, first 2 shown]
	ds_read2_b64 v[207:210], v253 offset0:14 offset1:15
	s_waitcnt vmcnt(0)
	v_mul_f64 v[205:206], v[203:204], v[179:180]
	v_mul_f64 v[179:180], v[201:202], v[179:180]
	v_fma_f64 v[205:206], v[201:202], v[177:178], -v[205:206]
	v_fma_f64 v[179:180], v[203:204], v[177:178], v[179:180]
	s_waitcnt lgkmcnt(0)
	v_mul_f64 v[177:178], v[209:210], v[179:180]
	v_fma_f64 v[177:178], v[207:208], v[205:206], -v[177:178]
	v_mul_f64 v[207:208], v[207:208], v[179:180]
	v_add_f64 v[173:174], v[173:174], -v[177:178]
	v_fma_f64 v[207:208], v[209:210], v[205:206], v[207:208]
	v_add_f64 v[175:176], v[175:176], -v[207:208]
	ds_read2_b64 v[207:210], v253 offset0:16 offset1:17
	s_waitcnt lgkmcnt(0)
	v_mul_f64 v[177:178], v[209:210], v[179:180]
	v_fma_f64 v[177:178], v[207:208], v[205:206], -v[177:178]
	v_mul_f64 v[207:208], v[207:208], v[179:180]
	v_add_f64 v[169:170], v[169:170], -v[177:178]
	v_fma_f64 v[207:208], v[209:210], v[205:206], v[207:208]
	v_add_f64 v[171:172], v[171:172], -v[207:208]
	ds_read2_b64 v[207:210], v253 offset0:18 offset1:19
	;; [unrolled: 8-line block ×43, first 2 shown]
	s_waitcnt lgkmcnt(0)
	v_mul_f64 v[177:178], v[209:210], v[179:180]
	v_fma_f64 v[177:178], v[207:208], v[205:206], -v[177:178]
	v_mul_f64 v[207:208], v[207:208], v[179:180]
	v_add_f64 v[1:2], v[1:2], -v[177:178]
	v_fma_f64 v[207:208], v[209:210], v[205:206], v[207:208]
	v_mov_b32_e32 v177, v205
	v_mov_b32_e32 v178, v206
	v_add_f64 v[3:4], v[3:4], -v[207:208]
.LBB101_64:
	s_or_b32 exec_lo, exec_lo, s1
	s_mov_b32 s2, exec_lo
	s_waitcnt_vscnt null, 0x0
	s_barrier
	buffer_gl0_inv
	v_cmpx_eq_u32_e32 7, v0
	s_cbranch_execz .LBB101_71
; %bb.65:
	ds_write2_b64 v255, v[173:174], v[175:176] offset1:1
	ds_write2_b64 v253, v[169:170], v[171:172] offset0:16 offset1:17
	ds_write2_b64 v253, v[165:166], v[167:168] offset0:18 offset1:19
	;; [unrolled: 1-line block ×43, first 2 shown]
	ds_read2_b64 v[205:208], v255 offset1:1
	s_waitcnt lgkmcnt(0)
	v_cmp_neq_f64_e32 vcc_lo, 0, v[205:206]
	v_cmp_neq_f64_e64 s1, 0, v[207:208]
	s_or_b32 s1, vcc_lo, s1
	s_and_b32 exec_lo, exec_lo, s1
	s_cbranch_execz .LBB101_71
; %bb.66:
	v_cmp_ngt_f64_e64 s1, |v[205:206]|, |v[207:208]|
                                        ; implicit-def: $vgpr209_vgpr210
	s_and_saveexec_b32 s3, s1
	s_xor_b32 s1, exec_lo, s3
                                        ; implicit-def: $vgpr211_vgpr212
	s_cbranch_execz .LBB101_68
; %bb.67:
	v_div_scale_f64 v[209:210], null, v[207:208], v[207:208], v[205:206]
	v_div_scale_f64 v[215:216], vcc_lo, v[205:206], v[207:208], v[205:206]
	v_rcp_f64_e32 v[211:212], v[209:210]
	v_fma_f64 v[213:214], -v[209:210], v[211:212], 1.0
	v_fma_f64 v[211:212], v[211:212], v[213:214], v[211:212]
	v_fma_f64 v[213:214], -v[209:210], v[211:212], 1.0
	v_fma_f64 v[211:212], v[211:212], v[213:214], v[211:212]
	v_mul_f64 v[213:214], v[215:216], v[211:212]
	v_fma_f64 v[209:210], -v[209:210], v[213:214], v[215:216]
	v_div_fmas_f64 v[209:210], v[209:210], v[211:212], v[213:214]
	v_div_fixup_f64 v[209:210], v[209:210], v[207:208], v[205:206]
	v_fma_f64 v[205:206], v[205:206], v[209:210], v[207:208]
	v_div_scale_f64 v[207:208], null, v[205:206], v[205:206], 1.0
	v_rcp_f64_e32 v[211:212], v[207:208]
	v_fma_f64 v[213:214], -v[207:208], v[211:212], 1.0
	v_fma_f64 v[211:212], v[211:212], v[213:214], v[211:212]
	v_fma_f64 v[213:214], -v[207:208], v[211:212], 1.0
	v_fma_f64 v[211:212], v[211:212], v[213:214], v[211:212]
	v_div_scale_f64 v[213:214], vcc_lo, 1.0, v[205:206], 1.0
	v_mul_f64 v[215:216], v[213:214], v[211:212]
	v_fma_f64 v[207:208], -v[207:208], v[215:216], v[213:214]
	v_div_fmas_f64 v[207:208], v[207:208], v[211:212], v[215:216]
	v_div_fixup_f64 v[211:212], v[207:208], v[205:206], 1.0
                                        ; implicit-def: $vgpr205_vgpr206
	v_mul_f64 v[209:210], v[209:210], v[211:212]
	v_xor_b32_e32 v212, 0x80000000, v212
.LBB101_68:
	s_andn2_saveexec_b32 s1, s1
	s_cbranch_execz .LBB101_70
; %bb.69:
	v_div_scale_f64 v[209:210], null, v[205:206], v[205:206], v[207:208]
	v_div_scale_f64 v[215:216], vcc_lo, v[207:208], v[205:206], v[207:208]
	v_rcp_f64_e32 v[211:212], v[209:210]
	v_fma_f64 v[213:214], -v[209:210], v[211:212], 1.0
	v_fma_f64 v[211:212], v[211:212], v[213:214], v[211:212]
	v_fma_f64 v[213:214], -v[209:210], v[211:212], 1.0
	v_fma_f64 v[211:212], v[211:212], v[213:214], v[211:212]
	v_mul_f64 v[213:214], v[215:216], v[211:212]
	v_fma_f64 v[209:210], -v[209:210], v[213:214], v[215:216]
	v_div_fmas_f64 v[209:210], v[209:210], v[211:212], v[213:214]
	v_div_fixup_f64 v[211:212], v[209:210], v[205:206], v[207:208]
	v_fma_f64 v[205:206], v[207:208], v[211:212], v[205:206]
	v_div_scale_f64 v[207:208], null, v[205:206], v[205:206], 1.0
	v_rcp_f64_e32 v[209:210], v[207:208]
	v_fma_f64 v[213:214], -v[207:208], v[209:210], 1.0
	v_fma_f64 v[209:210], v[209:210], v[213:214], v[209:210]
	v_fma_f64 v[213:214], -v[207:208], v[209:210], 1.0
	v_fma_f64 v[209:210], v[209:210], v[213:214], v[209:210]
	v_div_scale_f64 v[213:214], vcc_lo, 1.0, v[205:206], 1.0
	v_mul_f64 v[215:216], v[213:214], v[209:210]
	v_fma_f64 v[207:208], -v[207:208], v[215:216], v[213:214]
	v_div_fmas_f64 v[207:208], v[207:208], v[209:210], v[215:216]
	v_div_fixup_f64 v[209:210], v[207:208], v[205:206], 1.0
	v_mul_f64 v[211:212], v[211:212], -v[209:210]
.LBB101_70:
	s_or_b32 exec_lo, exec_lo, s1
	ds_write2_b64 v255, v[209:210], v[211:212] offset1:1
.LBB101_71:
	s_or_b32 exec_lo, exec_lo, s2
	s_waitcnt lgkmcnt(0)
	s_barrier
	buffer_gl0_inv
	ds_read2_b64 v[201:204], v255 offset1:1
	s_mov_b32 s1, exec_lo
	s_waitcnt lgkmcnt(0)
	buffer_store_dword v201, off, s[16:19], 0 offset:504 ; 4-byte Folded Spill
	buffer_store_dword v202, off, s[16:19], 0 offset:508 ; 4-byte Folded Spill
	;; [unrolled: 1-line block ×4, first 2 shown]
	v_cmpx_lt_u32_e32 7, v0
	s_cbranch_execz .LBB101_73
; %bb.72:
	s_clause 0x3
	buffer_load_dword v201, off, s[16:19], 0 offset:504
	buffer_load_dword v202, off, s[16:19], 0 offset:508
	;; [unrolled: 1-line block ×4, first 2 shown]
	ds_read2_b64 v[207:210], v253 offset0:16 offset1:17
	s_waitcnt vmcnt(0)
	v_mul_f64 v[205:206], v[203:204], v[175:176]
	v_mul_f64 v[175:176], v[201:202], v[175:176]
	v_fma_f64 v[205:206], v[201:202], v[173:174], -v[205:206]
	v_fma_f64 v[175:176], v[203:204], v[173:174], v[175:176]
	s_waitcnt lgkmcnt(0)
	v_mul_f64 v[173:174], v[209:210], v[175:176]
	v_fma_f64 v[173:174], v[207:208], v[205:206], -v[173:174]
	v_mul_f64 v[207:208], v[207:208], v[175:176]
	v_add_f64 v[169:170], v[169:170], -v[173:174]
	v_fma_f64 v[207:208], v[209:210], v[205:206], v[207:208]
	v_add_f64 v[171:172], v[171:172], -v[207:208]
	ds_read2_b64 v[207:210], v253 offset0:18 offset1:19
	s_waitcnt lgkmcnt(0)
	v_mul_f64 v[173:174], v[209:210], v[175:176]
	v_fma_f64 v[173:174], v[207:208], v[205:206], -v[173:174]
	v_mul_f64 v[207:208], v[207:208], v[175:176]
	v_add_f64 v[165:166], v[165:166], -v[173:174]
	v_fma_f64 v[207:208], v[209:210], v[205:206], v[207:208]
	v_add_f64 v[167:168], v[167:168], -v[207:208]
	ds_read2_b64 v[207:210], v253 offset0:20 offset1:21
	;; [unrolled: 8-line block ×42, first 2 shown]
	s_waitcnt lgkmcnt(0)
	v_mul_f64 v[173:174], v[209:210], v[175:176]
	v_fma_f64 v[173:174], v[207:208], v[205:206], -v[173:174]
	v_mul_f64 v[207:208], v[207:208], v[175:176]
	v_add_f64 v[1:2], v[1:2], -v[173:174]
	v_fma_f64 v[207:208], v[209:210], v[205:206], v[207:208]
	v_mov_b32_e32 v173, v205
	v_mov_b32_e32 v174, v206
	v_add_f64 v[3:4], v[3:4], -v[207:208]
.LBB101_73:
	s_or_b32 exec_lo, exec_lo, s1
	s_mov_b32 s2, exec_lo
	s_waitcnt_vscnt null, 0x0
	s_barrier
	buffer_gl0_inv
	v_cmpx_eq_u32_e32 8, v0
	s_cbranch_execz .LBB101_80
; %bb.74:
	ds_write2_b64 v255, v[169:170], v[171:172] offset1:1
	ds_write2_b64 v253, v[165:166], v[167:168] offset0:18 offset1:19
	ds_write2_b64 v253, v[161:162], v[163:164] offset0:20 offset1:21
	;; [unrolled: 1-line block ×42, first 2 shown]
	ds_read2_b64 v[205:208], v255 offset1:1
	s_waitcnt lgkmcnt(0)
	v_cmp_neq_f64_e32 vcc_lo, 0, v[205:206]
	v_cmp_neq_f64_e64 s1, 0, v[207:208]
	s_or_b32 s1, vcc_lo, s1
	s_and_b32 exec_lo, exec_lo, s1
	s_cbranch_execz .LBB101_80
; %bb.75:
	v_cmp_ngt_f64_e64 s1, |v[205:206]|, |v[207:208]|
                                        ; implicit-def: $vgpr209_vgpr210
	s_and_saveexec_b32 s3, s1
	s_xor_b32 s1, exec_lo, s3
                                        ; implicit-def: $vgpr211_vgpr212
	s_cbranch_execz .LBB101_77
; %bb.76:
	v_div_scale_f64 v[209:210], null, v[207:208], v[207:208], v[205:206]
	v_div_scale_f64 v[215:216], vcc_lo, v[205:206], v[207:208], v[205:206]
	v_rcp_f64_e32 v[211:212], v[209:210]
	v_fma_f64 v[213:214], -v[209:210], v[211:212], 1.0
	v_fma_f64 v[211:212], v[211:212], v[213:214], v[211:212]
	v_fma_f64 v[213:214], -v[209:210], v[211:212], 1.0
	v_fma_f64 v[211:212], v[211:212], v[213:214], v[211:212]
	v_mul_f64 v[213:214], v[215:216], v[211:212]
	v_fma_f64 v[209:210], -v[209:210], v[213:214], v[215:216]
	v_div_fmas_f64 v[209:210], v[209:210], v[211:212], v[213:214]
	v_div_fixup_f64 v[209:210], v[209:210], v[207:208], v[205:206]
	v_fma_f64 v[205:206], v[205:206], v[209:210], v[207:208]
	v_div_scale_f64 v[207:208], null, v[205:206], v[205:206], 1.0
	v_rcp_f64_e32 v[211:212], v[207:208]
	v_fma_f64 v[213:214], -v[207:208], v[211:212], 1.0
	v_fma_f64 v[211:212], v[211:212], v[213:214], v[211:212]
	v_fma_f64 v[213:214], -v[207:208], v[211:212], 1.0
	v_fma_f64 v[211:212], v[211:212], v[213:214], v[211:212]
	v_div_scale_f64 v[213:214], vcc_lo, 1.0, v[205:206], 1.0
	v_mul_f64 v[215:216], v[213:214], v[211:212]
	v_fma_f64 v[207:208], -v[207:208], v[215:216], v[213:214]
	v_div_fmas_f64 v[207:208], v[207:208], v[211:212], v[215:216]
	v_div_fixup_f64 v[211:212], v[207:208], v[205:206], 1.0
                                        ; implicit-def: $vgpr205_vgpr206
	v_mul_f64 v[209:210], v[209:210], v[211:212]
	v_xor_b32_e32 v212, 0x80000000, v212
.LBB101_77:
	s_andn2_saveexec_b32 s1, s1
	s_cbranch_execz .LBB101_79
; %bb.78:
	v_div_scale_f64 v[209:210], null, v[205:206], v[205:206], v[207:208]
	v_div_scale_f64 v[215:216], vcc_lo, v[207:208], v[205:206], v[207:208]
	v_rcp_f64_e32 v[211:212], v[209:210]
	v_fma_f64 v[213:214], -v[209:210], v[211:212], 1.0
	v_fma_f64 v[211:212], v[211:212], v[213:214], v[211:212]
	v_fma_f64 v[213:214], -v[209:210], v[211:212], 1.0
	v_fma_f64 v[211:212], v[211:212], v[213:214], v[211:212]
	v_mul_f64 v[213:214], v[215:216], v[211:212]
	v_fma_f64 v[209:210], -v[209:210], v[213:214], v[215:216]
	v_div_fmas_f64 v[209:210], v[209:210], v[211:212], v[213:214]
	v_div_fixup_f64 v[211:212], v[209:210], v[205:206], v[207:208]
	v_fma_f64 v[205:206], v[207:208], v[211:212], v[205:206]
	v_div_scale_f64 v[207:208], null, v[205:206], v[205:206], 1.0
	v_rcp_f64_e32 v[209:210], v[207:208]
	v_fma_f64 v[213:214], -v[207:208], v[209:210], 1.0
	v_fma_f64 v[209:210], v[209:210], v[213:214], v[209:210]
	v_fma_f64 v[213:214], -v[207:208], v[209:210], 1.0
	v_fma_f64 v[209:210], v[209:210], v[213:214], v[209:210]
	v_div_scale_f64 v[213:214], vcc_lo, 1.0, v[205:206], 1.0
	v_mul_f64 v[215:216], v[213:214], v[209:210]
	v_fma_f64 v[207:208], -v[207:208], v[215:216], v[213:214]
	v_div_fmas_f64 v[207:208], v[207:208], v[209:210], v[215:216]
	v_div_fixup_f64 v[209:210], v[207:208], v[205:206], 1.0
	v_mul_f64 v[211:212], v[211:212], -v[209:210]
.LBB101_79:
	s_or_b32 exec_lo, exec_lo, s1
	ds_write2_b64 v255, v[209:210], v[211:212] offset1:1
.LBB101_80:
	s_or_b32 exec_lo, exec_lo, s2
	s_waitcnt lgkmcnt(0)
	s_barrier
	buffer_gl0_inv
	ds_read2_b64 v[201:204], v255 offset1:1
	s_mov_b32 s1, exec_lo
	s_waitcnt lgkmcnt(0)
	buffer_store_dword v201, off, s[16:19], 0 offset:520 ; 4-byte Folded Spill
	buffer_store_dword v202, off, s[16:19], 0 offset:524 ; 4-byte Folded Spill
	;; [unrolled: 1-line block ×4, first 2 shown]
	v_cmpx_lt_u32_e32 8, v0
	s_cbranch_execz .LBB101_82
; %bb.81:
	s_clause 0x3
	buffer_load_dword v201, off, s[16:19], 0 offset:520
	buffer_load_dword v202, off, s[16:19], 0 offset:524
	;; [unrolled: 1-line block ×4, first 2 shown]
	ds_read2_b64 v[207:210], v253 offset0:18 offset1:19
	s_waitcnt vmcnt(0)
	v_mul_f64 v[205:206], v[203:204], v[171:172]
	v_mul_f64 v[171:172], v[201:202], v[171:172]
	v_fma_f64 v[205:206], v[201:202], v[169:170], -v[205:206]
	v_fma_f64 v[171:172], v[203:204], v[169:170], v[171:172]
	s_waitcnt lgkmcnt(0)
	v_mul_f64 v[169:170], v[209:210], v[171:172]
	v_fma_f64 v[169:170], v[207:208], v[205:206], -v[169:170]
	v_mul_f64 v[207:208], v[207:208], v[171:172]
	v_add_f64 v[165:166], v[165:166], -v[169:170]
	v_fma_f64 v[207:208], v[209:210], v[205:206], v[207:208]
	v_add_f64 v[167:168], v[167:168], -v[207:208]
	ds_read2_b64 v[207:210], v253 offset0:20 offset1:21
	s_waitcnt lgkmcnt(0)
	v_mul_f64 v[169:170], v[209:210], v[171:172]
	v_fma_f64 v[169:170], v[207:208], v[205:206], -v[169:170]
	v_mul_f64 v[207:208], v[207:208], v[171:172]
	v_add_f64 v[161:162], v[161:162], -v[169:170]
	v_fma_f64 v[207:208], v[209:210], v[205:206], v[207:208]
	v_add_f64 v[163:164], v[163:164], -v[207:208]
	ds_read2_b64 v[207:210], v253 offset0:22 offset1:23
	;; [unrolled: 8-line block ×41, first 2 shown]
	s_waitcnt lgkmcnt(0)
	v_mul_f64 v[169:170], v[209:210], v[171:172]
	v_fma_f64 v[169:170], v[207:208], v[205:206], -v[169:170]
	v_mul_f64 v[207:208], v[207:208], v[171:172]
	v_add_f64 v[1:2], v[1:2], -v[169:170]
	v_fma_f64 v[207:208], v[209:210], v[205:206], v[207:208]
	v_mov_b32_e32 v169, v205
	v_mov_b32_e32 v170, v206
	v_add_f64 v[3:4], v[3:4], -v[207:208]
.LBB101_82:
	s_or_b32 exec_lo, exec_lo, s1
	s_mov_b32 s2, exec_lo
	s_waitcnt_vscnt null, 0x0
	s_barrier
	buffer_gl0_inv
	v_cmpx_eq_u32_e32 9, v0
	s_cbranch_execz .LBB101_89
; %bb.83:
	ds_write2_b64 v255, v[165:166], v[167:168] offset1:1
	ds_write2_b64 v253, v[161:162], v[163:164] offset0:20 offset1:21
	ds_write2_b64 v253, v[157:158], v[159:160] offset0:22 offset1:23
	;; [unrolled: 1-line block ×41, first 2 shown]
	ds_read2_b64 v[205:208], v255 offset1:1
	s_waitcnt lgkmcnt(0)
	v_cmp_neq_f64_e32 vcc_lo, 0, v[205:206]
	v_cmp_neq_f64_e64 s1, 0, v[207:208]
	s_or_b32 s1, vcc_lo, s1
	s_and_b32 exec_lo, exec_lo, s1
	s_cbranch_execz .LBB101_89
; %bb.84:
	v_cmp_ngt_f64_e64 s1, |v[205:206]|, |v[207:208]|
                                        ; implicit-def: $vgpr209_vgpr210
	s_and_saveexec_b32 s3, s1
	s_xor_b32 s1, exec_lo, s3
                                        ; implicit-def: $vgpr211_vgpr212
	s_cbranch_execz .LBB101_86
; %bb.85:
	v_div_scale_f64 v[209:210], null, v[207:208], v[207:208], v[205:206]
	v_div_scale_f64 v[215:216], vcc_lo, v[205:206], v[207:208], v[205:206]
	v_rcp_f64_e32 v[211:212], v[209:210]
	v_fma_f64 v[213:214], -v[209:210], v[211:212], 1.0
	v_fma_f64 v[211:212], v[211:212], v[213:214], v[211:212]
	v_fma_f64 v[213:214], -v[209:210], v[211:212], 1.0
	v_fma_f64 v[211:212], v[211:212], v[213:214], v[211:212]
	v_mul_f64 v[213:214], v[215:216], v[211:212]
	v_fma_f64 v[209:210], -v[209:210], v[213:214], v[215:216]
	v_div_fmas_f64 v[209:210], v[209:210], v[211:212], v[213:214]
	v_div_fixup_f64 v[209:210], v[209:210], v[207:208], v[205:206]
	v_fma_f64 v[205:206], v[205:206], v[209:210], v[207:208]
	v_div_scale_f64 v[207:208], null, v[205:206], v[205:206], 1.0
	v_rcp_f64_e32 v[211:212], v[207:208]
	v_fma_f64 v[213:214], -v[207:208], v[211:212], 1.0
	v_fma_f64 v[211:212], v[211:212], v[213:214], v[211:212]
	v_fma_f64 v[213:214], -v[207:208], v[211:212], 1.0
	v_fma_f64 v[211:212], v[211:212], v[213:214], v[211:212]
	v_div_scale_f64 v[213:214], vcc_lo, 1.0, v[205:206], 1.0
	v_mul_f64 v[215:216], v[213:214], v[211:212]
	v_fma_f64 v[207:208], -v[207:208], v[215:216], v[213:214]
	v_div_fmas_f64 v[207:208], v[207:208], v[211:212], v[215:216]
	v_div_fixup_f64 v[211:212], v[207:208], v[205:206], 1.0
                                        ; implicit-def: $vgpr205_vgpr206
	v_mul_f64 v[209:210], v[209:210], v[211:212]
	v_xor_b32_e32 v212, 0x80000000, v212
.LBB101_86:
	s_andn2_saveexec_b32 s1, s1
	s_cbranch_execz .LBB101_88
; %bb.87:
	v_div_scale_f64 v[209:210], null, v[205:206], v[205:206], v[207:208]
	v_div_scale_f64 v[215:216], vcc_lo, v[207:208], v[205:206], v[207:208]
	v_rcp_f64_e32 v[211:212], v[209:210]
	v_fma_f64 v[213:214], -v[209:210], v[211:212], 1.0
	v_fma_f64 v[211:212], v[211:212], v[213:214], v[211:212]
	v_fma_f64 v[213:214], -v[209:210], v[211:212], 1.0
	v_fma_f64 v[211:212], v[211:212], v[213:214], v[211:212]
	v_mul_f64 v[213:214], v[215:216], v[211:212]
	v_fma_f64 v[209:210], -v[209:210], v[213:214], v[215:216]
	v_div_fmas_f64 v[209:210], v[209:210], v[211:212], v[213:214]
	v_div_fixup_f64 v[211:212], v[209:210], v[205:206], v[207:208]
	v_fma_f64 v[205:206], v[207:208], v[211:212], v[205:206]
	v_div_scale_f64 v[207:208], null, v[205:206], v[205:206], 1.0
	v_rcp_f64_e32 v[209:210], v[207:208]
	v_fma_f64 v[213:214], -v[207:208], v[209:210], 1.0
	v_fma_f64 v[209:210], v[209:210], v[213:214], v[209:210]
	v_fma_f64 v[213:214], -v[207:208], v[209:210], 1.0
	v_fma_f64 v[209:210], v[209:210], v[213:214], v[209:210]
	v_div_scale_f64 v[213:214], vcc_lo, 1.0, v[205:206], 1.0
	v_mul_f64 v[215:216], v[213:214], v[209:210]
	v_fma_f64 v[207:208], -v[207:208], v[215:216], v[213:214]
	v_div_fmas_f64 v[207:208], v[207:208], v[209:210], v[215:216]
	v_div_fixup_f64 v[209:210], v[207:208], v[205:206], 1.0
	v_mul_f64 v[211:212], v[211:212], -v[209:210]
.LBB101_88:
	s_or_b32 exec_lo, exec_lo, s1
	ds_write2_b64 v255, v[209:210], v[211:212] offset1:1
.LBB101_89:
	s_or_b32 exec_lo, exec_lo, s2
	s_waitcnt lgkmcnt(0)
	s_barrier
	buffer_gl0_inv
	ds_read2_b64 v[201:204], v255 offset1:1
	s_mov_b32 s1, exec_lo
	s_waitcnt lgkmcnt(0)
	buffer_store_dword v201, off, s[16:19], 0 offset:536 ; 4-byte Folded Spill
	buffer_store_dword v202, off, s[16:19], 0 offset:540 ; 4-byte Folded Spill
	;; [unrolled: 1-line block ×4, first 2 shown]
	v_cmpx_lt_u32_e32 9, v0
	s_cbranch_execz .LBB101_91
; %bb.90:
	s_clause 0x3
	buffer_load_dword v201, off, s[16:19], 0 offset:536
	buffer_load_dword v202, off, s[16:19], 0 offset:540
	;; [unrolled: 1-line block ×4, first 2 shown]
	ds_read2_b64 v[207:210], v253 offset0:20 offset1:21
	s_waitcnt vmcnt(0)
	v_mul_f64 v[205:206], v[203:204], v[167:168]
	v_mul_f64 v[167:168], v[201:202], v[167:168]
	v_fma_f64 v[205:206], v[201:202], v[165:166], -v[205:206]
	v_fma_f64 v[167:168], v[203:204], v[165:166], v[167:168]
	s_waitcnt lgkmcnt(0)
	v_mul_f64 v[165:166], v[209:210], v[167:168]
	v_fma_f64 v[165:166], v[207:208], v[205:206], -v[165:166]
	v_mul_f64 v[207:208], v[207:208], v[167:168]
	v_add_f64 v[161:162], v[161:162], -v[165:166]
	v_fma_f64 v[207:208], v[209:210], v[205:206], v[207:208]
	v_add_f64 v[163:164], v[163:164], -v[207:208]
	ds_read2_b64 v[207:210], v253 offset0:22 offset1:23
	s_waitcnt lgkmcnt(0)
	v_mul_f64 v[165:166], v[209:210], v[167:168]
	v_fma_f64 v[165:166], v[207:208], v[205:206], -v[165:166]
	v_mul_f64 v[207:208], v[207:208], v[167:168]
	v_add_f64 v[157:158], v[157:158], -v[165:166]
	v_fma_f64 v[207:208], v[209:210], v[205:206], v[207:208]
	v_add_f64 v[159:160], v[159:160], -v[207:208]
	ds_read2_b64 v[207:210], v253 offset0:24 offset1:25
	;; [unrolled: 8-line block ×40, first 2 shown]
	s_waitcnt lgkmcnt(0)
	v_mul_f64 v[165:166], v[209:210], v[167:168]
	v_fma_f64 v[165:166], v[207:208], v[205:206], -v[165:166]
	v_mul_f64 v[207:208], v[207:208], v[167:168]
	v_add_f64 v[1:2], v[1:2], -v[165:166]
	v_fma_f64 v[207:208], v[209:210], v[205:206], v[207:208]
	v_mov_b32_e32 v165, v205
	v_mov_b32_e32 v166, v206
	v_add_f64 v[3:4], v[3:4], -v[207:208]
.LBB101_91:
	s_or_b32 exec_lo, exec_lo, s1
	s_mov_b32 s2, exec_lo
	s_waitcnt_vscnt null, 0x0
	s_barrier
	buffer_gl0_inv
	v_cmpx_eq_u32_e32 10, v0
	s_cbranch_execz .LBB101_98
; %bb.92:
	ds_write2_b64 v255, v[161:162], v[163:164] offset1:1
	ds_write2_b64 v253, v[157:158], v[159:160] offset0:22 offset1:23
	ds_write2_b64 v253, v[153:154], v[155:156] offset0:24 offset1:25
	;; [unrolled: 1-line block ×40, first 2 shown]
	ds_read2_b64 v[205:208], v255 offset1:1
	s_waitcnt lgkmcnt(0)
	v_cmp_neq_f64_e32 vcc_lo, 0, v[205:206]
	v_cmp_neq_f64_e64 s1, 0, v[207:208]
	s_or_b32 s1, vcc_lo, s1
	s_and_b32 exec_lo, exec_lo, s1
	s_cbranch_execz .LBB101_98
; %bb.93:
	v_cmp_ngt_f64_e64 s1, |v[205:206]|, |v[207:208]|
                                        ; implicit-def: $vgpr209_vgpr210
	s_and_saveexec_b32 s3, s1
	s_xor_b32 s1, exec_lo, s3
                                        ; implicit-def: $vgpr211_vgpr212
	s_cbranch_execz .LBB101_95
; %bb.94:
	v_div_scale_f64 v[209:210], null, v[207:208], v[207:208], v[205:206]
	v_div_scale_f64 v[215:216], vcc_lo, v[205:206], v[207:208], v[205:206]
	v_rcp_f64_e32 v[211:212], v[209:210]
	v_fma_f64 v[213:214], -v[209:210], v[211:212], 1.0
	v_fma_f64 v[211:212], v[211:212], v[213:214], v[211:212]
	v_fma_f64 v[213:214], -v[209:210], v[211:212], 1.0
	v_fma_f64 v[211:212], v[211:212], v[213:214], v[211:212]
	v_mul_f64 v[213:214], v[215:216], v[211:212]
	v_fma_f64 v[209:210], -v[209:210], v[213:214], v[215:216]
	v_div_fmas_f64 v[209:210], v[209:210], v[211:212], v[213:214]
	v_div_fixup_f64 v[209:210], v[209:210], v[207:208], v[205:206]
	v_fma_f64 v[205:206], v[205:206], v[209:210], v[207:208]
	v_div_scale_f64 v[207:208], null, v[205:206], v[205:206], 1.0
	v_rcp_f64_e32 v[211:212], v[207:208]
	v_fma_f64 v[213:214], -v[207:208], v[211:212], 1.0
	v_fma_f64 v[211:212], v[211:212], v[213:214], v[211:212]
	v_fma_f64 v[213:214], -v[207:208], v[211:212], 1.0
	v_fma_f64 v[211:212], v[211:212], v[213:214], v[211:212]
	v_div_scale_f64 v[213:214], vcc_lo, 1.0, v[205:206], 1.0
	v_mul_f64 v[215:216], v[213:214], v[211:212]
	v_fma_f64 v[207:208], -v[207:208], v[215:216], v[213:214]
	v_div_fmas_f64 v[207:208], v[207:208], v[211:212], v[215:216]
	v_div_fixup_f64 v[211:212], v[207:208], v[205:206], 1.0
                                        ; implicit-def: $vgpr205_vgpr206
	v_mul_f64 v[209:210], v[209:210], v[211:212]
	v_xor_b32_e32 v212, 0x80000000, v212
.LBB101_95:
	s_andn2_saveexec_b32 s1, s1
	s_cbranch_execz .LBB101_97
; %bb.96:
	v_div_scale_f64 v[209:210], null, v[205:206], v[205:206], v[207:208]
	v_div_scale_f64 v[215:216], vcc_lo, v[207:208], v[205:206], v[207:208]
	v_rcp_f64_e32 v[211:212], v[209:210]
	v_fma_f64 v[213:214], -v[209:210], v[211:212], 1.0
	v_fma_f64 v[211:212], v[211:212], v[213:214], v[211:212]
	v_fma_f64 v[213:214], -v[209:210], v[211:212], 1.0
	v_fma_f64 v[211:212], v[211:212], v[213:214], v[211:212]
	v_mul_f64 v[213:214], v[215:216], v[211:212]
	v_fma_f64 v[209:210], -v[209:210], v[213:214], v[215:216]
	v_div_fmas_f64 v[209:210], v[209:210], v[211:212], v[213:214]
	v_div_fixup_f64 v[211:212], v[209:210], v[205:206], v[207:208]
	v_fma_f64 v[205:206], v[207:208], v[211:212], v[205:206]
	v_div_scale_f64 v[207:208], null, v[205:206], v[205:206], 1.0
	v_rcp_f64_e32 v[209:210], v[207:208]
	v_fma_f64 v[213:214], -v[207:208], v[209:210], 1.0
	v_fma_f64 v[209:210], v[209:210], v[213:214], v[209:210]
	v_fma_f64 v[213:214], -v[207:208], v[209:210], 1.0
	v_fma_f64 v[209:210], v[209:210], v[213:214], v[209:210]
	v_div_scale_f64 v[213:214], vcc_lo, 1.0, v[205:206], 1.0
	v_mul_f64 v[215:216], v[213:214], v[209:210]
	v_fma_f64 v[207:208], -v[207:208], v[215:216], v[213:214]
	v_div_fmas_f64 v[207:208], v[207:208], v[209:210], v[215:216]
	v_div_fixup_f64 v[209:210], v[207:208], v[205:206], 1.0
	v_mul_f64 v[211:212], v[211:212], -v[209:210]
.LBB101_97:
	s_or_b32 exec_lo, exec_lo, s1
	ds_write2_b64 v255, v[209:210], v[211:212] offset1:1
.LBB101_98:
	s_or_b32 exec_lo, exec_lo, s2
	s_waitcnt lgkmcnt(0)
	s_barrier
	buffer_gl0_inv
	ds_read2_b64 v[201:204], v255 offset1:1
	s_mov_b32 s1, exec_lo
	s_waitcnt lgkmcnt(0)
	buffer_store_dword v201, off, s[16:19], 0 offset:552 ; 4-byte Folded Spill
	buffer_store_dword v202, off, s[16:19], 0 offset:556 ; 4-byte Folded Spill
	;; [unrolled: 1-line block ×4, first 2 shown]
	v_cmpx_lt_u32_e32 10, v0
	s_cbranch_execz .LBB101_100
; %bb.99:
	s_clause 0x3
	buffer_load_dword v201, off, s[16:19], 0 offset:552
	buffer_load_dword v202, off, s[16:19], 0 offset:556
	;; [unrolled: 1-line block ×4, first 2 shown]
	ds_read2_b64 v[207:210], v253 offset0:22 offset1:23
	s_waitcnt vmcnt(0)
	v_mul_f64 v[205:206], v[203:204], v[163:164]
	v_mul_f64 v[163:164], v[201:202], v[163:164]
	v_fma_f64 v[205:206], v[201:202], v[161:162], -v[205:206]
	v_fma_f64 v[163:164], v[203:204], v[161:162], v[163:164]
	s_waitcnt lgkmcnt(0)
	v_mul_f64 v[161:162], v[209:210], v[163:164]
	v_fma_f64 v[161:162], v[207:208], v[205:206], -v[161:162]
	v_mul_f64 v[207:208], v[207:208], v[163:164]
	v_add_f64 v[157:158], v[157:158], -v[161:162]
	v_fma_f64 v[207:208], v[209:210], v[205:206], v[207:208]
	v_add_f64 v[159:160], v[159:160], -v[207:208]
	ds_read2_b64 v[207:210], v253 offset0:24 offset1:25
	s_waitcnt lgkmcnt(0)
	v_mul_f64 v[161:162], v[209:210], v[163:164]
	v_fma_f64 v[161:162], v[207:208], v[205:206], -v[161:162]
	v_mul_f64 v[207:208], v[207:208], v[163:164]
	v_add_f64 v[153:154], v[153:154], -v[161:162]
	v_fma_f64 v[207:208], v[209:210], v[205:206], v[207:208]
	v_add_f64 v[155:156], v[155:156], -v[207:208]
	ds_read2_b64 v[207:210], v253 offset0:26 offset1:27
	;; [unrolled: 8-line block ×39, first 2 shown]
	s_waitcnt lgkmcnt(0)
	v_mul_f64 v[161:162], v[209:210], v[163:164]
	v_fma_f64 v[161:162], v[207:208], v[205:206], -v[161:162]
	v_mul_f64 v[207:208], v[207:208], v[163:164]
	v_add_f64 v[1:2], v[1:2], -v[161:162]
	v_fma_f64 v[207:208], v[209:210], v[205:206], v[207:208]
	v_mov_b32_e32 v161, v205
	v_mov_b32_e32 v162, v206
	v_add_f64 v[3:4], v[3:4], -v[207:208]
.LBB101_100:
	s_or_b32 exec_lo, exec_lo, s1
	s_mov_b32 s2, exec_lo
	s_waitcnt_vscnt null, 0x0
	s_barrier
	buffer_gl0_inv
	v_cmpx_eq_u32_e32 11, v0
	s_cbranch_execz .LBB101_107
; %bb.101:
	ds_write2_b64 v255, v[157:158], v[159:160] offset1:1
	ds_write2_b64 v253, v[153:154], v[155:156] offset0:24 offset1:25
	ds_write2_b64 v253, v[149:150], v[151:152] offset0:26 offset1:27
	;; [unrolled: 1-line block ×39, first 2 shown]
	ds_read2_b64 v[205:208], v255 offset1:1
	s_waitcnt lgkmcnt(0)
	v_cmp_neq_f64_e32 vcc_lo, 0, v[205:206]
	v_cmp_neq_f64_e64 s1, 0, v[207:208]
	s_or_b32 s1, vcc_lo, s1
	s_and_b32 exec_lo, exec_lo, s1
	s_cbranch_execz .LBB101_107
; %bb.102:
	v_cmp_ngt_f64_e64 s1, |v[205:206]|, |v[207:208]|
                                        ; implicit-def: $vgpr209_vgpr210
	s_and_saveexec_b32 s3, s1
	s_xor_b32 s1, exec_lo, s3
                                        ; implicit-def: $vgpr211_vgpr212
	s_cbranch_execz .LBB101_104
; %bb.103:
	v_div_scale_f64 v[209:210], null, v[207:208], v[207:208], v[205:206]
	v_div_scale_f64 v[215:216], vcc_lo, v[205:206], v[207:208], v[205:206]
	v_rcp_f64_e32 v[211:212], v[209:210]
	v_fma_f64 v[213:214], -v[209:210], v[211:212], 1.0
	v_fma_f64 v[211:212], v[211:212], v[213:214], v[211:212]
	v_fma_f64 v[213:214], -v[209:210], v[211:212], 1.0
	v_fma_f64 v[211:212], v[211:212], v[213:214], v[211:212]
	v_mul_f64 v[213:214], v[215:216], v[211:212]
	v_fma_f64 v[209:210], -v[209:210], v[213:214], v[215:216]
	v_div_fmas_f64 v[209:210], v[209:210], v[211:212], v[213:214]
	v_div_fixup_f64 v[209:210], v[209:210], v[207:208], v[205:206]
	v_fma_f64 v[205:206], v[205:206], v[209:210], v[207:208]
	v_div_scale_f64 v[207:208], null, v[205:206], v[205:206], 1.0
	v_rcp_f64_e32 v[211:212], v[207:208]
	v_fma_f64 v[213:214], -v[207:208], v[211:212], 1.0
	v_fma_f64 v[211:212], v[211:212], v[213:214], v[211:212]
	v_fma_f64 v[213:214], -v[207:208], v[211:212], 1.0
	v_fma_f64 v[211:212], v[211:212], v[213:214], v[211:212]
	v_div_scale_f64 v[213:214], vcc_lo, 1.0, v[205:206], 1.0
	v_mul_f64 v[215:216], v[213:214], v[211:212]
	v_fma_f64 v[207:208], -v[207:208], v[215:216], v[213:214]
	v_div_fmas_f64 v[207:208], v[207:208], v[211:212], v[215:216]
	v_div_fixup_f64 v[211:212], v[207:208], v[205:206], 1.0
                                        ; implicit-def: $vgpr205_vgpr206
	v_mul_f64 v[209:210], v[209:210], v[211:212]
	v_xor_b32_e32 v212, 0x80000000, v212
.LBB101_104:
	s_andn2_saveexec_b32 s1, s1
	s_cbranch_execz .LBB101_106
; %bb.105:
	v_div_scale_f64 v[209:210], null, v[205:206], v[205:206], v[207:208]
	v_div_scale_f64 v[215:216], vcc_lo, v[207:208], v[205:206], v[207:208]
	v_rcp_f64_e32 v[211:212], v[209:210]
	v_fma_f64 v[213:214], -v[209:210], v[211:212], 1.0
	v_fma_f64 v[211:212], v[211:212], v[213:214], v[211:212]
	v_fma_f64 v[213:214], -v[209:210], v[211:212], 1.0
	v_fma_f64 v[211:212], v[211:212], v[213:214], v[211:212]
	v_mul_f64 v[213:214], v[215:216], v[211:212]
	v_fma_f64 v[209:210], -v[209:210], v[213:214], v[215:216]
	v_div_fmas_f64 v[209:210], v[209:210], v[211:212], v[213:214]
	v_div_fixup_f64 v[211:212], v[209:210], v[205:206], v[207:208]
	v_fma_f64 v[205:206], v[207:208], v[211:212], v[205:206]
	v_div_scale_f64 v[207:208], null, v[205:206], v[205:206], 1.0
	v_rcp_f64_e32 v[209:210], v[207:208]
	v_fma_f64 v[213:214], -v[207:208], v[209:210], 1.0
	v_fma_f64 v[209:210], v[209:210], v[213:214], v[209:210]
	v_fma_f64 v[213:214], -v[207:208], v[209:210], 1.0
	v_fma_f64 v[209:210], v[209:210], v[213:214], v[209:210]
	v_div_scale_f64 v[213:214], vcc_lo, 1.0, v[205:206], 1.0
	v_mul_f64 v[215:216], v[213:214], v[209:210]
	v_fma_f64 v[207:208], -v[207:208], v[215:216], v[213:214]
	v_div_fmas_f64 v[207:208], v[207:208], v[209:210], v[215:216]
	v_div_fixup_f64 v[209:210], v[207:208], v[205:206], 1.0
	v_mul_f64 v[211:212], v[211:212], -v[209:210]
.LBB101_106:
	s_or_b32 exec_lo, exec_lo, s1
	ds_write2_b64 v255, v[209:210], v[211:212] offset1:1
.LBB101_107:
	s_or_b32 exec_lo, exec_lo, s2
	s_waitcnt lgkmcnt(0)
	s_barrier
	buffer_gl0_inv
	ds_read2_b64 v[201:204], v255 offset1:1
	s_mov_b32 s1, exec_lo
	s_waitcnt lgkmcnt(0)
	buffer_store_dword v201, off, s[16:19], 0 offset:568 ; 4-byte Folded Spill
	buffer_store_dword v202, off, s[16:19], 0 offset:572 ; 4-byte Folded Spill
	buffer_store_dword v203, off, s[16:19], 0 offset:576 ; 4-byte Folded Spill
	buffer_store_dword v204, off, s[16:19], 0 offset:580 ; 4-byte Folded Spill
	v_cmpx_lt_u32_e32 11, v0
	s_cbranch_execz .LBB101_109
; %bb.108:
	s_clause 0x3
	buffer_load_dword v201, off, s[16:19], 0 offset:568
	buffer_load_dword v202, off, s[16:19], 0 offset:572
	;; [unrolled: 1-line block ×4, first 2 shown]
	ds_read2_b64 v[207:210], v253 offset0:24 offset1:25
	s_waitcnt vmcnt(0)
	v_mul_f64 v[205:206], v[203:204], v[159:160]
	v_mul_f64 v[159:160], v[201:202], v[159:160]
	v_fma_f64 v[205:206], v[201:202], v[157:158], -v[205:206]
	v_fma_f64 v[159:160], v[203:204], v[157:158], v[159:160]
	s_waitcnt lgkmcnt(0)
	v_mul_f64 v[157:158], v[209:210], v[159:160]
	v_fma_f64 v[157:158], v[207:208], v[205:206], -v[157:158]
	v_mul_f64 v[207:208], v[207:208], v[159:160]
	v_add_f64 v[153:154], v[153:154], -v[157:158]
	v_fma_f64 v[207:208], v[209:210], v[205:206], v[207:208]
	v_add_f64 v[155:156], v[155:156], -v[207:208]
	ds_read2_b64 v[207:210], v253 offset0:26 offset1:27
	s_waitcnt lgkmcnt(0)
	v_mul_f64 v[157:158], v[209:210], v[159:160]
	v_fma_f64 v[157:158], v[207:208], v[205:206], -v[157:158]
	v_mul_f64 v[207:208], v[207:208], v[159:160]
	v_add_f64 v[149:150], v[149:150], -v[157:158]
	v_fma_f64 v[207:208], v[209:210], v[205:206], v[207:208]
	v_add_f64 v[151:152], v[151:152], -v[207:208]
	ds_read2_b64 v[207:210], v253 offset0:28 offset1:29
	;; [unrolled: 8-line block ×38, first 2 shown]
	s_waitcnt lgkmcnt(0)
	v_mul_f64 v[157:158], v[209:210], v[159:160]
	v_fma_f64 v[157:158], v[207:208], v[205:206], -v[157:158]
	v_mul_f64 v[207:208], v[207:208], v[159:160]
	v_add_f64 v[1:2], v[1:2], -v[157:158]
	v_fma_f64 v[207:208], v[209:210], v[205:206], v[207:208]
	v_mov_b32_e32 v157, v205
	v_mov_b32_e32 v158, v206
	v_add_f64 v[3:4], v[3:4], -v[207:208]
.LBB101_109:
	s_or_b32 exec_lo, exec_lo, s1
	s_mov_b32 s2, exec_lo
	s_waitcnt_vscnt null, 0x0
	s_barrier
	buffer_gl0_inv
	v_cmpx_eq_u32_e32 12, v0
	s_cbranch_execz .LBB101_116
; %bb.110:
	ds_write2_b64 v255, v[153:154], v[155:156] offset1:1
	ds_write2_b64 v253, v[149:150], v[151:152] offset0:26 offset1:27
	ds_write2_b64 v253, v[145:146], v[147:148] offset0:28 offset1:29
	;; [unrolled: 1-line block ×38, first 2 shown]
	ds_read2_b64 v[205:208], v255 offset1:1
	s_waitcnt lgkmcnt(0)
	v_cmp_neq_f64_e32 vcc_lo, 0, v[205:206]
	v_cmp_neq_f64_e64 s1, 0, v[207:208]
	s_or_b32 s1, vcc_lo, s1
	s_and_b32 exec_lo, exec_lo, s1
	s_cbranch_execz .LBB101_116
; %bb.111:
	v_cmp_ngt_f64_e64 s1, |v[205:206]|, |v[207:208]|
                                        ; implicit-def: $vgpr209_vgpr210
	s_and_saveexec_b32 s3, s1
	s_xor_b32 s1, exec_lo, s3
                                        ; implicit-def: $vgpr211_vgpr212
	s_cbranch_execz .LBB101_113
; %bb.112:
	v_div_scale_f64 v[209:210], null, v[207:208], v[207:208], v[205:206]
	v_div_scale_f64 v[215:216], vcc_lo, v[205:206], v[207:208], v[205:206]
	v_rcp_f64_e32 v[211:212], v[209:210]
	v_fma_f64 v[213:214], -v[209:210], v[211:212], 1.0
	v_fma_f64 v[211:212], v[211:212], v[213:214], v[211:212]
	v_fma_f64 v[213:214], -v[209:210], v[211:212], 1.0
	v_fma_f64 v[211:212], v[211:212], v[213:214], v[211:212]
	v_mul_f64 v[213:214], v[215:216], v[211:212]
	v_fma_f64 v[209:210], -v[209:210], v[213:214], v[215:216]
	v_div_fmas_f64 v[209:210], v[209:210], v[211:212], v[213:214]
	v_div_fixup_f64 v[209:210], v[209:210], v[207:208], v[205:206]
	v_fma_f64 v[205:206], v[205:206], v[209:210], v[207:208]
	v_div_scale_f64 v[207:208], null, v[205:206], v[205:206], 1.0
	v_rcp_f64_e32 v[211:212], v[207:208]
	v_fma_f64 v[213:214], -v[207:208], v[211:212], 1.0
	v_fma_f64 v[211:212], v[211:212], v[213:214], v[211:212]
	v_fma_f64 v[213:214], -v[207:208], v[211:212], 1.0
	v_fma_f64 v[211:212], v[211:212], v[213:214], v[211:212]
	v_div_scale_f64 v[213:214], vcc_lo, 1.0, v[205:206], 1.0
	v_mul_f64 v[215:216], v[213:214], v[211:212]
	v_fma_f64 v[207:208], -v[207:208], v[215:216], v[213:214]
	v_div_fmas_f64 v[207:208], v[207:208], v[211:212], v[215:216]
	v_div_fixup_f64 v[211:212], v[207:208], v[205:206], 1.0
                                        ; implicit-def: $vgpr205_vgpr206
	v_mul_f64 v[209:210], v[209:210], v[211:212]
	v_xor_b32_e32 v212, 0x80000000, v212
.LBB101_113:
	s_andn2_saveexec_b32 s1, s1
	s_cbranch_execz .LBB101_115
; %bb.114:
	v_div_scale_f64 v[209:210], null, v[205:206], v[205:206], v[207:208]
	v_div_scale_f64 v[215:216], vcc_lo, v[207:208], v[205:206], v[207:208]
	v_rcp_f64_e32 v[211:212], v[209:210]
	v_fma_f64 v[213:214], -v[209:210], v[211:212], 1.0
	v_fma_f64 v[211:212], v[211:212], v[213:214], v[211:212]
	v_fma_f64 v[213:214], -v[209:210], v[211:212], 1.0
	v_fma_f64 v[211:212], v[211:212], v[213:214], v[211:212]
	v_mul_f64 v[213:214], v[215:216], v[211:212]
	v_fma_f64 v[209:210], -v[209:210], v[213:214], v[215:216]
	v_div_fmas_f64 v[209:210], v[209:210], v[211:212], v[213:214]
	v_div_fixup_f64 v[211:212], v[209:210], v[205:206], v[207:208]
	v_fma_f64 v[205:206], v[207:208], v[211:212], v[205:206]
	v_div_scale_f64 v[207:208], null, v[205:206], v[205:206], 1.0
	v_rcp_f64_e32 v[209:210], v[207:208]
	v_fma_f64 v[213:214], -v[207:208], v[209:210], 1.0
	v_fma_f64 v[209:210], v[209:210], v[213:214], v[209:210]
	v_fma_f64 v[213:214], -v[207:208], v[209:210], 1.0
	v_fma_f64 v[209:210], v[209:210], v[213:214], v[209:210]
	v_div_scale_f64 v[213:214], vcc_lo, 1.0, v[205:206], 1.0
	v_mul_f64 v[215:216], v[213:214], v[209:210]
	v_fma_f64 v[207:208], -v[207:208], v[215:216], v[213:214]
	v_div_fmas_f64 v[207:208], v[207:208], v[209:210], v[215:216]
	v_div_fixup_f64 v[209:210], v[207:208], v[205:206], 1.0
	v_mul_f64 v[211:212], v[211:212], -v[209:210]
.LBB101_115:
	s_or_b32 exec_lo, exec_lo, s1
	ds_write2_b64 v255, v[209:210], v[211:212] offset1:1
.LBB101_116:
	s_or_b32 exec_lo, exec_lo, s2
	s_waitcnt lgkmcnt(0)
	s_barrier
	buffer_gl0_inv
	ds_read2_b64 v[201:204], v255 offset1:1
	s_mov_b32 s1, exec_lo
	s_waitcnt lgkmcnt(0)
	buffer_store_dword v201, off, s[16:19], 0 offset:584 ; 4-byte Folded Spill
	buffer_store_dword v202, off, s[16:19], 0 offset:588 ; 4-byte Folded Spill
	buffer_store_dword v203, off, s[16:19], 0 offset:592 ; 4-byte Folded Spill
	buffer_store_dword v204, off, s[16:19], 0 offset:596 ; 4-byte Folded Spill
	v_cmpx_lt_u32_e32 12, v0
	s_cbranch_execz .LBB101_118
; %bb.117:
	s_clause 0x3
	buffer_load_dword v201, off, s[16:19], 0 offset:584
	buffer_load_dword v202, off, s[16:19], 0 offset:588
	;; [unrolled: 1-line block ×4, first 2 shown]
	ds_read2_b64 v[207:210], v253 offset0:26 offset1:27
	s_waitcnt vmcnt(0)
	v_mul_f64 v[205:206], v[203:204], v[155:156]
	v_mul_f64 v[155:156], v[201:202], v[155:156]
	v_fma_f64 v[205:206], v[201:202], v[153:154], -v[205:206]
	v_fma_f64 v[155:156], v[203:204], v[153:154], v[155:156]
	s_waitcnt lgkmcnt(0)
	v_mul_f64 v[153:154], v[209:210], v[155:156]
	v_fma_f64 v[153:154], v[207:208], v[205:206], -v[153:154]
	v_mul_f64 v[207:208], v[207:208], v[155:156]
	v_add_f64 v[149:150], v[149:150], -v[153:154]
	v_fma_f64 v[207:208], v[209:210], v[205:206], v[207:208]
	v_add_f64 v[151:152], v[151:152], -v[207:208]
	ds_read2_b64 v[207:210], v253 offset0:28 offset1:29
	s_waitcnt lgkmcnt(0)
	v_mul_f64 v[153:154], v[209:210], v[155:156]
	v_fma_f64 v[153:154], v[207:208], v[205:206], -v[153:154]
	v_mul_f64 v[207:208], v[207:208], v[155:156]
	v_add_f64 v[145:146], v[145:146], -v[153:154]
	v_fma_f64 v[207:208], v[209:210], v[205:206], v[207:208]
	v_add_f64 v[147:148], v[147:148], -v[207:208]
	ds_read2_b64 v[207:210], v253 offset0:30 offset1:31
	;; [unrolled: 8-line block ×37, first 2 shown]
	s_waitcnt lgkmcnt(0)
	v_mul_f64 v[153:154], v[209:210], v[155:156]
	v_fma_f64 v[153:154], v[207:208], v[205:206], -v[153:154]
	v_mul_f64 v[207:208], v[207:208], v[155:156]
	v_add_f64 v[1:2], v[1:2], -v[153:154]
	v_fma_f64 v[207:208], v[209:210], v[205:206], v[207:208]
	v_mov_b32_e32 v153, v205
	v_mov_b32_e32 v154, v206
	v_add_f64 v[3:4], v[3:4], -v[207:208]
.LBB101_118:
	s_or_b32 exec_lo, exec_lo, s1
	s_mov_b32 s2, exec_lo
	s_waitcnt_vscnt null, 0x0
	s_barrier
	buffer_gl0_inv
	v_cmpx_eq_u32_e32 13, v0
	s_cbranch_execz .LBB101_125
; %bb.119:
	ds_write2_b64 v255, v[149:150], v[151:152] offset1:1
	ds_write2_b64 v253, v[145:146], v[147:148] offset0:28 offset1:29
	ds_write2_b64 v253, v[141:142], v[143:144] offset0:30 offset1:31
	;; [unrolled: 1-line block ×37, first 2 shown]
	ds_read2_b64 v[205:208], v255 offset1:1
	s_waitcnt lgkmcnt(0)
	v_cmp_neq_f64_e32 vcc_lo, 0, v[205:206]
	v_cmp_neq_f64_e64 s1, 0, v[207:208]
	s_or_b32 s1, vcc_lo, s1
	s_and_b32 exec_lo, exec_lo, s1
	s_cbranch_execz .LBB101_125
; %bb.120:
	v_cmp_ngt_f64_e64 s1, |v[205:206]|, |v[207:208]|
                                        ; implicit-def: $vgpr209_vgpr210
	s_and_saveexec_b32 s3, s1
	s_xor_b32 s1, exec_lo, s3
                                        ; implicit-def: $vgpr211_vgpr212
	s_cbranch_execz .LBB101_122
; %bb.121:
	v_div_scale_f64 v[209:210], null, v[207:208], v[207:208], v[205:206]
	v_div_scale_f64 v[215:216], vcc_lo, v[205:206], v[207:208], v[205:206]
	v_rcp_f64_e32 v[211:212], v[209:210]
	v_fma_f64 v[213:214], -v[209:210], v[211:212], 1.0
	v_fma_f64 v[211:212], v[211:212], v[213:214], v[211:212]
	v_fma_f64 v[213:214], -v[209:210], v[211:212], 1.0
	v_fma_f64 v[211:212], v[211:212], v[213:214], v[211:212]
	v_mul_f64 v[213:214], v[215:216], v[211:212]
	v_fma_f64 v[209:210], -v[209:210], v[213:214], v[215:216]
	v_div_fmas_f64 v[209:210], v[209:210], v[211:212], v[213:214]
	v_div_fixup_f64 v[209:210], v[209:210], v[207:208], v[205:206]
	v_fma_f64 v[205:206], v[205:206], v[209:210], v[207:208]
	v_div_scale_f64 v[207:208], null, v[205:206], v[205:206], 1.0
	v_rcp_f64_e32 v[211:212], v[207:208]
	v_fma_f64 v[213:214], -v[207:208], v[211:212], 1.0
	v_fma_f64 v[211:212], v[211:212], v[213:214], v[211:212]
	v_fma_f64 v[213:214], -v[207:208], v[211:212], 1.0
	v_fma_f64 v[211:212], v[211:212], v[213:214], v[211:212]
	v_div_scale_f64 v[213:214], vcc_lo, 1.0, v[205:206], 1.0
	v_mul_f64 v[215:216], v[213:214], v[211:212]
	v_fma_f64 v[207:208], -v[207:208], v[215:216], v[213:214]
	v_div_fmas_f64 v[207:208], v[207:208], v[211:212], v[215:216]
	v_div_fixup_f64 v[211:212], v[207:208], v[205:206], 1.0
                                        ; implicit-def: $vgpr205_vgpr206
	v_mul_f64 v[209:210], v[209:210], v[211:212]
	v_xor_b32_e32 v212, 0x80000000, v212
.LBB101_122:
	s_andn2_saveexec_b32 s1, s1
	s_cbranch_execz .LBB101_124
; %bb.123:
	v_div_scale_f64 v[209:210], null, v[205:206], v[205:206], v[207:208]
	v_div_scale_f64 v[215:216], vcc_lo, v[207:208], v[205:206], v[207:208]
	v_rcp_f64_e32 v[211:212], v[209:210]
	v_fma_f64 v[213:214], -v[209:210], v[211:212], 1.0
	v_fma_f64 v[211:212], v[211:212], v[213:214], v[211:212]
	v_fma_f64 v[213:214], -v[209:210], v[211:212], 1.0
	v_fma_f64 v[211:212], v[211:212], v[213:214], v[211:212]
	v_mul_f64 v[213:214], v[215:216], v[211:212]
	v_fma_f64 v[209:210], -v[209:210], v[213:214], v[215:216]
	v_div_fmas_f64 v[209:210], v[209:210], v[211:212], v[213:214]
	v_div_fixup_f64 v[211:212], v[209:210], v[205:206], v[207:208]
	v_fma_f64 v[205:206], v[207:208], v[211:212], v[205:206]
	v_div_scale_f64 v[207:208], null, v[205:206], v[205:206], 1.0
	v_rcp_f64_e32 v[209:210], v[207:208]
	v_fma_f64 v[213:214], -v[207:208], v[209:210], 1.0
	v_fma_f64 v[209:210], v[209:210], v[213:214], v[209:210]
	v_fma_f64 v[213:214], -v[207:208], v[209:210], 1.0
	v_fma_f64 v[209:210], v[209:210], v[213:214], v[209:210]
	v_div_scale_f64 v[213:214], vcc_lo, 1.0, v[205:206], 1.0
	v_mul_f64 v[215:216], v[213:214], v[209:210]
	v_fma_f64 v[207:208], -v[207:208], v[215:216], v[213:214]
	v_div_fmas_f64 v[207:208], v[207:208], v[209:210], v[215:216]
	v_div_fixup_f64 v[209:210], v[207:208], v[205:206], 1.0
	v_mul_f64 v[211:212], v[211:212], -v[209:210]
.LBB101_124:
	s_or_b32 exec_lo, exec_lo, s1
	ds_write2_b64 v255, v[209:210], v[211:212] offset1:1
.LBB101_125:
	s_or_b32 exec_lo, exec_lo, s2
	s_waitcnt lgkmcnt(0)
	s_barrier
	buffer_gl0_inv
	ds_read2_b64 v[201:204], v255 offset1:1
	s_mov_b32 s1, exec_lo
	s_waitcnt lgkmcnt(0)
	buffer_store_dword v201, off, s[16:19], 0 offset:600 ; 4-byte Folded Spill
	buffer_store_dword v202, off, s[16:19], 0 offset:604 ; 4-byte Folded Spill
	;; [unrolled: 1-line block ×4, first 2 shown]
	v_cmpx_lt_u32_e32 13, v0
	s_cbranch_execz .LBB101_127
; %bb.126:
	s_clause 0x3
	buffer_load_dword v201, off, s[16:19], 0 offset:600
	buffer_load_dword v202, off, s[16:19], 0 offset:604
	;; [unrolled: 1-line block ×4, first 2 shown]
	ds_read2_b64 v[207:210], v253 offset0:28 offset1:29
	s_waitcnt vmcnt(0)
	v_mul_f64 v[205:206], v[203:204], v[151:152]
	v_mul_f64 v[151:152], v[201:202], v[151:152]
	v_fma_f64 v[205:206], v[201:202], v[149:150], -v[205:206]
	v_fma_f64 v[151:152], v[203:204], v[149:150], v[151:152]
	s_waitcnt lgkmcnt(0)
	v_mul_f64 v[149:150], v[209:210], v[151:152]
	v_fma_f64 v[149:150], v[207:208], v[205:206], -v[149:150]
	v_mul_f64 v[207:208], v[207:208], v[151:152]
	v_add_f64 v[145:146], v[145:146], -v[149:150]
	v_fma_f64 v[207:208], v[209:210], v[205:206], v[207:208]
	v_add_f64 v[147:148], v[147:148], -v[207:208]
	ds_read2_b64 v[207:210], v253 offset0:30 offset1:31
	s_waitcnt lgkmcnt(0)
	v_mul_f64 v[149:150], v[209:210], v[151:152]
	v_fma_f64 v[149:150], v[207:208], v[205:206], -v[149:150]
	v_mul_f64 v[207:208], v[207:208], v[151:152]
	v_add_f64 v[141:142], v[141:142], -v[149:150]
	v_fma_f64 v[207:208], v[209:210], v[205:206], v[207:208]
	v_add_f64 v[143:144], v[143:144], -v[207:208]
	ds_read2_b64 v[207:210], v253 offset0:32 offset1:33
	;; [unrolled: 8-line block ×36, first 2 shown]
	s_waitcnt lgkmcnt(0)
	v_mul_f64 v[149:150], v[209:210], v[151:152]
	v_fma_f64 v[149:150], v[207:208], v[205:206], -v[149:150]
	v_mul_f64 v[207:208], v[207:208], v[151:152]
	v_add_f64 v[1:2], v[1:2], -v[149:150]
	v_fma_f64 v[207:208], v[209:210], v[205:206], v[207:208]
	v_mov_b32_e32 v149, v205
	v_mov_b32_e32 v150, v206
	v_add_f64 v[3:4], v[3:4], -v[207:208]
.LBB101_127:
	s_or_b32 exec_lo, exec_lo, s1
	s_mov_b32 s2, exec_lo
	s_waitcnt_vscnt null, 0x0
	s_barrier
	buffer_gl0_inv
	v_cmpx_eq_u32_e32 14, v0
	s_cbranch_execz .LBB101_134
; %bb.128:
	ds_write2_b64 v255, v[145:146], v[147:148] offset1:1
	ds_write2_b64 v253, v[141:142], v[143:144] offset0:30 offset1:31
	ds_write2_b64 v253, v[137:138], v[139:140] offset0:32 offset1:33
	;; [unrolled: 1-line block ×36, first 2 shown]
	ds_read2_b64 v[205:208], v255 offset1:1
	s_waitcnt lgkmcnt(0)
	v_cmp_neq_f64_e32 vcc_lo, 0, v[205:206]
	v_cmp_neq_f64_e64 s1, 0, v[207:208]
	s_or_b32 s1, vcc_lo, s1
	s_and_b32 exec_lo, exec_lo, s1
	s_cbranch_execz .LBB101_134
; %bb.129:
	v_cmp_ngt_f64_e64 s1, |v[205:206]|, |v[207:208]|
                                        ; implicit-def: $vgpr209_vgpr210
	s_and_saveexec_b32 s3, s1
	s_xor_b32 s1, exec_lo, s3
                                        ; implicit-def: $vgpr211_vgpr212
	s_cbranch_execz .LBB101_131
; %bb.130:
	v_div_scale_f64 v[209:210], null, v[207:208], v[207:208], v[205:206]
	v_div_scale_f64 v[215:216], vcc_lo, v[205:206], v[207:208], v[205:206]
	v_rcp_f64_e32 v[211:212], v[209:210]
	v_fma_f64 v[213:214], -v[209:210], v[211:212], 1.0
	v_fma_f64 v[211:212], v[211:212], v[213:214], v[211:212]
	v_fma_f64 v[213:214], -v[209:210], v[211:212], 1.0
	v_fma_f64 v[211:212], v[211:212], v[213:214], v[211:212]
	v_mul_f64 v[213:214], v[215:216], v[211:212]
	v_fma_f64 v[209:210], -v[209:210], v[213:214], v[215:216]
	v_div_fmas_f64 v[209:210], v[209:210], v[211:212], v[213:214]
	v_div_fixup_f64 v[209:210], v[209:210], v[207:208], v[205:206]
	v_fma_f64 v[205:206], v[205:206], v[209:210], v[207:208]
	v_div_scale_f64 v[207:208], null, v[205:206], v[205:206], 1.0
	v_rcp_f64_e32 v[211:212], v[207:208]
	v_fma_f64 v[213:214], -v[207:208], v[211:212], 1.0
	v_fma_f64 v[211:212], v[211:212], v[213:214], v[211:212]
	v_fma_f64 v[213:214], -v[207:208], v[211:212], 1.0
	v_fma_f64 v[211:212], v[211:212], v[213:214], v[211:212]
	v_div_scale_f64 v[213:214], vcc_lo, 1.0, v[205:206], 1.0
	v_mul_f64 v[215:216], v[213:214], v[211:212]
	v_fma_f64 v[207:208], -v[207:208], v[215:216], v[213:214]
	v_div_fmas_f64 v[207:208], v[207:208], v[211:212], v[215:216]
	v_div_fixup_f64 v[211:212], v[207:208], v[205:206], 1.0
                                        ; implicit-def: $vgpr205_vgpr206
	v_mul_f64 v[209:210], v[209:210], v[211:212]
	v_xor_b32_e32 v212, 0x80000000, v212
.LBB101_131:
	s_andn2_saveexec_b32 s1, s1
	s_cbranch_execz .LBB101_133
; %bb.132:
	v_div_scale_f64 v[209:210], null, v[205:206], v[205:206], v[207:208]
	v_div_scale_f64 v[215:216], vcc_lo, v[207:208], v[205:206], v[207:208]
	v_rcp_f64_e32 v[211:212], v[209:210]
	v_fma_f64 v[213:214], -v[209:210], v[211:212], 1.0
	v_fma_f64 v[211:212], v[211:212], v[213:214], v[211:212]
	v_fma_f64 v[213:214], -v[209:210], v[211:212], 1.0
	v_fma_f64 v[211:212], v[211:212], v[213:214], v[211:212]
	v_mul_f64 v[213:214], v[215:216], v[211:212]
	v_fma_f64 v[209:210], -v[209:210], v[213:214], v[215:216]
	v_div_fmas_f64 v[209:210], v[209:210], v[211:212], v[213:214]
	v_div_fixup_f64 v[211:212], v[209:210], v[205:206], v[207:208]
	v_fma_f64 v[205:206], v[207:208], v[211:212], v[205:206]
	v_div_scale_f64 v[207:208], null, v[205:206], v[205:206], 1.0
	v_rcp_f64_e32 v[209:210], v[207:208]
	v_fma_f64 v[213:214], -v[207:208], v[209:210], 1.0
	v_fma_f64 v[209:210], v[209:210], v[213:214], v[209:210]
	v_fma_f64 v[213:214], -v[207:208], v[209:210], 1.0
	v_fma_f64 v[209:210], v[209:210], v[213:214], v[209:210]
	v_div_scale_f64 v[213:214], vcc_lo, 1.0, v[205:206], 1.0
	v_mul_f64 v[215:216], v[213:214], v[209:210]
	v_fma_f64 v[207:208], -v[207:208], v[215:216], v[213:214]
	v_div_fmas_f64 v[207:208], v[207:208], v[209:210], v[215:216]
	v_div_fixup_f64 v[209:210], v[207:208], v[205:206], 1.0
	v_mul_f64 v[211:212], v[211:212], -v[209:210]
.LBB101_133:
	s_or_b32 exec_lo, exec_lo, s1
	ds_write2_b64 v255, v[209:210], v[211:212] offset1:1
.LBB101_134:
	s_or_b32 exec_lo, exec_lo, s2
	s_waitcnt lgkmcnt(0)
	s_barrier
	buffer_gl0_inv
	ds_read2_b64 v[201:204], v255 offset1:1
	s_mov_b32 s1, exec_lo
	s_waitcnt lgkmcnt(0)
	buffer_store_dword v201, off, s[16:19], 0 offset:616 ; 4-byte Folded Spill
	buffer_store_dword v202, off, s[16:19], 0 offset:620 ; 4-byte Folded Spill
	buffer_store_dword v203, off, s[16:19], 0 offset:624 ; 4-byte Folded Spill
	buffer_store_dword v204, off, s[16:19], 0 offset:628 ; 4-byte Folded Spill
	v_cmpx_lt_u32_e32 14, v0
	s_cbranch_execz .LBB101_136
; %bb.135:
	s_clause 0x3
	buffer_load_dword v201, off, s[16:19], 0 offset:616
	buffer_load_dword v202, off, s[16:19], 0 offset:620
	;; [unrolled: 1-line block ×4, first 2 shown]
	ds_read2_b64 v[207:210], v253 offset0:30 offset1:31
	s_waitcnt vmcnt(0)
	v_mul_f64 v[205:206], v[203:204], v[147:148]
	v_mul_f64 v[147:148], v[201:202], v[147:148]
	v_fma_f64 v[205:206], v[201:202], v[145:146], -v[205:206]
	v_fma_f64 v[147:148], v[203:204], v[145:146], v[147:148]
	s_waitcnt lgkmcnt(0)
	v_mul_f64 v[145:146], v[209:210], v[147:148]
	v_fma_f64 v[145:146], v[207:208], v[205:206], -v[145:146]
	v_mul_f64 v[207:208], v[207:208], v[147:148]
	v_add_f64 v[141:142], v[141:142], -v[145:146]
	v_fma_f64 v[207:208], v[209:210], v[205:206], v[207:208]
	v_add_f64 v[143:144], v[143:144], -v[207:208]
	ds_read2_b64 v[207:210], v253 offset0:32 offset1:33
	s_waitcnt lgkmcnt(0)
	v_mul_f64 v[145:146], v[209:210], v[147:148]
	v_fma_f64 v[145:146], v[207:208], v[205:206], -v[145:146]
	v_mul_f64 v[207:208], v[207:208], v[147:148]
	v_add_f64 v[137:138], v[137:138], -v[145:146]
	v_fma_f64 v[207:208], v[209:210], v[205:206], v[207:208]
	v_add_f64 v[139:140], v[139:140], -v[207:208]
	ds_read2_b64 v[207:210], v253 offset0:34 offset1:35
	;; [unrolled: 8-line block ×35, first 2 shown]
	s_waitcnt lgkmcnt(0)
	v_mul_f64 v[145:146], v[209:210], v[147:148]
	v_fma_f64 v[145:146], v[207:208], v[205:206], -v[145:146]
	v_mul_f64 v[207:208], v[207:208], v[147:148]
	v_add_f64 v[1:2], v[1:2], -v[145:146]
	v_fma_f64 v[207:208], v[209:210], v[205:206], v[207:208]
	v_mov_b32_e32 v145, v205
	v_mov_b32_e32 v146, v206
	v_add_f64 v[3:4], v[3:4], -v[207:208]
.LBB101_136:
	s_or_b32 exec_lo, exec_lo, s1
	s_mov_b32 s2, exec_lo
	s_waitcnt_vscnt null, 0x0
	s_barrier
	buffer_gl0_inv
	v_cmpx_eq_u32_e32 15, v0
	s_cbranch_execz .LBB101_143
; %bb.137:
	ds_write2_b64 v255, v[141:142], v[143:144] offset1:1
	ds_write2_b64 v253, v[137:138], v[139:140] offset0:32 offset1:33
	ds_write2_b64 v253, v[133:134], v[135:136] offset0:34 offset1:35
	;; [unrolled: 1-line block ×35, first 2 shown]
	ds_read2_b64 v[205:208], v255 offset1:1
	s_waitcnt lgkmcnt(0)
	v_cmp_neq_f64_e32 vcc_lo, 0, v[205:206]
	v_cmp_neq_f64_e64 s1, 0, v[207:208]
	s_or_b32 s1, vcc_lo, s1
	s_and_b32 exec_lo, exec_lo, s1
	s_cbranch_execz .LBB101_143
; %bb.138:
	v_cmp_ngt_f64_e64 s1, |v[205:206]|, |v[207:208]|
                                        ; implicit-def: $vgpr209_vgpr210
	s_and_saveexec_b32 s3, s1
	s_xor_b32 s1, exec_lo, s3
                                        ; implicit-def: $vgpr211_vgpr212
	s_cbranch_execz .LBB101_140
; %bb.139:
	v_div_scale_f64 v[209:210], null, v[207:208], v[207:208], v[205:206]
	v_div_scale_f64 v[215:216], vcc_lo, v[205:206], v[207:208], v[205:206]
	v_rcp_f64_e32 v[211:212], v[209:210]
	v_fma_f64 v[213:214], -v[209:210], v[211:212], 1.0
	v_fma_f64 v[211:212], v[211:212], v[213:214], v[211:212]
	v_fma_f64 v[213:214], -v[209:210], v[211:212], 1.0
	v_fma_f64 v[211:212], v[211:212], v[213:214], v[211:212]
	v_mul_f64 v[213:214], v[215:216], v[211:212]
	v_fma_f64 v[209:210], -v[209:210], v[213:214], v[215:216]
	v_div_fmas_f64 v[209:210], v[209:210], v[211:212], v[213:214]
	v_div_fixup_f64 v[209:210], v[209:210], v[207:208], v[205:206]
	v_fma_f64 v[205:206], v[205:206], v[209:210], v[207:208]
	v_div_scale_f64 v[207:208], null, v[205:206], v[205:206], 1.0
	v_rcp_f64_e32 v[211:212], v[207:208]
	v_fma_f64 v[213:214], -v[207:208], v[211:212], 1.0
	v_fma_f64 v[211:212], v[211:212], v[213:214], v[211:212]
	v_fma_f64 v[213:214], -v[207:208], v[211:212], 1.0
	v_fma_f64 v[211:212], v[211:212], v[213:214], v[211:212]
	v_div_scale_f64 v[213:214], vcc_lo, 1.0, v[205:206], 1.0
	v_mul_f64 v[215:216], v[213:214], v[211:212]
	v_fma_f64 v[207:208], -v[207:208], v[215:216], v[213:214]
	v_div_fmas_f64 v[207:208], v[207:208], v[211:212], v[215:216]
	v_div_fixup_f64 v[211:212], v[207:208], v[205:206], 1.0
                                        ; implicit-def: $vgpr205_vgpr206
	v_mul_f64 v[209:210], v[209:210], v[211:212]
	v_xor_b32_e32 v212, 0x80000000, v212
.LBB101_140:
	s_andn2_saveexec_b32 s1, s1
	s_cbranch_execz .LBB101_142
; %bb.141:
	v_div_scale_f64 v[209:210], null, v[205:206], v[205:206], v[207:208]
	v_div_scale_f64 v[215:216], vcc_lo, v[207:208], v[205:206], v[207:208]
	v_rcp_f64_e32 v[211:212], v[209:210]
	v_fma_f64 v[213:214], -v[209:210], v[211:212], 1.0
	v_fma_f64 v[211:212], v[211:212], v[213:214], v[211:212]
	v_fma_f64 v[213:214], -v[209:210], v[211:212], 1.0
	v_fma_f64 v[211:212], v[211:212], v[213:214], v[211:212]
	v_mul_f64 v[213:214], v[215:216], v[211:212]
	v_fma_f64 v[209:210], -v[209:210], v[213:214], v[215:216]
	v_div_fmas_f64 v[209:210], v[209:210], v[211:212], v[213:214]
	v_div_fixup_f64 v[211:212], v[209:210], v[205:206], v[207:208]
	v_fma_f64 v[205:206], v[207:208], v[211:212], v[205:206]
	v_div_scale_f64 v[207:208], null, v[205:206], v[205:206], 1.0
	v_rcp_f64_e32 v[209:210], v[207:208]
	v_fma_f64 v[213:214], -v[207:208], v[209:210], 1.0
	v_fma_f64 v[209:210], v[209:210], v[213:214], v[209:210]
	v_fma_f64 v[213:214], -v[207:208], v[209:210], 1.0
	v_fma_f64 v[209:210], v[209:210], v[213:214], v[209:210]
	v_div_scale_f64 v[213:214], vcc_lo, 1.0, v[205:206], 1.0
	v_mul_f64 v[215:216], v[213:214], v[209:210]
	v_fma_f64 v[207:208], -v[207:208], v[215:216], v[213:214]
	v_div_fmas_f64 v[207:208], v[207:208], v[209:210], v[215:216]
	v_div_fixup_f64 v[209:210], v[207:208], v[205:206], 1.0
	v_mul_f64 v[211:212], v[211:212], -v[209:210]
.LBB101_142:
	s_or_b32 exec_lo, exec_lo, s1
	ds_write2_b64 v255, v[209:210], v[211:212] offset1:1
.LBB101_143:
	s_or_b32 exec_lo, exec_lo, s2
	s_waitcnt lgkmcnt(0)
	s_barrier
	buffer_gl0_inv
	ds_read2_b64 v[201:204], v255 offset1:1
	s_mov_b32 s1, exec_lo
	s_waitcnt lgkmcnt(0)
	buffer_store_dword v201, off, s[16:19], 0 offset:632 ; 4-byte Folded Spill
	buffer_store_dword v202, off, s[16:19], 0 offset:636 ; 4-byte Folded Spill
	;; [unrolled: 1-line block ×4, first 2 shown]
	v_cmpx_lt_u32_e32 15, v0
	s_cbranch_execz .LBB101_145
; %bb.144:
	s_clause 0x3
	buffer_load_dword v201, off, s[16:19], 0 offset:632
	buffer_load_dword v202, off, s[16:19], 0 offset:636
	;; [unrolled: 1-line block ×4, first 2 shown]
	ds_read2_b64 v[207:210], v253 offset0:32 offset1:33
	s_waitcnt vmcnt(0)
	v_mul_f64 v[205:206], v[203:204], v[143:144]
	v_mul_f64 v[143:144], v[201:202], v[143:144]
	v_fma_f64 v[205:206], v[201:202], v[141:142], -v[205:206]
	v_fma_f64 v[143:144], v[203:204], v[141:142], v[143:144]
	s_waitcnt lgkmcnt(0)
	v_mul_f64 v[141:142], v[209:210], v[143:144]
	v_fma_f64 v[141:142], v[207:208], v[205:206], -v[141:142]
	v_mul_f64 v[207:208], v[207:208], v[143:144]
	v_add_f64 v[137:138], v[137:138], -v[141:142]
	v_fma_f64 v[207:208], v[209:210], v[205:206], v[207:208]
	v_add_f64 v[139:140], v[139:140], -v[207:208]
	ds_read2_b64 v[207:210], v253 offset0:34 offset1:35
	s_waitcnt lgkmcnt(0)
	v_mul_f64 v[141:142], v[209:210], v[143:144]
	v_fma_f64 v[141:142], v[207:208], v[205:206], -v[141:142]
	v_mul_f64 v[207:208], v[207:208], v[143:144]
	v_add_f64 v[133:134], v[133:134], -v[141:142]
	v_fma_f64 v[207:208], v[209:210], v[205:206], v[207:208]
	v_add_f64 v[135:136], v[135:136], -v[207:208]
	ds_read2_b64 v[207:210], v253 offset0:36 offset1:37
	;; [unrolled: 8-line block ×34, first 2 shown]
	s_waitcnt lgkmcnt(0)
	v_mul_f64 v[141:142], v[209:210], v[143:144]
	v_fma_f64 v[141:142], v[207:208], v[205:206], -v[141:142]
	v_mul_f64 v[207:208], v[207:208], v[143:144]
	v_add_f64 v[1:2], v[1:2], -v[141:142]
	v_fma_f64 v[207:208], v[209:210], v[205:206], v[207:208]
	v_mov_b32_e32 v141, v205
	v_mov_b32_e32 v142, v206
	v_add_f64 v[3:4], v[3:4], -v[207:208]
.LBB101_145:
	s_or_b32 exec_lo, exec_lo, s1
	s_mov_b32 s2, exec_lo
	s_waitcnt_vscnt null, 0x0
	s_barrier
	buffer_gl0_inv
	v_cmpx_eq_u32_e32 16, v0
	s_cbranch_execz .LBB101_152
; %bb.146:
	ds_write2_b64 v255, v[137:138], v[139:140] offset1:1
	ds_write2_b64 v253, v[133:134], v[135:136] offset0:34 offset1:35
	ds_write2_b64 v253, v[129:130], v[131:132] offset0:36 offset1:37
	;; [unrolled: 1-line block ×34, first 2 shown]
	ds_read2_b64 v[205:208], v255 offset1:1
	s_waitcnt lgkmcnt(0)
	v_cmp_neq_f64_e32 vcc_lo, 0, v[205:206]
	v_cmp_neq_f64_e64 s1, 0, v[207:208]
	s_or_b32 s1, vcc_lo, s1
	s_and_b32 exec_lo, exec_lo, s1
	s_cbranch_execz .LBB101_152
; %bb.147:
	v_cmp_ngt_f64_e64 s1, |v[205:206]|, |v[207:208]|
                                        ; implicit-def: $vgpr209_vgpr210
	s_and_saveexec_b32 s3, s1
	s_xor_b32 s1, exec_lo, s3
                                        ; implicit-def: $vgpr211_vgpr212
	s_cbranch_execz .LBB101_149
; %bb.148:
	v_div_scale_f64 v[209:210], null, v[207:208], v[207:208], v[205:206]
	v_div_scale_f64 v[215:216], vcc_lo, v[205:206], v[207:208], v[205:206]
	v_rcp_f64_e32 v[211:212], v[209:210]
	v_fma_f64 v[213:214], -v[209:210], v[211:212], 1.0
	v_fma_f64 v[211:212], v[211:212], v[213:214], v[211:212]
	v_fma_f64 v[213:214], -v[209:210], v[211:212], 1.0
	v_fma_f64 v[211:212], v[211:212], v[213:214], v[211:212]
	v_mul_f64 v[213:214], v[215:216], v[211:212]
	v_fma_f64 v[209:210], -v[209:210], v[213:214], v[215:216]
	v_div_fmas_f64 v[209:210], v[209:210], v[211:212], v[213:214]
	v_div_fixup_f64 v[209:210], v[209:210], v[207:208], v[205:206]
	v_fma_f64 v[205:206], v[205:206], v[209:210], v[207:208]
	v_div_scale_f64 v[207:208], null, v[205:206], v[205:206], 1.0
	v_rcp_f64_e32 v[211:212], v[207:208]
	v_fma_f64 v[213:214], -v[207:208], v[211:212], 1.0
	v_fma_f64 v[211:212], v[211:212], v[213:214], v[211:212]
	v_fma_f64 v[213:214], -v[207:208], v[211:212], 1.0
	v_fma_f64 v[211:212], v[211:212], v[213:214], v[211:212]
	v_div_scale_f64 v[213:214], vcc_lo, 1.0, v[205:206], 1.0
	v_mul_f64 v[215:216], v[213:214], v[211:212]
	v_fma_f64 v[207:208], -v[207:208], v[215:216], v[213:214]
	v_div_fmas_f64 v[207:208], v[207:208], v[211:212], v[215:216]
	v_div_fixup_f64 v[211:212], v[207:208], v[205:206], 1.0
                                        ; implicit-def: $vgpr205_vgpr206
	v_mul_f64 v[209:210], v[209:210], v[211:212]
	v_xor_b32_e32 v212, 0x80000000, v212
.LBB101_149:
	s_andn2_saveexec_b32 s1, s1
	s_cbranch_execz .LBB101_151
; %bb.150:
	v_div_scale_f64 v[209:210], null, v[205:206], v[205:206], v[207:208]
	v_div_scale_f64 v[215:216], vcc_lo, v[207:208], v[205:206], v[207:208]
	v_rcp_f64_e32 v[211:212], v[209:210]
	v_fma_f64 v[213:214], -v[209:210], v[211:212], 1.0
	v_fma_f64 v[211:212], v[211:212], v[213:214], v[211:212]
	v_fma_f64 v[213:214], -v[209:210], v[211:212], 1.0
	v_fma_f64 v[211:212], v[211:212], v[213:214], v[211:212]
	v_mul_f64 v[213:214], v[215:216], v[211:212]
	v_fma_f64 v[209:210], -v[209:210], v[213:214], v[215:216]
	v_div_fmas_f64 v[209:210], v[209:210], v[211:212], v[213:214]
	v_div_fixup_f64 v[211:212], v[209:210], v[205:206], v[207:208]
	v_fma_f64 v[205:206], v[207:208], v[211:212], v[205:206]
	v_div_scale_f64 v[207:208], null, v[205:206], v[205:206], 1.0
	v_rcp_f64_e32 v[209:210], v[207:208]
	v_fma_f64 v[213:214], -v[207:208], v[209:210], 1.0
	v_fma_f64 v[209:210], v[209:210], v[213:214], v[209:210]
	v_fma_f64 v[213:214], -v[207:208], v[209:210], 1.0
	v_fma_f64 v[209:210], v[209:210], v[213:214], v[209:210]
	v_div_scale_f64 v[213:214], vcc_lo, 1.0, v[205:206], 1.0
	v_mul_f64 v[215:216], v[213:214], v[209:210]
	v_fma_f64 v[207:208], -v[207:208], v[215:216], v[213:214]
	v_div_fmas_f64 v[207:208], v[207:208], v[209:210], v[215:216]
	v_div_fixup_f64 v[209:210], v[207:208], v[205:206], 1.0
	v_mul_f64 v[211:212], v[211:212], -v[209:210]
.LBB101_151:
	s_or_b32 exec_lo, exec_lo, s1
	ds_write2_b64 v255, v[209:210], v[211:212] offset1:1
.LBB101_152:
	s_or_b32 exec_lo, exec_lo, s2
	s_waitcnt lgkmcnt(0)
	s_barrier
	buffer_gl0_inv
	ds_read2_b64 v[201:204], v255 offset1:1
	s_mov_b32 s1, exec_lo
	s_waitcnt lgkmcnt(0)
	buffer_store_dword v201, off, s[16:19], 0 offset:648 ; 4-byte Folded Spill
	buffer_store_dword v202, off, s[16:19], 0 offset:652 ; 4-byte Folded Spill
	;; [unrolled: 1-line block ×4, first 2 shown]
	v_cmpx_lt_u32_e32 16, v0
	s_cbranch_execz .LBB101_154
; %bb.153:
	s_clause 0x3
	buffer_load_dword v201, off, s[16:19], 0 offset:648
	buffer_load_dword v202, off, s[16:19], 0 offset:652
	;; [unrolled: 1-line block ×4, first 2 shown]
	ds_read2_b64 v[207:210], v253 offset0:34 offset1:35
	s_waitcnt vmcnt(0)
	v_mul_f64 v[205:206], v[203:204], v[139:140]
	v_mul_f64 v[139:140], v[201:202], v[139:140]
	v_fma_f64 v[205:206], v[201:202], v[137:138], -v[205:206]
	v_fma_f64 v[139:140], v[203:204], v[137:138], v[139:140]
	s_waitcnt lgkmcnt(0)
	v_mul_f64 v[137:138], v[209:210], v[139:140]
	v_fma_f64 v[137:138], v[207:208], v[205:206], -v[137:138]
	v_mul_f64 v[207:208], v[207:208], v[139:140]
	v_add_f64 v[133:134], v[133:134], -v[137:138]
	v_fma_f64 v[207:208], v[209:210], v[205:206], v[207:208]
	v_add_f64 v[135:136], v[135:136], -v[207:208]
	ds_read2_b64 v[207:210], v253 offset0:36 offset1:37
	s_waitcnt lgkmcnt(0)
	v_mul_f64 v[137:138], v[209:210], v[139:140]
	v_fma_f64 v[137:138], v[207:208], v[205:206], -v[137:138]
	v_mul_f64 v[207:208], v[207:208], v[139:140]
	v_add_f64 v[129:130], v[129:130], -v[137:138]
	v_fma_f64 v[207:208], v[209:210], v[205:206], v[207:208]
	v_add_f64 v[131:132], v[131:132], -v[207:208]
	ds_read2_b64 v[207:210], v253 offset0:38 offset1:39
	;; [unrolled: 8-line block ×33, first 2 shown]
	s_waitcnt lgkmcnt(0)
	v_mul_f64 v[137:138], v[209:210], v[139:140]
	v_fma_f64 v[137:138], v[207:208], v[205:206], -v[137:138]
	v_mul_f64 v[207:208], v[207:208], v[139:140]
	v_add_f64 v[1:2], v[1:2], -v[137:138]
	v_fma_f64 v[207:208], v[209:210], v[205:206], v[207:208]
	v_mov_b32_e32 v137, v205
	v_mov_b32_e32 v138, v206
	v_add_f64 v[3:4], v[3:4], -v[207:208]
.LBB101_154:
	s_or_b32 exec_lo, exec_lo, s1
	s_mov_b32 s2, exec_lo
	s_waitcnt_vscnt null, 0x0
	s_barrier
	buffer_gl0_inv
	v_cmpx_eq_u32_e32 17, v0
	s_cbranch_execz .LBB101_161
; %bb.155:
	ds_write2_b64 v255, v[133:134], v[135:136] offset1:1
	ds_write2_b64 v253, v[129:130], v[131:132] offset0:36 offset1:37
	ds_write2_b64 v253, v[125:126], v[127:128] offset0:38 offset1:39
	;; [unrolled: 1-line block ×33, first 2 shown]
	ds_read2_b64 v[205:208], v255 offset1:1
	s_waitcnt lgkmcnt(0)
	v_cmp_neq_f64_e32 vcc_lo, 0, v[205:206]
	v_cmp_neq_f64_e64 s1, 0, v[207:208]
	s_or_b32 s1, vcc_lo, s1
	s_and_b32 exec_lo, exec_lo, s1
	s_cbranch_execz .LBB101_161
; %bb.156:
	v_cmp_ngt_f64_e64 s1, |v[205:206]|, |v[207:208]|
                                        ; implicit-def: $vgpr209_vgpr210
	s_and_saveexec_b32 s3, s1
	s_xor_b32 s1, exec_lo, s3
                                        ; implicit-def: $vgpr211_vgpr212
	s_cbranch_execz .LBB101_158
; %bb.157:
	v_div_scale_f64 v[209:210], null, v[207:208], v[207:208], v[205:206]
	v_div_scale_f64 v[215:216], vcc_lo, v[205:206], v[207:208], v[205:206]
	v_rcp_f64_e32 v[211:212], v[209:210]
	v_fma_f64 v[213:214], -v[209:210], v[211:212], 1.0
	v_fma_f64 v[211:212], v[211:212], v[213:214], v[211:212]
	v_fma_f64 v[213:214], -v[209:210], v[211:212], 1.0
	v_fma_f64 v[211:212], v[211:212], v[213:214], v[211:212]
	v_mul_f64 v[213:214], v[215:216], v[211:212]
	v_fma_f64 v[209:210], -v[209:210], v[213:214], v[215:216]
	v_div_fmas_f64 v[209:210], v[209:210], v[211:212], v[213:214]
	v_div_fixup_f64 v[209:210], v[209:210], v[207:208], v[205:206]
	v_fma_f64 v[205:206], v[205:206], v[209:210], v[207:208]
	v_div_scale_f64 v[207:208], null, v[205:206], v[205:206], 1.0
	v_rcp_f64_e32 v[211:212], v[207:208]
	v_fma_f64 v[213:214], -v[207:208], v[211:212], 1.0
	v_fma_f64 v[211:212], v[211:212], v[213:214], v[211:212]
	v_fma_f64 v[213:214], -v[207:208], v[211:212], 1.0
	v_fma_f64 v[211:212], v[211:212], v[213:214], v[211:212]
	v_div_scale_f64 v[213:214], vcc_lo, 1.0, v[205:206], 1.0
	v_mul_f64 v[215:216], v[213:214], v[211:212]
	v_fma_f64 v[207:208], -v[207:208], v[215:216], v[213:214]
	v_div_fmas_f64 v[207:208], v[207:208], v[211:212], v[215:216]
	v_div_fixup_f64 v[211:212], v[207:208], v[205:206], 1.0
                                        ; implicit-def: $vgpr205_vgpr206
	v_mul_f64 v[209:210], v[209:210], v[211:212]
	v_xor_b32_e32 v212, 0x80000000, v212
.LBB101_158:
	s_andn2_saveexec_b32 s1, s1
	s_cbranch_execz .LBB101_160
; %bb.159:
	v_div_scale_f64 v[209:210], null, v[205:206], v[205:206], v[207:208]
	v_div_scale_f64 v[215:216], vcc_lo, v[207:208], v[205:206], v[207:208]
	v_rcp_f64_e32 v[211:212], v[209:210]
	v_fma_f64 v[213:214], -v[209:210], v[211:212], 1.0
	v_fma_f64 v[211:212], v[211:212], v[213:214], v[211:212]
	v_fma_f64 v[213:214], -v[209:210], v[211:212], 1.0
	v_fma_f64 v[211:212], v[211:212], v[213:214], v[211:212]
	v_mul_f64 v[213:214], v[215:216], v[211:212]
	v_fma_f64 v[209:210], -v[209:210], v[213:214], v[215:216]
	v_div_fmas_f64 v[209:210], v[209:210], v[211:212], v[213:214]
	v_div_fixup_f64 v[211:212], v[209:210], v[205:206], v[207:208]
	v_fma_f64 v[205:206], v[207:208], v[211:212], v[205:206]
	v_div_scale_f64 v[207:208], null, v[205:206], v[205:206], 1.0
	v_rcp_f64_e32 v[209:210], v[207:208]
	v_fma_f64 v[213:214], -v[207:208], v[209:210], 1.0
	v_fma_f64 v[209:210], v[209:210], v[213:214], v[209:210]
	v_fma_f64 v[213:214], -v[207:208], v[209:210], 1.0
	v_fma_f64 v[209:210], v[209:210], v[213:214], v[209:210]
	v_div_scale_f64 v[213:214], vcc_lo, 1.0, v[205:206], 1.0
	v_mul_f64 v[215:216], v[213:214], v[209:210]
	v_fma_f64 v[207:208], -v[207:208], v[215:216], v[213:214]
	v_div_fmas_f64 v[207:208], v[207:208], v[209:210], v[215:216]
	v_div_fixup_f64 v[209:210], v[207:208], v[205:206], 1.0
	v_mul_f64 v[211:212], v[211:212], -v[209:210]
.LBB101_160:
	s_or_b32 exec_lo, exec_lo, s1
	ds_write2_b64 v255, v[209:210], v[211:212] offset1:1
.LBB101_161:
	s_or_b32 exec_lo, exec_lo, s2
	s_waitcnt lgkmcnt(0)
	s_barrier
	buffer_gl0_inv
	ds_read2_b64 v[201:204], v255 offset1:1
	s_mov_b32 s1, exec_lo
	s_waitcnt lgkmcnt(0)
	buffer_store_dword v201, off, s[16:19], 0 offset:664 ; 4-byte Folded Spill
	buffer_store_dword v202, off, s[16:19], 0 offset:668 ; 4-byte Folded Spill
	;; [unrolled: 1-line block ×4, first 2 shown]
	v_cmpx_lt_u32_e32 17, v0
	s_cbranch_execz .LBB101_163
; %bb.162:
	s_clause 0x3
	buffer_load_dword v201, off, s[16:19], 0 offset:664
	buffer_load_dword v202, off, s[16:19], 0 offset:668
	;; [unrolled: 1-line block ×4, first 2 shown]
	ds_read2_b64 v[207:210], v253 offset0:36 offset1:37
	s_waitcnt vmcnt(0)
	v_mul_f64 v[205:206], v[203:204], v[135:136]
	v_mul_f64 v[135:136], v[201:202], v[135:136]
	v_fma_f64 v[205:206], v[201:202], v[133:134], -v[205:206]
	v_fma_f64 v[135:136], v[203:204], v[133:134], v[135:136]
	s_waitcnt lgkmcnt(0)
	v_mul_f64 v[133:134], v[209:210], v[135:136]
	v_fma_f64 v[133:134], v[207:208], v[205:206], -v[133:134]
	v_mul_f64 v[207:208], v[207:208], v[135:136]
	v_add_f64 v[129:130], v[129:130], -v[133:134]
	v_fma_f64 v[207:208], v[209:210], v[205:206], v[207:208]
	v_add_f64 v[131:132], v[131:132], -v[207:208]
	ds_read2_b64 v[207:210], v253 offset0:38 offset1:39
	s_waitcnt lgkmcnt(0)
	v_mul_f64 v[133:134], v[209:210], v[135:136]
	v_fma_f64 v[133:134], v[207:208], v[205:206], -v[133:134]
	v_mul_f64 v[207:208], v[207:208], v[135:136]
	v_add_f64 v[125:126], v[125:126], -v[133:134]
	v_fma_f64 v[207:208], v[209:210], v[205:206], v[207:208]
	v_add_f64 v[127:128], v[127:128], -v[207:208]
	ds_read2_b64 v[207:210], v253 offset0:40 offset1:41
	;; [unrolled: 8-line block ×32, first 2 shown]
	s_waitcnt lgkmcnt(0)
	v_mul_f64 v[133:134], v[209:210], v[135:136]
	v_fma_f64 v[133:134], v[207:208], v[205:206], -v[133:134]
	v_mul_f64 v[207:208], v[207:208], v[135:136]
	v_add_f64 v[1:2], v[1:2], -v[133:134]
	v_fma_f64 v[207:208], v[209:210], v[205:206], v[207:208]
	v_mov_b32_e32 v133, v205
	v_mov_b32_e32 v134, v206
	v_add_f64 v[3:4], v[3:4], -v[207:208]
.LBB101_163:
	s_or_b32 exec_lo, exec_lo, s1
	s_mov_b32 s2, exec_lo
	s_waitcnt_vscnt null, 0x0
	s_barrier
	buffer_gl0_inv
	v_cmpx_eq_u32_e32 18, v0
	s_cbranch_execz .LBB101_170
; %bb.164:
	ds_write2_b64 v255, v[129:130], v[131:132] offset1:1
	ds_write2_b64 v253, v[125:126], v[127:128] offset0:38 offset1:39
	ds_write2_b64 v253, v[121:122], v[123:124] offset0:40 offset1:41
	;; [unrolled: 1-line block ×32, first 2 shown]
	ds_read2_b64 v[205:208], v255 offset1:1
	s_waitcnt lgkmcnt(0)
	v_cmp_neq_f64_e32 vcc_lo, 0, v[205:206]
	v_cmp_neq_f64_e64 s1, 0, v[207:208]
	s_or_b32 s1, vcc_lo, s1
	s_and_b32 exec_lo, exec_lo, s1
	s_cbranch_execz .LBB101_170
; %bb.165:
	v_cmp_ngt_f64_e64 s1, |v[205:206]|, |v[207:208]|
                                        ; implicit-def: $vgpr209_vgpr210
	s_and_saveexec_b32 s3, s1
	s_xor_b32 s1, exec_lo, s3
                                        ; implicit-def: $vgpr211_vgpr212
	s_cbranch_execz .LBB101_167
; %bb.166:
	v_div_scale_f64 v[209:210], null, v[207:208], v[207:208], v[205:206]
	v_div_scale_f64 v[215:216], vcc_lo, v[205:206], v[207:208], v[205:206]
	v_rcp_f64_e32 v[211:212], v[209:210]
	v_fma_f64 v[213:214], -v[209:210], v[211:212], 1.0
	v_fma_f64 v[211:212], v[211:212], v[213:214], v[211:212]
	v_fma_f64 v[213:214], -v[209:210], v[211:212], 1.0
	v_fma_f64 v[211:212], v[211:212], v[213:214], v[211:212]
	v_mul_f64 v[213:214], v[215:216], v[211:212]
	v_fma_f64 v[209:210], -v[209:210], v[213:214], v[215:216]
	v_div_fmas_f64 v[209:210], v[209:210], v[211:212], v[213:214]
	v_div_fixup_f64 v[209:210], v[209:210], v[207:208], v[205:206]
	v_fma_f64 v[205:206], v[205:206], v[209:210], v[207:208]
	v_div_scale_f64 v[207:208], null, v[205:206], v[205:206], 1.0
	v_rcp_f64_e32 v[211:212], v[207:208]
	v_fma_f64 v[213:214], -v[207:208], v[211:212], 1.0
	v_fma_f64 v[211:212], v[211:212], v[213:214], v[211:212]
	v_fma_f64 v[213:214], -v[207:208], v[211:212], 1.0
	v_fma_f64 v[211:212], v[211:212], v[213:214], v[211:212]
	v_div_scale_f64 v[213:214], vcc_lo, 1.0, v[205:206], 1.0
	v_mul_f64 v[215:216], v[213:214], v[211:212]
	v_fma_f64 v[207:208], -v[207:208], v[215:216], v[213:214]
	v_div_fmas_f64 v[207:208], v[207:208], v[211:212], v[215:216]
	v_div_fixup_f64 v[211:212], v[207:208], v[205:206], 1.0
                                        ; implicit-def: $vgpr205_vgpr206
	v_mul_f64 v[209:210], v[209:210], v[211:212]
	v_xor_b32_e32 v212, 0x80000000, v212
.LBB101_167:
	s_andn2_saveexec_b32 s1, s1
	s_cbranch_execz .LBB101_169
; %bb.168:
	v_div_scale_f64 v[209:210], null, v[205:206], v[205:206], v[207:208]
	v_div_scale_f64 v[215:216], vcc_lo, v[207:208], v[205:206], v[207:208]
	v_rcp_f64_e32 v[211:212], v[209:210]
	v_fma_f64 v[213:214], -v[209:210], v[211:212], 1.0
	v_fma_f64 v[211:212], v[211:212], v[213:214], v[211:212]
	v_fma_f64 v[213:214], -v[209:210], v[211:212], 1.0
	v_fma_f64 v[211:212], v[211:212], v[213:214], v[211:212]
	v_mul_f64 v[213:214], v[215:216], v[211:212]
	v_fma_f64 v[209:210], -v[209:210], v[213:214], v[215:216]
	v_div_fmas_f64 v[209:210], v[209:210], v[211:212], v[213:214]
	v_div_fixup_f64 v[211:212], v[209:210], v[205:206], v[207:208]
	v_fma_f64 v[205:206], v[207:208], v[211:212], v[205:206]
	v_div_scale_f64 v[207:208], null, v[205:206], v[205:206], 1.0
	v_rcp_f64_e32 v[209:210], v[207:208]
	v_fma_f64 v[213:214], -v[207:208], v[209:210], 1.0
	v_fma_f64 v[209:210], v[209:210], v[213:214], v[209:210]
	v_fma_f64 v[213:214], -v[207:208], v[209:210], 1.0
	v_fma_f64 v[209:210], v[209:210], v[213:214], v[209:210]
	v_div_scale_f64 v[213:214], vcc_lo, 1.0, v[205:206], 1.0
	v_mul_f64 v[215:216], v[213:214], v[209:210]
	v_fma_f64 v[207:208], -v[207:208], v[215:216], v[213:214]
	v_div_fmas_f64 v[207:208], v[207:208], v[209:210], v[215:216]
	v_div_fixup_f64 v[209:210], v[207:208], v[205:206], 1.0
	v_mul_f64 v[211:212], v[211:212], -v[209:210]
.LBB101_169:
	s_or_b32 exec_lo, exec_lo, s1
	ds_write2_b64 v255, v[209:210], v[211:212] offset1:1
.LBB101_170:
	s_or_b32 exec_lo, exec_lo, s2
	s_waitcnt lgkmcnt(0)
	s_barrier
	buffer_gl0_inv
	ds_read2_b64 v[201:204], v255 offset1:1
	s_mov_b32 s1, exec_lo
	s_waitcnt lgkmcnt(0)
	buffer_store_dword v201, off, s[16:19], 0 offset:680 ; 4-byte Folded Spill
	buffer_store_dword v202, off, s[16:19], 0 offset:684 ; 4-byte Folded Spill
	;; [unrolled: 1-line block ×4, first 2 shown]
	v_cmpx_lt_u32_e32 18, v0
	s_cbranch_execz .LBB101_172
; %bb.171:
	s_clause 0x3
	buffer_load_dword v201, off, s[16:19], 0 offset:680
	buffer_load_dword v202, off, s[16:19], 0 offset:684
	;; [unrolled: 1-line block ×4, first 2 shown]
	ds_read2_b64 v[207:210], v253 offset0:38 offset1:39
	s_waitcnt vmcnt(0)
	v_mul_f64 v[205:206], v[203:204], v[131:132]
	v_mul_f64 v[131:132], v[201:202], v[131:132]
	v_fma_f64 v[205:206], v[201:202], v[129:130], -v[205:206]
	v_fma_f64 v[131:132], v[203:204], v[129:130], v[131:132]
	s_waitcnt lgkmcnt(0)
	v_mul_f64 v[129:130], v[209:210], v[131:132]
	v_fma_f64 v[129:130], v[207:208], v[205:206], -v[129:130]
	v_mul_f64 v[207:208], v[207:208], v[131:132]
	v_add_f64 v[125:126], v[125:126], -v[129:130]
	v_fma_f64 v[207:208], v[209:210], v[205:206], v[207:208]
	v_add_f64 v[127:128], v[127:128], -v[207:208]
	ds_read2_b64 v[207:210], v253 offset0:40 offset1:41
	s_waitcnt lgkmcnt(0)
	v_mul_f64 v[129:130], v[209:210], v[131:132]
	v_fma_f64 v[129:130], v[207:208], v[205:206], -v[129:130]
	v_mul_f64 v[207:208], v[207:208], v[131:132]
	v_add_f64 v[121:122], v[121:122], -v[129:130]
	v_fma_f64 v[207:208], v[209:210], v[205:206], v[207:208]
	v_add_f64 v[123:124], v[123:124], -v[207:208]
	ds_read2_b64 v[207:210], v253 offset0:42 offset1:43
	;; [unrolled: 8-line block ×31, first 2 shown]
	s_waitcnt lgkmcnt(0)
	v_mul_f64 v[129:130], v[209:210], v[131:132]
	v_fma_f64 v[129:130], v[207:208], v[205:206], -v[129:130]
	v_mul_f64 v[207:208], v[207:208], v[131:132]
	v_add_f64 v[1:2], v[1:2], -v[129:130]
	v_fma_f64 v[207:208], v[209:210], v[205:206], v[207:208]
	v_mov_b32_e32 v129, v205
	v_mov_b32_e32 v130, v206
	v_add_f64 v[3:4], v[3:4], -v[207:208]
.LBB101_172:
	s_or_b32 exec_lo, exec_lo, s1
	s_mov_b32 s2, exec_lo
	s_waitcnt_vscnt null, 0x0
	s_barrier
	buffer_gl0_inv
	v_cmpx_eq_u32_e32 19, v0
	s_cbranch_execz .LBB101_179
; %bb.173:
	ds_write2_b64 v255, v[125:126], v[127:128] offset1:1
	ds_write2_b64 v253, v[121:122], v[123:124] offset0:40 offset1:41
	ds_write2_b64 v253, v[117:118], v[119:120] offset0:42 offset1:43
	;; [unrolled: 1-line block ×31, first 2 shown]
	ds_read2_b64 v[205:208], v255 offset1:1
	s_waitcnt lgkmcnt(0)
	v_cmp_neq_f64_e32 vcc_lo, 0, v[205:206]
	v_cmp_neq_f64_e64 s1, 0, v[207:208]
	s_or_b32 s1, vcc_lo, s1
	s_and_b32 exec_lo, exec_lo, s1
	s_cbranch_execz .LBB101_179
; %bb.174:
	v_cmp_ngt_f64_e64 s1, |v[205:206]|, |v[207:208]|
                                        ; implicit-def: $vgpr209_vgpr210
	s_and_saveexec_b32 s3, s1
	s_xor_b32 s1, exec_lo, s3
                                        ; implicit-def: $vgpr211_vgpr212
	s_cbranch_execz .LBB101_176
; %bb.175:
	v_div_scale_f64 v[209:210], null, v[207:208], v[207:208], v[205:206]
	v_div_scale_f64 v[215:216], vcc_lo, v[205:206], v[207:208], v[205:206]
	v_rcp_f64_e32 v[211:212], v[209:210]
	v_fma_f64 v[213:214], -v[209:210], v[211:212], 1.0
	v_fma_f64 v[211:212], v[211:212], v[213:214], v[211:212]
	v_fma_f64 v[213:214], -v[209:210], v[211:212], 1.0
	v_fma_f64 v[211:212], v[211:212], v[213:214], v[211:212]
	v_mul_f64 v[213:214], v[215:216], v[211:212]
	v_fma_f64 v[209:210], -v[209:210], v[213:214], v[215:216]
	v_div_fmas_f64 v[209:210], v[209:210], v[211:212], v[213:214]
	v_div_fixup_f64 v[209:210], v[209:210], v[207:208], v[205:206]
	v_fma_f64 v[205:206], v[205:206], v[209:210], v[207:208]
	v_div_scale_f64 v[207:208], null, v[205:206], v[205:206], 1.0
	v_rcp_f64_e32 v[211:212], v[207:208]
	v_fma_f64 v[213:214], -v[207:208], v[211:212], 1.0
	v_fma_f64 v[211:212], v[211:212], v[213:214], v[211:212]
	v_fma_f64 v[213:214], -v[207:208], v[211:212], 1.0
	v_fma_f64 v[211:212], v[211:212], v[213:214], v[211:212]
	v_div_scale_f64 v[213:214], vcc_lo, 1.0, v[205:206], 1.0
	v_mul_f64 v[215:216], v[213:214], v[211:212]
	v_fma_f64 v[207:208], -v[207:208], v[215:216], v[213:214]
	v_div_fmas_f64 v[207:208], v[207:208], v[211:212], v[215:216]
	v_div_fixup_f64 v[211:212], v[207:208], v[205:206], 1.0
                                        ; implicit-def: $vgpr205_vgpr206
	v_mul_f64 v[209:210], v[209:210], v[211:212]
	v_xor_b32_e32 v212, 0x80000000, v212
.LBB101_176:
	s_andn2_saveexec_b32 s1, s1
	s_cbranch_execz .LBB101_178
; %bb.177:
	v_div_scale_f64 v[209:210], null, v[205:206], v[205:206], v[207:208]
	v_div_scale_f64 v[215:216], vcc_lo, v[207:208], v[205:206], v[207:208]
	v_rcp_f64_e32 v[211:212], v[209:210]
	v_fma_f64 v[213:214], -v[209:210], v[211:212], 1.0
	v_fma_f64 v[211:212], v[211:212], v[213:214], v[211:212]
	v_fma_f64 v[213:214], -v[209:210], v[211:212], 1.0
	v_fma_f64 v[211:212], v[211:212], v[213:214], v[211:212]
	v_mul_f64 v[213:214], v[215:216], v[211:212]
	v_fma_f64 v[209:210], -v[209:210], v[213:214], v[215:216]
	v_div_fmas_f64 v[209:210], v[209:210], v[211:212], v[213:214]
	v_div_fixup_f64 v[211:212], v[209:210], v[205:206], v[207:208]
	v_fma_f64 v[205:206], v[207:208], v[211:212], v[205:206]
	v_div_scale_f64 v[207:208], null, v[205:206], v[205:206], 1.0
	v_rcp_f64_e32 v[209:210], v[207:208]
	v_fma_f64 v[213:214], -v[207:208], v[209:210], 1.0
	v_fma_f64 v[209:210], v[209:210], v[213:214], v[209:210]
	v_fma_f64 v[213:214], -v[207:208], v[209:210], 1.0
	v_fma_f64 v[209:210], v[209:210], v[213:214], v[209:210]
	v_div_scale_f64 v[213:214], vcc_lo, 1.0, v[205:206], 1.0
	v_mul_f64 v[215:216], v[213:214], v[209:210]
	v_fma_f64 v[207:208], -v[207:208], v[215:216], v[213:214]
	v_div_fmas_f64 v[207:208], v[207:208], v[209:210], v[215:216]
	v_div_fixup_f64 v[209:210], v[207:208], v[205:206], 1.0
	v_mul_f64 v[211:212], v[211:212], -v[209:210]
.LBB101_178:
	s_or_b32 exec_lo, exec_lo, s1
	ds_write2_b64 v255, v[209:210], v[211:212] offset1:1
.LBB101_179:
	s_or_b32 exec_lo, exec_lo, s2
	s_waitcnt lgkmcnt(0)
	s_barrier
	buffer_gl0_inv
	ds_read2_b64 v[201:204], v255 offset1:1
	s_mov_b32 s1, exec_lo
	s_waitcnt lgkmcnt(0)
	buffer_store_dword v201, off, s[16:19], 0 offset:696 ; 4-byte Folded Spill
	buffer_store_dword v202, off, s[16:19], 0 offset:700 ; 4-byte Folded Spill
	;; [unrolled: 1-line block ×4, first 2 shown]
	v_cmpx_lt_u32_e32 19, v0
	s_cbranch_execz .LBB101_181
; %bb.180:
	s_clause 0x3
	buffer_load_dword v201, off, s[16:19], 0 offset:696
	buffer_load_dword v202, off, s[16:19], 0 offset:700
	;; [unrolled: 1-line block ×4, first 2 shown]
	ds_read2_b64 v[207:210], v253 offset0:40 offset1:41
	s_waitcnt vmcnt(0)
	v_mul_f64 v[205:206], v[203:204], v[127:128]
	v_mul_f64 v[127:128], v[201:202], v[127:128]
	v_fma_f64 v[205:206], v[201:202], v[125:126], -v[205:206]
	v_fma_f64 v[127:128], v[203:204], v[125:126], v[127:128]
	s_waitcnt lgkmcnt(0)
	v_mul_f64 v[125:126], v[209:210], v[127:128]
	v_fma_f64 v[125:126], v[207:208], v[205:206], -v[125:126]
	v_mul_f64 v[207:208], v[207:208], v[127:128]
	v_add_f64 v[121:122], v[121:122], -v[125:126]
	v_fma_f64 v[207:208], v[209:210], v[205:206], v[207:208]
	v_add_f64 v[123:124], v[123:124], -v[207:208]
	ds_read2_b64 v[207:210], v253 offset0:42 offset1:43
	s_waitcnt lgkmcnt(0)
	v_mul_f64 v[125:126], v[209:210], v[127:128]
	v_fma_f64 v[125:126], v[207:208], v[205:206], -v[125:126]
	v_mul_f64 v[207:208], v[207:208], v[127:128]
	v_add_f64 v[117:118], v[117:118], -v[125:126]
	v_fma_f64 v[207:208], v[209:210], v[205:206], v[207:208]
	v_add_f64 v[119:120], v[119:120], -v[207:208]
	ds_read2_b64 v[207:210], v253 offset0:44 offset1:45
	s_waitcnt lgkmcnt(0)
	v_mul_f64 v[125:126], v[209:210], v[127:128]
	v_fma_f64 v[125:126], v[207:208], v[205:206], -v[125:126]
	v_mul_f64 v[207:208], v[207:208], v[127:128]
	v_add_f64 v[113:114], v[113:114], -v[125:126]
	v_fma_f64 v[207:208], v[209:210], v[205:206], v[207:208]
	v_add_f64 v[115:116], v[115:116], -v[207:208]
	ds_read2_b64 v[207:210], v253 offset0:46 offset1:47
	s_waitcnt lgkmcnt(0)
	v_mul_f64 v[125:126], v[209:210], v[127:128]
	v_fma_f64 v[125:126], v[207:208], v[205:206], -v[125:126]
	v_mul_f64 v[207:208], v[207:208], v[127:128]
	v_add_f64 v[109:110], v[109:110], -v[125:126]
	v_fma_f64 v[207:208], v[209:210], v[205:206], v[207:208]
	v_add_f64 v[111:112], v[111:112], -v[207:208]
	ds_read2_b64 v[207:210], v253 offset0:48 offset1:49
	s_waitcnt lgkmcnt(0)
	v_mul_f64 v[125:126], v[209:210], v[127:128]
	v_fma_f64 v[125:126], v[207:208], v[205:206], -v[125:126]
	v_mul_f64 v[207:208], v[207:208], v[127:128]
	v_add_f64 v[105:106], v[105:106], -v[125:126]
	v_fma_f64 v[207:208], v[209:210], v[205:206], v[207:208]
	v_add_f64 v[107:108], v[107:108], -v[207:208]
	ds_read2_b64 v[207:210], v253 offset0:50 offset1:51
	s_waitcnt lgkmcnt(0)
	v_mul_f64 v[125:126], v[209:210], v[127:128]
	v_fma_f64 v[125:126], v[207:208], v[205:206], -v[125:126]
	v_mul_f64 v[207:208], v[207:208], v[127:128]
	v_add_f64 v[101:102], v[101:102], -v[125:126]
	v_fma_f64 v[207:208], v[209:210], v[205:206], v[207:208]
	v_add_f64 v[103:104], v[103:104], -v[207:208]
	ds_read2_b64 v[207:210], v253 offset0:52 offset1:53
	s_waitcnt lgkmcnt(0)
	v_mul_f64 v[125:126], v[209:210], v[127:128]
	v_fma_f64 v[125:126], v[207:208], v[205:206], -v[125:126]
	v_mul_f64 v[207:208], v[207:208], v[127:128]
	v_add_f64 v[97:98], v[97:98], -v[125:126]
	v_fma_f64 v[207:208], v[209:210], v[205:206], v[207:208]
	v_add_f64 v[99:100], v[99:100], -v[207:208]
	ds_read2_b64 v[207:210], v253 offset0:54 offset1:55
	s_waitcnt lgkmcnt(0)
	v_mul_f64 v[125:126], v[209:210], v[127:128]
	v_fma_f64 v[125:126], v[207:208], v[205:206], -v[125:126]
	v_mul_f64 v[207:208], v[207:208], v[127:128]
	v_add_f64 v[93:94], v[93:94], -v[125:126]
	v_fma_f64 v[207:208], v[209:210], v[205:206], v[207:208]
	v_add_f64 v[95:96], v[95:96], -v[207:208]
	ds_read2_b64 v[207:210], v253 offset0:56 offset1:57
	s_waitcnt lgkmcnt(0)
	v_mul_f64 v[125:126], v[209:210], v[127:128]
	v_fma_f64 v[125:126], v[207:208], v[205:206], -v[125:126]
	v_mul_f64 v[207:208], v[207:208], v[127:128]
	v_add_f64 v[89:90], v[89:90], -v[125:126]
	v_fma_f64 v[207:208], v[209:210], v[205:206], v[207:208]
	v_add_f64 v[91:92], v[91:92], -v[207:208]
	ds_read2_b64 v[207:210], v253 offset0:58 offset1:59
	s_waitcnt lgkmcnt(0)
	v_mul_f64 v[125:126], v[209:210], v[127:128]
	v_fma_f64 v[125:126], v[207:208], v[205:206], -v[125:126]
	v_mul_f64 v[207:208], v[207:208], v[127:128]
	v_add_f64 v[85:86], v[85:86], -v[125:126]
	v_fma_f64 v[207:208], v[209:210], v[205:206], v[207:208]
	v_add_f64 v[87:88], v[87:88], -v[207:208]
	ds_read2_b64 v[207:210], v253 offset0:60 offset1:61
	s_waitcnt lgkmcnt(0)
	v_mul_f64 v[125:126], v[209:210], v[127:128]
	v_fma_f64 v[125:126], v[207:208], v[205:206], -v[125:126]
	v_mul_f64 v[207:208], v[207:208], v[127:128]
	v_add_f64 v[81:82], v[81:82], -v[125:126]
	v_fma_f64 v[207:208], v[209:210], v[205:206], v[207:208]
	v_add_f64 v[83:84], v[83:84], -v[207:208]
	ds_read2_b64 v[207:210], v253 offset0:62 offset1:63
	s_waitcnt lgkmcnt(0)
	v_mul_f64 v[125:126], v[209:210], v[127:128]
	v_fma_f64 v[125:126], v[207:208], v[205:206], -v[125:126]
	v_mul_f64 v[207:208], v[207:208], v[127:128]
	v_add_f64 v[77:78], v[77:78], -v[125:126]
	v_fma_f64 v[207:208], v[209:210], v[205:206], v[207:208]
	v_add_f64 v[79:80], v[79:80], -v[207:208]
	ds_read2_b64 v[207:210], v253 offset0:64 offset1:65
	s_waitcnt lgkmcnt(0)
	v_mul_f64 v[125:126], v[209:210], v[127:128]
	v_fma_f64 v[125:126], v[207:208], v[205:206], -v[125:126]
	v_mul_f64 v[207:208], v[207:208], v[127:128]
	v_add_f64 v[73:74], v[73:74], -v[125:126]
	v_fma_f64 v[207:208], v[209:210], v[205:206], v[207:208]
	v_add_f64 v[75:76], v[75:76], -v[207:208]
	ds_read2_b64 v[207:210], v253 offset0:66 offset1:67
	s_waitcnt lgkmcnt(0)
	v_mul_f64 v[125:126], v[209:210], v[127:128]
	v_fma_f64 v[125:126], v[207:208], v[205:206], -v[125:126]
	v_mul_f64 v[207:208], v[207:208], v[127:128]
	v_add_f64 v[69:70], v[69:70], -v[125:126]
	v_fma_f64 v[207:208], v[209:210], v[205:206], v[207:208]
	v_add_f64 v[71:72], v[71:72], -v[207:208]
	ds_read2_b64 v[207:210], v253 offset0:68 offset1:69
	s_waitcnt lgkmcnt(0)
	v_mul_f64 v[125:126], v[209:210], v[127:128]
	v_fma_f64 v[125:126], v[207:208], v[205:206], -v[125:126]
	v_mul_f64 v[207:208], v[207:208], v[127:128]
	v_add_f64 v[65:66], v[65:66], -v[125:126]
	v_fma_f64 v[207:208], v[209:210], v[205:206], v[207:208]
	v_add_f64 v[67:68], v[67:68], -v[207:208]
	ds_read2_b64 v[207:210], v253 offset0:70 offset1:71
	s_waitcnt lgkmcnt(0)
	v_mul_f64 v[125:126], v[209:210], v[127:128]
	v_fma_f64 v[125:126], v[207:208], v[205:206], -v[125:126]
	v_mul_f64 v[207:208], v[207:208], v[127:128]
	v_add_f64 v[61:62], v[61:62], -v[125:126]
	v_fma_f64 v[207:208], v[209:210], v[205:206], v[207:208]
	v_add_f64 v[63:64], v[63:64], -v[207:208]
	ds_read2_b64 v[207:210], v253 offset0:72 offset1:73
	s_waitcnt lgkmcnt(0)
	v_mul_f64 v[125:126], v[209:210], v[127:128]
	v_fma_f64 v[125:126], v[207:208], v[205:206], -v[125:126]
	v_mul_f64 v[207:208], v[207:208], v[127:128]
	v_add_f64 v[57:58], v[57:58], -v[125:126]
	v_fma_f64 v[207:208], v[209:210], v[205:206], v[207:208]
	v_add_f64 v[59:60], v[59:60], -v[207:208]
	ds_read2_b64 v[207:210], v253 offset0:74 offset1:75
	s_waitcnt lgkmcnt(0)
	v_mul_f64 v[125:126], v[209:210], v[127:128]
	v_fma_f64 v[125:126], v[207:208], v[205:206], -v[125:126]
	v_mul_f64 v[207:208], v[207:208], v[127:128]
	v_add_f64 v[53:54], v[53:54], -v[125:126]
	v_fma_f64 v[207:208], v[209:210], v[205:206], v[207:208]
	v_add_f64 v[55:56], v[55:56], -v[207:208]
	ds_read2_b64 v[207:210], v253 offset0:76 offset1:77
	s_waitcnt lgkmcnt(0)
	v_mul_f64 v[125:126], v[209:210], v[127:128]
	v_fma_f64 v[125:126], v[207:208], v[205:206], -v[125:126]
	v_mul_f64 v[207:208], v[207:208], v[127:128]
	v_add_f64 v[49:50], v[49:50], -v[125:126]
	v_fma_f64 v[207:208], v[209:210], v[205:206], v[207:208]
	v_add_f64 v[51:52], v[51:52], -v[207:208]
	ds_read2_b64 v[207:210], v253 offset0:78 offset1:79
	s_waitcnt lgkmcnt(0)
	v_mul_f64 v[125:126], v[209:210], v[127:128]
	v_fma_f64 v[125:126], v[207:208], v[205:206], -v[125:126]
	v_mul_f64 v[207:208], v[207:208], v[127:128]
	v_add_f64 v[45:46], v[45:46], -v[125:126]
	v_fma_f64 v[207:208], v[209:210], v[205:206], v[207:208]
	v_add_f64 v[47:48], v[47:48], -v[207:208]
	ds_read2_b64 v[207:210], v253 offset0:80 offset1:81
	s_waitcnt lgkmcnt(0)
	v_mul_f64 v[125:126], v[209:210], v[127:128]
	v_fma_f64 v[125:126], v[207:208], v[205:206], -v[125:126]
	v_mul_f64 v[207:208], v[207:208], v[127:128]
	v_add_f64 v[41:42], v[41:42], -v[125:126]
	v_fma_f64 v[207:208], v[209:210], v[205:206], v[207:208]
	v_add_f64 v[43:44], v[43:44], -v[207:208]
	ds_read2_b64 v[207:210], v253 offset0:82 offset1:83
	s_waitcnt lgkmcnt(0)
	v_mul_f64 v[125:126], v[209:210], v[127:128]
	v_fma_f64 v[125:126], v[207:208], v[205:206], -v[125:126]
	v_mul_f64 v[207:208], v[207:208], v[127:128]
	v_add_f64 v[37:38], v[37:38], -v[125:126]
	v_fma_f64 v[207:208], v[209:210], v[205:206], v[207:208]
	v_add_f64 v[39:40], v[39:40], -v[207:208]
	ds_read2_b64 v[207:210], v253 offset0:84 offset1:85
	s_waitcnt lgkmcnt(0)
	v_mul_f64 v[125:126], v[209:210], v[127:128]
	v_fma_f64 v[125:126], v[207:208], v[205:206], -v[125:126]
	v_mul_f64 v[207:208], v[207:208], v[127:128]
	v_add_f64 v[33:34], v[33:34], -v[125:126]
	v_fma_f64 v[207:208], v[209:210], v[205:206], v[207:208]
	v_add_f64 v[35:36], v[35:36], -v[207:208]
	ds_read2_b64 v[207:210], v253 offset0:86 offset1:87
	s_waitcnt lgkmcnt(0)
	v_mul_f64 v[125:126], v[209:210], v[127:128]
	v_fma_f64 v[125:126], v[207:208], v[205:206], -v[125:126]
	v_mul_f64 v[207:208], v[207:208], v[127:128]
	v_add_f64 v[29:30], v[29:30], -v[125:126]
	v_fma_f64 v[207:208], v[209:210], v[205:206], v[207:208]
	v_add_f64 v[31:32], v[31:32], -v[207:208]
	ds_read2_b64 v[207:210], v253 offset0:88 offset1:89
	s_waitcnt lgkmcnt(0)
	v_mul_f64 v[125:126], v[209:210], v[127:128]
	v_fma_f64 v[125:126], v[207:208], v[205:206], -v[125:126]
	v_mul_f64 v[207:208], v[207:208], v[127:128]
	v_add_f64 v[25:26], v[25:26], -v[125:126]
	v_fma_f64 v[207:208], v[209:210], v[205:206], v[207:208]
	v_add_f64 v[27:28], v[27:28], -v[207:208]
	ds_read2_b64 v[207:210], v253 offset0:90 offset1:91
	s_waitcnt lgkmcnt(0)
	v_mul_f64 v[125:126], v[209:210], v[127:128]
	v_fma_f64 v[125:126], v[207:208], v[205:206], -v[125:126]
	v_mul_f64 v[207:208], v[207:208], v[127:128]
	v_add_f64 v[21:22], v[21:22], -v[125:126]
	v_fma_f64 v[207:208], v[209:210], v[205:206], v[207:208]
	v_add_f64 v[23:24], v[23:24], -v[207:208]
	ds_read2_b64 v[207:210], v253 offset0:92 offset1:93
	s_waitcnt lgkmcnt(0)
	v_mul_f64 v[125:126], v[209:210], v[127:128]
	v_fma_f64 v[125:126], v[207:208], v[205:206], -v[125:126]
	v_mul_f64 v[207:208], v[207:208], v[127:128]
	v_add_f64 v[17:18], v[17:18], -v[125:126]
	v_fma_f64 v[207:208], v[209:210], v[205:206], v[207:208]
	v_add_f64 v[19:20], v[19:20], -v[207:208]
	ds_read2_b64 v[207:210], v253 offset0:94 offset1:95
	s_waitcnt lgkmcnt(0)
	v_mul_f64 v[125:126], v[209:210], v[127:128]
	v_fma_f64 v[125:126], v[207:208], v[205:206], -v[125:126]
	v_mul_f64 v[207:208], v[207:208], v[127:128]
	v_add_f64 v[13:14], v[13:14], -v[125:126]
	v_fma_f64 v[207:208], v[209:210], v[205:206], v[207:208]
	v_add_f64 v[15:16], v[15:16], -v[207:208]
	ds_read2_b64 v[207:210], v253 offset0:96 offset1:97
	s_waitcnt lgkmcnt(0)
	v_mul_f64 v[125:126], v[209:210], v[127:128]
	v_fma_f64 v[125:126], v[207:208], v[205:206], -v[125:126]
	v_mul_f64 v[207:208], v[207:208], v[127:128]
	v_add_f64 v[9:10], v[9:10], -v[125:126]
	v_fma_f64 v[207:208], v[209:210], v[205:206], v[207:208]
	v_add_f64 v[11:12], v[11:12], -v[207:208]
	ds_read2_b64 v[207:210], v253 offset0:98 offset1:99
	s_waitcnt lgkmcnt(0)
	v_mul_f64 v[125:126], v[209:210], v[127:128]
	v_fma_f64 v[125:126], v[207:208], v[205:206], -v[125:126]
	v_mul_f64 v[207:208], v[207:208], v[127:128]
	v_add_f64 v[5:6], v[5:6], -v[125:126]
	v_fma_f64 v[207:208], v[209:210], v[205:206], v[207:208]
	v_add_f64 v[7:8], v[7:8], -v[207:208]
	ds_read2_b64 v[207:210], v253 offset0:100 offset1:101
	s_waitcnt lgkmcnt(0)
	v_mul_f64 v[125:126], v[209:210], v[127:128]
	v_fma_f64 v[125:126], v[207:208], v[205:206], -v[125:126]
	v_mul_f64 v[207:208], v[207:208], v[127:128]
	v_add_f64 v[1:2], v[1:2], -v[125:126]
	v_fma_f64 v[207:208], v[209:210], v[205:206], v[207:208]
	v_mov_b32_e32 v125, v205
	v_mov_b32_e32 v126, v206
	v_add_f64 v[3:4], v[3:4], -v[207:208]
.LBB101_181:
	s_or_b32 exec_lo, exec_lo, s1
	s_mov_b32 s2, exec_lo
	s_waitcnt_vscnt null, 0x0
	s_barrier
	buffer_gl0_inv
	v_cmpx_eq_u32_e32 20, v0
	s_cbranch_execz .LBB101_188
; %bb.182:
	ds_write2_b64 v255, v[121:122], v[123:124] offset1:1
	ds_write2_b64 v253, v[117:118], v[119:120] offset0:42 offset1:43
	ds_write2_b64 v253, v[113:114], v[115:116] offset0:44 offset1:45
	;; [unrolled: 1-line block ×30, first 2 shown]
	ds_read2_b64 v[205:208], v255 offset1:1
	s_waitcnt lgkmcnt(0)
	v_cmp_neq_f64_e32 vcc_lo, 0, v[205:206]
	v_cmp_neq_f64_e64 s1, 0, v[207:208]
	s_or_b32 s1, vcc_lo, s1
	s_and_b32 exec_lo, exec_lo, s1
	s_cbranch_execz .LBB101_188
; %bb.183:
	v_cmp_ngt_f64_e64 s1, |v[205:206]|, |v[207:208]|
                                        ; implicit-def: $vgpr209_vgpr210
	s_and_saveexec_b32 s3, s1
	s_xor_b32 s1, exec_lo, s3
                                        ; implicit-def: $vgpr211_vgpr212
	s_cbranch_execz .LBB101_185
; %bb.184:
	v_div_scale_f64 v[209:210], null, v[207:208], v[207:208], v[205:206]
	v_div_scale_f64 v[215:216], vcc_lo, v[205:206], v[207:208], v[205:206]
	v_rcp_f64_e32 v[211:212], v[209:210]
	v_fma_f64 v[213:214], -v[209:210], v[211:212], 1.0
	v_fma_f64 v[211:212], v[211:212], v[213:214], v[211:212]
	v_fma_f64 v[213:214], -v[209:210], v[211:212], 1.0
	v_fma_f64 v[211:212], v[211:212], v[213:214], v[211:212]
	v_mul_f64 v[213:214], v[215:216], v[211:212]
	v_fma_f64 v[209:210], -v[209:210], v[213:214], v[215:216]
	v_div_fmas_f64 v[209:210], v[209:210], v[211:212], v[213:214]
	v_div_fixup_f64 v[209:210], v[209:210], v[207:208], v[205:206]
	v_fma_f64 v[205:206], v[205:206], v[209:210], v[207:208]
	v_div_scale_f64 v[207:208], null, v[205:206], v[205:206], 1.0
	v_rcp_f64_e32 v[211:212], v[207:208]
	v_fma_f64 v[213:214], -v[207:208], v[211:212], 1.0
	v_fma_f64 v[211:212], v[211:212], v[213:214], v[211:212]
	v_fma_f64 v[213:214], -v[207:208], v[211:212], 1.0
	v_fma_f64 v[211:212], v[211:212], v[213:214], v[211:212]
	v_div_scale_f64 v[213:214], vcc_lo, 1.0, v[205:206], 1.0
	v_mul_f64 v[215:216], v[213:214], v[211:212]
	v_fma_f64 v[207:208], -v[207:208], v[215:216], v[213:214]
	v_div_fmas_f64 v[207:208], v[207:208], v[211:212], v[215:216]
	v_div_fixup_f64 v[211:212], v[207:208], v[205:206], 1.0
                                        ; implicit-def: $vgpr205_vgpr206
	v_mul_f64 v[209:210], v[209:210], v[211:212]
	v_xor_b32_e32 v212, 0x80000000, v212
.LBB101_185:
	s_andn2_saveexec_b32 s1, s1
	s_cbranch_execz .LBB101_187
; %bb.186:
	v_div_scale_f64 v[209:210], null, v[205:206], v[205:206], v[207:208]
	v_div_scale_f64 v[215:216], vcc_lo, v[207:208], v[205:206], v[207:208]
	v_rcp_f64_e32 v[211:212], v[209:210]
	v_fma_f64 v[213:214], -v[209:210], v[211:212], 1.0
	v_fma_f64 v[211:212], v[211:212], v[213:214], v[211:212]
	v_fma_f64 v[213:214], -v[209:210], v[211:212], 1.0
	v_fma_f64 v[211:212], v[211:212], v[213:214], v[211:212]
	v_mul_f64 v[213:214], v[215:216], v[211:212]
	v_fma_f64 v[209:210], -v[209:210], v[213:214], v[215:216]
	v_div_fmas_f64 v[209:210], v[209:210], v[211:212], v[213:214]
	v_div_fixup_f64 v[211:212], v[209:210], v[205:206], v[207:208]
	v_fma_f64 v[205:206], v[207:208], v[211:212], v[205:206]
	v_div_scale_f64 v[207:208], null, v[205:206], v[205:206], 1.0
	v_rcp_f64_e32 v[209:210], v[207:208]
	v_fma_f64 v[213:214], -v[207:208], v[209:210], 1.0
	v_fma_f64 v[209:210], v[209:210], v[213:214], v[209:210]
	v_fma_f64 v[213:214], -v[207:208], v[209:210], 1.0
	v_fma_f64 v[209:210], v[209:210], v[213:214], v[209:210]
	v_div_scale_f64 v[213:214], vcc_lo, 1.0, v[205:206], 1.0
	v_mul_f64 v[215:216], v[213:214], v[209:210]
	v_fma_f64 v[207:208], -v[207:208], v[215:216], v[213:214]
	v_div_fmas_f64 v[207:208], v[207:208], v[209:210], v[215:216]
	v_div_fixup_f64 v[209:210], v[207:208], v[205:206], 1.0
	v_mul_f64 v[211:212], v[211:212], -v[209:210]
.LBB101_187:
	s_or_b32 exec_lo, exec_lo, s1
	ds_write2_b64 v255, v[209:210], v[211:212] offset1:1
.LBB101_188:
	s_or_b32 exec_lo, exec_lo, s2
	s_waitcnt lgkmcnt(0)
	s_barrier
	buffer_gl0_inv
	ds_read2_b64 v[201:204], v255 offset1:1
	s_mov_b32 s1, exec_lo
	s_waitcnt lgkmcnt(0)
	buffer_store_dword v201, off, s[16:19], 0 offset:712 ; 4-byte Folded Spill
	buffer_store_dword v202, off, s[16:19], 0 offset:716 ; 4-byte Folded Spill
	;; [unrolled: 1-line block ×4, first 2 shown]
	v_cmpx_lt_u32_e32 20, v0
	s_cbranch_execz .LBB101_190
; %bb.189:
	s_clause 0x3
	buffer_load_dword v201, off, s[16:19], 0 offset:712
	buffer_load_dword v202, off, s[16:19], 0 offset:716
	;; [unrolled: 1-line block ×4, first 2 shown]
	ds_read2_b64 v[207:210], v253 offset0:42 offset1:43
	s_waitcnt vmcnt(0)
	v_mul_f64 v[205:206], v[203:204], v[123:124]
	v_mul_f64 v[123:124], v[201:202], v[123:124]
	v_fma_f64 v[205:206], v[201:202], v[121:122], -v[205:206]
	v_fma_f64 v[123:124], v[203:204], v[121:122], v[123:124]
	s_waitcnt lgkmcnt(0)
	v_mul_f64 v[121:122], v[209:210], v[123:124]
	v_fma_f64 v[121:122], v[207:208], v[205:206], -v[121:122]
	v_mul_f64 v[207:208], v[207:208], v[123:124]
	v_add_f64 v[117:118], v[117:118], -v[121:122]
	v_fma_f64 v[207:208], v[209:210], v[205:206], v[207:208]
	v_add_f64 v[119:120], v[119:120], -v[207:208]
	ds_read2_b64 v[207:210], v253 offset0:44 offset1:45
	s_waitcnt lgkmcnt(0)
	v_mul_f64 v[121:122], v[209:210], v[123:124]
	v_fma_f64 v[121:122], v[207:208], v[205:206], -v[121:122]
	v_mul_f64 v[207:208], v[207:208], v[123:124]
	v_add_f64 v[113:114], v[113:114], -v[121:122]
	v_fma_f64 v[207:208], v[209:210], v[205:206], v[207:208]
	v_add_f64 v[115:116], v[115:116], -v[207:208]
	ds_read2_b64 v[207:210], v253 offset0:46 offset1:47
	;; [unrolled: 8-line block ×29, first 2 shown]
	s_waitcnt lgkmcnt(0)
	v_mul_f64 v[121:122], v[209:210], v[123:124]
	v_fma_f64 v[121:122], v[207:208], v[205:206], -v[121:122]
	v_mul_f64 v[207:208], v[207:208], v[123:124]
	v_add_f64 v[1:2], v[1:2], -v[121:122]
	v_fma_f64 v[207:208], v[209:210], v[205:206], v[207:208]
	v_mov_b32_e32 v121, v205
	v_mov_b32_e32 v122, v206
	v_add_f64 v[3:4], v[3:4], -v[207:208]
.LBB101_190:
	s_or_b32 exec_lo, exec_lo, s1
	s_mov_b32 s2, exec_lo
	s_waitcnt_vscnt null, 0x0
	s_barrier
	buffer_gl0_inv
	v_cmpx_eq_u32_e32 21, v0
	s_cbranch_execz .LBB101_197
; %bb.191:
	ds_write2_b64 v255, v[117:118], v[119:120] offset1:1
	ds_write2_b64 v253, v[113:114], v[115:116] offset0:44 offset1:45
	ds_write2_b64 v253, v[109:110], v[111:112] offset0:46 offset1:47
	ds_write2_b64 v253, v[105:106], v[107:108] offset0:48 offset1:49
	ds_write2_b64 v253, v[101:102], v[103:104] offset0:50 offset1:51
	ds_write2_b64 v253, v[97:98], v[99:100] offset0:52 offset1:53
	ds_write2_b64 v253, v[93:94], v[95:96] offset0:54 offset1:55
	ds_write2_b64 v253, v[89:90], v[91:92] offset0:56 offset1:57
	ds_write2_b64 v253, v[85:86], v[87:88] offset0:58 offset1:59
	ds_write2_b64 v253, v[81:82], v[83:84] offset0:60 offset1:61
	ds_write2_b64 v253, v[77:78], v[79:80] offset0:62 offset1:63
	ds_write2_b64 v253, v[73:74], v[75:76] offset0:64 offset1:65
	ds_write2_b64 v253, v[69:70], v[71:72] offset0:66 offset1:67
	ds_write2_b64 v253, v[65:66], v[67:68] offset0:68 offset1:69
	ds_write2_b64 v253, v[61:62], v[63:64] offset0:70 offset1:71
	ds_write2_b64 v253, v[57:58], v[59:60] offset0:72 offset1:73
	ds_write2_b64 v253, v[53:54], v[55:56] offset0:74 offset1:75
	ds_write2_b64 v253, v[49:50], v[51:52] offset0:76 offset1:77
	ds_write2_b64 v253, v[45:46], v[47:48] offset0:78 offset1:79
	ds_write2_b64 v253, v[41:42], v[43:44] offset0:80 offset1:81
	ds_write2_b64 v253, v[37:38], v[39:40] offset0:82 offset1:83
	ds_write2_b64 v253, v[33:34], v[35:36] offset0:84 offset1:85
	ds_write2_b64 v253, v[29:30], v[31:32] offset0:86 offset1:87
	ds_write2_b64 v253, v[25:26], v[27:28] offset0:88 offset1:89
	ds_write2_b64 v253, v[21:22], v[23:24] offset0:90 offset1:91
	ds_write2_b64 v253, v[17:18], v[19:20] offset0:92 offset1:93
	ds_write2_b64 v253, v[13:14], v[15:16] offset0:94 offset1:95
	ds_write2_b64 v253, v[9:10], v[11:12] offset0:96 offset1:97
	ds_write2_b64 v253, v[5:6], v[7:8] offset0:98 offset1:99
	ds_write2_b64 v253, v[1:2], v[3:4] offset0:100 offset1:101
	ds_read2_b64 v[205:208], v255 offset1:1
	s_waitcnt lgkmcnt(0)
	v_cmp_neq_f64_e32 vcc_lo, 0, v[205:206]
	v_cmp_neq_f64_e64 s1, 0, v[207:208]
	s_or_b32 s1, vcc_lo, s1
	s_and_b32 exec_lo, exec_lo, s1
	s_cbranch_execz .LBB101_197
; %bb.192:
	v_cmp_ngt_f64_e64 s1, |v[205:206]|, |v[207:208]|
                                        ; implicit-def: $vgpr209_vgpr210
	s_and_saveexec_b32 s3, s1
	s_xor_b32 s1, exec_lo, s3
                                        ; implicit-def: $vgpr211_vgpr212
	s_cbranch_execz .LBB101_194
; %bb.193:
	v_div_scale_f64 v[209:210], null, v[207:208], v[207:208], v[205:206]
	v_div_scale_f64 v[215:216], vcc_lo, v[205:206], v[207:208], v[205:206]
	v_rcp_f64_e32 v[211:212], v[209:210]
	v_fma_f64 v[213:214], -v[209:210], v[211:212], 1.0
	v_fma_f64 v[211:212], v[211:212], v[213:214], v[211:212]
	v_fma_f64 v[213:214], -v[209:210], v[211:212], 1.0
	v_fma_f64 v[211:212], v[211:212], v[213:214], v[211:212]
	v_mul_f64 v[213:214], v[215:216], v[211:212]
	v_fma_f64 v[209:210], -v[209:210], v[213:214], v[215:216]
	v_div_fmas_f64 v[209:210], v[209:210], v[211:212], v[213:214]
	v_div_fixup_f64 v[209:210], v[209:210], v[207:208], v[205:206]
	v_fma_f64 v[205:206], v[205:206], v[209:210], v[207:208]
	v_div_scale_f64 v[207:208], null, v[205:206], v[205:206], 1.0
	v_rcp_f64_e32 v[211:212], v[207:208]
	v_fma_f64 v[213:214], -v[207:208], v[211:212], 1.0
	v_fma_f64 v[211:212], v[211:212], v[213:214], v[211:212]
	v_fma_f64 v[213:214], -v[207:208], v[211:212], 1.0
	v_fma_f64 v[211:212], v[211:212], v[213:214], v[211:212]
	v_div_scale_f64 v[213:214], vcc_lo, 1.0, v[205:206], 1.0
	v_mul_f64 v[215:216], v[213:214], v[211:212]
	v_fma_f64 v[207:208], -v[207:208], v[215:216], v[213:214]
	v_div_fmas_f64 v[207:208], v[207:208], v[211:212], v[215:216]
	v_div_fixup_f64 v[211:212], v[207:208], v[205:206], 1.0
                                        ; implicit-def: $vgpr205_vgpr206
	v_mul_f64 v[209:210], v[209:210], v[211:212]
	v_xor_b32_e32 v212, 0x80000000, v212
.LBB101_194:
	s_andn2_saveexec_b32 s1, s1
	s_cbranch_execz .LBB101_196
; %bb.195:
	v_div_scale_f64 v[209:210], null, v[205:206], v[205:206], v[207:208]
	v_div_scale_f64 v[215:216], vcc_lo, v[207:208], v[205:206], v[207:208]
	v_rcp_f64_e32 v[211:212], v[209:210]
	v_fma_f64 v[213:214], -v[209:210], v[211:212], 1.0
	v_fma_f64 v[211:212], v[211:212], v[213:214], v[211:212]
	v_fma_f64 v[213:214], -v[209:210], v[211:212], 1.0
	v_fma_f64 v[211:212], v[211:212], v[213:214], v[211:212]
	v_mul_f64 v[213:214], v[215:216], v[211:212]
	v_fma_f64 v[209:210], -v[209:210], v[213:214], v[215:216]
	v_div_fmas_f64 v[209:210], v[209:210], v[211:212], v[213:214]
	v_div_fixup_f64 v[211:212], v[209:210], v[205:206], v[207:208]
	v_fma_f64 v[205:206], v[207:208], v[211:212], v[205:206]
	v_div_scale_f64 v[207:208], null, v[205:206], v[205:206], 1.0
	v_rcp_f64_e32 v[209:210], v[207:208]
	v_fma_f64 v[213:214], -v[207:208], v[209:210], 1.0
	v_fma_f64 v[209:210], v[209:210], v[213:214], v[209:210]
	v_fma_f64 v[213:214], -v[207:208], v[209:210], 1.0
	v_fma_f64 v[209:210], v[209:210], v[213:214], v[209:210]
	v_div_scale_f64 v[213:214], vcc_lo, 1.0, v[205:206], 1.0
	v_mul_f64 v[215:216], v[213:214], v[209:210]
	v_fma_f64 v[207:208], -v[207:208], v[215:216], v[213:214]
	v_div_fmas_f64 v[207:208], v[207:208], v[209:210], v[215:216]
	v_div_fixup_f64 v[209:210], v[207:208], v[205:206], 1.0
	v_mul_f64 v[211:212], v[211:212], -v[209:210]
.LBB101_196:
	s_or_b32 exec_lo, exec_lo, s1
	ds_write2_b64 v255, v[209:210], v[211:212] offset1:1
.LBB101_197:
	s_or_b32 exec_lo, exec_lo, s2
	s_waitcnt lgkmcnt(0)
	s_barrier
	buffer_gl0_inv
	ds_read2_b64 v[201:204], v255 offset1:1
	s_mov_b32 s1, exec_lo
	s_waitcnt lgkmcnt(0)
	buffer_store_dword v201, off, s[16:19], 0 offset:728 ; 4-byte Folded Spill
	buffer_store_dword v202, off, s[16:19], 0 offset:732 ; 4-byte Folded Spill
	;; [unrolled: 1-line block ×4, first 2 shown]
	v_cmpx_lt_u32_e32 21, v0
	s_cbranch_execz .LBB101_199
; %bb.198:
	s_clause 0x3
	buffer_load_dword v201, off, s[16:19], 0 offset:728
	buffer_load_dword v202, off, s[16:19], 0 offset:732
	;; [unrolled: 1-line block ×4, first 2 shown]
	ds_read2_b64 v[207:210], v253 offset0:44 offset1:45
	s_waitcnt vmcnt(0)
	v_mul_f64 v[205:206], v[203:204], v[119:120]
	v_mul_f64 v[119:120], v[201:202], v[119:120]
	v_fma_f64 v[205:206], v[201:202], v[117:118], -v[205:206]
	v_fma_f64 v[119:120], v[203:204], v[117:118], v[119:120]
	s_waitcnt lgkmcnt(0)
	v_mul_f64 v[117:118], v[209:210], v[119:120]
	v_fma_f64 v[117:118], v[207:208], v[205:206], -v[117:118]
	v_mul_f64 v[207:208], v[207:208], v[119:120]
	v_add_f64 v[113:114], v[113:114], -v[117:118]
	v_fma_f64 v[207:208], v[209:210], v[205:206], v[207:208]
	v_add_f64 v[115:116], v[115:116], -v[207:208]
	ds_read2_b64 v[207:210], v253 offset0:46 offset1:47
	s_waitcnt lgkmcnt(0)
	v_mul_f64 v[117:118], v[209:210], v[119:120]
	v_fma_f64 v[117:118], v[207:208], v[205:206], -v[117:118]
	v_mul_f64 v[207:208], v[207:208], v[119:120]
	v_add_f64 v[109:110], v[109:110], -v[117:118]
	v_fma_f64 v[207:208], v[209:210], v[205:206], v[207:208]
	v_add_f64 v[111:112], v[111:112], -v[207:208]
	ds_read2_b64 v[207:210], v253 offset0:48 offset1:49
	;; [unrolled: 8-line block ×28, first 2 shown]
	s_waitcnt lgkmcnt(0)
	v_mul_f64 v[117:118], v[209:210], v[119:120]
	v_fma_f64 v[117:118], v[207:208], v[205:206], -v[117:118]
	v_mul_f64 v[207:208], v[207:208], v[119:120]
	v_add_f64 v[1:2], v[1:2], -v[117:118]
	v_fma_f64 v[207:208], v[209:210], v[205:206], v[207:208]
	v_mov_b32_e32 v117, v205
	v_mov_b32_e32 v118, v206
	v_add_f64 v[3:4], v[3:4], -v[207:208]
.LBB101_199:
	s_or_b32 exec_lo, exec_lo, s1
	s_mov_b32 s2, exec_lo
	s_waitcnt_vscnt null, 0x0
	s_barrier
	buffer_gl0_inv
	v_cmpx_eq_u32_e32 22, v0
	s_cbranch_execz .LBB101_206
; %bb.200:
	ds_write2_b64 v255, v[113:114], v[115:116] offset1:1
	ds_write2_b64 v253, v[109:110], v[111:112] offset0:46 offset1:47
	ds_write2_b64 v253, v[105:106], v[107:108] offset0:48 offset1:49
	;; [unrolled: 1-line block ×28, first 2 shown]
	ds_read2_b64 v[205:208], v255 offset1:1
	s_waitcnt lgkmcnt(0)
	v_cmp_neq_f64_e32 vcc_lo, 0, v[205:206]
	v_cmp_neq_f64_e64 s1, 0, v[207:208]
	s_or_b32 s1, vcc_lo, s1
	s_and_b32 exec_lo, exec_lo, s1
	s_cbranch_execz .LBB101_206
; %bb.201:
	v_cmp_ngt_f64_e64 s1, |v[205:206]|, |v[207:208]|
                                        ; implicit-def: $vgpr209_vgpr210
	s_and_saveexec_b32 s3, s1
	s_xor_b32 s1, exec_lo, s3
                                        ; implicit-def: $vgpr211_vgpr212
	s_cbranch_execz .LBB101_203
; %bb.202:
	v_div_scale_f64 v[209:210], null, v[207:208], v[207:208], v[205:206]
	v_div_scale_f64 v[215:216], vcc_lo, v[205:206], v[207:208], v[205:206]
	v_rcp_f64_e32 v[211:212], v[209:210]
	v_fma_f64 v[213:214], -v[209:210], v[211:212], 1.0
	v_fma_f64 v[211:212], v[211:212], v[213:214], v[211:212]
	v_fma_f64 v[213:214], -v[209:210], v[211:212], 1.0
	v_fma_f64 v[211:212], v[211:212], v[213:214], v[211:212]
	v_mul_f64 v[213:214], v[215:216], v[211:212]
	v_fma_f64 v[209:210], -v[209:210], v[213:214], v[215:216]
	v_div_fmas_f64 v[209:210], v[209:210], v[211:212], v[213:214]
	v_div_fixup_f64 v[209:210], v[209:210], v[207:208], v[205:206]
	v_fma_f64 v[205:206], v[205:206], v[209:210], v[207:208]
	v_div_scale_f64 v[207:208], null, v[205:206], v[205:206], 1.0
	v_rcp_f64_e32 v[211:212], v[207:208]
	v_fma_f64 v[213:214], -v[207:208], v[211:212], 1.0
	v_fma_f64 v[211:212], v[211:212], v[213:214], v[211:212]
	v_fma_f64 v[213:214], -v[207:208], v[211:212], 1.0
	v_fma_f64 v[211:212], v[211:212], v[213:214], v[211:212]
	v_div_scale_f64 v[213:214], vcc_lo, 1.0, v[205:206], 1.0
	v_mul_f64 v[215:216], v[213:214], v[211:212]
	v_fma_f64 v[207:208], -v[207:208], v[215:216], v[213:214]
	v_div_fmas_f64 v[207:208], v[207:208], v[211:212], v[215:216]
	v_div_fixup_f64 v[211:212], v[207:208], v[205:206], 1.0
                                        ; implicit-def: $vgpr205_vgpr206
	v_mul_f64 v[209:210], v[209:210], v[211:212]
	v_xor_b32_e32 v212, 0x80000000, v212
.LBB101_203:
	s_andn2_saveexec_b32 s1, s1
	s_cbranch_execz .LBB101_205
; %bb.204:
	v_div_scale_f64 v[209:210], null, v[205:206], v[205:206], v[207:208]
	v_div_scale_f64 v[215:216], vcc_lo, v[207:208], v[205:206], v[207:208]
	v_rcp_f64_e32 v[211:212], v[209:210]
	v_fma_f64 v[213:214], -v[209:210], v[211:212], 1.0
	v_fma_f64 v[211:212], v[211:212], v[213:214], v[211:212]
	v_fma_f64 v[213:214], -v[209:210], v[211:212], 1.0
	v_fma_f64 v[211:212], v[211:212], v[213:214], v[211:212]
	v_mul_f64 v[213:214], v[215:216], v[211:212]
	v_fma_f64 v[209:210], -v[209:210], v[213:214], v[215:216]
	v_div_fmas_f64 v[209:210], v[209:210], v[211:212], v[213:214]
	v_div_fixup_f64 v[211:212], v[209:210], v[205:206], v[207:208]
	v_fma_f64 v[205:206], v[207:208], v[211:212], v[205:206]
	v_div_scale_f64 v[207:208], null, v[205:206], v[205:206], 1.0
	v_rcp_f64_e32 v[209:210], v[207:208]
	v_fma_f64 v[213:214], -v[207:208], v[209:210], 1.0
	v_fma_f64 v[209:210], v[209:210], v[213:214], v[209:210]
	v_fma_f64 v[213:214], -v[207:208], v[209:210], 1.0
	v_fma_f64 v[209:210], v[209:210], v[213:214], v[209:210]
	v_div_scale_f64 v[213:214], vcc_lo, 1.0, v[205:206], 1.0
	v_mul_f64 v[215:216], v[213:214], v[209:210]
	v_fma_f64 v[207:208], -v[207:208], v[215:216], v[213:214]
	v_div_fmas_f64 v[207:208], v[207:208], v[209:210], v[215:216]
	v_div_fixup_f64 v[209:210], v[207:208], v[205:206], 1.0
	v_mul_f64 v[211:212], v[211:212], -v[209:210]
.LBB101_205:
	s_or_b32 exec_lo, exec_lo, s1
	ds_write2_b64 v255, v[209:210], v[211:212] offset1:1
.LBB101_206:
	s_or_b32 exec_lo, exec_lo, s2
	s_waitcnt lgkmcnt(0)
	s_barrier
	buffer_gl0_inv
	ds_read2_b64 v[201:204], v255 offset1:1
	s_mov_b32 s1, exec_lo
	s_waitcnt lgkmcnt(0)
	buffer_store_dword v201, off, s[16:19], 0 offset:744 ; 4-byte Folded Spill
	buffer_store_dword v202, off, s[16:19], 0 offset:748 ; 4-byte Folded Spill
	;; [unrolled: 1-line block ×4, first 2 shown]
	v_cmpx_lt_u32_e32 22, v0
	s_cbranch_execz .LBB101_208
; %bb.207:
	s_clause 0x3
	buffer_load_dword v201, off, s[16:19], 0 offset:744
	buffer_load_dword v202, off, s[16:19], 0 offset:748
	;; [unrolled: 1-line block ×4, first 2 shown]
	ds_read2_b64 v[207:210], v253 offset0:46 offset1:47
	s_waitcnt vmcnt(0)
	v_mul_f64 v[205:206], v[203:204], v[115:116]
	v_mul_f64 v[115:116], v[201:202], v[115:116]
	v_fma_f64 v[205:206], v[201:202], v[113:114], -v[205:206]
	v_fma_f64 v[115:116], v[203:204], v[113:114], v[115:116]
	s_waitcnt lgkmcnt(0)
	v_mul_f64 v[113:114], v[209:210], v[115:116]
	v_fma_f64 v[113:114], v[207:208], v[205:206], -v[113:114]
	v_mul_f64 v[207:208], v[207:208], v[115:116]
	v_add_f64 v[109:110], v[109:110], -v[113:114]
	v_fma_f64 v[207:208], v[209:210], v[205:206], v[207:208]
	v_add_f64 v[111:112], v[111:112], -v[207:208]
	ds_read2_b64 v[207:210], v253 offset0:48 offset1:49
	s_waitcnt lgkmcnt(0)
	v_mul_f64 v[113:114], v[209:210], v[115:116]
	v_fma_f64 v[113:114], v[207:208], v[205:206], -v[113:114]
	v_mul_f64 v[207:208], v[207:208], v[115:116]
	v_add_f64 v[105:106], v[105:106], -v[113:114]
	v_fma_f64 v[207:208], v[209:210], v[205:206], v[207:208]
	v_add_f64 v[107:108], v[107:108], -v[207:208]
	ds_read2_b64 v[207:210], v253 offset0:50 offset1:51
	;; [unrolled: 8-line block ×27, first 2 shown]
	s_waitcnt lgkmcnt(0)
	v_mul_f64 v[113:114], v[209:210], v[115:116]
	v_fma_f64 v[113:114], v[207:208], v[205:206], -v[113:114]
	v_mul_f64 v[207:208], v[207:208], v[115:116]
	v_add_f64 v[1:2], v[1:2], -v[113:114]
	v_fma_f64 v[207:208], v[209:210], v[205:206], v[207:208]
	v_mov_b32_e32 v113, v205
	v_mov_b32_e32 v114, v206
	v_add_f64 v[3:4], v[3:4], -v[207:208]
.LBB101_208:
	s_or_b32 exec_lo, exec_lo, s1
	s_mov_b32 s2, exec_lo
	s_waitcnt_vscnt null, 0x0
	s_barrier
	buffer_gl0_inv
	v_cmpx_eq_u32_e32 23, v0
	s_cbranch_execz .LBB101_215
; %bb.209:
	ds_write2_b64 v255, v[109:110], v[111:112] offset1:1
	ds_write2_b64 v253, v[105:106], v[107:108] offset0:48 offset1:49
	ds_write2_b64 v253, v[101:102], v[103:104] offset0:50 offset1:51
	ds_write2_b64 v253, v[97:98], v[99:100] offset0:52 offset1:53
	ds_write2_b64 v253, v[93:94], v[95:96] offset0:54 offset1:55
	ds_write2_b64 v253, v[89:90], v[91:92] offset0:56 offset1:57
	ds_write2_b64 v253, v[85:86], v[87:88] offset0:58 offset1:59
	ds_write2_b64 v253, v[81:82], v[83:84] offset0:60 offset1:61
	ds_write2_b64 v253, v[77:78], v[79:80] offset0:62 offset1:63
	ds_write2_b64 v253, v[73:74], v[75:76] offset0:64 offset1:65
	ds_write2_b64 v253, v[69:70], v[71:72] offset0:66 offset1:67
	ds_write2_b64 v253, v[65:66], v[67:68] offset0:68 offset1:69
	ds_write2_b64 v253, v[61:62], v[63:64] offset0:70 offset1:71
	ds_write2_b64 v253, v[57:58], v[59:60] offset0:72 offset1:73
	ds_write2_b64 v253, v[53:54], v[55:56] offset0:74 offset1:75
	ds_write2_b64 v253, v[49:50], v[51:52] offset0:76 offset1:77
	ds_write2_b64 v253, v[45:46], v[47:48] offset0:78 offset1:79
	ds_write2_b64 v253, v[41:42], v[43:44] offset0:80 offset1:81
	ds_write2_b64 v253, v[37:38], v[39:40] offset0:82 offset1:83
	ds_write2_b64 v253, v[33:34], v[35:36] offset0:84 offset1:85
	ds_write2_b64 v253, v[29:30], v[31:32] offset0:86 offset1:87
	ds_write2_b64 v253, v[25:26], v[27:28] offset0:88 offset1:89
	ds_write2_b64 v253, v[21:22], v[23:24] offset0:90 offset1:91
	ds_write2_b64 v253, v[17:18], v[19:20] offset0:92 offset1:93
	ds_write2_b64 v253, v[13:14], v[15:16] offset0:94 offset1:95
	ds_write2_b64 v253, v[9:10], v[11:12] offset0:96 offset1:97
	ds_write2_b64 v253, v[5:6], v[7:8] offset0:98 offset1:99
	ds_write2_b64 v253, v[1:2], v[3:4] offset0:100 offset1:101
	ds_read2_b64 v[205:208], v255 offset1:1
	s_waitcnt lgkmcnt(0)
	v_cmp_neq_f64_e32 vcc_lo, 0, v[205:206]
	v_cmp_neq_f64_e64 s1, 0, v[207:208]
	s_or_b32 s1, vcc_lo, s1
	s_and_b32 exec_lo, exec_lo, s1
	s_cbranch_execz .LBB101_215
; %bb.210:
	v_cmp_ngt_f64_e64 s1, |v[205:206]|, |v[207:208]|
                                        ; implicit-def: $vgpr209_vgpr210
	s_and_saveexec_b32 s3, s1
	s_xor_b32 s1, exec_lo, s3
                                        ; implicit-def: $vgpr211_vgpr212
	s_cbranch_execz .LBB101_212
; %bb.211:
	v_div_scale_f64 v[209:210], null, v[207:208], v[207:208], v[205:206]
	v_div_scale_f64 v[215:216], vcc_lo, v[205:206], v[207:208], v[205:206]
	v_rcp_f64_e32 v[211:212], v[209:210]
	v_fma_f64 v[213:214], -v[209:210], v[211:212], 1.0
	v_fma_f64 v[211:212], v[211:212], v[213:214], v[211:212]
	v_fma_f64 v[213:214], -v[209:210], v[211:212], 1.0
	v_fma_f64 v[211:212], v[211:212], v[213:214], v[211:212]
	v_mul_f64 v[213:214], v[215:216], v[211:212]
	v_fma_f64 v[209:210], -v[209:210], v[213:214], v[215:216]
	v_div_fmas_f64 v[209:210], v[209:210], v[211:212], v[213:214]
	v_div_fixup_f64 v[209:210], v[209:210], v[207:208], v[205:206]
	v_fma_f64 v[205:206], v[205:206], v[209:210], v[207:208]
	v_div_scale_f64 v[207:208], null, v[205:206], v[205:206], 1.0
	v_rcp_f64_e32 v[211:212], v[207:208]
	v_fma_f64 v[213:214], -v[207:208], v[211:212], 1.0
	v_fma_f64 v[211:212], v[211:212], v[213:214], v[211:212]
	v_fma_f64 v[213:214], -v[207:208], v[211:212], 1.0
	v_fma_f64 v[211:212], v[211:212], v[213:214], v[211:212]
	v_div_scale_f64 v[213:214], vcc_lo, 1.0, v[205:206], 1.0
	v_mul_f64 v[215:216], v[213:214], v[211:212]
	v_fma_f64 v[207:208], -v[207:208], v[215:216], v[213:214]
	v_div_fmas_f64 v[207:208], v[207:208], v[211:212], v[215:216]
	v_div_fixup_f64 v[211:212], v[207:208], v[205:206], 1.0
                                        ; implicit-def: $vgpr205_vgpr206
	v_mul_f64 v[209:210], v[209:210], v[211:212]
	v_xor_b32_e32 v212, 0x80000000, v212
.LBB101_212:
	s_andn2_saveexec_b32 s1, s1
	s_cbranch_execz .LBB101_214
; %bb.213:
	v_div_scale_f64 v[209:210], null, v[205:206], v[205:206], v[207:208]
	v_div_scale_f64 v[215:216], vcc_lo, v[207:208], v[205:206], v[207:208]
	v_rcp_f64_e32 v[211:212], v[209:210]
	v_fma_f64 v[213:214], -v[209:210], v[211:212], 1.0
	v_fma_f64 v[211:212], v[211:212], v[213:214], v[211:212]
	v_fma_f64 v[213:214], -v[209:210], v[211:212], 1.0
	v_fma_f64 v[211:212], v[211:212], v[213:214], v[211:212]
	v_mul_f64 v[213:214], v[215:216], v[211:212]
	v_fma_f64 v[209:210], -v[209:210], v[213:214], v[215:216]
	v_div_fmas_f64 v[209:210], v[209:210], v[211:212], v[213:214]
	v_div_fixup_f64 v[211:212], v[209:210], v[205:206], v[207:208]
	v_fma_f64 v[205:206], v[207:208], v[211:212], v[205:206]
	v_div_scale_f64 v[207:208], null, v[205:206], v[205:206], 1.0
	v_rcp_f64_e32 v[209:210], v[207:208]
	v_fma_f64 v[213:214], -v[207:208], v[209:210], 1.0
	v_fma_f64 v[209:210], v[209:210], v[213:214], v[209:210]
	v_fma_f64 v[213:214], -v[207:208], v[209:210], 1.0
	v_fma_f64 v[209:210], v[209:210], v[213:214], v[209:210]
	v_div_scale_f64 v[213:214], vcc_lo, 1.0, v[205:206], 1.0
	v_mul_f64 v[215:216], v[213:214], v[209:210]
	v_fma_f64 v[207:208], -v[207:208], v[215:216], v[213:214]
	v_div_fmas_f64 v[207:208], v[207:208], v[209:210], v[215:216]
	v_div_fixup_f64 v[209:210], v[207:208], v[205:206], 1.0
	v_mul_f64 v[211:212], v[211:212], -v[209:210]
.LBB101_214:
	s_or_b32 exec_lo, exec_lo, s1
	ds_write2_b64 v255, v[209:210], v[211:212] offset1:1
.LBB101_215:
	s_or_b32 exec_lo, exec_lo, s2
	s_waitcnt lgkmcnt(0)
	s_barrier
	buffer_gl0_inv
	ds_read2_b64 v[201:204], v255 offset1:1
	s_mov_b32 s1, exec_lo
	s_waitcnt lgkmcnt(0)
	buffer_store_dword v201, off, s[16:19], 0 offset:760 ; 4-byte Folded Spill
	buffer_store_dword v202, off, s[16:19], 0 offset:764 ; 4-byte Folded Spill
	;; [unrolled: 1-line block ×4, first 2 shown]
	v_cmpx_lt_u32_e32 23, v0
	s_cbranch_execz .LBB101_217
; %bb.216:
	s_clause 0x3
	buffer_load_dword v201, off, s[16:19], 0 offset:760
	buffer_load_dword v202, off, s[16:19], 0 offset:764
	;; [unrolled: 1-line block ×4, first 2 shown]
	ds_read2_b64 v[207:210], v253 offset0:48 offset1:49
	s_waitcnt vmcnt(0)
	v_mul_f64 v[205:206], v[203:204], v[111:112]
	v_mul_f64 v[111:112], v[201:202], v[111:112]
	v_fma_f64 v[205:206], v[201:202], v[109:110], -v[205:206]
	v_fma_f64 v[111:112], v[203:204], v[109:110], v[111:112]
	s_waitcnt lgkmcnt(0)
	v_mul_f64 v[109:110], v[209:210], v[111:112]
	v_fma_f64 v[109:110], v[207:208], v[205:206], -v[109:110]
	v_mul_f64 v[207:208], v[207:208], v[111:112]
	v_add_f64 v[105:106], v[105:106], -v[109:110]
	v_fma_f64 v[207:208], v[209:210], v[205:206], v[207:208]
	v_add_f64 v[107:108], v[107:108], -v[207:208]
	ds_read2_b64 v[207:210], v253 offset0:50 offset1:51
	s_waitcnt lgkmcnt(0)
	v_mul_f64 v[109:110], v[209:210], v[111:112]
	v_fma_f64 v[109:110], v[207:208], v[205:206], -v[109:110]
	v_mul_f64 v[207:208], v[207:208], v[111:112]
	v_add_f64 v[101:102], v[101:102], -v[109:110]
	v_fma_f64 v[207:208], v[209:210], v[205:206], v[207:208]
	v_add_f64 v[103:104], v[103:104], -v[207:208]
	ds_read2_b64 v[207:210], v253 offset0:52 offset1:53
	;; [unrolled: 8-line block ×26, first 2 shown]
	s_waitcnt lgkmcnt(0)
	v_mul_f64 v[109:110], v[209:210], v[111:112]
	v_fma_f64 v[109:110], v[207:208], v[205:206], -v[109:110]
	v_mul_f64 v[207:208], v[207:208], v[111:112]
	v_add_f64 v[1:2], v[1:2], -v[109:110]
	v_fma_f64 v[207:208], v[209:210], v[205:206], v[207:208]
	v_mov_b32_e32 v109, v205
	v_mov_b32_e32 v110, v206
	v_add_f64 v[3:4], v[3:4], -v[207:208]
.LBB101_217:
	s_or_b32 exec_lo, exec_lo, s1
	s_mov_b32 s2, exec_lo
	s_waitcnt_vscnt null, 0x0
	s_barrier
	buffer_gl0_inv
	v_cmpx_eq_u32_e32 24, v0
	s_cbranch_execz .LBB101_224
; %bb.218:
	ds_write2_b64 v255, v[105:106], v[107:108] offset1:1
	ds_write2_b64 v253, v[101:102], v[103:104] offset0:50 offset1:51
	ds_write2_b64 v253, v[97:98], v[99:100] offset0:52 offset1:53
	;; [unrolled: 1-line block ×26, first 2 shown]
	ds_read2_b64 v[205:208], v255 offset1:1
	s_waitcnt lgkmcnt(0)
	v_cmp_neq_f64_e32 vcc_lo, 0, v[205:206]
	v_cmp_neq_f64_e64 s1, 0, v[207:208]
	s_or_b32 s1, vcc_lo, s1
	s_and_b32 exec_lo, exec_lo, s1
	s_cbranch_execz .LBB101_224
; %bb.219:
	v_cmp_ngt_f64_e64 s1, |v[205:206]|, |v[207:208]|
                                        ; implicit-def: $vgpr209_vgpr210
	s_and_saveexec_b32 s3, s1
	s_xor_b32 s1, exec_lo, s3
                                        ; implicit-def: $vgpr211_vgpr212
	s_cbranch_execz .LBB101_221
; %bb.220:
	v_div_scale_f64 v[209:210], null, v[207:208], v[207:208], v[205:206]
	v_div_scale_f64 v[215:216], vcc_lo, v[205:206], v[207:208], v[205:206]
	v_rcp_f64_e32 v[211:212], v[209:210]
	v_fma_f64 v[213:214], -v[209:210], v[211:212], 1.0
	v_fma_f64 v[211:212], v[211:212], v[213:214], v[211:212]
	v_fma_f64 v[213:214], -v[209:210], v[211:212], 1.0
	v_fma_f64 v[211:212], v[211:212], v[213:214], v[211:212]
	v_mul_f64 v[213:214], v[215:216], v[211:212]
	v_fma_f64 v[209:210], -v[209:210], v[213:214], v[215:216]
	v_div_fmas_f64 v[209:210], v[209:210], v[211:212], v[213:214]
	v_div_fixup_f64 v[209:210], v[209:210], v[207:208], v[205:206]
	v_fma_f64 v[205:206], v[205:206], v[209:210], v[207:208]
	v_div_scale_f64 v[207:208], null, v[205:206], v[205:206], 1.0
	v_rcp_f64_e32 v[211:212], v[207:208]
	v_fma_f64 v[213:214], -v[207:208], v[211:212], 1.0
	v_fma_f64 v[211:212], v[211:212], v[213:214], v[211:212]
	v_fma_f64 v[213:214], -v[207:208], v[211:212], 1.0
	v_fma_f64 v[211:212], v[211:212], v[213:214], v[211:212]
	v_div_scale_f64 v[213:214], vcc_lo, 1.0, v[205:206], 1.0
	v_mul_f64 v[215:216], v[213:214], v[211:212]
	v_fma_f64 v[207:208], -v[207:208], v[215:216], v[213:214]
	v_div_fmas_f64 v[207:208], v[207:208], v[211:212], v[215:216]
	v_div_fixup_f64 v[211:212], v[207:208], v[205:206], 1.0
                                        ; implicit-def: $vgpr205_vgpr206
	v_mul_f64 v[209:210], v[209:210], v[211:212]
	v_xor_b32_e32 v212, 0x80000000, v212
.LBB101_221:
	s_andn2_saveexec_b32 s1, s1
	s_cbranch_execz .LBB101_223
; %bb.222:
	v_div_scale_f64 v[209:210], null, v[205:206], v[205:206], v[207:208]
	v_div_scale_f64 v[215:216], vcc_lo, v[207:208], v[205:206], v[207:208]
	v_rcp_f64_e32 v[211:212], v[209:210]
	v_fma_f64 v[213:214], -v[209:210], v[211:212], 1.0
	v_fma_f64 v[211:212], v[211:212], v[213:214], v[211:212]
	v_fma_f64 v[213:214], -v[209:210], v[211:212], 1.0
	v_fma_f64 v[211:212], v[211:212], v[213:214], v[211:212]
	v_mul_f64 v[213:214], v[215:216], v[211:212]
	v_fma_f64 v[209:210], -v[209:210], v[213:214], v[215:216]
	v_div_fmas_f64 v[209:210], v[209:210], v[211:212], v[213:214]
	v_div_fixup_f64 v[211:212], v[209:210], v[205:206], v[207:208]
	v_fma_f64 v[205:206], v[207:208], v[211:212], v[205:206]
	v_div_scale_f64 v[207:208], null, v[205:206], v[205:206], 1.0
	v_rcp_f64_e32 v[209:210], v[207:208]
	v_fma_f64 v[213:214], -v[207:208], v[209:210], 1.0
	v_fma_f64 v[209:210], v[209:210], v[213:214], v[209:210]
	v_fma_f64 v[213:214], -v[207:208], v[209:210], 1.0
	v_fma_f64 v[209:210], v[209:210], v[213:214], v[209:210]
	v_div_scale_f64 v[213:214], vcc_lo, 1.0, v[205:206], 1.0
	v_mul_f64 v[215:216], v[213:214], v[209:210]
	v_fma_f64 v[207:208], -v[207:208], v[215:216], v[213:214]
	v_div_fmas_f64 v[207:208], v[207:208], v[209:210], v[215:216]
	v_div_fixup_f64 v[209:210], v[207:208], v[205:206], 1.0
	v_mul_f64 v[211:212], v[211:212], -v[209:210]
.LBB101_223:
	s_or_b32 exec_lo, exec_lo, s1
	ds_write2_b64 v255, v[209:210], v[211:212] offset1:1
.LBB101_224:
	s_or_b32 exec_lo, exec_lo, s2
	s_waitcnt lgkmcnt(0)
	s_barrier
	buffer_gl0_inv
	ds_read2_b64 v[201:204], v255 offset1:1
	s_mov_b32 s1, exec_lo
	s_waitcnt lgkmcnt(0)
	buffer_store_dword v201, off, s[16:19], 0 offset:776 ; 4-byte Folded Spill
	buffer_store_dword v202, off, s[16:19], 0 offset:780 ; 4-byte Folded Spill
	;; [unrolled: 1-line block ×4, first 2 shown]
	v_cmpx_lt_u32_e32 24, v0
	s_cbranch_execz .LBB101_226
; %bb.225:
	s_clause 0x3
	buffer_load_dword v201, off, s[16:19], 0 offset:776
	buffer_load_dword v202, off, s[16:19], 0 offset:780
	;; [unrolled: 1-line block ×4, first 2 shown]
	ds_read2_b64 v[207:210], v253 offset0:50 offset1:51
	s_waitcnt vmcnt(0)
	v_mul_f64 v[205:206], v[203:204], v[107:108]
	v_mul_f64 v[107:108], v[201:202], v[107:108]
	v_fma_f64 v[205:206], v[201:202], v[105:106], -v[205:206]
	v_fma_f64 v[107:108], v[203:204], v[105:106], v[107:108]
	s_waitcnt lgkmcnt(0)
	v_mul_f64 v[105:106], v[209:210], v[107:108]
	v_fma_f64 v[105:106], v[207:208], v[205:206], -v[105:106]
	v_mul_f64 v[207:208], v[207:208], v[107:108]
	v_add_f64 v[101:102], v[101:102], -v[105:106]
	v_fma_f64 v[207:208], v[209:210], v[205:206], v[207:208]
	v_add_f64 v[103:104], v[103:104], -v[207:208]
	ds_read2_b64 v[207:210], v253 offset0:52 offset1:53
	s_waitcnt lgkmcnt(0)
	v_mul_f64 v[105:106], v[209:210], v[107:108]
	v_fma_f64 v[105:106], v[207:208], v[205:206], -v[105:106]
	v_mul_f64 v[207:208], v[207:208], v[107:108]
	v_add_f64 v[97:98], v[97:98], -v[105:106]
	v_fma_f64 v[207:208], v[209:210], v[205:206], v[207:208]
	v_add_f64 v[99:100], v[99:100], -v[207:208]
	ds_read2_b64 v[207:210], v253 offset0:54 offset1:55
	;; [unrolled: 8-line block ×25, first 2 shown]
	s_waitcnt lgkmcnt(0)
	v_mul_f64 v[105:106], v[209:210], v[107:108]
	v_fma_f64 v[105:106], v[207:208], v[205:206], -v[105:106]
	v_mul_f64 v[207:208], v[207:208], v[107:108]
	v_add_f64 v[1:2], v[1:2], -v[105:106]
	v_fma_f64 v[207:208], v[209:210], v[205:206], v[207:208]
	v_mov_b32_e32 v105, v205
	v_mov_b32_e32 v106, v206
	v_add_f64 v[3:4], v[3:4], -v[207:208]
.LBB101_226:
	s_or_b32 exec_lo, exec_lo, s1
	s_mov_b32 s2, exec_lo
	s_waitcnt_vscnt null, 0x0
	s_barrier
	buffer_gl0_inv
	v_cmpx_eq_u32_e32 25, v0
	s_cbranch_execz .LBB101_233
; %bb.227:
	ds_write2_b64 v255, v[101:102], v[103:104] offset1:1
	ds_write2_b64 v253, v[97:98], v[99:100] offset0:52 offset1:53
	ds_write2_b64 v253, v[93:94], v[95:96] offset0:54 offset1:55
	;; [unrolled: 1-line block ×25, first 2 shown]
	ds_read2_b64 v[205:208], v255 offset1:1
	s_waitcnt lgkmcnt(0)
	v_cmp_neq_f64_e32 vcc_lo, 0, v[205:206]
	v_cmp_neq_f64_e64 s1, 0, v[207:208]
	s_or_b32 s1, vcc_lo, s1
	s_and_b32 exec_lo, exec_lo, s1
	s_cbranch_execz .LBB101_233
; %bb.228:
	v_cmp_ngt_f64_e64 s1, |v[205:206]|, |v[207:208]|
                                        ; implicit-def: $vgpr209_vgpr210
	s_and_saveexec_b32 s3, s1
	s_xor_b32 s1, exec_lo, s3
                                        ; implicit-def: $vgpr211_vgpr212
	s_cbranch_execz .LBB101_230
; %bb.229:
	v_div_scale_f64 v[209:210], null, v[207:208], v[207:208], v[205:206]
	v_div_scale_f64 v[215:216], vcc_lo, v[205:206], v[207:208], v[205:206]
	v_rcp_f64_e32 v[211:212], v[209:210]
	v_fma_f64 v[213:214], -v[209:210], v[211:212], 1.0
	v_fma_f64 v[211:212], v[211:212], v[213:214], v[211:212]
	v_fma_f64 v[213:214], -v[209:210], v[211:212], 1.0
	v_fma_f64 v[211:212], v[211:212], v[213:214], v[211:212]
	v_mul_f64 v[213:214], v[215:216], v[211:212]
	v_fma_f64 v[209:210], -v[209:210], v[213:214], v[215:216]
	v_div_fmas_f64 v[209:210], v[209:210], v[211:212], v[213:214]
	v_div_fixup_f64 v[209:210], v[209:210], v[207:208], v[205:206]
	v_fma_f64 v[205:206], v[205:206], v[209:210], v[207:208]
	v_div_scale_f64 v[207:208], null, v[205:206], v[205:206], 1.0
	v_rcp_f64_e32 v[211:212], v[207:208]
	v_fma_f64 v[213:214], -v[207:208], v[211:212], 1.0
	v_fma_f64 v[211:212], v[211:212], v[213:214], v[211:212]
	v_fma_f64 v[213:214], -v[207:208], v[211:212], 1.0
	v_fma_f64 v[211:212], v[211:212], v[213:214], v[211:212]
	v_div_scale_f64 v[213:214], vcc_lo, 1.0, v[205:206], 1.0
	v_mul_f64 v[215:216], v[213:214], v[211:212]
	v_fma_f64 v[207:208], -v[207:208], v[215:216], v[213:214]
	v_div_fmas_f64 v[207:208], v[207:208], v[211:212], v[215:216]
	v_div_fixup_f64 v[211:212], v[207:208], v[205:206], 1.0
                                        ; implicit-def: $vgpr205_vgpr206
	v_mul_f64 v[209:210], v[209:210], v[211:212]
	v_xor_b32_e32 v212, 0x80000000, v212
.LBB101_230:
	s_andn2_saveexec_b32 s1, s1
	s_cbranch_execz .LBB101_232
; %bb.231:
	v_div_scale_f64 v[209:210], null, v[205:206], v[205:206], v[207:208]
	v_div_scale_f64 v[215:216], vcc_lo, v[207:208], v[205:206], v[207:208]
	v_rcp_f64_e32 v[211:212], v[209:210]
	v_fma_f64 v[213:214], -v[209:210], v[211:212], 1.0
	v_fma_f64 v[211:212], v[211:212], v[213:214], v[211:212]
	v_fma_f64 v[213:214], -v[209:210], v[211:212], 1.0
	v_fma_f64 v[211:212], v[211:212], v[213:214], v[211:212]
	v_mul_f64 v[213:214], v[215:216], v[211:212]
	v_fma_f64 v[209:210], -v[209:210], v[213:214], v[215:216]
	v_div_fmas_f64 v[209:210], v[209:210], v[211:212], v[213:214]
	v_div_fixup_f64 v[211:212], v[209:210], v[205:206], v[207:208]
	v_fma_f64 v[205:206], v[207:208], v[211:212], v[205:206]
	v_div_scale_f64 v[207:208], null, v[205:206], v[205:206], 1.0
	v_rcp_f64_e32 v[209:210], v[207:208]
	v_fma_f64 v[213:214], -v[207:208], v[209:210], 1.0
	v_fma_f64 v[209:210], v[209:210], v[213:214], v[209:210]
	v_fma_f64 v[213:214], -v[207:208], v[209:210], 1.0
	v_fma_f64 v[209:210], v[209:210], v[213:214], v[209:210]
	v_div_scale_f64 v[213:214], vcc_lo, 1.0, v[205:206], 1.0
	v_mul_f64 v[215:216], v[213:214], v[209:210]
	v_fma_f64 v[207:208], -v[207:208], v[215:216], v[213:214]
	v_div_fmas_f64 v[207:208], v[207:208], v[209:210], v[215:216]
	v_div_fixup_f64 v[209:210], v[207:208], v[205:206], 1.0
	v_mul_f64 v[211:212], v[211:212], -v[209:210]
.LBB101_232:
	s_or_b32 exec_lo, exec_lo, s1
	ds_write2_b64 v255, v[209:210], v[211:212] offset1:1
.LBB101_233:
	s_or_b32 exec_lo, exec_lo, s2
	s_waitcnt lgkmcnt(0)
	s_barrier
	buffer_gl0_inv
	ds_read2_b64 v[201:204], v255 offset1:1
	s_mov_b32 s1, exec_lo
	s_waitcnt lgkmcnt(0)
	buffer_store_dword v201, off, s[16:19], 0 offset:792 ; 4-byte Folded Spill
	buffer_store_dword v202, off, s[16:19], 0 offset:796 ; 4-byte Folded Spill
	;; [unrolled: 1-line block ×4, first 2 shown]
	v_cmpx_lt_u32_e32 25, v0
	s_cbranch_execz .LBB101_235
; %bb.234:
	s_clause 0x3
	buffer_load_dword v201, off, s[16:19], 0 offset:792
	buffer_load_dword v202, off, s[16:19], 0 offset:796
	;; [unrolled: 1-line block ×4, first 2 shown]
	ds_read2_b64 v[207:210], v253 offset0:52 offset1:53
	s_waitcnt vmcnt(0)
	v_mul_f64 v[205:206], v[203:204], v[103:104]
	v_mul_f64 v[103:104], v[201:202], v[103:104]
	v_fma_f64 v[205:206], v[201:202], v[101:102], -v[205:206]
	v_fma_f64 v[103:104], v[203:204], v[101:102], v[103:104]
	s_waitcnt lgkmcnt(0)
	v_mul_f64 v[101:102], v[209:210], v[103:104]
	v_fma_f64 v[101:102], v[207:208], v[205:206], -v[101:102]
	v_mul_f64 v[207:208], v[207:208], v[103:104]
	v_add_f64 v[97:98], v[97:98], -v[101:102]
	v_fma_f64 v[207:208], v[209:210], v[205:206], v[207:208]
	v_add_f64 v[99:100], v[99:100], -v[207:208]
	ds_read2_b64 v[207:210], v253 offset0:54 offset1:55
	s_waitcnt lgkmcnt(0)
	v_mul_f64 v[101:102], v[209:210], v[103:104]
	v_fma_f64 v[101:102], v[207:208], v[205:206], -v[101:102]
	v_mul_f64 v[207:208], v[207:208], v[103:104]
	v_add_f64 v[93:94], v[93:94], -v[101:102]
	v_fma_f64 v[207:208], v[209:210], v[205:206], v[207:208]
	v_add_f64 v[95:96], v[95:96], -v[207:208]
	ds_read2_b64 v[207:210], v253 offset0:56 offset1:57
	;; [unrolled: 8-line block ×24, first 2 shown]
	s_waitcnt lgkmcnt(0)
	v_mul_f64 v[101:102], v[209:210], v[103:104]
	v_fma_f64 v[101:102], v[207:208], v[205:206], -v[101:102]
	v_mul_f64 v[207:208], v[207:208], v[103:104]
	v_add_f64 v[1:2], v[1:2], -v[101:102]
	v_fma_f64 v[207:208], v[209:210], v[205:206], v[207:208]
	v_mov_b32_e32 v101, v205
	v_mov_b32_e32 v102, v206
	v_add_f64 v[3:4], v[3:4], -v[207:208]
.LBB101_235:
	s_or_b32 exec_lo, exec_lo, s1
	s_mov_b32 s2, exec_lo
	s_waitcnt_vscnt null, 0x0
	s_barrier
	buffer_gl0_inv
	v_cmpx_eq_u32_e32 26, v0
	s_cbranch_execz .LBB101_242
; %bb.236:
	ds_write2_b64 v255, v[97:98], v[99:100] offset1:1
	ds_write2_b64 v253, v[93:94], v[95:96] offset0:54 offset1:55
	ds_write2_b64 v253, v[89:90], v[91:92] offset0:56 offset1:57
	;; [unrolled: 1-line block ×24, first 2 shown]
	ds_read2_b64 v[205:208], v255 offset1:1
	s_waitcnt lgkmcnt(0)
	v_cmp_neq_f64_e32 vcc_lo, 0, v[205:206]
	v_cmp_neq_f64_e64 s1, 0, v[207:208]
	s_or_b32 s1, vcc_lo, s1
	s_and_b32 exec_lo, exec_lo, s1
	s_cbranch_execz .LBB101_242
; %bb.237:
	v_cmp_ngt_f64_e64 s1, |v[205:206]|, |v[207:208]|
                                        ; implicit-def: $vgpr209_vgpr210
	s_and_saveexec_b32 s3, s1
	s_xor_b32 s1, exec_lo, s3
                                        ; implicit-def: $vgpr211_vgpr212
	s_cbranch_execz .LBB101_239
; %bb.238:
	v_div_scale_f64 v[209:210], null, v[207:208], v[207:208], v[205:206]
	v_div_scale_f64 v[215:216], vcc_lo, v[205:206], v[207:208], v[205:206]
	v_rcp_f64_e32 v[211:212], v[209:210]
	v_fma_f64 v[213:214], -v[209:210], v[211:212], 1.0
	v_fma_f64 v[211:212], v[211:212], v[213:214], v[211:212]
	v_fma_f64 v[213:214], -v[209:210], v[211:212], 1.0
	v_fma_f64 v[211:212], v[211:212], v[213:214], v[211:212]
	v_mul_f64 v[213:214], v[215:216], v[211:212]
	v_fma_f64 v[209:210], -v[209:210], v[213:214], v[215:216]
	v_div_fmas_f64 v[209:210], v[209:210], v[211:212], v[213:214]
	v_div_fixup_f64 v[209:210], v[209:210], v[207:208], v[205:206]
	v_fma_f64 v[205:206], v[205:206], v[209:210], v[207:208]
	v_div_scale_f64 v[207:208], null, v[205:206], v[205:206], 1.0
	v_rcp_f64_e32 v[211:212], v[207:208]
	v_fma_f64 v[213:214], -v[207:208], v[211:212], 1.0
	v_fma_f64 v[211:212], v[211:212], v[213:214], v[211:212]
	v_fma_f64 v[213:214], -v[207:208], v[211:212], 1.0
	v_fma_f64 v[211:212], v[211:212], v[213:214], v[211:212]
	v_div_scale_f64 v[213:214], vcc_lo, 1.0, v[205:206], 1.0
	v_mul_f64 v[215:216], v[213:214], v[211:212]
	v_fma_f64 v[207:208], -v[207:208], v[215:216], v[213:214]
	v_div_fmas_f64 v[207:208], v[207:208], v[211:212], v[215:216]
	v_div_fixup_f64 v[211:212], v[207:208], v[205:206], 1.0
                                        ; implicit-def: $vgpr205_vgpr206
	v_mul_f64 v[209:210], v[209:210], v[211:212]
	v_xor_b32_e32 v212, 0x80000000, v212
.LBB101_239:
	s_andn2_saveexec_b32 s1, s1
	s_cbranch_execz .LBB101_241
; %bb.240:
	v_div_scale_f64 v[209:210], null, v[205:206], v[205:206], v[207:208]
	v_div_scale_f64 v[215:216], vcc_lo, v[207:208], v[205:206], v[207:208]
	v_rcp_f64_e32 v[211:212], v[209:210]
	v_fma_f64 v[213:214], -v[209:210], v[211:212], 1.0
	v_fma_f64 v[211:212], v[211:212], v[213:214], v[211:212]
	v_fma_f64 v[213:214], -v[209:210], v[211:212], 1.0
	v_fma_f64 v[211:212], v[211:212], v[213:214], v[211:212]
	v_mul_f64 v[213:214], v[215:216], v[211:212]
	v_fma_f64 v[209:210], -v[209:210], v[213:214], v[215:216]
	v_div_fmas_f64 v[209:210], v[209:210], v[211:212], v[213:214]
	v_div_fixup_f64 v[211:212], v[209:210], v[205:206], v[207:208]
	v_fma_f64 v[205:206], v[207:208], v[211:212], v[205:206]
	v_div_scale_f64 v[207:208], null, v[205:206], v[205:206], 1.0
	v_rcp_f64_e32 v[209:210], v[207:208]
	v_fma_f64 v[213:214], -v[207:208], v[209:210], 1.0
	v_fma_f64 v[209:210], v[209:210], v[213:214], v[209:210]
	v_fma_f64 v[213:214], -v[207:208], v[209:210], 1.0
	v_fma_f64 v[209:210], v[209:210], v[213:214], v[209:210]
	v_div_scale_f64 v[213:214], vcc_lo, 1.0, v[205:206], 1.0
	v_mul_f64 v[215:216], v[213:214], v[209:210]
	v_fma_f64 v[207:208], -v[207:208], v[215:216], v[213:214]
	v_div_fmas_f64 v[207:208], v[207:208], v[209:210], v[215:216]
	v_div_fixup_f64 v[209:210], v[207:208], v[205:206], 1.0
	v_mul_f64 v[211:212], v[211:212], -v[209:210]
.LBB101_241:
	s_or_b32 exec_lo, exec_lo, s1
	ds_write2_b64 v255, v[209:210], v[211:212] offset1:1
.LBB101_242:
	s_or_b32 exec_lo, exec_lo, s2
	s_waitcnt lgkmcnt(0)
	s_barrier
	buffer_gl0_inv
	ds_read2_b64 v[201:204], v255 offset1:1
	s_mov_b32 s1, exec_lo
	s_waitcnt lgkmcnt(0)
	buffer_store_dword v201, off, s[16:19], 0 offset:808 ; 4-byte Folded Spill
	buffer_store_dword v202, off, s[16:19], 0 offset:812 ; 4-byte Folded Spill
	;; [unrolled: 1-line block ×4, first 2 shown]
	v_cmpx_lt_u32_e32 26, v0
	s_cbranch_execz .LBB101_244
; %bb.243:
	s_clause 0x3
	buffer_load_dword v201, off, s[16:19], 0 offset:808
	buffer_load_dword v202, off, s[16:19], 0 offset:812
	;; [unrolled: 1-line block ×4, first 2 shown]
	ds_read2_b64 v[207:210], v253 offset0:54 offset1:55
	s_waitcnt vmcnt(0)
	v_mul_f64 v[205:206], v[203:204], v[99:100]
	v_mul_f64 v[99:100], v[201:202], v[99:100]
	v_fma_f64 v[205:206], v[201:202], v[97:98], -v[205:206]
	v_fma_f64 v[99:100], v[203:204], v[97:98], v[99:100]
	s_waitcnt lgkmcnt(0)
	v_mul_f64 v[97:98], v[209:210], v[99:100]
	v_fma_f64 v[97:98], v[207:208], v[205:206], -v[97:98]
	v_mul_f64 v[207:208], v[207:208], v[99:100]
	v_add_f64 v[93:94], v[93:94], -v[97:98]
	v_fma_f64 v[207:208], v[209:210], v[205:206], v[207:208]
	v_add_f64 v[95:96], v[95:96], -v[207:208]
	ds_read2_b64 v[207:210], v253 offset0:56 offset1:57
	s_waitcnt lgkmcnt(0)
	v_mul_f64 v[97:98], v[209:210], v[99:100]
	v_fma_f64 v[97:98], v[207:208], v[205:206], -v[97:98]
	v_mul_f64 v[207:208], v[207:208], v[99:100]
	v_add_f64 v[89:90], v[89:90], -v[97:98]
	v_fma_f64 v[207:208], v[209:210], v[205:206], v[207:208]
	v_add_f64 v[91:92], v[91:92], -v[207:208]
	ds_read2_b64 v[207:210], v253 offset0:58 offset1:59
	;; [unrolled: 8-line block ×23, first 2 shown]
	s_waitcnt lgkmcnt(0)
	v_mul_f64 v[97:98], v[209:210], v[99:100]
	v_fma_f64 v[97:98], v[207:208], v[205:206], -v[97:98]
	v_mul_f64 v[207:208], v[207:208], v[99:100]
	v_add_f64 v[1:2], v[1:2], -v[97:98]
	v_fma_f64 v[207:208], v[209:210], v[205:206], v[207:208]
	v_mov_b32_e32 v97, v205
	v_mov_b32_e32 v98, v206
	v_add_f64 v[3:4], v[3:4], -v[207:208]
.LBB101_244:
	s_or_b32 exec_lo, exec_lo, s1
	s_mov_b32 s2, exec_lo
	s_waitcnt_vscnt null, 0x0
	s_barrier
	buffer_gl0_inv
	v_cmpx_eq_u32_e32 27, v0
	s_cbranch_execz .LBB101_251
; %bb.245:
	ds_write2_b64 v255, v[93:94], v[95:96] offset1:1
	ds_write2_b64 v253, v[89:90], v[91:92] offset0:56 offset1:57
	ds_write2_b64 v253, v[85:86], v[87:88] offset0:58 offset1:59
	;; [unrolled: 1-line block ×23, first 2 shown]
	ds_read2_b64 v[205:208], v255 offset1:1
	s_waitcnt lgkmcnt(0)
	v_cmp_neq_f64_e32 vcc_lo, 0, v[205:206]
	v_cmp_neq_f64_e64 s1, 0, v[207:208]
	s_or_b32 s1, vcc_lo, s1
	s_and_b32 exec_lo, exec_lo, s1
	s_cbranch_execz .LBB101_251
; %bb.246:
	v_cmp_ngt_f64_e64 s1, |v[205:206]|, |v[207:208]|
                                        ; implicit-def: $vgpr209_vgpr210
	s_and_saveexec_b32 s3, s1
	s_xor_b32 s1, exec_lo, s3
                                        ; implicit-def: $vgpr211_vgpr212
	s_cbranch_execz .LBB101_248
; %bb.247:
	v_div_scale_f64 v[209:210], null, v[207:208], v[207:208], v[205:206]
	v_div_scale_f64 v[215:216], vcc_lo, v[205:206], v[207:208], v[205:206]
	v_rcp_f64_e32 v[211:212], v[209:210]
	v_fma_f64 v[213:214], -v[209:210], v[211:212], 1.0
	v_fma_f64 v[211:212], v[211:212], v[213:214], v[211:212]
	v_fma_f64 v[213:214], -v[209:210], v[211:212], 1.0
	v_fma_f64 v[211:212], v[211:212], v[213:214], v[211:212]
	v_mul_f64 v[213:214], v[215:216], v[211:212]
	v_fma_f64 v[209:210], -v[209:210], v[213:214], v[215:216]
	v_div_fmas_f64 v[209:210], v[209:210], v[211:212], v[213:214]
	v_div_fixup_f64 v[209:210], v[209:210], v[207:208], v[205:206]
	v_fma_f64 v[205:206], v[205:206], v[209:210], v[207:208]
	v_div_scale_f64 v[207:208], null, v[205:206], v[205:206], 1.0
	v_rcp_f64_e32 v[211:212], v[207:208]
	v_fma_f64 v[213:214], -v[207:208], v[211:212], 1.0
	v_fma_f64 v[211:212], v[211:212], v[213:214], v[211:212]
	v_fma_f64 v[213:214], -v[207:208], v[211:212], 1.0
	v_fma_f64 v[211:212], v[211:212], v[213:214], v[211:212]
	v_div_scale_f64 v[213:214], vcc_lo, 1.0, v[205:206], 1.0
	v_mul_f64 v[215:216], v[213:214], v[211:212]
	v_fma_f64 v[207:208], -v[207:208], v[215:216], v[213:214]
	v_div_fmas_f64 v[207:208], v[207:208], v[211:212], v[215:216]
	v_div_fixup_f64 v[211:212], v[207:208], v[205:206], 1.0
                                        ; implicit-def: $vgpr205_vgpr206
	v_mul_f64 v[209:210], v[209:210], v[211:212]
	v_xor_b32_e32 v212, 0x80000000, v212
.LBB101_248:
	s_andn2_saveexec_b32 s1, s1
	s_cbranch_execz .LBB101_250
; %bb.249:
	v_div_scale_f64 v[209:210], null, v[205:206], v[205:206], v[207:208]
	v_div_scale_f64 v[215:216], vcc_lo, v[207:208], v[205:206], v[207:208]
	v_rcp_f64_e32 v[211:212], v[209:210]
	v_fma_f64 v[213:214], -v[209:210], v[211:212], 1.0
	v_fma_f64 v[211:212], v[211:212], v[213:214], v[211:212]
	v_fma_f64 v[213:214], -v[209:210], v[211:212], 1.0
	v_fma_f64 v[211:212], v[211:212], v[213:214], v[211:212]
	v_mul_f64 v[213:214], v[215:216], v[211:212]
	v_fma_f64 v[209:210], -v[209:210], v[213:214], v[215:216]
	v_div_fmas_f64 v[209:210], v[209:210], v[211:212], v[213:214]
	v_div_fixup_f64 v[211:212], v[209:210], v[205:206], v[207:208]
	v_fma_f64 v[205:206], v[207:208], v[211:212], v[205:206]
	v_div_scale_f64 v[207:208], null, v[205:206], v[205:206], 1.0
	v_rcp_f64_e32 v[209:210], v[207:208]
	v_fma_f64 v[213:214], -v[207:208], v[209:210], 1.0
	v_fma_f64 v[209:210], v[209:210], v[213:214], v[209:210]
	v_fma_f64 v[213:214], -v[207:208], v[209:210], 1.0
	v_fma_f64 v[209:210], v[209:210], v[213:214], v[209:210]
	v_div_scale_f64 v[213:214], vcc_lo, 1.0, v[205:206], 1.0
	v_mul_f64 v[215:216], v[213:214], v[209:210]
	v_fma_f64 v[207:208], -v[207:208], v[215:216], v[213:214]
	v_div_fmas_f64 v[207:208], v[207:208], v[209:210], v[215:216]
	v_div_fixup_f64 v[209:210], v[207:208], v[205:206], 1.0
	v_mul_f64 v[211:212], v[211:212], -v[209:210]
.LBB101_250:
	s_or_b32 exec_lo, exec_lo, s1
	ds_write2_b64 v255, v[209:210], v[211:212] offset1:1
.LBB101_251:
	s_or_b32 exec_lo, exec_lo, s2
	s_waitcnt lgkmcnt(0)
	s_barrier
	buffer_gl0_inv
	ds_read2_b64 v[201:204], v255 offset1:1
	s_mov_b32 s1, exec_lo
	s_waitcnt lgkmcnt(0)
	buffer_store_dword v201, off, s[16:19], 0 offset:824 ; 4-byte Folded Spill
	buffer_store_dword v202, off, s[16:19], 0 offset:828 ; 4-byte Folded Spill
	;; [unrolled: 1-line block ×4, first 2 shown]
	v_cmpx_lt_u32_e32 27, v0
	s_cbranch_execz .LBB101_253
; %bb.252:
	s_clause 0x3
	buffer_load_dword v201, off, s[16:19], 0 offset:824
	buffer_load_dword v202, off, s[16:19], 0 offset:828
	;; [unrolled: 1-line block ×4, first 2 shown]
	ds_read2_b64 v[207:210], v253 offset0:56 offset1:57
	s_waitcnt vmcnt(0)
	v_mul_f64 v[205:206], v[203:204], v[95:96]
	v_mul_f64 v[95:96], v[201:202], v[95:96]
	v_fma_f64 v[205:206], v[201:202], v[93:94], -v[205:206]
	v_fma_f64 v[95:96], v[203:204], v[93:94], v[95:96]
	s_waitcnt lgkmcnt(0)
	v_mul_f64 v[93:94], v[209:210], v[95:96]
	v_fma_f64 v[93:94], v[207:208], v[205:206], -v[93:94]
	v_mul_f64 v[207:208], v[207:208], v[95:96]
	v_add_f64 v[89:90], v[89:90], -v[93:94]
	v_fma_f64 v[207:208], v[209:210], v[205:206], v[207:208]
	v_add_f64 v[91:92], v[91:92], -v[207:208]
	ds_read2_b64 v[207:210], v253 offset0:58 offset1:59
	s_waitcnt lgkmcnt(0)
	v_mul_f64 v[93:94], v[209:210], v[95:96]
	v_fma_f64 v[93:94], v[207:208], v[205:206], -v[93:94]
	v_mul_f64 v[207:208], v[207:208], v[95:96]
	v_add_f64 v[85:86], v[85:86], -v[93:94]
	v_fma_f64 v[207:208], v[209:210], v[205:206], v[207:208]
	v_add_f64 v[87:88], v[87:88], -v[207:208]
	ds_read2_b64 v[207:210], v253 offset0:60 offset1:61
	;; [unrolled: 8-line block ×22, first 2 shown]
	s_waitcnt lgkmcnt(0)
	v_mul_f64 v[93:94], v[209:210], v[95:96]
	v_fma_f64 v[93:94], v[207:208], v[205:206], -v[93:94]
	v_mul_f64 v[207:208], v[207:208], v[95:96]
	v_add_f64 v[1:2], v[1:2], -v[93:94]
	v_fma_f64 v[207:208], v[209:210], v[205:206], v[207:208]
	v_mov_b32_e32 v93, v205
	v_mov_b32_e32 v94, v206
	v_add_f64 v[3:4], v[3:4], -v[207:208]
.LBB101_253:
	s_or_b32 exec_lo, exec_lo, s1
	s_mov_b32 s2, exec_lo
	s_waitcnt_vscnt null, 0x0
	s_barrier
	buffer_gl0_inv
	v_cmpx_eq_u32_e32 28, v0
	s_cbranch_execz .LBB101_260
; %bb.254:
	ds_write2_b64 v255, v[89:90], v[91:92] offset1:1
	ds_write2_b64 v253, v[85:86], v[87:88] offset0:58 offset1:59
	ds_write2_b64 v253, v[81:82], v[83:84] offset0:60 offset1:61
	;; [unrolled: 1-line block ×22, first 2 shown]
	ds_read2_b64 v[205:208], v255 offset1:1
	s_waitcnt lgkmcnt(0)
	v_cmp_neq_f64_e32 vcc_lo, 0, v[205:206]
	v_cmp_neq_f64_e64 s1, 0, v[207:208]
	s_or_b32 s1, vcc_lo, s1
	s_and_b32 exec_lo, exec_lo, s1
	s_cbranch_execz .LBB101_260
; %bb.255:
	v_cmp_ngt_f64_e64 s1, |v[205:206]|, |v[207:208]|
                                        ; implicit-def: $vgpr209_vgpr210
	s_and_saveexec_b32 s3, s1
	s_xor_b32 s1, exec_lo, s3
                                        ; implicit-def: $vgpr211_vgpr212
	s_cbranch_execz .LBB101_257
; %bb.256:
	v_div_scale_f64 v[209:210], null, v[207:208], v[207:208], v[205:206]
	v_div_scale_f64 v[215:216], vcc_lo, v[205:206], v[207:208], v[205:206]
	v_rcp_f64_e32 v[211:212], v[209:210]
	v_fma_f64 v[213:214], -v[209:210], v[211:212], 1.0
	v_fma_f64 v[211:212], v[211:212], v[213:214], v[211:212]
	v_fma_f64 v[213:214], -v[209:210], v[211:212], 1.0
	v_fma_f64 v[211:212], v[211:212], v[213:214], v[211:212]
	v_mul_f64 v[213:214], v[215:216], v[211:212]
	v_fma_f64 v[209:210], -v[209:210], v[213:214], v[215:216]
	v_div_fmas_f64 v[209:210], v[209:210], v[211:212], v[213:214]
	v_div_fixup_f64 v[209:210], v[209:210], v[207:208], v[205:206]
	v_fma_f64 v[205:206], v[205:206], v[209:210], v[207:208]
	v_div_scale_f64 v[207:208], null, v[205:206], v[205:206], 1.0
	v_rcp_f64_e32 v[211:212], v[207:208]
	v_fma_f64 v[213:214], -v[207:208], v[211:212], 1.0
	v_fma_f64 v[211:212], v[211:212], v[213:214], v[211:212]
	v_fma_f64 v[213:214], -v[207:208], v[211:212], 1.0
	v_fma_f64 v[211:212], v[211:212], v[213:214], v[211:212]
	v_div_scale_f64 v[213:214], vcc_lo, 1.0, v[205:206], 1.0
	v_mul_f64 v[215:216], v[213:214], v[211:212]
	v_fma_f64 v[207:208], -v[207:208], v[215:216], v[213:214]
	v_div_fmas_f64 v[207:208], v[207:208], v[211:212], v[215:216]
	v_div_fixup_f64 v[211:212], v[207:208], v[205:206], 1.0
                                        ; implicit-def: $vgpr205_vgpr206
	v_mul_f64 v[209:210], v[209:210], v[211:212]
	v_xor_b32_e32 v212, 0x80000000, v212
.LBB101_257:
	s_andn2_saveexec_b32 s1, s1
	s_cbranch_execz .LBB101_259
; %bb.258:
	v_div_scale_f64 v[209:210], null, v[205:206], v[205:206], v[207:208]
	v_div_scale_f64 v[215:216], vcc_lo, v[207:208], v[205:206], v[207:208]
	v_rcp_f64_e32 v[211:212], v[209:210]
	v_fma_f64 v[213:214], -v[209:210], v[211:212], 1.0
	v_fma_f64 v[211:212], v[211:212], v[213:214], v[211:212]
	v_fma_f64 v[213:214], -v[209:210], v[211:212], 1.0
	v_fma_f64 v[211:212], v[211:212], v[213:214], v[211:212]
	v_mul_f64 v[213:214], v[215:216], v[211:212]
	v_fma_f64 v[209:210], -v[209:210], v[213:214], v[215:216]
	v_div_fmas_f64 v[209:210], v[209:210], v[211:212], v[213:214]
	v_div_fixup_f64 v[211:212], v[209:210], v[205:206], v[207:208]
	v_fma_f64 v[205:206], v[207:208], v[211:212], v[205:206]
	v_div_scale_f64 v[207:208], null, v[205:206], v[205:206], 1.0
	v_rcp_f64_e32 v[209:210], v[207:208]
	v_fma_f64 v[213:214], -v[207:208], v[209:210], 1.0
	v_fma_f64 v[209:210], v[209:210], v[213:214], v[209:210]
	v_fma_f64 v[213:214], -v[207:208], v[209:210], 1.0
	v_fma_f64 v[209:210], v[209:210], v[213:214], v[209:210]
	v_div_scale_f64 v[213:214], vcc_lo, 1.0, v[205:206], 1.0
	v_mul_f64 v[215:216], v[213:214], v[209:210]
	v_fma_f64 v[207:208], -v[207:208], v[215:216], v[213:214]
	v_div_fmas_f64 v[207:208], v[207:208], v[209:210], v[215:216]
	v_div_fixup_f64 v[209:210], v[207:208], v[205:206], 1.0
	v_mul_f64 v[211:212], v[211:212], -v[209:210]
.LBB101_259:
	s_or_b32 exec_lo, exec_lo, s1
	ds_write2_b64 v255, v[209:210], v[211:212] offset1:1
.LBB101_260:
	s_or_b32 exec_lo, exec_lo, s2
	s_waitcnt lgkmcnt(0)
	s_barrier
	buffer_gl0_inv
	ds_read2_b64 v[201:204], v255 offset1:1
	s_mov_b32 s1, exec_lo
	s_waitcnt lgkmcnt(0)
	buffer_store_dword v201, off, s[16:19], 0 offset:840 ; 4-byte Folded Spill
	buffer_store_dword v202, off, s[16:19], 0 offset:844 ; 4-byte Folded Spill
	;; [unrolled: 1-line block ×4, first 2 shown]
	v_cmpx_lt_u32_e32 28, v0
	s_cbranch_execz .LBB101_262
; %bb.261:
	s_clause 0x3
	buffer_load_dword v201, off, s[16:19], 0 offset:840
	buffer_load_dword v202, off, s[16:19], 0 offset:844
	;; [unrolled: 1-line block ×4, first 2 shown]
	ds_read2_b64 v[207:210], v253 offset0:58 offset1:59
	s_waitcnt vmcnt(0)
	v_mul_f64 v[205:206], v[203:204], v[91:92]
	v_mul_f64 v[91:92], v[201:202], v[91:92]
	v_fma_f64 v[205:206], v[201:202], v[89:90], -v[205:206]
	v_fma_f64 v[91:92], v[203:204], v[89:90], v[91:92]
	s_waitcnt lgkmcnt(0)
	v_mul_f64 v[89:90], v[209:210], v[91:92]
	v_fma_f64 v[89:90], v[207:208], v[205:206], -v[89:90]
	v_mul_f64 v[207:208], v[207:208], v[91:92]
	v_add_f64 v[85:86], v[85:86], -v[89:90]
	v_fma_f64 v[207:208], v[209:210], v[205:206], v[207:208]
	v_add_f64 v[87:88], v[87:88], -v[207:208]
	ds_read2_b64 v[207:210], v253 offset0:60 offset1:61
	s_waitcnt lgkmcnt(0)
	v_mul_f64 v[89:90], v[209:210], v[91:92]
	v_fma_f64 v[89:90], v[207:208], v[205:206], -v[89:90]
	v_mul_f64 v[207:208], v[207:208], v[91:92]
	v_add_f64 v[81:82], v[81:82], -v[89:90]
	v_fma_f64 v[207:208], v[209:210], v[205:206], v[207:208]
	v_add_f64 v[83:84], v[83:84], -v[207:208]
	ds_read2_b64 v[207:210], v253 offset0:62 offset1:63
	;; [unrolled: 8-line block ×21, first 2 shown]
	s_waitcnt lgkmcnt(0)
	v_mul_f64 v[89:90], v[209:210], v[91:92]
	v_fma_f64 v[89:90], v[207:208], v[205:206], -v[89:90]
	v_mul_f64 v[207:208], v[207:208], v[91:92]
	v_add_f64 v[1:2], v[1:2], -v[89:90]
	v_fma_f64 v[207:208], v[209:210], v[205:206], v[207:208]
	v_mov_b32_e32 v89, v205
	v_mov_b32_e32 v90, v206
	v_add_f64 v[3:4], v[3:4], -v[207:208]
.LBB101_262:
	s_or_b32 exec_lo, exec_lo, s1
	s_mov_b32 s2, exec_lo
	s_waitcnt_vscnt null, 0x0
	s_barrier
	buffer_gl0_inv
	v_cmpx_eq_u32_e32 29, v0
	s_cbranch_execz .LBB101_269
; %bb.263:
	ds_write2_b64 v255, v[85:86], v[87:88] offset1:1
	ds_write2_b64 v253, v[81:82], v[83:84] offset0:60 offset1:61
	ds_write2_b64 v253, v[77:78], v[79:80] offset0:62 offset1:63
	ds_write2_b64 v253, v[73:74], v[75:76] offset0:64 offset1:65
	ds_write2_b64 v253, v[69:70], v[71:72] offset0:66 offset1:67
	ds_write2_b64 v253, v[65:66], v[67:68] offset0:68 offset1:69
	ds_write2_b64 v253, v[61:62], v[63:64] offset0:70 offset1:71
	ds_write2_b64 v253, v[57:58], v[59:60] offset0:72 offset1:73
	ds_write2_b64 v253, v[53:54], v[55:56] offset0:74 offset1:75
	ds_write2_b64 v253, v[49:50], v[51:52] offset0:76 offset1:77
	ds_write2_b64 v253, v[45:46], v[47:48] offset0:78 offset1:79
	ds_write2_b64 v253, v[41:42], v[43:44] offset0:80 offset1:81
	ds_write2_b64 v253, v[37:38], v[39:40] offset0:82 offset1:83
	ds_write2_b64 v253, v[33:34], v[35:36] offset0:84 offset1:85
	ds_write2_b64 v253, v[29:30], v[31:32] offset0:86 offset1:87
	ds_write2_b64 v253, v[25:26], v[27:28] offset0:88 offset1:89
	ds_write2_b64 v253, v[21:22], v[23:24] offset0:90 offset1:91
	ds_write2_b64 v253, v[17:18], v[19:20] offset0:92 offset1:93
	ds_write2_b64 v253, v[13:14], v[15:16] offset0:94 offset1:95
	ds_write2_b64 v253, v[9:10], v[11:12] offset0:96 offset1:97
	ds_write2_b64 v253, v[5:6], v[7:8] offset0:98 offset1:99
	ds_write2_b64 v253, v[1:2], v[3:4] offset0:100 offset1:101
	ds_read2_b64 v[205:208], v255 offset1:1
	s_waitcnt lgkmcnt(0)
	v_cmp_neq_f64_e32 vcc_lo, 0, v[205:206]
	v_cmp_neq_f64_e64 s1, 0, v[207:208]
	s_or_b32 s1, vcc_lo, s1
	s_and_b32 exec_lo, exec_lo, s1
	s_cbranch_execz .LBB101_269
; %bb.264:
	v_cmp_ngt_f64_e64 s1, |v[205:206]|, |v[207:208]|
                                        ; implicit-def: $vgpr209_vgpr210
	s_and_saveexec_b32 s3, s1
	s_xor_b32 s1, exec_lo, s3
                                        ; implicit-def: $vgpr211_vgpr212
	s_cbranch_execz .LBB101_266
; %bb.265:
	v_div_scale_f64 v[209:210], null, v[207:208], v[207:208], v[205:206]
	v_div_scale_f64 v[215:216], vcc_lo, v[205:206], v[207:208], v[205:206]
	v_rcp_f64_e32 v[211:212], v[209:210]
	v_fma_f64 v[213:214], -v[209:210], v[211:212], 1.0
	v_fma_f64 v[211:212], v[211:212], v[213:214], v[211:212]
	v_fma_f64 v[213:214], -v[209:210], v[211:212], 1.0
	v_fma_f64 v[211:212], v[211:212], v[213:214], v[211:212]
	v_mul_f64 v[213:214], v[215:216], v[211:212]
	v_fma_f64 v[209:210], -v[209:210], v[213:214], v[215:216]
	v_div_fmas_f64 v[209:210], v[209:210], v[211:212], v[213:214]
	v_div_fixup_f64 v[209:210], v[209:210], v[207:208], v[205:206]
	v_fma_f64 v[205:206], v[205:206], v[209:210], v[207:208]
	v_div_scale_f64 v[207:208], null, v[205:206], v[205:206], 1.0
	v_rcp_f64_e32 v[211:212], v[207:208]
	v_fma_f64 v[213:214], -v[207:208], v[211:212], 1.0
	v_fma_f64 v[211:212], v[211:212], v[213:214], v[211:212]
	v_fma_f64 v[213:214], -v[207:208], v[211:212], 1.0
	v_fma_f64 v[211:212], v[211:212], v[213:214], v[211:212]
	v_div_scale_f64 v[213:214], vcc_lo, 1.0, v[205:206], 1.0
	v_mul_f64 v[215:216], v[213:214], v[211:212]
	v_fma_f64 v[207:208], -v[207:208], v[215:216], v[213:214]
	v_div_fmas_f64 v[207:208], v[207:208], v[211:212], v[215:216]
	v_div_fixup_f64 v[211:212], v[207:208], v[205:206], 1.0
                                        ; implicit-def: $vgpr205_vgpr206
	v_mul_f64 v[209:210], v[209:210], v[211:212]
	v_xor_b32_e32 v212, 0x80000000, v212
.LBB101_266:
	s_andn2_saveexec_b32 s1, s1
	s_cbranch_execz .LBB101_268
; %bb.267:
	v_div_scale_f64 v[209:210], null, v[205:206], v[205:206], v[207:208]
	v_div_scale_f64 v[215:216], vcc_lo, v[207:208], v[205:206], v[207:208]
	v_rcp_f64_e32 v[211:212], v[209:210]
	v_fma_f64 v[213:214], -v[209:210], v[211:212], 1.0
	v_fma_f64 v[211:212], v[211:212], v[213:214], v[211:212]
	v_fma_f64 v[213:214], -v[209:210], v[211:212], 1.0
	v_fma_f64 v[211:212], v[211:212], v[213:214], v[211:212]
	v_mul_f64 v[213:214], v[215:216], v[211:212]
	v_fma_f64 v[209:210], -v[209:210], v[213:214], v[215:216]
	v_div_fmas_f64 v[209:210], v[209:210], v[211:212], v[213:214]
	v_div_fixup_f64 v[211:212], v[209:210], v[205:206], v[207:208]
	v_fma_f64 v[205:206], v[207:208], v[211:212], v[205:206]
	v_div_scale_f64 v[207:208], null, v[205:206], v[205:206], 1.0
	v_rcp_f64_e32 v[209:210], v[207:208]
	v_fma_f64 v[213:214], -v[207:208], v[209:210], 1.0
	v_fma_f64 v[209:210], v[209:210], v[213:214], v[209:210]
	v_fma_f64 v[213:214], -v[207:208], v[209:210], 1.0
	v_fma_f64 v[209:210], v[209:210], v[213:214], v[209:210]
	v_div_scale_f64 v[213:214], vcc_lo, 1.0, v[205:206], 1.0
	v_mul_f64 v[215:216], v[213:214], v[209:210]
	v_fma_f64 v[207:208], -v[207:208], v[215:216], v[213:214]
	v_div_fmas_f64 v[207:208], v[207:208], v[209:210], v[215:216]
	v_div_fixup_f64 v[209:210], v[207:208], v[205:206], 1.0
	v_mul_f64 v[211:212], v[211:212], -v[209:210]
.LBB101_268:
	s_or_b32 exec_lo, exec_lo, s1
	ds_write2_b64 v255, v[209:210], v[211:212] offset1:1
.LBB101_269:
	s_or_b32 exec_lo, exec_lo, s2
	s_waitcnt lgkmcnt(0)
	s_barrier
	buffer_gl0_inv
	ds_read2_b64 v[201:204], v255 offset1:1
	s_mov_b32 s1, exec_lo
	s_waitcnt lgkmcnt(0)
	buffer_store_dword v201, off, s[16:19], 0 offset:856 ; 4-byte Folded Spill
	buffer_store_dword v202, off, s[16:19], 0 offset:860 ; 4-byte Folded Spill
	;; [unrolled: 1-line block ×4, first 2 shown]
	v_cmpx_lt_u32_e32 29, v0
	s_cbranch_execz .LBB101_271
; %bb.270:
	s_clause 0x3
	buffer_load_dword v201, off, s[16:19], 0 offset:856
	buffer_load_dword v202, off, s[16:19], 0 offset:860
	;; [unrolled: 1-line block ×4, first 2 shown]
	ds_read2_b64 v[207:210], v253 offset0:60 offset1:61
	s_waitcnt vmcnt(0)
	v_mul_f64 v[205:206], v[203:204], v[87:88]
	v_mul_f64 v[87:88], v[201:202], v[87:88]
	v_fma_f64 v[205:206], v[201:202], v[85:86], -v[205:206]
	v_fma_f64 v[87:88], v[203:204], v[85:86], v[87:88]
	s_waitcnt lgkmcnt(0)
	v_mul_f64 v[85:86], v[209:210], v[87:88]
	v_fma_f64 v[85:86], v[207:208], v[205:206], -v[85:86]
	v_mul_f64 v[207:208], v[207:208], v[87:88]
	v_add_f64 v[81:82], v[81:82], -v[85:86]
	v_fma_f64 v[207:208], v[209:210], v[205:206], v[207:208]
	v_add_f64 v[83:84], v[83:84], -v[207:208]
	ds_read2_b64 v[207:210], v253 offset0:62 offset1:63
	s_waitcnt lgkmcnt(0)
	v_mul_f64 v[85:86], v[209:210], v[87:88]
	v_fma_f64 v[85:86], v[207:208], v[205:206], -v[85:86]
	v_mul_f64 v[207:208], v[207:208], v[87:88]
	v_add_f64 v[77:78], v[77:78], -v[85:86]
	v_fma_f64 v[207:208], v[209:210], v[205:206], v[207:208]
	v_add_f64 v[79:80], v[79:80], -v[207:208]
	ds_read2_b64 v[207:210], v253 offset0:64 offset1:65
	;; [unrolled: 8-line block ×20, first 2 shown]
	s_waitcnt lgkmcnt(0)
	v_mul_f64 v[85:86], v[209:210], v[87:88]
	v_fma_f64 v[85:86], v[207:208], v[205:206], -v[85:86]
	v_mul_f64 v[207:208], v[207:208], v[87:88]
	v_add_f64 v[1:2], v[1:2], -v[85:86]
	v_fma_f64 v[207:208], v[209:210], v[205:206], v[207:208]
	v_mov_b32_e32 v85, v205
	v_mov_b32_e32 v86, v206
	v_add_f64 v[3:4], v[3:4], -v[207:208]
.LBB101_271:
	s_or_b32 exec_lo, exec_lo, s1
	s_mov_b32 s2, exec_lo
	s_waitcnt_vscnt null, 0x0
	s_barrier
	buffer_gl0_inv
	v_cmpx_eq_u32_e32 30, v0
	s_cbranch_execz .LBB101_278
; %bb.272:
	ds_write2_b64 v255, v[81:82], v[83:84] offset1:1
	ds_write2_b64 v253, v[77:78], v[79:80] offset0:62 offset1:63
	ds_write2_b64 v253, v[73:74], v[75:76] offset0:64 offset1:65
	;; [unrolled: 1-line block ×20, first 2 shown]
	ds_read2_b64 v[205:208], v255 offset1:1
	s_waitcnt lgkmcnt(0)
	v_cmp_neq_f64_e32 vcc_lo, 0, v[205:206]
	v_cmp_neq_f64_e64 s1, 0, v[207:208]
	s_or_b32 s1, vcc_lo, s1
	s_and_b32 exec_lo, exec_lo, s1
	s_cbranch_execz .LBB101_278
; %bb.273:
	v_cmp_ngt_f64_e64 s1, |v[205:206]|, |v[207:208]|
                                        ; implicit-def: $vgpr209_vgpr210
	s_and_saveexec_b32 s3, s1
	s_xor_b32 s1, exec_lo, s3
                                        ; implicit-def: $vgpr211_vgpr212
	s_cbranch_execz .LBB101_275
; %bb.274:
	v_div_scale_f64 v[209:210], null, v[207:208], v[207:208], v[205:206]
	v_div_scale_f64 v[215:216], vcc_lo, v[205:206], v[207:208], v[205:206]
	v_rcp_f64_e32 v[211:212], v[209:210]
	v_fma_f64 v[213:214], -v[209:210], v[211:212], 1.0
	v_fma_f64 v[211:212], v[211:212], v[213:214], v[211:212]
	v_fma_f64 v[213:214], -v[209:210], v[211:212], 1.0
	v_fma_f64 v[211:212], v[211:212], v[213:214], v[211:212]
	v_mul_f64 v[213:214], v[215:216], v[211:212]
	v_fma_f64 v[209:210], -v[209:210], v[213:214], v[215:216]
	v_div_fmas_f64 v[209:210], v[209:210], v[211:212], v[213:214]
	v_div_fixup_f64 v[209:210], v[209:210], v[207:208], v[205:206]
	v_fma_f64 v[205:206], v[205:206], v[209:210], v[207:208]
	v_div_scale_f64 v[207:208], null, v[205:206], v[205:206], 1.0
	v_rcp_f64_e32 v[211:212], v[207:208]
	v_fma_f64 v[213:214], -v[207:208], v[211:212], 1.0
	v_fma_f64 v[211:212], v[211:212], v[213:214], v[211:212]
	v_fma_f64 v[213:214], -v[207:208], v[211:212], 1.0
	v_fma_f64 v[211:212], v[211:212], v[213:214], v[211:212]
	v_div_scale_f64 v[213:214], vcc_lo, 1.0, v[205:206], 1.0
	v_mul_f64 v[215:216], v[213:214], v[211:212]
	v_fma_f64 v[207:208], -v[207:208], v[215:216], v[213:214]
	v_div_fmas_f64 v[207:208], v[207:208], v[211:212], v[215:216]
	v_div_fixup_f64 v[211:212], v[207:208], v[205:206], 1.0
                                        ; implicit-def: $vgpr205_vgpr206
	v_mul_f64 v[209:210], v[209:210], v[211:212]
	v_xor_b32_e32 v212, 0x80000000, v212
.LBB101_275:
	s_andn2_saveexec_b32 s1, s1
	s_cbranch_execz .LBB101_277
; %bb.276:
	v_div_scale_f64 v[209:210], null, v[205:206], v[205:206], v[207:208]
	v_div_scale_f64 v[215:216], vcc_lo, v[207:208], v[205:206], v[207:208]
	v_rcp_f64_e32 v[211:212], v[209:210]
	v_fma_f64 v[213:214], -v[209:210], v[211:212], 1.0
	v_fma_f64 v[211:212], v[211:212], v[213:214], v[211:212]
	v_fma_f64 v[213:214], -v[209:210], v[211:212], 1.0
	v_fma_f64 v[211:212], v[211:212], v[213:214], v[211:212]
	v_mul_f64 v[213:214], v[215:216], v[211:212]
	v_fma_f64 v[209:210], -v[209:210], v[213:214], v[215:216]
	v_div_fmas_f64 v[209:210], v[209:210], v[211:212], v[213:214]
	v_div_fixup_f64 v[211:212], v[209:210], v[205:206], v[207:208]
	v_fma_f64 v[205:206], v[207:208], v[211:212], v[205:206]
	v_div_scale_f64 v[207:208], null, v[205:206], v[205:206], 1.0
	v_rcp_f64_e32 v[209:210], v[207:208]
	v_fma_f64 v[213:214], -v[207:208], v[209:210], 1.0
	v_fma_f64 v[209:210], v[209:210], v[213:214], v[209:210]
	v_fma_f64 v[213:214], -v[207:208], v[209:210], 1.0
	v_fma_f64 v[209:210], v[209:210], v[213:214], v[209:210]
	v_div_scale_f64 v[213:214], vcc_lo, 1.0, v[205:206], 1.0
	v_mul_f64 v[215:216], v[213:214], v[209:210]
	v_fma_f64 v[207:208], -v[207:208], v[215:216], v[213:214]
	v_div_fmas_f64 v[207:208], v[207:208], v[209:210], v[215:216]
	v_div_fixup_f64 v[209:210], v[207:208], v[205:206], 1.0
	v_mul_f64 v[211:212], v[211:212], -v[209:210]
.LBB101_277:
	s_or_b32 exec_lo, exec_lo, s1
	ds_write2_b64 v255, v[209:210], v[211:212] offset1:1
.LBB101_278:
	s_or_b32 exec_lo, exec_lo, s2
	s_waitcnt lgkmcnt(0)
	s_barrier
	buffer_gl0_inv
	ds_read2_b64 v[201:204], v255 offset1:1
	s_mov_b32 s1, exec_lo
	s_waitcnt lgkmcnt(0)
	buffer_store_dword v201, off, s[16:19], 0 offset:872 ; 4-byte Folded Spill
	buffer_store_dword v202, off, s[16:19], 0 offset:876 ; 4-byte Folded Spill
	;; [unrolled: 1-line block ×4, first 2 shown]
	v_cmpx_lt_u32_e32 30, v0
	s_cbranch_execz .LBB101_280
; %bb.279:
	s_clause 0x3
	buffer_load_dword v201, off, s[16:19], 0 offset:872
	buffer_load_dword v202, off, s[16:19], 0 offset:876
	;; [unrolled: 1-line block ×4, first 2 shown]
	ds_read2_b64 v[207:210], v253 offset0:62 offset1:63
	s_waitcnt vmcnt(0)
	v_mul_f64 v[205:206], v[203:204], v[83:84]
	v_mul_f64 v[83:84], v[201:202], v[83:84]
	v_fma_f64 v[205:206], v[201:202], v[81:82], -v[205:206]
	v_fma_f64 v[83:84], v[203:204], v[81:82], v[83:84]
	s_waitcnt lgkmcnt(0)
	v_mul_f64 v[81:82], v[209:210], v[83:84]
	v_fma_f64 v[81:82], v[207:208], v[205:206], -v[81:82]
	v_mul_f64 v[207:208], v[207:208], v[83:84]
	v_add_f64 v[77:78], v[77:78], -v[81:82]
	v_fma_f64 v[207:208], v[209:210], v[205:206], v[207:208]
	v_add_f64 v[79:80], v[79:80], -v[207:208]
	ds_read2_b64 v[207:210], v253 offset0:64 offset1:65
	s_waitcnt lgkmcnt(0)
	v_mul_f64 v[81:82], v[209:210], v[83:84]
	v_fma_f64 v[81:82], v[207:208], v[205:206], -v[81:82]
	v_mul_f64 v[207:208], v[207:208], v[83:84]
	v_add_f64 v[73:74], v[73:74], -v[81:82]
	v_fma_f64 v[207:208], v[209:210], v[205:206], v[207:208]
	v_add_f64 v[75:76], v[75:76], -v[207:208]
	ds_read2_b64 v[207:210], v253 offset0:66 offset1:67
	;; [unrolled: 8-line block ×19, first 2 shown]
	s_waitcnt lgkmcnt(0)
	v_mul_f64 v[81:82], v[209:210], v[83:84]
	v_fma_f64 v[81:82], v[207:208], v[205:206], -v[81:82]
	v_mul_f64 v[207:208], v[207:208], v[83:84]
	v_add_f64 v[1:2], v[1:2], -v[81:82]
	v_fma_f64 v[207:208], v[209:210], v[205:206], v[207:208]
	v_mov_b32_e32 v81, v205
	v_mov_b32_e32 v82, v206
	v_add_f64 v[3:4], v[3:4], -v[207:208]
.LBB101_280:
	s_or_b32 exec_lo, exec_lo, s1
	s_mov_b32 s2, exec_lo
	s_waitcnt_vscnt null, 0x0
	s_barrier
	buffer_gl0_inv
	v_cmpx_eq_u32_e32 31, v0
	s_cbranch_execz .LBB101_287
; %bb.281:
	ds_write2_b64 v255, v[77:78], v[79:80] offset1:1
	ds_write2_b64 v253, v[73:74], v[75:76] offset0:64 offset1:65
	ds_write2_b64 v253, v[69:70], v[71:72] offset0:66 offset1:67
	;; [unrolled: 1-line block ×19, first 2 shown]
	ds_read2_b64 v[205:208], v255 offset1:1
	s_waitcnt lgkmcnt(0)
	v_cmp_neq_f64_e32 vcc_lo, 0, v[205:206]
	v_cmp_neq_f64_e64 s1, 0, v[207:208]
	s_or_b32 s1, vcc_lo, s1
	s_and_b32 exec_lo, exec_lo, s1
	s_cbranch_execz .LBB101_287
; %bb.282:
	v_cmp_ngt_f64_e64 s1, |v[205:206]|, |v[207:208]|
                                        ; implicit-def: $vgpr209_vgpr210
	s_and_saveexec_b32 s3, s1
	s_xor_b32 s1, exec_lo, s3
                                        ; implicit-def: $vgpr211_vgpr212
	s_cbranch_execz .LBB101_284
; %bb.283:
	v_div_scale_f64 v[209:210], null, v[207:208], v[207:208], v[205:206]
	v_div_scale_f64 v[215:216], vcc_lo, v[205:206], v[207:208], v[205:206]
	v_rcp_f64_e32 v[211:212], v[209:210]
	v_fma_f64 v[213:214], -v[209:210], v[211:212], 1.0
	v_fma_f64 v[211:212], v[211:212], v[213:214], v[211:212]
	v_fma_f64 v[213:214], -v[209:210], v[211:212], 1.0
	v_fma_f64 v[211:212], v[211:212], v[213:214], v[211:212]
	v_mul_f64 v[213:214], v[215:216], v[211:212]
	v_fma_f64 v[209:210], -v[209:210], v[213:214], v[215:216]
	v_div_fmas_f64 v[209:210], v[209:210], v[211:212], v[213:214]
	v_div_fixup_f64 v[209:210], v[209:210], v[207:208], v[205:206]
	v_fma_f64 v[205:206], v[205:206], v[209:210], v[207:208]
	v_div_scale_f64 v[207:208], null, v[205:206], v[205:206], 1.0
	v_rcp_f64_e32 v[211:212], v[207:208]
	v_fma_f64 v[213:214], -v[207:208], v[211:212], 1.0
	v_fma_f64 v[211:212], v[211:212], v[213:214], v[211:212]
	v_fma_f64 v[213:214], -v[207:208], v[211:212], 1.0
	v_fma_f64 v[211:212], v[211:212], v[213:214], v[211:212]
	v_div_scale_f64 v[213:214], vcc_lo, 1.0, v[205:206], 1.0
	v_mul_f64 v[215:216], v[213:214], v[211:212]
	v_fma_f64 v[207:208], -v[207:208], v[215:216], v[213:214]
	v_div_fmas_f64 v[207:208], v[207:208], v[211:212], v[215:216]
	v_div_fixup_f64 v[211:212], v[207:208], v[205:206], 1.0
                                        ; implicit-def: $vgpr205_vgpr206
	v_mul_f64 v[209:210], v[209:210], v[211:212]
	v_xor_b32_e32 v212, 0x80000000, v212
.LBB101_284:
	s_andn2_saveexec_b32 s1, s1
	s_cbranch_execz .LBB101_286
; %bb.285:
	v_div_scale_f64 v[209:210], null, v[205:206], v[205:206], v[207:208]
	v_div_scale_f64 v[215:216], vcc_lo, v[207:208], v[205:206], v[207:208]
	v_rcp_f64_e32 v[211:212], v[209:210]
	v_fma_f64 v[213:214], -v[209:210], v[211:212], 1.0
	v_fma_f64 v[211:212], v[211:212], v[213:214], v[211:212]
	v_fma_f64 v[213:214], -v[209:210], v[211:212], 1.0
	v_fma_f64 v[211:212], v[211:212], v[213:214], v[211:212]
	v_mul_f64 v[213:214], v[215:216], v[211:212]
	v_fma_f64 v[209:210], -v[209:210], v[213:214], v[215:216]
	v_div_fmas_f64 v[209:210], v[209:210], v[211:212], v[213:214]
	v_div_fixup_f64 v[211:212], v[209:210], v[205:206], v[207:208]
	v_fma_f64 v[205:206], v[207:208], v[211:212], v[205:206]
	v_div_scale_f64 v[207:208], null, v[205:206], v[205:206], 1.0
	v_rcp_f64_e32 v[209:210], v[207:208]
	v_fma_f64 v[213:214], -v[207:208], v[209:210], 1.0
	v_fma_f64 v[209:210], v[209:210], v[213:214], v[209:210]
	v_fma_f64 v[213:214], -v[207:208], v[209:210], 1.0
	v_fma_f64 v[209:210], v[209:210], v[213:214], v[209:210]
	v_div_scale_f64 v[213:214], vcc_lo, 1.0, v[205:206], 1.0
	v_mul_f64 v[215:216], v[213:214], v[209:210]
	v_fma_f64 v[207:208], -v[207:208], v[215:216], v[213:214]
	v_div_fmas_f64 v[207:208], v[207:208], v[209:210], v[215:216]
	v_div_fixup_f64 v[209:210], v[207:208], v[205:206], 1.0
	v_mul_f64 v[211:212], v[211:212], -v[209:210]
.LBB101_286:
	s_or_b32 exec_lo, exec_lo, s1
	ds_write2_b64 v255, v[209:210], v[211:212] offset1:1
.LBB101_287:
	s_or_b32 exec_lo, exec_lo, s2
	s_waitcnt lgkmcnt(0)
	s_barrier
	buffer_gl0_inv
	ds_read2_b64 v[201:204], v255 offset1:1
	s_mov_b32 s1, exec_lo
	s_waitcnt lgkmcnt(0)
	buffer_store_dword v201, off, s[16:19], 0 offset:888 ; 4-byte Folded Spill
	buffer_store_dword v202, off, s[16:19], 0 offset:892 ; 4-byte Folded Spill
	;; [unrolled: 1-line block ×4, first 2 shown]
	v_cmpx_lt_u32_e32 31, v0
	s_cbranch_execz .LBB101_289
; %bb.288:
	s_clause 0x3
	buffer_load_dword v201, off, s[16:19], 0 offset:888
	buffer_load_dword v202, off, s[16:19], 0 offset:892
	;; [unrolled: 1-line block ×4, first 2 shown]
	ds_read2_b64 v[207:210], v253 offset0:64 offset1:65
	s_waitcnt vmcnt(0)
	v_mul_f64 v[205:206], v[203:204], v[79:80]
	v_mul_f64 v[79:80], v[201:202], v[79:80]
	v_fma_f64 v[205:206], v[201:202], v[77:78], -v[205:206]
	v_fma_f64 v[79:80], v[203:204], v[77:78], v[79:80]
	s_waitcnt lgkmcnt(0)
	v_mul_f64 v[77:78], v[209:210], v[79:80]
	v_fma_f64 v[77:78], v[207:208], v[205:206], -v[77:78]
	v_mul_f64 v[207:208], v[207:208], v[79:80]
	v_add_f64 v[73:74], v[73:74], -v[77:78]
	v_fma_f64 v[207:208], v[209:210], v[205:206], v[207:208]
	v_add_f64 v[75:76], v[75:76], -v[207:208]
	ds_read2_b64 v[207:210], v253 offset0:66 offset1:67
	s_waitcnt lgkmcnt(0)
	v_mul_f64 v[77:78], v[209:210], v[79:80]
	v_fma_f64 v[77:78], v[207:208], v[205:206], -v[77:78]
	v_mul_f64 v[207:208], v[207:208], v[79:80]
	v_add_f64 v[69:70], v[69:70], -v[77:78]
	v_fma_f64 v[207:208], v[209:210], v[205:206], v[207:208]
	v_add_f64 v[71:72], v[71:72], -v[207:208]
	ds_read2_b64 v[207:210], v253 offset0:68 offset1:69
	;; [unrolled: 8-line block ×18, first 2 shown]
	s_waitcnt lgkmcnt(0)
	v_mul_f64 v[77:78], v[209:210], v[79:80]
	v_fma_f64 v[77:78], v[207:208], v[205:206], -v[77:78]
	v_mul_f64 v[207:208], v[207:208], v[79:80]
	v_add_f64 v[1:2], v[1:2], -v[77:78]
	v_fma_f64 v[207:208], v[209:210], v[205:206], v[207:208]
	v_mov_b32_e32 v77, v205
	v_mov_b32_e32 v78, v206
	v_add_f64 v[3:4], v[3:4], -v[207:208]
.LBB101_289:
	s_or_b32 exec_lo, exec_lo, s1
	s_mov_b32 s2, exec_lo
	s_waitcnt_vscnt null, 0x0
	s_barrier
	buffer_gl0_inv
	v_cmpx_eq_u32_e32 32, v0
	s_cbranch_execz .LBB101_296
; %bb.290:
	ds_write2_b64 v255, v[73:74], v[75:76] offset1:1
	ds_write2_b64 v253, v[69:70], v[71:72] offset0:66 offset1:67
	ds_write2_b64 v253, v[65:66], v[67:68] offset0:68 offset1:69
	;; [unrolled: 1-line block ×18, first 2 shown]
	ds_read2_b64 v[205:208], v255 offset1:1
	s_waitcnt lgkmcnt(0)
	v_cmp_neq_f64_e32 vcc_lo, 0, v[205:206]
	v_cmp_neq_f64_e64 s1, 0, v[207:208]
	s_or_b32 s1, vcc_lo, s1
	s_and_b32 exec_lo, exec_lo, s1
	s_cbranch_execz .LBB101_296
; %bb.291:
	v_cmp_ngt_f64_e64 s1, |v[205:206]|, |v[207:208]|
                                        ; implicit-def: $vgpr209_vgpr210
	s_and_saveexec_b32 s3, s1
	s_xor_b32 s1, exec_lo, s3
                                        ; implicit-def: $vgpr211_vgpr212
	s_cbranch_execz .LBB101_293
; %bb.292:
	v_div_scale_f64 v[209:210], null, v[207:208], v[207:208], v[205:206]
	v_div_scale_f64 v[215:216], vcc_lo, v[205:206], v[207:208], v[205:206]
	v_rcp_f64_e32 v[211:212], v[209:210]
	v_fma_f64 v[213:214], -v[209:210], v[211:212], 1.0
	v_fma_f64 v[211:212], v[211:212], v[213:214], v[211:212]
	v_fma_f64 v[213:214], -v[209:210], v[211:212], 1.0
	v_fma_f64 v[211:212], v[211:212], v[213:214], v[211:212]
	v_mul_f64 v[213:214], v[215:216], v[211:212]
	v_fma_f64 v[209:210], -v[209:210], v[213:214], v[215:216]
	v_div_fmas_f64 v[209:210], v[209:210], v[211:212], v[213:214]
	v_div_fixup_f64 v[209:210], v[209:210], v[207:208], v[205:206]
	v_fma_f64 v[205:206], v[205:206], v[209:210], v[207:208]
	v_div_scale_f64 v[207:208], null, v[205:206], v[205:206], 1.0
	v_rcp_f64_e32 v[211:212], v[207:208]
	v_fma_f64 v[213:214], -v[207:208], v[211:212], 1.0
	v_fma_f64 v[211:212], v[211:212], v[213:214], v[211:212]
	v_fma_f64 v[213:214], -v[207:208], v[211:212], 1.0
	v_fma_f64 v[211:212], v[211:212], v[213:214], v[211:212]
	v_div_scale_f64 v[213:214], vcc_lo, 1.0, v[205:206], 1.0
	v_mul_f64 v[215:216], v[213:214], v[211:212]
	v_fma_f64 v[207:208], -v[207:208], v[215:216], v[213:214]
	v_div_fmas_f64 v[207:208], v[207:208], v[211:212], v[215:216]
	v_div_fixup_f64 v[211:212], v[207:208], v[205:206], 1.0
                                        ; implicit-def: $vgpr205_vgpr206
	v_mul_f64 v[209:210], v[209:210], v[211:212]
	v_xor_b32_e32 v212, 0x80000000, v212
.LBB101_293:
	s_andn2_saveexec_b32 s1, s1
	s_cbranch_execz .LBB101_295
; %bb.294:
	v_div_scale_f64 v[209:210], null, v[205:206], v[205:206], v[207:208]
	v_div_scale_f64 v[215:216], vcc_lo, v[207:208], v[205:206], v[207:208]
	v_rcp_f64_e32 v[211:212], v[209:210]
	v_fma_f64 v[213:214], -v[209:210], v[211:212], 1.0
	v_fma_f64 v[211:212], v[211:212], v[213:214], v[211:212]
	v_fma_f64 v[213:214], -v[209:210], v[211:212], 1.0
	v_fma_f64 v[211:212], v[211:212], v[213:214], v[211:212]
	v_mul_f64 v[213:214], v[215:216], v[211:212]
	v_fma_f64 v[209:210], -v[209:210], v[213:214], v[215:216]
	v_div_fmas_f64 v[209:210], v[209:210], v[211:212], v[213:214]
	v_div_fixup_f64 v[211:212], v[209:210], v[205:206], v[207:208]
	v_fma_f64 v[205:206], v[207:208], v[211:212], v[205:206]
	v_div_scale_f64 v[207:208], null, v[205:206], v[205:206], 1.0
	v_rcp_f64_e32 v[209:210], v[207:208]
	v_fma_f64 v[213:214], -v[207:208], v[209:210], 1.0
	v_fma_f64 v[209:210], v[209:210], v[213:214], v[209:210]
	v_fma_f64 v[213:214], -v[207:208], v[209:210], 1.0
	v_fma_f64 v[209:210], v[209:210], v[213:214], v[209:210]
	v_div_scale_f64 v[213:214], vcc_lo, 1.0, v[205:206], 1.0
	v_mul_f64 v[215:216], v[213:214], v[209:210]
	v_fma_f64 v[207:208], -v[207:208], v[215:216], v[213:214]
	v_div_fmas_f64 v[207:208], v[207:208], v[209:210], v[215:216]
	v_div_fixup_f64 v[209:210], v[207:208], v[205:206], 1.0
	v_mul_f64 v[211:212], v[211:212], -v[209:210]
.LBB101_295:
	s_or_b32 exec_lo, exec_lo, s1
	ds_write2_b64 v255, v[209:210], v[211:212] offset1:1
.LBB101_296:
	s_or_b32 exec_lo, exec_lo, s2
	s_waitcnt lgkmcnt(0)
	s_barrier
	buffer_gl0_inv
	ds_read2_b64 v[201:204], v255 offset1:1
	s_mov_b32 s1, exec_lo
	s_waitcnt lgkmcnt(0)
	buffer_store_dword v201, off, s[16:19], 0 offset:904 ; 4-byte Folded Spill
	buffer_store_dword v202, off, s[16:19], 0 offset:908 ; 4-byte Folded Spill
	;; [unrolled: 1-line block ×4, first 2 shown]
	v_cmpx_lt_u32_e32 32, v0
	s_cbranch_execz .LBB101_298
; %bb.297:
	s_clause 0x3
	buffer_load_dword v201, off, s[16:19], 0 offset:904
	buffer_load_dword v202, off, s[16:19], 0 offset:908
	buffer_load_dword v203, off, s[16:19], 0 offset:912
	buffer_load_dword v204, off, s[16:19], 0 offset:916
	ds_read2_b64 v[207:210], v253 offset0:66 offset1:67
	s_waitcnt vmcnt(0)
	v_mul_f64 v[205:206], v[203:204], v[75:76]
	v_mul_f64 v[75:76], v[201:202], v[75:76]
	v_fma_f64 v[205:206], v[201:202], v[73:74], -v[205:206]
	v_fma_f64 v[75:76], v[203:204], v[73:74], v[75:76]
	s_waitcnt lgkmcnt(0)
	v_mul_f64 v[73:74], v[209:210], v[75:76]
	v_fma_f64 v[73:74], v[207:208], v[205:206], -v[73:74]
	v_mul_f64 v[207:208], v[207:208], v[75:76]
	v_add_f64 v[69:70], v[69:70], -v[73:74]
	v_fma_f64 v[207:208], v[209:210], v[205:206], v[207:208]
	v_add_f64 v[71:72], v[71:72], -v[207:208]
	ds_read2_b64 v[207:210], v253 offset0:68 offset1:69
	s_waitcnt lgkmcnt(0)
	v_mul_f64 v[73:74], v[209:210], v[75:76]
	v_fma_f64 v[73:74], v[207:208], v[205:206], -v[73:74]
	v_mul_f64 v[207:208], v[207:208], v[75:76]
	v_add_f64 v[65:66], v[65:66], -v[73:74]
	v_fma_f64 v[207:208], v[209:210], v[205:206], v[207:208]
	v_add_f64 v[67:68], v[67:68], -v[207:208]
	ds_read2_b64 v[207:210], v253 offset0:70 offset1:71
	;; [unrolled: 8-line block ×17, first 2 shown]
	s_waitcnt lgkmcnt(0)
	v_mul_f64 v[73:74], v[209:210], v[75:76]
	v_fma_f64 v[73:74], v[207:208], v[205:206], -v[73:74]
	v_mul_f64 v[207:208], v[207:208], v[75:76]
	v_add_f64 v[1:2], v[1:2], -v[73:74]
	v_fma_f64 v[207:208], v[209:210], v[205:206], v[207:208]
	v_mov_b32_e32 v73, v205
	v_mov_b32_e32 v74, v206
	v_add_f64 v[3:4], v[3:4], -v[207:208]
.LBB101_298:
	s_or_b32 exec_lo, exec_lo, s1
	s_mov_b32 s2, exec_lo
	s_waitcnt_vscnt null, 0x0
	s_barrier
	buffer_gl0_inv
	v_cmpx_eq_u32_e32 33, v0
	s_cbranch_execz .LBB101_305
; %bb.299:
	ds_write2_b64 v255, v[69:70], v[71:72] offset1:1
	ds_write2_b64 v253, v[65:66], v[67:68] offset0:68 offset1:69
	ds_write2_b64 v253, v[61:62], v[63:64] offset0:70 offset1:71
	;; [unrolled: 1-line block ×17, first 2 shown]
	ds_read2_b64 v[205:208], v255 offset1:1
	s_waitcnt lgkmcnt(0)
	v_cmp_neq_f64_e32 vcc_lo, 0, v[205:206]
	v_cmp_neq_f64_e64 s1, 0, v[207:208]
	s_or_b32 s1, vcc_lo, s1
	s_and_b32 exec_lo, exec_lo, s1
	s_cbranch_execz .LBB101_305
; %bb.300:
	v_cmp_ngt_f64_e64 s1, |v[205:206]|, |v[207:208]|
                                        ; implicit-def: $vgpr209_vgpr210
	s_and_saveexec_b32 s3, s1
	s_xor_b32 s1, exec_lo, s3
                                        ; implicit-def: $vgpr211_vgpr212
	s_cbranch_execz .LBB101_302
; %bb.301:
	v_div_scale_f64 v[209:210], null, v[207:208], v[207:208], v[205:206]
	v_div_scale_f64 v[215:216], vcc_lo, v[205:206], v[207:208], v[205:206]
	v_rcp_f64_e32 v[211:212], v[209:210]
	v_fma_f64 v[213:214], -v[209:210], v[211:212], 1.0
	v_fma_f64 v[211:212], v[211:212], v[213:214], v[211:212]
	v_fma_f64 v[213:214], -v[209:210], v[211:212], 1.0
	v_fma_f64 v[211:212], v[211:212], v[213:214], v[211:212]
	v_mul_f64 v[213:214], v[215:216], v[211:212]
	v_fma_f64 v[209:210], -v[209:210], v[213:214], v[215:216]
	v_div_fmas_f64 v[209:210], v[209:210], v[211:212], v[213:214]
	v_div_fixup_f64 v[209:210], v[209:210], v[207:208], v[205:206]
	v_fma_f64 v[205:206], v[205:206], v[209:210], v[207:208]
	v_div_scale_f64 v[207:208], null, v[205:206], v[205:206], 1.0
	v_rcp_f64_e32 v[211:212], v[207:208]
	v_fma_f64 v[213:214], -v[207:208], v[211:212], 1.0
	v_fma_f64 v[211:212], v[211:212], v[213:214], v[211:212]
	v_fma_f64 v[213:214], -v[207:208], v[211:212], 1.0
	v_fma_f64 v[211:212], v[211:212], v[213:214], v[211:212]
	v_div_scale_f64 v[213:214], vcc_lo, 1.0, v[205:206], 1.0
	v_mul_f64 v[215:216], v[213:214], v[211:212]
	v_fma_f64 v[207:208], -v[207:208], v[215:216], v[213:214]
	v_div_fmas_f64 v[207:208], v[207:208], v[211:212], v[215:216]
	v_div_fixup_f64 v[211:212], v[207:208], v[205:206], 1.0
                                        ; implicit-def: $vgpr205_vgpr206
	v_mul_f64 v[209:210], v[209:210], v[211:212]
	v_xor_b32_e32 v212, 0x80000000, v212
.LBB101_302:
	s_andn2_saveexec_b32 s1, s1
	s_cbranch_execz .LBB101_304
; %bb.303:
	v_div_scale_f64 v[209:210], null, v[205:206], v[205:206], v[207:208]
	v_div_scale_f64 v[215:216], vcc_lo, v[207:208], v[205:206], v[207:208]
	v_rcp_f64_e32 v[211:212], v[209:210]
	v_fma_f64 v[213:214], -v[209:210], v[211:212], 1.0
	v_fma_f64 v[211:212], v[211:212], v[213:214], v[211:212]
	v_fma_f64 v[213:214], -v[209:210], v[211:212], 1.0
	v_fma_f64 v[211:212], v[211:212], v[213:214], v[211:212]
	v_mul_f64 v[213:214], v[215:216], v[211:212]
	v_fma_f64 v[209:210], -v[209:210], v[213:214], v[215:216]
	v_div_fmas_f64 v[209:210], v[209:210], v[211:212], v[213:214]
	v_div_fixup_f64 v[211:212], v[209:210], v[205:206], v[207:208]
	v_fma_f64 v[205:206], v[207:208], v[211:212], v[205:206]
	v_div_scale_f64 v[207:208], null, v[205:206], v[205:206], 1.0
	v_rcp_f64_e32 v[209:210], v[207:208]
	v_fma_f64 v[213:214], -v[207:208], v[209:210], 1.0
	v_fma_f64 v[209:210], v[209:210], v[213:214], v[209:210]
	v_fma_f64 v[213:214], -v[207:208], v[209:210], 1.0
	v_fma_f64 v[209:210], v[209:210], v[213:214], v[209:210]
	v_div_scale_f64 v[213:214], vcc_lo, 1.0, v[205:206], 1.0
	v_mul_f64 v[215:216], v[213:214], v[209:210]
	v_fma_f64 v[207:208], -v[207:208], v[215:216], v[213:214]
	v_div_fmas_f64 v[207:208], v[207:208], v[209:210], v[215:216]
	v_div_fixup_f64 v[209:210], v[207:208], v[205:206], 1.0
	v_mul_f64 v[211:212], v[211:212], -v[209:210]
.LBB101_304:
	s_or_b32 exec_lo, exec_lo, s1
	ds_write2_b64 v255, v[209:210], v[211:212] offset1:1
.LBB101_305:
	s_or_b32 exec_lo, exec_lo, s2
	s_waitcnt lgkmcnt(0)
	s_barrier
	buffer_gl0_inv
	ds_read2_b64 v[201:204], v255 offset1:1
	s_mov_b32 s1, exec_lo
	s_waitcnt lgkmcnt(0)
	buffer_store_dword v201, off, s[16:19], 0 offset:920 ; 4-byte Folded Spill
	buffer_store_dword v202, off, s[16:19], 0 offset:924 ; 4-byte Folded Spill
	;; [unrolled: 1-line block ×4, first 2 shown]
	v_cmpx_lt_u32_e32 33, v0
	s_cbranch_execz .LBB101_307
; %bb.306:
	s_clause 0x3
	buffer_load_dword v201, off, s[16:19], 0 offset:920
	buffer_load_dword v202, off, s[16:19], 0 offset:924
	;; [unrolled: 1-line block ×4, first 2 shown]
	ds_read2_b64 v[207:210], v253 offset0:68 offset1:69
	s_waitcnt vmcnt(0)
	v_mul_f64 v[205:206], v[203:204], v[71:72]
	v_mul_f64 v[71:72], v[201:202], v[71:72]
	v_fma_f64 v[205:206], v[201:202], v[69:70], -v[205:206]
	v_fma_f64 v[71:72], v[203:204], v[69:70], v[71:72]
	s_waitcnt lgkmcnt(0)
	v_mul_f64 v[69:70], v[209:210], v[71:72]
	v_fma_f64 v[69:70], v[207:208], v[205:206], -v[69:70]
	v_mul_f64 v[207:208], v[207:208], v[71:72]
	v_add_f64 v[65:66], v[65:66], -v[69:70]
	v_fma_f64 v[207:208], v[209:210], v[205:206], v[207:208]
	v_add_f64 v[67:68], v[67:68], -v[207:208]
	ds_read2_b64 v[207:210], v253 offset0:70 offset1:71
	s_waitcnt lgkmcnt(0)
	v_mul_f64 v[69:70], v[209:210], v[71:72]
	v_fma_f64 v[69:70], v[207:208], v[205:206], -v[69:70]
	v_mul_f64 v[207:208], v[207:208], v[71:72]
	v_add_f64 v[61:62], v[61:62], -v[69:70]
	v_fma_f64 v[207:208], v[209:210], v[205:206], v[207:208]
	v_add_f64 v[63:64], v[63:64], -v[207:208]
	ds_read2_b64 v[207:210], v253 offset0:72 offset1:73
	;; [unrolled: 8-line block ×16, first 2 shown]
	s_waitcnt lgkmcnt(0)
	v_mul_f64 v[69:70], v[209:210], v[71:72]
	v_fma_f64 v[69:70], v[207:208], v[205:206], -v[69:70]
	v_mul_f64 v[207:208], v[207:208], v[71:72]
	v_add_f64 v[1:2], v[1:2], -v[69:70]
	v_fma_f64 v[207:208], v[209:210], v[205:206], v[207:208]
	v_mov_b32_e32 v69, v205
	v_mov_b32_e32 v70, v206
	v_add_f64 v[3:4], v[3:4], -v[207:208]
.LBB101_307:
	s_or_b32 exec_lo, exec_lo, s1
	s_mov_b32 s2, exec_lo
	s_waitcnt_vscnt null, 0x0
	s_barrier
	buffer_gl0_inv
	v_cmpx_eq_u32_e32 34, v0
	s_cbranch_execz .LBB101_314
; %bb.308:
	ds_write2_b64 v255, v[65:66], v[67:68] offset1:1
	ds_write2_b64 v253, v[61:62], v[63:64] offset0:70 offset1:71
	ds_write2_b64 v253, v[57:58], v[59:60] offset0:72 offset1:73
	;; [unrolled: 1-line block ×16, first 2 shown]
	ds_read2_b64 v[205:208], v255 offset1:1
	s_waitcnt lgkmcnt(0)
	v_cmp_neq_f64_e32 vcc_lo, 0, v[205:206]
	v_cmp_neq_f64_e64 s1, 0, v[207:208]
	s_or_b32 s1, vcc_lo, s1
	s_and_b32 exec_lo, exec_lo, s1
	s_cbranch_execz .LBB101_314
; %bb.309:
	v_cmp_ngt_f64_e64 s1, |v[205:206]|, |v[207:208]|
                                        ; implicit-def: $vgpr209_vgpr210
	s_and_saveexec_b32 s3, s1
	s_xor_b32 s1, exec_lo, s3
                                        ; implicit-def: $vgpr211_vgpr212
	s_cbranch_execz .LBB101_311
; %bb.310:
	v_div_scale_f64 v[209:210], null, v[207:208], v[207:208], v[205:206]
	v_div_scale_f64 v[215:216], vcc_lo, v[205:206], v[207:208], v[205:206]
	v_rcp_f64_e32 v[211:212], v[209:210]
	v_fma_f64 v[213:214], -v[209:210], v[211:212], 1.0
	v_fma_f64 v[211:212], v[211:212], v[213:214], v[211:212]
	v_fma_f64 v[213:214], -v[209:210], v[211:212], 1.0
	v_fma_f64 v[211:212], v[211:212], v[213:214], v[211:212]
	v_mul_f64 v[213:214], v[215:216], v[211:212]
	v_fma_f64 v[209:210], -v[209:210], v[213:214], v[215:216]
	v_div_fmas_f64 v[209:210], v[209:210], v[211:212], v[213:214]
	v_div_fixup_f64 v[209:210], v[209:210], v[207:208], v[205:206]
	v_fma_f64 v[205:206], v[205:206], v[209:210], v[207:208]
	v_div_scale_f64 v[207:208], null, v[205:206], v[205:206], 1.0
	v_rcp_f64_e32 v[211:212], v[207:208]
	v_fma_f64 v[213:214], -v[207:208], v[211:212], 1.0
	v_fma_f64 v[211:212], v[211:212], v[213:214], v[211:212]
	v_fma_f64 v[213:214], -v[207:208], v[211:212], 1.0
	v_fma_f64 v[211:212], v[211:212], v[213:214], v[211:212]
	v_div_scale_f64 v[213:214], vcc_lo, 1.0, v[205:206], 1.0
	v_mul_f64 v[215:216], v[213:214], v[211:212]
	v_fma_f64 v[207:208], -v[207:208], v[215:216], v[213:214]
	v_div_fmas_f64 v[207:208], v[207:208], v[211:212], v[215:216]
	v_div_fixup_f64 v[211:212], v[207:208], v[205:206], 1.0
                                        ; implicit-def: $vgpr205_vgpr206
	v_mul_f64 v[209:210], v[209:210], v[211:212]
	v_xor_b32_e32 v212, 0x80000000, v212
.LBB101_311:
	s_andn2_saveexec_b32 s1, s1
	s_cbranch_execz .LBB101_313
; %bb.312:
	v_div_scale_f64 v[209:210], null, v[205:206], v[205:206], v[207:208]
	v_div_scale_f64 v[215:216], vcc_lo, v[207:208], v[205:206], v[207:208]
	v_rcp_f64_e32 v[211:212], v[209:210]
	v_fma_f64 v[213:214], -v[209:210], v[211:212], 1.0
	v_fma_f64 v[211:212], v[211:212], v[213:214], v[211:212]
	v_fma_f64 v[213:214], -v[209:210], v[211:212], 1.0
	v_fma_f64 v[211:212], v[211:212], v[213:214], v[211:212]
	v_mul_f64 v[213:214], v[215:216], v[211:212]
	v_fma_f64 v[209:210], -v[209:210], v[213:214], v[215:216]
	v_div_fmas_f64 v[209:210], v[209:210], v[211:212], v[213:214]
	v_div_fixup_f64 v[211:212], v[209:210], v[205:206], v[207:208]
	v_fma_f64 v[205:206], v[207:208], v[211:212], v[205:206]
	v_div_scale_f64 v[207:208], null, v[205:206], v[205:206], 1.0
	v_rcp_f64_e32 v[209:210], v[207:208]
	v_fma_f64 v[213:214], -v[207:208], v[209:210], 1.0
	v_fma_f64 v[209:210], v[209:210], v[213:214], v[209:210]
	v_fma_f64 v[213:214], -v[207:208], v[209:210], 1.0
	v_fma_f64 v[209:210], v[209:210], v[213:214], v[209:210]
	v_div_scale_f64 v[213:214], vcc_lo, 1.0, v[205:206], 1.0
	v_mul_f64 v[215:216], v[213:214], v[209:210]
	v_fma_f64 v[207:208], -v[207:208], v[215:216], v[213:214]
	v_div_fmas_f64 v[207:208], v[207:208], v[209:210], v[215:216]
	v_div_fixup_f64 v[209:210], v[207:208], v[205:206], 1.0
	v_mul_f64 v[211:212], v[211:212], -v[209:210]
.LBB101_313:
	s_or_b32 exec_lo, exec_lo, s1
	ds_write2_b64 v255, v[209:210], v[211:212] offset1:1
.LBB101_314:
	s_or_b32 exec_lo, exec_lo, s2
	s_waitcnt lgkmcnt(0)
	s_barrier
	buffer_gl0_inv
	ds_read2_b64 v[201:204], v255 offset1:1
	s_mov_b32 s1, exec_lo
	s_waitcnt lgkmcnt(0)
	buffer_store_dword v201, off, s[16:19], 0 offset:936 ; 4-byte Folded Spill
	buffer_store_dword v202, off, s[16:19], 0 offset:940 ; 4-byte Folded Spill
	buffer_store_dword v203, off, s[16:19], 0 offset:944 ; 4-byte Folded Spill
	buffer_store_dword v204, off, s[16:19], 0 offset:948 ; 4-byte Folded Spill
	v_cmpx_lt_u32_e32 34, v0
	s_cbranch_execz .LBB101_316
; %bb.315:
	s_clause 0x3
	buffer_load_dword v201, off, s[16:19], 0 offset:936
	buffer_load_dword v202, off, s[16:19], 0 offset:940
	buffer_load_dword v203, off, s[16:19], 0 offset:944
	buffer_load_dword v204, off, s[16:19], 0 offset:948
	ds_read2_b64 v[207:210], v253 offset0:70 offset1:71
	s_waitcnt vmcnt(2)
	v_mul_f64 v[205:206], v[201:202], v[67:68]
	s_waitcnt vmcnt(0)
	v_mul_f64 v[67:68], v[203:204], v[67:68]
	v_fma_f64 v[205:206], v[203:204], v[65:66], v[205:206]
	v_fma_f64 v[65:66], v[201:202], v[65:66], -v[67:68]
	s_waitcnt lgkmcnt(0)
	v_mul_f64 v[67:68], v[209:210], v[205:206]
	v_fma_f64 v[67:68], v[207:208], v[65:66], -v[67:68]
	v_mul_f64 v[207:208], v[207:208], v[205:206]
	v_add_f64 v[61:62], v[61:62], -v[67:68]
	v_fma_f64 v[207:208], v[209:210], v[65:66], v[207:208]
	v_add_f64 v[63:64], v[63:64], -v[207:208]
	ds_read2_b64 v[207:210], v253 offset0:72 offset1:73
	s_waitcnt lgkmcnt(0)
	v_mul_f64 v[67:68], v[209:210], v[205:206]
	v_fma_f64 v[67:68], v[207:208], v[65:66], -v[67:68]
	v_mul_f64 v[207:208], v[207:208], v[205:206]
	v_add_f64 v[57:58], v[57:58], -v[67:68]
	v_fma_f64 v[207:208], v[209:210], v[65:66], v[207:208]
	v_add_f64 v[59:60], v[59:60], -v[207:208]
	ds_read2_b64 v[207:210], v253 offset0:74 offset1:75
	s_waitcnt lgkmcnt(0)
	v_mul_f64 v[67:68], v[209:210], v[205:206]
	v_fma_f64 v[67:68], v[207:208], v[65:66], -v[67:68]
	v_mul_f64 v[207:208], v[207:208], v[205:206]
	v_add_f64 v[53:54], v[53:54], -v[67:68]
	v_fma_f64 v[207:208], v[209:210], v[65:66], v[207:208]
	v_add_f64 v[55:56], v[55:56], -v[207:208]
	ds_read2_b64 v[207:210], v253 offset0:76 offset1:77
	s_waitcnt lgkmcnt(0)
	v_mul_f64 v[67:68], v[209:210], v[205:206]
	v_fma_f64 v[67:68], v[207:208], v[65:66], -v[67:68]
	v_mul_f64 v[207:208], v[207:208], v[205:206]
	v_add_f64 v[49:50], v[49:50], -v[67:68]
	v_fma_f64 v[207:208], v[209:210], v[65:66], v[207:208]
	v_add_f64 v[51:52], v[51:52], -v[207:208]
	ds_read2_b64 v[207:210], v253 offset0:78 offset1:79
	s_waitcnt lgkmcnt(0)
	v_mul_f64 v[67:68], v[209:210], v[205:206]
	v_fma_f64 v[67:68], v[207:208], v[65:66], -v[67:68]
	v_mul_f64 v[207:208], v[207:208], v[205:206]
	v_add_f64 v[45:46], v[45:46], -v[67:68]
	v_fma_f64 v[207:208], v[209:210], v[65:66], v[207:208]
	v_add_f64 v[47:48], v[47:48], -v[207:208]
	ds_read2_b64 v[207:210], v253 offset0:80 offset1:81
	s_waitcnt lgkmcnt(0)
	v_mul_f64 v[67:68], v[209:210], v[205:206]
	v_fma_f64 v[67:68], v[207:208], v[65:66], -v[67:68]
	v_mul_f64 v[207:208], v[207:208], v[205:206]
	v_add_f64 v[41:42], v[41:42], -v[67:68]
	v_fma_f64 v[207:208], v[209:210], v[65:66], v[207:208]
	v_add_f64 v[43:44], v[43:44], -v[207:208]
	ds_read2_b64 v[207:210], v253 offset0:82 offset1:83
	s_waitcnt lgkmcnt(0)
	v_mul_f64 v[67:68], v[209:210], v[205:206]
	v_fma_f64 v[67:68], v[207:208], v[65:66], -v[67:68]
	v_mul_f64 v[207:208], v[207:208], v[205:206]
	v_add_f64 v[37:38], v[37:38], -v[67:68]
	v_fma_f64 v[207:208], v[209:210], v[65:66], v[207:208]
	v_add_f64 v[39:40], v[39:40], -v[207:208]
	ds_read2_b64 v[207:210], v253 offset0:84 offset1:85
	s_waitcnt lgkmcnt(0)
	v_mul_f64 v[67:68], v[209:210], v[205:206]
	v_fma_f64 v[67:68], v[207:208], v[65:66], -v[67:68]
	v_mul_f64 v[207:208], v[207:208], v[205:206]
	v_add_f64 v[33:34], v[33:34], -v[67:68]
	v_fma_f64 v[207:208], v[209:210], v[65:66], v[207:208]
	v_add_f64 v[35:36], v[35:36], -v[207:208]
	ds_read2_b64 v[207:210], v253 offset0:86 offset1:87
	s_waitcnt lgkmcnt(0)
	v_mul_f64 v[67:68], v[209:210], v[205:206]
	v_fma_f64 v[67:68], v[207:208], v[65:66], -v[67:68]
	v_mul_f64 v[207:208], v[207:208], v[205:206]
	v_add_f64 v[29:30], v[29:30], -v[67:68]
	v_fma_f64 v[207:208], v[209:210], v[65:66], v[207:208]
	v_add_f64 v[31:32], v[31:32], -v[207:208]
	ds_read2_b64 v[207:210], v253 offset0:88 offset1:89
	s_waitcnt lgkmcnt(0)
	v_mul_f64 v[67:68], v[209:210], v[205:206]
	v_fma_f64 v[67:68], v[207:208], v[65:66], -v[67:68]
	v_mul_f64 v[207:208], v[207:208], v[205:206]
	v_add_f64 v[25:26], v[25:26], -v[67:68]
	v_fma_f64 v[207:208], v[209:210], v[65:66], v[207:208]
	v_add_f64 v[27:28], v[27:28], -v[207:208]
	ds_read2_b64 v[207:210], v253 offset0:90 offset1:91
	s_waitcnt lgkmcnt(0)
	v_mul_f64 v[67:68], v[209:210], v[205:206]
	v_fma_f64 v[67:68], v[207:208], v[65:66], -v[67:68]
	v_mul_f64 v[207:208], v[207:208], v[205:206]
	v_add_f64 v[21:22], v[21:22], -v[67:68]
	v_fma_f64 v[207:208], v[209:210], v[65:66], v[207:208]
	v_add_f64 v[23:24], v[23:24], -v[207:208]
	ds_read2_b64 v[207:210], v253 offset0:92 offset1:93
	s_waitcnt lgkmcnt(0)
	v_mul_f64 v[67:68], v[209:210], v[205:206]
	v_fma_f64 v[67:68], v[207:208], v[65:66], -v[67:68]
	v_mul_f64 v[207:208], v[207:208], v[205:206]
	v_add_f64 v[17:18], v[17:18], -v[67:68]
	v_fma_f64 v[207:208], v[209:210], v[65:66], v[207:208]
	v_add_f64 v[19:20], v[19:20], -v[207:208]
	ds_read2_b64 v[207:210], v253 offset0:94 offset1:95
	s_waitcnt lgkmcnt(0)
	v_mul_f64 v[67:68], v[209:210], v[205:206]
	v_fma_f64 v[67:68], v[207:208], v[65:66], -v[67:68]
	v_mul_f64 v[207:208], v[207:208], v[205:206]
	v_add_f64 v[13:14], v[13:14], -v[67:68]
	v_fma_f64 v[207:208], v[209:210], v[65:66], v[207:208]
	v_add_f64 v[15:16], v[15:16], -v[207:208]
	ds_read2_b64 v[207:210], v253 offset0:96 offset1:97
	s_waitcnt lgkmcnt(0)
	v_mul_f64 v[67:68], v[209:210], v[205:206]
	v_fma_f64 v[67:68], v[207:208], v[65:66], -v[67:68]
	v_mul_f64 v[207:208], v[207:208], v[205:206]
	v_add_f64 v[9:10], v[9:10], -v[67:68]
	v_fma_f64 v[207:208], v[209:210], v[65:66], v[207:208]
	v_add_f64 v[11:12], v[11:12], -v[207:208]
	ds_read2_b64 v[207:210], v253 offset0:98 offset1:99
	s_waitcnt lgkmcnt(0)
	v_mul_f64 v[67:68], v[209:210], v[205:206]
	v_fma_f64 v[67:68], v[207:208], v[65:66], -v[67:68]
	v_mul_f64 v[207:208], v[207:208], v[205:206]
	v_add_f64 v[5:6], v[5:6], -v[67:68]
	v_fma_f64 v[207:208], v[209:210], v[65:66], v[207:208]
	v_add_f64 v[7:8], v[7:8], -v[207:208]
	ds_read2_b64 v[207:210], v253 offset0:100 offset1:101
	s_waitcnt lgkmcnt(0)
	v_mul_f64 v[67:68], v[209:210], v[205:206]
	v_fma_f64 v[67:68], v[207:208], v[65:66], -v[67:68]
	v_mul_f64 v[207:208], v[207:208], v[205:206]
	v_add_f64 v[1:2], v[1:2], -v[67:68]
	v_fma_f64 v[207:208], v[209:210], v[65:66], v[207:208]
	v_mov_b32_e32 v67, v205
	v_mov_b32_e32 v68, v206
	v_add_f64 v[3:4], v[3:4], -v[207:208]
.LBB101_316:
	s_or_b32 exec_lo, exec_lo, s1
	s_mov_b32 s2, exec_lo
	s_waitcnt_vscnt null, 0x0
	s_barrier
	buffer_gl0_inv
	v_cmpx_eq_u32_e32 35, v0
	s_cbranch_execz .LBB101_323
; %bb.317:
	ds_write2_b64 v255, v[61:62], v[63:64] offset1:1
	ds_write2_b64 v253, v[57:58], v[59:60] offset0:72 offset1:73
	ds_write2_b64 v253, v[53:54], v[55:56] offset0:74 offset1:75
	;; [unrolled: 1-line block ×15, first 2 shown]
	ds_read2_b64 v[205:208], v255 offset1:1
	s_waitcnt lgkmcnt(0)
	v_cmp_neq_f64_e32 vcc_lo, 0, v[205:206]
	v_cmp_neq_f64_e64 s1, 0, v[207:208]
	s_or_b32 s1, vcc_lo, s1
	s_and_b32 exec_lo, exec_lo, s1
	s_cbranch_execz .LBB101_323
; %bb.318:
	v_cmp_ngt_f64_e64 s1, |v[205:206]|, |v[207:208]|
                                        ; implicit-def: $vgpr209_vgpr210
	s_and_saveexec_b32 s3, s1
	s_xor_b32 s1, exec_lo, s3
                                        ; implicit-def: $vgpr211_vgpr212
	s_cbranch_execz .LBB101_320
; %bb.319:
	v_div_scale_f64 v[209:210], null, v[207:208], v[207:208], v[205:206]
	v_div_scale_f64 v[215:216], vcc_lo, v[205:206], v[207:208], v[205:206]
	v_rcp_f64_e32 v[211:212], v[209:210]
	v_fma_f64 v[213:214], -v[209:210], v[211:212], 1.0
	v_fma_f64 v[211:212], v[211:212], v[213:214], v[211:212]
	v_fma_f64 v[213:214], -v[209:210], v[211:212], 1.0
	v_fma_f64 v[211:212], v[211:212], v[213:214], v[211:212]
	v_mul_f64 v[213:214], v[215:216], v[211:212]
	v_fma_f64 v[209:210], -v[209:210], v[213:214], v[215:216]
	v_div_fmas_f64 v[209:210], v[209:210], v[211:212], v[213:214]
	v_div_fixup_f64 v[209:210], v[209:210], v[207:208], v[205:206]
	v_fma_f64 v[205:206], v[205:206], v[209:210], v[207:208]
	v_div_scale_f64 v[207:208], null, v[205:206], v[205:206], 1.0
	v_rcp_f64_e32 v[211:212], v[207:208]
	v_fma_f64 v[213:214], -v[207:208], v[211:212], 1.0
	v_fma_f64 v[211:212], v[211:212], v[213:214], v[211:212]
	v_fma_f64 v[213:214], -v[207:208], v[211:212], 1.0
	v_fma_f64 v[211:212], v[211:212], v[213:214], v[211:212]
	v_div_scale_f64 v[213:214], vcc_lo, 1.0, v[205:206], 1.0
	v_mul_f64 v[215:216], v[213:214], v[211:212]
	v_fma_f64 v[207:208], -v[207:208], v[215:216], v[213:214]
	v_div_fmas_f64 v[207:208], v[207:208], v[211:212], v[215:216]
	v_div_fixup_f64 v[211:212], v[207:208], v[205:206], 1.0
                                        ; implicit-def: $vgpr205_vgpr206
	v_mul_f64 v[209:210], v[209:210], v[211:212]
	v_xor_b32_e32 v212, 0x80000000, v212
.LBB101_320:
	s_andn2_saveexec_b32 s1, s1
	s_cbranch_execz .LBB101_322
; %bb.321:
	v_div_scale_f64 v[209:210], null, v[205:206], v[205:206], v[207:208]
	v_div_scale_f64 v[215:216], vcc_lo, v[207:208], v[205:206], v[207:208]
	v_rcp_f64_e32 v[211:212], v[209:210]
	v_fma_f64 v[213:214], -v[209:210], v[211:212], 1.0
	v_fma_f64 v[211:212], v[211:212], v[213:214], v[211:212]
	v_fma_f64 v[213:214], -v[209:210], v[211:212], 1.0
	v_fma_f64 v[211:212], v[211:212], v[213:214], v[211:212]
	v_mul_f64 v[213:214], v[215:216], v[211:212]
	v_fma_f64 v[209:210], -v[209:210], v[213:214], v[215:216]
	v_div_fmas_f64 v[209:210], v[209:210], v[211:212], v[213:214]
	v_div_fixup_f64 v[211:212], v[209:210], v[205:206], v[207:208]
	v_fma_f64 v[205:206], v[207:208], v[211:212], v[205:206]
	v_div_scale_f64 v[207:208], null, v[205:206], v[205:206], 1.0
	v_rcp_f64_e32 v[209:210], v[207:208]
	v_fma_f64 v[213:214], -v[207:208], v[209:210], 1.0
	v_fma_f64 v[209:210], v[209:210], v[213:214], v[209:210]
	v_fma_f64 v[213:214], -v[207:208], v[209:210], 1.0
	v_fma_f64 v[209:210], v[209:210], v[213:214], v[209:210]
	v_div_scale_f64 v[213:214], vcc_lo, 1.0, v[205:206], 1.0
	v_mul_f64 v[215:216], v[213:214], v[209:210]
	v_fma_f64 v[207:208], -v[207:208], v[215:216], v[213:214]
	v_div_fmas_f64 v[207:208], v[207:208], v[209:210], v[215:216]
	v_div_fixup_f64 v[209:210], v[207:208], v[205:206], 1.0
	v_mul_f64 v[211:212], v[211:212], -v[209:210]
.LBB101_322:
	s_or_b32 exec_lo, exec_lo, s1
	ds_write2_b64 v255, v[209:210], v[211:212] offset1:1
.LBB101_323:
	s_or_b32 exec_lo, exec_lo, s2
	s_waitcnt lgkmcnt(0)
	s_barrier
	buffer_gl0_inv
	ds_read2_b64 v[201:204], v255 offset1:1
	s_mov_b32 s1, exec_lo
	s_waitcnt lgkmcnt(0)
	buffer_store_dword v201, off, s[16:19], 0 offset:952 ; 4-byte Folded Spill
	buffer_store_dword v202, off, s[16:19], 0 offset:956 ; 4-byte Folded Spill
	;; [unrolled: 1-line block ×4, first 2 shown]
	v_cmpx_lt_u32_e32 35, v0
	s_cbranch_execz .LBB101_325
; %bb.324:
	s_clause 0x3
	buffer_load_dword v201, off, s[16:19], 0 offset:952
	buffer_load_dword v202, off, s[16:19], 0 offset:956
	;; [unrolled: 1-line block ×4, first 2 shown]
	ds_read2_b64 v[207:210], v253 offset0:72 offset1:73
	s_waitcnt vmcnt(2)
	v_mul_f64 v[205:206], v[201:202], v[63:64]
	s_waitcnt vmcnt(0)
	v_mul_f64 v[63:64], v[203:204], v[63:64]
	v_fma_f64 v[205:206], v[203:204], v[61:62], v[205:206]
	v_fma_f64 v[61:62], v[201:202], v[61:62], -v[63:64]
	s_waitcnt lgkmcnt(0)
	v_mul_f64 v[63:64], v[209:210], v[205:206]
	v_fma_f64 v[63:64], v[207:208], v[61:62], -v[63:64]
	v_mul_f64 v[207:208], v[207:208], v[205:206]
	v_add_f64 v[57:58], v[57:58], -v[63:64]
	v_fma_f64 v[207:208], v[209:210], v[61:62], v[207:208]
	v_add_f64 v[59:60], v[59:60], -v[207:208]
	ds_read2_b64 v[207:210], v253 offset0:74 offset1:75
	s_waitcnt lgkmcnt(0)
	v_mul_f64 v[63:64], v[209:210], v[205:206]
	v_fma_f64 v[63:64], v[207:208], v[61:62], -v[63:64]
	v_mul_f64 v[207:208], v[207:208], v[205:206]
	v_add_f64 v[53:54], v[53:54], -v[63:64]
	v_fma_f64 v[207:208], v[209:210], v[61:62], v[207:208]
	v_add_f64 v[55:56], v[55:56], -v[207:208]
	ds_read2_b64 v[207:210], v253 offset0:76 offset1:77
	s_waitcnt lgkmcnt(0)
	v_mul_f64 v[63:64], v[209:210], v[205:206]
	v_fma_f64 v[63:64], v[207:208], v[61:62], -v[63:64]
	v_mul_f64 v[207:208], v[207:208], v[205:206]
	v_add_f64 v[49:50], v[49:50], -v[63:64]
	v_fma_f64 v[207:208], v[209:210], v[61:62], v[207:208]
	v_add_f64 v[51:52], v[51:52], -v[207:208]
	ds_read2_b64 v[207:210], v253 offset0:78 offset1:79
	s_waitcnt lgkmcnt(0)
	v_mul_f64 v[63:64], v[209:210], v[205:206]
	v_fma_f64 v[63:64], v[207:208], v[61:62], -v[63:64]
	v_mul_f64 v[207:208], v[207:208], v[205:206]
	v_add_f64 v[45:46], v[45:46], -v[63:64]
	v_fma_f64 v[207:208], v[209:210], v[61:62], v[207:208]
	v_add_f64 v[47:48], v[47:48], -v[207:208]
	ds_read2_b64 v[207:210], v253 offset0:80 offset1:81
	s_waitcnt lgkmcnt(0)
	v_mul_f64 v[63:64], v[209:210], v[205:206]
	v_fma_f64 v[63:64], v[207:208], v[61:62], -v[63:64]
	v_mul_f64 v[207:208], v[207:208], v[205:206]
	v_add_f64 v[41:42], v[41:42], -v[63:64]
	v_fma_f64 v[207:208], v[209:210], v[61:62], v[207:208]
	v_add_f64 v[43:44], v[43:44], -v[207:208]
	ds_read2_b64 v[207:210], v253 offset0:82 offset1:83
	s_waitcnt lgkmcnt(0)
	v_mul_f64 v[63:64], v[209:210], v[205:206]
	v_fma_f64 v[63:64], v[207:208], v[61:62], -v[63:64]
	v_mul_f64 v[207:208], v[207:208], v[205:206]
	v_add_f64 v[37:38], v[37:38], -v[63:64]
	v_fma_f64 v[207:208], v[209:210], v[61:62], v[207:208]
	v_add_f64 v[39:40], v[39:40], -v[207:208]
	ds_read2_b64 v[207:210], v253 offset0:84 offset1:85
	s_waitcnt lgkmcnt(0)
	v_mul_f64 v[63:64], v[209:210], v[205:206]
	v_fma_f64 v[63:64], v[207:208], v[61:62], -v[63:64]
	v_mul_f64 v[207:208], v[207:208], v[205:206]
	v_add_f64 v[33:34], v[33:34], -v[63:64]
	v_fma_f64 v[207:208], v[209:210], v[61:62], v[207:208]
	v_add_f64 v[35:36], v[35:36], -v[207:208]
	ds_read2_b64 v[207:210], v253 offset0:86 offset1:87
	s_waitcnt lgkmcnt(0)
	v_mul_f64 v[63:64], v[209:210], v[205:206]
	v_fma_f64 v[63:64], v[207:208], v[61:62], -v[63:64]
	v_mul_f64 v[207:208], v[207:208], v[205:206]
	v_add_f64 v[29:30], v[29:30], -v[63:64]
	v_fma_f64 v[207:208], v[209:210], v[61:62], v[207:208]
	v_add_f64 v[31:32], v[31:32], -v[207:208]
	ds_read2_b64 v[207:210], v253 offset0:88 offset1:89
	s_waitcnt lgkmcnt(0)
	v_mul_f64 v[63:64], v[209:210], v[205:206]
	v_fma_f64 v[63:64], v[207:208], v[61:62], -v[63:64]
	v_mul_f64 v[207:208], v[207:208], v[205:206]
	v_add_f64 v[25:26], v[25:26], -v[63:64]
	v_fma_f64 v[207:208], v[209:210], v[61:62], v[207:208]
	v_add_f64 v[27:28], v[27:28], -v[207:208]
	ds_read2_b64 v[207:210], v253 offset0:90 offset1:91
	s_waitcnt lgkmcnt(0)
	v_mul_f64 v[63:64], v[209:210], v[205:206]
	v_fma_f64 v[63:64], v[207:208], v[61:62], -v[63:64]
	v_mul_f64 v[207:208], v[207:208], v[205:206]
	v_add_f64 v[21:22], v[21:22], -v[63:64]
	v_fma_f64 v[207:208], v[209:210], v[61:62], v[207:208]
	v_add_f64 v[23:24], v[23:24], -v[207:208]
	ds_read2_b64 v[207:210], v253 offset0:92 offset1:93
	s_waitcnt lgkmcnt(0)
	v_mul_f64 v[63:64], v[209:210], v[205:206]
	v_fma_f64 v[63:64], v[207:208], v[61:62], -v[63:64]
	v_mul_f64 v[207:208], v[207:208], v[205:206]
	v_add_f64 v[17:18], v[17:18], -v[63:64]
	v_fma_f64 v[207:208], v[209:210], v[61:62], v[207:208]
	v_add_f64 v[19:20], v[19:20], -v[207:208]
	ds_read2_b64 v[207:210], v253 offset0:94 offset1:95
	s_waitcnt lgkmcnt(0)
	v_mul_f64 v[63:64], v[209:210], v[205:206]
	v_fma_f64 v[63:64], v[207:208], v[61:62], -v[63:64]
	v_mul_f64 v[207:208], v[207:208], v[205:206]
	v_add_f64 v[13:14], v[13:14], -v[63:64]
	v_fma_f64 v[207:208], v[209:210], v[61:62], v[207:208]
	v_add_f64 v[15:16], v[15:16], -v[207:208]
	ds_read2_b64 v[207:210], v253 offset0:96 offset1:97
	s_waitcnt lgkmcnt(0)
	v_mul_f64 v[63:64], v[209:210], v[205:206]
	v_fma_f64 v[63:64], v[207:208], v[61:62], -v[63:64]
	v_mul_f64 v[207:208], v[207:208], v[205:206]
	v_add_f64 v[9:10], v[9:10], -v[63:64]
	v_fma_f64 v[207:208], v[209:210], v[61:62], v[207:208]
	v_add_f64 v[11:12], v[11:12], -v[207:208]
	ds_read2_b64 v[207:210], v253 offset0:98 offset1:99
	s_waitcnt lgkmcnt(0)
	v_mul_f64 v[63:64], v[209:210], v[205:206]
	v_fma_f64 v[63:64], v[207:208], v[61:62], -v[63:64]
	v_mul_f64 v[207:208], v[207:208], v[205:206]
	v_add_f64 v[5:6], v[5:6], -v[63:64]
	v_fma_f64 v[207:208], v[209:210], v[61:62], v[207:208]
	v_add_f64 v[7:8], v[7:8], -v[207:208]
	ds_read2_b64 v[207:210], v253 offset0:100 offset1:101
	s_waitcnt lgkmcnt(0)
	v_mul_f64 v[63:64], v[209:210], v[205:206]
	v_fma_f64 v[63:64], v[207:208], v[61:62], -v[63:64]
	v_mul_f64 v[207:208], v[207:208], v[205:206]
	v_add_f64 v[1:2], v[1:2], -v[63:64]
	v_fma_f64 v[207:208], v[209:210], v[61:62], v[207:208]
	v_mov_b32_e32 v63, v205
	v_mov_b32_e32 v64, v206
	v_add_f64 v[3:4], v[3:4], -v[207:208]
.LBB101_325:
	s_or_b32 exec_lo, exec_lo, s1
	s_mov_b32 s2, exec_lo
	s_waitcnt_vscnt null, 0x0
	s_barrier
	buffer_gl0_inv
	v_cmpx_eq_u32_e32 36, v0
	s_cbranch_execz .LBB101_332
; %bb.326:
	ds_write2_b64 v255, v[57:58], v[59:60] offset1:1
	ds_write2_b64 v253, v[53:54], v[55:56] offset0:74 offset1:75
	ds_write2_b64 v253, v[49:50], v[51:52] offset0:76 offset1:77
	;; [unrolled: 1-line block ×14, first 2 shown]
	ds_read2_b64 v[205:208], v255 offset1:1
	s_waitcnt lgkmcnt(0)
	v_cmp_neq_f64_e32 vcc_lo, 0, v[205:206]
	v_cmp_neq_f64_e64 s1, 0, v[207:208]
	s_or_b32 s1, vcc_lo, s1
	s_and_b32 exec_lo, exec_lo, s1
	s_cbranch_execz .LBB101_332
; %bb.327:
	v_cmp_ngt_f64_e64 s1, |v[205:206]|, |v[207:208]|
                                        ; implicit-def: $vgpr209_vgpr210
	s_and_saveexec_b32 s3, s1
	s_xor_b32 s1, exec_lo, s3
                                        ; implicit-def: $vgpr211_vgpr212
	s_cbranch_execz .LBB101_329
; %bb.328:
	v_div_scale_f64 v[209:210], null, v[207:208], v[207:208], v[205:206]
	v_div_scale_f64 v[215:216], vcc_lo, v[205:206], v[207:208], v[205:206]
	v_rcp_f64_e32 v[211:212], v[209:210]
	v_fma_f64 v[213:214], -v[209:210], v[211:212], 1.0
	v_fma_f64 v[211:212], v[211:212], v[213:214], v[211:212]
	v_fma_f64 v[213:214], -v[209:210], v[211:212], 1.0
	v_fma_f64 v[211:212], v[211:212], v[213:214], v[211:212]
	v_mul_f64 v[213:214], v[215:216], v[211:212]
	v_fma_f64 v[209:210], -v[209:210], v[213:214], v[215:216]
	v_div_fmas_f64 v[209:210], v[209:210], v[211:212], v[213:214]
	v_div_fixup_f64 v[209:210], v[209:210], v[207:208], v[205:206]
	v_fma_f64 v[205:206], v[205:206], v[209:210], v[207:208]
	v_div_scale_f64 v[207:208], null, v[205:206], v[205:206], 1.0
	v_rcp_f64_e32 v[211:212], v[207:208]
	v_fma_f64 v[213:214], -v[207:208], v[211:212], 1.0
	v_fma_f64 v[211:212], v[211:212], v[213:214], v[211:212]
	v_fma_f64 v[213:214], -v[207:208], v[211:212], 1.0
	v_fma_f64 v[211:212], v[211:212], v[213:214], v[211:212]
	v_div_scale_f64 v[213:214], vcc_lo, 1.0, v[205:206], 1.0
	v_mul_f64 v[215:216], v[213:214], v[211:212]
	v_fma_f64 v[207:208], -v[207:208], v[215:216], v[213:214]
	v_div_fmas_f64 v[207:208], v[207:208], v[211:212], v[215:216]
	v_div_fixup_f64 v[211:212], v[207:208], v[205:206], 1.0
                                        ; implicit-def: $vgpr205_vgpr206
	v_mul_f64 v[209:210], v[209:210], v[211:212]
	v_xor_b32_e32 v212, 0x80000000, v212
.LBB101_329:
	s_andn2_saveexec_b32 s1, s1
	s_cbranch_execz .LBB101_331
; %bb.330:
	v_div_scale_f64 v[209:210], null, v[205:206], v[205:206], v[207:208]
	v_div_scale_f64 v[215:216], vcc_lo, v[207:208], v[205:206], v[207:208]
	v_rcp_f64_e32 v[211:212], v[209:210]
	v_fma_f64 v[213:214], -v[209:210], v[211:212], 1.0
	v_fma_f64 v[211:212], v[211:212], v[213:214], v[211:212]
	v_fma_f64 v[213:214], -v[209:210], v[211:212], 1.0
	v_fma_f64 v[211:212], v[211:212], v[213:214], v[211:212]
	v_mul_f64 v[213:214], v[215:216], v[211:212]
	v_fma_f64 v[209:210], -v[209:210], v[213:214], v[215:216]
	v_div_fmas_f64 v[209:210], v[209:210], v[211:212], v[213:214]
	v_div_fixup_f64 v[211:212], v[209:210], v[205:206], v[207:208]
	v_fma_f64 v[205:206], v[207:208], v[211:212], v[205:206]
	v_div_scale_f64 v[207:208], null, v[205:206], v[205:206], 1.0
	v_rcp_f64_e32 v[209:210], v[207:208]
	v_fma_f64 v[213:214], -v[207:208], v[209:210], 1.0
	v_fma_f64 v[209:210], v[209:210], v[213:214], v[209:210]
	v_fma_f64 v[213:214], -v[207:208], v[209:210], 1.0
	v_fma_f64 v[209:210], v[209:210], v[213:214], v[209:210]
	v_div_scale_f64 v[213:214], vcc_lo, 1.0, v[205:206], 1.0
	v_mul_f64 v[215:216], v[213:214], v[209:210]
	v_fma_f64 v[207:208], -v[207:208], v[215:216], v[213:214]
	v_div_fmas_f64 v[207:208], v[207:208], v[209:210], v[215:216]
	v_div_fixup_f64 v[209:210], v[207:208], v[205:206], 1.0
	v_mul_f64 v[211:212], v[211:212], -v[209:210]
.LBB101_331:
	s_or_b32 exec_lo, exec_lo, s1
	ds_write2_b64 v255, v[209:210], v[211:212] offset1:1
.LBB101_332:
	s_or_b32 exec_lo, exec_lo, s2
	s_waitcnt lgkmcnt(0)
	s_barrier
	buffer_gl0_inv
	ds_read2_b64 v[201:204], v255 offset1:1
	s_mov_b32 s1, exec_lo
	s_waitcnt lgkmcnt(0)
	buffer_store_dword v201, off, s[16:19], 0 offset:968 ; 4-byte Folded Spill
	buffer_store_dword v202, off, s[16:19], 0 offset:972 ; 4-byte Folded Spill
	buffer_store_dword v203, off, s[16:19], 0 offset:976 ; 4-byte Folded Spill
	buffer_store_dword v204, off, s[16:19], 0 offset:980 ; 4-byte Folded Spill
	v_cmpx_lt_u32_e32 36, v0
	s_cbranch_execz .LBB101_334
; %bb.333:
	s_clause 0x3
	buffer_load_dword v201, off, s[16:19], 0 offset:968
	buffer_load_dword v202, off, s[16:19], 0 offset:972
	;; [unrolled: 1-line block ×4, first 2 shown]
	ds_read2_b64 v[207:210], v253 offset0:74 offset1:75
	s_waitcnt vmcnt(2)
	v_mul_f64 v[205:206], v[201:202], v[59:60]
	s_waitcnt vmcnt(0)
	v_mul_f64 v[59:60], v[203:204], v[59:60]
	v_fma_f64 v[205:206], v[203:204], v[57:58], v[205:206]
	v_fma_f64 v[57:58], v[201:202], v[57:58], -v[59:60]
	s_waitcnt lgkmcnt(0)
	v_mul_f64 v[59:60], v[209:210], v[205:206]
	v_fma_f64 v[59:60], v[207:208], v[57:58], -v[59:60]
	v_mul_f64 v[207:208], v[207:208], v[205:206]
	v_add_f64 v[53:54], v[53:54], -v[59:60]
	v_fma_f64 v[207:208], v[209:210], v[57:58], v[207:208]
	v_add_f64 v[55:56], v[55:56], -v[207:208]
	ds_read2_b64 v[207:210], v253 offset0:76 offset1:77
	s_waitcnt lgkmcnt(0)
	v_mul_f64 v[59:60], v[209:210], v[205:206]
	v_fma_f64 v[59:60], v[207:208], v[57:58], -v[59:60]
	v_mul_f64 v[207:208], v[207:208], v[205:206]
	v_add_f64 v[49:50], v[49:50], -v[59:60]
	v_fma_f64 v[207:208], v[209:210], v[57:58], v[207:208]
	v_add_f64 v[51:52], v[51:52], -v[207:208]
	ds_read2_b64 v[207:210], v253 offset0:78 offset1:79
	;; [unrolled: 8-line block ×13, first 2 shown]
	s_waitcnt lgkmcnt(0)
	v_mul_f64 v[59:60], v[209:210], v[205:206]
	v_fma_f64 v[59:60], v[207:208], v[57:58], -v[59:60]
	v_mul_f64 v[207:208], v[207:208], v[205:206]
	v_add_f64 v[1:2], v[1:2], -v[59:60]
	v_fma_f64 v[207:208], v[209:210], v[57:58], v[207:208]
	v_mov_b32_e32 v59, v205
	v_mov_b32_e32 v60, v206
	v_add_f64 v[3:4], v[3:4], -v[207:208]
.LBB101_334:
	s_or_b32 exec_lo, exec_lo, s1
	s_mov_b32 s2, exec_lo
	s_waitcnt_vscnt null, 0x0
	s_barrier
	buffer_gl0_inv
	v_cmpx_eq_u32_e32 37, v0
	s_cbranch_execz .LBB101_341
; %bb.335:
	ds_write2_b64 v255, v[53:54], v[55:56] offset1:1
	ds_write2_b64 v253, v[49:50], v[51:52] offset0:76 offset1:77
	ds_write2_b64 v253, v[45:46], v[47:48] offset0:78 offset1:79
	;; [unrolled: 1-line block ×13, first 2 shown]
	ds_read2_b64 v[205:208], v255 offset1:1
	s_waitcnt lgkmcnt(0)
	v_cmp_neq_f64_e32 vcc_lo, 0, v[205:206]
	v_cmp_neq_f64_e64 s1, 0, v[207:208]
	s_or_b32 s1, vcc_lo, s1
	s_and_b32 exec_lo, exec_lo, s1
	s_cbranch_execz .LBB101_341
; %bb.336:
	v_cmp_ngt_f64_e64 s1, |v[205:206]|, |v[207:208]|
                                        ; implicit-def: $vgpr209_vgpr210
	s_and_saveexec_b32 s3, s1
	s_xor_b32 s1, exec_lo, s3
                                        ; implicit-def: $vgpr211_vgpr212
	s_cbranch_execz .LBB101_338
; %bb.337:
	v_div_scale_f64 v[209:210], null, v[207:208], v[207:208], v[205:206]
	v_div_scale_f64 v[215:216], vcc_lo, v[205:206], v[207:208], v[205:206]
	v_rcp_f64_e32 v[211:212], v[209:210]
	v_fma_f64 v[213:214], -v[209:210], v[211:212], 1.0
	v_fma_f64 v[211:212], v[211:212], v[213:214], v[211:212]
	v_fma_f64 v[213:214], -v[209:210], v[211:212], 1.0
	v_fma_f64 v[211:212], v[211:212], v[213:214], v[211:212]
	v_mul_f64 v[213:214], v[215:216], v[211:212]
	v_fma_f64 v[209:210], -v[209:210], v[213:214], v[215:216]
	v_div_fmas_f64 v[209:210], v[209:210], v[211:212], v[213:214]
	v_div_fixup_f64 v[209:210], v[209:210], v[207:208], v[205:206]
	v_fma_f64 v[205:206], v[205:206], v[209:210], v[207:208]
	v_div_scale_f64 v[207:208], null, v[205:206], v[205:206], 1.0
	v_rcp_f64_e32 v[211:212], v[207:208]
	v_fma_f64 v[213:214], -v[207:208], v[211:212], 1.0
	v_fma_f64 v[211:212], v[211:212], v[213:214], v[211:212]
	v_fma_f64 v[213:214], -v[207:208], v[211:212], 1.0
	v_fma_f64 v[211:212], v[211:212], v[213:214], v[211:212]
	v_div_scale_f64 v[213:214], vcc_lo, 1.0, v[205:206], 1.0
	v_mul_f64 v[215:216], v[213:214], v[211:212]
	v_fma_f64 v[207:208], -v[207:208], v[215:216], v[213:214]
	v_div_fmas_f64 v[207:208], v[207:208], v[211:212], v[215:216]
	v_div_fixup_f64 v[211:212], v[207:208], v[205:206], 1.0
                                        ; implicit-def: $vgpr205_vgpr206
	v_mul_f64 v[209:210], v[209:210], v[211:212]
	v_xor_b32_e32 v212, 0x80000000, v212
.LBB101_338:
	s_andn2_saveexec_b32 s1, s1
	s_cbranch_execz .LBB101_340
; %bb.339:
	v_div_scale_f64 v[209:210], null, v[205:206], v[205:206], v[207:208]
	v_div_scale_f64 v[215:216], vcc_lo, v[207:208], v[205:206], v[207:208]
	v_rcp_f64_e32 v[211:212], v[209:210]
	v_fma_f64 v[213:214], -v[209:210], v[211:212], 1.0
	v_fma_f64 v[211:212], v[211:212], v[213:214], v[211:212]
	v_fma_f64 v[213:214], -v[209:210], v[211:212], 1.0
	v_fma_f64 v[211:212], v[211:212], v[213:214], v[211:212]
	v_mul_f64 v[213:214], v[215:216], v[211:212]
	v_fma_f64 v[209:210], -v[209:210], v[213:214], v[215:216]
	v_div_fmas_f64 v[209:210], v[209:210], v[211:212], v[213:214]
	v_div_fixup_f64 v[211:212], v[209:210], v[205:206], v[207:208]
	v_fma_f64 v[205:206], v[207:208], v[211:212], v[205:206]
	v_div_scale_f64 v[207:208], null, v[205:206], v[205:206], 1.0
	v_rcp_f64_e32 v[209:210], v[207:208]
	v_fma_f64 v[213:214], -v[207:208], v[209:210], 1.0
	v_fma_f64 v[209:210], v[209:210], v[213:214], v[209:210]
	v_fma_f64 v[213:214], -v[207:208], v[209:210], 1.0
	v_fma_f64 v[209:210], v[209:210], v[213:214], v[209:210]
	v_div_scale_f64 v[213:214], vcc_lo, 1.0, v[205:206], 1.0
	v_mul_f64 v[215:216], v[213:214], v[209:210]
	v_fma_f64 v[207:208], -v[207:208], v[215:216], v[213:214]
	v_div_fmas_f64 v[207:208], v[207:208], v[209:210], v[215:216]
	v_div_fixup_f64 v[209:210], v[207:208], v[205:206], 1.0
	v_mul_f64 v[211:212], v[211:212], -v[209:210]
.LBB101_340:
	s_or_b32 exec_lo, exec_lo, s1
	ds_write2_b64 v255, v[209:210], v[211:212] offset1:1
.LBB101_341:
	s_or_b32 exec_lo, exec_lo, s2
	s_waitcnt lgkmcnt(0)
	s_barrier
	buffer_gl0_inv
	ds_read2_b64 v[201:204], v255 offset1:1
	s_mov_b32 s1, exec_lo
	s_waitcnt lgkmcnt(0)
	buffer_store_dword v201, off, s[16:19], 0 offset:984 ; 4-byte Folded Spill
	buffer_store_dword v202, off, s[16:19], 0 offset:988 ; 4-byte Folded Spill
	;; [unrolled: 1-line block ×4, first 2 shown]
	v_cmpx_lt_u32_e32 37, v0
	s_cbranch_execz .LBB101_343
; %bb.342:
	s_clause 0x3
	buffer_load_dword v201, off, s[16:19], 0 offset:984
	buffer_load_dword v202, off, s[16:19], 0 offset:988
	buffer_load_dword v203, off, s[16:19], 0 offset:992
	buffer_load_dword v204, off, s[16:19], 0 offset:996
	ds_read2_b64 v[207:210], v253 offset0:76 offset1:77
	s_waitcnt vmcnt(2)
	v_mul_f64 v[205:206], v[201:202], v[55:56]
	s_waitcnt vmcnt(0)
	v_mul_f64 v[55:56], v[203:204], v[55:56]
	v_fma_f64 v[205:206], v[203:204], v[53:54], v[205:206]
	v_fma_f64 v[53:54], v[201:202], v[53:54], -v[55:56]
	s_waitcnt lgkmcnt(0)
	v_mul_f64 v[55:56], v[209:210], v[205:206]
	v_fma_f64 v[55:56], v[207:208], v[53:54], -v[55:56]
	v_mul_f64 v[207:208], v[207:208], v[205:206]
	v_add_f64 v[49:50], v[49:50], -v[55:56]
	v_fma_f64 v[207:208], v[209:210], v[53:54], v[207:208]
	v_add_f64 v[51:52], v[51:52], -v[207:208]
	ds_read2_b64 v[207:210], v253 offset0:78 offset1:79
	s_waitcnt lgkmcnt(0)
	v_mul_f64 v[55:56], v[209:210], v[205:206]
	v_fma_f64 v[55:56], v[207:208], v[53:54], -v[55:56]
	v_mul_f64 v[207:208], v[207:208], v[205:206]
	v_add_f64 v[45:46], v[45:46], -v[55:56]
	v_fma_f64 v[207:208], v[209:210], v[53:54], v[207:208]
	v_add_f64 v[47:48], v[47:48], -v[207:208]
	ds_read2_b64 v[207:210], v253 offset0:80 offset1:81
	;; [unrolled: 8-line block ×12, first 2 shown]
	s_waitcnt lgkmcnt(0)
	v_mul_f64 v[55:56], v[209:210], v[205:206]
	v_fma_f64 v[55:56], v[207:208], v[53:54], -v[55:56]
	v_mul_f64 v[207:208], v[207:208], v[205:206]
	v_add_f64 v[1:2], v[1:2], -v[55:56]
	v_fma_f64 v[207:208], v[209:210], v[53:54], v[207:208]
	v_mov_b32_e32 v55, v205
	v_mov_b32_e32 v56, v206
	v_add_f64 v[3:4], v[3:4], -v[207:208]
.LBB101_343:
	s_or_b32 exec_lo, exec_lo, s1
	s_mov_b32 s2, exec_lo
	s_waitcnt_vscnt null, 0x0
	s_barrier
	buffer_gl0_inv
	v_cmpx_eq_u32_e32 38, v0
	s_cbranch_execz .LBB101_350
; %bb.344:
	ds_write2_b64 v255, v[49:50], v[51:52] offset1:1
	ds_write2_b64 v253, v[45:46], v[47:48] offset0:78 offset1:79
	ds_write2_b64 v253, v[41:42], v[43:44] offset0:80 offset1:81
	;; [unrolled: 1-line block ×12, first 2 shown]
	ds_read2_b64 v[205:208], v255 offset1:1
	s_waitcnt lgkmcnt(0)
	v_cmp_neq_f64_e32 vcc_lo, 0, v[205:206]
	v_cmp_neq_f64_e64 s1, 0, v[207:208]
	s_or_b32 s1, vcc_lo, s1
	s_and_b32 exec_lo, exec_lo, s1
	s_cbranch_execz .LBB101_350
; %bb.345:
	v_cmp_ngt_f64_e64 s1, |v[205:206]|, |v[207:208]|
                                        ; implicit-def: $vgpr209_vgpr210
	s_and_saveexec_b32 s3, s1
	s_xor_b32 s1, exec_lo, s3
                                        ; implicit-def: $vgpr211_vgpr212
	s_cbranch_execz .LBB101_347
; %bb.346:
	v_div_scale_f64 v[209:210], null, v[207:208], v[207:208], v[205:206]
	v_div_scale_f64 v[215:216], vcc_lo, v[205:206], v[207:208], v[205:206]
	v_rcp_f64_e32 v[211:212], v[209:210]
	v_fma_f64 v[213:214], -v[209:210], v[211:212], 1.0
	v_fma_f64 v[211:212], v[211:212], v[213:214], v[211:212]
	v_fma_f64 v[213:214], -v[209:210], v[211:212], 1.0
	v_fma_f64 v[211:212], v[211:212], v[213:214], v[211:212]
	v_mul_f64 v[213:214], v[215:216], v[211:212]
	v_fma_f64 v[209:210], -v[209:210], v[213:214], v[215:216]
	v_div_fmas_f64 v[209:210], v[209:210], v[211:212], v[213:214]
	v_div_fixup_f64 v[209:210], v[209:210], v[207:208], v[205:206]
	v_fma_f64 v[205:206], v[205:206], v[209:210], v[207:208]
	v_div_scale_f64 v[207:208], null, v[205:206], v[205:206], 1.0
	v_rcp_f64_e32 v[211:212], v[207:208]
	v_fma_f64 v[213:214], -v[207:208], v[211:212], 1.0
	v_fma_f64 v[211:212], v[211:212], v[213:214], v[211:212]
	v_fma_f64 v[213:214], -v[207:208], v[211:212], 1.0
	v_fma_f64 v[211:212], v[211:212], v[213:214], v[211:212]
	v_div_scale_f64 v[213:214], vcc_lo, 1.0, v[205:206], 1.0
	v_mul_f64 v[215:216], v[213:214], v[211:212]
	v_fma_f64 v[207:208], -v[207:208], v[215:216], v[213:214]
	v_div_fmas_f64 v[207:208], v[207:208], v[211:212], v[215:216]
	v_div_fixup_f64 v[211:212], v[207:208], v[205:206], 1.0
                                        ; implicit-def: $vgpr205_vgpr206
	v_mul_f64 v[209:210], v[209:210], v[211:212]
	v_xor_b32_e32 v212, 0x80000000, v212
.LBB101_347:
	s_andn2_saveexec_b32 s1, s1
	s_cbranch_execz .LBB101_349
; %bb.348:
	v_div_scale_f64 v[209:210], null, v[205:206], v[205:206], v[207:208]
	v_div_scale_f64 v[215:216], vcc_lo, v[207:208], v[205:206], v[207:208]
	v_rcp_f64_e32 v[211:212], v[209:210]
	v_fma_f64 v[213:214], -v[209:210], v[211:212], 1.0
	v_fma_f64 v[211:212], v[211:212], v[213:214], v[211:212]
	v_fma_f64 v[213:214], -v[209:210], v[211:212], 1.0
	v_fma_f64 v[211:212], v[211:212], v[213:214], v[211:212]
	v_mul_f64 v[213:214], v[215:216], v[211:212]
	v_fma_f64 v[209:210], -v[209:210], v[213:214], v[215:216]
	v_div_fmas_f64 v[209:210], v[209:210], v[211:212], v[213:214]
	v_div_fixup_f64 v[211:212], v[209:210], v[205:206], v[207:208]
	v_fma_f64 v[205:206], v[207:208], v[211:212], v[205:206]
	v_div_scale_f64 v[207:208], null, v[205:206], v[205:206], 1.0
	v_rcp_f64_e32 v[209:210], v[207:208]
	v_fma_f64 v[213:214], -v[207:208], v[209:210], 1.0
	v_fma_f64 v[209:210], v[209:210], v[213:214], v[209:210]
	v_fma_f64 v[213:214], -v[207:208], v[209:210], 1.0
	v_fma_f64 v[209:210], v[209:210], v[213:214], v[209:210]
	v_div_scale_f64 v[213:214], vcc_lo, 1.0, v[205:206], 1.0
	v_mul_f64 v[215:216], v[213:214], v[209:210]
	v_fma_f64 v[207:208], -v[207:208], v[215:216], v[213:214]
	v_div_fmas_f64 v[207:208], v[207:208], v[209:210], v[215:216]
	v_div_fixup_f64 v[209:210], v[207:208], v[205:206], 1.0
	v_mul_f64 v[211:212], v[211:212], -v[209:210]
.LBB101_349:
	s_or_b32 exec_lo, exec_lo, s1
	ds_write2_b64 v255, v[209:210], v[211:212] offset1:1
.LBB101_350:
	s_or_b32 exec_lo, exec_lo, s2
	s_waitcnt lgkmcnt(0)
	s_barrier
	buffer_gl0_inv
	ds_read2_b64 v[201:204], v255 offset1:1
	s_mov_b32 s1, exec_lo
	s_waitcnt lgkmcnt(0)
	buffer_store_dword v201, off, s[16:19], 0 offset:1000 ; 4-byte Folded Spill
	buffer_store_dword v202, off, s[16:19], 0 offset:1004 ; 4-byte Folded Spill
	;; [unrolled: 1-line block ×4, first 2 shown]
	v_cmpx_lt_u32_e32 38, v0
	s_cbranch_execz .LBB101_352
; %bb.351:
	s_clause 0x3
	buffer_load_dword v201, off, s[16:19], 0 offset:1000
	buffer_load_dword v202, off, s[16:19], 0 offset:1004
	;; [unrolled: 1-line block ×4, first 2 shown]
	ds_read2_b64 v[207:210], v253 offset0:78 offset1:79
	s_waitcnt vmcnt(2)
	v_mul_f64 v[205:206], v[201:202], v[51:52]
	s_waitcnt vmcnt(0)
	v_mul_f64 v[51:52], v[203:204], v[51:52]
	v_fma_f64 v[205:206], v[203:204], v[49:50], v[205:206]
	v_fma_f64 v[49:50], v[201:202], v[49:50], -v[51:52]
	s_waitcnt lgkmcnt(0)
	v_mul_f64 v[51:52], v[209:210], v[205:206]
	v_fma_f64 v[51:52], v[207:208], v[49:50], -v[51:52]
	v_mul_f64 v[207:208], v[207:208], v[205:206]
	v_add_f64 v[45:46], v[45:46], -v[51:52]
	v_fma_f64 v[207:208], v[209:210], v[49:50], v[207:208]
	v_add_f64 v[47:48], v[47:48], -v[207:208]
	ds_read2_b64 v[207:210], v253 offset0:80 offset1:81
	s_waitcnt lgkmcnt(0)
	v_mul_f64 v[51:52], v[209:210], v[205:206]
	v_fma_f64 v[51:52], v[207:208], v[49:50], -v[51:52]
	v_mul_f64 v[207:208], v[207:208], v[205:206]
	v_add_f64 v[41:42], v[41:42], -v[51:52]
	v_fma_f64 v[207:208], v[209:210], v[49:50], v[207:208]
	v_add_f64 v[43:44], v[43:44], -v[207:208]
	ds_read2_b64 v[207:210], v253 offset0:82 offset1:83
	;; [unrolled: 8-line block ×11, first 2 shown]
	s_waitcnt lgkmcnt(0)
	v_mul_f64 v[51:52], v[209:210], v[205:206]
	v_fma_f64 v[51:52], v[207:208], v[49:50], -v[51:52]
	v_mul_f64 v[207:208], v[207:208], v[205:206]
	v_add_f64 v[1:2], v[1:2], -v[51:52]
	v_fma_f64 v[207:208], v[209:210], v[49:50], v[207:208]
	v_mov_b32_e32 v51, v205
	v_mov_b32_e32 v52, v206
	v_add_f64 v[3:4], v[3:4], -v[207:208]
.LBB101_352:
	s_or_b32 exec_lo, exec_lo, s1
	s_mov_b32 s2, exec_lo
	s_waitcnt_vscnt null, 0x0
	s_barrier
	buffer_gl0_inv
	v_cmpx_eq_u32_e32 39, v0
	s_cbranch_execz .LBB101_359
; %bb.353:
	ds_write2_b64 v255, v[45:46], v[47:48] offset1:1
	ds_write2_b64 v253, v[41:42], v[43:44] offset0:80 offset1:81
	ds_write2_b64 v253, v[37:38], v[39:40] offset0:82 offset1:83
	;; [unrolled: 1-line block ×11, first 2 shown]
	ds_read2_b64 v[205:208], v255 offset1:1
	s_waitcnt lgkmcnt(0)
	v_cmp_neq_f64_e32 vcc_lo, 0, v[205:206]
	v_cmp_neq_f64_e64 s1, 0, v[207:208]
	s_or_b32 s1, vcc_lo, s1
	s_and_b32 exec_lo, exec_lo, s1
	s_cbranch_execz .LBB101_359
; %bb.354:
	v_cmp_ngt_f64_e64 s1, |v[205:206]|, |v[207:208]|
                                        ; implicit-def: $vgpr209_vgpr210
	s_and_saveexec_b32 s3, s1
	s_xor_b32 s1, exec_lo, s3
                                        ; implicit-def: $vgpr211_vgpr212
	s_cbranch_execz .LBB101_356
; %bb.355:
	v_div_scale_f64 v[209:210], null, v[207:208], v[207:208], v[205:206]
	v_div_scale_f64 v[215:216], vcc_lo, v[205:206], v[207:208], v[205:206]
	v_rcp_f64_e32 v[211:212], v[209:210]
	v_fma_f64 v[213:214], -v[209:210], v[211:212], 1.0
	v_fma_f64 v[211:212], v[211:212], v[213:214], v[211:212]
	v_fma_f64 v[213:214], -v[209:210], v[211:212], 1.0
	v_fma_f64 v[211:212], v[211:212], v[213:214], v[211:212]
	v_mul_f64 v[213:214], v[215:216], v[211:212]
	v_fma_f64 v[209:210], -v[209:210], v[213:214], v[215:216]
	v_div_fmas_f64 v[209:210], v[209:210], v[211:212], v[213:214]
	v_div_fixup_f64 v[209:210], v[209:210], v[207:208], v[205:206]
	v_fma_f64 v[205:206], v[205:206], v[209:210], v[207:208]
	v_div_scale_f64 v[207:208], null, v[205:206], v[205:206], 1.0
	v_rcp_f64_e32 v[211:212], v[207:208]
	v_fma_f64 v[213:214], -v[207:208], v[211:212], 1.0
	v_fma_f64 v[211:212], v[211:212], v[213:214], v[211:212]
	v_fma_f64 v[213:214], -v[207:208], v[211:212], 1.0
	v_fma_f64 v[211:212], v[211:212], v[213:214], v[211:212]
	v_div_scale_f64 v[213:214], vcc_lo, 1.0, v[205:206], 1.0
	v_mul_f64 v[215:216], v[213:214], v[211:212]
	v_fma_f64 v[207:208], -v[207:208], v[215:216], v[213:214]
	v_div_fmas_f64 v[207:208], v[207:208], v[211:212], v[215:216]
	v_div_fixup_f64 v[211:212], v[207:208], v[205:206], 1.0
                                        ; implicit-def: $vgpr205_vgpr206
	v_mul_f64 v[209:210], v[209:210], v[211:212]
	v_xor_b32_e32 v212, 0x80000000, v212
.LBB101_356:
	s_andn2_saveexec_b32 s1, s1
	s_cbranch_execz .LBB101_358
; %bb.357:
	v_div_scale_f64 v[209:210], null, v[205:206], v[205:206], v[207:208]
	v_div_scale_f64 v[215:216], vcc_lo, v[207:208], v[205:206], v[207:208]
	v_rcp_f64_e32 v[211:212], v[209:210]
	v_fma_f64 v[213:214], -v[209:210], v[211:212], 1.0
	v_fma_f64 v[211:212], v[211:212], v[213:214], v[211:212]
	v_fma_f64 v[213:214], -v[209:210], v[211:212], 1.0
	v_fma_f64 v[211:212], v[211:212], v[213:214], v[211:212]
	v_mul_f64 v[213:214], v[215:216], v[211:212]
	v_fma_f64 v[209:210], -v[209:210], v[213:214], v[215:216]
	v_div_fmas_f64 v[209:210], v[209:210], v[211:212], v[213:214]
	v_div_fixup_f64 v[211:212], v[209:210], v[205:206], v[207:208]
	v_fma_f64 v[205:206], v[207:208], v[211:212], v[205:206]
	v_div_scale_f64 v[207:208], null, v[205:206], v[205:206], 1.0
	v_rcp_f64_e32 v[209:210], v[207:208]
	v_fma_f64 v[213:214], -v[207:208], v[209:210], 1.0
	v_fma_f64 v[209:210], v[209:210], v[213:214], v[209:210]
	v_fma_f64 v[213:214], -v[207:208], v[209:210], 1.0
	v_fma_f64 v[209:210], v[209:210], v[213:214], v[209:210]
	v_div_scale_f64 v[213:214], vcc_lo, 1.0, v[205:206], 1.0
	v_mul_f64 v[215:216], v[213:214], v[209:210]
	v_fma_f64 v[207:208], -v[207:208], v[215:216], v[213:214]
	v_div_fmas_f64 v[207:208], v[207:208], v[209:210], v[215:216]
	v_div_fixup_f64 v[209:210], v[207:208], v[205:206], 1.0
	v_mul_f64 v[211:212], v[211:212], -v[209:210]
.LBB101_358:
	s_or_b32 exec_lo, exec_lo, s1
	ds_write2_b64 v255, v[209:210], v[211:212] offset1:1
.LBB101_359:
	s_or_b32 exec_lo, exec_lo, s2
	s_waitcnt lgkmcnt(0)
	s_barrier
	buffer_gl0_inv
	ds_read2_b64 v[201:204], v255 offset1:1
	s_mov_b32 s1, exec_lo
	s_waitcnt lgkmcnt(0)
	buffer_store_dword v201, off, s[16:19], 0 offset:1016 ; 4-byte Folded Spill
	buffer_store_dword v202, off, s[16:19], 0 offset:1020 ; 4-byte Folded Spill
	;; [unrolled: 1-line block ×4, first 2 shown]
	v_cmpx_lt_u32_e32 39, v0
	s_cbranch_execz .LBB101_361
; %bb.360:
	s_clause 0x3
	buffer_load_dword v201, off, s[16:19], 0 offset:1016
	buffer_load_dword v202, off, s[16:19], 0 offset:1020
	;; [unrolled: 1-line block ×4, first 2 shown]
	ds_read2_b64 v[207:210], v253 offset0:80 offset1:81
	s_waitcnt vmcnt(2)
	v_mul_f64 v[205:206], v[201:202], v[47:48]
	s_waitcnt vmcnt(0)
	v_mul_f64 v[47:48], v[203:204], v[47:48]
	v_fma_f64 v[205:206], v[203:204], v[45:46], v[205:206]
	v_fma_f64 v[45:46], v[201:202], v[45:46], -v[47:48]
	s_waitcnt lgkmcnt(0)
	v_mul_f64 v[47:48], v[209:210], v[205:206]
	v_fma_f64 v[47:48], v[207:208], v[45:46], -v[47:48]
	v_mul_f64 v[207:208], v[207:208], v[205:206]
	v_add_f64 v[41:42], v[41:42], -v[47:48]
	v_fma_f64 v[207:208], v[209:210], v[45:46], v[207:208]
	v_add_f64 v[43:44], v[43:44], -v[207:208]
	ds_read2_b64 v[207:210], v253 offset0:82 offset1:83
	s_waitcnt lgkmcnt(0)
	v_mul_f64 v[47:48], v[209:210], v[205:206]
	v_fma_f64 v[47:48], v[207:208], v[45:46], -v[47:48]
	v_mul_f64 v[207:208], v[207:208], v[205:206]
	v_add_f64 v[37:38], v[37:38], -v[47:48]
	v_fma_f64 v[207:208], v[209:210], v[45:46], v[207:208]
	v_add_f64 v[39:40], v[39:40], -v[207:208]
	ds_read2_b64 v[207:210], v253 offset0:84 offset1:85
	;; [unrolled: 8-line block ×10, first 2 shown]
	s_waitcnt lgkmcnt(0)
	v_mul_f64 v[47:48], v[209:210], v[205:206]
	v_fma_f64 v[47:48], v[207:208], v[45:46], -v[47:48]
	v_mul_f64 v[207:208], v[207:208], v[205:206]
	v_add_f64 v[1:2], v[1:2], -v[47:48]
	v_fma_f64 v[207:208], v[209:210], v[45:46], v[207:208]
	v_mov_b32_e32 v47, v205
	v_mov_b32_e32 v48, v206
	v_add_f64 v[3:4], v[3:4], -v[207:208]
.LBB101_361:
	s_or_b32 exec_lo, exec_lo, s1
	s_mov_b32 s2, exec_lo
	s_waitcnt_vscnt null, 0x0
	s_barrier
	buffer_gl0_inv
	v_cmpx_eq_u32_e32 40, v0
	s_cbranch_execz .LBB101_368
; %bb.362:
	ds_write2_b64 v255, v[41:42], v[43:44] offset1:1
	ds_write2_b64 v253, v[37:38], v[39:40] offset0:82 offset1:83
	ds_write2_b64 v253, v[33:34], v[35:36] offset0:84 offset1:85
	;; [unrolled: 1-line block ×10, first 2 shown]
	ds_read2_b64 v[205:208], v255 offset1:1
	s_waitcnt lgkmcnt(0)
	v_cmp_neq_f64_e32 vcc_lo, 0, v[205:206]
	v_cmp_neq_f64_e64 s1, 0, v[207:208]
	s_or_b32 s1, vcc_lo, s1
	s_and_b32 exec_lo, exec_lo, s1
	s_cbranch_execz .LBB101_368
; %bb.363:
	v_cmp_ngt_f64_e64 s1, |v[205:206]|, |v[207:208]|
                                        ; implicit-def: $vgpr209_vgpr210
	s_and_saveexec_b32 s3, s1
	s_xor_b32 s1, exec_lo, s3
                                        ; implicit-def: $vgpr211_vgpr212
	s_cbranch_execz .LBB101_365
; %bb.364:
	v_div_scale_f64 v[209:210], null, v[207:208], v[207:208], v[205:206]
	v_div_scale_f64 v[215:216], vcc_lo, v[205:206], v[207:208], v[205:206]
	v_rcp_f64_e32 v[211:212], v[209:210]
	v_fma_f64 v[213:214], -v[209:210], v[211:212], 1.0
	v_fma_f64 v[211:212], v[211:212], v[213:214], v[211:212]
	v_fma_f64 v[213:214], -v[209:210], v[211:212], 1.0
	v_fma_f64 v[211:212], v[211:212], v[213:214], v[211:212]
	v_mul_f64 v[213:214], v[215:216], v[211:212]
	v_fma_f64 v[209:210], -v[209:210], v[213:214], v[215:216]
	v_div_fmas_f64 v[209:210], v[209:210], v[211:212], v[213:214]
	v_div_fixup_f64 v[209:210], v[209:210], v[207:208], v[205:206]
	v_fma_f64 v[205:206], v[205:206], v[209:210], v[207:208]
	v_div_scale_f64 v[207:208], null, v[205:206], v[205:206], 1.0
	v_rcp_f64_e32 v[211:212], v[207:208]
	v_fma_f64 v[213:214], -v[207:208], v[211:212], 1.0
	v_fma_f64 v[211:212], v[211:212], v[213:214], v[211:212]
	v_fma_f64 v[213:214], -v[207:208], v[211:212], 1.0
	v_fma_f64 v[211:212], v[211:212], v[213:214], v[211:212]
	v_div_scale_f64 v[213:214], vcc_lo, 1.0, v[205:206], 1.0
	v_mul_f64 v[215:216], v[213:214], v[211:212]
	v_fma_f64 v[207:208], -v[207:208], v[215:216], v[213:214]
	v_div_fmas_f64 v[207:208], v[207:208], v[211:212], v[215:216]
	v_div_fixup_f64 v[211:212], v[207:208], v[205:206], 1.0
                                        ; implicit-def: $vgpr205_vgpr206
	v_mul_f64 v[209:210], v[209:210], v[211:212]
	v_xor_b32_e32 v212, 0x80000000, v212
.LBB101_365:
	s_andn2_saveexec_b32 s1, s1
	s_cbranch_execz .LBB101_367
; %bb.366:
	v_div_scale_f64 v[209:210], null, v[205:206], v[205:206], v[207:208]
	v_div_scale_f64 v[215:216], vcc_lo, v[207:208], v[205:206], v[207:208]
	v_rcp_f64_e32 v[211:212], v[209:210]
	v_fma_f64 v[213:214], -v[209:210], v[211:212], 1.0
	v_fma_f64 v[211:212], v[211:212], v[213:214], v[211:212]
	v_fma_f64 v[213:214], -v[209:210], v[211:212], 1.0
	v_fma_f64 v[211:212], v[211:212], v[213:214], v[211:212]
	v_mul_f64 v[213:214], v[215:216], v[211:212]
	v_fma_f64 v[209:210], -v[209:210], v[213:214], v[215:216]
	v_div_fmas_f64 v[209:210], v[209:210], v[211:212], v[213:214]
	v_div_fixup_f64 v[211:212], v[209:210], v[205:206], v[207:208]
	v_fma_f64 v[205:206], v[207:208], v[211:212], v[205:206]
	v_div_scale_f64 v[207:208], null, v[205:206], v[205:206], 1.0
	v_rcp_f64_e32 v[209:210], v[207:208]
	v_fma_f64 v[213:214], -v[207:208], v[209:210], 1.0
	v_fma_f64 v[209:210], v[209:210], v[213:214], v[209:210]
	v_fma_f64 v[213:214], -v[207:208], v[209:210], 1.0
	v_fma_f64 v[209:210], v[209:210], v[213:214], v[209:210]
	v_div_scale_f64 v[213:214], vcc_lo, 1.0, v[205:206], 1.0
	v_mul_f64 v[215:216], v[213:214], v[209:210]
	v_fma_f64 v[207:208], -v[207:208], v[215:216], v[213:214]
	v_div_fmas_f64 v[207:208], v[207:208], v[209:210], v[215:216]
	v_div_fixup_f64 v[209:210], v[207:208], v[205:206], 1.0
	v_mul_f64 v[211:212], v[211:212], -v[209:210]
.LBB101_367:
	s_or_b32 exec_lo, exec_lo, s1
	ds_write2_b64 v255, v[209:210], v[211:212] offset1:1
.LBB101_368:
	s_or_b32 exec_lo, exec_lo, s2
	s_waitcnt lgkmcnt(0)
	s_barrier
	buffer_gl0_inv
	ds_read2_b64 v[201:204], v255 offset1:1
	s_mov_b32 s1, exec_lo
	s_waitcnt lgkmcnt(0)
	buffer_store_dword v201, off, s[16:19], 0 offset:1032 ; 4-byte Folded Spill
	buffer_store_dword v202, off, s[16:19], 0 offset:1036 ; 4-byte Folded Spill
	buffer_store_dword v203, off, s[16:19], 0 offset:1040 ; 4-byte Folded Spill
	buffer_store_dword v204, off, s[16:19], 0 offset:1044 ; 4-byte Folded Spill
	v_cmpx_lt_u32_e32 40, v0
	s_cbranch_execz .LBB101_370
; %bb.369:
	s_clause 0x3
	buffer_load_dword v201, off, s[16:19], 0 offset:1032
	buffer_load_dword v202, off, s[16:19], 0 offset:1036
	;; [unrolled: 1-line block ×4, first 2 shown]
	s_waitcnt vmcnt(2)
	v_mul_f64 v[205:206], v[201:202], v[43:44]
	s_waitcnt vmcnt(0)
	v_mul_f64 v[43:44], v[203:204], v[43:44]
	v_fma_f64 v[209:210], v[203:204], v[41:42], v[205:206]
	ds_read2_b64 v[205:208], v253 offset0:82 offset1:83
	v_fma_f64 v[41:42], v[201:202], v[41:42], -v[43:44]
	s_waitcnt lgkmcnt(0)
	v_mul_f64 v[43:44], v[207:208], v[209:210]
	v_fma_f64 v[43:44], v[205:206], v[41:42], -v[43:44]
	v_mul_f64 v[205:206], v[205:206], v[209:210]
	v_add_f64 v[37:38], v[37:38], -v[43:44]
	v_fma_f64 v[205:206], v[207:208], v[41:42], v[205:206]
	v_add_f64 v[39:40], v[39:40], -v[205:206]
	ds_read2_b64 v[205:208], v253 offset0:84 offset1:85
	s_waitcnt lgkmcnt(0)
	v_mul_f64 v[43:44], v[207:208], v[209:210]
	v_fma_f64 v[43:44], v[205:206], v[41:42], -v[43:44]
	v_mul_f64 v[205:206], v[205:206], v[209:210]
	v_add_f64 v[33:34], v[33:34], -v[43:44]
	v_fma_f64 v[205:206], v[207:208], v[41:42], v[205:206]
	v_add_f64 v[35:36], v[35:36], -v[205:206]
	ds_read2_b64 v[205:208], v253 offset0:86 offset1:87
	;; [unrolled: 8-line block ×9, first 2 shown]
	s_waitcnt lgkmcnt(0)
	v_mul_f64 v[43:44], v[207:208], v[209:210]
	v_fma_f64 v[43:44], v[205:206], v[41:42], -v[43:44]
	v_mul_f64 v[205:206], v[205:206], v[209:210]
	v_add_f64 v[1:2], v[1:2], -v[43:44]
	v_fma_f64 v[205:206], v[207:208], v[41:42], v[205:206]
	v_mov_b32_e32 v43, v209
	v_mov_b32_e32 v44, v210
	v_add_f64 v[3:4], v[3:4], -v[205:206]
.LBB101_370:
	s_or_b32 exec_lo, exec_lo, s1
	s_mov_b32 s2, exec_lo
	s_waitcnt_vscnt null, 0x0
	s_barrier
	buffer_gl0_inv
	v_cmpx_eq_u32_e32 41, v0
	s_cbranch_execz .LBB101_377
; %bb.371:
	ds_write2_b64 v255, v[37:38], v[39:40] offset1:1
	ds_write2_b64 v253, v[33:34], v[35:36] offset0:84 offset1:85
	ds_write2_b64 v253, v[29:30], v[31:32] offset0:86 offset1:87
	;; [unrolled: 1-line block ×9, first 2 shown]
	ds_read2_b64 v[205:208], v255 offset1:1
	s_waitcnt lgkmcnt(0)
	v_cmp_neq_f64_e32 vcc_lo, 0, v[205:206]
	v_cmp_neq_f64_e64 s1, 0, v[207:208]
	s_or_b32 s1, vcc_lo, s1
	s_and_b32 exec_lo, exec_lo, s1
	s_cbranch_execz .LBB101_377
; %bb.372:
	v_cmp_ngt_f64_e64 s1, |v[205:206]|, |v[207:208]|
                                        ; implicit-def: $vgpr209_vgpr210
	s_and_saveexec_b32 s3, s1
	s_xor_b32 s1, exec_lo, s3
                                        ; implicit-def: $vgpr211_vgpr212
	s_cbranch_execz .LBB101_374
; %bb.373:
	v_div_scale_f64 v[209:210], null, v[207:208], v[207:208], v[205:206]
	v_div_scale_f64 v[215:216], vcc_lo, v[205:206], v[207:208], v[205:206]
	v_rcp_f64_e32 v[211:212], v[209:210]
	v_fma_f64 v[213:214], -v[209:210], v[211:212], 1.0
	v_fma_f64 v[211:212], v[211:212], v[213:214], v[211:212]
	v_fma_f64 v[213:214], -v[209:210], v[211:212], 1.0
	v_fma_f64 v[211:212], v[211:212], v[213:214], v[211:212]
	v_mul_f64 v[213:214], v[215:216], v[211:212]
	v_fma_f64 v[209:210], -v[209:210], v[213:214], v[215:216]
	v_div_fmas_f64 v[209:210], v[209:210], v[211:212], v[213:214]
	v_div_fixup_f64 v[209:210], v[209:210], v[207:208], v[205:206]
	v_fma_f64 v[205:206], v[205:206], v[209:210], v[207:208]
	v_div_scale_f64 v[207:208], null, v[205:206], v[205:206], 1.0
	v_rcp_f64_e32 v[211:212], v[207:208]
	v_fma_f64 v[213:214], -v[207:208], v[211:212], 1.0
	v_fma_f64 v[211:212], v[211:212], v[213:214], v[211:212]
	v_fma_f64 v[213:214], -v[207:208], v[211:212], 1.0
	v_fma_f64 v[211:212], v[211:212], v[213:214], v[211:212]
	v_div_scale_f64 v[213:214], vcc_lo, 1.0, v[205:206], 1.0
	v_mul_f64 v[215:216], v[213:214], v[211:212]
	v_fma_f64 v[207:208], -v[207:208], v[215:216], v[213:214]
	v_div_fmas_f64 v[207:208], v[207:208], v[211:212], v[215:216]
	v_div_fixup_f64 v[211:212], v[207:208], v[205:206], 1.0
                                        ; implicit-def: $vgpr205_vgpr206
	v_mul_f64 v[209:210], v[209:210], v[211:212]
	v_xor_b32_e32 v212, 0x80000000, v212
.LBB101_374:
	s_andn2_saveexec_b32 s1, s1
	s_cbranch_execz .LBB101_376
; %bb.375:
	v_div_scale_f64 v[209:210], null, v[205:206], v[205:206], v[207:208]
	v_div_scale_f64 v[215:216], vcc_lo, v[207:208], v[205:206], v[207:208]
	v_rcp_f64_e32 v[211:212], v[209:210]
	v_fma_f64 v[213:214], -v[209:210], v[211:212], 1.0
	v_fma_f64 v[211:212], v[211:212], v[213:214], v[211:212]
	v_fma_f64 v[213:214], -v[209:210], v[211:212], 1.0
	v_fma_f64 v[211:212], v[211:212], v[213:214], v[211:212]
	v_mul_f64 v[213:214], v[215:216], v[211:212]
	v_fma_f64 v[209:210], -v[209:210], v[213:214], v[215:216]
	v_div_fmas_f64 v[209:210], v[209:210], v[211:212], v[213:214]
	v_div_fixup_f64 v[211:212], v[209:210], v[205:206], v[207:208]
	v_fma_f64 v[205:206], v[207:208], v[211:212], v[205:206]
	v_div_scale_f64 v[207:208], null, v[205:206], v[205:206], 1.0
	v_rcp_f64_e32 v[209:210], v[207:208]
	v_fma_f64 v[213:214], -v[207:208], v[209:210], 1.0
	v_fma_f64 v[209:210], v[209:210], v[213:214], v[209:210]
	v_fma_f64 v[213:214], -v[207:208], v[209:210], 1.0
	v_fma_f64 v[209:210], v[209:210], v[213:214], v[209:210]
	v_div_scale_f64 v[213:214], vcc_lo, 1.0, v[205:206], 1.0
	v_mul_f64 v[215:216], v[213:214], v[209:210]
	v_fma_f64 v[207:208], -v[207:208], v[215:216], v[213:214]
	v_div_fmas_f64 v[207:208], v[207:208], v[209:210], v[215:216]
	v_div_fixup_f64 v[209:210], v[207:208], v[205:206], 1.0
	v_mul_f64 v[211:212], v[211:212], -v[209:210]
.LBB101_376:
	s_or_b32 exec_lo, exec_lo, s1
	ds_write2_b64 v255, v[209:210], v[211:212] offset1:1
.LBB101_377:
	s_or_b32 exec_lo, exec_lo, s2
	s_waitcnt lgkmcnt(0)
	s_barrier
	buffer_gl0_inv
	ds_read2_b64 v[201:204], v255 offset1:1
	s_mov_b32 s1, exec_lo
	s_waitcnt lgkmcnt(0)
	buffer_store_dword v201, off, s[16:19], 0 offset:1048 ; 4-byte Folded Spill
	buffer_store_dword v202, off, s[16:19], 0 offset:1052 ; 4-byte Folded Spill
	;; [unrolled: 1-line block ×4, first 2 shown]
	v_cmpx_lt_u32_e32 41, v0
	s_cbranch_execz .LBB101_379
; %bb.378:
	s_clause 0x3
	buffer_load_dword v201, off, s[16:19], 0 offset:1048
	buffer_load_dword v202, off, s[16:19], 0 offset:1052
	;; [unrolled: 1-line block ×4, first 2 shown]
	s_waitcnt vmcnt(2)
	v_mul_f64 v[205:206], v[201:202], v[39:40]
	s_waitcnt vmcnt(0)
	v_mul_f64 v[39:40], v[203:204], v[39:40]
	v_fma_f64 v[209:210], v[203:204], v[37:38], v[205:206]
	ds_read2_b64 v[205:208], v253 offset0:84 offset1:85
	v_fma_f64 v[37:38], v[201:202], v[37:38], -v[39:40]
	s_waitcnt lgkmcnt(0)
	v_mul_f64 v[39:40], v[207:208], v[209:210]
	v_fma_f64 v[39:40], v[205:206], v[37:38], -v[39:40]
	v_mul_f64 v[205:206], v[205:206], v[209:210]
	v_add_f64 v[33:34], v[33:34], -v[39:40]
	v_fma_f64 v[205:206], v[207:208], v[37:38], v[205:206]
	v_add_f64 v[35:36], v[35:36], -v[205:206]
	ds_read2_b64 v[205:208], v253 offset0:86 offset1:87
	s_waitcnt lgkmcnt(0)
	v_mul_f64 v[39:40], v[207:208], v[209:210]
	v_fma_f64 v[39:40], v[205:206], v[37:38], -v[39:40]
	v_mul_f64 v[205:206], v[205:206], v[209:210]
	v_add_f64 v[29:30], v[29:30], -v[39:40]
	v_fma_f64 v[205:206], v[207:208], v[37:38], v[205:206]
	v_add_f64 v[31:32], v[31:32], -v[205:206]
	ds_read2_b64 v[205:208], v253 offset0:88 offset1:89
	s_waitcnt lgkmcnt(0)
	v_mul_f64 v[39:40], v[207:208], v[209:210]
	v_fma_f64 v[39:40], v[205:206], v[37:38], -v[39:40]
	v_mul_f64 v[205:206], v[205:206], v[209:210]
	v_add_f64 v[25:26], v[25:26], -v[39:40]
	v_fma_f64 v[205:206], v[207:208], v[37:38], v[205:206]
	v_add_f64 v[27:28], v[27:28], -v[205:206]
	ds_read2_b64 v[205:208], v253 offset0:90 offset1:91
	s_waitcnt lgkmcnt(0)
	v_mul_f64 v[39:40], v[207:208], v[209:210]
	v_fma_f64 v[39:40], v[205:206], v[37:38], -v[39:40]
	v_mul_f64 v[205:206], v[205:206], v[209:210]
	v_add_f64 v[21:22], v[21:22], -v[39:40]
	v_fma_f64 v[205:206], v[207:208], v[37:38], v[205:206]
	v_add_f64 v[23:24], v[23:24], -v[205:206]
	ds_read2_b64 v[205:208], v253 offset0:92 offset1:93
	s_waitcnt lgkmcnt(0)
	v_mul_f64 v[39:40], v[207:208], v[209:210]
	v_fma_f64 v[39:40], v[205:206], v[37:38], -v[39:40]
	v_mul_f64 v[205:206], v[205:206], v[209:210]
	v_add_f64 v[17:18], v[17:18], -v[39:40]
	v_fma_f64 v[205:206], v[207:208], v[37:38], v[205:206]
	v_add_f64 v[19:20], v[19:20], -v[205:206]
	ds_read2_b64 v[205:208], v253 offset0:94 offset1:95
	s_waitcnt lgkmcnt(0)
	v_mul_f64 v[39:40], v[207:208], v[209:210]
	v_fma_f64 v[39:40], v[205:206], v[37:38], -v[39:40]
	v_mul_f64 v[205:206], v[205:206], v[209:210]
	v_add_f64 v[13:14], v[13:14], -v[39:40]
	v_fma_f64 v[205:206], v[207:208], v[37:38], v[205:206]
	v_add_f64 v[15:16], v[15:16], -v[205:206]
	ds_read2_b64 v[205:208], v253 offset0:96 offset1:97
	s_waitcnt lgkmcnt(0)
	v_mul_f64 v[39:40], v[207:208], v[209:210]
	v_fma_f64 v[39:40], v[205:206], v[37:38], -v[39:40]
	v_mul_f64 v[205:206], v[205:206], v[209:210]
	v_add_f64 v[9:10], v[9:10], -v[39:40]
	v_fma_f64 v[205:206], v[207:208], v[37:38], v[205:206]
	v_add_f64 v[11:12], v[11:12], -v[205:206]
	ds_read2_b64 v[205:208], v253 offset0:98 offset1:99
	s_waitcnt lgkmcnt(0)
	v_mul_f64 v[39:40], v[207:208], v[209:210]
	v_fma_f64 v[39:40], v[205:206], v[37:38], -v[39:40]
	v_mul_f64 v[205:206], v[205:206], v[209:210]
	v_add_f64 v[5:6], v[5:6], -v[39:40]
	v_fma_f64 v[205:206], v[207:208], v[37:38], v[205:206]
	v_add_f64 v[7:8], v[7:8], -v[205:206]
	ds_read2_b64 v[205:208], v253 offset0:100 offset1:101
	s_waitcnt lgkmcnt(0)
	v_mul_f64 v[39:40], v[207:208], v[209:210]
	v_fma_f64 v[39:40], v[205:206], v[37:38], -v[39:40]
	v_mul_f64 v[205:206], v[205:206], v[209:210]
	v_add_f64 v[1:2], v[1:2], -v[39:40]
	v_fma_f64 v[205:206], v[207:208], v[37:38], v[205:206]
	v_mov_b32_e32 v39, v209
	v_mov_b32_e32 v40, v210
	v_add_f64 v[3:4], v[3:4], -v[205:206]
.LBB101_379:
	s_or_b32 exec_lo, exec_lo, s1
	s_mov_b32 s2, exec_lo
	s_waitcnt_vscnt null, 0x0
	s_barrier
	buffer_gl0_inv
	v_cmpx_eq_u32_e32 42, v0
	s_cbranch_execz .LBB101_386
; %bb.380:
	ds_write2_b64 v255, v[33:34], v[35:36] offset1:1
	ds_write2_b64 v253, v[29:30], v[31:32] offset0:86 offset1:87
	ds_write2_b64 v253, v[25:26], v[27:28] offset0:88 offset1:89
	;; [unrolled: 1-line block ×8, first 2 shown]
	ds_read2_b64 v[205:208], v255 offset1:1
	s_waitcnt lgkmcnt(0)
	v_cmp_neq_f64_e32 vcc_lo, 0, v[205:206]
	v_cmp_neq_f64_e64 s1, 0, v[207:208]
	s_or_b32 s1, vcc_lo, s1
	s_and_b32 exec_lo, exec_lo, s1
	s_cbranch_execz .LBB101_386
; %bb.381:
	v_cmp_ngt_f64_e64 s1, |v[205:206]|, |v[207:208]|
                                        ; implicit-def: $vgpr209_vgpr210
	s_and_saveexec_b32 s3, s1
	s_xor_b32 s1, exec_lo, s3
                                        ; implicit-def: $vgpr211_vgpr212
	s_cbranch_execz .LBB101_383
; %bb.382:
	v_div_scale_f64 v[209:210], null, v[207:208], v[207:208], v[205:206]
	v_div_scale_f64 v[215:216], vcc_lo, v[205:206], v[207:208], v[205:206]
	v_rcp_f64_e32 v[211:212], v[209:210]
	v_fma_f64 v[213:214], -v[209:210], v[211:212], 1.0
	v_fma_f64 v[211:212], v[211:212], v[213:214], v[211:212]
	v_fma_f64 v[213:214], -v[209:210], v[211:212], 1.0
	v_fma_f64 v[211:212], v[211:212], v[213:214], v[211:212]
	v_mul_f64 v[213:214], v[215:216], v[211:212]
	v_fma_f64 v[209:210], -v[209:210], v[213:214], v[215:216]
	v_div_fmas_f64 v[209:210], v[209:210], v[211:212], v[213:214]
	v_div_fixup_f64 v[209:210], v[209:210], v[207:208], v[205:206]
	v_fma_f64 v[205:206], v[205:206], v[209:210], v[207:208]
	v_div_scale_f64 v[207:208], null, v[205:206], v[205:206], 1.0
	v_rcp_f64_e32 v[211:212], v[207:208]
	v_fma_f64 v[213:214], -v[207:208], v[211:212], 1.0
	v_fma_f64 v[211:212], v[211:212], v[213:214], v[211:212]
	v_fma_f64 v[213:214], -v[207:208], v[211:212], 1.0
	v_fma_f64 v[211:212], v[211:212], v[213:214], v[211:212]
	v_div_scale_f64 v[213:214], vcc_lo, 1.0, v[205:206], 1.0
	v_mul_f64 v[215:216], v[213:214], v[211:212]
	v_fma_f64 v[207:208], -v[207:208], v[215:216], v[213:214]
	v_div_fmas_f64 v[207:208], v[207:208], v[211:212], v[215:216]
	v_div_fixup_f64 v[211:212], v[207:208], v[205:206], 1.0
                                        ; implicit-def: $vgpr205_vgpr206
	v_mul_f64 v[209:210], v[209:210], v[211:212]
	v_xor_b32_e32 v212, 0x80000000, v212
.LBB101_383:
	s_andn2_saveexec_b32 s1, s1
	s_cbranch_execz .LBB101_385
; %bb.384:
	v_div_scale_f64 v[209:210], null, v[205:206], v[205:206], v[207:208]
	v_div_scale_f64 v[215:216], vcc_lo, v[207:208], v[205:206], v[207:208]
	v_rcp_f64_e32 v[211:212], v[209:210]
	v_fma_f64 v[213:214], -v[209:210], v[211:212], 1.0
	v_fma_f64 v[211:212], v[211:212], v[213:214], v[211:212]
	v_fma_f64 v[213:214], -v[209:210], v[211:212], 1.0
	v_fma_f64 v[211:212], v[211:212], v[213:214], v[211:212]
	v_mul_f64 v[213:214], v[215:216], v[211:212]
	v_fma_f64 v[209:210], -v[209:210], v[213:214], v[215:216]
	v_div_fmas_f64 v[209:210], v[209:210], v[211:212], v[213:214]
	v_div_fixup_f64 v[211:212], v[209:210], v[205:206], v[207:208]
	v_fma_f64 v[205:206], v[207:208], v[211:212], v[205:206]
	v_div_scale_f64 v[207:208], null, v[205:206], v[205:206], 1.0
	v_rcp_f64_e32 v[209:210], v[207:208]
	v_fma_f64 v[213:214], -v[207:208], v[209:210], 1.0
	v_fma_f64 v[209:210], v[209:210], v[213:214], v[209:210]
	v_fma_f64 v[213:214], -v[207:208], v[209:210], 1.0
	v_fma_f64 v[209:210], v[209:210], v[213:214], v[209:210]
	v_div_scale_f64 v[213:214], vcc_lo, 1.0, v[205:206], 1.0
	v_mul_f64 v[215:216], v[213:214], v[209:210]
	v_fma_f64 v[207:208], -v[207:208], v[215:216], v[213:214]
	v_div_fmas_f64 v[207:208], v[207:208], v[209:210], v[215:216]
	v_div_fixup_f64 v[209:210], v[207:208], v[205:206], 1.0
	v_mul_f64 v[211:212], v[211:212], -v[209:210]
.LBB101_385:
	s_or_b32 exec_lo, exec_lo, s1
	ds_write2_b64 v255, v[209:210], v[211:212] offset1:1
.LBB101_386:
	s_or_b32 exec_lo, exec_lo, s2
	s_waitcnt lgkmcnt(0)
	s_barrier
	buffer_gl0_inv
	ds_read2_b64 v[229:232], v255 offset1:1
	s_mov_b32 s1, exec_lo
	v_cmpx_lt_u32_e32 42, v0
	s_cbranch_execz .LBB101_388
; %bb.387:
	s_waitcnt lgkmcnt(0)
	v_mul_f64 v[205:206], v[229:230], v[35:36]
	v_mul_f64 v[35:36], v[231:232], v[35:36]
	v_fma_f64 v[209:210], v[231:232], v[33:34], v[205:206]
	ds_read2_b64 v[205:208], v253 offset0:86 offset1:87
	v_fma_f64 v[33:34], v[229:230], v[33:34], -v[35:36]
	s_waitcnt lgkmcnt(0)
	v_mul_f64 v[35:36], v[207:208], v[209:210]
	v_fma_f64 v[35:36], v[205:206], v[33:34], -v[35:36]
	v_mul_f64 v[205:206], v[205:206], v[209:210]
	v_add_f64 v[29:30], v[29:30], -v[35:36]
	v_fma_f64 v[205:206], v[207:208], v[33:34], v[205:206]
	v_add_f64 v[31:32], v[31:32], -v[205:206]
	ds_read2_b64 v[205:208], v253 offset0:88 offset1:89
	s_waitcnt lgkmcnt(0)
	v_mul_f64 v[35:36], v[207:208], v[209:210]
	v_fma_f64 v[35:36], v[205:206], v[33:34], -v[35:36]
	v_mul_f64 v[205:206], v[205:206], v[209:210]
	v_add_f64 v[25:26], v[25:26], -v[35:36]
	v_fma_f64 v[205:206], v[207:208], v[33:34], v[205:206]
	v_add_f64 v[27:28], v[27:28], -v[205:206]
	ds_read2_b64 v[205:208], v253 offset0:90 offset1:91
	;; [unrolled: 8-line block ×7, first 2 shown]
	s_waitcnt lgkmcnt(0)
	v_mul_f64 v[35:36], v[207:208], v[209:210]
	v_fma_f64 v[35:36], v[205:206], v[33:34], -v[35:36]
	v_mul_f64 v[205:206], v[205:206], v[209:210]
	v_add_f64 v[1:2], v[1:2], -v[35:36]
	v_fma_f64 v[205:206], v[207:208], v[33:34], v[205:206]
	v_mov_b32_e32 v35, v209
	v_mov_b32_e32 v36, v210
	v_add_f64 v[3:4], v[3:4], -v[205:206]
.LBB101_388:
	s_or_b32 exec_lo, exec_lo, s1
	s_mov_b32 s2, exec_lo
	s_waitcnt lgkmcnt(0)
	s_barrier
	buffer_gl0_inv
	v_cmpx_eq_u32_e32 43, v0
	s_cbranch_execz .LBB101_395
; %bb.389:
	ds_write2_b64 v255, v[29:30], v[31:32] offset1:1
	ds_write2_b64 v253, v[25:26], v[27:28] offset0:88 offset1:89
	ds_write2_b64 v253, v[21:22], v[23:24] offset0:90 offset1:91
	ds_write2_b64 v253, v[17:18], v[19:20] offset0:92 offset1:93
	ds_write2_b64 v253, v[13:14], v[15:16] offset0:94 offset1:95
	ds_write2_b64 v253, v[9:10], v[11:12] offset0:96 offset1:97
	ds_write2_b64 v253, v[5:6], v[7:8] offset0:98 offset1:99
	ds_write2_b64 v253, v[1:2], v[3:4] offset0:100 offset1:101
	ds_read2_b64 v[205:208], v255 offset1:1
	s_waitcnt lgkmcnt(0)
	v_cmp_neq_f64_e32 vcc_lo, 0, v[205:206]
	v_cmp_neq_f64_e64 s1, 0, v[207:208]
	s_or_b32 s1, vcc_lo, s1
	s_and_b32 exec_lo, exec_lo, s1
	s_cbranch_execz .LBB101_395
; %bb.390:
	v_cmp_ngt_f64_e64 s1, |v[205:206]|, |v[207:208]|
                                        ; implicit-def: $vgpr209_vgpr210
	s_and_saveexec_b32 s3, s1
	s_xor_b32 s1, exec_lo, s3
                                        ; implicit-def: $vgpr211_vgpr212
	s_cbranch_execz .LBB101_392
; %bb.391:
	v_div_scale_f64 v[209:210], null, v[207:208], v[207:208], v[205:206]
	v_div_scale_f64 v[215:216], vcc_lo, v[205:206], v[207:208], v[205:206]
	v_rcp_f64_e32 v[211:212], v[209:210]
	v_fma_f64 v[213:214], -v[209:210], v[211:212], 1.0
	v_fma_f64 v[211:212], v[211:212], v[213:214], v[211:212]
	v_fma_f64 v[213:214], -v[209:210], v[211:212], 1.0
	v_fma_f64 v[211:212], v[211:212], v[213:214], v[211:212]
	v_mul_f64 v[213:214], v[215:216], v[211:212]
	v_fma_f64 v[209:210], -v[209:210], v[213:214], v[215:216]
	v_div_fmas_f64 v[209:210], v[209:210], v[211:212], v[213:214]
	v_div_fixup_f64 v[209:210], v[209:210], v[207:208], v[205:206]
	v_fma_f64 v[205:206], v[205:206], v[209:210], v[207:208]
	v_div_scale_f64 v[207:208], null, v[205:206], v[205:206], 1.0
	v_rcp_f64_e32 v[211:212], v[207:208]
	v_fma_f64 v[213:214], -v[207:208], v[211:212], 1.0
	v_fma_f64 v[211:212], v[211:212], v[213:214], v[211:212]
	v_fma_f64 v[213:214], -v[207:208], v[211:212], 1.0
	v_fma_f64 v[211:212], v[211:212], v[213:214], v[211:212]
	v_div_scale_f64 v[213:214], vcc_lo, 1.0, v[205:206], 1.0
	v_mul_f64 v[215:216], v[213:214], v[211:212]
	v_fma_f64 v[207:208], -v[207:208], v[215:216], v[213:214]
	v_div_fmas_f64 v[207:208], v[207:208], v[211:212], v[215:216]
	v_div_fixup_f64 v[211:212], v[207:208], v[205:206], 1.0
                                        ; implicit-def: $vgpr205_vgpr206
	v_mul_f64 v[209:210], v[209:210], v[211:212]
	v_xor_b32_e32 v212, 0x80000000, v212
.LBB101_392:
	s_andn2_saveexec_b32 s1, s1
	s_cbranch_execz .LBB101_394
; %bb.393:
	v_div_scale_f64 v[209:210], null, v[205:206], v[205:206], v[207:208]
	v_div_scale_f64 v[215:216], vcc_lo, v[207:208], v[205:206], v[207:208]
	v_rcp_f64_e32 v[211:212], v[209:210]
	v_fma_f64 v[213:214], -v[209:210], v[211:212], 1.0
	v_fma_f64 v[211:212], v[211:212], v[213:214], v[211:212]
	v_fma_f64 v[213:214], -v[209:210], v[211:212], 1.0
	v_fma_f64 v[211:212], v[211:212], v[213:214], v[211:212]
	v_mul_f64 v[213:214], v[215:216], v[211:212]
	v_fma_f64 v[209:210], -v[209:210], v[213:214], v[215:216]
	v_div_fmas_f64 v[209:210], v[209:210], v[211:212], v[213:214]
	v_div_fixup_f64 v[211:212], v[209:210], v[205:206], v[207:208]
	v_fma_f64 v[205:206], v[207:208], v[211:212], v[205:206]
	v_div_scale_f64 v[207:208], null, v[205:206], v[205:206], 1.0
	v_rcp_f64_e32 v[209:210], v[207:208]
	v_fma_f64 v[213:214], -v[207:208], v[209:210], 1.0
	v_fma_f64 v[209:210], v[209:210], v[213:214], v[209:210]
	v_fma_f64 v[213:214], -v[207:208], v[209:210], 1.0
	v_fma_f64 v[209:210], v[209:210], v[213:214], v[209:210]
	v_div_scale_f64 v[213:214], vcc_lo, 1.0, v[205:206], 1.0
	v_mul_f64 v[215:216], v[213:214], v[209:210]
	v_fma_f64 v[207:208], -v[207:208], v[215:216], v[213:214]
	v_div_fmas_f64 v[207:208], v[207:208], v[209:210], v[215:216]
	v_div_fixup_f64 v[209:210], v[207:208], v[205:206], 1.0
	v_mul_f64 v[211:212], v[211:212], -v[209:210]
.LBB101_394:
	s_or_b32 exec_lo, exec_lo, s1
	ds_write2_b64 v255, v[209:210], v[211:212] offset1:1
.LBB101_395:
	s_or_b32 exec_lo, exec_lo, s2
	s_waitcnt lgkmcnt(0)
	s_barrier
	buffer_gl0_inv
	ds_read2_b64 v[233:236], v255 offset1:1
	s_mov_b32 s1, exec_lo
	v_cmpx_lt_u32_e32 43, v0
	s_cbranch_execz .LBB101_397
; %bb.396:
	s_waitcnt lgkmcnt(0)
	v_mul_f64 v[205:206], v[233:234], v[31:32]
	v_mul_f64 v[31:32], v[235:236], v[31:32]
	v_fma_f64 v[209:210], v[235:236], v[29:30], v[205:206]
	ds_read2_b64 v[205:208], v253 offset0:88 offset1:89
	v_fma_f64 v[29:30], v[233:234], v[29:30], -v[31:32]
	s_waitcnt lgkmcnt(0)
	v_mul_f64 v[31:32], v[207:208], v[209:210]
	v_fma_f64 v[31:32], v[205:206], v[29:30], -v[31:32]
	v_mul_f64 v[205:206], v[205:206], v[209:210]
	v_add_f64 v[25:26], v[25:26], -v[31:32]
	v_fma_f64 v[205:206], v[207:208], v[29:30], v[205:206]
	v_add_f64 v[27:28], v[27:28], -v[205:206]
	ds_read2_b64 v[205:208], v253 offset0:90 offset1:91
	s_waitcnt lgkmcnt(0)
	v_mul_f64 v[31:32], v[207:208], v[209:210]
	v_fma_f64 v[31:32], v[205:206], v[29:30], -v[31:32]
	v_mul_f64 v[205:206], v[205:206], v[209:210]
	v_add_f64 v[21:22], v[21:22], -v[31:32]
	v_fma_f64 v[205:206], v[207:208], v[29:30], v[205:206]
	v_add_f64 v[23:24], v[23:24], -v[205:206]
	ds_read2_b64 v[205:208], v253 offset0:92 offset1:93
	;; [unrolled: 8-line block ×6, first 2 shown]
	s_waitcnt lgkmcnt(0)
	v_mul_f64 v[31:32], v[207:208], v[209:210]
	v_fma_f64 v[31:32], v[205:206], v[29:30], -v[31:32]
	v_mul_f64 v[205:206], v[205:206], v[209:210]
	v_add_f64 v[1:2], v[1:2], -v[31:32]
	v_fma_f64 v[205:206], v[207:208], v[29:30], v[205:206]
	v_mov_b32_e32 v31, v209
	v_mov_b32_e32 v32, v210
	v_add_f64 v[3:4], v[3:4], -v[205:206]
.LBB101_397:
	s_or_b32 exec_lo, exec_lo, s1
	s_mov_b32 s2, exec_lo
	s_waitcnt lgkmcnt(0)
	s_barrier
	buffer_gl0_inv
	v_cmpx_eq_u32_e32 44, v0
	s_cbranch_execz .LBB101_404
; %bb.398:
	ds_write2_b64 v255, v[25:26], v[27:28] offset1:1
	ds_write2_b64 v253, v[21:22], v[23:24] offset0:90 offset1:91
	ds_write2_b64 v253, v[17:18], v[19:20] offset0:92 offset1:93
	;; [unrolled: 1-line block ×6, first 2 shown]
	ds_read2_b64 v[205:208], v255 offset1:1
	s_waitcnt lgkmcnt(0)
	v_cmp_neq_f64_e32 vcc_lo, 0, v[205:206]
	v_cmp_neq_f64_e64 s1, 0, v[207:208]
	s_or_b32 s1, vcc_lo, s1
	s_and_b32 exec_lo, exec_lo, s1
	s_cbranch_execz .LBB101_404
; %bb.399:
	v_cmp_ngt_f64_e64 s1, |v[205:206]|, |v[207:208]|
                                        ; implicit-def: $vgpr209_vgpr210
	s_and_saveexec_b32 s3, s1
	s_xor_b32 s1, exec_lo, s3
                                        ; implicit-def: $vgpr211_vgpr212
	s_cbranch_execz .LBB101_401
; %bb.400:
	v_div_scale_f64 v[209:210], null, v[207:208], v[207:208], v[205:206]
	v_div_scale_f64 v[215:216], vcc_lo, v[205:206], v[207:208], v[205:206]
	v_rcp_f64_e32 v[211:212], v[209:210]
	v_fma_f64 v[213:214], -v[209:210], v[211:212], 1.0
	v_fma_f64 v[211:212], v[211:212], v[213:214], v[211:212]
	v_fma_f64 v[213:214], -v[209:210], v[211:212], 1.0
	v_fma_f64 v[211:212], v[211:212], v[213:214], v[211:212]
	v_mul_f64 v[213:214], v[215:216], v[211:212]
	v_fma_f64 v[209:210], -v[209:210], v[213:214], v[215:216]
	v_div_fmas_f64 v[209:210], v[209:210], v[211:212], v[213:214]
	v_div_fixup_f64 v[209:210], v[209:210], v[207:208], v[205:206]
	v_fma_f64 v[205:206], v[205:206], v[209:210], v[207:208]
	v_div_scale_f64 v[207:208], null, v[205:206], v[205:206], 1.0
	v_rcp_f64_e32 v[211:212], v[207:208]
	v_fma_f64 v[213:214], -v[207:208], v[211:212], 1.0
	v_fma_f64 v[211:212], v[211:212], v[213:214], v[211:212]
	v_fma_f64 v[213:214], -v[207:208], v[211:212], 1.0
	v_fma_f64 v[211:212], v[211:212], v[213:214], v[211:212]
	v_div_scale_f64 v[213:214], vcc_lo, 1.0, v[205:206], 1.0
	v_mul_f64 v[215:216], v[213:214], v[211:212]
	v_fma_f64 v[207:208], -v[207:208], v[215:216], v[213:214]
	v_div_fmas_f64 v[207:208], v[207:208], v[211:212], v[215:216]
	v_div_fixup_f64 v[211:212], v[207:208], v[205:206], 1.0
                                        ; implicit-def: $vgpr205_vgpr206
	v_mul_f64 v[209:210], v[209:210], v[211:212]
	v_xor_b32_e32 v212, 0x80000000, v212
.LBB101_401:
	s_andn2_saveexec_b32 s1, s1
	s_cbranch_execz .LBB101_403
; %bb.402:
	v_div_scale_f64 v[209:210], null, v[205:206], v[205:206], v[207:208]
	v_div_scale_f64 v[215:216], vcc_lo, v[207:208], v[205:206], v[207:208]
	v_rcp_f64_e32 v[211:212], v[209:210]
	v_fma_f64 v[213:214], -v[209:210], v[211:212], 1.0
	v_fma_f64 v[211:212], v[211:212], v[213:214], v[211:212]
	v_fma_f64 v[213:214], -v[209:210], v[211:212], 1.0
	v_fma_f64 v[211:212], v[211:212], v[213:214], v[211:212]
	v_mul_f64 v[213:214], v[215:216], v[211:212]
	v_fma_f64 v[209:210], -v[209:210], v[213:214], v[215:216]
	v_div_fmas_f64 v[209:210], v[209:210], v[211:212], v[213:214]
	v_div_fixup_f64 v[211:212], v[209:210], v[205:206], v[207:208]
	v_fma_f64 v[205:206], v[207:208], v[211:212], v[205:206]
	v_div_scale_f64 v[207:208], null, v[205:206], v[205:206], 1.0
	v_rcp_f64_e32 v[209:210], v[207:208]
	v_fma_f64 v[213:214], -v[207:208], v[209:210], 1.0
	v_fma_f64 v[209:210], v[209:210], v[213:214], v[209:210]
	v_fma_f64 v[213:214], -v[207:208], v[209:210], 1.0
	v_fma_f64 v[209:210], v[209:210], v[213:214], v[209:210]
	v_div_scale_f64 v[213:214], vcc_lo, 1.0, v[205:206], 1.0
	v_mul_f64 v[215:216], v[213:214], v[209:210]
	v_fma_f64 v[207:208], -v[207:208], v[215:216], v[213:214]
	v_div_fmas_f64 v[207:208], v[207:208], v[209:210], v[215:216]
	v_div_fixup_f64 v[209:210], v[207:208], v[205:206], 1.0
	v_mul_f64 v[211:212], v[211:212], -v[209:210]
.LBB101_403:
	s_or_b32 exec_lo, exec_lo, s1
	ds_write2_b64 v255, v[209:210], v[211:212] offset1:1
.LBB101_404:
	s_or_b32 exec_lo, exec_lo, s2
	s_waitcnt lgkmcnt(0)
	s_barrier
	buffer_gl0_inv
	ds_read2_b64 v[237:240], v255 offset1:1
	s_mov_b32 s1, exec_lo
	v_cmpx_lt_u32_e32 44, v0
	s_cbranch_execz .LBB101_406
; %bb.405:
	s_waitcnt lgkmcnt(0)
	v_mul_f64 v[205:206], v[237:238], v[27:28]
	v_mul_f64 v[27:28], v[239:240], v[27:28]
	v_fma_f64 v[209:210], v[239:240], v[25:26], v[205:206]
	ds_read2_b64 v[205:208], v253 offset0:90 offset1:91
	v_fma_f64 v[25:26], v[237:238], v[25:26], -v[27:28]
	s_waitcnt lgkmcnt(0)
	v_mul_f64 v[27:28], v[207:208], v[209:210]
	v_fma_f64 v[27:28], v[205:206], v[25:26], -v[27:28]
	v_mul_f64 v[205:206], v[205:206], v[209:210]
	v_add_f64 v[21:22], v[21:22], -v[27:28]
	v_fma_f64 v[205:206], v[207:208], v[25:26], v[205:206]
	v_add_f64 v[23:24], v[23:24], -v[205:206]
	ds_read2_b64 v[205:208], v253 offset0:92 offset1:93
	s_waitcnt lgkmcnt(0)
	v_mul_f64 v[27:28], v[207:208], v[209:210]
	v_fma_f64 v[27:28], v[205:206], v[25:26], -v[27:28]
	v_mul_f64 v[205:206], v[205:206], v[209:210]
	v_add_f64 v[17:18], v[17:18], -v[27:28]
	v_fma_f64 v[205:206], v[207:208], v[25:26], v[205:206]
	v_add_f64 v[19:20], v[19:20], -v[205:206]
	ds_read2_b64 v[205:208], v253 offset0:94 offset1:95
	;; [unrolled: 8-line block ×5, first 2 shown]
	s_waitcnt lgkmcnt(0)
	v_mul_f64 v[27:28], v[207:208], v[209:210]
	v_fma_f64 v[27:28], v[205:206], v[25:26], -v[27:28]
	v_mul_f64 v[205:206], v[205:206], v[209:210]
	v_add_f64 v[1:2], v[1:2], -v[27:28]
	v_fma_f64 v[205:206], v[207:208], v[25:26], v[205:206]
	v_mov_b32_e32 v27, v209
	v_mov_b32_e32 v28, v210
	v_add_f64 v[3:4], v[3:4], -v[205:206]
.LBB101_406:
	s_or_b32 exec_lo, exec_lo, s1
	s_mov_b32 s2, exec_lo
	s_waitcnt lgkmcnt(0)
	s_barrier
	buffer_gl0_inv
	v_cmpx_eq_u32_e32 45, v0
	s_cbranch_execz .LBB101_413
; %bb.407:
	ds_write2_b64 v255, v[21:22], v[23:24] offset1:1
	ds_write2_b64 v253, v[17:18], v[19:20] offset0:92 offset1:93
	ds_write2_b64 v253, v[13:14], v[15:16] offset0:94 offset1:95
	;; [unrolled: 1-line block ×5, first 2 shown]
	ds_read2_b64 v[205:208], v255 offset1:1
	s_waitcnt lgkmcnt(0)
	v_cmp_neq_f64_e32 vcc_lo, 0, v[205:206]
	v_cmp_neq_f64_e64 s1, 0, v[207:208]
	s_or_b32 s1, vcc_lo, s1
	s_and_b32 exec_lo, exec_lo, s1
	s_cbranch_execz .LBB101_413
; %bb.408:
	v_cmp_ngt_f64_e64 s1, |v[205:206]|, |v[207:208]|
                                        ; implicit-def: $vgpr209_vgpr210
	s_and_saveexec_b32 s3, s1
	s_xor_b32 s1, exec_lo, s3
                                        ; implicit-def: $vgpr211_vgpr212
	s_cbranch_execz .LBB101_410
; %bb.409:
	v_div_scale_f64 v[209:210], null, v[207:208], v[207:208], v[205:206]
	v_div_scale_f64 v[215:216], vcc_lo, v[205:206], v[207:208], v[205:206]
	v_rcp_f64_e32 v[211:212], v[209:210]
	v_fma_f64 v[213:214], -v[209:210], v[211:212], 1.0
	v_fma_f64 v[211:212], v[211:212], v[213:214], v[211:212]
	v_fma_f64 v[213:214], -v[209:210], v[211:212], 1.0
	v_fma_f64 v[211:212], v[211:212], v[213:214], v[211:212]
	v_mul_f64 v[213:214], v[215:216], v[211:212]
	v_fma_f64 v[209:210], -v[209:210], v[213:214], v[215:216]
	v_div_fmas_f64 v[209:210], v[209:210], v[211:212], v[213:214]
	v_div_fixup_f64 v[209:210], v[209:210], v[207:208], v[205:206]
	v_fma_f64 v[205:206], v[205:206], v[209:210], v[207:208]
	v_div_scale_f64 v[207:208], null, v[205:206], v[205:206], 1.0
	v_rcp_f64_e32 v[211:212], v[207:208]
	v_fma_f64 v[213:214], -v[207:208], v[211:212], 1.0
	v_fma_f64 v[211:212], v[211:212], v[213:214], v[211:212]
	v_fma_f64 v[213:214], -v[207:208], v[211:212], 1.0
	v_fma_f64 v[211:212], v[211:212], v[213:214], v[211:212]
	v_div_scale_f64 v[213:214], vcc_lo, 1.0, v[205:206], 1.0
	v_mul_f64 v[215:216], v[213:214], v[211:212]
	v_fma_f64 v[207:208], -v[207:208], v[215:216], v[213:214]
	v_div_fmas_f64 v[207:208], v[207:208], v[211:212], v[215:216]
	v_div_fixup_f64 v[211:212], v[207:208], v[205:206], 1.0
                                        ; implicit-def: $vgpr205_vgpr206
	v_mul_f64 v[209:210], v[209:210], v[211:212]
	v_xor_b32_e32 v212, 0x80000000, v212
.LBB101_410:
	s_andn2_saveexec_b32 s1, s1
	s_cbranch_execz .LBB101_412
; %bb.411:
	v_div_scale_f64 v[209:210], null, v[205:206], v[205:206], v[207:208]
	v_div_scale_f64 v[215:216], vcc_lo, v[207:208], v[205:206], v[207:208]
	v_rcp_f64_e32 v[211:212], v[209:210]
	v_fma_f64 v[213:214], -v[209:210], v[211:212], 1.0
	v_fma_f64 v[211:212], v[211:212], v[213:214], v[211:212]
	v_fma_f64 v[213:214], -v[209:210], v[211:212], 1.0
	v_fma_f64 v[211:212], v[211:212], v[213:214], v[211:212]
	v_mul_f64 v[213:214], v[215:216], v[211:212]
	v_fma_f64 v[209:210], -v[209:210], v[213:214], v[215:216]
	v_div_fmas_f64 v[209:210], v[209:210], v[211:212], v[213:214]
	v_div_fixup_f64 v[211:212], v[209:210], v[205:206], v[207:208]
	v_fma_f64 v[205:206], v[207:208], v[211:212], v[205:206]
	v_div_scale_f64 v[207:208], null, v[205:206], v[205:206], 1.0
	v_rcp_f64_e32 v[209:210], v[207:208]
	v_fma_f64 v[213:214], -v[207:208], v[209:210], 1.0
	v_fma_f64 v[209:210], v[209:210], v[213:214], v[209:210]
	v_fma_f64 v[213:214], -v[207:208], v[209:210], 1.0
	v_fma_f64 v[209:210], v[209:210], v[213:214], v[209:210]
	v_div_scale_f64 v[213:214], vcc_lo, 1.0, v[205:206], 1.0
	v_mul_f64 v[215:216], v[213:214], v[209:210]
	v_fma_f64 v[207:208], -v[207:208], v[215:216], v[213:214]
	v_div_fmas_f64 v[207:208], v[207:208], v[209:210], v[215:216]
	v_div_fixup_f64 v[209:210], v[207:208], v[205:206], 1.0
	v_mul_f64 v[211:212], v[211:212], -v[209:210]
.LBB101_412:
	s_or_b32 exec_lo, exec_lo, s1
	ds_write2_b64 v255, v[209:210], v[211:212] offset1:1
.LBB101_413:
	s_or_b32 exec_lo, exec_lo, s2
	s_waitcnt lgkmcnt(0)
	s_barrier
	buffer_gl0_inv
	ds_read2_b64 v[241:244], v255 offset1:1
	s_mov_b32 s1, exec_lo
	v_cmpx_lt_u32_e32 45, v0
	s_cbranch_execz .LBB101_415
; %bb.414:
	s_waitcnt lgkmcnt(0)
	v_mul_f64 v[205:206], v[241:242], v[23:24]
	v_mul_f64 v[23:24], v[243:244], v[23:24]
	v_fma_f64 v[209:210], v[243:244], v[21:22], v[205:206]
	ds_read2_b64 v[205:208], v253 offset0:92 offset1:93
	v_fma_f64 v[21:22], v[241:242], v[21:22], -v[23:24]
	s_waitcnt lgkmcnt(0)
	v_mul_f64 v[23:24], v[207:208], v[209:210]
	v_fma_f64 v[23:24], v[205:206], v[21:22], -v[23:24]
	v_mul_f64 v[205:206], v[205:206], v[209:210]
	v_add_f64 v[17:18], v[17:18], -v[23:24]
	v_fma_f64 v[205:206], v[207:208], v[21:22], v[205:206]
	v_add_f64 v[19:20], v[19:20], -v[205:206]
	ds_read2_b64 v[205:208], v253 offset0:94 offset1:95
	s_waitcnt lgkmcnt(0)
	v_mul_f64 v[23:24], v[207:208], v[209:210]
	v_fma_f64 v[23:24], v[205:206], v[21:22], -v[23:24]
	v_mul_f64 v[205:206], v[205:206], v[209:210]
	v_add_f64 v[13:14], v[13:14], -v[23:24]
	v_fma_f64 v[205:206], v[207:208], v[21:22], v[205:206]
	v_add_f64 v[15:16], v[15:16], -v[205:206]
	ds_read2_b64 v[205:208], v253 offset0:96 offset1:97
	;; [unrolled: 8-line block ×4, first 2 shown]
	s_waitcnt lgkmcnt(0)
	v_mul_f64 v[23:24], v[207:208], v[209:210]
	v_fma_f64 v[23:24], v[205:206], v[21:22], -v[23:24]
	v_mul_f64 v[205:206], v[205:206], v[209:210]
	v_add_f64 v[1:2], v[1:2], -v[23:24]
	v_fma_f64 v[205:206], v[207:208], v[21:22], v[205:206]
	v_mov_b32_e32 v23, v209
	v_mov_b32_e32 v24, v210
	v_add_f64 v[3:4], v[3:4], -v[205:206]
.LBB101_415:
	s_or_b32 exec_lo, exec_lo, s1
	s_mov_b32 s2, exec_lo
	s_waitcnt lgkmcnt(0)
	s_barrier
	buffer_gl0_inv
	v_cmpx_eq_u32_e32 46, v0
	s_cbranch_execz .LBB101_422
; %bb.416:
	ds_write2_b64 v255, v[17:18], v[19:20] offset1:1
	ds_write2_b64 v253, v[13:14], v[15:16] offset0:94 offset1:95
	ds_write2_b64 v253, v[9:10], v[11:12] offset0:96 offset1:97
	;; [unrolled: 1-line block ×4, first 2 shown]
	ds_read2_b64 v[205:208], v255 offset1:1
	s_waitcnt lgkmcnt(0)
	v_cmp_neq_f64_e32 vcc_lo, 0, v[205:206]
	v_cmp_neq_f64_e64 s1, 0, v[207:208]
	s_or_b32 s1, vcc_lo, s1
	s_and_b32 exec_lo, exec_lo, s1
	s_cbranch_execz .LBB101_422
; %bb.417:
	v_cmp_ngt_f64_e64 s1, |v[205:206]|, |v[207:208]|
                                        ; implicit-def: $vgpr209_vgpr210
	s_and_saveexec_b32 s3, s1
	s_xor_b32 s1, exec_lo, s3
                                        ; implicit-def: $vgpr211_vgpr212
	s_cbranch_execz .LBB101_419
; %bb.418:
	v_div_scale_f64 v[209:210], null, v[207:208], v[207:208], v[205:206]
	v_div_scale_f64 v[215:216], vcc_lo, v[205:206], v[207:208], v[205:206]
	v_rcp_f64_e32 v[211:212], v[209:210]
	v_fma_f64 v[213:214], -v[209:210], v[211:212], 1.0
	v_fma_f64 v[211:212], v[211:212], v[213:214], v[211:212]
	v_fma_f64 v[213:214], -v[209:210], v[211:212], 1.0
	v_fma_f64 v[211:212], v[211:212], v[213:214], v[211:212]
	v_mul_f64 v[213:214], v[215:216], v[211:212]
	v_fma_f64 v[209:210], -v[209:210], v[213:214], v[215:216]
	v_div_fmas_f64 v[209:210], v[209:210], v[211:212], v[213:214]
	v_div_fixup_f64 v[209:210], v[209:210], v[207:208], v[205:206]
	v_fma_f64 v[205:206], v[205:206], v[209:210], v[207:208]
	v_div_scale_f64 v[207:208], null, v[205:206], v[205:206], 1.0
	v_rcp_f64_e32 v[211:212], v[207:208]
	v_fma_f64 v[213:214], -v[207:208], v[211:212], 1.0
	v_fma_f64 v[211:212], v[211:212], v[213:214], v[211:212]
	v_fma_f64 v[213:214], -v[207:208], v[211:212], 1.0
	v_fma_f64 v[211:212], v[211:212], v[213:214], v[211:212]
	v_div_scale_f64 v[213:214], vcc_lo, 1.0, v[205:206], 1.0
	v_mul_f64 v[215:216], v[213:214], v[211:212]
	v_fma_f64 v[207:208], -v[207:208], v[215:216], v[213:214]
	v_div_fmas_f64 v[207:208], v[207:208], v[211:212], v[215:216]
	v_div_fixup_f64 v[211:212], v[207:208], v[205:206], 1.0
                                        ; implicit-def: $vgpr205_vgpr206
	v_mul_f64 v[209:210], v[209:210], v[211:212]
	v_xor_b32_e32 v212, 0x80000000, v212
.LBB101_419:
	s_andn2_saveexec_b32 s1, s1
	s_cbranch_execz .LBB101_421
; %bb.420:
	v_div_scale_f64 v[209:210], null, v[205:206], v[205:206], v[207:208]
	v_div_scale_f64 v[215:216], vcc_lo, v[207:208], v[205:206], v[207:208]
	v_rcp_f64_e32 v[211:212], v[209:210]
	v_fma_f64 v[213:214], -v[209:210], v[211:212], 1.0
	v_fma_f64 v[211:212], v[211:212], v[213:214], v[211:212]
	v_fma_f64 v[213:214], -v[209:210], v[211:212], 1.0
	v_fma_f64 v[211:212], v[211:212], v[213:214], v[211:212]
	v_mul_f64 v[213:214], v[215:216], v[211:212]
	v_fma_f64 v[209:210], -v[209:210], v[213:214], v[215:216]
	v_div_fmas_f64 v[209:210], v[209:210], v[211:212], v[213:214]
	v_div_fixup_f64 v[211:212], v[209:210], v[205:206], v[207:208]
	v_fma_f64 v[205:206], v[207:208], v[211:212], v[205:206]
	v_div_scale_f64 v[207:208], null, v[205:206], v[205:206], 1.0
	v_rcp_f64_e32 v[209:210], v[207:208]
	v_fma_f64 v[213:214], -v[207:208], v[209:210], 1.0
	v_fma_f64 v[209:210], v[209:210], v[213:214], v[209:210]
	v_fma_f64 v[213:214], -v[207:208], v[209:210], 1.0
	v_fma_f64 v[209:210], v[209:210], v[213:214], v[209:210]
	v_div_scale_f64 v[213:214], vcc_lo, 1.0, v[205:206], 1.0
	v_mul_f64 v[215:216], v[213:214], v[209:210]
	v_fma_f64 v[207:208], -v[207:208], v[215:216], v[213:214]
	v_div_fmas_f64 v[207:208], v[207:208], v[209:210], v[215:216]
	v_div_fixup_f64 v[209:210], v[207:208], v[205:206], 1.0
	v_mul_f64 v[211:212], v[211:212], -v[209:210]
.LBB101_421:
	s_or_b32 exec_lo, exec_lo, s1
	ds_write2_b64 v255, v[209:210], v[211:212] offset1:1
.LBB101_422:
	s_or_b32 exec_lo, exec_lo, s2
	s_waitcnt lgkmcnt(0)
	s_barrier
	buffer_gl0_inv
	ds_read2_b64 v[245:248], v255 offset1:1
	s_mov_b32 s1, exec_lo
	v_cmpx_lt_u32_e32 46, v0
	s_cbranch_execz .LBB101_424
; %bb.423:
	s_waitcnt lgkmcnt(0)
	v_mul_f64 v[205:206], v[245:246], v[19:20]
	v_mul_f64 v[19:20], v[247:248], v[19:20]
	v_fma_f64 v[209:210], v[247:248], v[17:18], v[205:206]
	ds_read2_b64 v[205:208], v253 offset0:94 offset1:95
	v_fma_f64 v[17:18], v[245:246], v[17:18], -v[19:20]
	s_waitcnt lgkmcnt(0)
	v_mul_f64 v[19:20], v[207:208], v[209:210]
	v_fma_f64 v[19:20], v[205:206], v[17:18], -v[19:20]
	v_mul_f64 v[205:206], v[205:206], v[209:210]
	v_add_f64 v[13:14], v[13:14], -v[19:20]
	v_fma_f64 v[205:206], v[207:208], v[17:18], v[205:206]
	v_add_f64 v[15:16], v[15:16], -v[205:206]
	ds_read2_b64 v[205:208], v253 offset0:96 offset1:97
	s_waitcnt lgkmcnt(0)
	v_mul_f64 v[19:20], v[207:208], v[209:210]
	v_fma_f64 v[19:20], v[205:206], v[17:18], -v[19:20]
	v_mul_f64 v[205:206], v[205:206], v[209:210]
	v_add_f64 v[9:10], v[9:10], -v[19:20]
	v_fma_f64 v[205:206], v[207:208], v[17:18], v[205:206]
	v_add_f64 v[11:12], v[11:12], -v[205:206]
	ds_read2_b64 v[205:208], v253 offset0:98 offset1:99
	;; [unrolled: 8-line block ×3, first 2 shown]
	s_waitcnt lgkmcnt(0)
	v_mul_f64 v[19:20], v[207:208], v[209:210]
	v_fma_f64 v[19:20], v[205:206], v[17:18], -v[19:20]
	v_mul_f64 v[205:206], v[205:206], v[209:210]
	v_add_f64 v[1:2], v[1:2], -v[19:20]
	v_fma_f64 v[205:206], v[207:208], v[17:18], v[205:206]
	v_mov_b32_e32 v19, v209
	v_mov_b32_e32 v20, v210
	v_add_f64 v[3:4], v[3:4], -v[205:206]
.LBB101_424:
	s_or_b32 exec_lo, exec_lo, s1
	s_mov_b32 s2, exec_lo
	s_waitcnt lgkmcnt(0)
	s_barrier
	buffer_gl0_inv
	v_cmpx_eq_u32_e32 47, v0
	s_cbranch_execz .LBB101_431
; %bb.425:
	ds_write2_b64 v255, v[13:14], v[15:16] offset1:1
	ds_write2_b64 v253, v[9:10], v[11:12] offset0:96 offset1:97
	ds_write2_b64 v253, v[5:6], v[7:8] offset0:98 offset1:99
	;; [unrolled: 1-line block ×3, first 2 shown]
	ds_read2_b64 v[205:208], v255 offset1:1
	s_waitcnt lgkmcnt(0)
	v_cmp_neq_f64_e32 vcc_lo, 0, v[205:206]
	v_cmp_neq_f64_e64 s1, 0, v[207:208]
	s_or_b32 s1, vcc_lo, s1
	s_and_b32 exec_lo, exec_lo, s1
	s_cbranch_execz .LBB101_431
; %bb.426:
	v_cmp_ngt_f64_e64 s1, |v[205:206]|, |v[207:208]|
                                        ; implicit-def: $vgpr209_vgpr210
	s_and_saveexec_b32 s3, s1
	s_xor_b32 s1, exec_lo, s3
                                        ; implicit-def: $vgpr211_vgpr212
	s_cbranch_execz .LBB101_428
; %bb.427:
	v_div_scale_f64 v[209:210], null, v[207:208], v[207:208], v[205:206]
	v_div_scale_f64 v[215:216], vcc_lo, v[205:206], v[207:208], v[205:206]
	v_rcp_f64_e32 v[211:212], v[209:210]
	v_fma_f64 v[213:214], -v[209:210], v[211:212], 1.0
	v_fma_f64 v[211:212], v[211:212], v[213:214], v[211:212]
	v_fma_f64 v[213:214], -v[209:210], v[211:212], 1.0
	v_fma_f64 v[211:212], v[211:212], v[213:214], v[211:212]
	v_mul_f64 v[213:214], v[215:216], v[211:212]
	v_fma_f64 v[209:210], -v[209:210], v[213:214], v[215:216]
	v_div_fmas_f64 v[209:210], v[209:210], v[211:212], v[213:214]
	v_div_fixup_f64 v[209:210], v[209:210], v[207:208], v[205:206]
	v_fma_f64 v[205:206], v[205:206], v[209:210], v[207:208]
	v_div_scale_f64 v[207:208], null, v[205:206], v[205:206], 1.0
	v_rcp_f64_e32 v[211:212], v[207:208]
	v_fma_f64 v[213:214], -v[207:208], v[211:212], 1.0
	v_fma_f64 v[211:212], v[211:212], v[213:214], v[211:212]
	v_fma_f64 v[213:214], -v[207:208], v[211:212], 1.0
	v_fma_f64 v[211:212], v[211:212], v[213:214], v[211:212]
	v_div_scale_f64 v[213:214], vcc_lo, 1.0, v[205:206], 1.0
	v_mul_f64 v[215:216], v[213:214], v[211:212]
	v_fma_f64 v[207:208], -v[207:208], v[215:216], v[213:214]
	v_div_fmas_f64 v[207:208], v[207:208], v[211:212], v[215:216]
	v_div_fixup_f64 v[211:212], v[207:208], v[205:206], 1.0
                                        ; implicit-def: $vgpr205_vgpr206
	v_mul_f64 v[209:210], v[209:210], v[211:212]
	v_xor_b32_e32 v212, 0x80000000, v212
.LBB101_428:
	s_andn2_saveexec_b32 s1, s1
	s_cbranch_execz .LBB101_430
; %bb.429:
	v_div_scale_f64 v[209:210], null, v[205:206], v[205:206], v[207:208]
	v_div_scale_f64 v[215:216], vcc_lo, v[207:208], v[205:206], v[207:208]
	v_rcp_f64_e32 v[211:212], v[209:210]
	v_fma_f64 v[213:214], -v[209:210], v[211:212], 1.0
	v_fma_f64 v[211:212], v[211:212], v[213:214], v[211:212]
	v_fma_f64 v[213:214], -v[209:210], v[211:212], 1.0
	v_fma_f64 v[211:212], v[211:212], v[213:214], v[211:212]
	v_mul_f64 v[213:214], v[215:216], v[211:212]
	v_fma_f64 v[209:210], -v[209:210], v[213:214], v[215:216]
	v_div_fmas_f64 v[209:210], v[209:210], v[211:212], v[213:214]
	v_div_fixup_f64 v[211:212], v[209:210], v[205:206], v[207:208]
	v_fma_f64 v[205:206], v[207:208], v[211:212], v[205:206]
	v_div_scale_f64 v[207:208], null, v[205:206], v[205:206], 1.0
	v_rcp_f64_e32 v[209:210], v[207:208]
	v_fma_f64 v[213:214], -v[207:208], v[209:210], 1.0
	v_fma_f64 v[209:210], v[209:210], v[213:214], v[209:210]
	v_fma_f64 v[213:214], -v[207:208], v[209:210], 1.0
	v_fma_f64 v[209:210], v[209:210], v[213:214], v[209:210]
	v_div_scale_f64 v[213:214], vcc_lo, 1.0, v[205:206], 1.0
	v_mul_f64 v[215:216], v[213:214], v[209:210]
	v_fma_f64 v[207:208], -v[207:208], v[215:216], v[213:214]
	v_div_fmas_f64 v[207:208], v[207:208], v[209:210], v[215:216]
	v_div_fixup_f64 v[209:210], v[207:208], v[205:206], 1.0
	v_mul_f64 v[211:212], v[211:212], -v[209:210]
.LBB101_430:
	s_or_b32 exec_lo, exec_lo, s1
	ds_write2_b64 v255, v[209:210], v[211:212] offset1:1
.LBB101_431:
	s_or_b32 exec_lo, exec_lo, s2
	s_waitcnt lgkmcnt(0)
	s_barrier
	buffer_gl0_inv
	ds_read2_b64 v[249:252], v255 offset1:1
	s_mov_b32 s1, exec_lo
	v_cmpx_lt_u32_e32 47, v0
	s_cbranch_execz .LBB101_433
; %bb.432:
	s_waitcnt lgkmcnt(0)
	v_mul_f64 v[205:206], v[249:250], v[15:16]
	v_mul_f64 v[15:16], v[251:252], v[15:16]
	v_fma_f64 v[209:210], v[251:252], v[13:14], v[205:206]
	ds_read2_b64 v[205:208], v253 offset0:96 offset1:97
	v_fma_f64 v[13:14], v[249:250], v[13:14], -v[15:16]
	s_waitcnt lgkmcnt(0)
	v_mul_f64 v[15:16], v[207:208], v[209:210]
	v_fma_f64 v[15:16], v[205:206], v[13:14], -v[15:16]
	v_mul_f64 v[205:206], v[205:206], v[209:210]
	v_add_f64 v[9:10], v[9:10], -v[15:16]
	v_fma_f64 v[205:206], v[207:208], v[13:14], v[205:206]
	v_add_f64 v[11:12], v[11:12], -v[205:206]
	ds_read2_b64 v[205:208], v253 offset0:98 offset1:99
	s_waitcnt lgkmcnt(0)
	v_mul_f64 v[15:16], v[207:208], v[209:210]
	v_fma_f64 v[15:16], v[205:206], v[13:14], -v[15:16]
	v_mul_f64 v[205:206], v[205:206], v[209:210]
	v_add_f64 v[5:6], v[5:6], -v[15:16]
	v_fma_f64 v[205:206], v[207:208], v[13:14], v[205:206]
	v_add_f64 v[7:8], v[7:8], -v[205:206]
	ds_read2_b64 v[205:208], v253 offset0:100 offset1:101
	s_waitcnt lgkmcnt(0)
	v_mul_f64 v[15:16], v[207:208], v[209:210]
	v_fma_f64 v[15:16], v[205:206], v[13:14], -v[15:16]
	v_mul_f64 v[205:206], v[205:206], v[209:210]
	v_add_f64 v[1:2], v[1:2], -v[15:16]
	v_fma_f64 v[205:206], v[207:208], v[13:14], v[205:206]
	v_mov_b32_e32 v15, v209
	v_mov_b32_e32 v16, v210
	v_add_f64 v[3:4], v[3:4], -v[205:206]
.LBB101_433:
	s_or_b32 exec_lo, exec_lo, s1
	s_mov_b32 s2, exec_lo
	s_waitcnt lgkmcnt(0)
	s_barrier
	buffer_gl0_inv
	v_cmpx_eq_u32_e32 48, v0
	s_cbranch_execz .LBB101_440
; %bb.434:
	ds_write2_b64 v255, v[9:10], v[11:12] offset1:1
	ds_write2_b64 v253, v[5:6], v[7:8] offset0:98 offset1:99
	ds_write2_b64 v253, v[1:2], v[3:4] offset0:100 offset1:101
	ds_read2_b64 v[205:208], v255 offset1:1
	s_waitcnt lgkmcnt(0)
	v_cmp_neq_f64_e32 vcc_lo, 0, v[205:206]
	v_cmp_neq_f64_e64 s1, 0, v[207:208]
	s_or_b32 s1, vcc_lo, s1
	s_and_b32 exec_lo, exec_lo, s1
	s_cbranch_execz .LBB101_440
; %bb.435:
	v_cmp_ngt_f64_e64 s1, |v[205:206]|, |v[207:208]|
                                        ; implicit-def: $vgpr209_vgpr210
	s_and_saveexec_b32 s3, s1
	s_xor_b32 s1, exec_lo, s3
                                        ; implicit-def: $vgpr211_vgpr212
	s_cbranch_execz .LBB101_437
; %bb.436:
	v_div_scale_f64 v[209:210], null, v[207:208], v[207:208], v[205:206]
	v_div_scale_f64 v[215:216], vcc_lo, v[205:206], v[207:208], v[205:206]
	v_rcp_f64_e32 v[211:212], v[209:210]
	v_fma_f64 v[213:214], -v[209:210], v[211:212], 1.0
	v_fma_f64 v[211:212], v[211:212], v[213:214], v[211:212]
	v_fma_f64 v[213:214], -v[209:210], v[211:212], 1.0
	v_fma_f64 v[211:212], v[211:212], v[213:214], v[211:212]
	v_mul_f64 v[213:214], v[215:216], v[211:212]
	v_fma_f64 v[209:210], -v[209:210], v[213:214], v[215:216]
	v_div_fmas_f64 v[209:210], v[209:210], v[211:212], v[213:214]
	v_div_fixup_f64 v[209:210], v[209:210], v[207:208], v[205:206]
	v_fma_f64 v[205:206], v[205:206], v[209:210], v[207:208]
	v_div_scale_f64 v[207:208], null, v[205:206], v[205:206], 1.0
	v_rcp_f64_e32 v[211:212], v[207:208]
	v_fma_f64 v[213:214], -v[207:208], v[211:212], 1.0
	v_fma_f64 v[211:212], v[211:212], v[213:214], v[211:212]
	v_fma_f64 v[213:214], -v[207:208], v[211:212], 1.0
	v_fma_f64 v[211:212], v[211:212], v[213:214], v[211:212]
	v_div_scale_f64 v[213:214], vcc_lo, 1.0, v[205:206], 1.0
	v_mul_f64 v[215:216], v[213:214], v[211:212]
	v_fma_f64 v[207:208], -v[207:208], v[215:216], v[213:214]
	v_div_fmas_f64 v[207:208], v[207:208], v[211:212], v[215:216]
	v_div_fixup_f64 v[211:212], v[207:208], v[205:206], 1.0
                                        ; implicit-def: $vgpr205_vgpr206
	v_mul_f64 v[209:210], v[209:210], v[211:212]
	v_xor_b32_e32 v212, 0x80000000, v212
.LBB101_437:
	s_andn2_saveexec_b32 s1, s1
	s_cbranch_execz .LBB101_439
; %bb.438:
	v_div_scale_f64 v[209:210], null, v[205:206], v[205:206], v[207:208]
	v_div_scale_f64 v[215:216], vcc_lo, v[207:208], v[205:206], v[207:208]
	v_rcp_f64_e32 v[211:212], v[209:210]
	v_fma_f64 v[213:214], -v[209:210], v[211:212], 1.0
	v_fma_f64 v[211:212], v[211:212], v[213:214], v[211:212]
	v_fma_f64 v[213:214], -v[209:210], v[211:212], 1.0
	v_fma_f64 v[211:212], v[211:212], v[213:214], v[211:212]
	v_mul_f64 v[213:214], v[215:216], v[211:212]
	v_fma_f64 v[209:210], -v[209:210], v[213:214], v[215:216]
	v_div_fmas_f64 v[209:210], v[209:210], v[211:212], v[213:214]
	v_div_fixup_f64 v[211:212], v[209:210], v[205:206], v[207:208]
	v_fma_f64 v[205:206], v[207:208], v[211:212], v[205:206]
	v_div_scale_f64 v[207:208], null, v[205:206], v[205:206], 1.0
	v_rcp_f64_e32 v[209:210], v[207:208]
	v_fma_f64 v[213:214], -v[207:208], v[209:210], 1.0
	v_fma_f64 v[209:210], v[209:210], v[213:214], v[209:210]
	v_fma_f64 v[213:214], -v[207:208], v[209:210], 1.0
	v_fma_f64 v[209:210], v[209:210], v[213:214], v[209:210]
	v_div_scale_f64 v[213:214], vcc_lo, 1.0, v[205:206], 1.0
	v_mul_f64 v[215:216], v[213:214], v[209:210]
	v_fma_f64 v[207:208], -v[207:208], v[215:216], v[213:214]
	v_div_fmas_f64 v[207:208], v[207:208], v[209:210], v[215:216]
	v_div_fixup_f64 v[209:210], v[207:208], v[205:206], 1.0
	v_mul_f64 v[211:212], v[211:212], -v[209:210]
.LBB101_439:
	s_or_b32 exec_lo, exec_lo, s1
	ds_write2_b64 v255, v[209:210], v[211:212] offset1:1
.LBB101_440:
	s_or_b32 exec_lo, exec_lo, s2
	s_waitcnt lgkmcnt(0)
	s_barrier
	buffer_gl0_inv
	ds_read2_b64 v[205:208], v255 offset1:1
	s_mov_b32 s1, exec_lo
	v_cmpx_lt_u32_e32 48, v0
	s_cbranch_execz .LBB101_442
; %bb.441:
	s_waitcnt lgkmcnt(0)
	v_mul_f64 v[209:210], v[205:206], v[11:12]
	v_mul_f64 v[11:12], v[207:208], v[11:12]
	v_fma_f64 v[213:214], v[207:208], v[9:10], v[209:210]
	ds_read2_b64 v[209:212], v253 offset0:98 offset1:99
	v_fma_f64 v[9:10], v[205:206], v[9:10], -v[11:12]
	s_waitcnt lgkmcnt(0)
	v_mul_f64 v[11:12], v[211:212], v[213:214]
	v_fma_f64 v[11:12], v[209:210], v[9:10], -v[11:12]
	v_mul_f64 v[209:210], v[209:210], v[213:214]
	v_add_f64 v[5:6], v[5:6], -v[11:12]
	v_fma_f64 v[209:210], v[211:212], v[9:10], v[209:210]
	v_add_f64 v[7:8], v[7:8], -v[209:210]
	ds_read2_b64 v[209:212], v253 offset0:100 offset1:101
	s_waitcnt lgkmcnt(0)
	v_mul_f64 v[11:12], v[211:212], v[213:214]
	v_fma_f64 v[11:12], v[209:210], v[9:10], -v[11:12]
	v_mul_f64 v[209:210], v[209:210], v[213:214]
	v_add_f64 v[1:2], v[1:2], -v[11:12]
	v_fma_f64 v[209:210], v[211:212], v[9:10], v[209:210]
	v_mov_b32_e32 v11, v213
	v_mov_b32_e32 v12, v214
	v_add_f64 v[3:4], v[3:4], -v[209:210]
.LBB101_442:
	s_or_b32 exec_lo, exec_lo, s1
	s_mov_b32 s2, exec_lo
	s_waitcnt lgkmcnt(0)
	s_barrier
	buffer_gl0_inv
	v_cmpx_eq_u32_e32 49, v0
	s_cbranch_execz .LBB101_449
; %bb.443:
	ds_write2_b64 v255, v[5:6], v[7:8] offset1:1
	ds_write2_b64 v253, v[1:2], v[3:4] offset0:100 offset1:101
	ds_read2_b64 v[209:212], v255 offset1:1
	s_waitcnt lgkmcnt(0)
	v_cmp_neq_f64_e32 vcc_lo, 0, v[209:210]
	v_cmp_neq_f64_e64 s1, 0, v[211:212]
	s_or_b32 s1, vcc_lo, s1
	s_and_b32 exec_lo, exec_lo, s1
	s_cbranch_execz .LBB101_449
; %bb.444:
	v_cmp_ngt_f64_e64 s1, |v[209:210]|, |v[211:212]|
                                        ; implicit-def: $vgpr213_vgpr214
	s_and_saveexec_b32 s3, s1
	s_xor_b32 s1, exec_lo, s3
                                        ; implicit-def: $vgpr215_vgpr216
	s_cbranch_execz .LBB101_446
; %bb.445:
	v_div_scale_f64 v[213:214], null, v[211:212], v[211:212], v[209:210]
	v_div_scale_f64 v[219:220], vcc_lo, v[209:210], v[211:212], v[209:210]
	v_rcp_f64_e32 v[215:216], v[213:214]
	v_fma_f64 v[217:218], -v[213:214], v[215:216], 1.0
	v_fma_f64 v[215:216], v[215:216], v[217:218], v[215:216]
	v_fma_f64 v[217:218], -v[213:214], v[215:216], 1.0
	v_fma_f64 v[215:216], v[215:216], v[217:218], v[215:216]
	v_mul_f64 v[217:218], v[219:220], v[215:216]
	v_fma_f64 v[213:214], -v[213:214], v[217:218], v[219:220]
	v_div_fmas_f64 v[213:214], v[213:214], v[215:216], v[217:218]
	v_div_fixup_f64 v[213:214], v[213:214], v[211:212], v[209:210]
	v_fma_f64 v[209:210], v[209:210], v[213:214], v[211:212]
	v_div_scale_f64 v[211:212], null, v[209:210], v[209:210], 1.0
	v_rcp_f64_e32 v[215:216], v[211:212]
	v_fma_f64 v[217:218], -v[211:212], v[215:216], 1.0
	v_fma_f64 v[215:216], v[215:216], v[217:218], v[215:216]
	v_fma_f64 v[217:218], -v[211:212], v[215:216], 1.0
	v_fma_f64 v[215:216], v[215:216], v[217:218], v[215:216]
	v_div_scale_f64 v[217:218], vcc_lo, 1.0, v[209:210], 1.0
	v_mul_f64 v[219:220], v[217:218], v[215:216]
	v_fma_f64 v[211:212], -v[211:212], v[219:220], v[217:218]
	v_div_fmas_f64 v[211:212], v[211:212], v[215:216], v[219:220]
	v_div_fixup_f64 v[215:216], v[211:212], v[209:210], 1.0
                                        ; implicit-def: $vgpr209_vgpr210
	v_mul_f64 v[213:214], v[213:214], v[215:216]
	v_xor_b32_e32 v216, 0x80000000, v216
.LBB101_446:
	s_andn2_saveexec_b32 s1, s1
	s_cbranch_execz .LBB101_448
; %bb.447:
	v_div_scale_f64 v[213:214], null, v[209:210], v[209:210], v[211:212]
	v_div_scale_f64 v[219:220], vcc_lo, v[211:212], v[209:210], v[211:212]
	v_rcp_f64_e32 v[215:216], v[213:214]
	v_fma_f64 v[217:218], -v[213:214], v[215:216], 1.0
	v_fma_f64 v[215:216], v[215:216], v[217:218], v[215:216]
	v_fma_f64 v[217:218], -v[213:214], v[215:216], 1.0
	v_fma_f64 v[215:216], v[215:216], v[217:218], v[215:216]
	v_mul_f64 v[217:218], v[219:220], v[215:216]
	v_fma_f64 v[213:214], -v[213:214], v[217:218], v[219:220]
	v_div_fmas_f64 v[213:214], v[213:214], v[215:216], v[217:218]
	v_div_fixup_f64 v[215:216], v[213:214], v[209:210], v[211:212]
	v_fma_f64 v[209:210], v[211:212], v[215:216], v[209:210]
	v_div_scale_f64 v[211:212], null, v[209:210], v[209:210], 1.0
	v_rcp_f64_e32 v[213:214], v[211:212]
	v_fma_f64 v[217:218], -v[211:212], v[213:214], 1.0
	v_fma_f64 v[213:214], v[213:214], v[217:218], v[213:214]
	v_fma_f64 v[217:218], -v[211:212], v[213:214], 1.0
	v_fma_f64 v[213:214], v[213:214], v[217:218], v[213:214]
	v_div_scale_f64 v[217:218], vcc_lo, 1.0, v[209:210], 1.0
	v_mul_f64 v[219:220], v[217:218], v[213:214]
	v_fma_f64 v[211:212], -v[211:212], v[219:220], v[217:218]
	v_div_fmas_f64 v[211:212], v[211:212], v[213:214], v[219:220]
	v_div_fixup_f64 v[213:214], v[211:212], v[209:210], 1.0
	v_mul_f64 v[215:216], v[215:216], -v[213:214]
.LBB101_448:
	s_or_b32 exec_lo, exec_lo, s1
	ds_write2_b64 v255, v[213:214], v[215:216] offset1:1
.LBB101_449:
	s_or_b32 exec_lo, exec_lo, s2
	s_waitcnt lgkmcnt(0)
	s_barrier
	buffer_gl0_inv
	ds_read2_b64 v[209:212], v255 offset1:1
	s_mov_b32 s1, exec_lo
	v_cmpx_lt_u32_e32 49, v0
	s_cbranch_execz .LBB101_451
; %bb.450:
	s_waitcnt lgkmcnt(0)
	v_mul_f64 v[213:214], v[209:210], v[7:8]
	v_mul_f64 v[7:8], v[211:212], v[7:8]
	v_fma_f64 v[217:218], v[211:212], v[5:6], v[213:214]
	ds_read2_b64 v[213:216], v253 offset0:100 offset1:101
	v_fma_f64 v[5:6], v[209:210], v[5:6], -v[7:8]
	s_waitcnt lgkmcnt(0)
	v_mul_f64 v[7:8], v[215:216], v[217:218]
	v_fma_f64 v[7:8], v[213:214], v[5:6], -v[7:8]
	v_mul_f64 v[213:214], v[213:214], v[217:218]
	v_add_f64 v[1:2], v[1:2], -v[7:8]
	v_fma_f64 v[213:214], v[215:216], v[5:6], v[213:214]
	v_mov_b32_e32 v7, v217
	v_mov_b32_e32 v8, v218
	v_add_f64 v[3:4], v[3:4], -v[213:214]
.LBB101_451:
	s_or_b32 exec_lo, exec_lo, s1
	s_mov_b32 s2, exec_lo
	s_waitcnt lgkmcnt(0)
	s_barrier
	buffer_gl0_inv
	v_cmpx_eq_u32_e32 50, v0
	s_cbranch_execz .LBB101_458
; %bb.452:
	v_cmp_neq_f64_e32 vcc_lo, 0, v[1:2]
	v_cmp_neq_f64_e64 s1, 0, v[3:4]
	ds_write2_b64 v255, v[1:2], v[3:4] offset1:1
	s_or_b32 s1, vcc_lo, s1
	s_and_b32 exec_lo, exec_lo, s1
	s_cbranch_execz .LBB101_458
; %bb.453:
	v_cmp_ngt_f64_e64 s1, |v[1:2]|, |v[3:4]|
                                        ; implicit-def: $vgpr213_vgpr214
	s_and_saveexec_b32 s3, s1
	s_xor_b32 s1, exec_lo, s3
                                        ; implicit-def: $vgpr215_vgpr216
	s_cbranch_execz .LBB101_455
; %bb.454:
	v_div_scale_f64 v[213:214], null, v[3:4], v[3:4], v[1:2]
	v_div_scale_f64 v[219:220], vcc_lo, v[1:2], v[3:4], v[1:2]
	v_mov_b32_e32 v204, v200
	v_mov_b32_e32 v203, v199
	;; [unrolled: 1-line block ×18, first 2 shown]
	v_rcp_f64_e32 v[215:216], v[213:214]
	v_mov_b32_e32 v226, v182
	v_mov_b32_e32 v225, v181
	;; [unrolled: 1-line block ×18, first 2 shown]
	v_fma_f64 v[217:218], -v[213:214], v[215:216], 1.0
	v_fma_f64 v[215:216], v[215:216], v[217:218], v[215:216]
	v_fma_f64 v[217:218], -v[213:214], v[215:216], 1.0
	v_fma_f64 v[215:216], v[215:216], v[217:218], v[215:216]
	v_mul_f64 v[217:218], v[219:220], v[215:216]
	v_fma_f64 v[213:214], -v[213:214], v[217:218], v[219:220]
	v_div_fmas_f64 v[213:214], v[213:214], v[215:216], v[217:218]
	v_div_fixup_f64 v[213:214], v[213:214], v[3:4], v[1:2]
	v_fma_f64 v[215:216], v[1:2], v[213:214], v[3:4]
	v_div_scale_f64 v[217:218], null, v[215:216], v[215:216], 1.0
	v_rcp_f64_e32 v[219:220], v[217:218]
	v_fma_f64 v[253:254], -v[217:218], v[219:220], 1.0
	v_fma_f64 v[219:220], v[219:220], v[253:254], v[219:220]
	v_fma_f64 v[253:254], -v[217:218], v[219:220], 1.0
	v_fma_f64 v[219:220], v[219:220], v[253:254], v[219:220]
	v_div_scale_f64 v[253:254], vcc_lo, 1.0, v[215:216], 1.0
	v_mul_f64 v[221:222], v[253:254], v[219:220]
	v_fma_f64 v[217:218], -v[217:218], v[221:222], v[253:254]
	v_div_fmas_f64 v[217:218], v[217:218], v[219:220], v[221:222]
	v_mov_b32_e32 v224, v196
	v_mov_b32_e32 v223, v195
	;; [unrolled: 1-line block ×21, first 2 shown]
	v_div_fixup_f64 v[215:216], v[217:218], v[215:216], 1.0
	v_mov_b32_e32 v227, v179
	v_mov_b32_e32 v226, v178
	;; [unrolled: 1-line block ×15, first 2 shown]
	v_mul_f64 v[213:214], v[213:214], v[215:216]
	v_xor_b32_e32 v216, 0x80000000, v216
.LBB101_455:
	s_andn2_saveexec_b32 s1, s1
	s_cbranch_execz .LBB101_457
; %bb.456:
	v_div_scale_f64 v[213:214], null, v[1:2], v[1:2], v[3:4]
	v_div_scale_f64 v[219:220], vcc_lo, v[3:4], v[1:2], v[3:4]
	v_mov_b32_e32 v204, v200
	v_mov_b32_e32 v203, v199
	;; [unrolled: 1-line block ×18, first 2 shown]
	v_rcp_f64_e32 v[215:216], v[213:214]
	v_mov_b32_e32 v226, v182
	v_mov_b32_e32 v225, v181
	;; [unrolled: 1-line block ×18, first 2 shown]
	v_fma_f64 v[217:218], -v[213:214], v[215:216], 1.0
	v_fma_f64 v[215:216], v[215:216], v[217:218], v[215:216]
	v_fma_f64 v[217:218], -v[213:214], v[215:216], 1.0
	v_fma_f64 v[215:216], v[215:216], v[217:218], v[215:216]
	v_mul_f64 v[217:218], v[219:220], v[215:216]
	v_fma_f64 v[213:214], -v[213:214], v[217:218], v[219:220]
	v_div_fmas_f64 v[213:214], v[213:214], v[215:216], v[217:218]
	v_div_fixup_f64 v[215:216], v[213:214], v[1:2], v[3:4]
	v_fma_f64 v[213:214], v[3:4], v[215:216], v[1:2]
	v_div_scale_f64 v[217:218], null, v[213:214], v[213:214], 1.0
	v_rcp_f64_e32 v[219:220], v[217:218]
	v_fma_f64 v[221:222], -v[217:218], v[219:220], 1.0
	v_fma_f64 v[219:220], v[219:220], v[221:222], v[219:220]
	v_fma_f64 v[221:222], -v[217:218], v[219:220], 1.0
	v_fma_f64 v[219:220], v[219:220], v[221:222], v[219:220]
	v_div_scale_f64 v[221:222], vcc_lo, 1.0, v[213:214], 1.0
	v_mul_f64 v[223:224], v[221:222], v[219:220]
	v_fma_f64 v[217:218], -v[217:218], v[223:224], v[221:222]
	v_div_fmas_f64 v[217:218], v[217:218], v[219:220], v[223:224]
	v_mov_b32_e32 v224, v196
	v_mov_b32_e32 v223, v195
	;; [unrolled: 1-line block ×21, first 2 shown]
	v_div_fixup_f64 v[213:214], v[217:218], v[213:214], 1.0
	v_mov_b32_e32 v227, v179
	v_mov_b32_e32 v226, v178
	;; [unrolled: 1-line block ×15, first 2 shown]
	v_mul_f64 v[215:216], v[215:216], -v[213:214]
.LBB101_457:
	s_or_b32 exec_lo, exec_lo, s1
	ds_write2_b64 v255, v[213:214], v[215:216] offset1:1
.LBB101_458:
	s_or_b32 exec_lo, exec_lo, s2
	s_waitcnt lgkmcnt(0)
	s_barrier
	buffer_gl0_inv
	ds_read2_b64 v[213:216], v255 offset1:1
	s_mov_b32 s1, exec_lo
	v_cmpx_lt_u32_e32 50, v0
	s_cbranch_execz .LBB101_460
; %bb.459:
	s_waitcnt lgkmcnt(0)
	v_mul_f64 v[217:218], v[215:216], v[3:4]
	v_mul_f64 v[3:4], v[213:214], v[3:4]
	v_fma_f64 v[217:218], v[213:214], v[1:2], -v[217:218]
	v_fma_f64 v[3:4], v[215:216], v[1:2], v[3:4]
	v_mov_b32_e32 v1, v217
	v_mov_b32_e32 v2, v218
.LBB101_460:
	s_or_b32 exec_lo, exec_lo, s1
	v_mov_b32_e32 v204, v176
	v_mov_b32_e32 v203, v175
	;; [unrolled: 1-line block ×4, first 2 shown]
	s_waitcnt lgkmcnt(0)
	s_barrier
	buffer_gl0_inv
	s_and_saveexec_b32 s6, s0
	s_cbranch_execz .LBB101_463
; %bb.461:
	v_mov_b32_e32 v220, v180
	v_mov_b32_e32 v219, v179
	;; [unrolled: 1-line block ×32, first 2 shown]
	s_clause 0x7
	buffer_load_dword v197, off, s[16:19], 0 offset:456
	buffer_load_dword v198, off, s[16:19], 0 offset:460
	buffer_load_dword v199, off, s[16:19], 0 offset:464
	buffer_load_dword v200, off, s[16:19], 0 offset:468
	buffer_load_dword v221, off, s[16:19], 0 offset:400
	buffer_load_dword v222, off, s[16:19], 0 offset:404
	buffer_load_dword v223, off, s[16:19], 0 offset:408
	buffer_load_dword v224, off, s[16:19], 0 offset:412
	v_cmp_eq_f64_e64 s3, 0, v[193:194]
	v_cmp_eq_f64_e64 s4, 0, v[195:196]
	;; [unrolled: 1-line block ×3, first 2 shown]
	v_mov_b32_e32 v196, v192
	v_mov_b32_e32 v195, v191
	;; [unrolled: 1-line block ×16, first 2 shown]
	s_and_b32 s3, s3, s4
	s_waitcnt vmcnt(6)
	v_cmp_neq_f64_e64 s1, 0, v[197:198]
	s_waitcnt vmcnt(4)
	v_cmp_neq_f64_e64 s2, 0, v[199:200]
	s_waitcnt vmcnt(2)
	v_cmp_eq_f64_e32 vcc_lo, 0, v[221:222]
	s_waitcnt vmcnt(0)
	v_cmp_eq_f64_e64 s0, 0, v[223:224]
	s_or_b32 s1, s1, s2
	v_cmp_eq_f64_e64 s2, 0, v[175:176]
	s_and_b32 s0, vcc_lo, s0
	v_cmp_eq_f64_e32 vcc_lo, 0, v[179:180]
	v_cndmask_b32_e64 v0, 0, 1, s0
	s_or_b32 s0, s1, s0
	v_cmp_eq_f64_e64 s1, 0, v[173:174]
	s_clause 0x3
	buffer_load_dword v173, off, s[16:19], 0 offset:472
	buffer_load_dword v174, off, s[16:19], 0 offset:476
	;; [unrolled: 1-line block ×4, first 2 shown]
	v_mov_b32_e32 v177, v217
	v_cndmask_b32_e64 v0, 2, v0, s0
	v_mov_b32_e32 v178, v218
	v_mov_b32_e32 v179, v219
	v_mov_b32_e32 v180, v220
	v_cmp_eq_u32_e64 s0, 0, v0
	s_and_b32 s0, s3, s0
	v_cndmask_b32_e64 v0, v0, 3, s0
	s_and_b32 s5, s5, vcc_lo
	v_cmp_eq_u32_e64 s0, 0, v0
	s_and_b32 s1, s1, s2
	s_and_b32 s0, s5, s0
	v_cndmask_b32_e64 v0, v0, 4, s0
	v_cmp_eq_u32_e32 vcc_lo, 0, v0
	s_and_b32 s1, s1, vcc_lo
	v_cndmask_b32_e64 v0, v0, 5, s1
	v_cmp_eq_u32_e32 vcc_lo, 0, v0
	s_waitcnt vmcnt(2)
	v_cmp_eq_f64_e64 s3, 0, v[173:174]
	s_waitcnt vmcnt(0)
	v_cmp_eq_f64_e64 s4, 0, v[175:176]
	s_clause 0x3
	buffer_load_dword v173, off, s[16:19], 0 offset:488
	buffer_load_dword v174, off, s[16:19], 0 offset:492
	buffer_load_dword v175, off, s[16:19], 0 offset:496
	buffer_load_dword v176, off, s[16:19], 0 offset:500
	s_and_b32 s3, s3, s4
	s_and_b32 s3, s3, vcc_lo
	v_cndmask_b32_e64 v0, v0, 6, s3
	v_cmp_eq_u32_e32 vcc_lo, 0, v0
	s_waitcnt vmcnt(2)
	v_cmp_eq_f64_e64 s0, 0, v[173:174]
	s_waitcnt vmcnt(0)
	v_cmp_eq_f64_e64 s5, 0, v[175:176]
	s_clause 0x3
	buffer_load_dword v173, off, s[16:19], 0 offset:504
	buffer_load_dword v174, off, s[16:19], 0 offset:508
	buffer_load_dword v175, off, s[16:19], 0 offset:512
	buffer_load_dword v176, off, s[16:19], 0 offset:516
	s_and_b32 s0, s0, s5
	s_and_b32 s0, s0, vcc_lo
	v_cndmask_b32_e64 v0, v0, 7, s0
	v_cmp_eq_u32_e32 vcc_lo, 0, v0
	s_waitcnt vmcnt(2)
	v_cmp_eq_f64_e64 s1, 0, v[173:174]
	s_waitcnt vmcnt(0)
	v_cmp_eq_f64_e64 s2, 0, v[175:176]
	s_clause 0x3
	buffer_load_dword v173, off, s[16:19], 0 offset:520
	buffer_load_dword v174, off, s[16:19], 0 offset:524
	buffer_load_dword v175, off, s[16:19], 0 offset:528
	buffer_load_dword v176, off, s[16:19], 0 offset:532
	s_and_b32 s1, s1, s2
	s_and_b32 s1, s1, vcc_lo
	v_cndmask_b32_e64 v0, v0, 8, s1
	v_cmp_eq_u32_e32 vcc_lo, 0, v0
	s_waitcnt vmcnt(2)
	v_cmp_eq_f64_e64 s3, 0, v[173:174]
	s_waitcnt vmcnt(0)
	v_cmp_eq_f64_e64 s4, 0, v[175:176]
	s_clause 0x3
	buffer_load_dword v173, off, s[16:19], 0 offset:536
	buffer_load_dword v174, off, s[16:19], 0 offset:540
	buffer_load_dword v175, off, s[16:19], 0 offset:544
	buffer_load_dword v176, off, s[16:19], 0 offset:548
	s_and_b32 s3, s3, s4
	s_and_b32 s3, s3, vcc_lo
	v_cndmask_b32_e64 v0, v0, 9, s3
	v_cmp_eq_u32_e32 vcc_lo, 0, v0
	s_waitcnt vmcnt(2)
	v_cmp_eq_f64_e64 s0, 0, v[173:174]
	s_waitcnt vmcnt(0)
	v_cmp_eq_f64_e64 s5, 0, v[175:176]
	s_clause 0x3
	buffer_load_dword v173, off, s[16:19], 0 offset:552
	buffer_load_dword v174, off, s[16:19], 0 offset:556
	buffer_load_dword v175, off, s[16:19], 0 offset:560
	buffer_load_dword v176, off, s[16:19], 0 offset:564
	s_and_b32 s0, s0, s5
	s_and_b32 s0, s0, vcc_lo
	v_cndmask_b32_e64 v0, v0, 10, s0
	v_cmp_eq_u32_e32 vcc_lo, 0, v0
	s_waitcnt vmcnt(2)
	v_cmp_eq_f64_e64 s1, 0, v[173:174]
	s_waitcnt vmcnt(0)
	v_cmp_eq_f64_e64 s2, 0, v[175:176]
	s_clause 0x3
	buffer_load_dword v173, off, s[16:19], 0 offset:568
	buffer_load_dword v174, off, s[16:19], 0 offset:572
	buffer_load_dword v175, off, s[16:19], 0 offset:576
	buffer_load_dword v176, off, s[16:19], 0 offset:580
	s_and_b32 s1, s1, s2
	s_and_b32 s1, s1, vcc_lo
	v_cndmask_b32_e64 v0, v0, 11, s1
	v_cmp_eq_u32_e32 vcc_lo, 0, v0
	s_waitcnt vmcnt(2)
	v_cmp_eq_f64_e64 s3, 0, v[173:174]
	s_waitcnt vmcnt(0)
	v_cmp_eq_f64_e64 s4, 0, v[175:176]
	s_clause 0x3
	buffer_load_dword v173, off, s[16:19], 0 offset:584
	buffer_load_dword v174, off, s[16:19], 0 offset:588
	buffer_load_dword v175, off, s[16:19], 0 offset:592
	buffer_load_dword v176, off, s[16:19], 0 offset:596
	s_and_b32 s3, s3, s4
	s_and_b32 s3, s3, vcc_lo
	v_cndmask_b32_e64 v0, v0, 12, s3
	v_cmp_eq_u32_e32 vcc_lo, 0, v0
	s_waitcnt vmcnt(2)
	v_cmp_eq_f64_e64 s0, 0, v[173:174]
	s_waitcnt vmcnt(0)
	v_cmp_eq_f64_e64 s5, 0, v[175:176]
	s_clause 0x3
	buffer_load_dword v173, off, s[16:19], 0 offset:600
	buffer_load_dword v174, off, s[16:19], 0 offset:604
	buffer_load_dword v175, off, s[16:19], 0 offset:608
	buffer_load_dword v176, off, s[16:19], 0 offset:612
	s_and_b32 s0, s0, s5
	s_and_b32 s0, s0, vcc_lo
	v_cndmask_b32_e64 v0, v0, 13, s0
	v_cmp_eq_u32_e32 vcc_lo, 0, v0
	s_waitcnt vmcnt(2)
	v_cmp_eq_f64_e64 s1, 0, v[173:174]
	s_waitcnt vmcnt(0)
	v_cmp_eq_f64_e64 s2, 0, v[175:176]
	s_clause 0x3
	buffer_load_dword v173, off, s[16:19], 0 offset:616
	buffer_load_dword v174, off, s[16:19], 0 offset:620
	buffer_load_dword v175, off, s[16:19], 0 offset:624
	buffer_load_dword v176, off, s[16:19], 0 offset:628
	s_and_b32 s1, s1, s2
	s_and_b32 s1, s1, vcc_lo
	v_cndmask_b32_e64 v0, v0, 14, s1
	v_cmp_eq_u32_e32 vcc_lo, 0, v0
	s_waitcnt vmcnt(2)
	v_cmp_eq_f64_e64 s3, 0, v[173:174]
	s_waitcnt vmcnt(0)
	v_cmp_eq_f64_e64 s4, 0, v[175:176]
	s_clause 0x3
	buffer_load_dword v173, off, s[16:19], 0 offset:632
	buffer_load_dword v174, off, s[16:19], 0 offset:636
	buffer_load_dword v175, off, s[16:19], 0 offset:640
	buffer_load_dword v176, off, s[16:19], 0 offset:644
	s_and_b32 s3, s3, s4
	s_and_b32 s3, s3, vcc_lo
	v_cndmask_b32_e64 v0, v0, 15, s3
	v_cmp_eq_u32_e32 vcc_lo, 0, v0
	s_waitcnt vmcnt(2)
	v_cmp_eq_f64_e64 s0, 0, v[173:174]
	s_waitcnt vmcnt(0)
	v_cmp_eq_f64_e64 s5, 0, v[175:176]
	s_clause 0x3
	buffer_load_dword v173, off, s[16:19], 0 offset:648
	buffer_load_dword v174, off, s[16:19], 0 offset:652
	buffer_load_dword v175, off, s[16:19], 0 offset:656
	buffer_load_dword v176, off, s[16:19], 0 offset:660
	s_and_b32 s0, s0, s5
	s_and_b32 s0, s0, vcc_lo
	v_cndmask_b32_e64 v0, v0, 16, s0
	v_cmp_eq_u32_e32 vcc_lo, 0, v0
	s_waitcnt vmcnt(2)
	v_cmp_eq_f64_e64 s1, 0, v[173:174]
	s_waitcnt vmcnt(0)
	v_cmp_eq_f64_e64 s2, 0, v[175:176]
	s_clause 0x3
	buffer_load_dword v173, off, s[16:19], 0 offset:664
	buffer_load_dword v174, off, s[16:19], 0 offset:668
	buffer_load_dword v175, off, s[16:19], 0 offset:672
	buffer_load_dword v176, off, s[16:19], 0 offset:676
	s_and_b32 s1, s1, s2
	s_and_b32 s1, s1, vcc_lo
	v_cndmask_b32_e64 v0, v0, 17, s1
	v_cmp_eq_u32_e32 vcc_lo, 0, v0
	s_waitcnt vmcnt(2)
	v_cmp_eq_f64_e64 s3, 0, v[173:174]
	s_waitcnt vmcnt(0)
	v_cmp_eq_f64_e64 s4, 0, v[175:176]
	s_clause 0x3
	buffer_load_dword v173, off, s[16:19], 0 offset:680
	buffer_load_dword v174, off, s[16:19], 0 offset:684
	buffer_load_dword v175, off, s[16:19], 0 offset:688
	buffer_load_dword v176, off, s[16:19], 0 offset:692
	s_and_b32 s3, s3, s4
	s_and_b32 s3, s3, vcc_lo
	v_cndmask_b32_e64 v0, v0, 18, s3
	v_cmp_eq_u32_e32 vcc_lo, 0, v0
	s_waitcnt vmcnt(2)
	v_cmp_eq_f64_e64 s0, 0, v[173:174]
	s_waitcnt vmcnt(0)
	v_cmp_eq_f64_e64 s5, 0, v[175:176]
	s_clause 0x3
	buffer_load_dword v173, off, s[16:19], 0 offset:696
	buffer_load_dword v174, off, s[16:19], 0 offset:700
	buffer_load_dword v175, off, s[16:19], 0 offset:704
	buffer_load_dword v176, off, s[16:19], 0 offset:708
	s_and_b32 s0, s0, s5
	s_and_b32 s0, s0, vcc_lo
	v_cndmask_b32_e64 v0, v0, 19, s0
	v_cmp_eq_u32_e64 s5, 0, v0
	s_waitcnt vmcnt(2)
	v_cmp_eq_f64_e64 s1, 0, v[173:174]
	s_waitcnt vmcnt(0)
	v_cmp_eq_f64_e64 s2, 0, v[175:176]
	s_clause 0x3
	buffer_load_dword v173, off, s[16:19], 0 offset:712
	buffer_load_dword v174, off, s[16:19], 0 offset:716
	;; [unrolled: 1-line block ×4, first 2 shown]
	s_and_b32 s1, s1, s2
	s_and_b32 s1, s1, s5
	v_cndmask_b32_e64 v0, v0, 20, s1
	v_cmp_eq_u32_e64 s1, 0, v0
	s_waitcnt vmcnt(2)
	v_cmp_eq_f64_e64 s3, 0, v[173:174]
	s_waitcnt vmcnt(0)
	v_cmp_eq_f64_e64 s4, 0, v[175:176]
	s_clause 0x3
	buffer_load_dword v173, off, s[16:19], 0 offset:728
	buffer_load_dword v174, off, s[16:19], 0 offset:732
	;; [unrolled: 1-line block ×4, first 2 shown]
	s_and_b32 s3, s3, s4
	s_and_b32 s1, s3, s1
	v_cndmask_b32_e64 v0, v0, 21, s1
	s_waitcnt vmcnt(2)
	v_cmp_eq_f64_e32 vcc_lo, 0, v[173:174]
	s_waitcnt vmcnt(0)
	v_cmp_eq_f64_e64 s0, 0, v[175:176]
	s_clause 0x5
	buffer_load_dword v173, off, s[16:19], 0 offset:744
	buffer_load_dword v174, off, s[16:19], 0 offset:748
	;; [unrolled: 1-line block ×6, first 2 shown]
	s_and_b32 s4, vcc_lo, s0
	v_cmp_eq_u32_e32 vcc_lo, 0, v0
	s_waitcnt vmcnt(4)
	v_cmp_eq_f64_e64 s2, 0, v[173:174]
	s_waitcnt vmcnt(2)
	v_cmp_eq_f64_e64 s5, 0, v[175:176]
	s_clause 0x3
	buffer_load_dword v173, off, s[16:19], 0 offset:760
	buffer_load_dword v174, off, s[16:19], 0 offset:764
	buffer_load_dword v175, off, s[16:19], 0 offset:768
	buffer_load_dword v176, off, s[16:19], 0 offset:772
	s_waitcnt vmcnt(4)
	v_lshlrev_b64 v[217:218], 2, v[197:198]
	v_add_co_u32 v253, s0, s10, v217
	v_add_co_ci_u32_e64 v254, null, s11, v218, s0
	s_and_b32 s0, s4, vcc_lo
	v_cndmask_b32_e64 v0, v0, 22, s0
	global_load_dword v217, v[253:254], off
	v_cmp_eq_u32_e32 vcc_lo, 0, v0
	s_and_b32 s2, s2, s5
	s_and_b32 s2, s2, vcc_lo
	v_cndmask_b32_e64 v0, v0, 23, s2
	v_cmp_eq_u32_e32 vcc_lo, 0, v0
	s_waitcnt vmcnt(3)
	v_cmp_eq_f64_e64 s1, 0, v[173:174]
	s_waitcnt vmcnt(1)
	v_cmp_eq_f64_e64 s3, 0, v[175:176]
	s_clause 0x3
	buffer_load_dword v173, off, s[16:19], 0 offset:776
	buffer_load_dword v174, off, s[16:19], 0 offset:780
	buffer_load_dword v175, off, s[16:19], 0 offset:784
	buffer_load_dword v176, off, s[16:19], 0 offset:788
	s_and_b32 s1, s1, s3
	s_and_b32 s1, s1, vcc_lo
	v_cndmask_b32_e64 v0, v0, 24, s1
	v_cmp_eq_u32_e32 vcc_lo, 0, v0
	s_waitcnt vmcnt(2)
	v_cmp_eq_f64_e64 s0, 0, v[173:174]
	s_waitcnt vmcnt(0)
	v_cmp_eq_f64_e64 s4, 0, v[175:176]
	s_clause 0x3
	buffer_load_dword v173, off, s[16:19], 0 offset:792
	buffer_load_dword v174, off, s[16:19], 0 offset:796
	buffer_load_dword v175, off, s[16:19], 0 offset:800
	buffer_load_dword v176, off, s[16:19], 0 offset:804
	;; [unrolled: 13-line block ×17, first 2 shown]
	s_and_b32 s0, s0, s4
	v_cmp_eq_f64_e64 s4, 0, v[231:232]
	s_and_b32 s0, s0, vcc_lo
	v_cndmask_b32_e64 v0, v0, 40, s0
	v_cmp_eq_f64_e64 s0, 0, v[229:230]
	v_cmp_eq_u32_e32 vcc_lo, 0, v0
	s_and_b32 s0, s0, s4
	v_cmp_eq_f64_e64 s4, 0, v[243:244]
	s_waitcnt vmcnt(2)
	v_cmp_eq_f64_e64 s2, 0, v[173:174]
	s_waitcnt vmcnt(0)
	v_cmp_eq_f64_e64 s5, 0, v[175:176]
	s_clause 0x3
	buffer_load_dword v173, off, s[16:19], 0 offset:1048
	buffer_load_dword v174, off, s[16:19], 0 offset:1052
	;; [unrolled: 1-line block ×4, first 2 shown]
	s_and_b32 s2, s2, s5
	v_cmp_eq_f64_e64 s5, 0, v[235:236]
	s_and_b32 s2, s2, vcc_lo
	v_cndmask_b32_e64 v0, v0, 41, s2
	v_cmp_eq_f64_e64 s2, 0, v[233:234]
	v_cmp_eq_u32_e32 vcc_lo, 0, v0
	s_and_b32 s2, s2, s5
	v_cmp_eq_f64_e64 s5, 0, v[247:248]
	s_waitcnt vmcnt(2)
	v_cmp_eq_f64_e64 s1, 0, v[173:174]
	s_waitcnt vmcnt(0)
	v_cmp_eq_f64_e64 s3, 0, v[175:176]
	s_and_b32 s1, s1, s3
	v_cmp_eq_f64_e64 s3, 0, v[239:240]
	s_and_b32 s1, s1, vcc_lo
	v_cndmask_b32_e64 v0, v0, 42, s1
	v_cmp_eq_f64_e64 s1, 0, v[237:238]
	v_cmp_eq_u32_e32 vcc_lo, 0, v0
	s_and_b32 s0, s0, vcc_lo
	v_cndmask_b32_e64 v0, v0, 43, s0
	v_cmp_eq_f64_e64 s0, 0, v[241:242]
	v_cmp_eq_u32_e32 vcc_lo, 0, v0
	s_and_b32 s2, s2, vcc_lo
	s_and_b32 s1, s1, s3
	v_cndmask_b32_e64 v0, v0, 44, s2
	v_cmp_eq_f64_e64 s2, 0, v[245:246]
	v_cmp_eq_f64_e64 s3, 0, v[251:252]
	v_cmp_eq_u32_e32 vcc_lo, 0, v0
	s_and_b32 s1, s1, vcc_lo
	s_and_b32 s0, s0, s4
	v_cndmask_b32_e64 v0, v0, 45, s1
	v_cmp_eq_f64_e64 s1, 0, v[249:250]
	v_cmp_eq_f64_e64 s4, 0, v[207:208]
	v_cmp_eq_u32_e32 vcc_lo, 0, v0
	s_and_b32 s0, s0, vcc_lo
	s_and_b32 s2, s2, s5
	v_cndmask_b32_e64 v0, v0, 46, s0
	v_cmp_eq_f64_e64 s0, 0, v[205:206]
	v_cmp_eq_f64_e64 s5, 0, v[211:212]
	v_cmp_eq_u32_e32 vcc_lo, 0, v0
	s_and_b32 s2, s2, vcc_lo
	s_and_b32 s1, s1, s3
	v_cndmask_b32_e64 v0, v0, 47, s2
	v_cmp_eq_f64_e64 s2, 0, v[209:210]
	v_cmp_eq_f64_e64 s3, 0, v[215:216]
	v_cmp_eq_u32_e32 vcc_lo, 0, v0
	s_and_b32 s1, s1, vcc_lo
	s_and_b32 s0, s0, s4
	v_cndmask_b32_e64 v0, v0, 48, s1
	v_cmp_eq_f64_e64 s1, 0, v[213:214]
	v_cmp_eq_u32_e32 vcc_lo, 0, v0
	s_and_b32 s0, s0, vcc_lo
	v_cndmask_b32_e64 v0, v0, 49, s0
	s_and_b32 s0, s2, s5
	v_cmp_eq_u32_e32 vcc_lo, 0, v0
	s_and_b32 s0, s0, vcc_lo
	v_cndmask_b32_e64 v0, v0, 50, s0
	s_and_b32 s0, s1, s3
	v_cmp_eq_u32_e32 vcc_lo, 0, v0
	s_and_b32 s0, s0, vcc_lo
	v_cmp_eq_u32_e32 vcc_lo, 0, v217
	v_cndmask_b32_e64 v0, v0, 51, s0
	v_cmp_ne_u32_e64 s0, 0, v0
	s_and_b32 s0, vcc_lo, s0
	s_and_b32 exec_lo, exec_lo, s0
	s_cbranch_execz .LBB101_463
; %bb.462:
	v_add_nc_u32_e32 v0, s13, v0
	global_store_dword v[253:254], v0, off
.LBB101_463:
	s_or_b32 exec_lo, exec_lo, s6
	s_clause 0x5
	buffer_load_dword v197, off, s[16:19], 0 offset:384
	buffer_load_dword v198, off, s[16:19], 0 offset:388
	;; [unrolled: 1-line block ×6, first 2 shown]
	s_waitcnt vmcnt(0)
	global_store_dwordx4 v[197:198], v[205:208], off
	s_clause 0x5
	buffer_load_dword v197, off, s[16:19], 0 offset:392
	buffer_load_dword v198, off, s[16:19], 0 offset:396
	buffer_load_dword v205, off, s[16:19], 0
	buffer_load_dword v206, off, s[16:19], 0 offset:4
	buffer_load_dword v207, off, s[16:19], 0 offset:8
	;; [unrolled: 1-line block ×3, first 2 shown]
	s_waitcnt vmcnt(0)
	global_store_dwordx4 v[197:198], v[205:208], off
	s_clause 0x1
	buffer_load_dword v197, off, s[16:19], 0 offset:40
	buffer_load_dword v198, off, s[16:19], 0 offset:44
	s_waitcnt vmcnt(0)
	global_store_dwordx4 v[197:198], v[193:196], off
	s_clause 0x1
	buffer_load_dword v193, off, s[16:19], 0 offset:424
	buffer_load_dword v194, off, s[16:19], 0 offset:428
	;; [unrolled: 5-line block ×49, first 2 shown]
	s_waitcnt vmcnt(0)
	global_store_dwordx4 v[5:6], v[1:4], off
.LBB101_464:
	s_endpgm
	.section	.rodata,"a",@progbits
	.p2align	6, 0x0
	.amdhsa_kernel _ZN9rocsolver6v33100L23getf2_npvt_small_kernelILi51E19rocblas_complex_numIdEiiPS3_EEvT1_T3_lS5_lPT2_S5_S5_
		.amdhsa_group_segment_fixed_size 0
		.amdhsa_private_segment_fixed_size 1076
		.amdhsa_kernarg_size 312
		.amdhsa_user_sgpr_count 6
		.amdhsa_user_sgpr_private_segment_buffer 1
		.amdhsa_user_sgpr_dispatch_ptr 0
		.amdhsa_user_sgpr_queue_ptr 0
		.amdhsa_user_sgpr_kernarg_segment_ptr 1
		.amdhsa_user_sgpr_dispatch_id 0
		.amdhsa_user_sgpr_flat_scratch_init 0
		.amdhsa_user_sgpr_private_segment_size 0
		.amdhsa_wavefront_size32 1
		.amdhsa_uses_dynamic_stack 0
		.amdhsa_system_sgpr_private_segment_wavefront_offset 1
		.amdhsa_system_sgpr_workgroup_id_x 1
		.amdhsa_system_sgpr_workgroup_id_y 1
		.amdhsa_system_sgpr_workgroup_id_z 0
		.amdhsa_system_sgpr_workgroup_info 0
		.amdhsa_system_vgpr_workitem_id 1
		.amdhsa_next_free_vgpr 256
		.amdhsa_next_free_sgpr 20
		.amdhsa_reserve_vcc 1
		.amdhsa_reserve_flat_scratch 0
		.amdhsa_float_round_mode_32 0
		.amdhsa_float_round_mode_16_64 0
		.amdhsa_float_denorm_mode_32 3
		.amdhsa_float_denorm_mode_16_64 3
		.amdhsa_dx10_clamp 1
		.amdhsa_ieee_mode 1
		.amdhsa_fp16_overflow 0
		.amdhsa_workgroup_processor_mode 1
		.amdhsa_memory_ordered 1
		.amdhsa_forward_progress 1
		.amdhsa_shared_vgpr_count 0
		.amdhsa_exception_fp_ieee_invalid_op 0
		.amdhsa_exception_fp_denorm_src 0
		.amdhsa_exception_fp_ieee_div_zero 0
		.amdhsa_exception_fp_ieee_overflow 0
		.amdhsa_exception_fp_ieee_underflow 0
		.amdhsa_exception_fp_ieee_inexact 0
		.amdhsa_exception_int_div_zero 0
	.end_amdhsa_kernel
	.section	.text._ZN9rocsolver6v33100L23getf2_npvt_small_kernelILi51E19rocblas_complex_numIdEiiPS3_EEvT1_T3_lS5_lPT2_S5_S5_,"axG",@progbits,_ZN9rocsolver6v33100L23getf2_npvt_small_kernelILi51E19rocblas_complex_numIdEiiPS3_EEvT1_T3_lS5_lPT2_S5_S5_,comdat
.Lfunc_end101:
	.size	_ZN9rocsolver6v33100L23getf2_npvt_small_kernelILi51E19rocblas_complex_numIdEiiPS3_EEvT1_T3_lS5_lPT2_S5_S5_, .Lfunc_end101-_ZN9rocsolver6v33100L23getf2_npvt_small_kernelILi51E19rocblas_complex_numIdEiiPS3_EEvT1_T3_lS5_lPT2_S5_S5_
                                        ; -- End function
	.set _ZN9rocsolver6v33100L23getf2_npvt_small_kernelILi51E19rocblas_complex_numIdEiiPS3_EEvT1_T3_lS5_lPT2_S5_S5_.num_vgpr, 256
	.set _ZN9rocsolver6v33100L23getf2_npvt_small_kernelILi51E19rocblas_complex_numIdEiiPS3_EEvT1_T3_lS5_lPT2_S5_S5_.num_agpr, 0
	.set _ZN9rocsolver6v33100L23getf2_npvt_small_kernelILi51E19rocblas_complex_numIdEiiPS3_EEvT1_T3_lS5_lPT2_S5_S5_.numbered_sgpr, 20
	.set _ZN9rocsolver6v33100L23getf2_npvt_small_kernelILi51E19rocblas_complex_numIdEiiPS3_EEvT1_T3_lS5_lPT2_S5_S5_.num_named_barrier, 0
	.set _ZN9rocsolver6v33100L23getf2_npvt_small_kernelILi51E19rocblas_complex_numIdEiiPS3_EEvT1_T3_lS5_lPT2_S5_S5_.private_seg_size, 1076
	.set _ZN9rocsolver6v33100L23getf2_npvt_small_kernelILi51E19rocblas_complex_numIdEiiPS3_EEvT1_T3_lS5_lPT2_S5_S5_.uses_vcc, 1
	.set _ZN9rocsolver6v33100L23getf2_npvt_small_kernelILi51E19rocblas_complex_numIdEiiPS3_EEvT1_T3_lS5_lPT2_S5_S5_.uses_flat_scratch, 0
	.set _ZN9rocsolver6v33100L23getf2_npvt_small_kernelILi51E19rocblas_complex_numIdEiiPS3_EEvT1_T3_lS5_lPT2_S5_S5_.has_dyn_sized_stack, 0
	.set _ZN9rocsolver6v33100L23getf2_npvt_small_kernelILi51E19rocblas_complex_numIdEiiPS3_EEvT1_T3_lS5_lPT2_S5_S5_.has_recursion, 0
	.set _ZN9rocsolver6v33100L23getf2_npvt_small_kernelILi51E19rocblas_complex_numIdEiiPS3_EEvT1_T3_lS5_lPT2_S5_S5_.has_indirect_call, 0
	.section	.AMDGPU.csdata,"",@progbits
; Kernel info:
; codeLenInByte = 128520
; TotalNumSgprs: 22
; NumVgprs: 256
; ScratchSize: 1076
; MemoryBound: 1
; FloatMode: 240
; IeeeMode: 1
; LDSByteSize: 0 bytes/workgroup (compile time only)
; SGPRBlocks: 0
; VGPRBlocks: 31
; NumSGPRsForWavesPerEU: 22
; NumVGPRsForWavesPerEU: 256
; Occupancy: 4
; WaveLimiterHint : 0
; COMPUTE_PGM_RSRC2:SCRATCH_EN: 1
; COMPUTE_PGM_RSRC2:USER_SGPR: 6
; COMPUTE_PGM_RSRC2:TRAP_HANDLER: 0
; COMPUTE_PGM_RSRC2:TGID_X_EN: 1
; COMPUTE_PGM_RSRC2:TGID_Y_EN: 1
; COMPUTE_PGM_RSRC2:TGID_Z_EN: 0
; COMPUTE_PGM_RSRC2:TIDIG_COMP_CNT: 1
	.section	.text._ZN9rocsolver6v33100L18getf2_small_kernelILi52E19rocblas_complex_numIdEiiPS3_EEvT1_T3_lS5_lPS5_llPT2_S5_S5_S7_l,"axG",@progbits,_ZN9rocsolver6v33100L18getf2_small_kernelILi52E19rocblas_complex_numIdEiiPS3_EEvT1_T3_lS5_lPS5_llPT2_S5_S5_S7_l,comdat
	.globl	_ZN9rocsolver6v33100L18getf2_small_kernelILi52E19rocblas_complex_numIdEiiPS3_EEvT1_T3_lS5_lPS5_llPT2_S5_S5_S7_l ; -- Begin function _ZN9rocsolver6v33100L18getf2_small_kernelILi52E19rocblas_complex_numIdEiiPS3_EEvT1_T3_lS5_lPS5_llPT2_S5_S5_S7_l
	.p2align	8
	.type	_ZN9rocsolver6v33100L18getf2_small_kernelILi52E19rocblas_complex_numIdEiiPS3_EEvT1_T3_lS5_lPS5_llPT2_S5_S5_S7_l,@function
_ZN9rocsolver6v33100L18getf2_small_kernelILi52E19rocblas_complex_numIdEiiPS3_EEvT1_T3_lS5_lPS5_llPT2_S5_S5_S7_l: ; @_ZN9rocsolver6v33100L18getf2_small_kernelILi52E19rocblas_complex_numIdEiiPS3_EEvT1_T3_lS5_lPS5_llPT2_S5_S5_S7_l
; %bb.0:
	s_clause 0x1
	s_load_dword s0, s[4:5], 0x6c
	s_load_dwordx2 s[16:17], s[4:5], 0x48
	s_waitcnt lgkmcnt(0)
	s_lshr_b32 s0, s0, 16
	v_mad_u64_u32 v[214:215], null, s7, s0, v[1:2]
	s_mov_b32 s0, exec_lo
	v_cmpx_gt_i32_e64 s16, v214
	s_cbranch_execnz .LBB102_1
; %bb.1096:
	s_getpc_b64 s[18:19]
.Lpost_getpc4:
	s_add_u32 s18, s18, (.LBB102_1095-.Lpost_getpc4)&4294967295
	s_addc_u32 s19, s19, (.LBB102_1095-.Lpost_getpc4)>>32
	s_setpc_b64 s[18:19]
.LBB102_1:
	s_load_dwordx4 s[0:3], s[4:5], 0x50
	v_mov_b32_e32 v216, 0
	v_ashrrev_i32_e32 v215, 31, v214
	v_mov_b32_e32 v217, 0
	s_waitcnt lgkmcnt(0)
	s_cmp_eq_u64 s[0:1], 0
	s_cselect_b32 s16, -1, 0
	s_and_b32 vcc_lo, exec_lo, s16
	s_cbranch_vccnz .LBB102_3
; %bb.2:
	v_mul_lo_u32 v4, s3, v214
	v_mul_lo_u32 v5, s2, v215
	v_mad_u64_u32 v[2:3], null, s2, v214, 0
	v_add3_u32 v3, v3, v5, v4
	v_lshlrev_b64 v[2:3], 2, v[2:3]
	v_add_co_u32 v216, vcc_lo, s0, v2
	v_add_co_ci_u32_e64 v217, null, s1, v3, vcc_lo
.LBB102_3:
	s_clause 0x2
	s_load_dwordx8 s[8:15], s[4:5], 0x20
	s_load_dword s6, s[4:5], 0x18
	s_load_dwordx4 s[0:3], s[4:5], 0x8
	v_lshlrev_b32_e32 v210, 4, v0
	s_waitcnt lgkmcnt(0)
	v_mul_lo_u32 v5, s9, v214
	v_mul_lo_u32 v7, s8, v215
	v_mad_u64_u32 v[2:3], null, s8, v214, 0
	v_add3_u32 v4, s6, s6, v0
	s_lshl_b64 s[2:3], s[2:3], 4
	s_ashr_i32 s7, s6, 31
	s_clause 0x1
	s_load_dword s8, s[4:5], 0x0
	s_load_dwordx2 s[4:5], s[4:5], 0x40
	v_add_nc_u32_e32 v6, s6, v4
	v_add3_u32 v3, v3, v7, v5
	v_ashrrev_i32_e32 v5, 31, v4
	v_add_nc_u32_e32 v8, s6, v6
	v_lshlrev_b64 v[2:3], 4, v[2:3]
	v_ashrrev_i32_e32 v7, 31, v6
	v_lshlrev_b64 v[4:5], 4, v[4:5]
	v_ashrrev_i32_e32 v9, 31, v8
	v_add_nc_u32_e32 v10, s6, v8
	v_add_co_u32 v12, vcc_lo, s0, v2
	v_add_co_ci_u32_e64 v13, null, s1, v3, vcc_lo
	v_lshlrev_b64 v[2:3], 4, v[8:9]
	v_add_nc_u32_e32 v8, s6, v10
	v_add_co_u32 v221, vcc_lo, v12, s2
	v_ashrrev_i32_e32 v11, 31, v10
	v_lshlrev_b64 v[6:7], 4, v[6:7]
	v_add_nc_u32_e32 v12, s6, v8
	v_add_co_ci_u32_e64 v222, null, s3, v13, vcc_lo
	v_ashrrev_i32_e32 v9, 31, v8
	v_lshlrev_b64 v[10:11], 4, v[10:11]
	v_add_nc_u32_e32 v14, s6, v12
	v_add_co_u32 v4, vcc_lo, v221, v4
	v_ashrrev_i32_e32 v13, 31, v12
	v_add_co_ci_u32_e64 v5, null, v222, v5, vcc_lo
	v_add_nc_u32_e32 v16, s6, v14
	v_add_co_u32 v6, vcc_lo, v221, v6
	v_ashrrev_i32_e32 v15, 31, v14
	v_add_co_ci_u32_e64 v7, null, v222, v7, vcc_lo
	v_add_nc_u32_e32 v20, s6, v16
	v_add_co_u32 v2, vcc_lo, v221, v2
	v_lshlrev_b64 v[8:9], 4, v[8:9]
	v_ashrrev_i32_e32 v17, 31, v16
	v_add_nc_u32_e32 v22, s6, v20
	v_add_co_ci_u32_e64 v3, null, v222, v3, vcc_lo
	v_add_co_u32 v10, vcc_lo, v221, v10
	v_add_nc_u32_e32 v24, s6, v22
	v_lshlrev_b64 v[12:13], 4, v[12:13]
	v_ashrrev_i32_e32 v21, 31, v20
	v_add_co_ci_u32_e64 v11, null, v222, v11, vcc_lo
	v_add_nc_u32_e32 v26, s6, v24
	v_add_co_u32 v18, vcc_lo, v221, v210
	v_lshlrev_b64 v[14:15], 4, v[14:15]
	v_ashrrev_i32_e32 v23, 31, v22
	v_add_nc_u32_e32 v28, s6, v26
	v_add_co_ci_u32_e64 v19, null, 0, v222, vcc_lo
	v_add_co_u32 v8, vcc_lo, v221, v8
	v_add_nc_u32_e32 v30, s6, v28
	v_lshlrev_b64 v[16:17], 4, v[16:17]
	;; [unrolled: 11-line block ×7, first 2 shown]
	v_ashrrev_i32_e32 v45, 31, v44
	v_add_co_ci_u32_e64 v33, null, v222, v33, vcc_lo
	v_add_nc_u32_e32 v62, s6, v60
	v_add_co_u32 v34, vcc_lo, v221, v34
	v_lshlrev_b64 v[40:41], 4, v[40:41]
	v_ashrrev_i32_e32 v47, 31, v46
	v_add_co_ci_u32_e64 v35, null, v222, v35, vcc_lo
	v_add_co_u32 v36, vcc_lo, v221, v36
	v_lshlrev_b64 v[42:43], 4, v[42:43]
	v_ashrrev_i32_e32 v49, 31, v48
	v_add_nc_u32_e32 v64, s6, v62
	v_add_co_ci_u32_e64 v37, null, v222, v37, vcc_lo
	v_add_co_u32 v38, vcc_lo, v221, v38
	v_lshlrev_b64 v[44:45], 4, v[44:45]
	v_ashrrev_i32_e32 v51, 31, v50
	v_add_co_ci_u32_e64 v39, null, v222, v39, vcc_lo
	v_add_co_u32 v40, vcc_lo, v221, v40
	v_lshlrev_b64 v[46:47], 4, v[46:47]
	v_ashrrev_i32_e32 v53, 31, v52
	v_add_co_ci_u32_e64 v41, null, v222, v41, vcc_lo
	v_add_co_u32 v42, vcc_lo, v221, v42
	v_lshlrev_b64 v[48:49], 4, v[48:49]
	v_add_nc_u32_e32 v66, s6, v64
	v_ashrrev_i32_e32 v55, 31, v54
	v_add_co_ci_u32_e64 v43, null, v222, v43, vcc_lo
	v_add_co_u32 v44, vcc_lo, v221, v44
	v_lshlrev_b64 v[50:51], 4, v[50:51]
	v_ashrrev_i32_e32 v57, 31, v56
	v_add_co_ci_u32_e64 v45, null, v222, v45, vcc_lo
	v_add_co_u32 v46, vcc_lo, v221, v46
	v_lshlrev_b64 v[52:53], 4, v[52:53]
	v_ashrrev_i32_e32 v59, 31, v58
	v_add_nc_u32_e32 v68, s6, v66
	v_add_co_ci_u32_e64 v47, null, v222, v47, vcc_lo
	v_add_co_u32 v48, vcc_lo, v221, v48
	v_lshlrev_b64 v[54:55], 4, v[54:55]
	v_ashrrev_i32_e32 v61, 31, v60
	v_add_co_ci_u32_e64 v49, null, v222, v49, vcc_lo
	v_add_co_u32 v50, vcc_lo, v221, v50
	v_lshlrev_b64 v[56:57], 4, v[56:57]
	v_ashrrev_i32_e32 v63, 31, v62
	v_add_co_ci_u32_e64 v51, null, v222, v51, vcc_lo
	v_add_co_u32 v52, vcc_lo, v221, v52
	v_lshlrev_b64 v[58:59], 4, v[58:59]
	v_add_nc_u32_e32 v70, s6, v68
	v_ashrrev_i32_e32 v65, 31, v64
	v_add_co_ci_u32_e64 v53, null, v222, v53, vcc_lo
	v_add_co_u32 v54, vcc_lo, v221, v54
	v_lshlrev_b64 v[60:61], 4, v[60:61]
	v_ashrrev_i32_e32 v67, 31, v66
	v_add_co_ci_u32_e64 v55, null, v222, v55, vcc_lo
	v_add_co_u32 v56, vcc_lo, v221, v56
	v_lshlrev_b64 v[62:63], 4, v[62:63]
	v_ashrrev_i32_e32 v69, 31, v68
	v_add_nc_u32_e32 v72, s6, v70
	v_add_co_ci_u32_e64 v57, null, v222, v57, vcc_lo
	v_add_co_u32 v58, vcc_lo, v221, v58
	v_lshlrev_b64 v[64:65], 4, v[64:65]
	v_ashrrev_i32_e32 v71, 31, v70
	v_add_co_ci_u32_e64 v59, null, v222, v59, vcc_lo
	v_add_co_u32 v60, vcc_lo, v221, v60
	v_lshlrev_b64 v[66:67], 4, v[66:67]
	v_add_co_ci_u32_e64 v61, null, v222, v61, vcc_lo
	v_add_co_u32 v62, vcc_lo, v221, v62
	v_lshlrev_b64 v[68:69], 4, v[68:69]
	v_add_nc_u32_e32 v74, s6, v72
	v_add_co_ci_u32_e64 v63, null, v222, v63, vcc_lo
	v_add_co_u32 v64, vcc_lo, v221, v64
	v_lshlrev_b64 v[70:71], 4, v[70:71]
	v_ashrrev_i32_e32 v73, 31, v72
	v_add_co_ci_u32_e64 v65, null, v222, v65, vcc_lo
	v_add_co_u32 v66, vcc_lo, v221, v66
	v_ashrrev_i32_e32 v75, 31, v74
	v_add_nc_u32_e32 v76, s6, v74
	v_add_co_ci_u32_e64 v67, null, v222, v67, vcc_lo
	v_add_co_u32 v68, vcc_lo, v221, v68
	v_lshlrev_b64 v[72:73], 4, v[72:73]
	v_add_co_ci_u32_e64 v69, null, v222, v69, vcc_lo
	v_add_co_u32 v211, vcc_lo, v221, v70
	v_add_co_ci_u32_e64 v212, null, v222, v71, vcc_lo
	v_lshlrev_b64 v[70:71], 4, v[74:75]
	v_ashrrev_i32_e32 v77, 31, v76
	v_add_nc_u32_e32 v74, s6, v76
	v_add_co_u32 v218, vcc_lo, v221, v72
	v_add_co_ci_u32_e64 v219, null, v222, v73, vcc_lo
	v_lshlrev_b64 v[72:73], 4, v[76:77]
	v_ashrrev_i32_e32 v75, 31, v74
	v_add_nc_u32_e32 v76, s6, v74
	;; [unrolled: 5-line block ×10, first 2 shown]
	v_add_co_u32 v239, vcc_lo, v221, v70
	v_add_co_ci_u32_e64 v240, null, v222, v71, vcc_lo
	v_lshlrev_b64 v[70:71], 4, v[74:75]
	v_add_nc_u32_e32 v74, s6, v76
	v_ashrrev_i32_e32 v77, 31, v76
	v_add_co_u32 v241, vcc_lo, v221, v72
	v_add_co_ci_u32_e64 v242, null, v222, v73, vcc_lo
	v_lshlrev_b64 v[72:73], 4, v[76:77]
	v_add_nc_u32_e32 v76, s6, v74
	v_ashrrev_i32_e32 v75, 31, v74
	v_add_co_u32 v243, vcc_lo, v221, v70
	v_add_co_ci_u32_e64 v244, null, v222, v71, vcc_lo
	v_ashrrev_i32_e32 v77, 31, v76
	v_add_co_u32 v245, vcc_lo, v221, v72
	v_add_nc_u32_e32 v72, s6, v76
	v_lshlrev_b64 v[70:71], 4, v[74:75]
	v_lshlrev_b64 v[74:75], 4, v[76:77]
	v_add_co_ci_u32_e64 v246, null, v222, v73, vcc_lo
	v_ashrrev_i32_e32 v73, 31, v72
	s_lshl_b64 s[2:3], s[6:7], 4
	v_add_co_u32 v247, vcc_lo, v221, v70
	v_add_co_ci_u32_e64 v248, null, v222, v71, vcc_lo
	v_add_co_u32 v249, vcc_lo, v221, v74
	v_lshlrev_b64 v[70:71], 4, v[72:73]
	v_add_co_ci_u32_e64 v250, null, v222, v75, vcc_lo
	v_add_co_u32 v72, vcc_lo, v18, s2
	v_add_co_ci_u32_e64 v73, null, s3, v19, vcc_lo
	v_add_co_u32 v251, vcc_lo, v221, v70
	v_add_co_ci_u32_e64 v252, null, v222, v71, vcc_lo
	s_clause 0x33
	global_load_dwordx4 v[202:205], v[18:19], off
	global_load_dwordx4 v[206:209], v[72:73], off
	;; [unrolled: 1-line block ×52, first 2 shown]
	s_waitcnt lgkmcnt(0)
	s_max_i32 s0, s8, 52
	s_cmp_lt_i32 s8, 2
	v_mul_lo_u32 v218, s0, v1
	v_lshl_add_u32 v1, v218, 4, 0
	v_lshlrev_b32_e32 v220, 4, v218
	v_mov_b32_e32 v218, 0
	v_add_nc_u32_e32 v210, v1, v210
	s_waitcnt vmcnt(51)
	ds_write2_b64 v210, v[202:203], v[204:205] offset1:1
	s_waitcnt vmcnt(0) lgkmcnt(0)
	s_barrier
	buffer_gl0_inv
	ds_read2_b64 v[210:213], v1 offset1:1
	s_cbranch_scc1 .LBB102_6
; %bb.4:
	v_add3_u32 v219, v220, 0, 16
	v_mov_b32_e32 v218, 0
	s_mov_b32 s1, 1
	s_inst_prefetch 0x1
	.p2align	6
.LBB102_5:                              ; =>This Inner Loop Header: Depth=1
	s_waitcnt lgkmcnt(0)
	v_cmp_gt_f64_e32 vcc_lo, 0, v[212:213]
	v_cmp_gt_f64_e64 s0, 0, v[210:211]
	ds_read2_b64 v[223:226], v219 offset1:1
	v_xor_b32_e32 v228, 0x80000000, v211
	v_xor_b32_e32 v230, 0x80000000, v213
	v_mov_b32_e32 v227, v210
	v_mov_b32_e32 v229, v212
	v_add_nc_u32_e32 v219, 16, v219
	s_waitcnt lgkmcnt(0)
	v_xor_b32_e32 v232, 0x80000000, v226
	v_cndmask_b32_e64 v228, v211, v228, s0
	v_cndmask_b32_e32 v230, v213, v230, vcc_lo
	v_cmp_gt_f64_e32 vcc_lo, 0, v[225:226]
	v_cmp_gt_f64_e64 s0, 0, v[223:224]
	v_mov_b32_e32 v231, v225
	v_add_f64 v[227:228], v[227:228], v[229:230]
	v_xor_b32_e32 v230, 0x80000000, v224
	v_mov_b32_e32 v229, v223
	v_cndmask_b32_e32 v232, v226, v232, vcc_lo
	v_cndmask_b32_e64 v230, v224, v230, s0
	v_add_f64 v[229:230], v[229:230], v[231:232]
	v_cmp_lt_f64_e32 vcc_lo, v[227:228], v[229:230]
	v_cndmask_b32_e32 v211, v211, v224, vcc_lo
	v_cndmask_b32_e32 v210, v210, v223, vcc_lo
	;; [unrolled: 1-line block ×4, first 2 shown]
	v_cndmask_b32_e64 v218, v218, s1, vcc_lo
	s_add_i32 s1, s1, 1
	s_cmp_eq_u32 s8, s1
	s_cbranch_scc0 .LBB102_5
.LBB102_6:
	s_inst_prefetch 0x2
	s_waitcnt lgkmcnt(0)
	v_cmp_neq_f64_e32 vcc_lo, 0, v[210:211]
	v_cmp_neq_f64_e64 s0, 0, v[212:213]
	v_mov_b32_e32 v223, 1
	v_mov_b32_e32 v225, 1
	s_or_b32 s1, vcc_lo, s0
	s_and_saveexec_b32 s0, s1
	s_cbranch_execz .LBB102_12
; %bb.7:
	v_cmp_ngt_f64_e64 s1, |v[210:211]|, |v[212:213]|
	s_and_saveexec_b32 s7, s1
	s_xor_b32 s1, exec_lo, s7
	s_cbranch_execz .LBB102_9
; %bb.8:
	v_div_scale_f64 v[223:224], null, v[212:213], v[212:213], v[210:211]
	v_div_scale_f64 v[229:230], vcc_lo, v[210:211], v[212:213], v[210:211]
	v_rcp_f64_e32 v[225:226], v[223:224]
	v_fma_f64 v[227:228], -v[223:224], v[225:226], 1.0
	v_fma_f64 v[225:226], v[225:226], v[227:228], v[225:226]
	v_fma_f64 v[227:228], -v[223:224], v[225:226], 1.0
	v_fma_f64 v[225:226], v[225:226], v[227:228], v[225:226]
	v_mul_f64 v[227:228], v[229:230], v[225:226]
	v_fma_f64 v[223:224], -v[223:224], v[227:228], v[229:230]
	v_div_fmas_f64 v[223:224], v[223:224], v[225:226], v[227:228]
	v_div_fixup_f64 v[223:224], v[223:224], v[212:213], v[210:211]
	v_fma_f64 v[210:211], v[210:211], v[223:224], v[212:213]
	v_div_scale_f64 v[212:213], null, v[210:211], v[210:211], 1.0
	v_rcp_f64_e32 v[225:226], v[212:213]
	v_fma_f64 v[227:228], -v[212:213], v[225:226], 1.0
	v_fma_f64 v[225:226], v[225:226], v[227:228], v[225:226]
	v_fma_f64 v[227:228], -v[212:213], v[225:226], 1.0
	v_fma_f64 v[225:226], v[225:226], v[227:228], v[225:226]
	v_div_scale_f64 v[227:228], vcc_lo, 1.0, v[210:211], 1.0
	v_mul_f64 v[229:230], v[227:228], v[225:226]
	v_fma_f64 v[212:213], -v[212:213], v[229:230], v[227:228]
	v_div_fmas_f64 v[212:213], v[212:213], v[225:226], v[229:230]
	v_div_fixup_f64 v[212:213], v[212:213], v[210:211], 1.0
	v_mul_f64 v[210:211], v[223:224], v[212:213]
	v_xor_b32_e32 v213, 0x80000000, v213
.LBB102_9:
	s_andn2_saveexec_b32 s1, s1
	s_cbranch_execz .LBB102_11
; %bb.10:
	v_div_scale_f64 v[223:224], null, v[210:211], v[210:211], v[212:213]
	v_div_scale_f64 v[229:230], vcc_lo, v[212:213], v[210:211], v[212:213]
	v_rcp_f64_e32 v[225:226], v[223:224]
	v_fma_f64 v[227:228], -v[223:224], v[225:226], 1.0
	v_fma_f64 v[225:226], v[225:226], v[227:228], v[225:226]
	v_fma_f64 v[227:228], -v[223:224], v[225:226], 1.0
	v_fma_f64 v[225:226], v[225:226], v[227:228], v[225:226]
	v_mul_f64 v[227:228], v[229:230], v[225:226]
	v_fma_f64 v[223:224], -v[223:224], v[227:228], v[229:230]
	v_div_fmas_f64 v[223:224], v[223:224], v[225:226], v[227:228]
	v_div_fixup_f64 v[223:224], v[223:224], v[210:211], v[212:213]
	v_fma_f64 v[210:211], v[212:213], v[223:224], v[210:211]
	v_div_scale_f64 v[212:213], null, v[210:211], v[210:211], 1.0
	v_rcp_f64_e32 v[225:226], v[212:213]
	v_fma_f64 v[227:228], -v[212:213], v[225:226], 1.0
	v_fma_f64 v[225:226], v[225:226], v[227:228], v[225:226]
	v_fma_f64 v[227:228], -v[212:213], v[225:226], 1.0
	v_fma_f64 v[225:226], v[225:226], v[227:228], v[225:226]
	v_div_scale_f64 v[227:228], vcc_lo, 1.0, v[210:211], 1.0
	v_mul_f64 v[229:230], v[227:228], v[225:226]
	v_fma_f64 v[212:213], -v[212:213], v[229:230], v[227:228]
	v_div_fmas_f64 v[212:213], v[212:213], v[225:226], v[229:230]
	v_div_fixup_f64 v[210:211], v[212:213], v[210:211], 1.0
	v_mul_f64 v[212:213], v[223:224], -v[210:211]
.LBB102_11:
	s_or_b32 exec_lo, exec_lo, s1
	v_mov_b32_e32 v225, 0
	v_mov_b32_e32 v223, 2
.LBB102_12:
	s_or_b32 exec_lo, exec_lo, s0
	s_mov_b32 s0, exec_lo
	v_cmpx_ne_u32_e64 v0, v218
	s_xor_b32 s0, exec_lo, s0
	s_cbranch_execz .LBB102_18
; %bb.13:
	s_mov_b32 s1, exec_lo
	v_cmpx_eq_u32_e32 0, v0
	s_cbranch_execz .LBB102_17
; %bb.14:
	v_cmp_ne_u32_e32 vcc_lo, 0, v218
	s_xor_b32 s7, s16, -1
	s_and_b32 s9, s7, vcc_lo
	s_and_saveexec_b32 s7, s9
	s_cbranch_execz .LBB102_16
; %bb.15:
	v_ashrrev_i32_e32 v219, 31, v218
	v_lshlrev_b64 v[226:227], 2, v[218:219]
	v_add_co_u32 v226, vcc_lo, v216, v226
	v_add_co_ci_u32_e64 v227, null, v217, v227, vcc_lo
	s_clause 0x1
	global_load_dword v0, v[226:227], off
	global_load_dword v219, v[216:217], off
	s_waitcnt vmcnt(1)
	global_store_dword v[216:217], v0, off
	s_waitcnt vmcnt(0)
	global_store_dword v[226:227], v219, off
.LBB102_16:
	s_or_b32 exec_lo, exec_lo, s7
	v_mov_b32_e32 v0, v218
.LBB102_17:
	s_or_b32 exec_lo, exec_lo, s1
.LBB102_18:
	s_or_saveexec_b32 s0, s0
	v_mov_b32_e32 v224, v0
	s_xor_b32 exec_lo, exec_lo, s0
	s_cbranch_execz .LBB102_20
; %bb.19:
	v_mov_b32_e32 v224, 0
	ds_write2_b64 v1, v[206:207], v[208:209] offset0:2 offset1:3
	ds_write2_b64 v1, v[198:199], v[200:201] offset0:4 offset1:5
	;; [unrolled: 1-line block ×51, first 2 shown]
.LBB102_20:
	s_or_b32 exec_lo, exec_lo, s0
	s_mov_b32 s0, exec_lo
	s_waitcnt lgkmcnt(0)
	s_waitcnt_vscnt null, 0x0
	s_barrier
	buffer_gl0_inv
	v_cmpx_lt_i32_e32 0, v224
	s_cbranch_execz .LBB102_22
; %bb.21:
	v_mul_f64 v[218:219], v[212:213], v[204:205]
	v_mul_f64 v[204:205], v[210:211], v[204:205]
	v_fma_f64 v[218:219], v[210:211], v[202:203], -v[218:219]
	v_fma_f64 v[204:205], v[212:213], v[202:203], v[204:205]
	ds_read2_b64 v[210:213], v1 offset0:2 offset1:3
	s_waitcnt lgkmcnt(0)
	v_mul_f64 v[202:203], v[212:213], v[204:205]
	v_fma_f64 v[202:203], v[210:211], v[218:219], -v[202:203]
	v_mul_f64 v[210:211], v[210:211], v[204:205]
	v_add_f64 v[206:207], v[206:207], -v[202:203]
	v_fma_f64 v[210:211], v[212:213], v[218:219], v[210:211]
	v_add_f64 v[208:209], v[208:209], -v[210:211]
	ds_read2_b64 v[210:213], v1 offset0:4 offset1:5
	s_waitcnt lgkmcnt(0)
	v_mul_f64 v[202:203], v[212:213], v[204:205]
	v_fma_f64 v[202:203], v[210:211], v[218:219], -v[202:203]
	v_mul_f64 v[210:211], v[210:211], v[204:205]
	v_add_f64 v[198:199], v[198:199], -v[202:203]
	v_fma_f64 v[210:211], v[212:213], v[218:219], v[210:211]
	v_add_f64 v[200:201], v[200:201], -v[210:211]
	;; [unrolled: 8-line block ×50, first 2 shown]
	ds_read2_b64 v[210:213], v1 offset0:102 offset1:103
	s_waitcnt lgkmcnt(0)
	v_mul_f64 v[202:203], v[212:213], v[204:205]
	v_fma_f64 v[202:203], v[210:211], v[218:219], -v[202:203]
	v_mul_f64 v[210:211], v[210:211], v[204:205]
	v_add_f64 v[2:3], v[2:3], -v[202:203]
	v_fma_f64 v[210:211], v[212:213], v[218:219], v[210:211]
	v_mov_b32_e32 v202, v218
	v_mov_b32_e32 v203, v219
	v_add_f64 v[4:5], v[4:5], -v[210:211]
.LBB102_22:
	s_or_b32 exec_lo, exec_lo, s0
	v_lshl_add_u32 v210, v224, 4, v1
	s_barrier
	buffer_gl0_inv
	v_mov_b32_e32 v218, 1
	ds_write2_b64 v210, v[206:207], v[208:209] offset1:1
	s_waitcnt lgkmcnt(0)
	s_barrier
	buffer_gl0_inv
	ds_read2_b64 v[210:213], v1 offset0:2 offset1:3
	s_cmp_lt_i32 s8, 3
	s_cbranch_scc1 .LBB102_25
; %bb.23:
	v_add3_u32 v219, v220, 0, 32
	v_mov_b32_e32 v218, 1
	s_mov_b32 s1, 2
	s_inst_prefetch 0x1
	.p2align	6
.LBB102_24:                             ; =>This Inner Loop Header: Depth=1
	s_waitcnt lgkmcnt(0)
	v_cmp_gt_f64_e32 vcc_lo, 0, v[212:213]
	v_cmp_gt_f64_e64 s0, 0, v[210:211]
	ds_read2_b64 v[226:229], v219 offset1:1
	v_xor_b32_e32 v231, 0x80000000, v211
	v_xor_b32_e32 v233, 0x80000000, v213
	v_mov_b32_e32 v230, v210
	v_mov_b32_e32 v232, v212
	v_add_nc_u32_e32 v219, 16, v219
	s_waitcnt lgkmcnt(0)
	v_xor_b32_e32 v235, 0x80000000, v229
	v_cndmask_b32_e64 v231, v211, v231, s0
	v_cndmask_b32_e32 v233, v213, v233, vcc_lo
	v_cmp_gt_f64_e32 vcc_lo, 0, v[228:229]
	v_cmp_gt_f64_e64 s0, 0, v[226:227]
	v_mov_b32_e32 v234, v228
	v_add_f64 v[230:231], v[230:231], v[232:233]
	v_xor_b32_e32 v233, 0x80000000, v227
	v_mov_b32_e32 v232, v226
	v_cndmask_b32_e32 v235, v229, v235, vcc_lo
	v_cndmask_b32_e64 v233, v227, v233, s0
	v_add_f64 v[232:233], v[232:233], v[234:235]
	v_cmp_lt_f64_e32 vcc_lo, v[230:231], v[232:233]
	v_cndmask_b32_e32 v211, v211, v227, vcc_lo
	v_cndmask_b32_e32 v210, v210, v226, vcc_lo
	;; [unrolled: 1-line block ×4, first 2 shown]
	v_cndmask_b32_e64 v218, v218, s1, vcc_lo
	s_add_i32 s1, s1, 1
	s_cmp_lg_u32 s8, s1
	s_cbranch_scc1 .LBB102_24
.LBB102_25:
	s_inst_prefetch 0x2
	s_waitcnt lgkmcnt(0)
	v_cmp_neq_f64_e32 vcc_lo, 0, v[210:211]
	v_cmp_neq_f64_e64 s0, 0, v[212:213]
	s_or_b32 s1, vcc_lo, s0
	s_and_saveexec_b32 s0, s1
	s_cbranch_execz .LBB102_31
; %bb.26:
	v_cmp_ngt_f64_e64 s1, |v[210:211]|, |v[212:213]|
	s_and_saveexec_b32 s7, s1
	s_xor_b32 s1, exec_lo, s7
	s_cbranch_execz .LBB102_28
; %bb.27:
	v_div_scale_f64 v[226:227], null, v[212:213], v[212:213], v[210:211]
	v_div_scale_f64 v[232:233], vcc_lo, v[210:211], v[212:213], v[210:211]
	v_rcp_f64_e32 v[228:229], v[226:227]
	v_fma_f64 v[230:231], -v[226:227], v[228:229], 1.0
	v_fma_f64 v[228:229], v[228:229], v[230:231], v[228:229]
	v_fma_f64 v[230:231], -v[226:227], v[228:229], 1.0
	v_fma_f64 v[228:229], v[228:229], v[230:231], v[228:229]
	v_mul_f64 v[230:231], v[232:233], v[228:229]
	v_fma_f64 v[226:227], -v[226:227], v[230:231], v[232:233]
	v_div_fmas_f64 v[226:227], v[226:227], v[228:229], v[230:231]
	v_div_fixup_f64 v[226:227], v[226:227], v[212:213], v[210:211]
	v_fma_f64 v[210:211], v[210:211], v[226:227], v[212:213]
	v_div_scale_f64 v[212:213], null, v[210:211], v[210:211], 1.0
	v_rcp_f64_e32 v[228:229], v[212:213]
	v_fma_f64 v[230:231], -v[212:213], v[228:229], 1.0
	v_fma_f64 v[228:229], v[228:229], v[230:231], v[228:229]
	v_fma_f64 v[230:231], -v[212:213], v[228:229], 1.0
	v_fma_f64 v[228:229], v[228:229], v[230:231], v[228:229]
	v_div_scale_f64 v[230:231], vcc_lo, 1.0, v[210:211], 1.0
	v_mul_f64 v[232:233], v[230:231], v[228:229]
	v_fma_f64 v[212:213], -v[212:213], v[232:233], v[230:231]
	v_div_fmas_f64 v[212:213], v[212:213], v[228:229], v[232:233]
	v_div_fixup_f64 v[212:213], v[212:213], v[210:211], 1.0
	v_mul_f64 v[210:211], v[226:227], v[212:213]
	v_xor_b32_e32 v213, 0x80000000, v213
.LBB102_28:
	s_andn2_saveexec_b32 s1, s1
	s_cbranch_execz .LBB102_30
; %bb.29:
	v_div_scale_f64 v[226:227], null, v[210:211], v[210:211], v[212:213]
	v_div_scale_f64 v[232:233], vcc_lo, v[212:213], v[210:211], v[212:213]
	v_rcp_f64_e32 v[228:229], v[226:227]
	v_fma_f64 v[230:231], -v[226:227], v[228:229], 1.0
	v_fma_f64 v[228:229], v[228:229], v[230:231], v[228:229]
	v_fma_f64 v[230:231], -v[226:227], v[228:229], 1.0
	v_fma_f64 v[228:229], v[228:229], v[230:231], v[228:229]
	v_mul_f64 v[230:231], v[232:233], v[228:229]
	v_fma_f64 v[226:227], -v[226:227], v[230:231], v[232:233]
	v_div_fmas_f64 v[226:227], v[226:227], v[228:229], v[230:231]
	v_div_fixup_f64 v[226:227], v[226:227], v[210:211], v[212:213]
	v_fma_f64 v[210:211], v[212:213], v[226:227], v[210:211]
	v_div_scale_f64 v[212:213], null, v[210:211], v[210:211], 1.0
	v_rcp_f64_e32 v[228:229], v[212:213]
	v_fma_f64 v[230:231], -v[212:213], v[228:229], 1.0
	v_fma_f64 v[228:229], v[228:229], v[230:231], v[228:229]
	v_fma_f64 v[230:231], -v[212:213], v[228:229], 1.0
	v_fma_f64 v[228:229], v[228:229], v[230:231], v[228:229]
	v_div_scale_f64 v[230:231], vcc_lo, 1.0, v[210:211], 1.0
	v_mul_f64 v[232:233], v[230:231], v[228:229]
	v_fma_f64 v[212:213], -v[212:213], v[232:233], v[230:231]
	v_div_fmas_f64 v[212:213], v[212:213], v[228:229], v[232:233]
	v_div_fixup_f64 v[210:211], v[212:213], v[210:211], 1.0
	v_mul_f64 v[212:213], v[226:227], -v[210:211]
.LBB102_30:
	s_or_b32 exec_lo, exec_lo, s1
	v_mov_b32_e32 v223, v225
.LBB102_31:
	s_or_b32 exec_lo, exec_lo, s0
	s_mov_b32 s0, exec_lo
	v_cmpx_ne_u32_e64 v224, v218
	s_xor_b32 s0, exec_lo, s0
	s_cbranch_execz .LBB102_37
; %bb.32:
	s_mov_b32 s1, exec_lo
	v_cmpx_eq_u32_e32 1, v224
	s_cbranch_execz .LBB102_36
; %bb.33:
	v_cmp_ne_u32_e32 vcc_lo, 1, v218
	s_xor_b32 s7, s16, -1
	s_and_b32 s9, s7, vcc_lo
	s_and_saveexec_b32 s7, s9
	s_cbranch_execz .LBB102_35
; %bb.34:
	v_ashrrev_i32_e32 v219, 31, v218
	v_lshlrev_b64 v[224:225], 2, v[218:219]
	v_add_co_u32 v224, vcc_lo, v216, v224
	v_add_co_ci_u32_e64 v225, null, v217, v225, vcc_lo
	s_clause 0x1
	global_load_dword v0, v[224:225], off
	global_load_dword v219, v[216:217], off offset:4
	s_waitcnt vmcnt(1)
	global_store_dword v[216:217], v0, off offset:4
	s_waitcnt vmcnt(0)
	global_store_dword v[224:225], v219, off
.LBB102_35:
	s_or_b32 exec_lo, exec_lo, s7
	v_mov_b32_e32 v224, v218
	v_mov_b32_e32 v0, v218
.LBB102_36:
	s_or_b32 exec_lo, exec_lo, s1
.LBB102_37:
	s_andn2_saveexec_b32 s0, s0
	s_cbranch_execz .LBB102_39
; %bb.38:
	v_mov_b32_e32 v224, 1
	ds_write2_b64 v1, v[198:199], v[200:201] offset0:4 offset1:5
	ds_write2_b64 v1, v[194:195], v[196:197] offset0:6 offset1:7
	;; [unrolled: 1-line block ×50, first 2 shown]
.LBB102_39:
	s_or_b32 exec_lo, exec_lo, s0
	s_mov_b32 s0, exec_lo
	s_waitcnt lgkmcnt(0)
	s_waitcnt_vscnt null, 0x0
	s_barrier
	buffer_gl0_inv
	v_cmpx_lt_i32_e32 1, v224
	s_cbranch_execz .LBB102_41
; %bb.40:
	v_mul_f64 v[218:219], v[212:213], v[208:209]
	v_mul_f64 v[208:209], v[210:211], v[208:209]
	v_fma_f64 v[218:219], v[210:211], v[206:207], -v[218:219]
	v_fma_f64 v[208:209], v[212:213], v[206:207], v[208:209]
	ds_read2_b64 v[210:213], v1 offset0:4 offset1:5
	s_waitcnt lgkmcnt(0)
	v_mul_f64 v[206:207], v[212:213], v[208:209]
	v_fma_f64 v[206:207], v[210:211], v[218:219], -v[206:207]
	v_mul_f64 v[210:211], v[210:211], v[208:209]
	v_add_f64 v[198:199], v[198:199], -v[206:207]
	v_fma_f64 v[210:211], v[212:213], v[218:219], v[210:211]
	v_add_f64 v[200:201], v[200:201], -v[210:211]
	ds_read2_b64 v[210:213], v1 offset0:6 offset1:7
	s_waitcnt lgkmcnt(0)
	v_mul_f64 v[206:207], v[212:213], v[208:209]
	v_fma_f64 v[206:207], v[210:211], v[218:219], -v[206:207]
	v_mul_f64 v[210:211], v[210:211], v[208:209]
	v_add_f64 v[194:195], v[194:195], -v[206:207]
	v_fma_f64 v[210:211], v[212:213], v[218:219], v[210:211]
	v_add_f64 v[196:197], v[196:197], -v[210:211]
	;; [unrolled: 8-line block ×49, first 2 shown]
	ds_read2_b64 v[210:213], v1 offset0:102 offset1:103
	s_waitcnt lgkmcnt(0)
	v_mul_f64 v[206:207], v[212:213], v[208:209]
	v_fma_f64 v[206:207], v[210:211], v[218:219], -v[206:207]
	v_mul_f64 v[210:211], v[210:211], v[208:209]
	v_add_f64 v[2:3], v[2:3], -v[206:207]
	v_fma_f64 v[210:211], v[212:213], v[218:219], v[210:211]
	v_mov_b32_e32 v206, v218
	v_mov_b32_e32 v207, v219
	v_add_f64 v[4:5], v[4:5], -v[210:211]
.LBB102_41:
	s_or_b32 exec_lo, exec_lo, s0
	v_lshl_add_u32 v210, v224, 4, v1
	s_barrier
	buffer_gl0_inv
	v_mov_b32_e32 v218, 2
	ds_write2_b64 v210, v[198:199], v[200:201] offset1:1
	s_waitcnt lgkmcnt(0)
	s_barrier
	buffer_gl0_inv
	ds_read2_b64 v[210:213], v1 offset0:4 offset1:5
	s_cmp_lt_i32 s8, 4
	s_cbranch_scc1 .LBB102_44
; %bb.42:
	v_add3_u32 v219, v220, 0, 48
	v_mov_b32_e32 v218, 2
	s_mov_b32 s1, 3
	s_inst_prefetch 0x1
	.p2align	6
.LBB102_43:                             ; =>This Inner Loop Header: Depth=1
	s_waitcnt lgkmcnt(0)
	v_cmp_gt_f64_e32 vcc_lo, 0, v[212:213]
	v_cmp_gt_f64_e64 s0, 0, v[210:211]
	ds_read2_b64 v[225:228], v219 offset1:1
	v_xor_b32_e32 v230, 0x80000000, v211
	v_xor_b32_e32 v232, 0x80000000, v213
	v_mov_b32_e32 v229, v210
	v_mov_b32_e32 v231, v212
	v_add_nc_u32_e32 v219, 16, v219
	s_waitcnt lgkmcnt(0)
	v_xor_b32_e32 v234, 0x80000000, v228
	v_cndmask_b32_e64 v230, v211, v230, s0
	v_cndmask_b32_e32 v232, v213, v232, vcc_lo
	v_cmp_gt_f64_e32 vcc_lo, 0, v[227:228]
	v_cmp_gt_f64_e64 s0, 0, v[225:226]
	v_mov_b32_e32 v233, v227
	v_add_f64 v[229:230], v[229:230], v[231:232]
	v_xor_b32_e32 v232, 0x80000000, v226
	v_mov_b32_e32 v231, v225
	v_cndmask_b32_e32 v234, v228, v234, vcc_lo
	v_cndmask_b32_e64 v232, v226, v232, s0
	v_add_f64 v[231:232], v[231:232], v[233:234]
	v_cmp_lt_f64_e32 vcc_lo, v[229:230], v[231:232]
	v_cndmask_b32_e32 v211, v211, v226, vcc_lo
	v_cndmask_b32_e32 v210, v210, v225, vcc_lo
	v_cndmask_b32_e32 v213, v213, v228, vcc_lo
	v_cndmask_b32_e32 v212, v212, v227, vcc_lo
	v_cndmask_b32_e64 v218, v218, s1, vcc_lo
	s_add_i32 s1, s1, 1
	s_cmp_lg_u32 s8, s1
	s_cbranch_scc1 .LBB102_43
.LBB102_44:
	s_inst_prefetch 0x2
	s_waitcnt lgkmcnt(0)
	v_cmp_eq_f64_e32 vcc_lo, 0, v[210:211]
	v_cmp_eq_f64_e64 s0, 0, v[212:213]
	s_and_b32 s0, vcc_lo, s0
	s_and_saveexec_b32 s1, s0
	s_xor_b32 s0, exec_lo, s1
; %bb.45:
	v_cmp_ne_u32_e32 vcc_lo, 0, v223
	v_cndmask_b32_e32 v223, 3, v223, vcc_lo
; %bb.46:
	s_andn2_saveexec_b32 s0, s0
	s_cbranch_execz .LBB102_52
; %bb.47:
	v_cmp_ngt_f64_e64 s1, |v[210:211]|, |v[212:213]|
	s_and_saveexec_b32 s7, s1
	s_xor_b32 s1, exec_lo, s7
	s_cbranch_execz .LBB102_49
; %bb.48:
	v_div_scale_f64 v[225:226], null, v[212:213], v[212:213], v[210:211]
	v_div_scale_f64 v[231:232], vcc_lo, v[210:211], v[212:213], v[210:211]
	v_rcp_f64_e32 v[227:228], v[225:226]
	v_fma_f64 v[229:230], -v[225:226], v[227:228], 1.0
	v_fma_f64 v[227:228], v[227:228], v[229:230], v[227:228]
	v_fma_f64 v[229:230], -v[225:226], v[227:228], 1.0
	v_fma_f64 v[227:228], v[227:228], v[229:230], v[227:228]
	v_mul_f64 v[229:230], v[231:232], v[227:228]
	v_fma_f64 v[225:226], -v[225:226], v[229:230], v[231:232]
	v_div_fmas_f64 v[225:226], v[225:226], v[227:228], v[229:230]
	v_div_fixup_f64 v[225:226], v[225:226], v[212:213], v[210:211]
	v_fma_f64 v[210:211], v[210:211], v[225:226], v[212:213]
	v_div_scale_f64 v[212:213], null, v[210:211], v[210:211], 1.0
	v_rcp_f64_e32 v[227:228], v[212:213]
	v_fma_f64 v[229:230], -v[212:213], v[227:228], 1.0
	v_fma_f64 v[227:228], v[227:228], v[229:230], v[227:228]
	v_fma_f64 v[229:230], -v[212:213], v[227:228], 1.0
	v_fma_f64 v[227:228], v[227:228], v[229:230], v[227:228]
	v_div_scale_f64 v[229:230], vcc_lo, 1.0, v[210:211], 1.0
	v_mul_f64 v[231:232], v[229:230], v[227:228]
	v_fma_f64 v[212:213], -v[212:213], v[231:232], v[229:230]
	v_div_fmas_f64 v[212:213], v[212:213], v[227:228], v[231:232]
	v_div_fixup_f64 v[212:213], v[212:213], v[210:211], 1.0
	v_mul_f64 v[210:211], v[225:226], v[212:213]
	v_xor_b32_e32 v213, 0x80000000, v213
.LBB102_49:
	s_andn2_saveexec_b32 s1, s1
	s_cbranch_execz .LBB102_51
; %bb.50:
	v_div_scale_f64 v[225:226], null, v[210:211], v[210:211], v[212:213]
	v_div_scale_f64 v[231:232], vcc_lo, v[212:213], v[210:211], v[212:213]
	v_rcp_f64_e32 v[227:228], v[225:226]
	v_fma_f64 v[229:230], -v[225:226], v[227:228], 1.0
	v_fma_f64 v[227:228], v[227:228], v[229:230], v[227:228]
	v_fma_f64 v[229:230], -v[225:226], v[227:228], 1.0
	v_fma_f64 v[227:228], v[227:228], v[229:230], v[227:228]
	v_mul_f64 v[229:230], v[231:232], v[227:228]
	v_fma_f64 v[225:226], -v[225:226], v[229:230], v[231:232]
	v_div_fmas_f64 v[225:226], v[225:226], v[227:228], v[229:230]
	v_div_fixup_f64 v[225:226], v[225:226], v[210:211], v[212:213]
	v_fma_f64 v[210:211], v[212:213], v[225:226], v[210:211]
	v_div_scale_f64 v[212:213], null, v[210:211], v[210:211], 1.0
	v_rcp_f64_e32 v[227:228], v[212:213]
	v_fma_f64 v[229:230], -v[212:213], v[227:228], 1.0
	v_fma_f64 v[227:228], v[227:228], v[229:230], v[227:228]
	v_fma_f64 v[229:230], -v[212:213], v[227:228], 1.0
	v_fma_f64 v[227:228], v[227:228], v[229:230], v[227:228]
	v_div_scale_f64 v[229:230], vcc_lo, 1.0, v[210:211], 1.0
	v_mul_f64 v[231:232], v[229:230], v[227:228]
	v_fma_f64 v[212:213], -v[212:213], v[231:232], v[229:230]
	v_div_fmas_f64 v[212:213], v[212:213], v[227:228], v[231:232]
	v_div_fixup_f64 v[210:211], v[212:213], v[210:211], 1.0
	v_mul_f64 v[212:213], v[225:226], -v[210:211]
.LBB102_51:
	s_or_b32 exec_lo, exec_lo, s1
.LBB102_52:
	s_or_b32 exec_lo, exec_lo, s0
	s_mov_b32 s0, exec_lo
	v_cmpx_ne_u32_e64 v224, v218
	s_xor_b32 s0, exec_lo, s0
	s_cbranch_execz .LBB102_58
; %bb.53:
	s_mov_b32 s1, exec_lo
	v_cmpx_eq_u32_e32 2, v224
	s_cbranch_execz .LBB102_57
; %bb.54:
	v_cmp_ne_u32_e32 vcc_lo, 2, v218
	s_xor_b32 s7, s16, -1
	s_and_b32 s9, s7, vcc_lo
	s_and_saveexec_b32 s7, s9
	s_cbranch_execz .LBB102_56
; %bb.55:
	v_ashrrev_i32_e32 v219, 31, v218
	v_lshlrev_b64 v[224:225], 2, v[218:219]
	v_add_co_u32 v224, vcc_lo, v216, v224
	v_add_co_ci_u32_e64 v225, null, v217, v225, vcc_lo
	s_clause 0x1
	global_load_dword v0, v[224:225], off
	global_load_dword v219, v[216:217], off offset:8
	s_waitcnt vmcnt(1)
	global_store_dword v[216:217], v0, off offset:8
	s_waitcnt vmcnt(0)
	global_store_dword v[224:225], v219, off
.LBB102_56:
	s_or_b32 exec_lo, exec_lo, s7
	v_mov_b32_e32 v224, v218
	v_mov_b32_e32 v0, v218
.LBB102_57:
	s_or_b32 exec_lo, exec_lo, s1
.LBB102_58:
	s_andn2_saveexec_b32 s0, s0
	s_cbranch_execz .LBB102_60
; %bb.59:
	v_mov_b32_e32 v224, 2
	ds_write2_b64 v1, v[194:195], v[196:197] offset0:6 offset1:7
	ds_write2_b64 v1, v[190:191], v[192:193] offset0:8 offset1:9
	;; [unrolled: 1-line block ×49, first 2 shown]
.LBB102_60:
	s_or_b32 exec_lo, exec_lo, s0
	s_mov_b32 s0, exec_lo
	s_waitcnt lgkmcnt(0)
	s_waitcnt_vscnt null, 0x0
	s_barrier
	buffer_gl0_inv
	v_cmpx_lt_i32_e32 2, v224
	s_cbranch_execz .LBB102_62
; %bb.61:
	v_mul_f64 v[218:219], v[212:213], v[200:201]
	v_mul_f64 v[200:201], v[210:211], v[200:201]
	v_fma_f64 v[218:219], v[210:211], v[198:199], -v[218:219]
	v_fma_f64 v[200:201], v[212:213], v[198:199], v[200:201]
	ds_read2_b64 v[210:213], v1 offset0:6 offset1:7
	s_waitcnt lgkmcnt(0)
	v_mul_f64 v[198:199], v[212:213], v[200:201]
	v_fma_f64 v[198:199], v[210:211], v[218:219], -v[198:199]
	v_mul_f64 v[210:211], v[210:211], v[200:201]
	v_add_f64 v[194:195], v[194:195], -v[198:199]
	v_fma_f64 v[210:211], v[212:213], v[218:219], v[210:211]
	v_add_f64 v[196:197], v[196:197], -v[210:211]
	ds_read2_b64 v[210:213], v1 offset0:8 offset1:9
	s_waitcnt lgkmcnt(0)
	v_mul_f64 v[198:199], v[212:213], v[200:201]
	v_fma_f64 v[198:199], v[210:211], v[218:219], -v[198:199]
	v_mul_f64 v[210:211], v[210:211], v[200:201]
	v_add_f64 v[190:191], v[190:191], -v[198:199]
	v_fma_f64 v[210:211], v[212:213], v[218:219], v[210:211]
	v_add_f64 v[192:193], v[192:193], -v[210:211]
	;; [unrolled: 8-line block ×48, first 2 shown]
	ds_read2_b64 v[210:213], v1 offset0:102 offset1:103
	s_waitcnt lgkmcnt(0)
	v_mul_f64 v[198:199], v[212:213], v[200:201]
	v_fma_f64 v[198:199], v[210:211], v[218:219], -v[198:199]
	v_mul_f64 v[210:211], v[210:211], v[200:201]
	v_add_f64 v[2:3], v[2:3], -v[198:199]
	v_fma_f64 v[210:211], v[212:213], v[218:219], v[210:211]
	v_mov_b32_e32 v198, v218
	v_mov_b32_e32 v199, v219
	v_add_f64 v[4:5], v[4:5], -v[210:211]
.LBB102_62:
	s_or_b32 exec_lo, exec_lo, s0
	v_lshl_add_u32 v210, v224, 4, v1
	s_barrier
	buffer_gl0_inv
	v_mov_b32_e32 v218, 3
	ds_write2_b64 v210, v[194:195], v[196:197] offset1:1
	s_waitcnt lgkmcnt(0)
	s_barrier
	buffer_gl0_inv
	ds_read2_b64 v[210:213], v1 offset0:6 offset1:7
	s_cmp_lt_i32 s8, 5
	s_mov_b32 s1, 4
	s_cbranch_scc1 .LBB102_65
; %bb.63:
	v_add3_u32 v219, v220, 0, 64
	v_mov_b32_e32 v218, 3
	s_inst_prefetch 0x1
	.p2align	6
.LBB102_64:                             ; =>This Inner Loop Header: Depth=1
	s_waitcnt lgkmcnt(0)
	v_cmp_gt_f64_e32 vcc_lo, 0, v[212:213]
	v_cmp_gt_f64_e64 s0, 0, v[210:211]
	ds_read2_b64 v[225:228], v219 offset1:1
	v_xor_b32_e32 v230, 0x80000000, v211
	v_xor_b32_e32 v232, 0x80000000, v213
	v_mov_b32_e32 v229, v210
	v_mov_b32_e32 v231, v212
	v_add_nc_u32_e32 v219, 16, v219
	s_waitcnt lgkmcnt(0)
	v_xor_b32_e32 v234, 0x80000000, v228
	v_cndmask_b32_e64 v230, v211, v230, s0
	v_cndmask_b32_e32 v232, v213, v232, vcc_lo
	v_cmp_gt_f64_e32 vcc_lo, 0, v[227:228]
	v_cmp_gt_f64_e64 s0, 0, v[225:226]
	v_mov_b32_e32 v233, v227
	v_add_f64 v[229:230], v[229:230], v[231:232]
	v_xor_b32_e32 v232, 0x80000000, v226
	v_mov_b32_e32 v231, v225
	v_cndmask_b32_e32 v234, v228, v234, vcc_lo
	v_cndmask_b32_e64 v232, v226, v232, s0
	v_add_f64 v[231:232], v[231:232], v[233:234]
	v_cmp_lt_f64_e32 vcc_lo, v[229:230], v[231:232]
	v_cndmask_b32_e32 v211, v211, v226, vcc_lo
	v_cndmask_b32_e32 v210, v210, v225, vcc_lo
	;; [unrolled: 1-line block ×4, first 2 shown]
	v_cndmask_b32_e64 v218, v218, s1, vcc_lo
	s_add_i32 s1, s1, 1
	s_cmp_lg_u32 s8, s1
	s_cbranch_scc1 .LBB102_64
.LBB102_65:
	s_inst_prefetch 0x2
	s_waitcnt lgkmcnt(0)
	v_cmp_eq_f64_e32 vcc_lo, 0, v[210:211]
	v_cmp_eq_f64_e64 s0, 0, v[212:213]
	s_and_b32 s0, vcc_lo, s0
	s_and_saveexec_b32 s1, s0
	s_xor_b32 s0, exec_lo, s1
; %bb.66:
	v_cmp_ne_u32_e32 vcc_lo, 0, v223
	v_cndmask_b32_e32 v223, 4, v223, vcc_lo
; %bb.67:
	s_andn2_saveexec_b32 s0, s0
	s_cbranch_execz .LBB102_73
; %bb.68:
	v_cmp_ngt_f64_e64 s1, |v[210:211]|, |v[212:213]|
	s_and_saveexec_b32 s7, s1
	s_xor_b32 s1, exec_lo, s7
	s_cbranch_execz .LBB102_70
; %bb.69:
	v_div_scale_f64 v[225:226], null, v[212:213], v[212:213], v[210:211]
	v_div_scale_f64 v[231:232], vcc_lo, v[210:211], v[212:213], v[210:211]
	v_rcp_f64_e32 v[227:228], v[225:226]
	v_fma_f64 v[229:230], -v[225:226], v[227:228], 1.0
	v_fma_f64 v[227:228], v[227:228], v[229:230], v[227:228]
	v_fma_f64 v[229:230], -v[225:226], v[227:228], 1.0
	v_fma_f64 v[227:228], v[227:228], v[229:230], v[227:228]
	v_mul_f64 v[229:230], v[231:232], v[227:228]
	v_fma_f64 v[225:226], -v[225:226], v[229:230], v[231:232]
	v_div_fmas_f64 v[225:226], v[225:226], v[227:228], v[229:230]
	v_div_fixup_f64 v[225:226], v[225:226], v[212:213], v[210:211]
	v_fma_f64 v[210:211], v[210:211], v[225:226], v[212:213]
	v_div_scale_f64 v[212:213], null, v[210:211], v[210:211], 1.0
	v_rcp_f64_e32 v[227:228], v[212:213]
	v_fma_f64 v[229:230], -v[212:213], v[227:228], 1.0
	v_fma_f64 v[227:228], v[227:228], v[229:230], v[227:228]
	v_fma_f64 v[229:230], -v[212:213], v[227:228], 1.0
	v_fma_f64 v[227:228], v[227:228], v[229:230], v[227:228]
	v_div_scale_f64 v[229:230], vcc_lo, 1.0, v[210:211], 1.0
	v_mul_f64 v[231:232], v[229:230], v[227:228]
	v_fma_f64 v[212:213], -v[212:213], v[231:232], v[229:230]
	v_div_fmas_f64 v[212:213], v[212:213], v[227:228], v[231:232]
	v_div_fixup_f64 v[212:213], v[212:213], v[210:211], 1.0
	v_mul_f64 v[210:211], v[225:226], v[212:213]
	v_xor_b32_e32 v213, 0x80000000, v213
.LBB102_70:
	s_andn2_saveexec_b32 s1, s1
	s_cbranch_execz .LBB102_72
; %bb.71:
	v_div_scale_f64 v[225:226], null, v[210:211], v[210:211], v[212:213]
	v_div_scale_f64 v[231:232], vcc_lo, v[212:213], v[210:211], v[212:213]
	v_rcp_f64_e32 v[227:228], v[225:226]
	v_fma_f64 v[229:230], -v[225:226], v[227:228], 1.0
	v_fma_f64 v[227:228], v[227:228], v[229:230], v[227:228]
	v_fma_f64 v[229:230], -v[225:226], v[227:228], 1.0
	v_fma_f64 v[227:228], v[227:228], v[229:230], v[227:228]
	v_mul_f64 v[229:230], v[231:232], v[227:228]
	v_fma_f64 v[225:226], -v[225:226], v[229:230], v[231:232]
	v_div_fmas_f64 v[225:226], v[225:226], v[227:228], v[229:230]
	v_div_fixup_f64 v[225:226], v[225:226], v[210:211], v[212:213]
	v_fma_f64 v[210:211], v[212:213], v[225:226], v[210:211]
	v_div_scale_f64 v[212:213], null, v[210:211], v[210:211], 1.0
	v_rcp_f64_e32 v[227:228], v[212:213]
	v_fma_f64 v[229:230], -v[212:213], v[227:228], 1.0
	v_fma_f64 v[227:228], v[227:228], v[229:230], v[227:228]
	v_fma_f64 v[229:230], -v[212:213], v[227:228], 1.0
	v_fma_f64 v[227:228], v[227:228], v[229:230], v[227:228]
	v_div_scale_f64 v[229:230], vcc_lo, 1.0, v[210:211], 1.0
	v_mul_f64 v[231:232], v[229:230], v[227:228]
	v_fma_f64 v[212:213], -v[212:213], v[231:232], v[229:230]
	v_div_fmas_f64 v[212:213], v[212:213], v[227:228], v[231:232]
	v_div_fixup_f64 v[210:211], v[212:213], v[210:211], 1.0
	v_mul_f64 v[212:213], v[225:226], -v[210:211]
.LBB102_72:
	s_or_b32 exec_lo, exec_lo, s1
.LBB102_73:
	s_or_b32 exec_lo, exec_lo, s0
	s_mov_b32 s0, exec_lo
	v_cmpx_ne_u32_e64 v224, v218
	s_xor_b32 s0, exec_lo, s0
	s_cbranch_execz .LBB102_79
; %bb.74:
	s_mov_b32 s1, exec_lo
	v_cmpx_eq_u32_e32 3, v224
	s_cbranch_execz .LBB102_78
; %bb.75:
	v_cmp_ne_u32_e32 vcc_lo, 3, v218
	s_xor_b32 s7, s16, -1
	s_and_b32 s9, s7, vcc_lo
	s_and_saveexec_b32 s7, s9
	s_cbranch_execz .LBB102_77
; %bb.76:
	v_ashrrev_i32_e32 v219, 31, v218
	v_lshlrev_b64 v[224:225], 2, v[218:219]
	v_add_co_u32 v224, vcc_lo, v216, v224
	v_add_co_ci_u32_e64 v225, null, v217, v225, vcc_lo
	s_clause 0x1
	global_load_dword v0, v[224:225], off
	global_load_dword v219, v[216:217], off offset:12
	s_waitcnt vmcnt(1)
	global_store_dword v[216:217], v0, off offset:12
	s_waitcnt vmcnt(0)
	global_store_dword v[224:225], v219, off
.LBB102_77:
	s_or_b32 exec_lo, exec_lo, s7
	v_mov_b32_e32 v224, v218
	v_mov_b32_e32 v0, v218
.LBB102_78:
	s_or_b32 exec_lo, exec_lo, s1
.LBB102_79:
	s_andn2_saveexec_b32 s0, s0
	s_cbranch_execz .LBB102_81
; %bb.80:
	v_mov_b32_e32 v224, 3
	ds_write2_b64 v1, v[190:191], v[192:193] offset0:8 offset1:9
	ds_write2_b64 v1, v[186:187], v[188:189] offset0:10 offset1:11
	;; [unrolled: 1-line block ×48, first 2 shown]
.LBB102_81:
	s_or_b32 exec_lo, exec_lo, s0
	s_mov_b32 s0, exec_lo
	s_waitcnt lgkmcnt(0)
	s_waitcnt_vscnt null, 0x0
	s_barrier
	buffer_gl0_inv
	v_cmpx_lt_i32_e32 3, v224
	s_cbranch_execz .LBB102_83
; %bb.82:
	v_mul_f64 v[218:219], v[212:213], v[196:197]
	v_mul_f64 v[196:197], v[210:211], v[196:197]
	v_fma_f64 v[218:219], v[210:211], v[194:195], -v[218:219]
	v_fma_f64 v[196:197], v[212:213], v[194:195], v[196:197]
	ds_read2_b64 v[210:213], v1 offset0:8 offset1:9
	s_waitcnt lgkmcnt(0)
	v_mul_f64 v[194:195], v[212:213], v[196:197]
	v_fma_f64 v[194:195], v[210:211], v[218:219], -v[194:195]
	v_mul_f64 v[210:211], v[210:211], v[196:197]
	v_add_f64 v[190:191], v[190:191], -v[194:195]
	v_fma_f64 v[210:211], v[212:213], v[218:219], v[210:211]
	v_add_f64 v[192:193], v[192:193], -v[210:211]
	ds_read2_b64 v[210:213], v1 offset0:10 offset1:11
	s_waitcnt lgkmcnt(0)
	v_mul_f64 v[194:195], v[212:213], v[196:197]
	v_fma_f64 v[194:195], v[210:211], v[218:219], -v[194:195]
	v_mul_f64 v[210:211], v[210:211], v[196:197]
	v_add_f64 v[186:187], v[186:187], -v[194:195]
	v_fma_f64 v[210:211], v[212:213], v[218:219], v[210:211]
	v_add_f64 v[188:189], v[188:189], -v[210:211]
	;; [unrolled: 8-line block ×47, first 2 shown]
	ds_read2_b64 v[210:213], v1 offset0:102 offset1:103
	s_waitcnt lgkmcnt(0)
	v_mul_f64 v[194:195], v[212:213], v[196:197]
	v_fma_f64 v[194:195], v[210:211], v[218:219], -v[194:195]
	v_mul_f64 v[210:211], v[210:211], v[196:197]
	v_add_f64 v[2:3], v[2:3], -v[194:195]
	v_fma_f64 v[210:211], v[212:213], v[218:219], v[210:211]
	v_mov_b32_e32 v194, v218
	v_mov_b32_e32 v195, v219
	v_add_f64 v[4:5], v[4:5], -v[210:211]
.LBB102_83:
	s_or_b32 exec_lo, exec_lo, s0
	v_lshl_add_u32 v210, v224, 4, v1
	s_barrier
	buffer_gl0_inv
	v_mov_b32_e32 v218, 4
	ds_write2_b64 v210, v[190:191], v[192:193] offset1:1
	s_waitcnt lgkmcnt(0)
	s_barrier
	buffer_gl0_inv
	ds_read2_b64 v[210:213], v1 offset0:8 offset1:9
	s_cmp_lt_i32 s8, 6
	s_cbranch_scc1 .LBB102_86
; %bb.84:
	v_mov_b32_e32 v218, 4
	v_add3_u32 v219, v220, 0, 0x50
	s_mov_b32 s1, 5
	s_inst_prefetch 0x1
	.p2align	6
.LBB102_85:                             ; =>This Inner Loop Header: Depth=1
	s_waitcnt lgkmcnt(0)
	v_cmp_gt_f64_e32 vcc_lo, 0, v[212:213]
	v_cmp_gt_f64_e64 s0, 0, v[210:211]
	ds_read2_b64 v[225:228], v219 offset1:1
	v_xor_b32_e32 v230, 0x80000000, v211
	v_xor_b32_e32 v232, 0x80000000, v213
	v_mov_b32_e32 v229, v210
	v_mov_b32_e32 v231, v212
	v_add_nc_u32_e32 v219, 16, v219
	s_waitcnt lgkmcnt(0)
	v_xor_b32_e32 v234, 0x80000000, v228
	v_cndmask_b32_e64 v230, v211, v230, s0
	v_cndmask_b32_e32 v232, v213, v232, vcc_lo
	v_cmp_gt_f64_e32 vcc_lo, 0, v[227:228]
	v_cmp_gt_f64_e64 s0, 0, v[225:226]
	v_mov_b32_e32 v233, v227
	v_add_f64 v[229:230], v[229:230], v[231:232]
	v_xor_b32_e32 v232, 0x80000000, v226
	v_mov_b32_e32 v231, v225
	v_cndmask_b32_e32 v234, v228, v234, vcc_lo
	v_cndmask_b32_e64 v232, v226, v232, s0
	v_add_f64 v[231:232], v[231:232], v[233:234]
	v_cmp_lt_f64_e32 vcc_lo, v[229:230], v[231:232]
	v_cndmask_b32_e32 v211, v211, v226, vcc_lo
	v_cndmask_b32_e32 v210, v210, v225, vcc_lo
	;; [unrolled: 1-line block ×4, first 2 shown]
	v_cndmask_b32_e64 v218, v218, s1, vcc_lo
	s_add_i32 s1, s1, 1
	s_cmp_lg_u32 s8, s1
	s_cbranch_scc1 .LBB102_85
.LBB102_86:
	s_inst_prefetch 0x2
	s_waitcnt lgkmcnt(0)
	v_cmp_eq_f64_e32 vcc_lo, 0, v[210:211]
	v_cmp_eq_f64_e64 s0, 0, v[212:213]
	s_and_b32 s0, vcc_lo, s0
	s_and_saveexec_b32 s1, s0
	s_xor_b32 s0, exec_lo, s1
; %bb.87:
	v_cmp_ne_u32_e32 vcc_lo, 0, v223
	v_cndmask_b32_e32 v223, 5, v223, vcc_lo
; %bb.88:
	s_andn2_saveexec_b32 s0, s0
	s_cbranch_execz .LBB102_94
; %bb.89:
	v_cmp_ngt_f64_e64 s1, |v[210:211]|, |v[212:213]|
	s_and_saveexec_b32 s7, s1
	s_xor_b32 s1, exec_lo, s7
	s_cbranch_execz .LBB102_91
; %bb.90:
	v_div_scale_f64 v[225:226], null, v[212:213], v[212:213], v[210:211]
	v_div_scale_f64 v[231:232], vcc_lo, v[210:211], v[212:213], v[210:211]
	v_rcp_f64_e32 v[227:228], v[225:226]
	v_fma_f64 v[229:230], -v[225:226], v[227:228], 1.0
	v_fma_f64 v[227:228], v[227:228], v[229:230], v[227:228]
	v_fma_f64 v[229:230], -v[225:226], v[227:228], 1.0
	v_fma_f64 v[227:228], v[227:228], v[229:230], v[227:228]
	v_mul_f64 v[229:230], v[231:232], v[227:228]
	v_fma_f64 v[225:226], -v[225:226], v[229:230], v[231:232]
	v_div_fmas_f64 v[225:226], v[225:226], v[227:228], v[229:230]
	v_div_fixup_f64 v[225:226], v[225:226], v[212:213], v[210:211]
	v_fma_f64 v[210:211], v[210:211], v[225:226], v[212:213]
	v_div_scale_f64 v[212:213], null, v[210:211], v[210:211], 1.0
	v_rcp_f64_e32 v[227:228], v[212:213]
	v_fma_f64 v[229:230], -v[212:213], v[227:228], 1.0
	v_fma_f64 v[227:228], v[227:228], v[229:230], v[227:228]
	v_fma_f64 v[229:230], -v[212:213], v[227:228], 1.0
	v_fma_f64 v[227:228], v[227:228], v[229:230], v[227:228]
	v_div_scale_f64 v[229:230], vcc_lo, 1.0, v[210:211], 1.0
	v_mul_f64 v[231:232], v[229:230], v[227:228]
	v_fma_f64 v[212:213], -v[212:213], v[231:232], v[229:230]
	v_div_fmas_f64 v[212:213], v[212:213], v[227:228], v[231:232]
	v_div_fixup_f64 v[212:213], v[212:213], v[210:211], 1.0
	v_mul_f64 v[210:211], v[225:226], v[212:213]
	v_xor_b32_e32 v213, 0x80000000, v213
.LBB102_91:
	s_andn2_saveexec_b32 s1, s1
	s_cbranch_execz .LBB102_93
; %bb.92:
	v_div_scale_f64 v[225:226], null, v[210:211], v[210:211], v[212:213]
	v_div_scale_f64 v[231:232], vcc_lo, v[212:213], v[210:211], v[212:213]
	v_rcp_f64_e32 v[227:228], v[225:226]
	v_fma_f64 v[229:230], -v[225:226], v[227:228], 1.0
	v_fma_f64 v[227:228], v[227:228], v[229:230], v[227:228]
	v_fma_f64 v[229:230], -v[225:226], v[227:228], 1.0
	v_fma_f64 v[227:228], v[227:228], v[229:230], v[227:228]
	v_mul_f64 v[229:230], v[231:232], v[227:228]
	v_fma_f64 v[225:226], -v[225:226], v[229:230], v[231:232]
	v_div_fmas_f64 v[225:226], v[225:226], v[227:228], v[229:230]
	v_div_fixup_f64 v[225:226], v[225:226], v[210:211], v[212:213]
	v_fma_f64 v[210:211], v[212:213], v[225:226], v[210:211]
	v_div_scale_f64 v[212:213], null, v[210:211], v[210:211], 1.0
	v_rcp_f64_e32 v[227:228], v[212:213]
	v_fma_f64 v[229:230], -v[212:213], v[227:228], 1.0
	v_fma_f64 v[227:228], v[227:228], v[229:230], v[227:228]
	v_fma_f64 v[229:230], -v[212:213], v[227:228], 1.0
	v_fma_f64 v[227:228], v[227:228], v[229:230], v[227:228]
	v_div_scale_f64 v[229:230], vcc_lo, 1.0, v[210:211], 1.0
	v_mul_f64 v[231:232], v[229:230], v[227:228]
	v_fma_f64 v[212:213], -v[212:213], v[231:232], v[229:230]
	v_div_fmas_f64 v[212:213], v[212:213], v[227:228], v[231:232]
	v_div_fixup_f64 v[210:211], v[212:213], v[210:211], 1.0
	v_mul_f64 v[212:213], v[225:226], -v[210:211]
.LBB102_93:
	s_or_b32 exec_lo, exec_lo, s1
.LBB102_94:
	s_or_b32 exec_lo, exec_lo, s0
	s_mov_b32 s0, exec_lo
	v_cmpx_ne_u32_e64 v224, v218
	s_xor_b32 s0, exec_lo, s0
	s_cbranch_execz .LBB102_100
; %bb.95:
	s_mov_b32 s1, exec_lo
	v_cmpx_eq_u32_e32 4, v224
	s_cbranch_execz .LBB102_99
; %bb.96:
	v_cmp_ne_u32_e32 vcc_lo, 4, v218
	s_xor_b32 s7, s16, -1
	s_and_b32 s9, s7, vcc_lo
	s_and_saveexec_b32 s7, s9
	s_cbranch_execz .LBB102_98
; %bb.97:
	v_ashrrev_i32_e32 v219, 31, v218
	v_lshlrev_b64 v[224:225], 2, v[218:219]
	v_add_co_u32 v224, vcc_lo, v216, v224
	v_add_co_ci_u32_e64 v225, null, v217, v225, vcc_lo
	s_clause 0x1
	global_load_dword v0, v[224:225], off
	global_load_dword v219, v[216:217], off offset:16
	s_waitcnt vmcnt(1)
	global_store_dword v[216:217], v0, off offset:16
	s_waitcnt vmcnt(0)
	global_store_dword v[224:225], v219, off
.LBB102_98:
	s_or_b32 exec_lo, exec_lo, s7
	v_mov_b32_e32 v224, v218
	v_mov_b32_e32 v0, v218
.LBB102_99:
	s_or_b32 exec_lo, exec_lo, s1
.LBB102_100:
	s_andn2_saveexec_b32 s0, s0
	s_cbranch_execz .LBB102_102
; %bb.101:
	v_mov_b32_e32 v224, 4
	ds_write2_b64 v1, v[186:187], v[188:189] offset0:10 offset1:11
	ds_write2_b64 v1, v[182:183], v[184:185] offset0:12 offset1:13
	;; [unrolled: 1-line block ×47, first 2 shown]
.LBB102_102:
	s_or_b32 exec_lo, exec_lo, s0
	s_mov_b32 s0, exec_lo
	s_waitcnt lgkmcnt(0)
	s_waitcnt_vscnt null, 0x0
	s_barrier
	buffer_gl0_inv
	v_cmpx_lt_i32_e32 4, v224
	s_cbranch_execz .LBB102_104
; %bb.103:
	v_mul_f64 v[218:219], v[212:213], v[192:193]
	v_mul_f64 v[192:193], v[210:211], v[192:193]
	v_fma_f64 v[218:219], v[210:211], v[190:191], -v[218:219]
	v_fma_f64 v[192:193], v[212:213], v[190:191], v[192:193]
	ds_read2_b64 v[210:213], v1 offset0:10 offset1:11
	s_waitcnt lgkmcnt(0)
	v_mul_f64 v[190:191], v[212:213], v[192:193]
	v_fma_f64 v[190:191], v[210:211], v[218:219], -v[190:191]
	v_mul_f64 v[210:211], v[210:211], v[192:193]
	v_add_f64 v[186:187], v[186:187], -v[190:191]
	v_fma_f64 v[210:211], v[212:213], v[218:219], v[210:211]
	v_add_f64 v[188:189], v[188:189], -v[210:211]
	ds_read2_b64 v[210:213], v1 offset0:12 offset1:13
	s_waitcnt lgkmcnt(0)
	v_mul_f64 v[190:191], v[212:213], v[192:193]
	v_fma_f64 v[190:191], v[210:211], v[218:219], -v[190:191]
	v_mul_f64 v[210:211], v[210:211], v[192:193]
	v_add_f64 v[182:183], v[182:183], -v[190:191]
	v_fma_f64 v[210:211], v[212:213], v[218:219], v[210:211]
	v_add_f64 v[184:185], v[184:185], -v[210:211]
	;; [unrolled: 8-line block ×46, first 2 shown]
	ds_read2_b64 v[210:213], v1 offset0:102 offset1:103
	s_waitcnt lgkmcnt(0)
	v_mul_f64 v[190:191], v[212:213], v[192:193]
	v_fma_f64 v[190:191], v[210:211], v[218:219], -v[190:191]
	v_mul_f64 v[210:211], v[210:211], v[192:193]
	v_add_f64 v[2:3], v[2:3], -v[190:191]
	v_fma_f64 v[210:211], v[212:213], v[218:219], v[210:211]
	v_mov_b32_e32 v190, v218
	v_mov_b32_e32 v191, v219
	v_add_f64 v[4:5], v[4:5], -v[210:211]
.LBB102_104:
	s_or_b32 exec_lo, exec_lo, s0
	v_lshl_add_u32 v210, v224, 4, v1
	s_barrier
	buffer_gl0_inv
	v_mov_b32_e32 v218, 5
	ds_write2_b64 v210, v[186:187], v[188:189] offset1:1
	s_waitcnt lgkmcnt(0)
	s_barrier
	buffer_gl0_inv
	ds_read2_b64 v[210:213], v1 offset0:10 offset1:11
	s_cmp_lt_i32 s8, 7
	s_cbranch_scc1 .LBB102_107
; %bb.105:
	v_add3_u32 v219, v220, 0, 0x60
	v_mov_b32_e32 v218, 5
	s_mov_b32 s1, 6
	s_inst_prefetch 0x1
	.p2align	6
.LBB102_106:                            ; =>This Inner Loop Header: Depth=1
	s_waitcnt lgkmcnt(0)
	v_cmp_gt_f64_e32 vcc_lo, 0, v[212:213]
	v_cmp_gt_f64_e64 s0, 0, v[210:211]
	ds_read2_b64 v[225:228], v219 offset1:1
	v_xor_b32_e32 v230, 0x80000000, v211
	v_xor_b32_e32 v232, 0x80000000, v213
	v_mov_b32_e32 v229, v210
	v_mov_b32_e32 v231, v212
	v_add_nc_u32_e32 v219, 16, v219
	s_waitcnt lgkmcnt(0)
	v_xor_b32_e32 v234, 0x80000000, v228
	v_cndmask_b32_e64 v230, v211, v230, s0
	v_cndmask_b32_e32 v232, v213, v232, vcc_lo
	v_cmp_gt_f64_e32 vcc_lo, 0, v[227:228]
	v_cmp_gt_f64_e64 s0, 0, v[225:226]
	v_mov_b32_e32 v233, v227
	v_add_f64 v[229:230], v[229:230], v[231:232]
	v_xor_b32_e32 v232, 0x80000000, v226
	v_mov_b32_e32 v231, v225
	v_cndmask_b32_e32 v234, v228, v234, vcc_lo
	v_cndmask_b32_e64 v232, v226, v232, s0
	v_add_f64 v[231:232], v[231:232], v[233:234]
	v_cmp_lt_f64_e32 vcc_lo, v[229:230], v[231:232]
	v_cndmask_b32_e32 v211, v211, v226, vcc_lo
	v_cndmask_b32_e32 v210, v210, v225, vcc_lo
	;; [unrolled: 1-line block ×4, first 2 shown]
	v_cndmask_b32_e64 v218, v218, s1, vcc_lo
	s_add_i32 s1, s1, 1
	s_cmp_lg_u32 s8, s1
	s_cbranch_scc1 .LBB102_106
.LBB102_107:
	s_inst_prefetch 0x2
	s_waitcnt lgkmcnt(0)
	v_cmp_eq_f64_e32 vcc_lo, 0, v[210:211]
	v_cmp_eq_f64_e64 s0, 0, v[212:213]
	s_and_b32 s0, vcc_lo, s0
	s_and_saveexec_b32 s1, s0
	s_xor_b32 s0, exec_lo, s1
; %bb.108:
	v_cmp_ne_u32_e32 vcc_lo, 0, v223
	v_cndmask_b32_e32 v223, 6, v223, vcc_lo
; %bb.109:
	s_andn2_saveexec_b32 s0, s0
	s_cbranch_execz .LBB102_115
; %bb.110:
	v_cmp_ngt_f64_e64 s1, |v[210:211]|, |v[212:213]|
	s_and_saveexec_b32 s7, s1
	s_xor_b32 s1, exec_lo, s7
	s_cbranch_execz .LBB102_112
; %bb.111:
	v_div_scale_f64 v[225:226], null, v[212:213], v[212:213], v[210:211]
	v_div_scale_f64 v[231:232], vcc_lo, v[210:211], v[212:213], v[210:211]
	v_rcp_f64_e32 v[227:228], v[225:226]
	v_fma_f64 v[229:230], -v[225:226], v[227:228], 1.0
	v_fma_f64 v[227:228], v[227:228], v[229:230], v[227:228]
	v_fma_f64 v[229:230], -v[225:226], v[227:228], 1.0
	v_fma_f64 v[227:228], v[227:228], v[229:230], v[227:228]
	v_mul_f64 v[229:230], v[231:232], v[227:228]
	v_fma_f64 v[225:226], -v[225:226], v[229:230], v[231:232]
	v_div_fmas_f64 v[225:226], v[225:226], v[227:228], v[229:230]
	v_div_fixup_f64 v[225:226], v[225:226], v[212:213], v[210:211]
	v_fma_f64 v[210:211], v[210:211], v[225:226], v[212:213]
	v_div_scale_f64 v[212:213], null, v[210:211], v[210:211], 1.0
	v_rcp_f64_e32 v[227:228], v[212:213]
	v_fma_f64 v[229:230], -v[212:213], v[227:228], 1.0
	v_fma_f64 v[227:228], v[227:228], v[229:230], v[227:228]
	v_fma_f64 v[229:230], -v[212:213], v[227:228], 1.0
	v_fma_f64 v[227:228], v[227:228], v[229:230], v[227:228]
	v_div_scale_f64 v[229:230], vcc_lo, 1.0, v[210:211], 1.0
	v_mul_f64 v[231:232], v[229:230], v[227:228]
	v_fma_f64 v[212:213], -v[212:213], v[231:232], v[229:230]
	v_div_fmas_f64 v[212:213], v[212:213], v[227:228], v[231:232]
	v_div_fixup_f64 v[212:213], v[212:213], v[210:211], 1.0
	v_mul_f64 v[210:211], v[225:226], v[212:213]
	v_xor_b32_e32 v213, 0x80000000, v213
.LBB102_112:
	s_andn2_saveexec_b32 s1, s1
	s_cbranch_execz .LBB102_114
; %bb.113:
	v_div_scale_f64 v[225:226], null, v[210:211], v[210:211], v[212:213]
	v_div_scale_f64 v[231:232], vcc_lo, v[212:213], v[210:211], v[212:213]
	v_rcp_f64_e32 v[227:228], v[225:226]
	v_fma_f64 v[229:230], -v[225:226], v[227:228], 1.0
	v_fma_f64 v[227:228], v[227:228], v[229:230], v[227:228]
	v_fma_f64 v[229:230], -v[225:226], v[227:228], 1.0
	v_fma_f64 v[227:228], v[227:228], v[229:230], v[227:228]
	v_mul_f64 v[229:230], v[231:232], v[227:228]
	v_fma_f64 v[225:226], -v[225:226], v[229:230], v[231:232]
	v_div_fmas_f64 v[225:226], v[225:226], v[227:228], v[229:230]
	v_div_fixup_f64 v[225:226], v[225:226], v[210:211], v[212:213]
	v_fma_f64 v[210:211], v[212:213], v[225:226], v[210:211]
	v_div_scale_f64 v[212:213], null, v[210:211], v[210:211], 1.0
	v_rcp_f64_e32 v[227:228], v[212:213]
	v_fma_f64 v[229:230], -v[212:213], v[227:228], 1.0
	v_fma_f64 v[227:228], v[227:228], v[229:230], v[227:228]
	v_fma_f64 v[229:230], -v[212:213], v[227:228], 1.0
	v_fma_f64 v[227:228], v[227:228], v[229:230], v[227:228]
	v_div_scale_f64 v[229:230], vcc_lo, 1.0, v[210:211], 1.0
	v_mul_f64 v[231:232], v[229:230], v[227:228]
	v_fma_f64 v[212:213], -v[212:213], v[231:232], v[229:230]
	v_div_fmas_f64 v[212:213], v[212:213], v[227:228], v[231:232]
	v_div_fixup_f64 v[210:211], v[212:213], v[210:211], 1.0
	v_mul_f64 v[212:213], v[225:226], -v[210:211]
.LBB102_114:
	s_or_b32 exec_lo, exec_lo, s1
.LBB102_115:
	s_or_b32 exec_lo, exec_lo, s0
	s_mov_b32 s0, exec_lo
	v_cmpx_ne_u32_e64 v224, v218
	s_xor_b32 s0, exec_lo, s0
	s_cbranch_execz .LBB102_121
; %bb.116:
	s_mov_b32 s1, exec_lo
	v_cmpx_eq_u32_e32 5, v224
	s_cbranch_execz .LBB102_120
; %bb.117:
	v_cmp_ne_u32_e32 vcc_lo, 5, v218
	s_xor_b32 s7, s16, -1
	s_and_b32 s9, s7, vcc_lo
	s_and_saveexec_b32 s7, s9
	s_cbranch_execz .LBB102_119
; %bb.118:
	v_ashrrev_i32_e32 v219, 31, v218
	v_lshlrev_b64 v[224:225], 2, v[218:219]
	v_add_co_u32 v224, vcc_lo, v216, v224
	v_add_co_ci_u32_e64 v225, null, v217, v225, vcc_lo
	s_clause 0x1
	global_load_dword v0, v[224:225], off
	global_load_dword v219, v[216:217], off offset:20
	s_waitcnt vmcnt(1)
	global_store_dword v[216:217], v0, off offset:20
	s_waitcnt vmcnt(0)
	global_store_dword v[224:225], v219, off
.LBB102_119:
	s_or_b32 exec_lo, exec_lo, s7
	v_mov_b32_e32 v224, v218
	v_mov_b32_e32 v0, v218
.LBB102_120:
	s_or_b32 exec_lo, exec_lo, s1
.LBB102_121:
	s_andn2_saveexec_b32 s0, s0
	s_cbranch_execz .LBB102_123
; %bb.122:
	v_mov_b32_e32 v224, 5
	ds_write2_b64 v1, v[182:183], v[184:185] offset0:12 offset1:13
	ds_write2_b64 v1, v[178:179], v[180:181] offset0:14 offset1:15
	;; [unrolled: 1-line block ×46, first 2 shown]
.LBB102_123:
	s_or_b32 exec_lo, exec_lo, s0
	s_mov_b32 s0, exec_lo
	s_waitcnt lgkmcnt(0)
	s_waitcnt_vscnt null, 0x0
	s_barrier
	buffer_gl0_inv
	v_cmpx_lt_i32_e32 5, v224
	s_cbranch_execz .LBB102_125
; %bb.124:
	v_mul_f64 v[218:219], v[212:213], v[188:189]
	v_mul_f64 v[188:189], v[210:211], v[188:189]
	v_fma_f64 v[218:219], v[210:211], v[186:187], -v[218:219]
	v_fma_f64 v[188:189], v[212:213], v[186:187], v[188:189]
	ds_read2_b64 v[210:213], v1 offset0:12 offset1:13
	s_waitcnt lgkmcnt(0)
	v_mul_f64 v[186:187], v[212:213], v[188:189]
	v_fma_f64 v[186:187], v[210:211], v[218:219], -v[186:187]
	v_mul_f64 v[210:211], v[210:211], v[188:189]
	v_add_f64 v[182:183], v[182:183], -v[186:187]
	v_fma_f64 v[210:211], v[212:213], v[218:219], v[210:211]
	v_add_f64 v[184:185], v[184:185], -v[210:211]
	ds_read2_b64 v[210:213], v1 offset0:14 offset1:15
	s_waitcnt lgkmcnt(0)
	v_mul_f64 v[186:187], v[212:213], v[188:189]
	v_fma_f64 v[186:187], v[210:211], v[218:219], -v[186:187]
	v_mul_f64 v[210:211], v[210:211], v[188:189]
	v_add_f64 v[178:179], v[178:179], -v[186:187]
	v_fma_f64 v[210:211], v[212:213], v[218:219], v[210:211]
	v_add_f64 v[180:181], v[180:181], -v[210:211]
	ds_read2_b64 v[210:213], v1 offset0:16 offset1:17
	s_waitcnt lgkmcnt(0)
	v_mul_f64 v[186:187], v[212:213], v[188:189]
	v_fma_f64 v[186:187], v[210:211], v[218:219], -v[186:187]
	v_mul_f64 v[210:211], v[210:211], v[188:189]
	v_add_f64 v[174:175], v[174:175], -v[186:187]
	v_fma_f64 v[210:211], v[212:213], v[218:219], v[210:211]
	v_add_f64 v[176:177], v[176:177], -v[210:211]
	ds_read2_b64 v[210:213], v1 offset0:18 offset1:19
	s_waitcnt lgkmcnt(0)
	v_mul_f64 v[186:187], v[212:213], v[188:189]
	v_fma_f64 v[186:187], v[210:211], v[218:219], -v[186:187]
	v_mul_f64 v[210:211], v[210:211], v[188:189]
	v_add_f64 v[170:171], v[170:171], -v[186:187]
	v_fma_f64 v[210:211], v[212:213], v[218:219], v[210:211]
	v_add_f64 v[172:173], v[172:173], -v[210:211]
	ds_read2_b64 v[210:213], v1 offset0:20 offset1:21
	s_waitcnt lgkmcnt(0)
	v_mul_f64 v[186:187], v[212:213], v[188:189]
	v_fma_f64 v[186:187], v[210:211], v[218:219], -v[186:187]
	v_mul_f64 v[210:211], v[210:211], v[188:189]
	v_add_f64 v[166:167], v[166:167], -v[186:187]
	v_fma_f64 v[210:211], v[212:213], v[218:219], v[210:211]
	v_add_f64 v[168:169], v[168:169], -v[210:211]
	ds_read2_b64 v[210:213], v1 offset0:22 offset1:23
	s_waitcnt lgkmcnt(0)
	v_mul_f64 v[186:187], v[212:213], v[188:189]
	v_fma_f64 v[186:187], v[210:211], v[218:219], -v[186:187]
	v_mul_f64 v[210:211], v[210:211], v[188:189]
	v_add_f64 v[162:163], v[162:163], -v[186:187]
	v_fma_f64 v[210:211], v[212:213], v[218:219], v[210:211]
	v_add_f64 v[164:165], v[164:165], -v[210:211]
	ds_read2_b64 v[210:213], v1 offset0:24 offset1:25
	s_waitcnt lgkmcnt(0)
	v_mul_f64 v[186:187], v[212:213], v[188:189]
	v_fma_f64 v[186:187], v[210:211], v[218:219], -v[186:187]
	v_mul_f64 v[210:211], v[210:211], v[188:189]
	v_add_f64 v[158:159], v[158:159], -v[186:187]
	v_fma_f64 v[210:211], v[212:213], v[218:219], v[210:211]
	v_add_f64 v[160:161], v[160:161], -v[210:211]
	ds_read2_b64 v[210:213], v1 offset0:26 offset1:27
	s_waitcnt lgkmcnt(0)
	v_mul_f64 v[186:187], v[212:213], v[188:189]
	v_fma_f64 v[186:187], v[210:211], v[218:219], -v[186:187]
	v_mul_f64 v[210:211], v[210:211], v[188:189]
	v_add_f64 v[154:155], v[154:155], -v[186:187]
	v_fma_f64 v[210:211], v[212:213], v[218:219], v[210:211]
	v_add_f64 v[156:157], v[156:157], -v[210:211]
	ds_read2_b64 v[210:213], v1 offset0:28 offset1:29
	s_waitcnt lgkmcnt(0)
	v_mul_f64 v[186:187], v[212:213], v[188:189]
	v_fma_f64 v[186:187], v[210:211], v[218:219], -v[186:187]
	v_mul_f64 v[210:211], v[210:211], v[188:189]
	v_add_f64 v[150:151], v[150:151], -v[186:187]
	v_fma_f64 v[210:211], v[212:213], v[218:219], v[210:211]
	v_add_f64 v[152:153], v[152:153], -v[210:211]
	ds_read2_b64 v[210:213], v1 offset0:30 offset1:31
	s_waitcnt lgkmcnt(0)
	v_mul_f64 v[186:187], v[212:213], v[188:189]
	v_fma_f64 v[186:187], v[210:211], v[218:219], -v[186:187]
	v_mul_f64 v[210:211], v[210:211], v[188:189]
	v_add_f64 v[146:147], v[146:147], -v[186:187]
	v_fma_f64 v[210:211], v[212:213], v[218:219], v[210:211]
	v_add_f64 v[148:149], v[148:149], -v[210:211]
	ds_read2_b64 v[210:213], v1 offset0:32 offset1:33
	s_waitcnt lgkmcnt(0)
	v_mul_f64 v[186:187], v[212:213], v[188:189]
	v_fma_f64 v[186:187], v[210:211], v[218:219], -v[186:187]
	v_mul_f64 v[210:211], v[210:211], v[188:189]
	v_add_f64 v[142:143], v[142:143], -v[186:187]
	v_fma_f64 v[210:211], v[212:213], v[218:219], v[210:211]
	v_add_f64 v[144:145], v[144:145], -v[210:211]
	ds_read2_b64 v[210:213], v1 offset0:34 offset1:35
	s_waitcnt lgkmcnt(0)
	v_mul_f64 v[186:187], v[212:213], v[188:189]
	v_fma_f64 v[186:187], v[210:211], v[218:219], -v[186:187]
	v_mul_f64 v[210:211], v[210:211], v[188:189]
	v_add_f64 v[138:139], v[138:139], -v[186:187]
	v_fma_f64 v[210:211], v[212:213], v[218:219], v[210:211]
	v_add_f64 v[140:141], v[140:141], -v[210:211]
	ds_read2_b64 v[210:213], v1 offset0:36 offset1:37
	s_waitcnt lgkmcnt(0)
	v_mul_f64 v[186:187], v[212:213], v[188:189]
	v_fma_f64 v[186:187], v[210:211], v[218:219], -v[186:187]
	v_mul_f64 v[210:211], v[210:211], v[188:189]
	v_add_f64 v[134:135], v[134:135], -v[186:187]
	v_fma_f64 v[210:211], v[212:213], v[218:219], v[210:211]
	v_add_f64 v[136:137], v[136:137], -v[210:211]
	ds_read2_b64 v[210:213], v1 offset0:38 offset1:39
	s_waitcnt lgkmcnt(0)
	v_mul_f64 v[186:187], v[212:213], v[188:189]
	v_fma_f64 v[186:187], v[210:211], v[218:219], -v[186:187]
	v_mul_f64 v[210:211], v[210:211], v[188:189]
	v_add_f64 v[130:131], v[130:131], -v[186:187]
	v_fma_f64 v[210:211], v[212:213], v[218:219], v[210:211]
	v_add_f64 v[132:133], v[132:133], -v[210:211]
	ds_read2_b64 v[210:213], v1 offset0:40 offset1:41
	s_waitcnt lgkmcnt(0)
	v_mul_f64 v[186:187], v[212:213], v[188:189]
	v_fma_f64 v[186:187], v[210:211], v[218:219], -v[186:187]
	v_mul_f64 v[210:211], v[210:211], v[188:189]
	v_add_f64 v[126:127], v[126:127], -v[186:187]
	v_fma_f64 v[210:211], v[212:213], v[218:219], v[210:211]
	v_add_f64 v[128:129], v[128:129], -v[210:211]
	ds_read2_b64 v[210:213], v1 offset0:42 offset1:43
	s_waitcnt lgkmcnt(0)
	v_mul_f64 v[186:187], v[212:213], v[188:189]
	v_fma_f64 v[186:187], v[210:211], v[218:219], -v[186:187]
	v_mul_f64 v[210:211], v[210:211], v[188:189]
	v_add_f64 v[122:123], v[122:123], -v[186:187]
	v_fma_f64 v[210:211], v[212:213], v[218:219], v[210:211]
	v_add_f64 v[124:125], v[124:125], -v[210:211]
	ds_read2_b64 v[210:213], v1 offset0:44 offset1:45
	s_waitcnt lgkmcnt(0)
	v_mul_f64 v[186:187], v[212:213], v[188:189]
	v_fma_f64 v[186:187], v[210:211], v[218:219], -v[186:187]
	v_mul_f64 v[210:211], v[210:211], v[188:189]
	v_add_f64 v[118:119], v[118:119], -v[186:187]
	v_fma_f64 v[210:211], v[212:213], v[218:219], v[210:211]
	v_add_f64 v[120:121], v[120:121], -v[210:211]
	ds_read2_b64 v[210:213], v1 offset0:46 offset1:47
	s_waitcnt lgkmcnt(0)
	v_mul_f64 v[186:187], v[212:213], v[188:189]
	v_fma_f64 v[186:187], v[210:211], v[218:219], -v[186:187]
	v_mul_f64 v[210:211], v[210:211], v[188:189]
	v_add_f64 v[114:115], v[114:115], -v[186:187]
	v_fma_f64 v[210:211], v[212:213], v[218:219], v[210:211]
	v_add_f64 v[116:117], v[116:117], -v[210:211]
	ds_read2_b64 v[210:213], v1 offset0:48 offset1:49
	s_waitcnt lgkmcnt(0)
	v_mul_f64 v[186:187], v[212:213], v[188:189]
	v_fma_f64 v[186:187], v[210:211], v[218:219], -v[186:187]
	v_mul_f64 v[210:211], v[210:211], v[188:189]
	v_add_f64 v[110:111], v[110:111], -v[186:187]
	v_fma_f64 v[210:211], v[212:213], v[218:219], v[210:211]
	v_add_f64 v[112:113], v[112:113], -v[210:211]
	ds_read2_b64 v[210:213], v1 offset0:50 offset1:51
	s_waitcnt lgkmcnt(0)
	v_mul_f64 v[186:187], v[212:213], v[188:189]
	v_fma_f64 v[186:187], v[210:211], v[218:219], -v[186:187]
	v_mul_f64 v[210:211], v[210:211], v[188:189]
	v_add_f64 v[106:107], v[106:107], -v[186:187]
	v_fma_f64 v[210:211], v[212:213], v[218:219], v[210:211]
	v_add_f64 v[108:109], v[108:109], -v[210:211]
	ds_read2_b64 v[210:213], v1 offset0:52 offset1:53
	s_waitcnt lgkmcnt(0)
	v_mul_f64 v[186:187], v[212:213], v[188:189]
	v_fma_f64 v[186:187], v[210:211], v[218:219], -v[186:187]
	v_mul_f64 v[210:211], v[210:211], v[188:189]
	v_add_f64 v[102:103], v[102:103], -v[186:187]
	v_fma_f64 v[210:211], v[212:213], v[218:219], v[210:211]
	v_add_f64 v[104:105], v[104:105], -v[210:211]
	ds_read2_b64 v[210:213], v1 offset0:54 offset1:55
	s_waitcnt lgkmcnt(0)
	v_mul_f64 v[186:187], v[212:213], v[188:189]
	v_fma_f64 v[186:187], v[210:211], v[218:219], -v[186:187]
	v_mul_f64 v[210:211], v[210:211], v[188:189]
	v_add_f64 v[98:99], v[98:99], -v[186:187]
	v_fma_f64 v[210:211], v[212:213], v[218:219], v[210:211]
	v_add_f64 v[100:101], v[100:101], -v[210:211]
	ds_read2_b64 v[210:213], v1 offset0:56 offset1:57
	s_waitcnt lgkmcnt(0)
	v_mul_f64 v[186:187], v[212:213], v[188:189]
	v_fma_f64 v[186:187], v[210:211], v[218:219], -v[186:187]
	v_mul_f64 v[210:211], v[210:211], v[188:189]
	v_add_f64 v[94:95], v[94:95], -v[186:187]
	v_fma_f64 v[210:211], v[212:213], v[218:219], v[210:211]
	v_add_f64 v[96:97], v[96:97], -v[210:211]
	ds_read2_b64 v[210:213], v1 offset0:58 offset1:59
	s_waitcnt lgkmcnt(0)
	v_mul_f64 v[186:187], v[212:213], v[188:189]
	v_fma_f64 v[186:187], v[210:211], v[218:219], -v[186:187]
	v_mul_f64 v[210:211], v[210:211], v[188:189]
	v_add_f64 v[90:91], v[90:91], -v[186:187]
	v_fma_f64 v[210:211], v[212:213], v[218:219], v[210:211]
	v_add_f64 v[92:93], v[92:93], -v[210:211]
	ds_read2_b64 v[210:213], v1 offset0:60 offset1:61
	s_waitcnt lgkmcnt(0)
	v_mul_f64 v[186:187], v[212:213], v[188:189]
	v_fma_f64 v[186:187], v[210:211], v[218:219], -v[186:187]
	v_mul_f64 v[210:211], v[210:211], v[188:189]
	v_add_f64 v[86:87], v[86:87], -v[186:187]
	v_fma_f64 v[210:211], v[212:213], v[218:219], v[210:211]
	v_add_f64 v[88:89], v[88:89], -v[210:211]
	ds_read2_b64 v[210:213], v1 offset0:62 offset1:63
	s_waitcnt lgkmcnt(0)
	v_mul_f64 v[186:187], v[212:213], v[188:189]
	v_fma_f64 v[186:187], v[210:211], v[218:219], -v[186:187]
	v_mul_f64 v[210:211], v[210:211], v[188:189]
	v_add_f64 v[82:83], v[82:83], -v[186:187]
	v_fma_f64 v[210:211], v[212:213], v[218:219], v[210:211]
	v_add_f64 v[84:85], v[84:85], -v[210:211]
	ds_read2_b64 v[210:213], v1 offset0:64 offset1:65
	s_waitcnt lgkmcnt(0)
	v_mul_f64 v[186:187], v[212:213], v[188:189]
	v_fma_f64 v[186:187], v[210:211], v[218:219], -v[186:187]
	v_mul_f64 v[210:211], v[210:211], v[188:189]
	v_add_f64 v[78:79], v[78:79], -v[186:187]
	v_fma_f64 v[210:211], v[212:213], v[218:219], v[210:211]
	v_add_f64 v[80:81], v[80:81], -v[210:211]
	ds_read2_b64 v[210:213], v1 offset0:66 offset1:67
	s_waitcnt lgkmcnt(0)
	v_mul_f64 v[186:187], v[212:213], v[188:189]
	v_fma_f64 v[186:187], v[210:211], v[218:219], -v[186:187]
	v_mul_f64 v[210:211], v[210:211], v[188:189]
	v_add_f64 v[74:75], v[74:75], -v[186:187]
	v_fma_f64 v[210:211], v[212:213], v[218:219], v[210:211]
	v_add_f64 v[76:77], v[76:77], -v[210:211]
	ds_read2_b64 v[210:213], v1 offset0:68 offset1:69
	s_waitcnt lgkmcnt(0)
	v_mul_f64 v[186:187], v[212:213], v[188:189]
	v_fma_f64 v[186:187], v[210:211], v[218:219], -v[186:187]
	v_mul_f64 v[210:211], v[210:211], v[188:189]
	v_add_f64 v[70:71], v[70:71], -v[186:187]
	v_fma_f64 v[210:211], v[212:213], v[218:219], v[210:211]
	v_add_f64 v[72:73], v[72:73], -v[210:211]
	ds_read2_b64 v[210:213], v1 offset0:70 offset1:71
	s_waitcnt lgkmcnt(0)
	v_mul_f64 v[186:187], v[212:213], v[188:189]
	v_fma_f64 v[186:187], v[210:211], v[218:219], -v[186:187]
	v_mul_f64 v[210:211], v[210:211], v[188:189]
	v_add_f64 v[66:67], v[66:67], -v[186:187]
	v_fma_f64 v[210:211], v[212:213], v[218:219], v[210:211]
	v_add_f64 v[68:69], v[68:69], -v[210:211]
	ds_read2_b64 v[210:213], v1 offset0:72 offset1:73
	s_waitcnt lgkmcnt(0)
	v_mul_f64 v[186:187], v[212:213], v[188:189]
	v_fma_f64 v[186:187], v[210:211], v[218:219], -v[186:187]
	v_mul_f64 v[210:211], v[210:211], v[188:189]
	v_add_f64 v[62:63], v[62:63], -v[186:187]
	v_fma_f64 v[210:211], v[212:213], v[218:219], v[210:211]
	v_add_f64 v[64:65], v[64:65], -v[210:211]
	ds_read2_b64 v[210:213], v1 offset0:74 offset1:75
	s_waitcnt lgkmcnt(0)
	v_mul_f64 v[186:187], v[212:213], v[188:189]
	v_fma_f64 v[186:187], v[210:211], v[218:219], -v[186:187]
	v_mul_f64 v[210:211], v[210:211], v[188:189]
	v_add_f64 v[58:59], v[58:59], -v[186:187]
	v_fma_f64 v[210:211], v[212:213], v[218:219], v[210:211]
	v_add_f64 v[60:61], v[60:61], -v[210:211]
	ds_read2_b64 v[210:213], v1 offset0:76 offset1:77
	s_waitcnt lgkmcnt(0)
	v_mul_f64 v[186:187], v[212:213], v[188:189]
	v_fma_f64 v[186:187], v[210:211], v[218:219], -v[186:187]
	v_mul_f64 v[210:211], v[210:211], v[188:189]
	v_add_f64 v[54:55], v[54:55], -v[186:187]
	v_fma_f64 v[210:211], v[212:213], v[218:219], v[210:211]
	v_add_f64 v[56:57], v[56:57], -v[210:211]
	ds_read2_b64 v[210:213], v1 offset0:78 offset1:79
	s_waitcnt lgkmcnt(0)
	v_mul_f64 v[186:187], v[212:213], v[188:189]
	v_fma_f64 v[186:187], v[210:211], v[218:219], -v[186:187]
	v_mul_f64 v[210:211], v[210:211], v[188:189]
	v_add_f64 v[50:51], v[50:51], -v[186:187]
	v_fma_f64 v[210:211], v[212:213], v[218:219], v[210:211]
	v_add_f64 v[52:53], v[52:53], -v[210:211]
	ds_read2_b64 v[210:213], v1 offset0:80 offset1:81
	s_waitcnt lgkmcnt(0)
	v_mul_f64 v[186:187], v[212:213], v[188:189]
	v_fma_f64 v[186:187], v[210:211], v[218:219], -v[186:187]
	v_mul_f64 v[210:211], v[210:211], v[188:189]
	v_add_f64 v[46:47], v[46:47], -v[186:187]
	v_fma_f64 v[210:211], v[212:213], v[218:219], v[210:211]
	v_add_f64 v[48:49], v[48:49], -v[210:211]
	ds_read2_b64 v[210:213], v1 offset0:82 offset1:83
	s_waitcnt lgkmcnt(0)
	v_mul_f64 v[186:187], v[212:213], v[188:189]
	v_fma_f64 v[186:187], v[210:211], v[218:219], -v[186:187]
	v_mul_f64 v[210:211], v[210:211], v[188:189]
	v_add_f64 v[42:43], v[42:43], -v[186:187]
	v_fma_f64 v[210:211], v[212:213], v[218:219], v[210:211]
	v_add_f64 v[44:45], v[44:45], -v[210:211]
	ds_read2_b64 v[210:213], v1 offset0:84 offset1:85
	s_waitcnt lgkmcnt(0)
	v_mul_f64 v[186:187], v[212:213], v[188:189]
	v_fma_f64 v[186:187], v[210:211], v[218:219], -v[186:187]
	v_mul_f64 v[210:211], v[210:211], v[188:189]
	v_add_f64 v[38:39], v[38:39], -v[186:187]
	v_fma_f64 v[210:211], v[212:213], v[218:219], v[210:211]
	v_add_f64 v[40:41], v[40:41], -v[210:211]
	ds_read2_b64 v[210:213], v1 offset0:86 offset1:87
	s_waitcnt lgkmcnt(0)
	v_mul_f64 v[186:187], v[212:213], v[188:189]
	v_fma_f64 v[186:187], v[210:211], v[218:219], -v[186:187]
	v_mul_f64 v[210:211], v[210:211], v[188:189]
	v_add_f64 v[34:35], v[34:35], -v[186:187]
	v_fma_f64 v[210:211], v[212:213], v[218:219], v[210:211]
	v_add_f64 v[36:37], v[36:37], -v[210:211]
	ds_read2_b64 v[210:213], v1 offset0:88 offset1:89
	s_waitcnt lgkmcnt(0)
	v_mul_f64 v[186:187], v[212:213], v[188:189]
	v_fma_f64 v[186:187], v[210:211], v[218:219], -v[186:187]
	v_mul_f64 v[210:211], v[210:211], v[188:189]
	v_add_f64 v[30:31], v[30:31], -v[186:187]
	v_fma_f64 v[210:211], v[212:213], v[218:219], v[210:211]
	v_add_f64 v[32:33], v[32:33], -v[210:211]
	ds_read2_b64 v[210:213], v1 offset0:90 offset1:91
	s_waitcnt lgkmcnt(0)
	v_mul_f64 v[186:187], v[212:213], v[188:189]
	v_fma_f64 v[186:187], v[210:211], v[218:219], -v[186:187]
	v_mul_f64 v[210:211], v[210:211], v[188:189]
	v_add_f64 v[26:27], v[26:27], -v[186:187]
	v_fma_f64 v[210:211], v[212:213], v[218:219], v[210:211]
	v_add_f64 v[28:29], v[28:29], -v[210:211]
	ds_read2_b64 v[210:213], v1 offset0:92 offset1:93
	s_waitcnt lgkmcnt(0)
	v_mul_f64 v[186:187], v[212:213], v[188:189]
	v_fma_f64 v[186:187], v[210:211], v[218:219], -v[186:187]
	v_mul_f64 v[210:211], v[210:211], v[188:189]
	v_add_f64 v[22:23], v[22:23], -v[186:187]
	v_fma_f64 v[210:211], v[212:213], v[218:219], v[210:211]
	v_add_f64 v[24:25], v[24:25], -v[210:211]
	ds_read2_b64 v[210:213], v1 offset0:94 offset1:95
	s_waitcnt lgkmcnt(0)
	v_mul_f64 v[186:187], v[212:213], v[188:189]
	v_fma_f64 v[186:187], v[210:211], v[218:219], -v[186:187]
	v_mul_f64 v[210:211], v[210:211], v[188:189]
	v_add_f64 v[18:19], v[18:19], -v[186:187]
	v_fma_f64 v[210:211], v[212:213], v[218:219], v[210:211]
	v_add_f64 v[20:21], v[20:21], -v[210:211]
	ds_read2_b64 v[210:213], v1 offset0:96 offset1:97
	s_waitcnt lgkmcnt(0)
	v_mul_f64 v[186:187], v[212:213], v[188:189]
	v_fma_f64 v[186:187], v[210:211], v[218:219], -v[186:187]
	v_mul_f64 v[210:211], v[210:211], v[188:189]
	v_add_f64 v[14:15], v[14:15], -v[186:187]
	v_fma_f64 v[210:211], v[212:213], v[218:219], v[210:211]
	v_add_f64 v[16:17], v[16:17], -v[210:211]
	ds_read2_b64 v[210:213], v1 offset0:98 offset1:99
	s_waitcnt lgkmcnt(0)
	v_mul_f64 v[186:187], v[212:213], v[188:189]
	v_fma_f64 v[186:187], v[210:211], v[218:219], -v[186:187]
	v_mul_f64 v[210:211], v[210:211], v[188:189]
	v_add_f64 v[10:11], v[10:11], -v[186:187]
	v_fma_f64 v[210:211], v[212:213], v[218:219], v[210:211]
	v_add_f64 v[12:13], v[12:13], -v[210:211]
	ds_read2_b64 v[210:213], v1 offset0:100 offset1:101
	s_waitcnt lgkmcnt(0)
	v_mul_f64 v[186:187], v[212:213], v[188:189]
	v_fma_f64 v[186:187], v[210:211], v[218:219], -v[186:187]
	v_mul_f64 v[210:211], v[210:211], v[188:189]
	v_add_f64 v[6:7], v[6:7], -v[186:187]
	v_fma_f64 v[210:211], v[212:213], v[218:219], v[210:211]
	v_add_f64 v[8:9], v[8:9], -v[210:211]
	ds_read2_b64 v[210:213], v1 offset0:102 offset1:103
	s_waitcnt lgkmcnt(0)
	v_mul_f64 v[186:187], v[212:213], v[188:189]
	v_fma_f64 v[186:187], v[210:211], v[218:219], -v[186:187]
	v_mul_f64 v[210:211], v[210:211], v[188:189]
	v_add_f64 v[2:3], v[2:3], -v[186:187]
	v_fma_f64 v[210:211], v[212:213], v[218:219], v[210:211]
	v_mov_b32_e32 v186, v218
	v_mov_b32_e32 v187, v219
	v_add_f64 v[4:5], v[4:5], -v[210:211]
.LBB102_125:
	s_or_b32 exec_lo, exec_lo, s0
	v_lshl_add_u32 v210, v224, 4, v1
	s_barrier
	buffer_gl0_inv
	v_mov_b32_e32 v218, 6
	ds_write2_b64 v210, v[182:183], v[184:185] offset1:1
	s_waitcnt lgkmcnt(0)
	s_barrier
	buffer_gl0_inv
	ds_read2_b64 v[210:213], v1 offset0:12 offset1:13
	s_cmp_lt_i32 s8, 8
	s_cbranch_scc1 .LBB102_128
; %bb.126:
	v_add3_u32 v219, v220, 0, 0x70
	v_mov_b32_e32 v218, 6
	s_mov_b32 s1, 7
	s_inst_prefetch 0x1
	.p2align	6
.LBB102_127:                            ; =>This Inner Loop Header: Depth=1
	s_waitcnt lgkmcnt(0)
	v_cmp_gt_f64_e32 vcc_lo, 0, v[212:213]
	v_cmp_gt_f64_e64 s0, 0, v[210:211]
	ds_read2_b64 v[225:228], v219 offset1:1
	v_xor_b32_e32 v230, 0x80000000, v211
	v_xor_b32_e32 v232, 0x80000000, v213
	v_mov_b32_e32 v229, v210
	v_mov_b32_e32 v231, v212
	v_add_nc_u32_e32 v219, 16, v219
	s_waitcnt lgkmcnt(0)
	v_xor_b32_e32 v234, 0x80000000, v228
	v_cndmask_b32_e64 v230, v211, v230, s0
	v_cndmask_b32_e32 v232, v213, v232, vcc_lo
	v_cmp_gt_f64_e32 vcc_lo, 0, v[227:228]
	v_cmp_gt_f64_e64 s0, 0, v[225:226]
	v_mov_b32_e32 v233, v227
	v_add_f64 v[229:230], v[229:230], v[231:232]
	v_xor_b32_e32 v232, 0x80000000, v226
	v_mov_b32_e32 v231, v225
	v_cndmask_b32_e32 v234, v228, v234, vcc_lo
	v_cndmask_b32_e64 v232, v226, v232, s0
	v_add_f64 v[231:232], v[231:232], v[233:234]
	v_cmp_lt_f64_e32 vcc_lo, v[229:230], v[231:232]
	v_cndmask_b32_e32 v211, v211, v226, vcc_lo
	v_cndmask_b32_e32 v210, v210, v225, vcc_lo
	;; [unrolled: 1-line block ×4, first 2 shown]
	v_cndmask_b32_e64 v218, v218, s1, vcc_lo
	s_add_i32 s1, s1, 1
	s_cmp_lg_u32 s8, s1
	s_cbranch_scc1 .LBB102_127
.LBB102_128:
	s_inst_prefetch 0x2
	s_waitcnt lgkmcnt(0)
	v_cmp_eq_f64_e32 vcc_lo, 0, v[210:211]
	v_cmp_eq_f64_e64 s0, 0, v[212:213]
	s_and_b32 s0, vcc_lo, s0
	s_and_saveexec_b32 s1, s0
	s_xor_b32 s0, exec_lo, s1
; %bb.129:
	v_cmp_ne_u32_e32 vcc_lo, 0, v223
	v_cndmask_b32_e32 v223, 7, v223, vcc_lo
; %bb.130:
	s_andn2_saveexec_b32 s0, s0
	s_cbranch_execz .LBB102_136
; %bb.131:
	v_cmp_ngt_f64_e64 s1, |v[210:211]|, |v[212:213]|
	s_and_saveexec_b32 s7, s1
	s_xor_b32 s1, exec_lo, s7
	s_cbranch_execz .LBB102_133
; %bb.132:
	v_div_scale_f64 v[225:226], null, v[212:213], v[212:213], v[210:211]
	v_div_scale_f64 v[231:232], vcc_lo, v[210:211], v[212:213], v[210:211]
	v_rcp_f64_e32 v[227:228], v[225:226]
	v_fma_f64 v[229:230], -v[225:226], v[227:228], 1.0
	v_fma_f64 v[227:228], v[227:228], v[229:230], v[227:228]
	v_fma_f64 v[229:230], -v[225:226], v[227:228], 1.0
	v_fma_f64 v[227:228], v[227:228], v[229:230], v[227:228]
	v_mul_f64 v[229:230], v[231:232], v[227:228]
	v_fma_f64 v[225:226], -v[225:226], v[229:230], v[231:232]
	v_div_fmas_f64 v[225:226], v[225:226], v[227:228], v[229:230]
	v_div_fixup_f64 v[225:226], v[225:226], v[212:213], v[210:211]
	v_fma_f64 v[210:211], v[210:211], v[225:226], v[212:213]
	v_div_scale_f64 v[212:213], null, v[210:211], v[210:211], 1.0
	v_rcp_f64_e32 v[227:228], v[212:213]
	v_fma_f64 v[229:230], -v[212:213], v[227:228], 1.0
	v_fma_f64 v[227:228], v[227:228], v[229:230], v[227:228]
	v_fma_f64 v[229:230], -v[212:213], v[227:228], 1.0
	v_fma_f64 v[227:228], v[227:228], v[229:230], v[227:228]
	v_div_scale_f64 v[229:230], vcc_lo, 1.0, v[210:211], 1.0
	v_mul_f64 v[231:232], v[229:230], v[227:228]
	v_fma_f64 v[212:213], -v[212:213], v[231:232], v[229:230]
	v_div_fmas_f64 v[212:213], v[212:213], v[227:228], v[231:232]
	v_div_fixup_f64 v[212:213], v[212:213], v[210:211], 1.0
	v_mul_f64 v[210:211], v[225:226], v[212:213]
	v_xor_b32_e32 v213, 0x80000000, v213
.LBB102_133:
	s_andn2_saveexec_b32 s1, s1
	s_cbranch_execz .LBB102_135
; %bb.134:
	v_div_scale_f64 v[225:226], null, v[210:211], v[210:211], v[212:213]
	v_div_scale_f64 v[231:232], vcc_lo, v[212:213], v[210:211], v[212:213]
	v_rcp_f64_e32 v[227:228], v[225:226]
	v_fma_f64 v[229:230], -v[225:226], v[227:228], 1.0
	v_fma_f64 v[227:228], v[227:228], v[229:230], v[227:228]
	v_fma_f64 v[229:230], -v[225:226], v[227:228], 1.0
	v_fma_f64 v[227:228], v[227:228], v[229:230], v[227:228]
	v_mul_f64 v[229:230], v[231:232], v[227:228]
	v_fma_f64 v[225:226], -v[225:226], v[229:230], v[231:232]
	v_div_fmas_f64 v[225:226], v[225:226], v[227:228], v[229:230]
	v_div_fixup_f64 v[225:226], v[225:226], v[210:211], v[212:213]
	v_fma_f64 v[210:211], v[212:213], v[225:226], v[210:211]
	v_div_scale_f64 v[212:213], null, v[210:211], v[210:211], 1.0
	v_rcp_f64_e32 v[227:228], v[212:213]
	v_fma_f64 v[229:230], -v[212:213], v[227:228], 1.0
	v_fma_f64 v[227:228], v[227:228], v[229:230], v[227:228]
	v_fma_f64 v[229:230], -v[212:213], v[227:228], 1.0
	v_fma_f64 v[227:228], v[227:228], v[229:230], v[227:228]
	v_div_scale_f64 v[229:230], vcc_lo, 1.0, v[210:211], 1.0
	v_mul_f64 v[231:232], v[229:230], v[227:228]
	v_fma_f64 v[212:213], -v[212:213], v[231:232], v[229:230]
	v_div_fmas_f64 v[212:213], v[212:213], v[227:228], v[231:232]
	v_div_fixup_f64 v[210:211], v[212:213], v[210:211], 1.0
	v_mul_f64 v[212:213], v[225:226], -v[210:211]
.LBB102_135:
	s_or_b32 exec_lo, exec_lo, s1
.LBB102_136:
	s_or_b32 exec_lo, exec_lo, s0
	s_mov_b32 s0, exec_lo
	v_cmpx_ne_u32_e64 v224, v218
	s_xor_b32 s0, exec_lo, s0
	s_cbranch_execz .LBB102_142
; %bb.137:
	s_mov_b32 s1, exec_lo
	v_cmpx_eq_u32_e32 6, v224
	s_cbranch_execz .LBB102_141
; %bb.138:
	v_cmp_ne_u32_e32 vcc_lo, 6, v218
	s_xor_b32 s7, s16, -1
	s_and_b32 s9, s7, vcc_lo
	s_and_saveexec_b32 s7, s9
	s_cbranch_execz .LBB102_140
; %bb.139:
	v_ashrrev_i32_e32 v219, 31, v218
	v_lshlrev_b64 v[224:225], 2, v[218:219]
	v_add_co_u32 v224, vcc_lo, v216, v224
	v_add_co_ci_u32_e64 v225, null, v217, v225, vcc_lo
	s_clause 0x1
	global_load_dword v0, v[224:225], off
	global_load_dword v219, v[216:217], off offset:24
	s_waitcnt vmcnt(1)
	global_store_dword v[216:217], v0, off offset:24
	s_waitcnt vmcnt(0)
	global_store_dword v[224:225], v219, off
.LBB102_140:
	s_or_b32 exec_lo, exec_lo, s7
	v_mov_b32_e32 v224, v218
	v_mov_b32_e32 v0, v218
.LBB102_141:
	s_or_b32 exec_lo, exec_lo, s1
.LBB102_142:
	s_andn2_saveexec_b32 s0, s0
	s_cbranch_execz .LBB102_144
; %bb.143:
	v_mov_b32_e32 v224, 6
	ds_write2_b64 v1, v[178:179], v[180:181] offset0:14 offset1:15
	ds_write2_b64 v1, v[174:175], v[176:177] offset0:16 offset1:17
	;; [unrolled: 1-line block ×45, first 2 shown]
.LBB102_144:
	s_or_b32 exec_lo, exec_lo, s0
	s_mov_b32 s0, exec_lo
	s_waitcnt lgkmcnt(0)
	s_waitcnt_vscnt null, 0x0
	s_barrier
	buffer_gl0_inv
	v_cmpx_lt_i32_e32 6, v224
	s_cbranch_execz .LBB102_146
; %bb.145:
	v_mul_f64 v[218:219], v[212:213], v[184:185]
	v_mul_f64 v[184:185], v[210:211], v[184:185]
	v_fma_f64 v[218:219], v[210:211], v[182:183], -v[218:219]
	v_fma_f64 v[184:185], v[212:213], v[182:183], v[184:185]
	ds_read2_b64 v[210:213], v1 offset0:14 offset1:15
	s_waitcnt lgkmcnt(0)
	v_mul_f64 v[182:183], v[212:213], v[184:185]
	v_fma_f64 v[182:183], v[210:211], v[218:219], -v[182:183]
	v_mul_f64 v[210:211], v[210:211], v[184:185]
	v_add_f64 v[178:179], v[178:179], -v[182:183]
	v_fma_f64 v[210:211], v[212:213], v[218:219], v[210:211]
	v_add_f64 v[180:181], v[180:181], -v[210:211]
	ds_read2_b64 v[210:213], v1 offset0:16 offset1:17
	s_waitcnt lgkmcnt(0)
	v_mul_f64 v[182:183], v[212:213], v[184:185]
	v_fma_f64 v[182:183], v[210:211], v[218:219], -v[182:183]
	v_mul_f64 v[210:211], v[210:211], v[184:185]
	v_add_f64 v[174:175], v[174:175], -v[182:183]
	v_fma_f64 v[210:211], v[212:213], v[218:219], v[210:211]
	v_add_f64 v[176:177], v[176:177], -v[210:211]
	;; [unrolled: 8-line block ×44, first 2 shown]
	ds_read2_b64 v[210:213], v1 offset0:102 offset1:103
	s_waitcnt lgkmcnt(0)
	v_mul_f64 v[182:183], v[212:213], v[184:185]
	v_fma_f64 v[182:183], v[210:211], v[218:219], -v[182:183]
	v_mul_f64 v[210:211], v[210:211], v[184:185]
	v_add_f64 v[2:3], v[2:3], -v[182:183]
	v_fma_f64 v[210:211], v[212:213], v[218:219], v[210:211]
	v_mov_b32_e32 v182, v218
	v_mov_b32_e32 v183, v219
	v_add_f64 v[4:5], v[4:5], -v[210:211]
.LBB102_146:
	s_or_b32 exec_lo, exec_lo, s0
	v_lshl_add_u32 v210, v224, 4, v1
	s_barrier
	buffer_gl0_inv
	v_mov_b32_e32 v218, 7
	ds_write2_b64 v210, v[178:179], v[180:181] offset1:1
	s_waitcnt lgkmcnt(0)
	s_barrier
	buffer_gl0_inv
	ds_read2_b64 v[210:213], v1 offset0:14 offset1:15
	s_cmp_lt_i32 s8, 9
	s_cbranch_scc1 .LBB102_149
; %bb.147:
	v_add3_u32 v219, v220, 0, 0x80
	v_mov_b32_e32 v218, 7
	s_mov_b32 s1, 8
	s_inst_prefetch 0x1
	.p2align	6
.LBB102_148:                            ; =>This Inner Loop Header: Depth=1
	s_waitcnt lgkmcnt(0)
	v_cmp_gt_f64_e32 vcc_lo, 0, v[212:213]
	v_cmp_gt_f64_e64 s0, 0, v[210:211]
	ds_read2_b64 v[225:228], v219 offset1:1
	v_xor_b32_e32 v230, 0x80000000, v211
	v_xor_b32_e32 v232, 0x80000000, v213
	v_mov_b32_e32 v229, v210
	v_mov_b32_e32 v231, v212
	v_add_nc_u32_e32 v219, 16, v219
	s_waitcnt lgkmcnt(0)
	v_xor_b32_e32 v234, 0x80000000, v228
	v_cndmask_b32_e64 v230, v211, v230, s0
	v_cndmask_b32_e32 v232, v213, v232, vcc_lo
	v_cmp_gt_f64_e32 vcc_lo, 0, v[227:228]
	v_cmp_gt_f64_e64 s0, 0, v[225:226]
	v_mov_b32_e32 v233, v227
	v_add_f64 v[229:230], v[229:230], v[231:232]
	v_xor_b32_e32 v232, 0x80000000, v226
	v_mov_b32_e32 v231, v225
	v_cndmask_b32_e32 v234, v228, v234, vcc_lo
	v_cndmask_b32_e64 v232, v226, v232, s0
	v_add_f64 v[231:232], v[231:232], v[233:234]
	v_cmp_lt_f64_e32 vcc_lo, v[229:230], v[231:232]
	v_cndmask_b32_e32 v211, v211, v226, vcc_lo
	v_cndmask_b32_e32 v210, v210, v225, vcc_lo
	v_cndmask_b32_e32 v213, v213, v228, vcc_lo
	v_cndmask_b32_e32 v212, v212, v227, vcc_lo
	v_cndmask_b32_e64 v218, v218, s1, vcc_lo
	s_add_i32 s1, s1, 1
	s_cmp_lg_u32 s8, s1
	s_cbranch_scc1 .LBB102_148
.LBB102_149:
	s_inst_prefetch 0x2
	s_waitcnt lgkmcnt(0)
	v_cmp_eq_f64_e32 vcc_lo, 0, v[210:211]
	v_cmp_eq_f64_e64 s0, 0, v[212:213]
	s_and_b32 s0, vcc_lo, s0
	s_and_saveexec_b32 s1, s0
	s_xor_b32 s0, exec_lo, s1
; %bb.150:
	v_cmp_ne_u32_e32 vcc_lo, 0, v223
	v_cndmask_b32_e32 v223, 8, v223, vcc_lo
; %bb.151:
	s_andn2_saveexec_b32 s0, s0
	s_cbranch_execz .LBB102_157
; %bb.152:
	v_cmp_ngt_f64_e64 s1, |v[210:211]|, |v[212:213]|
	s_and_saveexec_b32 s7, s1
	s_xor_b32 s1, exec_lo, s7
	s_cbranch_execz .LBB102_154
; %bb.153:
	v_div_scale_f64 v[225:226], null, v[212:213], v[212:213], v[210:211]
	v_div_scale_f64 v[231:232], vcc_lo, v[210:211], v[212:213], v[210:211]
	v_rcp_f64_e32 v[227:228], v[225:226]
	v_fma_f64 v[229:230], -v[225:226], v[227:228], 1.0
	v_fma_f64 v[227:228], v[227:228], v[229:230], v[227:228]
	v_fma_f64 v[229:230], -v[225:226], v[227:228], 1.0
	v_fma_f64 v[227:228], v[227:228], v[229:230], v[227:228]
	v_mul_f64 v[229:230], v[231:232], v[227:228]
	v_fma_f64 v[225:226], -v[225:226], v[229:230], v[231:232]
	v_div_fmas_f64 v[225:226], v[225:226], v[227:228], v[229:230]
	v_div_fixup_f64 v[225:226], v[225:226], v[212:213], v[210:211]
	v_fma_f64 v[210:211], v[210:211], v[225:226], v[212:213]
	v_div_scale_f64 v[212:213], null, v[210:211], v[210:211], 1.0
	v_rcp_f64_e32 v[227:228], v[212:213]
	v_fma_f64 v[229:230], -v[212:213], v[227:228], 1.0
	v_fma_f64 v[227:228], v[227:228], v[229:230], v[227:228]
	v_fma_f64 v[229:230], -v[212:213], v[227:228], 1.0
	v_fma_f64 v[227:228], v[227:228], v[229:230], v[227:228]
	v_div_scale_f64 v[229:230], vcc_lo, 1.0, v[210:211], 1.0
	v_mul_f64 v[231:232], v[229:230], v[227:228]
	v_fma_f64 v[212:213], -v[212:213], v[231:232], v[229:230]
	v_div_fmas_f64 v[212:213], v[212:213], v[227:228], v[231:232]
	v_div_fixup_f64 v[212:213], v[212:213], v[210:211], 1.0
	v_mul_f64 v[210:211], v[225:226], v[212:213]
	v_xor_b32_e32 v213, 0x80000000, v213
.LBB102_154:
	s_andn2_saveexec_b32 s1, s1
	s_cbranch_execz .LBB102_156
; %bb.155:
	v_div_scale_f64 v[225:226], null, v[210:211], v[210:211], v[212:213]
	v_div_scale_f64 v[231:232], vcc_lo, v[212:213], v[210:211], v[212:213]
	v_rcp_f64_e32 v[227:228], v[225:226]
	v_fma_f64 v[229:230], -v[225:226], v[227:228], 1.0
	v_fma_f64 v[227:228], v[227:228], v[229:230], v[227:228]
	v_fma_f64 v[229:230], -v[225:226], v[227:228], 1.0
	v_fma_f64 v[227:228], v[227:228], v[229:230], v[227:228]
	v_mul_f64 v[229:230], v[231:232], v[227:228]
	v_fma_f64 v[225:226], -v[225:226], v[229:230], v[231:232]
	v_div_fmas_f64 v[225:226], v[225:226], v[227:228], v[229:230]
	v_div_fixup_f64 v[225:226], v[225:226], v[210:211], v[212:213]
	v_fma_f64 v[210:211], v[212:213], v[225:226], v[210:211]
	v_div_scale_f64 v[212:213], null, v[210:211], v[210:211], 1.0
	v_rcp_f64_e32 v[227:228], v[212:213]
	v_fma_f64 v[229:230], -v[212:213], v[227:228], 1.0
	v_fma_f64 v[227:228], v[227:228], v[229:230], v[227:228]
	v_fma_f64 v[229:230], -v[212:213], v[227:228], 1.0
	v_fma_f64 v[227:228], v[227:228], v[229:230], v[227:228]
	v_div_scale_f64 v[229:230], vcc_lo, 1.0, v[210:211], 1.0
	v_mul_f64 v[231:232], v[229:230], v[227:228]
	v_fma_f64 v[212:213], -v[212:213], v[231:232], v[229:230]
	v_div_fmas_f64 v[212:213], v[212:213], v[227:228], v[231:232]
	v_div_fixup_f64 v[210:211], v[212:213], v[210:211], 1.0
	v_mul_f64 v[212:213], v[225:226], -v[210:211]
.LBB102_156:
	s_or_b32 exec_lo, exec_lo, s1
.LBB102_157:
	s_or_b32 exec_lo, exec_lo, s0
	s_mov_b32 s0, exec_lo
	v_cmpx_ne_u32_e64 v224, v218
	s_xor_b32 s0, exec_lo, s0
	s_cbranch_execz .LBB102_163
; %bb.158:
	s_mov_b32 s1, exec_lo
	v_cmpx_eq_u32_e32 7, v224
	s_cbranch_execz .LBB102_162
; %bb.159:
	v_cmp_ne_u32_e32 vcc_lo, 7, v218
	s_xor_b32 s7, s16, -1
	s_and_b32 s9, s7, vcc_lo
	s_and_saveexec_b32 s7, s9
	s_cbranch_execz .LBB102_161
; %bb.160:
	v_ashrrev_i32_e32 v219, 31, v218
	v_lshlrev_b64 v[224:225], 2, v[218:219]
	v_add_co_u32 v224, vcc_lo, v216, v224
	v_add_co_ci_u32_e64 v225, null, v217, v225, vcc_lo
	s_clause 0x1
	global_load_dword v0, v[224:225], off
	global_load_dword v219, v[216:217], off offset:28
	s_waitcnt vmcnt(1)
	global_store_dword v[216:217], v0, off offset:28
	s_waitcnt vmcnt(0)
	global_store_dword v[224:225], v219, off
.LBB102_161:
	s_or_b32 exec_lo, exec_lo, s7
	v_mov_b32_e32 v224, v218
	v_mov_b32_e32 v0, v218
.LBB102_162:
	s_or_b32 exec_lo, exec_lo, s1
.LBB102_163:
	s_andn2_saveexec_b32 s0, s0
	s_cbranch_execz .LBB102_165
; %bb.164:
	v_mov_b32_e32 v224, 7
	ds_write2_b64 v1, v[174:175], v[176:177] offset0:16 offset1:17
	ds_write2_b64 v1, v[170:171], v[172:173] offset0:18 offset1:19
	ds_write2_b64 v1, v[166:167], v[168:169] offset0:20 offset1:21
	ds_write2_b64 v1, v[162:163], v[164:165] offset0:22 offset1:23
	ds_write2_b64 v1, v[158:159], v[160:161] offset0:24 offset1:25
	ds_write2_b64 v1, v[154:155], v[156:157] offset0:26 offset1:27
	ds_write2_b64 v1, v[150:151], v[152:153] offset0:28 offset1:29
	ds_write2_b64 v1, v[146:147], v[148:149] offset0:30 offset1:31
	ds_write2_b64 v1, v[142:143], v[144:145] offset0:32 offset1:33
	ds_write2_b64 v1, v[138:139], v[140:141] offset0:34 offset1:35
	ds_write2_b64 v1, v[134:135], v[136:137] offset0:36 offset1:37
	ds_write2_b64 v1, v[130:131], v[132:133] offset0:38 offset1:39
	ds_write2_b64 v1, v[126:127], v[128:129] offset0:40 offset1:41
	ds_write2_b64 v1, v[122:123], v[124:125] offset0:42 offset1:43
	ds_write2_b64 v1, v[118:119], v[120:121] offset0:44 offset1:45
	ds_write2_b64 v1, v[114:115], v[116:117] offset0:46 offset1:47
	ds_write2_b64 v1, v[110:111], v[112:113] offset0:48 offset1:49
	ds_write2_b64 v1, v[106:107], v[108:109] offset0:50 offset1:51
	ds_write2_b64 v1, v[102:103], v[104:105] offset0:52 offset1:53
	ds_write2_b64 v1, v[98:99], v[100:101] offset0:54 offset1:55
	ds_write2_b64 v1, v[94:95], v[96:97] offset0:56 offset1:57
	ds_write2_b64 v1, v[90:91], v[92:93] offset0:58 offset1:59
	ds_write2_b64 v1, v[86:87], v[88:89] offset0:60 offset1:61
	ds_write2_b64 v1, v[82:83], v[84:85] offset0:62 offset1:63
	ds_write2_b64 v1, v[78:79], v[80:81] offset0:64 offset1:65
	ds_write2_b64 v1, v[74:75], v[76:77] offset0:66 offset1:67
	ds_write2_b64 v1, v[70:71], v[72:73] offset0:68 offset1:69
	ds_write2_b64 v1, v[66:67], v[68:69] offset0:70 offset1:71
	ds_write2_b64 v1, v[62:63], v[64:65] offset0:72 offset1:73
	ds_write2_b64 v1, v[58:59], v[60:61] offset0:74 offset1:75
	ds_write2_b64 v1, v[54:55], v[56:57] offset0:76 offset1:77
	ds_write2_b64 v1, v[50:51], v[52:53] offset0:78 offset1:79
	ds_write2_b64 v1, v[46:47], v[48:49] offset0:80 offset1:81
	ds_write2_b64 v1, v[42:43], v[44:45] offset0:82 offset1:83
	ds_write2_b64 v1, v[38:39], v[40:41] offset0:84 offset1:85
	ds_write2_b64 v1, v[34:35], v[36:37] offset0:86 offset1:87
	ds_write2_b64 v1, v[30:31], v[32:33] offset0:88 offset1:89
	ds_write2_b64 v1, v[26:27], v[28:29] offset0:90 offset1:91
	ds_write2_b64 v1, v[22:23], v[24:25] offset0:92 offset1:93
	ds_write2_b64 v1, v[18:19], v[20:21] offset0:94 offset1:95
	ds_write2_b64 v1, v[14:15], v[16:17] offset0:96 offset1:97
	ds_write2_b64 v1, v[10:11], v[12:13] offset0:98 offset1:99
	ds_write2_b64 v1, v[6:7], v[8:9] offset0:100 offset1:101
	ds_write2_b64 v1, v[2:3], v[4:5] offset0:102 offset1:103
.LBB102_165:
	s_or_b32 exec_lo, exec_lo, s0
	s_mov_b32 s0, exec_lo
	s_waitcnt lgkmcnt(0)
	s_waitcnt_vscnt null, 0x0
	s_barrier
	buffer_gl0_inv
	v_cmpx_lt_i32_e32 7, v224
	s_cbranch_execz .LBB102_167
; %bb.166:
	v_mul_f64 v[218:219], v[212:213], v[180:181]
	v_mul_f64 v[180:181], v[210:211], v[180:181]
	v_fma_f64 v[218:219], v[210:211], v[178:179], -v[218:219]
	v_fma_f64 v[180:181], v[212:213], v[178:179], v[180:181]
	ds_read2_b64 v[210:213], v1 offset0:16 offset1:17
	s_waitcnt lgkmcnt(0)
	v_mul_f64 v[178:179], v[212:213], v[180:181]
	v_fma_f64 v[178:179], v[210:211], v[218:219], -v[178:179]
	v_mul_f64 v[210:211], v[210:211], v[180:181]
	v_add_f64 v[174:175], v[174:175], -v[178:179]
	v_fma_f64 v[210:211], v[212:213], v[218:219], v[210:211]
	v_add_f64 v[176:177], v[176:177], -v[210:211]
	ds_read2_b64 v[210:213], v1 offset0:18 offset1:19
	s_waitcnt lgkmcnt(0)
	v_mul_f64 v[178:179], v[212:213], v[180:181]
	v_fma_f64 v[178:179], v[210:211], v[218:219], -v[178:179]
	v_mul_f64 v[210:211], v[210:211], v[180:181]
	v_add_f64 v[170:171], v[170:171], -v[178:179]
	v_fma_f64 v[210:211], v[212:213], v[218:219], v[210:211]
	v_add_f64 v[172:173], v[172:173], -v[210:211]
	;; [unrolled: 8-line block ×43, first 2 shown]
	ds_read2_b64 v[210:213], v1 offset0:102 offset1:103
	s_waitcnt lgkmcnt(0)
	v_mul_f64 v[178:179], v[212:213], v[180:181]
	v_fma_f64 v[178:179], v[210:211], v[218:219], -v[178:179]
	v_mul_f64 v[210:211], v[210:211], v[180:181]
	v_add_f64 v[2:3], v[2:3], -v[178:179]
	v_fma_f64 v[210:211], v[212:213], v[218:219], v[210:211]
	v_mov_b32_e32 v178, v218
	v_mov_b32_e32 v179, v219
	v_add_f64 v[4:5], v[4:5], -v[210:211]
.LBB102_167:
	s_or_b32 exec_lo, exec_lo, s0
	v_lshl_add_u32 v210, v224, 4, v1
	s_barrier
	buffer_gl0_inv
	v_mov_b32_e32 v218, 8
	ds_write2_b64 v210, v[174:175], v[176:177] offset1:1
	s_waitcnt lgkmcnt(0)
	s_barrier
	buffer_gl0_inv
	ds_read2_b64 v[210:213], v1 offset0:16 offset1:17
	s_cmp_lt_i32 s8, 10
	s_cbranch_scc1 .LBB102_170
; %bb.168:
	v_add3_u32 v219, v220, 0, 0x90
	v_mov_b32_e32 v218, 8
	s_mov_b32 s1, 9
	s_inst_prefetch 0x1
	.p2align	6
.LBB102_169:                            ; =>This Inner Loop Header: Depth=1
	s_waitcnt lgkmcnt(0)
	v_cmp_gt_f64_e32 vcc_lo, 0, v[212:213]
	v_cmp_gt_f64_e64 s0, 0, v[210:211]
	ds_read2_b64 v[225:228], v219 offset1:1
	v_xor_b32_e32 v230, 0x80000000, v211
	v_xor_b32_e32 v232, 0x80000000, v213
	v_mov_b32_e32 v229, v210
	v_mov_b32_e32 v231, v212
	v_add_nc_u32_e32 v219, 16, v219
	s_waitcnt lgkmcnt(0)
	v_xor_b32_e32 v234, 0x80000000, v228
	v_cndmask_b32_e64 v230, v211, v230, s0
	v_cndmask_b32_e32 v232, v213, v232, vcc_lo
	v_cmp_gt_f64_e32 vcc_lo, 0, v[227:228]
	v_cmp_gt_f64_e64 s0, 0, v[225:226]
	v_mov_b32_e32 v233, v227
	v_add_f64 v[229:230], v[229:230], v[231:232]
	v_xor_b32_e32 v232, 0x80000000, v226
	v_mov_b32_e32 v231, v225
	v_cndmask_b32_e32 v234, v228, v234, vcc_lo
	v_cndmask_b32_e64 v232, v226, v232, s0
	v_add_f64 v[231:232], v[231:232], v[233:234]
	v_cmp_lt_f64_e32 vcc_lo, v[229:230], v[231:232]
	v_cndmask_b32_e32 v211, v211, v226, vcc_lo
	v_cndmask_b32_e32 v210, v210, v225, vcc_lo
	;; [unrolled: 1-line block ×4, first 2 shown]
	v_cndmask_b32_e64 v218, v218, s1, vcc_lo
	s_add_i32 s1, s1, 1
	s_cmp_lg_u32 s8, s1
	s_cbranch_scc1 .LBB102_169
.LBB102_170:
	s_inst_prefetch 0x2
	s_waitcnt lgkmcnt(0)
	v_cmp_eq_f64_e32 vcc_lo, 0, v[210:211]
	v_cmp_eq_f64_e64 s0, 0, v[212:213]
	s_and_b32 s0, vcc_lo, s0
	s_and_saveexec_b32 s1, s0
	s_xor_b32 s0, exec_lo, s1
; %bb.171:
	v_cmp_ne_u32_e32 vcc_lo, 0, v223
	v_cndmask_b32_e32 v223, 9, v223, vcc_lo
; %bb.172:
	s_andn2_saveexec_b32 s0, s0
	s_cbranch_execz .LBB102_178
; %bb.173:
	v_cmp_ngt_f64_e64 s1, |v[210:211]|, |v[212:213]|
	s_and_saveexec_b32 s7, s1
	s_xor_b32 s1, exec_lo, s7
	s_cbranch_execz .LBB102_175
; %bb.174:
	v_div_scale_f64 v[225:226], null, v[212:213], v[212:213], v[210:211]
	v_div_scale_f64 v[231:232], vcc_lo, v[210:211], v[212:213], v[210:211]
	v_rcp_f64_e32 v[227:228], v[225:226]
	v_fma_f64 v[229:230], -v[225:226], v[227:228], 1.0
	v_fma_f64 v[227:228], v[227:228], v[229:230], v[227:228]
	v_fma_f64 v[229:230], -v[225:226], v[227:228], 1.0
	v_fma_f64 v[227:228], v[227:228], v[229:230], v[227:228]
	v_mul_f64 v[229:230], v[231:232], v[227:228]
	v_fma_f64 v[225:226], -v[225:226], v[229:230], v[231:232]
	v_div_fmas_f64 v[225:226], v[225:226], v[227:228], v[229:230]
	v_div_fixup_f64 v[225:226], v[225:226], v[212:213], v[210:211]
	v_fma_f64 v[210:211], v[210:211], v[225:226], v[212:213]
	v_div_scale_f64 v[212:213], null, v[210:211], v[210:211], 1.0
	v_rcp_f64_e32 v[227:228], v[212:213]
	v_fma_f64 v[229:230], -v[212:213], v[227:228], 1.0
	v_fma_f64 v[227:228], v[227:228], v[229:230], v[227:228]
	v_fma_f64 v[229:230], -v[212:213], v[227:228], 1.0
	v_fma_f64 v[227:228], v[227:228], v[229:230], v[227:228]
	v_div_scale_f64 v[229:230], vcc_lo, 1.0, v[210:211], 1.0
	v_mul_f64 v[231:232], v[229:230], v[227:228]
	v_fma_f64 v[212:213], -v[212:213], v[231:232], v[229:230]
	v_div_fmas_f64 v[212:213], v[212:213], v[227:228], v[231:232]
	v_div_fixup_f64 v[212:213], v[212:213], v[210:211], 1.0
	v_mul_f64 v[210:211], v[225:226], v[212:213]
	v_xor_b32_e32 v213, 0x80000000, v213
.LBB102_175:
	s_andn2_saveexec_b32 s1, s1
	s_cbranch_execz .LBB102_177
; %bb.176:
	v_div_scale_f64 v[225:226], null, v[210:211], v[210:211], v[212:213]
	v_div_scale_f64 v[231:232], vcc_lo, v[212:213], v[210:211], v[212:213]
	v_rcp_f64_e32 v[227:228], v[225:226]
	v_fma_f64 v[229:230], -v[225:226], v[227:228], 1.0
	v_fma_f64 v[227:228], v[227:228], v[229:230], v[227:228]
	v_fma_f64 v[229:230], -v[225:226], v[227:228], 1.0
	v_fma_f64 v[227:228], v[227:228], v[229:230], v[227:228]
	v_mul_f64 v[229:230], v[231:232], v[227:228]
	v_fma_f64 v[225:226], -v[225:226], v[229:230], v[231:232]
	v_div_fmas_f64 v[225:226], v[225:226], v[227:228], v[229:230]
	v_div_fixup_f64 v[225:226], v[225:226], v[210:211], v[212:213]
	v_fma_f64 v[210:211], v[212:213], v[225:226], v[210:211]
	v_div_scale_f64 v[212:213], null, v[210:211], v[210:211], 1.0
	v_rcp_f64_e32 v[227:228], v[212:213]
	v_fma_f64 v[229:230], -v[212:213], v[227:228], 1.0
	v_fma_f64 v[227:228], v[227:228], v[229:230], v[227:228]
	v_fma_f64 v[229:230], -v[212:213], v[227:228], 1.0
	v_fma_f64 v[227:228], v[227:228], v[229:230], v[227:228]
	v_div_scale_f64 v[229:230], vcc_lo, 1.0, v[210:211], 1.0
	v_mul_f64 v[231:232], v[229:230], v[227:228]
	v_fma_f64 v[212:213], -v[212:213], v[231:232], v[229:230]
	v_div_fmas_f64 v[212:213], v[212:213], v[227:228], v[231:232]
	v_div_fixup_f64 v[210:211], v[212:213], v[210:211], 1.0
	v_mul_f64 v[212:213], v[225:226], -v[210:211]
.LBB102_177:
	s_or_b32 exec_lo, exec_lo, s1
.LBB102_178:
	s_or_b32 exec_lo, exec_lo, s0
	s_mov_b32 s0, exec_lo
	v_cmpx_ne_u32_e64 v224, v218
	s_xor_b32 s0, exec_lo, s0
	s_cbranch_execz .LBB102_184
; %bb.179:
	s_mov_b32 s1, exec_lo
	v_cmpx_eq_u32_e32 8, v224
	s_cbranch_execz .LBB102_183
; %bb.180:
	v_cmp_ne_u32_e32 vcc_lo, 8, v218
	s_xor_b32 s7, s16, -1
	s_and_b32 s9, s7, vcc_lo
	s_and_saveexec_b32 s7, s9
	s_cbranch_execz .LBB102_182
; %bb.181:
	v_ashrrev_i32_e32 v219, 31, v218
	v_lshlrev_b64 v[224:225], 2, v[218:219]
	v_add_co_u32 v224, vcc_lo, v216, v224
	v_add_co_ci_u32_e64 v225, null, v217, v225, vcc_lo
	s_clause 0x1
	global_load_dword v0, v[224:225], off
	global_load_dword v219, v[216:217], off offset:32
	s_waitcnt vmcnt(1)
	global_store_dword v[216:217], v0, off offset:32
	s_waitcnt vmcnt(0)
	global_store_dword v[224:225], v219, off
.LBB102_182:
	s_or_b32 exec_lo, exec_lo, s7
	v_mov_b32_e32 v224, v218
	v_mov_b32_e32 v0, v218
.LBB102_183:
	s_or_b32 exec_lo, exec_lo, s1
.LBB102_184:
	s_andn2_saveexec_b32 s0, s0
	s_cbranch_execz .LBB102_186
; %bb.185:
	v_mov_b32_e32 v224, 8
	ds_write2_b64 v1, v[170:171], v[172:173] offset0:18 offset1:19
	ds_write2_b64 v1, v[166:167], v[168:169] offset0:20 offset1:21
	;; [unrolled: 1-line block ×43, first 2 shown]
.LBB102_186:
	s_or_b32 exec_lo, exec_lo, s0
	s_mov_b32 s0, exec_lo
	s_waitcnt lgkmcnt(0)
	s_waitcnt_vscnt null, 0x0
	s_barrier
	buffer_gl0_inv
	v_cmpx_lt_i32_e32 8, v224
	s_cbranch_execz .LBB102_188
; %bb.187:
	v_mul_f64 v[218:219], v[212:213], v[176:177]
	v_mul_f64 v[176:177], v[210:211], v[176:177]
	v_fma_f64 v[218:219], v[210:211], v[174:175], -v[218:219]
	v_fma_f64 v[176:177], v[212:213], v[174:175], v[176:177]
	ds_read2_b64 v[210:213], v1 offset0:18 offset1:19
	s_waitcnt lgkmcnt(0)
	v_mul_f64 v[174:175], v[212:213], v[176:177]
	v_fma_f64 v[174:175], v[210:211], v[218:219], -v[174:175]
	v_mul_f64 v[210:211], v[210:211], v[176:177]
	v_add_f64 v[170:171], v[170:171], -v[174:175]
	v_fma_f64 v[210:211], v[212:213], v[218:219], v[210:211]
	v_add_f64 v[172:173], v[172:173], -v[210:211]
	ds_read2_b64 v[210:213], v1 offset0:20 offset1:21
	s_waitcnt lgkmcnt(0)
	v_mul_f64 v[174:175], v[212:213], v[176:177]
	v_fma_f64 v[174:175], v[210:211], v[218:219], -v[174:175]
	v_mul_f64 v[210:211], v[210:211], v[176:177]
	v_add_f64 v[166:167], v[166:167], -v[174:175]
	v_fma_f64 v[210:211], v[212:213], v[218:219], v[210:211]
	v_add_f64 v[168:169], v[168:169], -v[210:211]
	;; [unrolled: 8-line block ×42, first 2 shown]
	ds_read2_b64 v[210:213], v1 offset0:102 offset1:103
	s_waitcnt lgkmcnt(0)
	v_mul_f64 v[174:175], v[212:213], v[176:177]
	v_fma_f64 v[174:175], v[210:211], v[218:219], -v[174:175]
	v_mul_f64 v[210:211], v[210:211], v[176:177]
	v_add_f64 v[2:3], v[2:3], -v[174:175]
	v_fma_f64 v[210:211], v[212:213], v[218:219], v[210:211]
	v_mov_b32_e32 v174, v218
	v_mov_b32_e32 v175, v219
	v_add_f64 v[4:5], v[4:5], -v[210:211]
.LBB102_188:
	s_or_b32 exec_lo, exec_lo, s0
	v_lshl_add_u32 v210, v224, 4, v1
	s_barrier
	buffer_gl0_inv
	v_mov_b32_e32 v218, 9
	ds_write2_b64 v210, v[170:171], v[172:173] offset1:1
	s_waitcnt lgkmcnt(0)
	s_barrier
	buffer_gl0_inv
	ds_read2_b64 v[210:213], v1 offset0:18 offset1:19
	s_cmp_lt_i32 s8, 11
	s_cbranch_scc1 .LBB102_191
; %bb.189:
	v_add3_u32 v219, v220, 0, 0xa0
	v_mov_b32_e32 v218, 9
	s_mov_b32 s1, 10
	s_inst_prefetch 0x1
	.p2align	6
.LBB102_190:                            ; =>This Inner Loop Header: Depth=1
	s_waitcnt lgkmcnt(0)
	v_cmp_gt_f64_e32 vcc_lo, 0, v[212:213]
	v_cmp_gt_f64_e64 s0, 0, v[210:211]
	ds_read2_b64 v[225:228], v219 offset1:1
	v_xor_b32_e32 v230, 0x80000000, v211
	v_xor_b32_e32 v232, 0x80000000, v213
	v_mov_b32_e32 v229, v210
	v_mov_b32_e32 v231, v212
	v_add_nc_u32_e32 v219, 16, v219
	s_waitcnt lgkmcnt(0)
	v_xor_b32_e32 v234, 0x80000000, v228
	v_cndmask_b32_e64 v230, v211, v230, s0
	v_cndmask_b32_e32 v232, v213, v232, vcc_lo
	v_cmp_gt_f64_e32 vcc_lo, 0, v[227:228]
	v_cmp_gt_f64_e64 s0, 0, v[225:226]
	v_mov_b32_e32 v233, v227
	v_add_f64 v[229:230], v[229:230], v[231:232]
	v_xor_b32_e32 v232, 0x80000000, v226
	v_mov_b32_e32 v231, v225
	v_cndmask_b32_e32 v234, v228, v234, vcc_lo
	v_cndmask_b32_e64 v232, v226, v232, s0
	v_add_f64 v[231:232], v[231:232], v[233:234]
	v_cmp_lt_f64_e32 vcc_lo, v[229:230], v[231:232]
	v_cndmask_b32_e32 v211, v211, v226, vcc_lo
	v_cndmask_b32_e32 v210, v210, v225, vcc_lo
	;; [unrolled: 1-line block ×4, first 2 shown]
	v_cndmask_b32_e64 v218, v218, s1, vcc_lo
	s_add_i32 s1, s1, 1
	s_cmp_lg_u32 s8, s1
	s_cbranch_scc1 .LBB102_190
.LBB102_191:
	s_inst_prefetch 0x2
	s_waitcnt lgkmcnt(0)
	v_cmp_eq_f64_e32 vcc_lo, 0, v[210:211]
	v_cmp_eq_f64_e64 s0, 0, v[212:213]
	s_and_b32 s0, vcc_lo, s0
	s_and_saveexec_b32 s1, s0
	s_xor_b32 s0, exec_lo, s1
; %bb.192:
	v_cmp_ne_u32_e32 vcc_lo, 0, v223
	v_cndmask_b32_e32 v223, 10, v223, vcc_lo
; %bb.193:
	s_andn2_saveexec_b32 s0, s0
	s_cbranch_execz .LBB102_199
; %bb.194:
	v_cmp_ngt_f64_e64 s1, |v[210:211]|, |v[212:213]|
	s_and_saveexec_b32 s7, s1
	s_xor_b32 s1, exec_lo, s7
	s_cbranch_execz .LBB102_196
; %bb.195:
	v_div_scale_f64 v[225:226], null, v[212:213], v[212:213], v[210:211]
	v_div_scale_f64 v[231:232], vcc_lo, v[210:211], v[212:213], v[210:211]
	v_rcp_f64_e32 v[227:228], v[225:226]
	v_fma_f64 v[229:230], -v[225:226], v[227:228], 1.0
	v_fma_f64 v[227:228], v[227:228], v[229:230], v[227:228]
	v_fma_f64 v[229:230], -v[225:226], v[227:228], 1.0
	v_fma_f64 v[227:228], v[227:228], v[229:230], v[227:228]
	v_mul_f64 v[229:230], v[231:232], v[227:228]
	v_fma_f64 v[225:226], -v[225:226], v[229:230], v[231:232]
	v_div_fmas_f64 v[225:226], v[225:226], v[227:228], v[229:230]
	v_div_fixup_f64 v[225:226], v[225:226], v[212:213], v[210:211]
	v_fma_f64 v[210:211], v[210:211], v[225:226], v[212:213]
	v_div_scale_f64 v[212:213], null, v[210:211], v[210:211], 1.0
	v_rcp_f64_e32 v[227:228], v[212:213]
	v_fma_f64 v[229:230], -v[212:213], v[227:228], 1.0
	v_fma_f64 v[227:228], v[227:228], v[229:230], v[227:228]
	v_fma_f64 v[229:230], -v[212:213], v[227:228], 1.0
	v_fma_f64 v[227:228], v[227:228], v[229:230], v[227:228]
	v_div_scale_f64 v[229:230], vcc_lo, 1.0, v[210:211], 1.0
	v_mul_f64 v[231:232], v[229:230], v[227:228]
	v_fma_f64 v[212:213], -v[212:213], v[231:232], v[229:230]
	v_div_fmas_f64 v[212:213], v[212:213], v[227:228], v[231:232]
	v_div_fixup_f64 v[212:213], v[212:213], v[210:211], 1.0
	v_mul_f64 v[210:211], v[225:226], v[212:213]
	v_xor_b32_e32 v213, 0x80000000, v213
.LBB102_196:
	s_andn2_saveexec_b32 s1, s1
	s_cbranch_execz .LBB102_198
; %bb.197:
	v_div_scale_f64 v[225:226], null, v[210:211], v[210:211], v[212:213]
	v_div_scale_f64 v[231:232], vcc_lo, v[212:213], v[210:211], v[212:213]
	v_rcp_f64_e32 v[227:228], v[225:226]
	v_fma_f64 v[229:230], -v[225:226], v[227:228], 1.0
	v_fma_f64 v[227:228], v[227:228], v[229:230], v[227:228]
	v_fma_f64 v[229:230], -v[225:226], v[227:228], 1.0
	v_fma_f64 v[227:228], v[227:228], v[229:230], v[227:228]
	v_mul_f64 v[229:230], v[231:232], v[227:228]
	v_fma_f64 v[225:226], -v[225:226], v[229:230], v[231:232]
	v_div_fmas_f64 v[225:226], v[225:226], v[227:228], v[229:230]
	v_div_fixup_f64 v[225:226], v[225:226], v[210:211], v[212:213]
	v_fma_f64 v[210:211], v[212:213], v[225:226], v[210:211]
	v_div_scale_f64 v[212:213], null, v[210:211], v[210:211], 1.0
	v_rcp_f64_e32 v[227:228], v[212:213]
	v_fma_f64 v[229:230], -v[212:213], v[227:228], 1.0
	v_fma_f64 v[227:228], v[227:228], v[229:230], v[227:228]
	v_fma_f64 v[229:230], -v[212:213], v[227:228], 1.0
	v_fma_f64 v[227:228], v[227:228], v[229:230], v[227:228]
	v_div_scale_f64 v[229:230], vcc_lo, 1.0, v[210:211], 1.0
	v_mul_f64 v[231:232], v[229:230], v[227:228]
	v_fma_f64 v[212:213], -v[212:213], v[231:232], v[229:230]
	v_div_fmas_f64 v[212:213], v[212:213], v[227:228], v[231:232]
	v_div_fixup_f64 v[210:211], v[212:213], v[210:211], 1.0
	v_mul_f64 v[212:213], v[225:226], -v[210:211]
.LBB102_198:
	s_or_b32 exec_lo, exec_lo, s1
.LBB102_199:
	s_or_b32 exec_lo, exec_lo, s0
	s_mov_b32 s0, exec_lo
	v_cmpx_ne_u32_e64 v224, v218
	s_xor_b32 s0, exec_lo, s0
	s_cbranch_execz .LBB102_205
; %bb.200:
	s_mov_b32 s1, exec_lo
	v_cmpx_eq_u32_e32 9, v224
	s_cbranch_execz .LBB102_204
; %bb.201:
	v_cmp_ne_u32_e32 vcc_lo, 9, v218
	s_xor_b32 s7, s16, -1
	s_and_b32 s9, s7, vcc_lo
	s_and_saveexec_b32 s7, s9
	s_cbranch_execz .LBB102_203
; %bb.202:
	v_ashrrev_i32_e32 v219, 31, v218
	v_lshlrev_b64 v[224:225], 2, v[218:219]
	v_add_co_u32 v224, vcc_lo, v216, v224
	v_add_co_ci_u32_e64 v225, null, v217, v225, vcc_lo
	s_clause 0x1
	global_load_dword v0, v[224:225], off
	global_load_dword v219, v[216:217], off offset:36
	s_waitcnt vmcnt(1)
	global_store_dword v[216:217], v0, off offset:36
	s_waitcnt vmcnt(0)
	global_store_dword v[224:225], v219, off
.LBB102_203:
	s_or_b32 exec_lo, exec_lo, s7
	v_mov_b32_e32 v224, v218
	v_mov_b32_e32 v0, v218
.LBB102_204:
	s_or_b32 exec_lo, exec_lo, s1
.LBB102_205:
	s_andn2_saveexec_b32 s0, s0
	s_cbranch_execz .LBB102_207
; %bb.206:
	v_mov_b32_e32 v224, 9
	ds_write2_b64 v1, v[166:167], v[168:169] offset0:20 offset1:21
	ds_write2_b64 v1, v[162:163], v[164:165] offset0:22 offset1:23
	;; [unrolled: 1-line block ×42, first 2 shown]
.LBB102_207:
	s_or_b32 exec_lo, exec_lo, s0
	s_mov_b32 s0, exec_lo
	s_waitcnt lgkmcnt(0)
	s_waitcnt_vscnt null, 0x0
	s_barrier
	buffer_gl0_inv
	v_cmpx_lt_i32_e32 9, v224
	s_cbranch_execz .LBB102_209
; %bb.208:
	v_mul_f64 v[218:219], v[212:213], v[172:173]
	v_mul_f64 v[172:173], v[210:211], v[172:173]
	v_fma_f64 v[218:219], v[210:211], v[170:171], -v[218:219]
	v_fma_f64 v[172:173], v[212:213], v[170:171], v[172:173]
	ds_read2_b64 v[210:213], v1 offset0:20 offset1:21
	s_waitcnt lgkmcnt(0)
	v_mul_f64 v[170:171], v[212:213], v[172:173]
	v_fma_f64 v[170:171], v[210:211], v[218:219], -v[170:171]
	v_mul_f64 v[210:211], v[210:211], v[172:173]
	v_add_f64 v[166:167], v[166:167], -v[170:171]
	v_fma_f64 v[210:211], v[212:213], v[218:219], v[210:211]
	v_add_f64 v[168:169], v[168:169], -v[210:211]
	ds_read2_b64 v[210:213], v1 offset0:22 offset1:23
	s_waitcnt lgkmcnt(0)
	v_mul_f64 v[170:171], v[212:213], v[172:173]
	v_fma_f64 v[170:171], v[210:211], v[218:219], -v[170:171]
	v_mul_f64 v[210:211], v[210:211], v[172:173]
	v_add_f64 v[162:163], v[162:163], -v[170:171]
	v_fma_f64 v[210:211], v[212:213], v[218:219], v[210:211]
	v_add_f64 v[164:165], v[164:165], -v[210:211]
	;; [unrolled: 8-line block ×41, first 2 shown]
	ds_read2_b64 v[210:213], v1 offset0:102 offset1:103
	s_waitcnt lgkmcnt(0)
	v_mul_f64 v[170:171], v[212:213], v[172:173]
	v_fma_f64 v[170:171], v[210:211], v[218:219], -v[170:171]
	v_mul_f64 v[210:211], v[210:211], v[172:173]
	v_add_f64 v[2:3], v[2:3], -v[170:171]
	v_fma_f64 v[210:211], v[212:213], v[218:219], v[210:211]
	v_mov_b32_e32 v170, v218
	v_mov_b32_e32 v171, v219
	v_add_f64 v[4:5], v[4:5], -v[210:211]
.LBB102_209:
	s_or_b32 exec_lo, exec_lo, s0
	v_lshl_add_u32 v210, v224, 4, v1
	s_barrier
	buffer_gl0_inv
	v_mov_b32_e32 v218, 10
	ds_write2_b64 v210, v[166:167], v[168:169] offset1:1
	s_waitcnt lgkmcnt(0)
	s_barrier
	buffer_gl0_inv
	ds_read2_b64 v[210:213], v1 offset0:20 offset1:21
	s_cmp_lt_i32 s8, 12
	s_cbranch_scc1 .LBB102_212
; %bb.210:
	v_add3_u32 v219, v220, 0, 0xb0
	v_mov_b32_e32 v218, 10
	s_mov_b32 s1, 11
	s_inst_prefetch 0x1
	.p2align	6
.LBB102_211:                            ; =>This Inner Loop Header: Depth=1
	s_waitcnt lgkmcnt(0)
	v_cmp_gt_f64_e32 vcc_lo, 0, v[212:213]
	v_cmp_gt_f64_e64 s0, 0, v[210:211]
	ds_read2_b64 v[225:228], v219 offset1:1
	v_xor_b32_e32 v230, 0x80000000, v211
	v_xor_b32_e32 v232, 0x80000000, v213
	v_mov_b32_e32 v229, v210
	v_mov_b32_e32 v231, v212
	v_add_nc_u32_e32 v219, 16, v219
	s_waitcnt lgkmcnt(0)
	v_xor_b32_e32 v234, 0x80000000, v228
	v_cndmask_b32_e64 v230, v211, v230, s0
	v_cndmask_b32_e32 v232, v213, v232, vcc_lo
	v_cmp_gt_f64_e32 vcc_lo, 0, v[227:228]
	v_cmp_gt_f64_e64 s0, 0, v[225:226]
	v_mov_b32_e32 v233, v227
	v_add_f64 v[229:230], v[229:230], v[231:232]
	v_xor_b32_e32 v232, 0x80000000, v226
	v_mov_b32_e32 v231, v225
	v_cndmask_b32_e32 v234, v228, v234, vcc_lo
	v_cndmask_b32_e64 v232, v226, v232, s0
	v_add_f64 v[231:232], v[231:232], v[233:234]
	v_cmp_lt_f64_e32 vcc_lo, v[229:230], v[231:232]
	v_cndmask_b32_e32 v211, v211, v226, vcc_lo
	v_cndmask_b32_e32 v210, v210, v225, vcc_lo
	;; [unrolled: 1-line block ×4, first 2 shown]
	v_cndmask_b32_e64 v218, v218, s1, vcc_lo
	s_add_i32 s1, s1, 1
	s_cmp_lg_u32 s8, s1
	s_cbranch_scc1 .LBB102_211
.LBB102_212:
	s_inst_prefetch 0x2
	s_waitcnt lgkmcnt(0)
	v_cmp_eq_f64_e32 vcc_lo, 0, v[210:211]
	v_cmp_eq_f64_e64 s0, 0, v[212:213]
	s_and_b32 s0, vcc_lo, s0
	s_and_saveexec_b32 s1, s0
	s_xor_b32 s0, exec_lo, s1
; %bb.213:
	v_cmp_ne_u32_e32 vcc_lo, 0, v223
	v_cndmask_b32_e32 v223, 11, v223, vcc_lo
; %bb.214:
	s_andn2_saveexec_b32 s0, s0
	s_cbranch_execz .LBB102_220
; %bb.215:
	v_cmp_ngt_f64_e64 s1, |v[210:211]|, |v[212:213]|
	s_and_saveexec_b32 s7, s1
	s_xor_b32 s1, exec_lo, s7
	s_cbranch_execz .LBB102_217
; %bb.216:
	v_div_scale_f64 v[225:226], null, v[212:213], v[212:213], v[210:211]
	v_div_scale_f64 v[231:232], vcc_lo, v[210:211], v[212:213], v[210:211]
	v_rcp_f64_e32 v[227:228], v[225:226]
	v_fma_f64 v[229:230], -v[225:226], v[227:228], 1.0
	v_fma_f64 v[227:228], v[227:228], v[229:230], v[227:228]
	v_fma_f64 v[229:230], -v[225:226], v[227:228], 1.0
	v_fma_f64 v[227:228], v[227:228], v[229:230], v[227:228]
	v_mul_f64 v[229:230], v[231:232], v[227:228]
	v_fma_f64 v[225:226], -v[225:226], v[229:230], v[231:232]
	v_div_fmas_f64 v[225:226], v[225:226], v[227:228], v[229:230]
	v_div_fixup_f64 v[225:226], v[225:226], v[212:213], v[210:211]
	v_fma_f64 v[210:211], v[210:211], v[225:226], v[212:213]
	v_div_scale_f64 v[212:213], null, v[210:211], v[210:211], 1.0
	v_rcp_f64_e32 v[227:228], v[212:213]
	v_fma_f64 v[229:230], -v[212:213], v[227:228], 1.0
	v_fma_f64 v[227:228], v[227:228], v[229:230], v[227:228]
	v_fma_f64 v[229:230], -v[212:213], v[227:228], 1.0
	v_fma_f64 v[227:228], v[227:228], v[229:230], v[227:228]
	v_div_scale_f64 v[229:230], vcc_lo, 1.0, v[210:211], 1.0
	v_mul_f64 v[231:232], v[229:230], v[227:228]
	v_fma_f64 v[212:213], -v[212:213], v[231:232], v[229:230]
	v_div_fmas_f64 v[212:213], v[212:213], v[227:228], v[231:232]
	v_div_fixup_f64 v[212:213], v[212:213], v[210:211], 1.0
	v_mul_f64 v[210:211], v[225:226], v[212:213]
	v_xor_b32_e32 v213, 0x80000000, v213
.LBB102_217:
	s_andn2_saveexec_b32 s1, s1
	s_cbranch_execz .LBB102_219
; %bb.218:
	v_div_scale_f64 v[225:226], null, v[210:211], v[210:211], v[212:213]
	v_div_scale_f64 v[231:232], vcc_lo, v[212:213], v[210:211], v[212:213]
	v_rcp_f64_e32 v[227:228], v[225:226]
	v_fma_f64 v[229:230], -v[225:226], v[227:228], 1.0
	v_fma_f64 v[227:228], v[227:228], v[229:230], v[227:228]
	v_fma_f64 v[229:230], -v[225:226], v[227:228], 1.0
	v_fma_f64 v[227:228], v[227:228], v[229:230], v[227:228]
	v_mul_f64 v[229:230], v[231:232], v[227:228]
	v_fma_f64 v[225:226], -v[225:226], v[229:230], v[231:232]
	v_div_fmas_f64 v[225:226], v[225:226], v[227:228], v[229:230]
	v_div_fixup_f64 v[225:226], v[225:226], v[210:211], v[212:213]
	v_fma_f64 v[210:211], v[212:213], v[225:226], v[210:211]
	v_div_scale_f64 v[212:213], null, v[210:211], v[210:211], 1.0
	v_rcp_f64_e32 v[227:228], v[212:213]
	v_fma_f64 v[229:230], -v[212:213], v[227:228], 1.0
	v_fma_f64 v[227:228], v[227:228], v[229:230], v[227:228]
	v_fma_f64 v[229:230], -v[212:213], v[227:228], 1.0
	v_fma_f64 v[227:228], v[227:228], v[229:230], v[227:228]
	v_div_scale_f64 v[229:230], vcc_lo, 1.0, v[210:211], 1.0
	v_mul_f64 v[231:232], v[229:230], v[227:228]
	v_fma_f64 v[212:213], -v[212:213], v[231:232], v[229:230]
	v_div_fmas_f64 v[212:213], v[212:213], v[227:228], v[231:232]
	v_div_fixup_f64 v[210:211], v[212:213], v[210:211], 1.0
	v_mul_f64 v[212:213], v[225:226], -v[210:211]
.LBB102_219:
	s_or_b32 exec_lo, exec_lo, s1
.LBB102_220:
	s_or_b32 exec_lo, exec_lo, s0
	s_mov_b32 s0, exec_lo
	v_cmpx_ne_u32_e64 v224, v218
	s_xor_b32 s0, exec_lo, s0
	s_cbranch_execz .LBB102_226
; %bb.221:
	s_mov_b32 s1, exec_lo
	v_cmpx_eq_u32_e32 10, v224
	s_cbranch_execz .LBB102_225
; %bb.222:
	v_cmp_ne_u32_e32 vcc_lo, 10, v218
	s_xor_b32 s7, s16, -1
	s_and_b32 s9, s7, vcc_lo
	s_and_saveexec_b32 s7, s9
	s_cbranch_execz .LBB102_224
; %bb.223:
	v_ashrrev_i32_e32 v219, 31, v218
	v_lshlrev_b64 v[224:225], 2, v[218:219]
	v_add_co_u32 v224, vcc_lo, v216, v224
	v_add_co_ci_u32_e64 v225, null, v217, v225, vcc_lo
	s_clause 0x1
	global_load_dword v0, v[224:225], off
	global_load_dword v219, v[216:217], off offset:40
	s_waitcnt vmcnt(1)
	global_store_dword v[216:217], v0, off offset:40
	s_waitcnt vmcnt(0)
	global_store_dword v[224:225], v219, off
.LBB102_224:
	s_or_b32 exec_lo, exec_lo, s7
	v_mov_b32_e32 v224, v218
	v_mov_b32_e32 v0, v218
.LBB102_225:
	s_or_b32 exec_lo, exec_lo, s1
.LBB102_226:
	s_andn2_saveexec_b32 s0, s0
	s_cbranch_execz .LBB102_228
; %bb.227:
	v_mov_b32_e32 v224, 10
	ds_write2_b64 v1, v[162:163], v[164:165] offset0:22 offset1:23
	ds_write2_b64 v1, v[158:159], v[160:161] offset0:24 offset1:25
	;; [unrolled: 1-line block ×41, first 2 shown]
.LBB102_228:
	s_or_b32 exec_lo, exec_lo, s0
	s_mov_b32 s0, exec_lo
	s_waitcnt lgkmcnt(0)
	s_waitcnt_vscnt null, 0x0
	s_barrier
	buffer_gl0_inv
	v_cmpx_lt_i32_e32 10, v224
	s_cbranch_execz .LBB102_230
; %bb.229:
	v_mul_f64 v[218:219], v[212:213], v[168:169]
	v_mul_f64 v[168:169], v[210:211], v[168:169]
	v_fma_f64 v[218:219], v[210:211], v[166:167], -v[218:219]
	v_fma_f64 v[168:169], v[212:213], v[166:167], v[168:169]
	ds_read2_b64 v[210:213], v1 offset0:22 offset1:23
	s_waitcnt lgkmcnt(0)
	v_mul_f64 v[166:167], v[212:213], v[168:169]
	v_fma_f64 v[166:167], v[210:211], v[218:219], -v[166:167]
	v_mul_f64 v[210:211], v[210:211], v[168:169]
	v_add_f64 v[162:163], v[162:163], -v[166:167]
	v_fma_f64 v[210:211], v[212:213], v[218:219], v[210:211]
	v_add_f64 v[164:165], v[164:165], -v[210:211]
	ds_read2_b64 v[210:213], v1 offset0:24 offset1:25
	s_waitcnt lgkmcnt(0)
	v_mul_f64 v[166:167], v[212:213], v[168:169]
	v_fma_f64 v[166:167], v[210:211], v[218:219], -v[166:167]
	v_mul_f64 v[210:211], v[210:211], v[168:169]
	v_add_f64 v[158:159], v[158:159], -v[166:167]
	v_fma_f64 v[210:211], v[212:213], v[218:219], v[210:211]
	v_add_f64 v[160:161], v[160:161], -v[210:211]
	;; [unrolled: 8-line block ×40, first 2 shown]
	ds_read2_b64 v[210:213], v1 offset0:102 offset1:103
	s_waitcnt lgkmcnt(0)
	v_mul_f64 v[166:167], v[212:213], v[168:169]
	v_fma_f64 v[166:167], v[210:211], v[218:219], -v[166:167]
	v_mul_f64 v[210:211], v[210:211], v[168:169]
	v_add_f64 v[2:3], v[2:3], -v[166:167]
	v_fma_f64 v[210:211], v[212:213], v[218:219], v[210:211]
	v_mov_b32_e32 v166, v218
	v_mov_b32_e32 v167, v219
	v_add_f64 v[4:5], v[4:5], -v[210:211]
.LBB102_230:
	s_or_b32 exec_lo, exec_lo, s0
	v_lshl_add_u32 v210, v224, 4, v1
	s_barrier
	buffer_gl0_inv
	v_mov_b32_e32 v218, 11
	ds_write2_b64 v210, v[162:163], v[164:165] offset1:1
	s_waitcnt lgkmcnt(0)
	s_barrier
	buffer_gl0_inv
	ds_read2_b64 v[210:213], v1 offset0:22 offset1:23
	s_cmp_lt_i32 s8, 13
	s_cbranch_scc1 .LBB102_233
; %bb.231:
	v_add3_u32 v219, v220, 0, 0xc0
	v_mov_b32_e32 v218, 11
	s_mov_b32 s1, 12
	s_inst_prefetch 0x1
	.p2align	6
.LBB102_232:                            ; =>This Inner Loop Header: Depth=1
	s_waitcnt lgkmcnt(0)
	v_cmp_gt_f64_e32 vcc_lo, 0, v[212:213]
	v_cmp_gt_f64_e64 s0, 0, v[210:211]
	ds_read2_b64 v[225:228], v219 offset1:1
	v_xor_b32_e32 v230, 0x80000000, v211
	v_xor_b32_e32 v232, 0x80000000, v213
	v_mov_b32_e32 v229, v210
	v_mov_b32_e32 v231, v212
	v_add_nc_u32_e32 v219, 16, v219
	s_waitcnt lgkmcnt(0)
	v_xor_b32_e32 v234, 0x80000000, v228
	v_cndmask_b32_e64 v230, v211, v230, s0
	v_cndmask_b32_e32 v232, v213, v232, vcc_lo
	v_cmp_gt_f64_e32 vcc_lo, 0, v[227:228]
	v_cmp_gt_f64_e64 s0, 0, v[225:226]
	v_mov_b32_e32 v233, v227
	v_add_f64 v[229:230], v[229:230], v[231:232]
	v_xor_b32_e32 v232, 0x80000000, v226
	v_mov_b32_e32 v231, v225
	v_cndmask_b32_e32 v234, v228, v234, vcc_lo
	v_cndmask_b32_e64 v232, v226, v232, s0
	v_add_f64 v[231:232], v[231:232], v[233:234]
	v_cmp_lt_f64_e32 vcc_lo, v[229:230], v[231:232]
	v_cndmask_b32_e32 v211, v211, v226, vcc_lo
	v_cndmask_b32_e32 v210, v210, v225, vcc_lo
	;; [unrolled: 1-line block ×4, first 2 shown]
	v_cndmask_b32_e64 v218, v218, s1, vcc_lo
	s_add_i32 s1, s1, 1
	s_cmp_lg_u32 s8, s1
	s_cbranch_scc1 .LBB102_232
.LBB102_233:
	s_inst_prefetch 0x2
	s_waitcnt lgkmcnt(0)
	v_cmp_eq_f64_e32 vcc_lo, 0, v[210:211]
	v_cmp_eq_f64_e64 s0, 0, v[212:213]
	s_and_b32 s0, vcc_lo, s0
	s_and_saveexec_b32 s1, s0
	s_xor_b32 s0, exec_lo, s1
; %bb.234:
	v_cmp_ne_u32_e32 vcc_lo, 0, v223
	v_cndmask_b32_e32 v223, 12, v223, vcc_lo
; %bb.235:
	s_andn2_saveexec_b32 s0, s0
	s_cbranch_execz .LBB102_241
; %bb.236:
	v_cmp_ngt_f64_e64 s1, |v[210:211]|, |v[212:213]|
	s_and_saveexec_b32 s7, s1
	s_xor_b32 s1, exec_lo, s7
	s_cbranch_execz .LBB102_238
; %bb.237:
	v_div_scale_f64 v[225:226], null, v[212:213], v[212:213], v[210:211]
	v_div_scale_f64 v[231:232], vcc_lo, v[210:211], v[212:213], v[210:211]
	v_rcp_f64_e32 v[227:228], v[225:226]
	v_fma_f64 v[229:230], -v[225:226], v[227:228], 1.0
	v_fma_f64 v[227:228], v[227:228], v[229:230], v[227:228]
	v_fma_f64 v[229:230], -v[225:226], v[227:228], 1.0
	v_fma_f64 v[227:228], v[227:228], v[229:230], v[227:228]
	v_mul_f64 v[229:230], v[231:232], v[227:228]
	v_fma_f64 v[225:226], -v[225:226], v[229:230], v[231:232]
	v_div_fmas_f64 v[225:226], v[225:226], v[227:228], v[229:230]
	v_div_fixup_f64 v[225:226], v[225:226], v[212:213], v[210:211]
	v_fma_f64 v[210:211], v[210:211], v[225:226], v[212:213]
	v_div_scale_f64 v[212:213], null, v[210:211], v[210:211], 1.0
	v_rcp_f64_e32 v[227:228], v[212:213]
	v_fma_f64 v[229:230], -v[212:213], v[227:228], 1.0
	v_fma_f64 v[227:228], v[227:228], v[229:230], v[227:228]
	v_fma_f64 v[229:230], -v[212:213], v[227:228], 1.0
	v_fma_f64 v[227:228], v[227:228], v[229:230], v[227:228]
	v_div_scale_f64 v[229:230], vcc_lo, 1.0, v[210:211], 1.0
	v_mul_f64 v[231:232], v[229:230], v[227:228]
	v_fma_f64 v[212:213], -v[212:213], v[231:232], v[229:230]
	v_div_fmas_f64 v[212:213], v[212:213], v[227:228], v[231:232]
	v_div_fixup_f64 v[212:213], v[212:213], v[210:211], 1.0
	v_mul_f64 v[210:211], v[225:226], v[212:213]
	v_xor_b32_e32 v213, 0x80000000, v213
.LBB102_238:
	s_andn2_saveexec_b32 s1, s1
	s_cbranch_execz .LBB102_240
; %bb.239:
	v_div_scale_f64 v[225:226], null, v[210:211], v[210:211], v[212:213]
	v_div_scale_f64 v[231:232], vcc_lo, v[212:213], v[210:211], v[212:213]
	v_rcp_f64_e32 v[227:228], v[225:226]
	v_fma_f64 v[229:230], -v[225:226], v[227:228], 1.0
	v_fma_f64 v[227:228], v[227:228], v[229:230], v[227:228]
	v_fma_f64 v[229:230], -v[225:226], v[227:228], 1.0
	v_fma_f64 v[227:228], v[227:228], v[229:230], v[227:228]
	v_mul_f64 v[229:230], v[231:232], v[227:228]
	v_fma_f64 v[225:226], -v[225:226], v[229:230], v[231:232]
	v_div_fmas_f64 v[225:226], v[225:226], v[227:228], v[229:230]
	v_div_fixup_f64 v[225:226], v[225:226], v[210:211], v[212:213]
	v_fma_f64 v[210:211], v[212:213], v[225:226], v[210:211]
	v_div_scale_f64 v[212:213], null, v[210:211], v[210:211], 1.0
	v_rcp_f64_e32 v[227:228], v[212:213]
	v_fma_f64 v[229:230], -v[212:213], v[227:228], 1.0
	v_fma_f64 v[227:228], v[227:228], v[229:230], v[227:228]
	v_fma_f64 v[229:230], -v[212:213], v[227:228], 1.0
	v_fma_f64 v[227:228], v[227:228], v[229:230], v[227:228]
	v_div_scale_f64 v[229:230], vcc_lo, 1.0, v[210:211], 1.0
	v_mul_f64 v[231:232], v[229:230], v[227:228]
	v_fma_f64 v[212:213], -v[212:213], v[231:232], v[229:230]
	v_div_fmas_f64 v[212:213], v[212:213], v[227:228], v[231:232]
	v_div_fixup_f64 v[210:211], v[212:213], v[210:211], 1.0
	v_mul_f64 v[212:213], v[225:226], -v[210:211]
.LBB102_240:
	s_or_b32 exec_lo, exec_lo, s1
.LBB102_241:
	s_or_b32 exec_lo, exec_lo, s0
	s_mov_b32 s0, exec_lo
	v_cmpx_ne_u32_e64 v224, v218
	s_xor_b32 s0, exec_lo, s0
	s_cbranch_execz .LBB102_247
; %bb.242:
	s_mov_b32 s1, exec_lo
	v_cmpx_eq_u32_e32 11, v224
	s_cbranch_execz .LBB102_246
; %bb.243:
	v_cmp_ne_u32_e32 vcc_lo, 11, v218
	s_xor_b32 s7, s16, -1
	s_and_b32 s9, s7, vcc_lo
	s_and_saveexec_b32 s7, s9
	s_cbranch_execz .LBB102_245
; %bb.244:
	v_ashrrev_i32_e32 v219, 31, v218
	v_lshlrev_b64 v[224:225], 2, v[218:219]
	v_add_co_u32 v224, vcc_lo, v216, v224
	v_add_co_ci_u32_e64 v225, null, v217, v225, vcc_lo
	s_clause 0x1
	global_load_dword v0, v[224:225], off
	global_load_dword v219, v[216:217], off offset:44
	s_waitcnt vmcnt(1)
	global_store_dword v[216:217], v0, off offset:44
	s_waitcnt vmcnt(0)
	global_store_dword v[224:225], v219, off
.LBB102_245:
	s_or_b32 exec_lo, exec_lo, s7
	v_mov_b32_e32 v224, v218
	v_mov_b32_e32 v0, v218
.LBB102_246:
	s_or_b32 exec_lo, exec_lo, s1
.LBB102_247:
	s_andn2_saveexec_b32 s0, s0
	s_cbranch_execz .LBB102_249
; %bb.248:
	v_mov_b32_e32 v224, 11
	ds_write2_b64 v1, v[158:159], v[160:161] offset0:24 offset1:25
	ds_write2_b64 v1, v[154:155], v[156:157] offset0:26 offset1:27
	;; [unrolled: 1-line block ×40, first 2 shown]
.LBB102_249:
	s_or_b32 exec_lo, exec_lo, s0
	s_mov_b32 s0, exec_lo
	s_waitcnt lgkmcnt(0)
	s_waitcnt_vscnt null, 0x0
	s_barrier
	buffer_gl0_inv
	v_cmpx_lt_i32_e32 11, v224
	s_cbranch_execz .LBB102_251
; %bb.250:
	v_mul_f64 v[218:219], v[212:213], v[164:165]
	v_mul_f64 v[164:165], v[210:211], v[164:165]
	v_fma_f64 v[218:219], v[210:211], v[162:163], -v[218:219]
	v_fma_f64 v[164:165], v[212:213], v[162:163], v[164:165]
	ds_read2_b64 v[210:213], v1 offset0:24 offset1:25
	s_waitcnt lgkmcnt(0)
	v_mul_f64 v[162:163], v[212:213], v[164:165]
	v_fma_f64 v[162:163], v[210:211], v[218:219], -v[162:163]
	v_mul_f64 v[210:211], v[210:211], v[164:165]
	v_add_f64 v[158:159], v[158:159], -v[162:163]
	v_fma_f64 v[210:211], v[212:213], v[218:219], v[210:211]
	v_add_f64 v[160:161], v[160:161], -v[210:211]
	ds_read2_b64 v[210:213], v1 offset0:26 offset1:27
	s_waitcnt lgkmcnt(0)
	v_mul_f64 v[162:163], v[212:213], v[164:165]
	v_fma_f64 v[162:163], v[210:211], v[218:219], -v[162:163]
	v_mul_f64 v[210:211], v[210:211], v[164:165]
	v_add_f64 v[154:155], v[154:155], -v[162:163]
	v_fma_f64 v[210:211], v[212:213], v[218:219], v[210:211]
	v_add_f64 v[156:157], v[156:157], -v[210:211]
	;; [unrolled: 8-line block ×39, first 2 shown]
	ds_read2_b64 v[210:213], v1 offset0:102 offset1:103
	s_waitcnt lgkmcnt(0)
	v_mul_f64 v[162:163], v[212:213], v[164:165]
	v_fma_f64 v[162:163], v[210:211], v[218:219], -v[162:163]
	v_mul_f64 v[210:211], v[210:211], v[164:165]
	v_add_f64 v[2:3], v[2:3], -v[162:163]
	v_fma_f64 v[210:211], v[212:213], v[218:219], v[210:211]
	v_mov_b32_e32 v162, v218
	v_mov_b32_e32 v163, v219
	v_add_f64 v[4:5], v[4:5], -v[210:211]
.LBB102_251:
	s_or_b32 exec_lo, exec_lo, s0
	v_lshl_add_u32 v210, v224, 4, v1
	s_barrier
	buffer_gl0_inv
	v_mov_b32_e32 v218, 12
	ds_write2_b64 v210, v[158:159], v[160:161] offset1:1
	s_waitcnt lgkmcnt(0)
	s_barrier
	buffer_gl0_inv
	ds_read2_b64 v[210:213], v1 offset0:24 offset1:25
	s_cmp_lt_i32 s8, 14
	s_cbranch_scc1 .LBB102_254
; %bb.252:
	v_add3_u32 v219, v220, 0, 0xd0
	v_mov_b32_e32 v218, 12
	s_mov_b32 s1, 13
	s_inst_prefetch 0x1
	.p2align	6
.LBB102_253:                            ; =>This Inner Loop Header: Depth=1
	s_waitcnt lgkmcnt(0)
	v_cmp_gt_f64_e32 vcc_lo, 0, v[212:213]
	v_cmp_gt_f64_e64 s0, 0, v[210:211]
	ds_read2_b64 v[225:228], v219 offset1:1
	v_xor_b32_e32 v230, 0x80000000, v211
	v_xor_b32_e32 v232, 0x80000000, v213
	v_mov_b32_e32 v229, v210
	v_mov_b32_e32 v231, v212
	v_add_nc_u32_e32 v219, 16, v219
	s_waitcnt lgkmcnt(0)
	v_xor_b32_e32 v234, 0x80000000, v228
	v_cndmask_b32_e64 v230, v211, v230, s0
	v_cndmask_b32_e32 v232, v213, v232, vcc_lo
	v_cmp_gt_f64_e32 vcc_lo, 0, v[227:228]
	v_cmp_gt_f64_e64 s0, 0, v[225:226]
	v_mov_b32_e32 v233, v227
	v_add_f64 v[229:230], v[229:230], v[231:232]
	v_xor_b32_e32 v232, 0x80000000, v226
	v_mov_b32_e32 v231, v225
	v_cndmask_b32_e32 v234, v228, v234, vcc_lo
	v_cndmask_b32_e64 v232, v226, v232, s0
	v_add_f64 v[231:232], v[231:232], v[233:234]
	v_cmp_lt_f64_e32 vcc_lo, v[229:230], v[231:232]
	v_cndmask_b32_e32 v211, v211, v226, vcc_lo
	v_cndmask_b32_e32 v210, v210, v225, vcc_lo
	;; [unrolled: 1-line block ×4, first 2 shown]
	v_cndmask_b32_e64 v218, v218, s1, vcc_lo
	s_add_i32 s1, s1, 1
	s_cmp_lg_u32 s8, s1
	s_cbranch_scc1 .LBB102_253
.LBB102_254:
	s_inst_prefetch 0x2
	s_waitcnt lgkmcnt(0)
	v_cmp_eq_f64_e32 vcc_lo, 0, v[210:211]
	v_cmp_eq_f64_e64 s0, 0, v[212:213]
	s_and_b32 s0, vcc_lo, s0
	s_and_saveexec_b32 s1, s0
	s_xor_b32 s0, exec_lo, s1
; %bb.255:
	v_cmp_ne_u32_e32 vcc_lo, 0, v223
	v_cndmask_b32_e32 v223, 13, v223, vcc_lo
; %bb.256:
	s_andn2_saveexec_b32 s0, s0
	s_cbranch_execz .LBB102_262
; %bb.257:
	v_cmp_ngt_f64_e64 s1, |v[210:211]|, |v[212:213]|
	s_and_saveexec_b32 s7, s1
	s_xor_b32 s1, exec_lo, s7
	s_cbranch_execz .LBB102_259
; %bb.258:
	v_div_scale_f64 v[225:226], null, v[212:213], v[212:213], v[210:211]
	v_div_scale_f64 v[231:232], vcc_lo, v[210:211], v[212:213], v[210:211]
	v_rcp_f64_e32 v[227:228], v[225:226]
	v_fma_f64 v[229:230], -v[225:226], v[227:228], 1.0
	v_fma_f64 v[227:228], v[227:228], v[229:230], v[227:228]
	v_fma_f64 v[229:230], -v[225:226], v[227:228], 1.0
	v_fma_f64 v[227:228], v[227:228], v[229:230], v[227:228]
	v_mul_f64 v[229:230], v[231:232], v[227:228]
	v_fma_f64 v[225:226], -v[225:226], v[229:230], v[231:232]
	v_div_fmas_f64 v[225:226], v[225:226], v[227:228], v[229:230]
	v_div_fixup_f64 v[225:226], v[225:226], v[212:213], v[210:211]
	v_fma_f64 v[210:211], v[210:211], v[225:226], v[212:213]
	v_div_scale_f64 v[212:213], null, v[210:211], v[210:211], 1.0
	v_rcp_f64_e32 v[227:228], v[212:213]
	v_fma_f64 v[229:230], -v[212:213], v[227:228], 1.0
	v_fma_f64 v[227:228], v[227:228], v[229:230], v[227:228]
	v_fma_f64 v[229:230], -v[212:213], v[227:228], 1.0
	v_fma_f64 v[227:228], v[227:228], v[229:230], v[227:228]
	v_div_scale_f64 v[229:230], vcc_lo, 1.0, v[210:211], 1.0
	v_mul_f64 v[231:232], v[229:230], v[227:228]
	v_fma_f64 v[212:213], -v[212:213], v[231:232], v[229:230]
	v_div_fmas_f64 v[212:213], v[212:213], v[227:228], v[231:232]
	v_div_fixup_f64 v[212:213], v[212:213], v[210:211], 1.0
	v_mul_f64 v[210:211], v[225:226], v[212:213]
	v_xor_b32_e32 v213, 0x80000000, v213
.LBB102_259:
	s_andn2_saveexec_b32 s1, s1
	s_cbranch_execz .LBB102_261
; %bb.260:
	v_div_scale_f64 v[225:226], null, v[210:211], v[210:211], v[212:213]
	v_div_scale_f64 v[231:232], vcc_lo, v[212:213], v[210:211], v[212:213]
	v_rcp_f64_e32 v[227:228], v[225:226]
	v_fma_f64 v[229:230], -v[225:226], v[227:228], 1.0
	v_fma_f64 v[227:228], v[227:228], v[229:230], v[227:228]
	v_fma_f64 v[229:230], -v[225:226], v[227:228], 1.0
	v_fma_f64 v[227:228], v[227:228], v[229:230], v[227:228]
	v_mul_f64 v[229:230], v[231:232], v[227:228]
	v_fma_f64 v[225:226], -v[225:226], v[229:230], v[231:232]
	v_div_fmas_f64 v[225:226], v[225:226], v[227:228], v[229:230]
	v_div_fixup_f64 v[225:226], v[225:226], v[210:211], v[212:213]
	v_fma_f64 v[210:211], v[212:213], v[225:226], v[210:211]
	v_div_scale_f64 v[212:213], null, v[210:211], v[210:211], 1.0
	v_rcp_f64_e32 v[227:228], v[212:213]
	v_fma_f64 v[229:230], -v[212:213], v[227:228], 1.0
	v_fma_f64 v[227:228], v[227:228], v[229:230], v[227:228]
	v_fma_f64 v[229:230], -v[212:213], v[227:228], 1.0
	v_fma_f64 v[227:228], v[227:228], v[229:230], v[227:228]
	v_div_scale_f64 v[229:230], vcc_lo, 1.0, v[210:211], 1.0
	v_mul_f64 v[231:232], v[229:230], v[227:228]
	v_fma_f64 v[212:213], -v[212:213], v[231:232], v[229:230]
	v_div_fmas_f64 v[212:213], v[212:213], v[227:228], v[231:232]
	v_div_fixup_f64 v[210:211], v[212:213], v[210:211], 1.0
	v_mul_f64 v[212:213], v[225:226], -v[210:211]
.LBB102_261:
	s_or_b32 exec_lo, exec_lo, s1
.LBB102_262:
	s_or_b32 exec_lo, exec_lo, s0
	s_mov_b32 s0, exec_lo
	v_cmpx_ne_u32_e64 v224, v218
	s_xor_b32 s0, exec_lo, s0
	s_cbranch_execz .LBB102_268
; %bb.263:
	s_mov_b32 s1, exec_lo
	v_cmpx_eq_u32_e32 12, v224
	s_cbranch_execz .LBB102_267
; %bb.264:
	v_cmp_ne_u32_e32 vcc_lo, 12, v218
	s_xor_b32 s7, s16, -1
	s_and_b32 s9, s7, vcc_lo
	s_and_saveexec_b32 s7, s9
	s_cbranch_execz .LBB102_266
; %bb.265:
	v_ashrrev_i32_e32 v219, 31, v218
	v_lshlrev_b64 v[224:225], 2, v[218:219]
	v_add_co_u32 v224, vcc_lo, v216, v224
	v_add_co_ci_u32_e64 v225, null, v217, v225, vcc_lo
	s_clause 0x1
	global_load_dword v0, v[224:225], off
	global_load_dword v219, v[216:217], off offset:48
	s_waitcnt vmcnt(1)
	global_store_dword v[216:217], v0, off offset:48
	s_waitcnt vmcnt(0)
	global_store_dword v[224:225], v219, off
.LBB102_266:
	s_or_b32 exec_lo, exec_lo, s7
	v_mov_b32_e32 v224, v218
	v_mov_b32_e32 v0, v218
.LBB102_267:
	s_or_b32 exec_lo, exec_lo, s1
.LBB102_268:
	s_andn2_saveexec_b32 s0, s0
	s_cbranch_execz .LBB102_270
; %bb.269:
	v_mov_b32_e32 v224, 12
	ds_write2_b64 v1, v[154:155], v[156:157] offset0:26 offset1:27
	ds_write2_b64 v1, v[150:151], v[152:153] offset0:28 offset1:29
	;; [unrolled: 1-line block ×39, first 2 shown]
.LBB102_270:
	s_or_b32 exec_lo, exec_lo, s0
	s_mov_b32 s0, exec_lo
	s_waitcnt lgkmcnt(0)
	s_waitcnt_vscnt null, 0x0
	s_barrier
	buffer_gl0_inv
	v_cmpx_lt_i32_e32 12, v224
	s_cbranch_execz .LBB102_272
; %bb.271:
	v_mul_f64 v[218:219], v[212:213], v[160:161]
	v_mul_f64 v[160:161], v[210:211], v[160:161]
	v_fma_f64 v[218:219], v[210:211], v[158:159], -v[218:219]
	v_fma_f64 v[160:161], v[212:213], v[158:159], v[160:161]
	ds_read2_b64 v[210:213], v1 offset0:26 offset1:27
	s_waitcnt lgkmcnt(0)
	v_mul_f64 v[158:159], v[212:213], v[160:161]
	v_fma_f64 v[158:159], v[210:211], v[218:219], -v[158:159]
	v_mul_f64 v[210:211], v[210:211], v[160:161]
	v_add_f64 v[154:155], v[154:155], -v[158:159]
	v_fma_f64 v[210:211], v[212:213], v[218:219], v[210:211]
	v_add_f64 v[156:157], v[156:157], -v[210:211]
	ds_read2_b64 v[210:213], v1 offset0:28 offset1:29
	s_waitcnt lgkmcnt(0)
	v_mul_f64 v[158:159], v[212:213], v[160:161]
	v_fma_f64 v[158:159], v[210:211], v[218:219], -v[158:159]
	v_mul_f64 v[210:211], v[210:211], v[160:161]
	v_add_f64 v[150:151], v[150:151], -v[158:159]
	v_fma_f64 v[210:211], v[212:213], v[218:219], v[210:211]
	v_add_f64 v[152:153], v[152:153], -v[210:211]
	;; [unrolled: 8-line block ×38, first 2 shown]
	ds_read2_b64 v[210:213], v1 offset0:102 offset1:103
	s_waitcnt lgkmcnt(0)
	v_mul_f64 v[158:159], v[212:213], v[160:161]
	v_fma_f64 v[158:159], v[210:211], v[218:219], -v[158:159]
	v_mul_f64 v[210:211], v[210:211], v[160:161]
	v_add_f64 v[2:3], v[2:3], -v[158:159]
	v_fma_f64 v[210:211], v[212:213], v[218:219], v[210:211]
	v_mov_b32_e32 v158, v218
	v_mov_b32_e32 v159, v219
	v_add_f64 v[4:5], v[4:5], -v[210:211]
.LBB102_272:
	s_or_b32 exec_lo, exec_lo, s0
	v_lshl_add_u32 v210, v224, 4, v1
	s_barrier
	buffer_gl0_inv
	v_mov_b32_e32 v218, 13
	ds_write2_b64 v210, v[154:155], v[156:157] offset1:1
	s_waitcnt lgkmcnt(0)
	s_barrier
	buffer_gl0_inv
	ds_read2_b64 v[210:213], v1 offset0:26 offset1:27
	s_cmp_lt_i32 s8, 15
	s_cbranch_scc1 .LBB102_275
; %bb.273:
	v_add3_u32 v219, v220, 0, 0xe0
	v_mov_b32_e32 v218, 13
	s_mov_b32 s1, 14
	s_inst_prefetch 0x1
	.p2align	6
.LBB102_274:                            ; =>This Inner Loop Header: Depth=1
	s_waitcnt lgkmcnt(0)
	v_cmp_gt_f64_e32 vcc_lo, 0, v[212:213]
	v_cmp_gt_f64_e64 s0, 0, v[210:211]
	ds_read2_b64 v[225:228], v219 offset1:1
	v_xor_b32_e32 v230, 0x80000000, v211
	v_xor_b32_e32 v232, 0x80000000, v213
	v_mov_b32_e32 v229, v210
	v_mov_b32_e32 v231, v212
	v_add_nc_u32_e32 v219, 16, v219
	s_waitcnt lgkmcnt(0)
	v_xor_b32_e32 v234, 0x80000000, v228
	v_cndmask_b32_e64 v230, v211, v230, s0
	v_cndmask_b32_e32 v232, v213, v232, vcc_lo
	v_cmp_gt_f64_e32 vcc_lo, 0, v[227:228]
	v_cmp_gt_f64_e64 s0, 0, v[225:226]
	v_mov_b32_e32 v233, v227
	v_add_f64 v[229:230], v[229:230], v[231:232]
	v_xor_b32_e32 v232, 0x80000000, v226
	v_mov_b32_e32 v231, v225
	v_cndmask_b32_e32 v234, v228, v234, vcc_lo
	v_cndmask_b32_e64 v232, v226, v232, s0
	v_add_f64 v[231:232], v[231:232], v[233:234]
	v_cmp_lt_f64_e32 vcc_lo, v[229:230], v[231:232]
	v_cndmask_b32_e32 v211, v211, v226, vcc_lo
	v_cndmask_b32_e32 v210, v210, v225, vcc_lo
	;; [unrolled: 1-line block ×4, first 2 shown]
	v_cndmask_b32_e64 v218, v218, s1, vcc_lo
	s_add_i32 s1, s1, 1
	s_cmp_lg_u32 s8, s1
	s_cbranch_scc1 .LBB102_274
.LBB102_275:
	s_inst_prefetch 0x2
	s_waitcnt lgkmcnt(0)
	v_cmp_eq_f64_e32 vcc_lo, 0, v[210:211]
	v_cmp_eq_f64_e64 s0, 0, v[212:213]
	s_and_b32 s0, vcc_lo, s0
	s_and_saveexec_b32 s1, s0
	s_xor_b32 s0, exec_lo, s1
; %bb.276:
	v_cmp_ne_u32_e32 vcc_lo, 0, v223
	v_cndmask_b32_e32 v223, 14, v223, vcc_lo
; %bb.277:
	s_andn2_saveexec_b32 s0, s0
	s_cbranch_execz .LBB102_283
; %bb.278:
	v_cmp_ngt_f64_e64 s1, |v[210:211]|, |v[212:213]|
	s_and_saveexec_b32 s7, s1
	s_xor_b32 s1, exec_lo, s7
	s_cbranch_execz .LBB102_280
; %bb.279:
	v_div_scale_f64 v[225:226], null, v[212:213], v[212:213], v[210:211]
	v_div_scale_f64 v[231:232], vcc_lo, v[210:211], v[212:213], v[210:211]
	v_rcp_f64_e32 v[227:228], v[225:226]
	v_fma_f64 v[229:230], -v[225:226], v[227:228], 1.0
	v_fma_f64 v[227:228], v[227:228], v[229:230], v[227:228]
	v_fma_f64 v[229:230], -v[225:226], v[227:228], 1.0
	v_fma_f64 v[227:228], v[227:228], v[229:230], v[227:228]
	v_mul_f64 v[229:230], v[231:232], v[227:228]
	v_fma_f64 v[225:226], -v[225:226], v[229:230], v[231:232]
	v_div_fmas_f64 v[225:226], v[225:226], v[227:228], v[229:230]
	v_div_fixup_f64 v[225:226], v[225:226], v[212:213], v[210:211]
	v_fma_f64 v[210:211], v[210:211], v[225:226], v[212:213]
	v_div_scale_f64 v[212:213], null, v[210:211], v[210:211], 1.0
	v_rcp_f64_e32 v[227:228], v[212:213]
	v_fma_f64 v[229:230], -v[212:213], v[227:228], 1.0
	v_fma_f64 v[227:228], v[227:228], v[229:230], v[227:228]
	v_fma_f64 v[229:230], -v[212:213], v[227:228], 1.0
	v_fma_f64 v[227:228], v[227:228], v[229:230], v[227:228]
	v_div_scale_f64 v[229:230], vcc_lo, 1.0, v[210:211], 1.0
	v_mul_f64 v[231:232], v[229:230], v[227:228]
	v_fma_f64 v[212:213], -v[212:213], v[231:232], v[229:230]
	v_div_fmas_f64 v[212:213], v[212:213], v[227:228], v[231:232]
	v_div_fixup_f64 v[212:213], v[212:213], v[210:211], 1.0
	v_mul_f64 v[210:211], v[225:226], v[212:213]
	v_xor_b32_e32 v213, 0x80000000, v213
.LBB102_280:
	s_andn2_saveexec_b32 s1, s1
	s_cbranch_execz .LBB102_282
; %bb.281:
	v_div_scale_f64 v[225:226], null, v[210:211], v[210:211], v[212:213]
	v_div_scale_f64 v[231:232], vcc_lo, v[212:213], v[210:211], v[212:213]
	v_rcp_f64_e32 v[227:228], v[225:226]
	v_fma_f64 v[229:230], -v[225:226], v[227:228], 1.0
	v_fma_f64 v[227:228], v[227:228], v[229:230], v[227:228]
	v_fma_f64 v[229:230], -v[225:226], v[227:228], 1.0
	v_fma_f64 v[227:228], v[227:228], v[229:230], v[227:228]
	v_mul_f64 v[229:230], v[231:232], v[227:228]
	v_fma_f64 v[225:226], -v[225:226], v[229:230], v[231:232]
	v_div_fmas_f64 v[225:226], v[225:226], v[227:228], v[229:230]
	v_div_fixup_f64 v[225:226], v[225:226], v[210:211], v[212:213]
	v_fma_f64 v[210:211], v[212:213], v[225:226], v[210:211]
	v_div_scale_f64 v[212:213], null, v[210:211], v[210:211], 1.0
	v_rcp_f64_e32 v[227:228], v[212:213]
	v_fma_f64 v[229:230], -v[212:213], v[227:228], 1.0
	v_fma_f64 v[227:228], v[227:228], v[229:230], v[227:228]
	v_fma_f64 v[229:230], -v[212:213], v[227:228], 1.0
	v_fma_f64 v[227:228], v[227:228], v[229:230], v[227:228]
	v_div_scale_f64 v[229:230], vcc_lo, 1.0, v[210:211], 1.0
	v_mul_f64 v[231:232], v[229:230], v[227:228]
	v_fma_f64 v[212:213], -v[212:213], v[231:232], v[229:230]
	v_div_fmas_f64 v[212:213], v[212:213], v[227:228], v[231:232]
	v_div_fixup_f64 v[210:211], v[212:213], v[210:211], 1.0
	v_mul_f64 v[212:213], v[225:226], -v[210:211]
.LBB102_282:
	s_or_b32 exec_lo, exec_lo, s1
.LBB102_283:
	s_or_b32 exec_lo, exec_lo, s0
	s_mov_b32 s0, exec_lo
	v_cmpx_ne_u32_e64 v224, v218
	s_xor_b32 s0, exec_lo, s0
	s_cbranch_execz .LBB102_289
; %bb.284:
	s_mov_b32 s1, exec_lo
	v_cmpx_eq_u32_e32 13, v224
	s_cbranch_execz .LBB102_288
; %bb.285:
	v_cmp_ne_u32_e32 vcc_lo, 13, v218
	s_xor_b32 s7, s16, -1
	s_and_b32 s9, s7, vcc_lo
	s_and_saveexec_b32 s7, s9
	s_cbranch_execz .LBB102_287
; %bb.286:
	v_ashrrev_i32_e32 v219, 31, v218
	v_lshlrev_b64 v[224:225], 2, v[218:219]
	v_add_co_u32 v224, vcc_lo, v216, v224
	v_add_co_ci_u32_e64 v225, null, v217, v225, vcc_lo
	s_clause 0x1
	global_load_dword v0, v[224:225], off
	global_load_dword v219, v[216:217], off offset:52
	s_waitcnt vmcnt(1)
	global_store_dword v[216:217], v0, off offset:52
	s_waitcnt vmcnt(0)
	global_store_dword v[224:225], v219, off
.LBB102_287:
	s_or_b32 exec_lo, exec_lo, s7
	v_mov_b32_e32 v224, v218
	v_mov_b32_e32 v0, v218
.LBB102_288:
	s_or_b32 exec_lo, exec_lo, s1
.LBB102_289:
	s_andn2_saveexec_b32 s0, s0
	s_cbranch_execz .LBB102_291
; %bb.290:
	v_mov_b32_e32 v224, 13
	ds_write2_b64 v1, v[150:151], v[152:153] offset0:28 offset1:29
	ds_write2_b64 v1, v[146:147], v[148:149] offset0:30 offset1:31
	;; [unrolled: 1-line block ×38, first 2 shown]
.LBB102_291:
	s_or_b32 exec_lo, exec_lo, s0
	s_mov_b32 s0, exec_lo
	s_waitcnt lgkmcnt(0)
	s_waitcnt_vscnt null, 0x0
	s_barrier
	buffer_gl0_inv
	v_cmpx_lt_i32_e32 13, v224
	s_cbranch_execz .LBB102_293
; %bb.292:
	v_mul_f64 v[218:219], v[212:213], v[156:157]
	v_mul_f64 v[156:157], v[210:211], v[156:157]
	v_fma_f64 v[218:219], v[210:211], v[154:155], -v[218:219]
	v_fma_f64 v[156:157], v[212:213], v[154:155], v[156:157]
	ds_read2_b64 v[210:213], v1 offset0:28 offset1:29
	s_waitcnt lgkmcnt(0)
	v_mul_f64 v[154:155], v[212:213], v[156:157]
	v_fma_f64 v[154:155], v[210:211], v[218:219], -v[154:155]
	v_mul_f64 v[210:211], v[210:211], v[156:157]
	v_add_f64 v[150:151], v[150:151], -v[154:155]
	v_fma_f64 v[210:211], v[212:213], v[218:219], v[210:211]
	v_add_f64 v[152:153], v[152:153], -v[210:211]
	ds_read2_b64 v[210:213], v1 offset0:30 offset1:31
	s_waitcnt lgkmcnt(0)
	v_mul_f64 v[154:155], v[212:213], v[156:157]
	v_fma_f64 v[154:155], v[210:211], v[218:219], -v[154:155]
	v_mul_f64 v[210:211], v[210:211], v[156:157]
	v_add_f64 v[146:147], v[146:147], -v[154:155]
	v_fma_f64 v[210:211], v[212:213], v[218:219], v[210:211]
	v_add_f64 v[148:149], v[148:149], -v[210:211]
	;; [unrolled: 8-line block ×37, first 2 shown]
	ds_read2_b64 v[210:213], v1 offset0:102 offset1:103
	s_waitcnt lgkmcnt(0)
	v_mul_f64 v[154:155], v[212:213], v[156:157]
	v_fma_f64 v[154:155], v[210:211], v[218:219], -v[154:155]
	v_mul_f64 v[210:211], v[210:211], v[156:157]
	v_add_f64 v[2:3], v[2:3], -v[154:155]
	v_fma_f64 v[210:211], v[212:213], v[218:219], v[210:211]
	v_mov_b32_e32 v154, v218
	v_mov_b32_e32 v155, v219
	v_add_f64 v[4:5], v[4:5], -v[210:211]
.LBB102_293:
	s_or_b32 exec_lo, exec_lo, s0
	v_lshl_add_u32 v210, v224, 4, v1
	s_barrier
	buffer_gl0_inv
	v_mov_b32_e32 v218, 14
	ds_write2_b64 v210, v[150:151], v[152:153] offset1:1
	s_waitcnt lgkmcnt(0)
	s_barrier
	buffer_gl0_inv
	ds_read2_b64 v[210:213], v1 offset0:28 offset1:29
	s_cmp_lt_i32 s8, 16
	s_cbranch_scc1 .LBB102_296
; %bb.294:
	v_add3_u32 v219, v220, 0, 0xf0
	v_mov_b32_e32 v218, 14
	s_mov_b32 s1, 15
	s_inst_prefetch 0x1
	.p2align	6
.LBB102_295:                            ; =>This Inner Loop Header: Depth=1
	s_waitcnt lgkmcnt(0)
	v_cmp_gt_f64_e32 vcc_lo, 0, v[212:213]
	v_cmp_gt_f64_e64 s0, 0, v[210:211]
	ds_read2_b64 v[225:228], v219 offset1:1
	v_xor_b32_e32 v230, 0x80000000, v211
	v_xor_b32_e32 v232, 0x80000000, v213
	v_mov_b32_e32 v229, v210
	v_mov_b32_e32 v231, v212
	v_add_nc_u32_e32 v219, 16, v219
	s_waitcnt lgkmcnt(0)
	v_xor_b32_e32 v234, 0x80000000, v228
	v_cndmask_b32_e64 v230, v211, v230, s0
	v_cndmask_b32_e32 v232, v213, v232, vcc_lo
	v_cmp_gt_f64_e32 vcc_lo, 0, v[227:228]
	v_cmp_gt_f64_e64 s0, 0, v[225:226]
	v_mov_b32_e32 v233, v227
	v_add_f64 v[229:230], v[229:230], v[231:232]
	v_xor_b32_e32 v232, 0x80000000, v226
	v_mov_b32_e32 v231, v225
	v_cndmask_b32_e32 v234, v228, v234, vcc_lo
	v_cndmask_b32_e64 v232, v226, v232, s0
	v_add_f64 v[231:232], v[231:232], v[233:234]
	v_cmp_lt_f64_e32 vcc_lo, v[229:230], v[231:232]
	v_cndmask_b32_e32 v211, v211, v226, vcc_lo
	v_cndmask_b32_e32 v210, v210, v225, vcc_lo
	;; [unrolled: 1-line block ×4, first 2 shown]
	v_cndmask_b32_e64 v218, v218, s1, vcc_lo
	s_add_i32 s1, s1, 1
	s_cmp_lg_u32 s8, s1
	s_cbranch_scc1 .LBB102_295
.LBB102_296:
	s_inst_prefetch 0x2
	s_waitcnt lgkmcnt(0)
	v_cmp_eq_f64_e32 vcc_lo, 0, v[210:211]
	v_cmp_eq_f64_e64 s0, 0, v[212:213]
	s_and_b32 s0, vcc_lo, s0
	s_and_saveexec_b32 s1, s0
	s_xor_b32 s0, exec_lo, s1
; %bb.297:
	v_cmp_ne_u32_e32 vcc_lo, 0, v223
	v_cndmask_b32_e32 v223, 15, v223, vcc_lo
; %bb.298:
	s_andn2_saveexec_b32 s0, s0
	s_cbranch_execz .LBB102_304
; %bb.299:
	v_cmp_ngt_f64_e64 s1, |v[210:211]|, |v[212:213]|
	s_and_saveexec_b32 s7, s1
	s_xor_b32 s1, exec_lo, s7
	s_cbranch_execz .LBB102_301
; %bb.300:
	v_div_scale_f64 v[225:226], null, v[212:213], v[212:213], v[210:211]
	v_div_scale_f64 v[231:232], vcc_lo, v[210:211], v[212:213], v[210:211]
	v_rcp_f64_e32 v[227:228], v[225:226]
	v_fma_f64 v[229:230], -v[225:226], v[227:228], 1.0
	v_fma_f64 v[227:228], v[227:228], v[229:230], v[227:228]
	v_fma_f64 v[229:230], -v[225:226], v[227:228], 1.0
	v_fma_f64 v[227:228], v[227:228], v[229:230], v[227:228]
	v_mul_f64 v[229:230], v[231:232], v[227:228]
	v_fma_f64 v[225:226], -v[225:226], v[229:230], v[231:232]
	v_div_fmas_f64 v[225:226], v[225:226], v[227:228], v[229:230]
	v_div_fixup_f64 v[225:226], v[225:226], v[212:213], v[210:211]
	v_fma_f64 v[210:211], v[210:211], v[225:226], v[212:213]
	v_div_scale_f64 v[212:213], null, v[210:211], v[210:211], 1.0
	v_rcp_f64_e32 v[227:228], v[212:213]
	v_fma_f64 v[229:230], -v[212:213], v[227:228], 1.0
	v_fma_f64 v[227:228], v[227:228], v[229:230], v[227:228]
	v_fma_f64 v[229:230], -v[212:213], v[227:228], 1.0
	v_fma_f64 v[227:228], v[227:228], v[229:230], v[227:228]
	v_div_scale_f64 v[229:230], vcc_lo, 1.0, v[210:211], 1.0
	v_mul_f64 v[231:232], v[229:230], v[227:228]
	v_fma_f64 v[212:213], -v[212:213], v[231:232], v[229:230]
	v_div_fmas_f64 v[212:213], v[212:213], v[227:228], v[231:232]
	v_div_fixup_f64 v[212:213], v[212:213], v[210:211], 1.0
	v_mul_f64 v[210:211], v[225:226], v[212:213]
	v_xor_b32_e32 v213, 0x80000000, v213
.LBB102_301:
	s_andn2_saveexec_b32 s1, s1
	s_cbranch_execz .LBB102_303
; %bb.302:
	v_div_scale_f64 v[225:226], null, v[210:211], v[210:211], v[212:213]
	v_div_scale_f64 v[231:232], vcc_lo, v[212:213], v[210:211], v[212:213]
	v_rcp_f64_e32 v[227:228], v[225:226]
	v_fma_f64 v[229:230], -v[225:226], v[227:228], 1.0
	v_fma_f64 v[227:228], v[227:228], v[229:230], v[227:228]
	v_fma_f64 v[229:230], -v[225:226], v[227:228], 1.0
	v_fma_f64 v[227:228], v[227:228], v[229:230], v[227:228]
	v_mul_f64 v[229:230], v[231:232], v[227:228]
	v_fma_f64 v[225:226], -v[225:226], v[229:230], v[231:232]
	v_div_fmas_f64 v[225:226], v[225:226], v[227:228], v[229:230]
	v_div_fixup_f64 v[225:226], v[225:226], v[210:211], v[212:213]
	v_fma_f64 v[210:211], v[212:213], v[225:226], v[210:211]
	v_div_scale_f64 v[212:213], null, v[210:211], v[210:211], 1.0
	v_rcp_f64_e32 v[227:228], v[212:213]
	v_fma_f64 v[229:230], -v[212:213], v[227:228], 1.0
	v_fma_f64 v[227:228], v[227:228], v[229:230], v[227:228]
	v_fma_f64 v[229:230], -v[212:213], v[227:228], 1.0
	v_fma_f64 v[227:228], v[227:228], v[229:230], v[227:228]
	v_div_scale_f64 v[229:230], vcc_lo, 1.0, v[210:211], 1.0
	v_mul_f64 v[231:232], v[229:230], v[227:228]
	v_fma_f64 v[212:213], -v[212:213], v[231:232], v[229:230]
	v_div_fmas_f64 v[212:213], v[212:213], v[227:228], v[231:232]
	v_div_fixup_f64 v[210:211], v[212:213], v[210:211], 1.0
	v_mul_f64 v[212:213], v[225:226], -v[210:211]
.LBB102_303:
	s_or_b32 exec_lo, exec_lo, s1
.LBB102_304:
	s_or_b32 exec_lo, exec_lo, s0
	s_mov_b32 s0, exec_lo
	v_cmpx_ne_u32_e64 v224, v218
	s_xor_b32 s0, exec_lo, s0
	s_cbranch_execz .LBB102_310
; %bb.305:
	s_mov_b32 s1, exec_lo
	v_cmpx_eq_u32_e32 14, v224
	s_cbranch_execz .LBB102_309
; %bb.306:
	v_cmp_ne_u32_e32 vcc_lo, 14, v218
	s_xor_b32 s7, s16, -1
	s_and_b32 s9, s7, vcc_lo
	s_and_saveexec_b32 s7, s9
	s_cbranch_execz .LBB102_308
; %bb.307:
	v_ashrrev_i32_e32 v219, 31, v218
	v_lshlrev_b64 v[224:225], 2, v[218:219]
	v_add_co_u32 v224, vcc_lo, v216, v224
	v_add_co_ci_u32_e64 v225, null, v217, v225, vcc_lo
	s_clause 0x1
	global_load_dword v0, v[224:225], off
	global_load_dword v219, v[216:217], off offset:56
	s_waitcnt vmcnt(1)
	global_store_dword v[216:217], v0, off offset:56
	s_waitcnt vmcnt(0)
	global_store_dword v[224:225], v219, off
.LBB102_308:
	s_or_b32 exec_lo, exec_lo, s7
	v_mov_b32_e32 v224, v218
	v_mov_b32_e32 v0, v218
.LBB102_309:
	s_or_b32 exec_lo, exec_lo, s1
.LBB102_310:
	s_andn2_saveexec_b32 s0, s0
	s_cbranch_execz .LBB102_312
; %bb.311:
	v_mov_b32_e32 v224, 14
	ds_write2_b64 v1, v[146:147], v[148:149] offset0:30 offset1:31
	ds_write2_b64 v1, v[142:143], v[144:145] offset0:32 offset1:33
	;; [unrolled: 1-line block ×37, first 2 shown]
.LBB102_312:
	s_or_b32 exec_lo, exec_lo, s0
	s_mov_b32 s0, exec_lo
	s_waitcnt lgkmcnt(0)
	s_waitcnt_vscnt null, 0x0
	s_barrier
	buffer_gl0_inv
	v_cmpx_lt_i32_e32 14, v224
	s_cbranch_execz .LBB102_314
; %bb.313:
	v_mul_f64 v[218:219], v[212:213], v[152:153]
	v_mul_f64 v[152:153], v[210:211], v[152:153]
	v_fma_f64 v[218:219], v[210:211], v[150:151], -v[218:219]
	v_fma_f64 v[152:153], v[212:213], v[150:151], v[152:153]
	ds_read2_b64 v[210:213], v1 offset0:30 offset1:31
	s_waitcnt lgkmcnt(0)
	v_mul_f64 v[150:151], v[212:213], v[152:153]
	v_fma_f64 v[150:151], v[210:211], v[218:219], -v[150:151]
	v_mul_f64 v[210:211], v[210:211], v[152:153]
	v_add_f64 v[146:147], v[146:147], -v[150:151]
	v_fma_f64 v[210:211], v[212:213], v[218:219], v[210:211]
	v_add_f64 v[148:149], v[148:149], -v[210:211]
	ds_read2_b64 v[210:213], v1 offset0:32 offset1:33
	s_waitcnt lgkmcnt(0)
	v_mul_f64 v[150:151], v[212:213], v[152:153]
	v_fma_f64 v[150:151], v[210:211], v[218:219], -v[150:151]
	v_mul_f64 v[210:211], v[210:211], v[152:153]
	v_add_f64 v[142:143], v[142:143], -v[150:151]
	v_fma_f64 v[210:211], v[212:213], v[218:219], v[210:211]
	v_add_f64 v[144:145], v[144:145], -v[210:211]
	;; [unrolled: 8-line block ×36, first 2 shown]
	ds_read2_b64 v[210:213], v1 offset0:102 offset1:103
	s_waitcnt lgkmcnt(0)
	v_mul_f64 v[150:151], v[212:213], v[152:153]
	v_fma_f64 v[150:151], v[210:211], v[218:219], -v[150:151]
	v_mul_f64 v[210:211], v[210:211], v[152:153]
	v_add_f64 v[2:3], v[2:3], -v[150:151]
	v_fma_f64 v[210:211], v[212:213], v[218:219], v[210:211]
	v_mov_b32_e32 v150, v218
	v_mov_b32_e32 v151, v219
	v_add_f64 v[4:5], v[4:5], -v[210:211]
.LBB102_314:
	s_or_b32 exec_lo, exec_lo, s0
	v_lshl_add_u32 v210, v224, 4, v1
	s_barrier
	buffer_gl0_inv
	v_mov_b32_e32 v218, 15
	ds_write2_b64 v210, v[146:147], v[148:149] offset1:1
	s_waitcnt lgkmcnt(0)
	s_barrier
	buffer_gl0_inv
	ds_read2_b64 v[210:213], v1 offset0:30 offset1:31
	s_cmp_lt_i32 s8, 17
	s_cbranch_scc1 .LBB102_317
; %bb.315:
	v_add3_u32 v219, v220, 0, 0x100
	v_mov_b32_e32 v218, 15
	s_mov_b32 s1, 16
	s_inst_prefetch 0x1
	.p2align	6
.LBB102_316:                            ; =>This Inner Loop Header: Depth=1
	s_waitcnt lgkmcnt(0)
	v_cmp_gt_f64_e32 vcc_lo, 0, v[212:213]
	v_cmp_gt_f64_e64 s0, 0, v[210:211]
	ds_read2_b64 v[225:228], v219 offset1:1
	v_xor_b32_e32 v230, 0x80000000, v211
	v_xor_b32_e32 v232, 0x80000000, v213
	v_mov_b32_e32 v229, v210
	v_mov_b32_e32 v231, v212
	v_add_nc_u32_e32 v219, 16, v219
	s_waitcnt lgkmcnt(0)
	v_xor_b32_e32 v234, 0x80000000, v228
	v_cndmask_b32_e64 v230, v211, v230, s0
	v_cndmask_b32_e32 v232, v213, v232, vcc_lo
	v_cmp_gt_f64_e32 vcc_lo, 0, v[227:228]
	v_cmp_gt_f64_e64 s0, 0, v[225:226]
	v_mov_b32_e32 v233, v227
	v_add_f64 v[229:230], v[229:230], v[231:232]
	v_xor_b32_e32 v232, 0x80000000, v226
	v_mov_b32_e32 v231, v225
	v_cndmask_b32_e32 v234, v228, v234, vcc_lo
	v_cndmask_b32_e64 v232, v226, v232, s0
	v_add_f64 v[231:232], v[231:232], v[233:234]
	v_cmp_lt_f64_e32 vcc_lo, v[229:230], v[231:232]
	v_cndmask_b32_e32 v211, v211, v226, vcc_lo
	v_cndmask_b32_e32 v210, v210, v225, vcc_lo
	;; [unrolled: 1-line block ×4, first 2 shown]
	v_cndmask_b32_e64 v218, v218, s1, vcc_lo
	s_add_i32 s1, s1, 1
	s_cmp_lg_u32 s8, s1
	s_cbranch_scc1 .LBB102_316
.LBB102_317:
	s_inst_prefetch 0x2
	s_waitcnt lgkmcnt(0)
	v_cmp_eq_f64_e32 vcc_lo, 0, v[210:211]
	v_cmp_eq_f64_e64 s0, 0, v[212:213]
	s_and_b32 s0, vcc_lo, s0
	s_and_saveexec_b32 s1, s0
	s_xor_b32 s0, exec_lo, s1
; %bb.318:
	v_cmp_ne_u32_e32 vcc_lo, 0, v223
	v_cndmask_b32_e32 v223, 16, v223, vcc_lo
; %bb.319:
	s_andn2_saveexec_b32 s0, s0
	s_cbranch_execz .LBB102_325
; %bb.320:
	v_cmp_ngt_f64_e64 s1, |v[210:211]|, |v[212:213]|
	s_and_saveexec_b32 s7, s1
	s_xor_b32 s1, exec_lo, s7
	s_cbranch_execz .LBB102_322
; %bb.321:
	v_div_scale_f64 v[225:226], null, v[212:213], v[212:213], v[210:211]
	v_div_scale_f64 v[231:232], vcc_lo, v[210:211], v[212:213], v[210:211]
	v_rcp_f64_e32 v[227:228], v[225:226]
	v_fma_f64 v[229:230], -v[225:226], v[227:228], 1.0
	v_fma_f64 v[227:228], v[227:228], v[229:230], v[227:228]
	v_fma_f64 v[229:230], -v[225:226], v[227:228], 1.0
	v_fma_f64 v[227:228], v[227:228], v[229:230], v[227:228]
	v_mul_f64 v[229:230], v[231:232], v[227:228]
	v_fma_f64 v[225:226], -v[225:226], v[229:230], v[231:232]
	v_div_fmas_f64 v[225:226], v[225:226], v[227:228], v[229:230]
	v_div_fixup_f64 v[225:226], v[225:226], v[212:213], v[210:211]
	v_fma_f64 v[210:211], v[210:211], v[225:226], v[212:213]
	v_div_scale_f64 v[212:213], null, v[210:211], v[210:211], 1.0
	v_rcp_f64_e32 v[227:228], v[212:213]
	v_fma_f64 v[229:230], -v[212:213], v[227:228], 1.0
	v_fma_f64 v[227:228], v[227:228], v[229:230], v[227:228]
	v_fma_f64 v[229:230], -v[212:213], v[227:228], 1.0
	v_fma_f64 v[227:228], v[227:228], v[229:230], v[227:228]
	v_div_scale_f64 v[229:230], vcc_lo, 1.0, v[210:211], 1.0
	v_mul_f64 v[231:232], v[229:230], v[227:228]
	v_fma_f64 v[212:213], -v[212:213], v[231:232], v[229:230]
	v_div_fmas_f64 v[212:213], v[212:213], v[227:228], v[231:232]
	v_div_fixup_f64 v[212:213], v[212:213], v[210:211], 1.0
	v_mul_f64 v[210:211], v[225:226], v[212:213]
	v_xor_b32_e32 v213, 0x80000000, v213
.LBB102_322:
	s_andn2_saveexec_b32 s1, s1
	s_cbranch_execz .LBB102_324
; %bb.323:
	v_div_scale_f64 v[225:226], null, v[210:211], v[210:211], v[212:213]
	v_div_scale_f64 v[231:232], vcc_lo, v[212:213], v[210:211], v[212:213]
	v_rcp_f64_e32 v[227:228], v[225:226]
	v_fma_f64 v[229:230], -v[225:226], v[227:228], 1.0
	v_fma_f64 v[227:228], v[227:228], v[229:230], v[227:228]
	v_fma_f64 v[229:230], -v[225:226], v[227:228], 1.0
	v_fma_f64 v[227:228], v[227:228], v[229:230], v[227:228]
	v_mul_f64 v[229:230], v[231:232], v[227:228]
	v_fma_f64 v[225:226], -v[225:226], v[229:230], v[231:232]
	v_div_fmas_f64 v[225:226], v[225:226], v[227:228], v[229:230]
	v_div_fixup_f64 v[225:226], v[225:226], v[210:211], v[212:213]
	v_fma_f64 v[210:211], v[212:213], v[225:226], v[210:211]
	v_div_scale_f64 v[212:213], null, v[210:211], v[210:211], 1.0
	v_rcp_f64_e32 v[227:228], v[212:213]
	v_fma_f64 v[229:230], -v[212:213], v[227:228], 1.0
	v_fma_f64 v[227:228], v[227:228], v[229:230], v[227:228]
	v_fma_f64 v[229:230], -v[212:213], v[227:228], 1.0
	v_fma_f64 v[227:228], v[227:228], v[229:230], v[227:228]
	v_div_scale_f64 v[229:230], vcc_lo, 1.0, v[210:211], 1.0
	v_mul_f64 v[231:232], v[229:230], v[227:228]
	v_fma_f64 v[212:213], -v[212:213], v[231:232], v[229:230]
	v_div_fmas_f64 v[212:213], v[212:213], v[227:228], v[231:232]
	v_div_fixup_f64 v[210:211], v[212:213], v[210:211], 1.0
	v_mul_f64 v[212:213], v[225:226], -v[210:211]
.LBB102_324:
	s_or_b32 exec_lo, exec_lo, s1
.LBB102_325:
	s_or_b32 exec_lo, exec_lo, s0
	s_mov_b32 s0, exec_lo
	v_cmpx_ne_u32_e64 v224, v218
	s_xor_b32 s0, exec_lo, s0
	s_cbranch_execz .LBB102_331
; %bb.326:
	s_mov_b32 s1, exec_lo
	v_cmpx_eq_u32_e32 15, v224
	s_cbranch_execz .LBB102_330
; %bb.327:
	v_cmp_ne_u32_e32 vcc_lo, 15, v218
	s_xor_b32 s7, s16, -1
	s_and_b32 s9, s7, vcc_lo
	s_and_saveexec_b32 s7, s9
	s_cbranch_execz .LBB102_329
; %bb.328:
	v_ashrrev_i32_e32 v219, 31, v218
	v_lshlrev_b64 v[224:225], 2, v[218:219]
	v_add_co_u32 v224, vcc_lo, v216, v224
	v_add_co_ci_u32_e64 v225, null, v217, v225, vcc_lo
	s_clause 0x1
	global_load_dword v0, v[224:225], off
	global_load_dword v219, v[216:217], off offset:60
	s_waitcnt vmcnt(1)
	global_store_dword v[216:217], v0, off offset:60
	s_waitcnt vmcnt(0)
	global_store_dword v[224:225], v219, off
.LBB102_329:
	s_or_b32 exec_lo, exec_lo, s7
	v_mov_b32_e32 v224, v218
	v_mov_b32_e32 v0, v218
.LBB102_330:
	s_or_b32 exec_lo, exec_lo, s1
.LBB102_331:
	s_andn2_saveexec_b32 s0, s0
	s_cbranch_execz .LBB102_333
; %bb.332:
	v_mov_b32_e32 v224, 15
	ds_write2_b64 v1, v[142:143], v[144:145] offset0:32 offset1:33
	ds_write2_b64 v1, v[138:139], v[140:141] offset0:34 offset1:35
	;; [unrolled: 1-line block ×36, first 2 shown]
.LBB102_333:
	s_or_b32 exec_lo, exec_lo, s0
	s_mov_b32 s0, exec_lo
	s_waitcnt lgkmcnt(0)
	s_waitcnt_vscnt null, 0x0
	s_barrier
	buffer_gl0_inv
	v_cmpx_lt_i32_e32 15, v224
	s_cbranch_execz .LBB102_335
; %bb.334:
	v_mul_f64 v[218:219], v[212:213], v[148:149]
	v_mul_f64 v[148:149], v[210:211], v[148:149]
	v_fma_f64 v[218:219], v[210:211], v[146:147], -v[218:219]
	v_fma_f64 v[148:149], v[212:213], v[146:147], v[148:149]
	ds_read2_b64 v[210:213], v1 offset0:32 offset1:33
	s_waitcnt lgkmcnt(0)
	v_mul_f64 v[146:147], v[212:213], v[148:149]
	v_fma_f64 v[146:147], v[210:211], v[218:219], -v[146:147]
	v_mul_f64 v[210:211], v[210:211], v[148:149]
	v_add_f64 v[142:143], v[142:143], -v[146:147]
	v_fma_f64 v[210:211], v[212:213], v[218:219], v[210:211]
	v_add_f64 v[144:145], v[144:145], -v[210:211]
	ds_read2_b64 v[210:213], v1 offset0:34 offset1:35
	s_waitcnt lgkmcnt(0)
	v_mul_f64 v[146:147], v[212:213], v[148:149]
	v_fma_f64 v[146:147], v[210:211], v[218:219], -v[146:147]
	v_mul_f64 v[210:211], v[210:211], v[148:149]
	v_add_f64 v[138:139], v[138:139], -v[146:147]
	v_fma_f64 v[210:211], v[212:213], v[218:219], v[210:211]
	v_add_f64 v[140:141], v[140:141], -v[210:211]
	;; [unrolled: 8-line block ×35, first 2 shown]
	ds_read2_b64 v[210:213], v1 offset0:102 offset1:103
	s_waitcnt lgkmcnt(0)
	v_mul_f64 v[146:147], v[212:213], v[148:149]
	v_fma_f64 v[146:147], v[210:211], v[218:219], -v[146:147]
	v_mul_f64 v[210:211], v[210:211], v[148:149]
	v_add_f64 v[2:3], v[2:3], -v[146:147]
	v_fma_f64 v[210:211], v[212:213], v[218:219], v[210:211]
	v_mov_b32_e32 v146, v218
	v_mov_b32_e32 v147, v219
	v_add_f64 v[4:5], v[4:5], -v[210:211]
.LBB102_335:
	s_or_b32 exec_lo, exec_lo, s0
	v_lshl_add_u32 v210, v224, 4, v1
	s_barrier
	buffer_gl0_inv
	v_mov_b32_e32 v218, 16
	ds_write2_b64 v210, v[142:143], v[144:145] offset1:1
	s_waitcnt lgkmcnt(0)
	s_barrier
	buffer_gl0_inv
	ds_read2_b64 v[210:213], v1 offset0:32 offset1:33
	s_cmp_lt_i32 s8, 18
	s_cbranch_scc1 .LBB102_338
; %bb.336:
	v_add3_u32 v219, v220, 0, 0x110
	v_mov_b32_e32 v218, 16
	s_mov_b32 s1, 17
	s_inst_prefetch 0x1
	.p2align	6
.LBB102_337:                            ; =>This Inner Loop Header: Depth=1
	s_waitcnt lgkmcnt(0)
	v_cmp_gt_f64_e32 vcc_lo, 0, v[212:213]
	v_cmp_gt_f64_e64 s0, 0, v[210:211]
	ds_read2_b64 v[225:228], v219 offset1:1
	v_xor_b32_e32 v230, 0x80000000, v211
	v_xor_b32_e32 v232, 0x80000000, v213
	v_mov_b32_e32 v229, v210
	v_mov_b32_e32 v231, v212
	v_add_nc_u32_e32 v219, 16, v219
	s_waitcnt lgkmcnt(0)
	v_xor_b32_e32 v234, 0x80000000, v228
	v_cndmask_b32_e64 v230, v211, v230, s0
	v_cndmask_b32_e32 v232, v213, v232, vcc_lo
	v_cmp_gt_f64_e32 vcc_lo, 0, v[227:228]
	v_cmp_gt_f64_e64 s0, 0, v[225:226]
	v_mov_b32_e32 v233, v227
	v_add_f64 v[229:230], v[229:230], v[231:232]
	v_xor_b32_e32 v232, 0x80000000, v226
	v_mov_b32_e32 v231, v225
	v_cndmask_b32_e32 v234, v228, v234, vcc_lo
	v_cndmask_b32_e64 v232, v226, v232, s0
	v_add_f64 v[231:232], v[231:232], v[233:234]
	v_cmp_lt_f64_e32 vcc_lo, v[229:230], v[231:232]
	v_cndmask_b32_e32 v211, v211, v226, vcc_lo
	v_cndmask_b32_e32 v210, v210, v225, vcc_lo
	;; [unrolled: 1-line block ×4, first 2 shown]
	v_cndmask_b32_e64 v218, v218, s1, vcc_lo
	s_add_i32 s1, s1, 1
	s_cmp_lg_u32 s8, s1
	s_cbranch_scc1 .LBB102_337
.LBB102_338:
	s_inst_prefetch 0x2
	s_waitcnt lgkmcnt(0)
	v_cmp_eq_f64_e32 vcc_lo, 0, v[210:211]
	v_cmp_eq_f64_e64 s0, 0, v[212:213]
	s_and_b32 s0, vcc_lo, s0
	s_and_saveexec_b32 s1, s0
	s_xor_b32 s0, exec_lo, s1
; %bb.339:
	v_cmp_ne_u32_e32 vcc_lo, 0, v223
	v_cndmask_b32_e32 v223, 17, v223, vcc_lo
; %bb.340:
	s_andn2_saveexec_b32 s0, s0
	s_cbranch_execz .LBB102_346
; %bb.341:
	v_cmp_ngt_f64_e64 s1, |v[210:211]|, |v[212:213]|
	s_and_saveexec_b32 s7, s1
	s_xor_b32 s1, exec_lo, s7
	s_cbranch_execz .LBB102_343
; %bb.342:
	v_div_scale_f64 v[225:226], null, v[212:213], v[212:213], v[210:211]
	v_div_scale_f64 v[231:232], vcc_lo, v[210:211], v[212:213], v[210:211]
	v_rcp_f64_e32 v[227:228], v[225:226]
	v_fma_f64 v[229:230], -v[225:226], v[227:228], 1.0
	v_fma_f64 v[227:228], v[227:228], v[229:230], v[227:228]
	v_fma_f64 v[229:230], -v[225:226], v[227:228], 1.0
	v_fma_f64 v[227:228], v[227:228], v[229:230], v[227:228]
	v_mul_f64 v[229:230], v[231:232], v[227:228]
	v_fma_f64 v[225:226], -v[225:226], v[229:230], v[231:232]
	v_div_fmas_f64 v[225:226], v[225:226], v[227:228], v[229:230]
	v_div_fixup_f64 v[225:226], v[225:226], v[212:213], v[210:211]
	v_fma_f64 v[210:211], v[210:211], v[225:226], v[212:213]
	v_div_scale_f64 v[212:213], null, v[210:211], v[210:211], 1.0
	v_rcp_f64_e32 v[227:228], v[212:213]
	v_fma_f64 v[229:230], -v[212:213], v[227:228], 1.0
	v_fma_f64 v[227:228], v[227:228], v[229:230], v[227:228]
	v_fma_f64 v[229:230], -v[212:213], v[227:228], 1.0
	v_fma_f64 v[227:228], v[227:228], v[229:230], v[227:228]
	v_div_scale_f64 v[229:230], vcc_lo, 1.0, v[210:211], 1.0
	v_mul_f64 v[231:232], v[229:230], v[227:228]
	v_fma_f64 v[212:213], -v[212:213], v[231:232], v[229:230]
	v_div_fmas_f64 v[212:213], v[212:213], v[227:228], v[231:232]
	v_div_fixup_f64 v[212:213], v[212:213], v[210:211], 1.0
	v_mul_f64 v[210:211], v[225:226], v[212:213]
	v_xor_b32_e32 v213, 0x80000000, v213
.LBB102_343:
	s_andn2_saveexec_b32 s1, s1
	s_cbranch_execz .LBB102_345
; %bb.344:
	v_div_scale_f64 v[225:226], null, v[210:211], v[210:211], v[212:213]
	v_div_scale_f64 v[231:232], vcc_lo, v[212:213], v[210:211], v[212:213]
	v_rcp_f64_e32 v[227:228], v[225:226]
	v_fma_f64 v[229:230], -v[225:226], v[227:228], 1.0
	v_fma_f64 v[227:228], v[227:228], v[229:230], v[227:228]
	v_fma_f64 v[229:230], -v[225:226], v[227:228], 1.0
	v_fma_f64 v[227:228], v[227:228], v[229:230], v[227:228]
	v_mul_f64 v[229:230], v[231:232], v[227:228]
	v_fma_f64 v[225:226], -v[225:226], v[229:230], v[231:232]
	v_div_fmas_f64 v[225:226], v[225:226], v[227:228], v[229:230]
	v_div_fixup_f64 v[225:226], v[225:226], v[210:211], v[212:213]
	v_fma_f64 v[210:211], v[212:213], v[225:226], v[210:211]
	v_div_scale_f64 v[212:213], null, v[210:211], v[210:211], 1.0
	v_rcp_f64_e32 v[227:228], v[212:213]
	v_fma_f64 v[229:230], -v[212:213], v[227:228], 1.0
	v_fma_f64 v[227:228], v[227:228], v[229:230], v[227:228]
	v_fma_f64 v[229:230], -v[212:213], v[227:228], 1.0
	v_fma_f64 v[227:228], v[227:228], v[229:230], v[227:228]
	v_div_scale_f64 v[229:230], vcc_lo, 1.0, v[210:211], 1.0
	v_mul_f64 v[231:232], v[229:230], v[227:228]
	v_fma_f64 v[212:213], -v[212:213], v[231:232], v[229:230]
	v_div_fmas_f64 v[212:213], v[212:213], v[227:228], v[231:232]
	v_div_fixup_f64 v[210:211], v[212:213], v[210:211], 1.0
	v_mul_f64 v[212:213], v[225:226], -v[210:211]
.LBB102_345:
	s_or_b32 exec_lo, exec_lo, s1
.LBB102_346:
	s_or_b32 exec_lo, exec_lo, s0
	s_mov_b32 s0, exec_lo
	v_cmpx_ne_u32_e64 v224, v218
	s_xor_b32 s0, exec_lo, s0
	s_cbranch_execz .LBB102_352
; %bb.347:
	s_mov_b32 s1, exec_lo
	v_cmpx_eq_u32_e32 16, v224
	s_cbranch_execz .LBB102_351
; %bb.348:
	v_cmp_ne_u32_e32 vcc_lo, 16, v218
	s_xor_b32 s7, s16, -1
	s_and_b32 s9, s7, vcc_lo
	s_and_saveexec_b32 s7, s9
	s_cbranch_execz .LBB102_350
; %bb.349:
	v_ashrrev_i32_e32 v219, 31, v218
	v_lshlrev_b64 v[224:225], 2, v[218:219]
	v_add_co_u32 v224, vcc_lo, v216, v224
	v_add_co_ci_u32_e64 v225, null, v217, v225, vcc_lo
	s_clause 0x1
	global_load_dword v0, v[224:225], off
	global_load_dword v219, v[216:217], off offset:64
	s_waitcnt vmcnt(1)
	global_store_dword v[216:217], v0, off offset:64
	s_waitcnt vmcnt(0)
	global_store_dword v[224:225], v219, off
.LBB102_350:
	s_or_b32 exec_lo, exec_lo, s7
	v_mov_b32_e32 v224, v218
	v_mov_b32_e32 v0, v218
.LBB102_351:
	s_or_b32 exec_lo, exec_lo, s1
.LBB102_352:
	s_andn2_saveexec_b32 s0, s0
	s_cbranch_execz .LBB102_354
; %bb.353:
	v_mov_b32_e32 v224, 16
	ds_write2_b64 v1, v[138:139], v[140:141] offset0:34 offset1:35
	ds_write2_b64 v1, v[134:135], v[136:137] offset0:36 offset1:37
	;; [unrolled: 1-line block ×35, first 2 shown]
.LBB102_354:
	s_or_b32 exec_lo, exec_lo, s0
	s_mov_b32 s0, exec_lo
	s_waitcnt lgkmcnt(0)
	s_waitcnt_vscnt null, 0x0
	s_barrier
	buffer_gl0_inv
	v_cmpx_lt_i32_e32 16, v224
	s_cbranch_execz .LBB102_356
; %bb.355:
	v_mul_f64 v[218:219], v[212:213], v[144:145]
	v_mul_f64 v[144:145], v[210:211], v[144:145]
	v_fma_f64 v[218:219], v[210:211], v[142:143], -v[218:219]
	v_fma_f64 v[144:145], v[212:213], v[142:143], v[144:145]
	ds_read2_b64 v[210:213], v1 offset0:34 offset1:35
	s_waitcnt lgkmcnt(0)
	v_mul_f64 v[142:143], v[212:213], v[144:145]
	v_fma_f64 v[142:143], v[210:211], v[218:219], -v[142:143]
	v_mul_f64 v[210:211], v[210:211], v[144:145]
	v_add_f64 v[138:139], v[138:139], -v[142:143]
	v_fma_f64 v[210:211], v[212:213], v[218:219], v[210:211]
	v_add_f64 v[140:141], v[140:141], -v[210:211]
	ds_read2_b64 v[210:213], v1 offset0:36 offset1:37
	s_waitcnt lgkmcnt(0)
	v_mul_f64 v[142:143], v[212:213], v[144:145]
	v_fma_f64 v[142:143], v[210:211], v[218:219], -v[142:143]
	v_mul_f64 v[210:211], v[210:211], v[144:145]
	v_add_f64 v[134:135], v[134:135], -v[142:143]
	v_fma_f64 v[210:211], v[212:213], v[218:219], v[210:211]
	v_add_f64 v[136:137], v[136:137], -v[210:211]
	;; [unrolled: 8-line block ×34, first 2 shown]
	ds_read2_b64 v[210:213], v1 offset0:102 offset1:103
	s_waitcnt lgkmcnt(0)
	v_mul_f64 v[142:143], v[212:213], v[144:145]
	v_fma_f64 v[142:143], v[210:211], v[218:219], -v[142:143]
	v_mul_f64 v[210:211], v[210:211], v[144:145]
	v_add_f64 v[2:3], v[2:3], -v[142:143]
	v_fma_f64 v[210:211], v[212:213], v[218:219], v[210:211]
	v_mov_b32_e32 v142, v218
	v_mov_b32_e32 v143, v219
	v_add_f64 v[4:5], v[4:5], -v[210:211]
.LBB102_356:
	s_or_b32 exec_lo, exec_lo, s0
	v_lshl_add_u32 v210, v224, 4, v1
	s_barrier
	buffer_gl0_inv
	v_mov_b32_e32 v218, 17
	ds_write2_b64 v210, v[138:139], v[140:141] offset1:1
	s_waitcnt lgkmcnt(0)
	s_barrier
	buffer_gl0_inv
	ds_read2_b64 v[210:213], v1 offset0:34 offset1:35
	s_cmp_lt_i32 s8, 19
	s_cbranch_scc1 .LBB102_359
; %bb.357:
	v_add3_u32 v219, v220, 0, 0x120
	v_mov_b32_e32 v218, 17
	s_mov_b32 s1, 18
	s_inst_prefetch 0x1
	.p2align	6
.LBB102_358:                            ; =>This Inner Loop Header: Depth=1
	s_waitcnt lgkmcnt(0)
	v_cmp_gt_f64_e32 vcc_lo, 0, v[212:213]
	v_cmp_gt_f64_e64 s0, 0, v[210:211]
	ds_read2_b64 v[225:228], v219 offset1:1
	v_xor_b32_e32 v230, 0x80000000, v211
	v_xor_b32_e32 v232, 0x80000000, v213
	v_mov_b32_e32 v229, v210
	v_mov_b32_e32 v231, v212
	v_add_nc_u32_e32 v219, 16, v219
	s_waitcnt lgkmcnt(0)
	v_xor_b32_e32 v234, 0x80000000, v228
	v_cndmask_b32_e64 v230, v211, v230, s0
	v_cndmask_b32_e32 v232, v213, v232, vcc_lo
	v_cmp_gt_f64_e32 vcc_lo, 0, v[227:228]
	v_cmp_gt_f64_e64 s0, 0, v[225:226]
	v_mov_b32_e32 v233, v227
	v_add_f64 v[229:230], v[229:230], v[231:232]
	v_xor_b32_e32 v232, 0x80000000, v226
	v_mov_b32_e32 v231, v225
	v_cndmask_b32_e32 v234, v228, v234, vcc_lo
	v_cndmask_b32_e64 v232, v226, v232, s0
	v_add_f64 v[231:232], v[231:232], v[233:234]
	v_cmp_lt_f64_e32 vcc_lo, v[229:230], v[231:232]
	v_cndmask_b32_e32 v211, v211, v226, vcc_lo
	v_cndmask_b32_e32 v210, v210, v225, vcc_lo
	;; [unrolled: 1-line block ×4, first 2 shown]
	v_cndmask_b32_e64 v218, v218, s1, vcc_lo
	s_add_i32 s1, s1, 1
	s_cmp_lg_u32 s8, s1
	s_cbranch_scc1 .LBB102_358
.LBB102_359:
	s_inst_prefetch 0x2
	s_waitcnt lgkmcnt(0)
	v_cmp_eq_f64_e32 vcc_lo, 0, v[210:211]
	v_cmp_eq_f64_e64 s0, 0, v[212:213]
	s_and_b32 s0, vcc_lo, s0
	s_and_saveexec_b32 s1, s0
	s_xor_b32 s0, exec_lo, s1
; %bb.360:
	v_cmp_ne_u32_e32 vcc_lo, 0, v223
	v_cndmask_b32_e32 v223, 18, v223, vcc_lo
; %bb.361:
	s_andn2_saveexec_b32 s0, s0
	s_cbranch_execz .LBB102_367
; %bb.362:
	v_cmp_ngt_f64_e64 s1, |v[210:211]|, |v[212:213]|
	s_and_saveexec_b32 s7, s1
	s_xor_b32 s1, exec_lo, s7
	s_cbranch_execz .LBB102_364
; %bb.363:
	v_div_scale_f64 v[225:226], null, v[212:213], v[212:213], v[210:211]
	v_div_scale_f64 v[231:232], vcc_lo, v[210:211], v[212:213], v[210:211]
	v_rcp_f64_e32 v[227:228], v[225:226]
	v_fma_f64 v[229:230], -v[225:226], v[227:228], 1.0
	v_fma_f64 v[227:228], v[227:228], v[229:230], v[227:228]
	v_fma_f64 v[229:230], -v[225:226], v[227:228], 1.0
	v_fma_f64 v[227:228], v[227:228], v[229:230], v[227:228]
	v_mul_f64 v[229:230], v[231:232], v[227:228]
	v_fma_f64 v[225:226], -v[225:226], v[229:230], v[231:232]
	v_div_fmas_f64 v[225:226], v[225:226], v[227:228], v[229:230]
	v_div_fixup_f64 v[225:226], v[225:226], v[212:213], v[210:211]
	v_fma_f64 v[210:211], v[210:211], v[225:226], v[212:213]
	v_div_scale_f64 v[212:213], null, v[210:211], v[210:211], 1.0
	v_rcp_f64_e32 v[227:228], v[212:213]
	v_fma_f64 v[229:230], -v[212:213], v[227:228], 1.0
	v_fma_f64 v[227:228], v[227:228], v[229:230], v[227:228]
	v_fma_f64 v[229:230], -v[212:213], v[227:228], 1.0
	v_fma_f64 v[227:228], v[227:228], v[229:230], v[227:228]
	v_div_scale_f64 v[229:230], vcc_lo, 1.0, v[210:211], 1.0
	v_mul_f64 v[231:232], v[229:230], v[227:228]
	v_fma_f64 v[212:213], -v[212:213], v[231:232], v[229:230]
	v_div_fmas_f64 v[212:213], v[212:213], v[227:228], v[231:232]
	v_div_fixup_f64 v[212:213], v[212:213], v[210:211], 1.0
	v_mul_f64 v[210:211], v[225:226], v[212:213]
	v_xor_b32_e32 v213, 0x80000000, v213
.LBB102_364:
	s_andn2_saveexec_b32 s1, s1
	s_cbranch_execz .LBB102_366
; %bb.365:
	v_div_scale_f64 v[225:226], null, v[210:211], v[210:211], v[212:213]
	v_div_scale_f64 v[231:232], vcc_lo, v[212:213], v[210:211], v[212:213]
	v_rcp_f64_e32 v[227:228], v[225:226]
	v_fma_f64 v[229:230], -v[225:226], v[227:228], 1.0
	v_fma_f64 v[227:228], v[227:228], v[229:230], v[227:228]
	v_fma_f64 v[229:230], -v[225:226], v[227:228], 1.0
	v_fma_f64 v[227:228], v[227:228], v[229:230], v[227:228]
	v_mul_f64 v[229:230], v[231:232], v[227:228]
	v_fma_f64 v[225:226], -v[225:226], v[229:230], v[231:232]
	v_div_fmas_f64 v[225:226], v[225:226], v[227:228], v[229:230]
	v_div_fixup_f64 v[225:226], v[225:226], v[210:211], v[212:213]
	v_fma_f64 v[210:211], v[212:213], v[225:226], v[210:211]
	v_div_scale_f64 v[212:213], null, v[210:211], v[210:211], 1.0
	v_rcp_f64_e32 v[227:228], v[212:213]
	v_fma_f64 v[229:230], -v[212:213], v[227:228], 1.0
	v_fma_f64 v[227:228], v[227:228], v[229:230], v[227:228]
	v_fma_f64 v[229:230], -v[212:213], v[227:228], 1.0
	v_fma_f64 v[227:228], v[227:228], v[229:230], v[227:228]
	v_div_scale_f64 v[229:230], vcc_lo, 1.0, v[210:211], 1.0
	v_mul_f64 v[231:232], v[229:230], v[227:228]
	v_fma_f64 v[212:213], -v[212:213], v[231:232], v[229:230]
	v_div_fmas_f64 v[212:213], v[212:213], v[227:228], v[231:232]
	v_div_fixup_f64 v[210:211], v[212:213], v[210:211], 1.0
	v_mul_f64 v[212:213], v[225:226], -v[210:211]
.LBB102_366:
	s_or_b32 exec_lo, exec_lo, s1
.LBB102_367:
	s_or_b32 exec_lo, exec_lo, s0
	s_mov_b32 s0, exec_lo
	v_cmpx_ne_u32_e64 v224, v218
	s_xor_b32 s0, exec_lo, s0
	s_cbranch_execz .LBB102_373
; %bb.368:
	s_mov_b32 s1, exec_lo
	v_cmpx_eq_u32_e32 17, v224
	s_cbranch_execz .LBB102_372
; %bb.369:
	v_cmp_ne_u32_e32 vcc_lo, 17, v218
	s_xor_b32 s7, s16, -1
	s_and_b32 s9, s7, vcc_lo
	s_and_saveexec_b32 s7, s9
	s_cbranch_execz .LBB102_371
; %bb.370:
	v_ashrrev_i32_e32 v219, 31, v218
	v_lshlrev_b64 v[224:225], 2, v[218:219]
	v_add_co_u32 v224, vcc_lo, v216, v224
	v_add_co_ci_u32_e64 v225, null, v217, v225, vcc_lo
	s_clause 0x1
	global_load_dword v0, v[224:225], off
	global_load_dword v219, v[216:217], off offset:68
	s_waitcnt vmcnt(1)
	global_store_dword v[216:217], v0, off offset:68
	s_waitcnt vmcnt(0)
	global_store_dword v[224:225], v219, off
.LBB102_371:
	s_or_b32 exec_lo, exec_lo, s7
	v_mov_b32_e32 v224, v218
	v_mov_b32_e32 v0, v218
.LBB102_372:
	s_or_b32 exec_lo, exec_lo, s1
.LBB102_373:
	s_andn2_saveexec_b32 s0, s0
	s_cbranch_execz .LBB102_375
; %bb.374:
	v_mov_b32_e32 v224, 17
	ds_write2_b64 v1, v[134:135], v[136:137] offset0:36 offset1:37
	ds_write2_b64 v1, v[130:131], v[132:133] offset0:38 offset1:39
	;; [unrolled: 1-line block ×34, first 2 shown]
.LBB102_375:
	s_or_b32 exec_lo, exec_lo, s0
	s_mov_b32 s0, exec_lo
	s_waitcnt lgkmcnt(0)
	s_waitcnt_vscnt null, 0x0
	s_barrier
	buffer_gl0_inv
	v_cmpx_lt_i32_e32 17, v224
	s_cbranch_execz .LBB102_377
; %bb.376:
	v_mul_f64 v[218:219], v[212:213], v[140:141]
	v_mul_f64 v[140:141], v[210:211], v[140:141]
	v_fma_f64 v[218:219], v[210:211], v[138:139], -v[218:219]
	v_fma_f64 v[140:141], v[212:213], v[138:139], v[140:141]
	ds_read2_b64 v[210:213], v1 offset0:36 offset1:37
	s_waitcnt lgkmcnt(0)
	v_mul_f64 v[138:139], v[212:213], v[140:141]
	v_fma_f64 v[138:139], v[210:211], v[218:219], -v[138:139]
	v_mul_f64 v[210:211], v[210:211], v[140:141]
	v_add_f64 v[134:135], v[134:135], -v[138:139]
	v_fma_f64 v[210:211], v[212:213], v[218:219], v[210:211]
	v_add_f64 v[136:137], v[136:137], -v[210:211]
	ds_read2_b64 v[210:213], v1 offset0:38 offset1:39
	s_waitcnt lgkmcnt(0)
	v_mul_f64 v[138:139], v[212:213], v[140:141]
	v_fma_f64 v[138:139], v[210:211], v[218:219], -v[138:139]
	v_mul_f64 v[210:211], v[210:211], v[140:141]
	v_add_f64 v[130:131], v[130:131], -v[138:139]
	v_fma_f64 v[210:211], v[212:213], v[218:219], v[210:211]
	v_add_f64 v[132:133], v[132:133], -v[210:211]
	;; [unrolled: 8-line block ×33, first 2 shown]
	ds_read2_b64 v[210:213], v1 offset0:102 offset1:103
	s_waitcnt lgkmcnt(0)
	v_mul_f64 v[138:139], v[212:213], v[140:141]
	v_fma_f64 v[138:139], v[210:211], v[218:219], -v[138:139]
	v_mul_f64 v[210:211], v[210:211], v[140:141]
	v_add_f64 v[2:3], v[2:3], -v[138:139]
	v_fma_f64 v[210:211], v[212:213], v[218:219], v[210:211]
	v_mov_b32_e32 v138, v218
	v_mov_b32_e32 v139, v219
	v_add_f64 v[4:5], v[4:5], -v[210:211]
.LBB102_377:
	s_or_b32 exec_lo, exec_lo, s0
	v_lshl_add_u32 v210, v224, 4, v1
	s_barrier
	buffer_gl0_inv
	v_mov_b32_e32 v218, 18
	ds_write2_b64 v210, v[134:135], v[136:137] offset1:1
	s_waitcnt lgkmcnt(0)
	s_barrier
	buffer_gl0_inv
	ds_read2_b64 v[210:213], v1 offset0:36 offset1:37
	s_cmp_lt_i32 s8, 20
	s_cbranch_scc1 .LBB102_380
; %bb.378:
	v_add3_u32 v219, v220, 0, 0x130
	v_mov_b32_e32 v218, 18
	s_mov_b32 s1, 19
	s_inst_prefetch 0x1
	.p2align	6
.LBB102_379:                            ; =>This Inner Loop Header: Depth=1
	s_waitcnt lgkmcnt(0)
	v_cmp_gt_f64_e32 vcc_lo, 0, v[212:213]
	v_cmp_gt_f64_e64 s0, 0, v[210:211]
	ds_read2_b64 v[225:228], v219 offset1:1
	v_xor_b32_e32 v230, 0x80000000, v211
	v_xor_b32_e32 v232, 0x80000000, v213
	v_mov_b32_e32 v229, v210
	v_mov_b32_e32 v231, v212
	v_add_nc_u32_e32 v219, 16, v219
	s_waitcnt lgkmcnt(0)
	v_xor_b32_e32 v234, 0x80000000, v228
	v_cndmask_b32_e64 v230, v211, v230, s0
	v_cndmask_b32_e32 v232, v213, v232, vcc_lo
	v_cmp_gt_f64_e32 vcc_lo, 0, v[227:228]
	v_cmp_gt_f64_e64 s0, 0, v[225:226]
	v_mov_b32_e32 v233, v227
	v_add_f64 v[229:230], v[229:230], v[231:232]
	v_xor_b32_e32 v232, 0x80000000, v226
	v_mov_b32_e32 v231, v225
	v_cndmask_b32_e32 v234, v228, v234, vcc_lo
	v_cndmask_b32_e64 v232, v226, v232, s0
	v_add_f64 v[231:232], v[231:232], v[233:234]
	v_cmp_lt_f64_e32 vcc_lo, v[229:230], v[231:232]
	v_cndmask_b32_e32 v211, v211, v226, vcc_lo
	v_cndmask_b32_e32 v210, v210, v225, vcc_lo
	;; [unrolled: 1-line block ×4, first 2 shown]
	v_cndmask_b32_e64 v218, v218, s1, vcc_lo
	s_add_i32 s1, s1, 1
	s_cmp_lg_u32 s8, s1
	s_cbranch_scc1 .LBB102_379
.LBB102_380:
	s_inst_prefetch 0x2
	s_waitcnt lgkmcnt(0)
	v_cmp_eq_f64_e32 vcc_lo, 0, v[210:211]
	v_cmp_eq_f64_e64 s0, 0, v[212:213]
	s_and_b32 s0, vcc_lo, s0
	s_and_saveexec_b32 s1, s0
	s_xor_b32 s0, exec_lo, s1
; %bb.381:
	v_cmp_ne_u32_e32 vcc_lo, 0, v223
	v_cndmask_b32_e32 v223, 19, v223, vcc_lo
; %bb.382:
	s_andn2_saveexec_b32 s0, s0
	s_cbranch_execz .LBB102_388
; %bb.383:
	v_cmp_ngt_f64_e64 s1, |v[210:211]|, |v[212:213]|
	s_and_saveexec_b32 s7, s1
	s_xor_b32 s1, exec_lo, s7
	s_cbranch_execz .LBB102_385
; %bb.384:
	v_div_scale_f64 v[225:226], null, v[212:213], v[212:213], v[210:211]
	v_div_scale_f64 v[231:232], vcc_lo, v[210:211], v[212:213], v[210:211]
	v_rcp_f64_e32 v[227:228], v[225:226]
	v_fma_f64 v[229:230], -v[225:226], v[227:228], 1.0
	v_fma_f64 v[227:228], v[227:228], v[229:230], v[227:228]
	v_fma_f64 v[229:230], -v[225:226], v[227:228], 1.0
	v_fma_f64 v[227:228], v[227:228], v[229:230], v[227:228]
	v_mul_f64 v[229:230], v[231:232], v[227:228]
	v_fma_f64 v[225:226], -v[225:226], v[229:230], v[231:232]
	v_div_fmas_f64 v[225:226], v[225:226], v[227:228], v[229:230]
	v_div_fixup_f64 v[225:226], v[225:226], v[212:213], v[210:211]
	v_fma_f64 v[210:211], v[210:211], v[225:226], v[212:213]
	v_div_scale_f64 v[212:213], null, v[210:211], v[210:211], 1.0
	v_rcp_f64_e32 v[227:228], v[212:213]
	v_fma_f64 v[229:230], -v[212:213], v[227:228], 1.0
	v_fma_f64 v[227:228], v[227:228], v[229:230], v[227:228]
	v_fma_f64 v[229:230], -v[212:213], v[227:228], 1.0
	v_fma_f64 v[227:228], v[227:228], v[229:230], v[227:228]
	v_div_scale_f64 v[229:230], vcc_lo, 1.0, v[210:211], 1.0
	v_mul_f64 v[231:232], v[229:230], v[227:228]
	v_fma_f64 v[212:213], -v[212:213], v[231:232], v[229:230]
	v_div_fmas_f64 v[212:213], v[212:213], v[227:228], v[231:232]
	v_div_fixup_f64 v[212:213], v[212:213], v[210:211], 1.0
	v_mul_f64 v[210:211], v[225:226], v[212:213]
	v_xor_b32_e32 v213, 0x80000000, v213
.LBB102_385:
	s_andn2_saveexec_b32 s1, s1
	s_cbranch_execz .LBB102_387
; %bb.386:
	v_div_scale_f64 v[225:226], null, v[210:211], v[210:211], v[212:213]
	v_div_scale_f64 v[231:232], vcc_lo, v[212:213], v[210:211], v[212:213]
	v_rcp_f64_e32 v[227:228], v[225:226]
	v_fma_f64 v[229:230], -v[225:226], v[227:228], 1.0
	v_fma_f64 v[227:228], v[227:228], v[229:230], v[227:228]
	v_fma_f64 v[229:230], -v[225:226], v[227:228], 1.0
	v_fma_f64 v[227:228], v[227:228], v[229:230], v[227:228]
	v_mul_f64 v[229:230], v[231:232], v[227:228]
	v_fma_f64 v[225:226], -v[225:226], v[229:230], v[231:232]
	v_div_fmas_f64 v[225:226], v[225:226], v[227:228], v[229:230]
	v_div_fixup_f64 v[225:226], v[225:226], v[210:211], v[212:213]
	v_fma_f64 v[210:211], v[212:213], v[225:226], v[210:211]
	v_div_scale_f64 v[212:213], null, v[210:211], v[210:211], 1.0
	v_rcp_f64_e32 v[227:228], v[212:213]
	v_fma_f64 v[229:230], -v[212:213], v[227:228], 1.0
	v_fma_f64 v[227:228], v[227:228], v[229:230], v[227:228]
	v_fma_f64 v[229:230], -v[212:213], v[227:228], 1.0
	v_fma_f64 v[227:228], v[227:228], v[229:230], v[227:228]
	v_div_scale_f64 v[229:230], vcc_lo, 1.0, v[210:211], 1.0
	v_mul_f64 v[231:232], v[229:230], v[227:228]
	v_fma_f64 v[212:213], -v[212:213], v[231:232], v[229:230]
	v_div_fmas_f64 v[212:213], v[212:213], v[227:228], v[231:232]
	v_div_fixup_f64 v[210:211], v[212:213], v[210:211], 1.0
	v_mul_f64 v[212:213], v[225:226], -v[210:211]
.LBB102_387:
	s_or_b32 exec_lo, exec_lo, s1
.LBB102_388:
	s_or_b32 exec_lo, exec_lo, s0
	s_mov_b32 s0, exec_lo
	v_cmpx_ne_u32_e64 v224, v218
	s_xor_b32 s0, exec_lo, s0
	s_cbranch_execz .LBB102_394
; %bb.389:
	s_mov_b32 s1, exec_lo
	v_cmpx_eq_u32_e32 18, v224
	s_cbranch_execz .LBB102_393
; %bb.390:
	v_cmp_ne_u32_e32 vcc_lo, 18, v218
	s_xor_b32 s7, s16, -1
	s_and_b32 s9, s7, vcc_lo
	s_and_saveexec_b32 s7, s9
	s_cbranch_execz .LBB102_392
; %bb.391:
	v_ashrrev_i32_e32 v219, 31, v218
	v_lshlrev_b64 v[224:225], 2, v[218:219]
	v_add_co_u32 v224, vcc_lo, v216, v224
	v_add_co_ci_u32_e64 v225, null, v217, v225, vcc_lo
	s_clause 0x1
	global_load_dword v0, v[224:225], off
	global_load_dword v219, v[216:217], off offset:72
	s_waitcnt vmcnt(1)
	global_store_dword v[216:217], v0, off offset:72
	s_waitcnt vmcnt(0)
	global_store_dword v[224:225], v219, off
.LBB102_392:
	s_or_b32 exec_lo, exec_lo, s7
	v_mov_b32_e32 v224, v218
	v_mov_b32_e32 v0, v218
.LBB102_393:
	s_or_b32 exec_lo, exec_lo, s1
.LBB102_394:
	s_andn2_saveexec_b32 s0, s0
	s_cbranch_execz .LBB102_396
; %bb.395:
	v_mov_b32_e32 v224, 18
	ds_write2_b64 v1, v[130:131], v[132:133] offset0:38 offset1:39
	ds_write2_b64 v1, v[126:127], v[128:129] offset0:40 offset1:41
	;; [unrolled: 1-line block ×33, first 2 shown]
.LBB102_396:
	s_or_b32 exec_lo, exec_lo, s0
	s_mov_b32 s0, exec_lo
	s_waitcnt lgkmcnt(0)
	s_waitcnt_vscnt null, 0x0
	s_barrier
	buffer_gl0_inv
	v_cmpx_lt_i32_e32 18, v224
	s_cbranch_execz .LBB102_398
; %bb.397:
	v_mul_f64 v[218:219], v[212:213], v[136:137]
	v_mul_f64 v[136:137], v[210:211], v[136:137]
	v_fma_f64 v[218:219], v[210:211], v[134:135], -v[218:219]
	v_fma_f64 v[136:137], v[212:213], v[134:135], v[136:137]
	ds_read2_b64 v[210:213], v1 offset0:38 offset1:39
	s_waitcnt lgkmcnt(0)
	v_mul_f64 v[134:135], v[212:213], v[136:137]
	v_fma_f64 v[134:135], v[210:211], v[218:219], -v[134:135]
	v_mul_f64 v[210:211], v[210:211], v[136:137]
	v_add_f64 v[130:131], v[130:131], -v[134:135]
	v_fma_f64 v[210:211], v[212:213], v[218:219], v[210:211]
	v_add_f64 v[132:133], v[132:133], -v[210:211]
	ds_read2_b64 v[210:213], v1 offset0:40 offset1:41
	s_waitcnt lgkmcnt(0)
	v_mul_f64 v[134:135], v[212:213], v[136:137]
	v_fma_f64 v[134:135], v[210:211], v[218:219], -v[134:135]
	v_mul_f64 v[210:211], v[210:211], v[136:137]
	v_add_f64 v[126:127], v[126:127], -v[134:135]
	v_fma_f64 v[210:211], v[212:213], v[218:219], v[210:211]
	v_add_f64 v[128:129], v[128:129], -v[210:211]
	;; [unrolled: 8-line block ×32, first 2 shown]
	ds_read2_b64 v[210:213], v1 offset0:102 offset1:103
	s_waitcnt lgkmcnt(0)
	v_mul_f64 v[134:135], v[212:213], v[136:137]
	v_fma_f64 v[134:135], v[210:211], v[218:219], -v[134:135]
	v_mul_f64 v[210:211], v[210:211], v[136:137]
	v_add_f64 v[2:3], v[2:3], -v[134:135]
	v_fma_f64 v[210:211], v[212:213], v[218:219], v[210:211]
	v_mov_b32_e32 v134, v218
	v_mov_b32_e32 v135, v219
	v_add_f64 v[4:5], v[4:5], -v[210:211]
.LBB102_398:
	s_or_b32 exec_lo, exec_lo, s0
	v_lshl_add_u32 v210, v224, 4, v1
	s_barrier
	buffer_gl0_inv
	v_mov_b32_e32 v218, 19
	ds_write2_b64 v210, v[130:131], v[132:133] offset1:1
	s_waitcnt lgkmcnt(0)
	s_barrier
	buffer_gl0_inv
	ds_read2_b64 v[210:213], v1 offset0:38 offset1:39
	s_cmp_lt_i32 s8, 21
	s_cbranch_scc1 .LBB102_401
; %bb.399:
	v_add3_u32 v219, v220, 0, 0x140
	v_mov_b32_e32 v218, 19
	s_mov_b32 s1, 20
	s_inst_prefetch 0x1
	.p2align	6
.LBB102_400:                            ; =>This Inner Loop Header: Depth=1
	s_waitcnt lgkmcnt(0)
	v_cmp_gt_f64_e32 vcc_lo, 0, v[212:213]
	v_cmp_gt_f64_e64 s0, 0, v[210:211]
	ds_read2_b64 v[225:228], v219 offset1:1
	v_xor_b32_e32 v230, 0x80000000, v211
	v_xor_b32_e32 v232, 0x80000000, v213
	v_mov_b32_e32 v229, v210
	v_mov_b32_e32 v231, v212
	v_add_nc_u32_e32 v219, 16, v219
	s_waitcnt lgkmcnt(0)
	v_xor_b32_e32 v234, 0x80000000, v228
	v_cndmask_b32_e64 v230, v211, v230, s0
	v_cndmask_b32_e32 v232, v213, v232, vcc_lo
	v_cmp_gt_f64_e32 vcc_lo, 0, v[227:228]
	v_cmp_gt_f64_e64 s0, 0, v[225:226]
	v_mov_b32_e32 v233, v227
	v_add_f64 v[229:230], v[229:230], v[231:232]
	v_xor_b32_e32 v232, 0x80000000, v226
	v_mov_b32_e32 v231, v225
	v_cndmask_b32_e32 v234, v228, v234, vcc_lo
	v_cndmask_b32_e64 v232, v226, v232, s0
	v_add_f64 v[231:232], v[231:232], v[233:234]
	v_cmp_lt_f64_e32 vcc_lo, v[229:230], v[231:232]
	v_cndmask_b32_e32 v211, v211, v226, vcc_lo
	v_cndmask_b32_e32 v210, v210, v225, vcc_lo
	;; [unrolled: 1-line block ×4, first 2 shown]
	v_cndmask_b32_e64 v218, v218, s1, vcc_lo
	s_add_i32 s1, s1, 1
	s_cmp_lg_u32 s8, s1
	s_cbranch_scc1 .LBB102_400
.LBB102_401:
	s_inst_prefetch 0x2
	s_waitcnt lgkmcnt(0)
	v_cmp_eq_f64_e32 vcc_lo, 0, v[210:211]
	v_cmp_eq_f64_e64 s0, 0, v[212:213]
	s_and_b32 s0, vcc_lo, s0
	s_and_saveexec_b32 s1, s0
	s_xor_b32 s0, exec_lo, s1
; %bb.402:
	v_cmp_ne_u32_e32 vcc_lo, 0, v223
	v_cndmask_b32_e32 v223, 20, v223, vcc_lo
; %bb.403:
	s_andn2_saveexec_b32 s0, s0
	s_cbranch_execz .LBB102_409
; %bb.404:
	v_cmp_ngt_f64_e64 s1, |v[210:211]|, |v[212:213]|
	s_and_saveexec_b32 s7, s1
	s_xor_b32 s1, exec_lo, s7
	s_cbranch_execz .LBB102_406
; %bb.405:
	v_div_scale_f64 v[225:226], null, v[212:213], v[212:213], v[210:211]
	v_div_scale_f64 v[231:232], vcc_lo, v[210:211], v[212:213], v[210:211]
	v_rcp_f64_e32 v[227:228], v[225:226]
	v_fma_f64 v[229:230], -v[225:226], v[227:228], 1.0
	v_fma_f64 v[227:228], v[227:228], v[229:230], v[227:228]
	v_fma_f64 v[229:230], -v[225:226], v[227:228], 1.0
	v_fma_f64 v[227:228], v[227:228], v[229:230], v[227:228]
	v_mul_f64 v[229:230], v[231:232], v[227:228]
	v_fma_f64 v[225:226], -v[225:226], v[229:230], v[231:232]
	v_div_fmas_f64 v[225:226], v[225:226], v[227:228], v[229:230]
	v_div_fixup_f64 v[225:226], v[225:226], v[212:213], v[210:211]
	v_fma_f64 v[210:211], v[210:211], v[225:226], v[212:213]
	v_div_scale_f64 v[212:213], null, v[210:211], v[210:211], 1.0
	v_rcp_f64_e32 v[227:228], v[212:213]
	v_fma_f64 v[229:230], -v[212:213], v[227:228], 1.0
	v_fma_f64 v[227:228], v[227:228], v[229:230], v[227:228]
	v_fma_f64 v[229:230], -v[212:213], v[227:228], 1.0
	v_fma_f64 v[227:228], v[227:228], v[229:230], v[227:228]
	v_div_scale_f64 v[229:230], vcc_lo, 1.0, v[210:211], 1.0
	v_mul_f64 v[231:232], v[229:230], v[227:228]
	v_fma_f64 v[212:213], -v[212:213], v[231:232], v[229:230]
	v_div_fmas_f64 v[212:213], v[212:213], v[227:228], v[231:232]
	v_div_fixup_f64 v[212:213], v[212:213], v[210:211], 1.0
	v_mul_f64 v[210:211], v[225:226], v[212:213]
	v_xor_b32_e32 v213, 0x80000000, v213
.LBB102_406:
	s_andn2_saveexec_b32 s1, s1
	s_cbranch_execz .LBB102_408
; %bb.407:
	v_div_scale_f64 v[225:226], null, v[210:211], v[210:211], v[212:213]
	v_div_scale_f64 v[231:232], vcc_lo, v[212:213], v[210:211], v[212:213]
	v_rcp_f64_e32 v[227:228], v[225:226]
	v_fma_f64 v[229:230], -v[225:226], v[227:228], 1.0
	v_fma_f64 v[227:228], v[227:228], v[229:230], v[227:228]
	v_fma_f64 v[229:230], -v[225:226], v[227:228], 1.0
	v_fma_f64 v[227:228], v[227:228], v[229:230], v[227:228]
	v_mul_f64 v[229:230], v[231:232], v[227:228]
	v_fma_f64 v[225:226], -v[225:226], v[229:230], v[231:232]
	v_div_fmas_f64 v[225:226], v[225:226], v[227:228], v[229:230]
	v_div_fixup_f64 v[225:226], v[225:226], v[210:211], v[212:213]
	v_fma_f64 v[210:211], v[212:213], v[225:226], v[210:211]
	v_div_scale_f64 v[212:213], null, v[210:211], v[210:211], 1.0
	v_rcp_f64_e32 v[227:228], v[212:213]
	v_fma_f64 v[229:230], -v[212:213], v[227:228], 1.0
	v_fma_f64 v[227:228], v[227:228], v[229:230], v[227:228]
	v_fma_f64 v[229:230], -v[212:213], v[227:228], 1.0
	v_fma_f64 v[227:228], v[227:228], v[229:230], v[227:228]
	v_div_scale_f64 v[229:230], vcc_lo, 1.0, v[210:211], 1.0
	v_mul_f64 v[231:232], v[229:230], v[227:228]
	v_fma_f64 v[212:213], -v[212:213], v[231:232], v[229:230]
	v_div_fmas_f64 v[212:213], v[212:213], v[227:228], v[231:232]
	v_div_fixup_f64 v[210:211], v[212:213], v[210:211], 1.0
	v_mul_f64 v[212:213], v[225:226], -v[210:211]
.LBB102_408:
	s_or_b32 exec_lo, exec_lo, s1
.LBB102_409:
	s_or_b32 exec_lo, exec_lo, s0
	s_mov_b32 s0, exec_lo
	v_cmpx_ne_u32_e64 v224, v218
	s_xor_b32 s0, exec_lo, s0
	s_cbranch_execz .LBB102_415
; %bb.410:
	s_mov_b32 s1, exec_lo
	v_cmpx_eq_u32_e32 19, v224
	s_cbranch_execz .LBB102_414
; %bb.411:
	v_cmp_ne_u32_e32 vcc_lo, 19, v218
	s_xor_b32 s7, s16, -1
	s_and_b32 s9, s7, vcc_lo
	s_and_saveexec_b32 s7, s9
	s_cbranch_execz .LBB102_413
; %bb.412:
	v_ashrrev_i32_e32 v219, 31, v218
	v_lshlrev_b64 v[224:225], 2, v[218:219]
	v_add_co_u32 v224, vcc_lo, v216, v224
	v_add_co_ci_u32_e64 v225, null, v217, v225, vcc_lo
	s_clause 0x1
	global_load_dword v0, v[224:225], off
	global_load_dword v219, v[216:217], off offset:76
	s_waitcnt vmcnt(1)
	global_store_dword v[216:217], v0, off offset:76
	s_waitcnt vmcnt(0)
	global_store_dword v[224:225], v219, off
.LBB102_413:
	s_or_b32 exec_lo, exec_lo, s7
	v_mov_b32_e32 v224, v218
	v_mov_b32_e32 v0, v218
.LBB102_414:
	s_or_b32 exec_lo, exec_lo, s1
.LBB102_415:
	s_andn2_saveexec_b32 s0, s0
	s_cbranch_execz .LBB102_417
; %bb.416:
	v_mov_b32_e32 v224, 19
	ds_write2_b64 v1, v[126:127], v[128:129] offset0:40 offset1:41
	ds_write2_b64 v1, v[122:123], v[124:125] offset0:42 offset1:43
	ds_write2_b64 v1, v[118:119], v[120:121] offset0:44 offset1:45
	ds_write2_b64 v1, v[114:115], v[116:117] offset0:46 offset1:47
	ds_write2_b64 v1, v[110:111], v[112:113] offset0:48 offset1:49
	ds_write2_b64 v1, v[106:107], v[108:109] offset0:50 offset1:51
	ds_write2_b64 v1, v[102:103], v[104:105] offset0:52 offset1:53
	ds_write2_b64 v1, v[98:99], v[100:101] offset0:54 offset1:55
	ds_write2_b64 v1, v[94:95], v[96:97] offset0:56 offset1:57
	ds_write2_b64 v1, v[90:91], v[92:93] offset0:58 offset1:59
	ds_write2_b64 v1, v[86:87], v[88:89] offset0:60 offset1:61
	ds_write2_b64 v1, v[82:83], v[84:85] offset0:62 offset1:63
	ds_write2_b64 v1, v[78:79], v[80:81] offset0:64 offset1:65
	ds_write2_b64 v1, v[74:75], v[76:77] offset0:66 offset1:67
	ds_write2_b64 v1, v[70:71], v[72:73] offset0:68 offset1:69
	ds_write2_b64 v1, v[66:67], v[68:69] offset0:70 offset1:71
	ds_write2_b64 v1, v[62:63], v[64:65] offset0:72 offset1:73
	ds_write2_b64 v1, v[58:59], v[60:61] offset0:74 offset1:75
	ds_write2_b64 v1, v[54:55], v[56:57] offset0:76 offset1:77
	ds_write2_b64 v1, v[50:51], v[52:53] offset0:78 offset1:79
	ds_write2_b64 v1, v[46:47], v[48:49] offset0:80 offset1:81
	ds_write2_b64 v1, v[42:43], v[44:45] offset0:82 offset1:83
	ds_write2_b64 v1, v[38:39], v[40:41] offset0:84 offset1:85
	ds_write2_b64 v1, v[34:35], v[36:37] offset0:86 offset1:87
	ds_write2_b64 v1, v[30:31], v[32:33] offset0:88 offset1:89
	ds_write2_b64 v1, v[26:27], v[28:29] offset0:90 offset1:91
	ds_write2_b64 v1, v[22:23], v[24:25] offset0:92 offset1:93
	ds_write2_b64 v1, v[18:19], v[20:21] offset0:94 offset1:95
	ds_write2_b64 v1, v[14:15], v[16:17] offset0:96 offset1:97
	ds_write2_b64 v1, v[10:11], v[12:13] offset0:98 offset1:99
	ds_write2_b64 v1, v[6:7], v[8:9] offset0:100 offset1:101
	ds_write2_b64 v1, v[2:3], v[4:5] offset0:102 offset1:103
.LBB102_417:
	s_or_b32 exec_lo, exec_lo, s0
	s_mov_b32 s0, exec_lo
	s_waitcnt lgkmcnt(0)
	s_waitcnt_vscnt null, 0x0
	s_barrier
	buffer_gl0_inv
	v_cmpx_lt_i32_e32 19, v224
	s_cbranch_execz .LBB102_419
; %bb.418:
	v_mul_f64 v[218:219], v[212:213], v[132:133]
	v_mul_f64 v[132:133], v[210:211], v[132:133]
	v_fma_f64 v[218:219], v[210:211], v[130:131], -v[218:219]
	v_fma_f64 v[132:133], v[212:213], v[130:131], v[132:133]
	ds_read2_b64 v[210:213], v1 offset0:40 offset1:41
	s_waitcnt lgkmcnt(0)
	v_mul_f64 v[130:131], v[212:213], v[132:133]
	v_fma_f64 v[130:131], v[210:211], v[218:219], -v[130:131]
	v_mul_f64 v[210:211], v[210:211], v[132:133]
	v_add_f64 v[126:127], v[126:127], -v[130:131]
	v_fma_f64 v[210:211], v[212:213], v[218:219], v[210:211]
	v_add_f64 v[128:129], v[128:129], -v[210:211]
	ds_read2_b64 v[210:213], v1 offset0:42 offset1:43
	s_waitcnt lgkmcnt(0)
	v_mul_f64 v[130:131], v[212:213], v[132:133]
	v_fma_f64 v[130:131], v[210:211], v[218:219], -v[130:131]
	v_mul_f64 v[210:211], v[210:211], v[132:133]
	v_add_f64 v[122:123], v[122:123], -v[130:131]
	v_fma_f64 v[210:211], v[212:213], v[218:219], v[210:211]
	v_add_f64 v[124:125], v[124:125], -v[210:211]
	;; [unrolled: 8-line block ×31, first 2 shown]
	ds_read2_b64 v[210:213], v1 offset0:102 offset1:103
	s_waitcnt lgkmcnt(0)
	v_mul_f64 v[130:131], v[212:213], v[132:133]
	v_fma_f64 v[130:131], v[210:211], v[218:219], -v[130:131]
	v_mul_f64 v[210:211], v[210:211], v[132:133]
	v_add_f64 v[2:3], v[2:3], -v[130:131]
	v_fma_f64 v[210:211], v[212:213], v[218:219], v[210:211]
	v_mov_b32_e32 v130, v218
	v_mov_b32_e32 v131, v219
	v_add_f64 v[4:5], v[4:5], -v[210:211]
.LBB102_419:
	s_or_b32 exec_lo, exec_lo, s0
	v_lshl_add_u32 v210, v224, 4, v1
	s_barrier
	buffer_gl0_inv
	v_mov_b32_e32 v218, 20
	ds_write2_b64 v210, v[126:127], v[128:129] offset1:1
	s_waitcnt lgkmcnt(0)
	s_barrier
	buffer_gl0_inv
	ds_read2_b64 v[210:213], v1 offset0:40 offset1:41
	s_cmp_lt_i32 s8, 22
	s_cbranch_scc1 .LBB102_422
; %bb.420:
	v_add3_u32 v219, v220, 0, 0x150
	v_mov_b32_e32 v218, 20
	s_mov_b32 s1, 21
	s_inst_prefetch 0x1
	.p2align	6
.LBB102_421:                            ; =>This Inner Loop Header: Depth=1
	s_waitcnt lgkmcnt(0)
	v_cmp_gt_f64_e32 vcc_lo, 0, v[212:213]
	v_cmp_gt_f64_e64 s0, 0, v[210:211]
	ds_read2_b64 v[225:228], v219 offset1:1
	v_xor_b32_e32 v230, 0x80000000, v211
	v_xor_b32_e32 v232, 0x80000000, v213
	v_mov_b32_e32 v229, v210
	v_mov_b32_e32 v231, v212
	v_add_nc_u32_e32 v219, 16, v219
	s_waitcnt lgkmcnt(0)
	v_xor_b32_e32 v234, 0x80000000, v228
	v_cndmask_b32_e64 v230, v211, v230, s0
	v_cndmask_b32_e32 v232, v213, v232, vcc_lo
	v_cmp_gt_f64_e32 vcc_lo, 0, v[227:228]
	v_cmp_gt_f64_e64 s0, 0, v[225:226]
	v_mov_b32_e32 v233, v227
	v_add_f64 v[229:230], v[229:230], v[231:232]
	v_xor_b32_e32 v232, 0x80000000, v226
	v_mov_b32_e32 v231, v225
	v_cndmask_b32_e32 v234, v228, v234, vcc_lo
	v_cndmask_b32_e64 v232, v226, v232, s0
	v_add_f64 v[231:232], v[231:232], v[233:234]
	v_cmp_lt_f64_e32 vcc_lo, v[229:230], v[231:232]
	v_cndmask_b32_e32 v211, v211, v226, vcc_lo
	v_cndmask_b32_e32 v210, v210, v225, vcc_lo
	;; [unrolled: 1-line block ×4, first 2 shown]
	v_cndmask_b32_e64 v218, v218, s1, vcc_lo
	s_add_i32 s1, s1, 1
	s_cmp_lg_u32 s8, s1
	s_cbranch_scc1 .LBB102_421
.LBB102_422:
	s_inst_prefetch 0x2
	s_waitcnt lgkmcnt(0)
	v_cmp_eq_f64_e32 vcc_lo, 0, v[210:211]
	v_cmp_eq_f64_e64 s0, 0, v[212:213]
	s_and_b32 s0, vcc_lo, s0
	s_and_saveexec_b32 s1, s0
	s_xor_b32 s0, exec_lo, s1
; %bb.423:
	v_cmp_ne_u32_e32 vcc_lo, 0, v223
	v_cndmask_b32_e32 v223, 21, v223, vcc_lo
; %bb.424:
	s_andn2_saveexec_b32 s0, s0
	s_cbranch_execz .LBB102_430
; %bb.425:
	v_cmp_ngt_f64_e64 s1, |v[210:211]|, |v[212:213]|
	s_and_saveexec_b32 s7, s1
	s_xor_b32 s1, exec_lo, s7
	s_cbranch_execz .LBB102_427
; %bb.426:
	v_div_scale_f64 v[225:226], null, v[212:213], v[212:213], v[210:211]
	v_div_scale_f64 v[231:232], vcc_lo, v[210:211], v[212:213], v[210:211]
	v_rcp_f64_e32 v[227:228], v[225:226]
	v_fma_f64 v[229:230], -v[225:226], v[227:228], 1.0
	v_fma_f64 v[227:228], v[227:228], v[229:230], v[227:228]
	v_fma_f64 v[229:230], -v[225:226], v[227:228], 1.0
	v_fma_f64 v[227:228], v[227:228], v[229:230], v[227:228]
	v_mul_f64 v[229:230], v[231:232], v[227:228]
	v_fma_f64 v[225:226], -v[225:226], v[229:230], v[231:232]
	v_div_fmas_f64 v[225:226], v[225:226], v[227:228], v[229:230]
	v_div_fixup_f64 v[225:226], v[225:226], v[212:213], v[210:211]
	v_fma_f64 v[210:211], v[210:211], v[225:226], v[212:213]
	v_div_scale_f64 v[212:213], null, v[210:211], v[210:211], 1.0
	v_rcp_f64_e32 v[227:228], v[212:213]
	v_fma_f64 v[229:230], -v[212:213], v[227:228], 1.0
	v_fma_f64 v[227:228], v[227:228], v[229:230], v[227:228]
	v_fma_f64 v[229:230], -v[212:213], v[227:228], 1.0
	v_fma_f64 v[227:228], v[227:228], v[229:230], v[227:228]
	v_div_scale_f64 v[229:230], vcc_lo, 1.0, v[210:211], 1.0
	v_mul_f64 v[231:232], v[229:230], v[227:228]
	v_fma_f64 v[212:213], -v[212:213], v[231:232], v[229:230]
	v_div_fmas_f64 v[212:213], v[212:213], v[227:228], v[231:232]
	v_div_fixup_f64 v[212:213], v[212:213], v[210:211], 1.0
	v_mul_f64 v[210:211], v[225:226], v[212:213]
	v_xor_b32_e32 v213, 0x80000000, v213
.LBB102_427:
	s_andn2_saveexec_b32 s1, s1
	s_cbranch_execz .LBB102_429
; %bb.428:
	v_div_scale_f64 v[225:226], null, v[210:211], v[210:211], v[212:213]
	v_div_scale_f64 v[231:232], vcc_lo, v[212:213], v[210:211], v[212:213]
	v_rcp_f64_e32 v[227:228], v[225:226]
	v_fma_f64 v[229:230], -v[225:226], v[227:228], 1.0
	v_fma_f64 v[227:228], v[227:228], v[229:230], v[227:228]
	v_fma_f64 v[229:230], -v[225:226], v[227:228], 1.0
	v_fma_f64 v[227:228], v[227:228], v[229:230], v[227:228]
	v_mul_f64 v[229:230], v[231:232], v[227:228]
	v_fma_f64 v[225:226], -v[225:226], v[229:230], v[231:232]
	v_div_fmas_f64 v[225:226], v[225:226], v[227:228], v[229:230]
	v_div_fixup_f64 v[225:226], v[225:226], v[210:211], v[212:213]
	v_fma_f64 v[210:211], v[212:213], v[225:226], v[210:211]
	v_div_scale_f64 v[212:213], null, v[210:211], v[210:211], 1.0
	v_rcp_f64_e32 v[227:228], v[212:213]
	v_fma_f64 v[229:230], -v[212:213], v[227:228], 1.0
	v_fma_f64 v[227:228], v[227:228], v[229:230], v[227:228]
	v_fma_f64 v[229:230], -v[212:213], v[227:228], 1.0
	v_fma_f64 v[227:228], v[227:228], v[229:230], v[227:228]
	v_div_scale_f64 v[229:230], vcc_lo, 1.0, v[210:211], 1.0
	v_mul_f64 v[231:232], v[229:230], v[227:228]
	v_fma_f64 v[212:213], -v[212:213], v[231:232], v[229:230]
	v_div_fmas_f64 v[212:213], v[212:213], v[227:228], v[231:232]
	v_div_fixup_f64 v[210:211], v[212:213], v[210:211], 1.0
	v_mul_f64 v[212:213], v[225:226], -v[210:211]
.LBB102_429:
	s_or_b32 exec_lo, exec_lo, s1
.LBB102_430:
	s_or_b32 exec_lo, exec_lo, s0
	s_mov_b32 s0, exec_lo
	v_cmpx_ne_u32_e64 v224, v218
	s_xor_b32 s0, exec_lo, s0
	s_cbranch_execz .LBB102_436
; %bb.431:
	s_mov_b32 s1, exec_lo
	v_cmpx_eq_u32_e32 20, v224
	s_cbranch_execz .LBB102_435
; %bb.432:
	v_cmp_ne_u32_e32 vcc_lo, 20, v218
	s_xor_b32 s7, s16, -1
	s_and_b32 s9, s7, vcc_lo
	s_and_saveexec_b32 s7, s9
	s_cbranch_execz .LBB102_434
; %bb.433:
	v_ashrrev_i32_e32 v219, 31, v218
	v_lshlrev_b64 v[224:225], 2, v[218:219]
	v_add_co_u32 v224, vcc_lo, v216, v224
	v_add_co_ci_u32_e64 v225, null, v217, v225, vcc_lo
	s_clause 0x1
	global_load_dword v0, v[224:225], off
	global_load_dword v219, v[216:217], off offset:80
	s_waitcnt vmcnt(1)
	global_store_dword v[216:217], v0, off offset:80
	s_waitcnt vmcnt(0)
	global_store_dword v[224:225], v219, off
.LBB102_434:
	s_or_b32 exec_lo, exec_lo, s7
	v_mov_b32_e32 v224, v218
	v_mov_b32_e32 v0, v218
.LBB102_435:
	s_or_b32 exec_lo, exec_lo, s1
.LBB102_436:
	s_andn2_saveexec_b32 s0, s0
	s_cbranch_execz .LBB102_438
; %bb.437:
	v_mov_b32_e32 v224, 20
	ds_write2_b64 v1, v[122:123], v[124:125] offset0:42 offset1:43
	ds_write2_b64 v1, v[118:119], v[120:121] offset0:44 offset1:45
	;; [unrolled: 1-line block ×31, first 2 shown]
.LBB102_438:
	s_or_b32 exec_lo, exec_lo, s0
	s_mov_b32 s0, exec_lo
	s_waitcnt lgkmcnt(0)
	s_waitcnt_vscnt null, 0x0
	s_barrier
	buffer_gl0_inv
	v_cmpx_lt_i32_e32 20, v224
	s_cbranch_execz .LBB102_440
; %bb.439:
	v_mul_f64 v[218:219], v[212:213], v[128:129]
	v_mul_f64 v[128:129], v[210:211], v[128:129]
	v_fma_f64 v[218:219], v[210:211], v[126:127], -v[218:219]
	v_fma_f64 v[128:129], v[212:213], v[126:127], v[128:129]
	ds_read2_b64 v[210:213], v1 offset0:42 offset1:43
	s_waitcnt lgkmcnt(0)
	v_mul_f64 v[126:127], v[212:213], v[128:129]
	v_fma_f64 v[126:127], v[210:211], v[218:219], -v[126:127]
	v_mul_f64 v[210:211], v[210:211], v[128:129]
	v_add_f64 v[122:123], v[122:123], -v[126:127]
	v_fma_f64 v[210:211], v[212:213], v[218:219], v[210:211]
	v_add_f64 v[124:125], v[124:125], -v[210:211]
	ds_read2_b64 v[210:213], v1 offset0:44 offset1:45
	s_waitcnt lgkmcnt(0)
	v_mul_f64 v[126:127], v[212:213], v[128:129]
	v_fma_f64 v[126:127], v[210:211], v[218:219], -v[126:127]
	v_mul_f64 v[210:211], v[210:211], v[128:129]
	v_add_f64 v[118:119], v[118:119], -v[126:127]
	v_fma_f64 v[210:211], v[212:213], v[218:219], v[210:211]
	v_add_f64 v[120:121], v[120:121], -v[210:211]
	;; [unrolled: 8-line block ×30, first 2 shown]
	ds_read2_b64 v[210:213], v1 offset0:102 offset1:103
	s_waitcnt lgkmcnt(0)
	v_mul_f64 v[126:127], v[212:213], v[128:129]
	v_fma_f64 v[126:127], v[210:211], v[218:219], -v[126:127]
	v_mul_f64 v[210:211], v[210:211], v[128:129]
	v_add_f64 v[2:3], v[2:3], -v[126:127]
	v_fma_f64 v[210:211], v[212:213], v[218:219], v[210:211]
	v_mov_b32_e32 v126, v218
	v_mov_b32_e32 v127, v219
	v_add_f64 v[4:5], v[4:5], -v[210:211]
.LBB102_440:
	s_or_b32 exec_lo, exec_lo, s0
	v_lshl_add_u32 v210, v224, 4, v1
	s_barrier
	buffer_gl0_inv
	v_mov_b32_e32 v218, 21
	ds_write2_b64 v210, v[122:123], v[124:125] offset1:1
	s_waitcnt lgkmcnt(0)
	s_barrier
	buffer_gl0_inv
	ds_read2_b64 v[210:213], v1 offset0:42 offset1:43
	s_cmp_lt_i32 s8, 23
	s_cbranch_scc1 .LBB102_443
; %bb.441:
	v_add3_u32 v219, v220, 0, 0x160
	v_mov_b32_e32 v218, 21
	s_mov_b32 s1, 22
	s_inst_prefetch 0x1
	.p2align	6
.LBB102_442:                            ; =>This Inner Loop Header: Depth=1
	s_waitcnt lgkmcnt(0)
	v_cmp_gt_f64_e32 vcc_lo, 0, v[212:213]
	v_cmp_gt_f64_e64 s0, 0, v[210:211]
	ds_read2_b64 v[225:228], v219 offset1:1
	v_xor_b32_e32 v230, 0x80000000, v211
	v_xor_b32_e32 v232, 0x80000000, v213
	v_mov_b32_e32 v229, v210
	v_mov_b32_e32 v231, v212
	v_add_nc_u32_e32 v219, 16, v219
	s_waitcnt lgkmcnt(0)
	v_xor_b32_e32 v234, 0x80000000, v228
	v_cndmask_b32_e64 v230, v211, v230, s0
	v_cndmask_b32_e32 v232, v213, v232, vcc_lo
	v_cmp_gt_f64_e32 vcc_lo, 0, v[227:228]
	v_cmp_gt_f64_e64 s0, 0, v[225:226]
	v_mov_b32_e32 v233, v227
	v_add_f64 v[229:230], v[229:230], v[231:232]
	v_xor_b32_e32 v232, 0x80000000, v226
	v_mov_b32_e32 v231, v225
	v_cndmask_b32_e32 v234, v228, v234, vcc_lo
	v_cndmask_b32_e64 v232, v226, v232, s0
	v_add_f64 v[231:232], v[231:232], v[233:234]
	v_cmp_lt_f64_e32 vcc_lo, v[229:230], v[231:232]
	v_cndmask_b32_e32 v211, v211, v226, vcc_lo
	v_cndmask_b32_e32 v210, v210, v225, vcc_lo
	;; [unrolled: 1-line block ×4, first 2 shown]
	v_cndmask_b32_e64 v218, v218, s1, vcc_lo
	s_add_i32 s1, s1, 1
	s_cmp_lg_u32 s8, s1
	s_cbranch_scc1 .LBB102_442
.LBB102_443:
	s_inst_prefetch 0x2
	s_waitcnt lgkmcnt(0)
	v_cmp_eq_f64_e32 vcc_lo, 0, v[210:211]
	v_cmp_eq_f64_e64 s0, 0, v[212:213]
	s_and_b32 s0, vcc_lo, s0
	s_and_saveexec_b32 s1, s0
	s_xor_b32 s0, exec_lo, s1
; %bb.444:
	v_cmp_ne_u32_e32 vcc_lo, 0, v223
	v_cndmask_b32_e32 v223, 22, v223, vcc_lo
; %bb.445:
	s_andn2_saveexec_b32 s0, s0
	s_cbranch_execz .LBB102_451
; %bb.446:
	v_cmp_ngt_f64_e64 s1, |v[210:211]|, |v[212:213]|
	s_and_saveexec_b32 s7, s1
	s_xor_b32 s1, exec_lo, s7
	s_cbranch_execz .LBB102_448
; %bb.447:
	v_div_scale_f64 v[225:226], null, v[212:213], v[212:213], v[210:211]
	v_div_scale_f64 v[231:232], vcc_lo, v[210:211], v[212:213], v[210:211]
	v_rcp_f64_e32 v[227:228], v[225:226]
	v_fma_f64 v[229:230], -v[225:226], v[227:228], 1.0
	v_fma_f64 v[227:228], v[227:228], v[229:230], v[227:228]
	v_fma_f64 v[229:230], -v[225:226], v[227:228], 1.0
	v_fma_f64 v[227:228], v[227:228], v[229:230], v[227:228]
	v_mul_f64 v[229:230], v[231:232], v[227:228]
	v_fma_f64 v[225:226], -v[225:226], v[229:230], v[231:232]
	v_div_fmas_f64 v[225:226], v[225:226], v[227:228], v[229:230]
	v_div_fixup_f64 v[225:226], v[225:226], v[212:213], v[210:211]
	v_fma_f64 v[210:211], v[210:211], v[225:226], v[212:213]
	v_div_scale_f64 v[212:213], null, v[210:211], v[210:211], 1.0
	v_rcp_f64_e32 v[227:228], v[212:213]
	v_fma_f64 v[229:230], -v[212:213], v[227:228], 1.0
	v_fma_f64 v[227:228], v[227:228], v[229:230], v[227:228]
	v_fma_f64 v[229:230], -v[212:213], v[227:228], 1.0
	v_fma_f64 v[227:228], v[227:228], v[229:230], v[227:228]
	v_div_scale_f64 v[229:230], vcc_lo, 1.0, v[210:211], 1.0
	v_mul_f64 v[231:232], v[229:230], v[227:228]
	v_fma_f64 v[212:213], -v[212:213], v[231:232], v[229:230]
	v_div_fmas_f64 v[212:213], v[212:213], v[227:228], v[231:232]
	v_div_fixup_f64 v[212:213], v[212:213], v[210:211], 1.0
	v_mul_f64 v[210:211], v[225:226], v[212:213]
	v_xor_b32_e32 v213, 0x80000000, v213
.LBB102_448:
	s_andn2_saveexec_b32 s1, s1
	s_cbranch_execz .LBB102_450
; %bb.449:
	v_div_scale_f64 v[225:226], null, v[210:211], v[210:211], v[212:213]
	v_div_scale_f64 v[231:232], vcc_lo, v[212:213], v[210:211], v[212:213]
	v_rcp_f64_e32 v[227:228], v[225:226]
	v_fma_f64 v[229:230], -v[225:226], v[227:228], 1.0
	v_fma_f64 v[227:228], v[227:228], v[229:230], v[227:228]
	v_fma_f64 v[229:230], -v[225:226], v[227:228], 1.0
	v_fma_f64 v[227:228], v[227:228], v[229:230], v[227:228]
	v_mul_f64 v[229:230], v[231:232], v[227:228]
	v_fma_f64 v[225:226], -v[225:226], v[229:230], v[231:232]
	v_div_fmas_f64 v[225:226], v[225:226], v[227:228], v[229:230]
	v_div_fixup_f64 v[225:226], v[225:226], v[210:211], v[212:213]
	v_fma_f64 v[210:211], v[212:213], v[225:226], v[210:211]
	v_div_scale_f64 v[212:213], null, v[210:211], v[210:211], 1.0
	v_rcp_f64_e32 v[227:228], v[212:213]
	v_fma_f64 v[229:230], -v[212:213], v[227:228], 1.0
	v_fma_f64 v[227:228], v[227:228], v[229:230], v[227:228]
	v_fma_f64 v[229:230], -v[212:213], v[227:228], 1.0
	v_fma_f64 v[227:228], v[227:228], v[229:230], v[227:228]
	v_div_scale_f64 v[229:230], vcc_lo, 1.0, v[210:211], 1.0
	v_mul_f64 v[231:232], v[229:230], v[227:228]
	v_fma_f64 v[212:213], -v[212:213], v[231:232], v[229:230]
	v_div_fmas_f64 v[212:213], v[212:213], v[227:228], v[231:232]
	v_div_fixup_f64 v[210:211], v[212:213], v[210:211], 1.0
	v_mul_f64 v[212:213], v[225:226], -v[210:211]
.LBB102_450:
	s_or_b32 exec_lo, exec_lo, s1
.LBB102_451:
	s_or_b32 exec_lo, exec_lo, s0
	s_mov_b32 s0, exec_lo
	v_cmpx_ne_u32_e64 v224, v218
	s_xor_b32 s0, exec_lo, s0
	s_cbranch_execz .LBB102_457
; %bb.452:
	s_mov_b32 s1, exec_lo
	v_cmpx_eq_u32_e32 21, v224
	s_cbranch_execz .LBB102_456
; %bb.453:
	v_cmp_ne_u32_e32 vcc_lo, 21, v218
	s_xor_b32 s7, s16, -1
	s_and_b32 s9, s7, vcc_lo
	s_and_saveexec_b32 s7, s9
	s_cbranch_execz .LBB102_455
; %bb.454:
	v_ashrrev_i32_e32 v219, 31, v218
	v_lshlrev_b64 v[224:225], 2, v[218:219]
	v_add_co_u32 v224, vcc_lo, v216, v224
	v_add_co_ci_u32_e64 v225, null, v217, v225, vcc_lo
	s_clause 0x1
	global_load_dword v0, v[224:225], off
	global_load_dword v219, v[216:217], off offset:84
	s_waitcnt vmcnt(1)
	global_store_dword v[216:217], v0, off offset:84
	s_waitcnt vmcnt(0)
	global_store_dword v[224:225], v219, off
.LBB102_455:
	s_or_b32 exec_lo, exec_lo, s7
	v_mov_b32_e32 v224, v218
	v_mov_b32_e32 v0, v218
.LBB102_456:
	s_or_b32 exec_lo, exec_lo, s1
.LBB102_457:
	s_andn2_saveexec_b32 s0, s0
	s_cbranch_execz .LBB102_459
; %bb.458:
	v_mov_b32_e32 v224, 21
	ds_write2_b64 v1, v[118:119], v[120:121] offset0:44 offset1:45
	ds_write2_b64 v1, v[114:115], v[116:117] offset0:46 offset1:47
	;; [unrolled: 1-line block ×30, first 2 shown]
.LBB102_459:
	s_or_b32 exec_lo, exec_lo, s0
	s_mov_b32 s0, exec_lo
	s_waitcnt lgkmcnt(0)
	s_waitcnt_vscnt null, 0x0
	s_barrier
	buffer_gl0_inv
	v_cmpx_lt_i32_e32 21, v224
	s_cbranch_execz .LBB102_461
; %bb.460:
	v_mul_f64 v[218:219], v[212:213], v[124:125]
	v_mul_f64 v[124:125], v[210:211], v[124:125]
	v_fma_f64 v[218:219], v[210:211], v[122:123], -v[218:219]
	v_fma_f64 v[124:125], v[212:213], v[122:123], v[124:125]
	ds_read2_b64 v[210:213], v1 offset0:44 offset1:45
	s_waitcnt lgkmcnt(0)
	v_mul_f64 v[122:123], v[212:213], v[124:125]
	v_fma_f64 v[122:123], v[210:211], v[218:219], -v[122:123]
	v_mul_f64 v[210:211], v[210:211], v[124:125]
	v_add_f64 v[118:119], v[118:119], -v[122:123]
	v_fma_f64 v[210:211], v[212:213], v[218:219], v[210:211]
	v_add_f64 v[120:121], v[120:121], -v[210:211]
	ds_read2_b64 v[210:213], v1 offset0:46 offset1:47
	s_waitcnt lgkmcnt(0)
	v_mul_f64 v[122:123], v[212:213], v[124:125]
	v_fma_f64 v[122:123], v[210:211], v[218:219], -v[122:123]
	v_mul_f64 v[210:211], v[210:211], v[124:125]
	v_add_f64 v[114:115], v[114:115], -v[122:123]
	v_fma_f64 v[210:211], v[212:213], v[218:219], v[210:211]
	v_add_f64 v[116:117], v[116:117], -v[210:211]
	;; [unrolled: 8-line block ×29, first 2 shown]
	ds_read2_b64 v[210:213], v1 offset0:102 offset1:103
	s_waitcnt lgkmcnt(0)
	v_mul_f64 v[122:123], v[212:213], v[124:125]
	v_fma_f64 v[122:123], v[210:211], v[218:219], -v[122:123]
	v_mul_f64 v[210:211], v[210:211], v[124:125]
	v_add_f64 v[2:3], v[2:3], -v[122:123]
	v_fma_f64 v[210:211], v[212:213], v[218:219], v[210:211]
	v_mov_b32_e32 v122, v218
	v_mov_b32_e32 v123, v219
	v_add_f64 v[4:5], v[4:5], -v[210:211]
.LBB102_461:
	s_or_b32 exec_lo, exec_lo, s0
	v_lshl_add_u32 v210, v224, 4, v1
	s_barrier
	buffer_gl0_inv
	v_mov_b32_e32 v218, 22
	ds_write2_b64 v210, v[118:119], v[120:121] offset1:1
	s_waitcnt lgkmcnt(0)
	s_barrier
	buffer_gl0_inv
	ds_read2_b64 v[210:213], v1 offset0:44 offset1:45
	s_cmp_lt_i32 s8, 24
	s_cbranch_scc1 .LBB102_464
; %bb.462:
	v_add3_u32 v219, v220, 0, 0x170
	v_mov_b32_e32 v218, 22
	s_mov_b32 s1, 23
	s_inst_prefetch 0x1
	.p2align	6
.LBB102_463:                            ; =>This Inner Loop Header: Depth=1
	s_waitcnt lgkmcnt(0)
	v_cmp_gt_f64_e32 vcc_lo, 0, v[212:213]
	v_cmp_gt_f64_e64 s0, 0, v[210:211]
	ds_read2_b64 v[225:228], v219 offset1:1
	v_xor_b32_e32 v230, 0x80000000, v211
	v_xor_b32_e32 v232, 0x80000000, v213
	v_mov_b32_e32 v229, v210
	v_mov_b32_e32 v231, v212
	v_add_nc_u32_e32 v219, 16, v219
	s_waitcnt lgkmcnt(0)
	v_xor_b32_e32 v234, 0x80000000, v228
	v_cndmask_b32_e64 v230, v211, v230, s0
	v_cndmask_b32_e32 v232, v213, v232, vcc_lo
	v_cmp_gt_f64_e32 vcc_lo, 0, v[227:228]
	v_cmp_gt_f64_e64 s0, 0, v[225:226]
	v_mov_b32_e32 v233, v227
	v_add_f64 v[229:230], v[229:230], v[231:232]
	v_xor_b32_e32 v232, 0x80000000, v226
	v_mov_b32_e32 v231, v225
	v_cndmask_b32_e32 v234, v228, v234, vcc_lo
	v_cndmask_b32_e64 v232, v226, v232, s0
	v_add_f64 v[231:232], v[231:232], v[233:234]
	v_cmp_lt_f64_e32 vcc_lo, v[229:230], v[231:232]
	v_cndmask_b32_e32 v211, v211, v226, vcc_lo
	v_cndmask_b32_e32 v210, v210, v225, vcc_lo
	;; [unrolled: 1-line block ×4, first 2 shown]
	v_cndmask_b32_e64 v218, v218, s1, vcc_lo
	s_add_i32 s1, s1, 1
	s_cmp_lg_u32 s8, s1
	s_cbranch_scc1 .LBB102_463
.LBB102_464:
	s_inst_prefetch 0x2
	s_waitcnt lgkmcnt(0)
	v_cmp_eq_f64_e32 vcc_lo, 0, v[210:211]
	v_cmp_eq_f64_e64 s0, 0, v[212:213]
	s_and_b32 s0, vcc_lo, s0
	s_and_saveexec_b32 s1, s0
	s_xor_b32 s0, exec_lo, s1
; %bb.465:
	v_cmp_ne_u32_e32 vcc_lo, 0, v223
	v_cndmask_b32_e32 v223, 23, v223, vcc_lo
; %bb.466:
	s_andn2_saveexec_b32 s0, s0
	s_cbranch_execz .LBB102_472
; %bb.467:
	v_cmp_ngt_f64_e64 s1, |v[210:211]|, |v[212:213]|
	s_and_saveexec_b32 s7, s1
	s_xor_b32 s1, exec_lo, s7
	s_cbranch_execz .LBB102_469
; %bb.468:
	v_div_scale_f64 v[225:226], null, v[212:213], v[212:213], v[210:211]
	v_div_scale_f64 v[231:232], vcc_lo, v[210:211], v[212:213], v[210:211]
	v_rcp_f64_e32 v[227:228], v[225:226]
	v_fma_f64 v[229:230], -v[225:226], v[227:228], 1.0
	v_fma_f64 v[227:228], v[227:228], v[229:230], v[227:228]
	v_fma_f64 v[229:230], -v[225:226], v[227:228], 1.0
	v_fma_f64 v[227:228], v[227:228], v[229:230], v[227:228]
	v_mul_f64 v[229:230], v[231:232], v[227:228]
	v_fma_f64 v[225:226], -v[225:226], v[229:230], v[231:232]
	v_div_fmas_f64 v[225:226], v[225:226], v[227:228], v[229:230]
	v_div_fixup_f64 v[225:226], v[225:226], v[212:213], v[210:211]
	v_fma_f64 v[210:211], v[210:211], v[225:226], v[212:213]
	v_div_scale_f64 v[212:213], null, v[210:211], v[210:211], 1.0
	v_rcp_f64_e32 v[227:228], v[212:213]
	v_fma_f64 v[229:230], -v[212:213], v[227:228], 1.0
	v_fma_f64 v[227:228], v[227:228], v[229:230], v[227:228]
	v_fma_f64 v[229:230], -v[212:213], v[227:228], 1.0
	v_fma_f64 v[227:228], v[227:228], v[229:230], v[227:228]
	v_div_scale_f64 v[229:230], vcc_lo, 1.0, v[210:211], 1.0
	v_mul_f64 v[231:232], v[229:230], v[227:228]
	v_fma_f64 v[212:213], -v[212:213], v[231:232], v[229:230]
	v_div_fmas_f64 v[212:213], v[212:213], v[227:228], v[231:232]
	v_div_fixup_f64 v[212:213], v[212:213], v[210:211], 1.0
	v_mul_f64 v[210:211], v[225:226], v[212:213]
	v_xor_b32_e32 v213, 0x80000000, v213
.LBB102_469:
	s_andn2_saveexec_b32 s1, s1
	s_cbranch_execz .LBB102_471
; %bb.470:
	v_div_scale_f64 v[225:226], null, v[210:211], v[210:211], v[212:213]
	v_div_scale_f64 v[231:232], vcc_lo, v[212:213], v[210:211], v[212:213]
	v_rcp_f64_e32 v[227:228], v[225:226]
	v_fma_f64 v[229:230], -v[225:226], v[227:228], 1.0
	v_fma_f64 v[227:228], v[227:228], v[229:230], v[227:228]
	v_fma_f64 v[229:230], -v[225:226], v[227:228], 1.0
	v_fma_f64 v[227:228], v[227:228], v[229:230], v[227:228]
	v_mul_f64 v[229:230], v[231:232], v[227:228]
	v_fma_f64 v[225:226], -v[225:226], v[229:230], v[231:232]
	v_div_fmas_f64 v[225:226], v[225:226], v[227:228], v[229:230]
	v_div_fixup_f64 v[225:226], v[225:226], v[210:211], v[212:213]
	v_fma_f64 v[210:211], v[212:213], v[225:226], v[210:211]
	v_div_scale_f64 v[212:213], null, v[210:211], v[210:211], 1.0
	v_rcp_f64_e32 v[227:228], v[212:213]
	v_fma_f64 v[229:230], -v[212:213], v[227:228], 1.0
	v_fma_f64 v[227:228], v[227:228], v[229:230], v[227:228]
	v_fma_f64 v[229:230], -v[212:213], v[227:228], 1.0
	v_fma_f64 v[227:228], v[227:228], v[229:230], v[227:228]
	v_div_scale_f64 v[229:230], vcc_lo, 1.0, v[210:211], 1.0
	v_mul_f64 v[231:232], v[229:230], v[227:228]
	v_fma_f64 v[212:213], -v[212:213], v[231:232], v[229:230]
	v_div_fmas_f64 v[212:213], v[212:213], v[227:228], v[231:232]
	v_div_fixup_f64 v[210:211], v[212:213], v[210:211], 1.0
	v_mul_f64 v[212:213], v[225:226], -v[210:211]
.LBB102_471:
	s_or_b32 exec_lo, exec_lo, s1
.LBB102_472:
	s_or_b32 exec_lo, exec_lo, s0
	s_mov_b32 s0, exec_lo
	v_cmpx_ne_u32_e64 v224, v218
	s_xor_b32 s0, exec_lo, s0
	s_cbranch_execz .LBB102_478
; %bb.473:
	s_mov_b32 s1, exec_lo
	v_cmpx_eq_u32_e32 22, v224
	s_cbranch_execz .LBB102_477
; %bb.474:
	v_cmp_ne_u32_e32 vcc_lo, 22, v218
	s_xor_b32 s7, s16, -1
	s_and_b32 s9, s7, vcc_lo
	s_and_saveexec_b32 s7, s9
	s_cbranch_execz .LBB102_476
; %bb.475:
	v_ashrrev_i32_e32 v219, 31, v218
	v_lshlrev_b64 v[224:225], 2, v[218:219]
	v_add_co_u32 v224, vcc_lo, v216, v224
	v_add_co_ci_u32_e64 v225, null, v217, v225, vcc_lo
	s_clause 0x1
	global_load_dword v0, v[224:225], off
	global_load_dword v219, v[216:217], off offset:88
	s_waitcnt vmcnt(1)
	global_store_dword v[216:217], v0, off offset:88
	s_waitcnt vmcnt(0)
	global_store_dword v[224:225], v219, off
.LBB102_476:
	s_or_b32 exec_lo, exec_lo, s7
	v_mov_b32_e32 v224, v218
	v_mov_b32_e32 v0, v218
.LBB102_477:
	s_or_b32 exec_lo, exec_lo, s1
.LBB102_478:
	s_andn2_saveexec_b32 s0, s0
	s_cbranch_execz .LBB102_480
; %bb.479:
	v_mov_b32_e32 v224, 22
	ds_write2_b64 v1, v[114:115], v[116:117] offset0:46 offset1:47
	ds_write2_b64 v1, v[110:111], v[112:113] offset0:48 offset1:49
	ds_write2_b64 v1, v[106:107], v[108:109] offset0:50 offset1:51
	ds_write2_b64 v1, v[102:103], v[104:105] offset0:52 offset1:53
	ds_write2_b64 v1, v[98:99], v[100:101] offset0:54 offset1:55
	ds_write2_b64 v1, v[94:95], v[96:97] offset0:56 offset1:57
	ds_write2_b64 v1, v[90:91], v[92:93] offset0:58 offset1:59
	ds_write2_b64 v1, v[86:87], v[88:89] offset0:60 offset1:61
	ds_write2_b64 v1, v[82:83], v[84:85] offset0:62 offset1:63
	ds_write2_b64 v1, v[78:79], v[80:81] offset0:64 offset1:65
	ds_write2_b64 v1, v[74:75], v[76:77] offset0:66 offset1:67
	ds_write2_b64 v1, v[70:71], v[72:73] offset0:68 offset1:69
	ds_write2_b64 v1, v[66:67], v[68:69] offset0:70 offset1:71
	ds_write2_b64 v1, v[62:63], v[64:65] offset0:72 offset1:73
	ds_write2_b64 v1, v[58:59], v[60:61] offset0:74 offset1:75
	ds_write2_b64 v1, v[54:55], v[56:57] offset0:76 offset1:77
	ds_write2_b64 v1, v[50:51], v[52:53] offset0:78 offset1:79
	ds_write2_b64 v1, v[46:47], v[48:49] offset0:80 offset1:81
	ds_write2_b64 v1, v[42:43], v[44:45] offset0:82 offset1:83
	ds_write2_b64 v1, v[38:39], v[40:41] offset0:84 offset1:85
	ds_write2_b64 v1, v[34:35], v[36:37] offset0:86 offset1:87
	ds_write2_b64 v1, v[30:31], v[32:33] offset0:88 offset1:89
	ds_write2_b64 v1, v[26:27], v[28:29] offset0:90 offset1:91
	ds_write2_b64 v1, v[22:23], v[24:25] offset0:92 offset1:93
	ds_write2_b64 v1, v[18:19], v[20:21] offset0:94 offset1:95
	ds_write2_b64 v1, v[14:15], v[16:17] offset0:96 offset1:97
	ds_write2_b64 v1, v[10:11], v[12:13] offset0:98 offset1:99
	ds_write2_b64 v1, v[6:7], v[8:9] offset0:100 offset1:101
	ds_write2_b64 v1, v[2:3], v[4:5] offset0:102 offset1:103
.LBB102_480:
	s_or_b32 exec_lo, exec_lo, s0
	s_mov_b32 s0, exec_lo
	s_waitcnt lgkmcnt(0)
	s_waitcnt_vscnt null, 0x0
	s_barrier
	buffer_gl0_inv
	v_cmpx_lt_i32_e32 22, v224
	s_cbranch_execz .LBB102_482
; %bb.481:
	v_mul_f64 v[218:219], v[212:213], v[120:121]
	v_mul_f64 v[120:121], v[210:211], v[120:121]
	v_fma_f64 v[218:219], v[210:211], v[118:119], -v[218:219]
	v_fma_f64 v[120:121], v[212:213], v[118:119], v[120:121]
	ds_read2_b64 v[210:213], v1 offset0:46 offset1:47
	s_waitcnt lgkmcnt(0)
	v_mul_f64 v[118:119], v[212:213], v[120:121]
	v_fma_f64 v[118:119], v[210:211], v[218:219], -v[118:119]
	v_mul_f64 v[210:211], v[210:211], v[120:121]
	v_add_f64 v[114:115], v[114:115], -v[118:119]
	v_fma_f64 v[210:211], v[212:213], v[218:219], v[210:211]
	v_add_f64 v[116:117], v[116:117], -v[210:211]
	ds_read2_b64 v[210:213], v1 offset0:48 offset1:49
	s_waitcnt lgkmcnt(0)
	v_mul_f64 v[118:119], v[212:213], v[120:121]
	v_fma_f64 v[118:119], v[210:211], v[218:219], -v[118:119]
	v_mul_f64 v[210:211], v[210:211], v[120:121]
	v_add_f64 v[110:111], v[110:111], -v[118:119]
	v_fma_f64 v[210:211], v[212:213], v[218:219], v[210:211]
	v_add_f64 v[112:113], v[112:113], -v[210:211]
	;; [unrolled: 8-line block ×28, first 2 shown]
	ds_read2_b64 v[210:213], v1 offset0:102 offset1:103
	s_waitcnt lgkmcnt(0)
	v_mul_f64 v[118:119], v[212:213], v[120:121]
	v_fma_f64 v[118:119], v[210:211], v[218:219], -v[118:119]
	v_mul_f64 v[210:211], v[210:211], v[120:121]
	v_add_f64 v[2:3], v[2:3], -v[118:119]
	v_fma_f64 v[210:211], v[212:213], v[218:219], v[210:211]
	v_mov_b32_e32 v118, v218
	v_mov_b32_e32 v119, v219
	v_add_f64 v[4:5], v[4:5], -v[210:211]
.LBB102_482:
	s_or_b32 exec_lo, exec_lo, s0
	v_lshl_add_u32 v210, v224, 4, v1
	s_barrier
	buffer_gl0_inv
	v_mov_b32_e32 v218, 23
	ds_write2_b64 v210, v[114:115], v[116:117] offset1:1
	s_waitcnt lgkmcnt(0)
	s_barrier
	buffer_gl0_inv
	ds_read2_b64 v[210:213], v1 offset0:46 offset1:47
	s_cmp_lt_i32 s8, 25
	s_cbranch_scc1 .LBB102_485
; %bb.483:
	v_add3_u32 v219, v220, 0, 0x180
	v_mov_b32_e32 v218, 23
	s_mov_b32 s1, 24
	s_inst_prefetch 0x1
	.p2align	6
.LBB102_484:                            ; =>This Inner Loop Header: Depth=1
	s_waitcnt lgkmcnt(0)
	v_cmp_gt_f64_e32 vcc_lo, 0, v[212:213]
	v_cmp_gt_f64_e64 s0, 0, v[210:211]
	ds_read2_b64 v[225:228], v219 offset1:1
	v_xor_b32_e32 v230, 0x80000000, v211
	v_xor_b32_e32 v232, 0x80000000, v213
	v_mov_b32_e32 v229, v210
	v_mov_b32_e32 v231, v212
	v_add_nc_u32_e32 v219, 16, v219
	s_waitcnt lgkmcnt(0)
	v_xor_b32_e32 v234, 0x80000000, v228
	v_cndmask_b32_e64 v230, v211, v230, s0
	v_cndmask_b32_e32 v232, v213, v232, vcc_lo
	v_cmp_gt_f64_e32 vcc_lo, 0, v[227:228]
	v_cmp_gt_f64_e64 s0, 0, v[225:226]
	v_mov_b32_e32 v233, v227
	v_add_f64 v[229:230], v[229:230], v[231:232]
	v_xor_b32_e32 v232, 0x80000000, v226
	v_mov_b32_e32 v231, v225
	v_cndmask_b32_e32 v234, v228, v234, vcc_lo
	v_cndmask_b32_e64 v232, v226, v232, s0
	v_add_f64 v[231:232], v[231:232], v[233:234]
	v_cmp_lt_f64_e32 vcc_lo, v[229:230], v[231:232]
	v_cndmask_b32_e32 v211, v211, v226, vcc_lo
	v_cndmask_b32_e32 v210, v210, v225, vcc_lo
	v_cndmask_b32_e32 v213, v213, v228, vcc_lo
	v_cndmask_b32_e32 v212, v212, v227, vcc_lo
	v_cndmask_b32_e64 v218, v218, s1, vcc_lo
	s_add_i32 s1, s1, 1
	s_cmp_lg_u32 s8, s1
	s_cbranch_scc1 .LBB102_484
.LBB102_485:
	s_inst_prefetch 0x2
	s_waitcnt lgkmcnt(0)
	v_cmp_eq_f64_e32 vcc_lo, 0, v[210:211]
	v_cmp_eq_f64_e64 s0, 0, v[212:213]
	s_and_b32 s0, vcc_lo, s0
	s_and_saveexec_b32 s1, s0
	s_xor_b32 s0, exec_lo, s1
; %bb.486:
	v_cmp_ne_u32_e32 vcc_lo, 0, v223
	v_cndmask_b32_e32 v223, 24, v223, vcc_lo
; %bb.487:
	s_andn2_saveexec_b32 s0, s0
	s_cbranch_execz .LBB102_493
; %bb.488:
	v_cmp_ngt_f64_e64 s1, |v[210:211]|, |v[212:213]|
	s_and_saveexec_b32 s7, s1
	s_xor_b32 s1, exec_lo, s7
	s_cbranch_execz .LBB102_490
; %bb.489:
	v_div_scale_f64 v[225:226], null, v[212:213], v[212:213], v[210:211]
	v_div_scale_f64 v[231:232], vcc_lo, v[210:211], v[212:213], v[210:211]
	v_rcp_f64_e32 v[227:228], v[225:226]
	v_fma_f64 v[229:230], -v[225:226], v[227:228], 1.0
	v_fma_f64 v[227:228], v[227:228], v[229:230], v[227:228]
	v_fma_f64 v[229:230], -v[225:226], v[227:228], 1.0
	v_fma_f64 v[227:228], v[227:228], v[229:230], v[227:228]
	v_mul_f64 v[229:230], v[231:232], v[227:228]
	v_fma_f64 v[225:226], -v[225:226], v[229:230], v[231:232]
	v_div_fmas_f64 v[225:226], v[225:226], v[227:228], v[229:230]
	v_div_fixup_f64 v[225:226], v[225:226], v[212:213], v[210:211]
	v_fma_f64 v[210:211], v[210:211], v[225:226], v[212:213]
	v_div_scale_f64 v[212:213], null, v[210:211], v[210:211], 1.0
	v_rcp_f64_e32 v[227:228], v[212:213]
	v_fma_f64 v[229:230], -v[212:213], v[227:228], 1.0
	v_fma_f64 v[227:228], v[227:228], v[229:230], v[227:228]
	v_fma_f64 v[229:230], -v[212:213], v[227:228], 1.0
	v_fma_f64 v[227:228], v[227:228], v[229:230], v[227:228]
	v_div_scale_f64 v[229:230], vcc_lo, 1.0, v[210:211], 1.0
	v_mul_f64 v[231:232], v[229:230], v[227:228]
	v_fma_f64 v[212:213], -v[212:213], v[231:232], v[229:230]
	v_div_fmas_f64 v[212:213], v[212:213], v[227:228], v[231:232]
	v_div_fixup_f64 v[212:213], v[212:213], v[210:211], 1.0
	v_mul_f64 v[210:211], v[225:226], v[212:213]
	v_xor_b32_e32 v213, 0x80000000, v213
.LBB102_490:
	s_andn2_saveexec_b32 s1, s1
	s_cbranch_execz .LBB102_492
; %bb.491:
	v_div_scale_f64 v[225:226], null, v[210:211], v[210:211], v[212:213]
	v_div_scale_f64 v[231:232], vcc_lo, v[212:213], v[210:211], v[212:213]
	v_rcp_f64_e32 v[227:228], v[225:226]
	v_fma_f64 v[229:230], -v[225:226], v[227:228], 1.0
	v_fma_f64 v[227:228], v[227:228], v[229:230], v[227:228]
	v_fma_f64 v[229:230], -v[225:226], v[227:228], 1.0
	v_fma_f64 v[227:228], v[227:228], v[229:230], v[227:228]
	v_mul_f64 v[229:230], v[231:232], v[227:228]
	v_fma_f64 v[225:226], -v[225:226], v[229:230], v[231:232]
	v_div_fmas_f64 v[225:226], v[225:226], v[227:228], v[229:230]
	v_div_fixup_f64 v[225:226], v[225:226], v[210:211], v[212:213]
	v_fma_f64 v[210:211], v[212:213], v[225:226], v[210:211]
	v_div_scale_f64 v[212:213], null, v[210:211], v[210:211], 1.0
	v_rcp_f64_e32 v[227:228], v[212:213]
	v_fma_f64 v[229:230], -v[212:213], v[227:228], 1.0
	v_fma_f64 v[227:228], v[227:228], v[229:230], v[227:228]
	v_fma_f64 v[229:230], -v[212:213], v[227:228], 1.0
	v_fma_f64 v[227:228], v[227:228], v[229:230], v[227:228]
	v_div_scale_f64 v[229:230], vcc_lo, 1.0, v[210:211], 1.0
	v_mul_f64 v[231:232], v[229:230], v[227:228]
	v_fma_f64 v[212:213], -v[212:213], v[231:232], v[229:230]
	v_div_fmas_f64 v[212:213], v[212:213], v[227:228], v[231:232]
	v_div_fixup_f64 v[210:211], v[212:213], v[210:211], 1.0
	v_mul_f64 v[212:213], v[225:226], -v[210:211]
.LBB102_492:
	s_or_b32 exec_lo, exec_lo, s1
.LBB102_493:
	s_or_b32 exec_lo, exec_lo, s0
	s_mov_b32 s0, exec_lo
	v_cmpx_ne_u32_e64 v224, v218
	s_xor_b32 s0, exec_lo, s0
	s_cbranch_execz .LBB102_499
; %bb.494:
	s_mov_b32 s1, exec_lo
	v_cmpx_eq_u32_e32 23, v224
	s_cbranch_execz .LBB102_498
; %bb.495:
	v_cmp_ne_u32_e32 vcc_lo, 23, v218
	s_xor_b32 s7, s16, -1
	s_and_b32 s9, s7, vcc_lo
	s_and_saveexec_b32 s7, s9
	s_cbranch_execz .LBB102_497
; %bb.496:
	v_ashrrev_i32_e32 v219, 31, v218
	v_lshlrev_b64 v[224:225], 2, v[218:219]
	v_add_co_u32 v224, vcc_lo, v216, v224
	v_add_co_ci_u32_e64 v225, null, v217, v225, vcc_lo
	s_clause 0x1
	global_load_dword v0, v[224:225], off
	global_load_dword v219, v[216:217], off offset:92
	s_waitcnt vmcnt(1)
	global_store_dword v[216:217], v0, off offset:92
	s_waitcnt vmcnt(0)
	global_store_dword v[224:225], v219, off
.LBB102_497:
	s_or_b32 exec_lo, exec_lo, s7
	v_mov_b32_e32 v224, v218
	v_mov_b32_e32 v0, v218
.LBB102_498:
	s_or_b32 exec_lo, exec_lo, s1
.LBB102_499:
	s_andn2_saveexec_b32 s0, s0
	s_cbranch_execz .LBB102_501
; %bb.500:
	v_mov_b32_e32 v224, 23
	ds_write2_b64 v1, v[110:111], v[112:113] offset0:48 offset1:49
	ds_write2_b64 v1, v[106:107], v[108:109] offset0:50 offset1:51
	ds_write2_b64 v1, v[102:103], v[104:105] offset0:52 offset1:53
	ds_write2_b64 v1, v[98:99], v[100:101] offset0:54 offset1:55
	ds_write2_b64 v1, v[94:95], v[96:97] offset0:56 offset1:57
	ds_write2_b64 v1, v[90:91], v[92:93] offset0:58 offset1:59
	ds_write2_b64 v1, v[86:87], v[88:89] offset0:60 offset1:61
	ds_write2_b64 v1, v[82:83], v[84:85] offset0:62 offset1:63
	ds_write2_b64 v1, v[78:79], v[80:81] offset0:64 offset1:65
	ds_write2_b64 v1, v[74:75], v[76:77] offset0:66 offset1:67
	ds_write2_b64 v1, v[70:71], v[72:73] offset0:68 offset1:69
	ds_write2_b64 v1, v[66:67], v[68:69] offset0:70 offset1:71
	ds_write2_b64 v1, v[62:63], v[64:65] offset0:72 offset1:73
	ds_write2_b64 v1, v[58:59], v[60:61] offset0:74 offset1:75
	ds_write2_b64 v1, v[54:55], v[56:57] offset0:76 offset1:77
	ds_write2_b64 v1, v[50:51], v[52:53] offset0:78 offset1:79
	ds_write2_b64 v1, v[46:47], v[48:49] offset0:80 offset1:81
	ds_write2_b64 v1, v[42:43], v[44:45] offset0:82 offset1:83
	ds_write2_b64 v1, v[38:39], v[40:41] offset0:84 offset1:85
	ds_write2_b64 v1, v[34:35], v[36:37] offset0:86 offset1:87
	ds_write2_b64 v1, v[30:31], v[32:33] offset0:88 offset1:89
	ds_write2_b64 v1, v[26:27], v[28:29] offset0:90 offset1:91
	ds_write2_b64 v1, v[22:23], v[24:25] offset0:92 offset1:93
	ds_write2_b64 v1, v[18:19], v[20:21] offset0:94 offset1:95
	ds_write2_b64 v1, v[14:15], v[16:17] offset0:96 offset1:97
	ds_write2_b64 v1, v[10:11], v[12:13] offset0:98 offset1:99
	ds_write2_b64 v1, v[6:7], v[8:9] offset0:100 offset1:101
	ds_write2_b64 v1, v[2:3], v[4:5] offset0:102 offset1:103
.LBB102_501:
	s_or_b32 exec_lo, exec_lo, s0
	s_mov_b32 s0, exec_lo
	s_waitcnt lgkmcnt(0)
	s_waitcnt_vscnt null, 0x0
	s_barrier
	buffer_gl0_inv
	v_cmpx_lt_i32_e32 23, v224
	s_cbranch_execz .LBB102_503
; %bb.502:
	v_mul_f64 v[218:219], v[212:213], v[116:117]
	v_mul_f64 v[116:117], v[210:211], v[116:117]
	v_fma_f64 v[218:219], v[210:211], v[114:115], -v[218:219]
	v_fma_f64 v[116:117], v[212:213], v[114:115], v[116:117]
	ds_read2_b64 v[210:213], v1 offset0:48 offset1:49
	s_waitcnt lgkmcnt(0)
	v_mul_f64 v[114:115], v[212:213], v[116:117]
	v_fma_f64 v[114:115], v[210:211], v[218:219], -v[114:115]
	v_mul_f64 v[210:211], v[210:211], v[116:117]
	v_add_f64 v[110:111], v[110:111], -v[114:115]
	v_fma_f64 v[210:211], v[212:213], v[218:219], v[210:211]
	v_add_f64 v[112:113], v[112:113], -v[210:211]
	ds_read2_b64 v[210:213], v1 offset0:50 offset1:51
	s_waitcnt lgkmcnt(0)
	v_mul_f64 v[114:115], v[212:213], v[116:117]
	v_fma_f64 v[114:115], v[210:211], v[218:219], -v[114:115]
	v_mul_f64 v[210:211], v[210:211], v[116:117]
	v_add_f64 v[106:107], v[106:107], -v[114:115]
	v_fma_f64 v[210:211], v[212:213], v[218:219], v[210:211]
	v_add_f64 v[108:109], v[108:109], -v[210:211]
	;; [unrolled: 8-line block ×27, first 2 shown]
	ds_read2_b64 v[210:213], v1 offset0:102 offset1:103
	s_waitcnt lgkmcnt(0)
	v_mul_f64 v[114:115], v[212:213], v[116:117]
	v_fma_f64 v[114:115], v[210:211], v[218:219], -v[114:115]
	v_mul_f64 v[210:211], v[210:211], v[116:117]
	v_add_f64 v[2:3], v[2:3], -v[114:115]
	v_fma_f64 v[210:211], v[212:213], v[218:219], v[210:211]
	v_mov_b32_e32 v114, v218
	v_mov_b32_e32 v115, v219
	v_add_f64 v[4:5], v[4:5], -v[210:211]
.LBB102_503:
	s_or_b32 exec_lo, exec_lo, s0
	v_lshl_add_u32 v210, v224, 4, v1
	s_barrier
	buffer_gl0_inv
	v_mov_b32_e32 v218, 24
	ds_write2_b64 v210, v[110:111], v[112:113] offset1:1
	s_waitcnt lgkmcnt(0)
	s_barrier
	buffer_gl0_inv
	ds_read2_b64 v[210:213], v1 offset0:48 offset1:49
	s_cmp_lt_i32 s8, 26
	s_cbranch_scc1 .LBB102_506
; %bb.504:
	v_add3_u32 v219, v220, 0, 0x190
	v_mov_b32_e32 v218, 24
	s_mov_b32 s1, 25
	s_inst_prefetch 0x1
	.p2align	6
.LBB102_505:                            ; =>This Inner Loop Header: Depth=1
	s_waitcnt lgkmcnt(0)
	v_cmp_gt_f64_e32 vcc_lo, 0, v[212:213]
	v_cmp_gt_f64_e64 s0, 0, v[210:211]
	ds_read2_b64 v[225:228], v219 offset1:1
	v_xor_b32_e32 v230, 0x80000000, v211
	v_xor_b32_e32 v232, 0x80000000, v213
	v_mov_b32_e32 v229, v210
	v_mov_b32_e32 v231, v212
	v_add_nc_u32_e32 v219, 16, v219
	s_waitcnt lgkmcnt(0)
	v_xor_b32_e32 v234, 0x80000000, v228
	v_cndmask_b32_e64 v230, v211, v230, s0
	v_cndmask_b32_e32 v232, v213, v232, vcc_lo
	v_cmp_gt_f64_e32 vcc_lo, 0, v[227:228]
	v_cmp_gt_f64_e64 s0, 0, v[225:226]
	v_mov_b32_e32 v233, v227
	v_add_f64 v[229:230], v[229:230], v[231:232]
	v_xor_b32_e32 v232, 0x80000000, v226
	v_mov_b32_e32 v231, v225
	v_cndmask_b32_e32 v234, v228, v234, vcc_lo
	v_cndmask_b32_e64 v232, v226, v232, s0
	v_add_f64 v[231:232], v[231:232], v[233:234]
	v_cmp_lt_f64_e32 vcc_lo, v[229:230], v[231:232]
	v_cndmask_b32_e32 v211, v211, v226, vcc_lo
	v_cndmask_b32_e32 v210, v210, v225, vcc_lo
	;; [unrolled: 1-line block ×4, first 2 shown]
	v_cndmask_b32_e64 v218, v218, s1, vcc_lo
	s_add_i32 s1, s1, 1
	s_cmp_lg_u32 s8, s1
	s_cbranch_scc1 .LBB102_505
.LBB102_506:
	s_inst_prefetch 0x2
	s_waitcnt lgkmcnt(0)
	v_cmp_eq_f64_e32 vcc_lo, 0, v[210:211]
	v_cmp_eq_f64_e64 s0, 0, v[212:213]
	s_and_b32 s0, vcc_lo, s0
	s_and_saveexec_b32 s1, s0
	s_xor_b32 s0, exec_lo, s1
; %bb.507:
	v_cmp_ne_u32_e32 vcc_lo, 0, v223
	v_cndmask_b32_e32 v223, 25, v223, vcc_lo
; %bb.508:
	s_andn2_saveexec_b32 s0, s0
	s_cbranch_execz .LBB102_514
; %bb.509:
	v_cmp_ngt_f64_e64 s1, |v[210:211]|, |v[212:213]|
	s_and_saveexec_b32 s7, s1
	s_xor_b32 s1, exec_lo, s7
	s_cbranch_execz .LBB102_511
; %bb.510:
	v_div_scale_f64 v[225:226], null, v[212:213], v[212:213], v[210:211]
	v_div_scale_f64 v[231:232], vcc_lo, v[210:211], v[212:213], v[210:211]
	v_rcp_f64_e32 v[227:228], v[225:226]
	v_fma_f64 v[229:230], -v[225:226], v[227:228], 1.0
	v_fma_f64 v[227:228], v[227:228], v[229:230], v[227:228]
	v_fma_f64 v[229:230], -v[225:226], v[227:228], 1.0
	v_fma_f64 v[227:228], v[227:228], v[229:230], v[227:228]
	v_mul_f64 v[229:230], v[231:232], v[227:228]
	v_fma_f64 v[225:226], -v[225:226], v[229:230], v[231:232]
	v_div_fmas_f64 v[225:226], v[225:226], v[227:228], v[229:230]
	v_div_fixup_f64 v[225:226], v[225:226], v[212:213], v[210:211]
	v_fma_f64 v[210:211], v[210:211], v[225:226], v[212:213]
	v_div_scale_f64 v[212:213], null, v[210:211], v[210:211], 1.0
	v_rcp_f64_e32 v[227:228], v[212:213]
	v_fma_f64 v[229:230], -v[212:213], v[227:228], 1.0
	v_fma_f64 v[227:228], v[227:228], v[229:230], v[227:228]
	v_fma_f64 v[229:230], -v[212:213], v[227:228], 1.0
	v_fma_f64 v[227:228], v[227:228], v[229:230], v[227:228]
	v_div_scale_f64 v[229:230], vcc_lo, 1.0, v[210:211], 1.0
	v_mul_f64 v[231:232], v[229:230], v[227:228]
	v_fma_f64 v[212:213], -v[212:213], v[231:232], v[229:230]
	v_div_fmas_f64 v[212:213], v[212:213], v[227:228], v[231:232]
	v_div_fixup_f64 v[212:213], v[212:213], v[210:211], 1.0
	v_mul_f64 v[210:211], v[225:226], v[212:213]
	v_xor_b32_e32 v213, 0x80000000, v213
.LBB102_511:
	s_andn2_saveexec_b32 s1, s1
	s_cbranch_execz .LBB102_513
; %bb.512:
	v_div_scale_f64 v[225:226], null, v[210:211], v[210:211], v[212:213]
	v_div_scale_f64 v[231:232], vcc_lo, v[212:213], v[210:211], v[212:213]
	v_rcp_f64_e32 v[227:228], v[225:226]
	v_fma_f64 v[229:230], -v[225:226], v[227:228], 1.0
	v_fma_f64 v[227:228], v[227:228], v[229:230], v[227:228]
	v_fma_f64 v[229:230], -v[225:226], v[227:228], 1.0
	v_fma_f64 v[227:228], v[227:228], v[229:230], v[227:228]
	v_mul_f64 v[229:230], v[231:232], v[227:228]
	v_fma_f64 v[225:226], -v[225:226], v[229:230], v[231:232]
	v_div_fmas_f64 v[225:226], v[225:226], v[227:228], v[229:230]
	v_div_fixup_f64 v[225:226], v[225:226], v[210:211], v[212:213]
	v_fma_f64 v[210:211], v[212:213], v[225:226], v[210:211]
	v_div_scale_f64 v[212:213], null, v[210:211], v[210:211], 1.0
	v_rcp_f64_e32 v[227:228], v[212:213]
	v_fma_f64 v[229:230], -v[212:213], v[227:228], 1.0
	v_fma_f64 v[227:228], v[227:228], v[229:230], v[227:228]
	v_fma_f64 v[229:230], -v[212:213], v[227:228], 1.0
	v_fma_f64 v[227:228], v[227:228], v[229:230], v[227:228]
	v_div_scale_f64 v[229:230], vcc_lo, 1.0, v[210:211], 1.0
	v_mul_f64 v[231:232], v[229:230], v[227:228]
	v_fma_f64 v[212:213], -v[212:213], v[231:232], v[229:230]
	v_div_fmas_f64 v[212:213], v[212:213], v[227:228], v[231:232]
	v_div_fixup_f64 v[210:211], v[212:213], v[210:211], 1.0
	v_mul_f64 v[212:213], v[225:226], -v[210:211]
.LBB102_513:
	s_or_b32 exec_lo, exec_lo, s1
.LBB102_514:
	s_or_b32 exec_lo, exec_lo, s0
	s_mov_b32 s0, exec_lo
	v_cmpx_ne_u32_e64 v224, v218
	s_xor_b32 s0, exec_lo, s0
	s_cbranch_execz .LBB102_520
; %bb.515:
	s_mov_b32 s1, exec_lo
	v_cmpx_eq_u32_e32 24, v224
	s_cbranch_execz .LBB102_519
; %bb.516:
	v_cmp_ne_u32_e32 vcc_lo, 24, v218
	s_xor_b32 s7, s16, -1
	s_and_b32 s9, s7, vcc_lo
	s_and_saveexec_b32 s7, s9
	s_cbranch_execz .LBB102_518
; %bb.517:
	v_ashrrev_i32_e32 v219, 31, v218
	v_lshlrev_b64 v[224:225], 2, v[218:219]
	v_add_co_u32 v224, vcc_lo, v216, v224
	v_add_co_ci_u32_e64 v225, null, v217, v225, vcc_lo
	s_clause 0x1
	global_load_dword v0, v[224:225], off
	global_load_dword v219, v[216:217], off offset:96
	s_waitcnt vmcnt(1)
	global_store_dword v[216:217], v0, off offset:96
	s_waitcnt vmcnt(0)
	global_store_dword v[224:225], v219, off
.LBB102_518:
	s_or_b32 exec_lo, exec_lo, s7
	v_mov_b32_e32 v224, v218
	v_mov_b32_e32 v0, v218
.LBB102_519:
	s_or_b32 exec_lo, exec_lo, s1
.LBB102_520:
	s_andn2_saveexec_b32 s0, s0
	s_cbranch_execz .LBB102_522
; %bb.521:
	v_mov_b32_e32 v224, 24
	ds_write2_b64 v1, v[106:107], v[108:109] offset0:50 offset1:51
	ds_write2_b64 v1, v[102:103], v[104:105] offset0:52 offset1:53
	;; [unrolled: 1-line block ×27, first 2 shown]
.LBB102_522:
	s_or_b32 exec_lo, exec_lo, s0
	s_mov_b32 s0, exec_lo
	s_waitcnt lgkmcnt(0)
	s_waitcnt_vscnt null, 0x0
	s_barrier
	buffer_gl0_inv
	v_cmpx_lt_i32_e32 24, v224
	s_cbranch_execz .LBB102_524
; %bb.523:
	v_mul_f64 v[218:219], v[212:213], v[112:113]
	v_mul_f64 v[112:113], v[210:211], v[112:113]
	v_fma_f64 v[218:219], v[210:211], v[110:111], -v[218:219]
	v_fma_f64 v[112:113], v[212:213], v[110:111], v[112:113]
	ds_read2_b64 v[210:213], v1 offset0:50 offset1:51
	s_waitcnt lgkmcnt(0)
	v_mul_f64 v[110:111], v[212:213], v[112:113]
	v_fma_f64 v[110:111], v[210:211], v[218:219], -v[110:111]
	v_mul_f64 v[210:211], v[210:211], v[112:113]
	v_add_f64 v[106:107], v[106:107], -v[110:111]
	v_fma_f64 v[210:211], v[212:213], v[218:219], v[210:211]
	v_add_f64 v[108:109], v[108:109], -v[210:211]
	ds_read2_b64 v[210:213], v1 offset0:52 offset1:53
	s_waitcnt lgkmcnt(0)
	v_mul_f64 v[110:111], v[212:213], v[112:113]
	v_fma_f64 v[110:111], v[210:211], v[218:219], -v[110:111]
	v_mul_f64 v[210:211], v[210:211], v[112:113]
	v_add_f64 v[102:103], v[102:103], -v[110:111]
	v_fma_f64 v[210:211], v[212:213], v[218:219], v[210:211]
	v_add_f64 v[104:105], v[104:105], -v[210:211]
	;; [unrolled: 8-line block ×26, first 2 shown]
	ds_read2_b64 v[210:213], v1 offset0:102 offset1:103
	s_waitcnt lgkmcnt(0)
	v_mul_f64 v[110:111], v[212:213], v[112:113]
	v_fma_f64 v[110:111], v[210:211], v[218:219], -v[110:111]
	v_mul_f64 v[210:211], v[210:211], v[112:113]
	v_add_f64 v[2:3], v[2:3], -v[110:111]
	v_fma_f64 v[210:211], v[212:213], v[218:219], v[210:211]
	v_mov_b32_e32 v110, v218
	v_mov_b32_e32 v111, v219
	v_add_f64 v[4:5], v[4:5], -v[210:211]
.LBB102_524:
	s_or_b32 exec_lo, exec_lo, s0
	v_lshl_add_u32 v210, v224, 4, v1
	s_barrier
	buffer_gl0_inv
	v_mov_b32_e32 v218, 25
	ds_write2_b64 v210, v[106:107], v[108:109] offset1:1
	s_waitcnt lgkmcnt(0)
	s_barrier
	buffer_gl0_inv
	ds_read2_b64 v[210:213], v1 offset0:50 offset1:51
	s_cmp_lt_i32 s8, 27
	s_cbranch_scc1 .LBB102_527
; %bb.525:
	v_add3_u32 v219, v220, 0, 0x1a0
	v_mov_b32_e32 v218, 25
	s_mov_b32 s1, 26
	s_inst_prefetch 0x1
	.p2align	6
.LBB102_526:                            ; =>This Inner Loop Header: Depth=1
	s_waitcnt lgkmcnt(0)
	v_cmp_gt_f64_e32 vcc_lo, 0, v[212:213]
	v_cmp_gt_f64_e64 s0, 0, v[210:211]
	ds_read2_b64 v[225:228], v219 offset1:1
	v_xor_b32_e32 v230, 0x80000000, v211
	v_xor_b32_e32 v232, 0x80000000, v213
	v_mov_b32_e32 v229, v210
	v_mov_b32_e32 v231, v212
	v_add_nc_u32_e32 v219, 16, v219
	s_waitcnt lgkmcnt(0)
	v_xor_b32_e32 v234, 0x80000000, v228
	v_cndmask_b32_e64 v230, v211, v230, s0
	v_cndmask_b32_e32 v232, v213, v232, vcc_lo
	v_cmp_gt_f64_e32 vcc_lo, 0, v[227:228]
	v_cmp_gt_f64_e64 s0, 0, v[225:226]
	v_mov_b32_e32 v233, v227
	v_add_f64 v[229:230], v[229:230], v[231:232]
	v_xor_b32_e32 v232, 0x80000000, v226
	v_mov_b32_e32 v231, v225
	v_cndmask_b32_e32 v234, v228, v234, vcc_lo
	v_cndmask_b32_e64 v232, v226, v232, s0
	v_add_f64 v[231:232], v[231:232], v[233:234]
	v_cmp_lt_f64_e32 vcc_lo, v[229:230], v[231:232]
	v_cndmask_b32_e32 v211, v211, v226, vcc_lo
	v_cndmask_b32_e32 v210, v210, v225, vcc_lo
	;; [unrolled: 1-line block ×4, first 2 shown]
	v_cndmask_b32_e64 v218, v218, s1, vcc_lo
	s_add_i32 s1, s1, 1
	s_cmp_lg_u32 s8, s1
	s_cbranch_scc1 .LBB102_526
.LBB102_527:
	s_inst_prefetch 0x2
	s_waitcnt lgkmcnt(0)
	v_cmp_eq_f64_e32 vcc_lo, 0, v[210:211]
	v_cmp_eq_f64_e64 s0, 0, v[212:213]
	s_and_b32 s0, vcc_lo, s0
	s_and_saveexec_b32 s1, s0
	s_xor_b32 s0, exec_lo, s1
; %bb.528:
	v_cmp_ne_u32_e32 vcc_lo, 0, v223
	v_cndmask_b32_e32 v223, 26, v223, vcc_lo
; %bb.529:
	s_andn2_saveexec_b32 s0, s0
	s_cbranch_execz .LBB102_535
; %bb.530:
	v_cmp_ngt_f64_e64 s1, |v[210:211]|, |v[212:213]|
	s_and_saveexec_b32 s7, s1
	s_xor_b32 s1, exec_lo, s7
	s_cbranch_execz .LBB102_532
; %bb.531:
	v_div_scale_f64 v[225:226], null, v[212:213], v[212:213], v[210:211]
	v_div_scale_f64 v[231:232], vcc_lo, v[210:211], v[212:213], v[210:211]
	v_rcp_f64_e32 v[227:228], v[225:226]
	v_fma_f64 v[229:230], -v[225:226], v[227:228], 1.0
	v_fma_f64 v[227:228], v[227:228], v[229:230], v[227:228]
	v_fma_f64 v[229:230], -v[225:226], v[227:228], 1.0
	v_fma_f64 v[227:228], v[227:228], v[229:230], v[227:228]
	v_mul_f64 v[229:230], v[231:232], v[227:228]
	v_fma_f64 v[225:226], -v[225:226], v[229:230], v[231:232]
	v_div_fmas_f64 v[225:226], v[225:226], v[227:228], v[229:230]
	v_div_fixup_f64 v[225:226], v[225:226], v[212:213], v[210:211]
	v_fma_f64 v[210:211], v[210:211], v[225:226], v[212:213]
	v_div_scale_f64 v[212:213], null, v[210:211], v[210:211], 1.0
	v_rcp_f64_e32 v[227:228], v[212:213]
	v_fma_f64 v[229:230], -v[212:213], v[227:228], 1.0
	v_fma_f64 v[227:228], v[227:228], v[229:230], v[227:228]
	v_fma_f64 v[229:230], -v[212:213], v[227:228], 1.0
	v_fma_f64 v[227:228], v[227:228], v[229:230], v[227:228]
	v_div_scale_f64 v[229:230], vcc_lo, 1.0, v[210:211], 1.0
	v_mul_f64 v[231:232], v[229:230], v[227:228]
	v_fma_f64 v[212:213], -v[212:213], v[231:232], v[229:230]
	v_div_fmas_f64 v[212:213], v[212:213], v[227:228], v[231:232]
	v_div_fixup_f64 v[212:213], v[212:213], v[210:211], 1.0
	v_mul_f64 v[210:211], v[225:226], v[212:213]
	v_xor_b32_e32 v213, 0x80000000, v213
.LBB102_532:
	s_andn2_saveexec_b32 s1, s1
	s_cbranch_execz .LBB102_534
; %bb.533:
	v_div_scale_f64 v[225:226], null, v[210:211], v[210:211], v[212:213]
	v_div_scale_f64 v[231:232], vcc_lo, v[212:213], v[210:211], v[212:213]
	v_rcp_f64_e32 v[227:228], v[225:226]
	v_fma_f64 v[229:230], -v[225:226], v[227:228], 1.0
	v_fma_f64 v[227:228], v[227:228], v[229:230], v[227:228]
	v_fma_f64 v[229:230], -v[225:226], v[227:228], 1.0
	v_fma_f64 v[227:228], v[227:228], v[229:230], v[227:228]
	v_mul_f64 v[229:230], v[231:232], v[227:228]
	v_fma_f64 v[225:226], -v[225:226], v[229:230], v[231:232]
	v_div_fmas_f64 v[225:226], v[225:226], v[227:228], v[229:230]
	v_div_fixup_f64 v[225:226], v[225:226], v[210:211], v[212:213]
	v_fma_f64 v[210:211], v[212:213], v[225:226], v[210:211]
	v_div_scale_f64 v[212:213], null, v[210:211], v[210:211], 1.0
	v_rcp_f64_e32 v[227:228], v[212:213]
	v_fma_f64 v[229:230], -v[212:213], v[227:228], 1.0
	v_fma_f64 v[227:228], v[227:228], v[229:230], v[227:228]
	v_fma_f64 v[229:230], -v[212:213], v[227:228], 1.0
	v_fma_f64 v[227:228], v[227:228], v[229:230], v[227:228]
	v_div_scale_f64 v[229:230], vcc_lo, 1.0, v[210:211], 1.0
	v_mul_f64 v[231:232], v[229:230], v[227:228]
	v_fma_f64 v[212:213], -v[212:213], v[231:232], v[229:230]
	v_div_fmas_f64 v[212:213], v[212:213], v[227:228], v[231:232]
	v_div_fixup_f64 v[210:211], v[212:213], v[210:211], 1.0
	v_mul_f64 v[212:213], v[225:226], -v[210:211]
.LBB102_534:
	s_or_b32 exec_lo, exec_lo, s1
.LBB102_535:
	s_or_b32 exec_lo, exec_lo, s0
	s_mov_b32 s0, exec_lo
	v_cmpx_ne_u32_e64 v224, v218
	s_xor_b32 s0, exec_lo, s0
	s_cbranch_execz .LBB102_541
; %bb.536:
	s_mov_b32 s1, exec_lo
	v_cmpx_eq_u32_e32 25, v224
	s_cbranch_execz .LBB102_540
; %bb.537:
	v_cmp_ne_u32_e32 vcc_lo, 25, v218
	s_xor_b32 s7, s16, -1
	s_and_b32 s9, s7, vcc_lo
	s_and_saveexec_b32 s7, s9
	s_cbranch_execz .LBB102_539
; %bb.538:
	v_ashrrev_i32_e32 v219, 31, v218
	v_lshlrev_b64 v[224:225], 2, v[218:219]
	v_add_co_u32 v224, vcc_lo, v216, v224
	v_add_co_ci_u32_e64 v225, null, v217, v225, vcc_lo
	s_clause 0x1
	global_load_dword v0, v[224:225], off
	global_load_dword v219, v[216:217], off offset:100
	s_waitcnt vmcnt(1)
	global_store_dword v[216:217], v0, off offset:100
	s_waitcnt vmcnt(0)
	global_store_dword v[224:225], v219, off
.LBB102_539:
	s_or_b32 exec_lo, exec_lo, s7
	v_mov_b32_e32 v224, v218
	v_mov_b32_e32 v0, v218
.LBB102_540:
	s_or_b32 exec_lo, exec_lo, s1
.LBB102_541:
	s_andn2_saveexec_b32 s0, s0
	s_cbranch_execz .LBB102_543
; %bb.542:
	v_mov_b32_e32 v224, 25
	ds_write2_b64 v1, v[102:103], v[104:105] offset0:52 offset1:53
	ds_write2_b64 v1, v[98:99], v[100:101] offset0:54 offset1:55
	;; [unrolled: 1-line block ×26, first 2 shown]
.LBB102_543:
	s_or_b32 exec_lo, exec_lo, s0
	s_mov_b32 s0, exec_lo
	s_waitcnt lgkmcnt(0)
	s_waitcnt_vscnt null, 0x0
	s_barrier
	buffer_gl0_inv
	v_cmpx_lt_i32_e32 25, v224
	s_cbranch_execz .LBB102_545
; %bb.544:
	v_mul_f64 v[218:219], v[212:213], v[108:109]
	v_mul_f64 v[108:109], v[210:211], v[108:109]
	v_fma_f64 v[218:219], v[210:211], v[106:107], -v[218:219]
	v_fma_f64 v[108:109], v[212:213], v[106:107], v[108:109]
	ds_read2_b64 v[210:213], v1 offset0:52 offset1:53
	s_waitcnt lgkmcnt(0)
	v_mul_f64 v[106:107], v[212:213], v[108:109]
	v_fma_f64 v[106:107], v[210:211], v[218:219], -v[106:107]
	v_mul_f64 v[210:211], v[210:211], v[108:109]
	v_add_f64 v[102:103], v[102:103], -v[106:107]
	v_fma_f64 v[210:211], v[212:213], v[218:219], v[210:211]
	v_add_f64 v[104:105], v[104:105], -v[210:211]
	ds_read2_b64 v[210:213], v1 offset0:54 offset1:55
	s_waitcnt lgkmcnt(0)
	v_mul_f64 v[106:107], v[212:213], v[108:109]
	v_fma_f64 v[106:107], v[210:211], v[218:219], -v[106:107]
	v_mul_f64 v[210:211], v[210:211], v[108:109]
	v_add_f64 v[98:99], v[98:99], -v[106:107]
	v_fma_f64 v[210:211], v[212:213], v[218:219], v[210:211]
	v_add_f64 v[100:101], v[100:101], -v[210:211]
	ds_read2_b64 v[210:213], v1 offset0:56 offset1:57
	s_waitcnt lgkmcnt(0)
	v_mul_f64 v[106:107], v[212:213], v[108:109]
	v_fma_f64 v[106:107], v[210:211], v[218:219], -v[106:107]
	v_mul_f64 v[210:211], v[210:211], v[108:109]
	v_add_f64 v[94:95], v[94:95], -v[106:107]
	v_fma_f64 v[210:211], v[212:213], v[218:219], v[210:211]
	v_add_f64 v[96:97], v[96:97], -v[210:211]
	ds_read2_b64 v[210:213], v1 offset0:58 offset1:59
	s_waitcnt lgkmcnt(0)
	v_mul_f64 v[106:107], v[212:213], v[108:109]
	v_fma_f64 v[106:107], v[210:211], v[218:219], -v[106:107]
	v_mul_f64 v[210:211], v[210:211], v[108:109]
	v_add_f64 v[90:91], v[90:91], -v[106:107]
	v_fma_f64 v[210:211], v[212:213], v[218:219], v[210:211]
	v_add_f64 v[92:93], v[92:93], -v[210:211]
	ds_read2_b64 v[210:213], v1 offset0:60 offset1:61
	s_waitcnt lgkmcnt(0)
	v_mul_f64 v[106:107], v[212:213], v[108:109]
	v_fma_f64 v[106:107], v[210:211], v[218:219], -v[106:107]
	v_mul_f64 v[210:211], v[210:211], v[108:109]
	v_add_f64 v[86:87], v[86:87], -v[106:107]
	v_fma_f64 v[210:211], v[212:213], v[218:219], v[210:211]
	v_add_f64 v[88:89], v[88:89], -v[210:211]
	ds_read2_b64 v[210:213], v1 offset0:62 offset1:63
	s_waitcnt lgkmcnt(0)
	v_mul_f64 v[106:107], v[212:213], v[108:109]
	v_fma_f64 v[106:107], v[210:211], v[218:219], -v[106:107]
	v_mul_f64 v[210:211], v[210:211], v[108:109]
	v_add_f64 v[82:83], v[82:83], -v[106:107]
	v_fma_f64 v[210:211], v[212:213], v[218:219], v[210:211]
	v_add_f64 v[84:85], v[84:85], -v[210:211]
	ds_read2_b64 v[210:213], v1 offset0:64 offset1:65
	s_waitcnt lgkmcnt(0)
	v_mul_f64 v[106:107], v[212:213], v[108:109]
	v_fma_f64 v[106:107], v[210:211], v[218:219], -v[106:107]
	v_mul_f64 v[210:211], v[210:211], v[108:109]
	v_add_f64 v[78:79], v[78:79], -v[106:107]
	v_fma_f64 v[210:211], v[212:213], v[218:219], v[210:211]
	v_add_f64 v[80:81], v[80:81], -v[210:211]
	ds_read2_b64 v[210:213], v1 offset0:66 offset1:67
	s_waitcnt lgkmcnt(0)
	v_mul_f64 v[106:107], v[212:213], v[108:109]
	v_fma_f64 v[106:107], v[210:211], v[218:219], -v[106:107]
	v_mul_f64 v[210:211], v[210:211], v[108:109]
	v_add_f64 v[74:75], v[74:75], -v[106:107]
	v_fma_f64 v[210:211], v[212:213], v[218:219], v[210:211]
	v_add_f64 v[76:77], v[76:77], -v[210:211]
	ds_read2_b64 v[210:213], v1 offset0:68 offset1:69
	s_waitcnt lgkmcnt(0)
	v_mul_f64 v[106:107], v[212:213], v[108:109]
	v_fma_f64 v[106:107], v[210:211], v[218:219], -v[106:107]
	v_mul_f64 v[210:211], v[210:211], v[108:109]
	v_add_f64 v[70:71], v[70:71], -v[106:107]
	v_fma_f64 v[210:211], v[212:213], v[218:219], v[210:211]
	v_add_f64 v[72:73], v[72:73], -v[210:211]
	ds_read2_b64 v[210:213], v1 offset0:70 offset1:71
	s_waitcnt lgkmcnt(0)
	v_mul_f64 v[106:107], v[212:213], v[108:109]
	v_fma_f64 v[106:107], v[210:211], v[218:219], -v[106:107]
	v_mul_f64 v[210:211], v[210:211], v[108:109]
	v_add_f64 v[66:67], v[66:67], -v[106:107]
	v_fma_f64 v[210:211], v[212:213], v[218:219], v[210:211]
	v_add_f64 v[68:69], v[68:69], -v[210:211]
	ds_read2_b64 v[210:213], v1 offset0:72 offset1:73
	s_waitcnt lgkmcnt(0)
	v_mul_f64 v[106:107], v[212:213], v[108:109]
	v_fma_f64 v[106:107], v[210:211], v[218:219], -v[106:107]
	v_mul_f64 v[210:211], v[210:211], v[108:109]
	v_add_f64 v[62:63], v[62:63], -v[106:107]
	v_fma_f64 v[210:211], v[212:213], v[218:219], v[210:211]
	v_add_f64 v[64:65], v[64:65], -v[210:211]
	ds_read2_b64 v[210:213], v1 offset0:74 offset1:75
	s_waitcnt lgkmcnt(0)
	v_mul_f64 v[106:107], v[212:213], v[108:109]
	v_fma_f64 v[106:107], v[210:211], v[218:219], -v[106:107]
	v_mul_f64 v[210:211], v[210:211], v[108:109]
	v_add_f64 v[58:59], v[58:59], -v[106:107]
	v_fma_f64 v[210:211], v[212:213], v[218:219], v[210:211]
	v_add_f64 v[60:61], v[60:61], -v[210:211]
	ds_read2_b64 v[210:213], v1 offset0:76 offset1:77
	s_waitcnt lgkmcnt(0)
	v_mul_f64 v[106:107], v[212:213], v[108:109]
	v_fma_f64 v[106:107], v[210:211], v[218:219], -v[106:107]
	v_mul_f64 v[210:211], v[210:211], v[108:109]
	v_add_f64 v[54:55], v[54:55], -v[106:107]
	v_fma_f64 v[210:211], v[212:213], v[218:219], v[210:211]
	v_add_f64 v[56:57], v[56:57], -v[210:211]
	ds_read2_b64 v[210:213], v1 offset0:78 offset1:79
	s_waitcnt lgkmcnt(0)
	v_mul_f64 v[106:107], v[212:213], v[108:109]
	v_fma_f64 v[106:107], v[210:211], v[218:219], -v[106:107]
	v_mul_f64 v[210:211], v[210:211], v[108:109]
	v_add_f64 v[50:51], v[50:51], -v[106:107]
	v_fma_f64 v[210:211], v[212:213], v[218:219], v[210:211]
	v_add_f64 v[52:53], v[52:53], -v[210:211]
	ds_read2_b64 v[210:213], v1 offset0:80 offset1:81
	s_waitcnt lgkmcnt(0)
	v_mul_f64 v[106:107], v[212:213], v[108:109]
	v_fma_f64 v[106:107], v[210:211], v[218:219], -v[106:107]
	v_mul_f64 v[210:211], v[210:211], v[108:109]
	v_add_f64 v[46:47], v[46:47], -v[106:107]
	v_fma_f64 v[210:211], v[212:213], v[218:219], v[210:211]
	v_add_f64 v[48:49], v[48:49], -v[210:211]
	ds_read2_b64 v[210:213], v1 offset0:82 offset1:83
	s_waitcnt lgkmcnt(0)
	v_mul_f64 v[106:107], v[212:213], v[108:109]
	v_fma_f64 v[106:107], v[210:211], v[218:219], -v[106:107]
	v_mul_f64 v[210:211], v[210:211], v[108:109]
	v_add_f64 v[42:43], v[42:43], -v[106:107]
	v_fma_f64 v[210:211], v[212:213], v[218:219], v[210:211]
	v_add_f64 v[44:45], v[44:45], -v[210:211]
	ds_read2_b64 v[210:213], v1 offset0:84 offset1:85
	s_waitcnt lgkmcnt(0)
	v_mul_f64 v[106:107], v[212:213], v[108:109]
	v_fma_f64 v[106:107], v[210:211], v[218:219], -v[106:107]
	v_mul_f64 v[210:211], v[210:211], v[108:109]
	v_add_f64 v[38:39], v[38:39], -v[106:107]
	v_fma_f64 v[210:211], v[212:213], v[218:219], v[210:211]
	v_add_f64 v[40:41], v[40:41], -v[210:211]
	ds_read2_b64 v[210:213], v1 offset0:86 offset1:87
	s_waitcnt lgkmcnt(0)
	v_mul_f64 v[106:107], v[212:213], v[108:109]
	v_fma_f64 v[106:107], v[210:211], v[218:219], -v[106:107]
	v_mul_f64 v[210:211], v[210:211], v[108:109]
	v_add_f64 v[34:35], v[34:35], -v[106:107]
	v_fma_f64 v[210:211], v[212:213], v[218:219], v[210:211]
	v_add_f64 v[36:37], v[36:37], -v[210:211]
	ds_read2_b64 v[210:213], v1 offset0:88 offset1:89
	s_waitcnt lgkmcnt(0)
	v_mul_f64 v[106:107], v[212:213], v[108:109]
	v_fma_f64 v[106:107], v[210:211], v[218:219], -v[106:107]
	v_mul_f64 v[210:211], v[210:211], v[108:109]
	v_add_f64 v[30:31], v[30:31], -v[106:107]
	v_fma_f64 v[210:211], v[212:213], v[218:219], v[210:211]
	v_add_f64 v[32:33], v[32:33], -v[210:211]
	ds_read2_b64 v[210:213], v1 offset0:90 offset1:91
	s_waitcnt lgkmcnt(0)
	v_mul_f64 v[106:107], v[212:213], v[108:109]
	v_fma_f64 v[106:107], v[210:211], v[218:219], -v[106:107]
	v_mul_f64 v[210:211], v[210:211], v[108:109]
	v_add_f64 v[26:27], v[26:27], -v[106:107]
	v_fma_f64 v[210:211], v[212:213], v[218:219], v[210:211]
	v_add_f64 v[28:29], v[28:29], -v[210:211]
	ds_read2_b64 v[210:213], v1 offset0:92 offset1:93
	s_waitcnt lgkmcnt(0)
	v_mul_f64 v[106:107], v[212:213], v[108:109]
	v_fma_f64 v[106:107], v[210:211], v[218:219], -v[106:107]
	v_mul_f64 v[210:211], v[210:211], v[108:109]
	v_add_f64 v[22:23], v[22:23], -v[106:107]
	v_fma_f64 v[210:211], v[212:213], v[218:219], v[210:211]
	v_add_f64 v[24:25], v[24:25], -v[210:211]
	ds_read2_b64 v[210:213], v1 offset0:94 offset1:95
	s_waitcnt lgkmcnt(0)
	v_mul_f64 v[106:107], v[212:213], v[108:109]
	v_fma_f64 v[106:107], v[210:211], v[218:219], -v[106:107]
	v_mul_f64 v[210:211], v[210:211], v[108:109]
	v_add_f64 v[18:19], v[18:19], -v[106:107]
	v_fma_f64 v[210:211], v[212:213], v[218:219], v[210:211]
	v_add_f64 v[20:21], v[20:21], -v[210:211]
	ds_read2_b64 v[210:213], v1 offset0:96 offset1:97
	s_waitcnt lgkmcnt(0)
	v_mul_f64 v[106:107], v[212:213], v[108:109]
	v_fma_f64 v[106:107], v[210:211], v[218:219], -v[106:107]
	v_mul_f64 v[210:211], v[210:211], v[108:109]
	v_add_f64 v[14:15], v[14:15], -v[106:107]
	v_fma_f64 v[210:211], v[212:213], v[218:219], v[210:211]
	v_add_f64 v[16:17], v[16:17], -v[210:211]
	ds_read2_b64 v[210:213], v1 offset0:98 offset1:99
	s_waitcnt lgkmcnt(0)
	v_mul_f64 v[106:107], v[212:213], v[108:109]
	v_fma_f64 v[106:107], v[210:211], v[218:219], -v[106:107]
	v_mul_f64 v[210:211], v[210:211], v[108:109]
	v_add_f64 v[10:11], v[10:11], -v[106:107]
	v_fma_f64 v[210:211], v[212:213], v[218:219], v[210:211]
	v_add_f64 v[12:13], v[12:13], -v[210:211]
	ds_read2_b64 v[210:213], v1 offset0:100 offset1:101
	s_waitcnt lgkmcnt(0)
	v_mul_f64 v[106:107], v[212:213], v[108:109]
	v_fma_f64 v[106:107], v[210:211], v[218:219], -v[106:107]
	v_mul_f64 v[210:211], v[210:211], v[108:109]
	v_add_f64 v[6:7], v[6:7], -v[106:107]
	v_fma_f64 v[210:211], v[212:213], v[218:219], v[210:211]
	v_add_f64 v[8:9], v[8:9], -v[210:211]
	ds_read2_b64 v[210:213], v1 offset0:102 offset1:103
	s_waitcnt lgkmcnt(0)
	v_mul_f64 v[106:107], v[212:213], v[108:109]
	v_fma_f64 v[106:107], v[210:211], v[218:219], -v[106:107]
	v_mul_f64 v[210:211], v[210:211], v[108:109]
	v_add_f64 v[2:3], v[2:3], -v[106:107]
	v_fma_f64 v[210:211], v[212:213], v[218:219], v[210:211]
	v_mov_b32_e32 v106, v218
	v_mov_b32_e32 v107, v219
	v_add_f64 v[4:5], v[4:5], -v[210:211]
.LBB102_545:
	s_or_b32 exec_lo, exec_lo, s0
	v_lshl_add_u32 v210, v224, 4, v1
	s_barrier
	buffer_gl0_inv
	v_mov_b32_e32 v218, 26
	ds_write2_b64 v210, v[102:103], v[104:105] offset1:1
	s_waitcnt lgkmcnt(0)
	s_barrier
	buffer_gl0_inv
	ds_read2_b64 v[210:213], v1 offset0:52 offset1:53
	s_cmp_lt_i32 s8, 28
	s_cbranch_scc1 .LBB102_548
; %bb.546:
	v_add3_u32 v219, v220, 0, 0x1b0
	v_mov_b32_e32 v218, 26
	s_mov_b32 s1, 27
	s_inst_prefetch 0x1
	.p2align	6
.LBB102_547:                            ; =>This Inner Loop Header: Depth=1
	s_waitcnt lgkmcnt(0)
	v_cmp_gt_f64_e32 vcc_lo, 0, v[212:213]
	v_cmp_gt_f64_e64 s0, 0, v[210:211]
	ds_read2_b64 v[225:228], v219 offset1:1
	v_xor_b32_e32 v230, 0x80000000, v211
	v_xor_b32_e32 v232, 0x80000000, v213
	v_mov_b32_e32 v229, v210
	v_mov_b32_e32 v231, v212
	v_add_nc_u32_e32 v219, 16, v219
	s_waitcnt lgkmcnt(0)
	v_xor_b32_e32 v234, 0x80000000, v228
	v_cndmask_b32_e64 v230, v211, v230, s0
	v_cndmask_b32_e32 v232, v213, v232, vcc_lo
	v_cmp_gt_f64_e32 vcc_lo, 0, v[227:228]
	v_cmp_gt_f64_e64 s0, 0, v[225:226]
	v_mov_b32_e32 v233, v227
	v_add_f64 v[229:230], v[229:230], v[231:232]
	v_xor_b32_e32 v232, 0x80000000, v226
	v_mov_b32_e32 v231, v225
	v_cndmask_b32_e32 v234, v228, v234, vcc_lo
	v_cndmask_b32_e64 v232, v226, v232, s0
	v_add_f64 v[231:232], v[231:232], v[233:234]
	v_cmp_lt_f64_e32 vcc_lo, v[229:230], v[231:232]
	v_cndmask_b32_e32 v211, v211, v226, vcc_lo
	v_cndmask_b32_e32 v210, v210, v225, vcc_lo
	;; [unrolled: 1-line block ×4, first 2 shown]
	v_cndmask_b32_e64 v218, v218, s1, vcc_lo
	s_add_i32 s1, s1, 1
	s_cmp_lg_u32 s8, s1
	s_cbranch_scc1 .LBB102_547
.LBB102_548:
	s_inst_prefetch 0x2
	s_waitcnt lgkmcnt(0)
	v_cmp_eq_f64_e32 vcc_lo, 0, v[210:211]
	v_cmp_eq_f64_e64 s0, 0, v[212:213]
	s_and_b32 s0, vcc_lo, s0
	s_and_saveexec_b32 s1, s0
	s_xor_b32 s0, exec_lo, s1
; %bb.549:
	v_cmp_ne_u32_e32 vcc_lo, 0, v223
	v_cndmask_b32_e32 v223, 27, v223, vcc_lo
; %bb.550:
	s_andn2_saveexec_b32 s0, s0
	s_cbranch_execz .LBB102_556
; %bb.551:
	v_cmp_ngt_f64_e64 s1, |v[210:211]|, |v[212:213]|
	s_and_saveexec_b32 s7, s1
	s_xor_b32 s1, exec_lo, s7
	s_cbranch_execz .LBB102_553
; %bb.552:
	v_div_scale_f64 v[225:226], null, v[212:213], v[212:213], v[210:211]
	v_div_scale_f64 v[231:232], vcc_lo, v[210:211], v[212:213], v[210:211]
	v_rcp_f64_e32 v[227:228], v[225:226]
	v_fma_f64 v[229:230], -v[225:226], v[227:228], 1.0
	v_fma_f64 v[227:228], v[227:228], v[229:230], v[227:228]
	v_fma_f64 v[229:230], -v[225:226], v[227:228], 1.0
	v_fma_f64 v[227:228], v[227:228], v[229:230], v[227:228]
	v_mul_f64 v[229:230], v[231:232], v[227:228]
	v_fma_f64 v[225:226], -v[225:226], v[229:230], v[231:232]
	v_div_fmas_f64 v[225:226], v[225:226], v[227:228], v[229:230]
	v_div_fixup_f64 v[225:226], v[225:226], v[212:213], v[210:211]
	v_fma_f64 v[210:211], v[210:211], v[225:226], v[212:213]
	v_div_scale_f64 v[212:213], null, v[210:211], v[210:211], 1.0
	v_rcp_f64_e32 v[227:228], v[212:213]
	v_fma_f64 v[229:230], -v[212:213], v[227:228], 1.0
	v_fma_f64 v[227:228], v[227:228], v[229:230], v[227:228]
	v_fma_f64 v[229:230], -v[212:213], v[227:228], 1.0
	v_fma_f64 v[227:228], v[227:228], v[229:230], v[227:228]
	v_div_scale_f64 v[229:230], vcc_lo, 1.0, v[210:211], 1.0
	v_mul_f64 v[231:232], v[229:230], v[227:228]
	v_fma_f64 v[212:213], -v[212:213], v[231:232], v[229:230]
	v_div_fmas_f64 v[212:213], v[212:213], v[227:228], v[231:232]
	v_div_fixup_f64 v[212:213], v[212:213], v[210:211], 1.0
	v_mul_f64 v[210:211], v[225:226], v[212:213]
	v_xor_b32_e32 v213, 0x80000000, v213
.LBB102_553:
	s_andn2_saveexec_b32 s1, s1
	s_cbranch_execz .LBB102_555
; %bb.554:
	v_div_scale_f64 v[225:226], null, v[210:211], v[210:211], v[212:213]
	v_div_scale_f64 v[231:232], vcc_lo, v[212:213], v[210:211], v[212:213]
	v_rcp_f64_e32 v[227:228], v[225:226]
	v_fma_f64 v[229:230], -v[225:226], v[227:228], 1.0
	v_fma_f64 v[227:228], v[227:228], v[229:230], v[227:228]
	v_fma_f64 v[229:230], -v[225:226], v[227:228], 1.0
	v_fma_f64 v[227:228], v[227:228], v[229:230], v[227:228]
	v_mul_f64 v[229:230], v[231:232], v[227:228]
	v_fma_f64 v[225:226], -v[225:226], v[229:230], v[231:232]
	v_div_fmas_f64 v[225:226], v[225:226], v[227:228], v[229:230]
	v_div_fixup_f64 v[225:226], v[225:226], v[210:211], v[212:213]
	v_fma_f64 v[210:211], v[212:213], v[225:226], v[210:211]
	v_div_scale_f64 v[212:213], null, v[210:211], v[210:211], 1.0
	v_rcp_f64_e32 v[227:228], v[212:213]
	v_fma_f64 v[229:230], -v[212:213], v[227:228], 1.0
	v_fma_f64 v[227:228], v[227:228], v[229:230], v[227:228]
	v_fma_f64 v[229:230], -v[212:213], v[227:228], 1.0
	v_fma_f64 v[227:228], v[227:228], v[229:230], v[227:228]
	v_div_scale_f64 v[229:230], vcc_lo, 1.0, v[210:211], 1.0
	v_mul_f64 v[231:232], v[229:230], v[227:228]
	v_fma_f64 v[212:213], -v[212:213], v[231:232], v[229:230]
	v_div_fmas_f64 v[212:213], v[212:213], v[227:228], v[231:232]
	v_div_fixup_f64 v[210:211], v[212:213], v[210:211], 1.0
	v_mul_f64 v[212:213], v[225:226], -v[210:211]
.LBB102_555:
	s_or_b32 exec_lo, exec_lo, s1
.LBB102_556:
	s_or_b32 exec_lo, exec_lo, s0
	s_mov_b32 s0, exec_lo
	v_cmpx_ne_u32_e64 v224, v218
	s_xor_b32 s0, exec_lo, s0
	s_cbranch_execz .LBB102_562
; %bb.557:
	s_mov_b32 s1, exec_lo
	v_cmpx_eq_u32_e32 26, v224
	s_cbranch_execz .LBB102_561
; %bb.558:
	v_cmp_ne_u32_e32 vcc_lo, 26, v218
	s_xor_b32 s7, s16, -1
	s_and_b32 s9, s7, vcc_lo
	s_and_saveexec_b32 s7, s9
	s_cbranch_execz .LBB102_560
; %bb.559:
	v_ashrrev_i32_e32 v219, 31, v218
	v_lshlrev_b64 v[224:225], 2, v[218:219]
	v_add_co_u32 v224, vcc_lo, v216, v224
	v_add_co_ci_u32_e64 v225, null, v217, v225, vcc_lo
	s_clause 0x1
	global_load_dword v0, v[224:225], off
	global_load_dword v219, v[216:217], off offset:104
	s_waitcnt vmcnt(1)
	global_store_dword v[216:217], v0, off offset:104
	s_waitcnt vmcnt(0)
	global_store_dword v[224:225], v219, off
.LBB102_560:
	s_or_b32 exec_lo, exec_lo, s7
	v_mov_b32_e32 v224, v218
	v_mov_b32_e32 v0, v218
.LBB102_561:
	s_or_b32 exec_lo, exec_lo, s1
.LBB102_562:
	s_andn2_saveexec_b32 s0, s0
	s_cbranch_execz .LBB102_564
; %bb.563:
	v_mov_b32_e32 v224, 26
	ds_write2_b64 v1, v[98:99], v[100:101] offset0:54 offset1:55
	ds_write2_b64 v1, v[94:95], v[96:97] offset0:56 offset1:57
	ds_write2_b64 v1, v[90:91], v[92:93] offset0:58 offset1:59
	ds_write2_b64 v1, v[86:87], v[88:89] offset0:60 offset1:61
	ds_write2_b64 v1, v[82:83], v[84:85] offset0:62 offset1:63
	ds_write2_b64 v1, v[78:79], v[80:81] offset0:64 offset1:65
	ds_write2_b64 v1, v[74:75], v[76:77] offset0:66 offset1:67
	ds_write2_b64 v1, v[70:71], v[72:73] offset0:68 offset1:69
	ds_write2_b64 v1, v[66:67], v[68:69] offset0:70 offset1:71
	ds_write2_b64 v1, v[62:63], v[64:65] offset0:72 offset1:73
	ds_write2_b64 v1, v[58:59], v[60:61] offset0:74 offset1:75
	ds_write2_b64 v1, v[54:55], v[56:57] offset0:76 offset1:77
	ds_write2_b64 v1, v[50:51], v[52:53] offset0:78 offset1:79
	ds_write2_b64 v1, v[46:47], v[48:49] offset0:80 offset1:81
	ds_write2_b64 v1, v[42:43], v[44:45] offset0:82 offset1:83
	ds_write2_b64 v1, v[38:39], v[40:41] offset0:84 offset1:85
	ds_write2_b64 v1, v[34:35], v[36:37] offset0:86 offset1:87
	ds_write2_b64 v1, v[30:31], v[32:33] offset0:88 offset1:89
	ds_write2_b64 v1, v[26:27], v[28:29] offset0:90 offset1:91
	ds_write2_b64 v1, v[22:23], v[24:25] offset0:92 offset1:93
	ds_write2_b64 v1, v[18:19], v[20:21] offset0:94 offset1:95
	ds_write2_b64 v1, v[14:15], v[16:17] offset0:96 offset1:97
	ds_write2_b64 v1, v[10:11], v[12:13] offset0:98 offset1:99
	ds_write2_b64 v1, v[6:7], v[8:9] offset0:100 offset1:101
	ds_write2_b64 v1, v[2:3], v[4:5] offset0:102 offset1:103
.LBB102_564:
	s_or_b32 exec_lo, exec_lo, s0
	s_mov_b32 s0, exec_lo
	s_waitcnt lgkmcnt(0)
	s_waitcnt_vscnt null, 0x0
	s_barrier
	buffer_gl0_inv
	v_cmpx_lt_i32_e32 26, v224
	s_cbranch_execz .LBB102_566
; %bb.565:
	v_mul_f64 v[218:219], v[212:213], v[104:105]
	v_mul_f64 v[104:105], v[210:211], v[104:105]
	v_fma_f64 v[218:219], v[210:211], v[102:103], -v[218:219]
	v_fma_f64 v[104:105], v[212:213], v[102:103], v[104:105]
	ds_read2_b64 v[210:213], v1 offset0:54 offset1:55
	s_waitcnt lgkmcnt(0)
	v_mul_f64 v[102:103], v[212:213], v[104:105]
	v_fma_f64 v[102:103], v[210:211], v[218:219], -v[102:103]
	v_mul_f64 v[210:211], v[210:211], v[104:105]
	v_add_f64 v[98:99], v[98:99], -v[102:103]
	v_fma_f64 v[210:211], v[212:213], v[218:219], v[210:211]
	v_add_f64 v[100:101], v[100:101], -v[210:211]
	ds_read2_b64 v[210:213], v1 offset0:56 offset1:57
	s_waitcnt lgkmcnt(0)
	v_mul_f64 v[102:103], v[212:213], v[104:105]
	v_fma_f64 v[102:103], v[210:211], v[218:219], -v[102:103]
	v_mul_f64 v[210:211], v[210:211], v[104:105]
	v_add_f64 v[94:95], v[94:95], -v[102:103]
	v_fma_f64 v[210:211], v[212:213], v[218:219], v[210:211]
	v_add_f64 v[96:97], v[96:97], -v[210:211]
	;; [unrolled: 8-line block ×24, first 2 shown]
	ds_read2_b64 v[210:213], v1 offset0:102 offset1:103
	s_waitcnt lgkmcnt(0)
	v_mul_f64 v[102:103], v[212:213], v[104:105]
	v_fma_f64 v[102:103], v[210:211], v[218:219], -v[102:103]
	v_mul_f64 v[210:211], v[210:211], v[104:105]
	v_add_f64 v[2:3], v[2:3], -v[102:103]
	v_fma_f64 v[210:211], v[212:213], v[218:219], v[210:211]
	v_mov_b32_e32 v102, v218
	v_mov_b32_e32 v103, v219
	v_add_f64 v[4:5], v[4:5], -v[210:211]
.LBB102_566:
	s_or_b32 exec_lo, exec_lo, s0
	v_lshl_add_u32 v210, v224, 4, v1
	s_barrier
	buffer_gl0_inv
	v_mov_b32_e32 v218, 27
	ds_write2_b64 v210, v[98:99], v[100:101] offset1:1
	s_waitcnt lgkmcnt(0)
	s_barrier
	buffer_gl0_inv
	ds_read2_b64 v[210:213], v1 offset0:54 offset1:55
	s_cmp_lt_i32 s8, 29
	s_cbranch_scc1 .LBB102_569
; %bb.567:
	v_add3_u32 v219, v220, 0, 0x1c0
	v_mov_b32_e32 v218, 27
	s_mov_b32 s1, 28
	s_inst_prefetch 0x1
	.p2align	6
.LBB102_568:                            ; =>This Inner Loop Header: Depth=1
	s_waitcnt lgkmcnt(0)
	v_cmp_gt_f64_e32 vcc_lo, 0, v[212:213]
	v_cmp_gt_f64_e64 s0, 0, v[210:211]
	ds_read2_b64 v[225:228], v219 offset1:1
	v_xor_b32_e32 v230, 0x80000000, v211
	v_xor_b32_e32 v232, 0x80000000, v213
	v_mov_b32_e32 v229, v210
	v_mov_b32_e32 v231, v212
	v_add_nc_u32_e32 v219, 16, v219
	s_waitcnt lgkmcnt(0)
	v_xor_b32_e32 v234, 0x80000000, v228
	v_cndmask_b32_e64 v230, v211, v230, s0
	v_cndmask_b32_e32 v232, v213, v232, vcc_lo
	v_cmp_gt_f64_e32 vcc_lo, 0, v[227:228]
	v_cmp_gt_f64_e64 s0, 0, v[225:226]
	v_mov_b32_e32 v233, v227
	v_add_f64 v[229:230], v[229:230], v[231:232]
	v_xor_b32_e32 v232, 0x80000000, v226
	v_mov_b32_e32 v231, v225
	v_cndmask_b32_e32 v234, v228, v234, vcc_lo
	v_cndmask_b32_e64 v232, v226, v232, s0
	v_add_f64 v[231:232], v[231:232], v[233:234]
	v_cmp_lt_f64_e32 vcc_lo, v[229:230], v[231:232]
	v_cndmask_b32_e32 v211, v211, v226, vcc_lo
	v_cndmask_b32_e32 v210, v210, v225, vcc_lo
	;; [unrolled: 1-line block ×4, first 2 shown]
	v_cndmask_b32_e64 v218, v218, s1, vcc_lo
	s_add_i32 s1, s1, 1
	s_cmp_lg_u32 s8, s1
	s_cbranch_scc1 .LBB102_568
.LBB102_569:
	s_inst_prefetch 0x2
	s_waitcnt lgkmcnt(0)
	v_cmp_eq_f64_e32 vcc_lo, 0, v[210:211]
	v_cmp_eq_f64_e64 s0, 0, v[212:213]
	s_and_b32 s0, vcc_lo, s0
	s_and_saveexec_b32 s1, s0
	s_xor_b32 s0, exec_lo, s1
; %bb.570:
	v_cmp_ne_u32_e32 vcc_lo, 0, v223
	v_cndmask_b32_e32 v223, 28, v223, vcc_lo
; %bb.571:
	s_andn2_saveexec_b32 s0, s0
	s_cbranch_execz .LBB102_577
; %bb.572:
	v_cmp_ngt_f64_e64 s1, |v[210:211]|, |v[212:213]|
	s_and_saveexec_b32 s7, s1
	s_xor_b32 s1, exec_lo, s7
	s_cbranch_execz .LBB102_574
; %bb.573:
	v_div_scale_f64 v[225:226], null, v[212:213], v[212:213], v[210:211]
	v_div_scale_f64 v[231:232], vcc_lo, v[210:211], v[212:213], v[210:211]
	v_rcp_f64_e32 v[227:228], v[225:226]
	v_fma_f64 v[229:230], -v[225:226], v[227:228], 1.0
	v_fma_f64 v[227:228], v[227:228], v[229:230], v[227:228]
	v_fma_f64 v[229:230], -v[225:226], v[227:228], 1.0
	v_fma_f64 v[227:228], v[227:228], v[229:230], v[227:228]
	v_mul_f64 v[229:230], v[231:232], v[227:228]
	v_fma_f64 v[225:226], -v[225:226], v[229:230], v[231:232]
	v_div_fmas_f64 v[225:226], v[225:226], v[227:228], v[229:230]
	v_div_fixup_f64 v[225:226], v[225:226], v[212:213], v[210:211]
	v_fma_f64 v[210:211], v[210:211], v[225:226], v[212:213]
	v_div_scale_f64 v[212:213], null, v[210:211], v[210:211], 1.0
	v_rcp_f64_e32 v[227:228], v[212:213]
	v_fma_f64 v[229:230], -v[212:213], v[227:228], 1.0
	v_fma_f64 v[227:228], v[227:228], v[229:230], v[227:228]
	v_fma_f64 v[229:230], -v[212:213], v[227:228], 1.0
	v_fma_f64 v[227:228], v[227:228], v[229:230], v[227:228]
	v_div_scale_f64 v[229:230], vcc_lo, 1.0, v[210:211], 1.0
	v_mul_f64 v[231:232], v[229:230], v[227:228]
	v_fma_f64 v[212:213], -v[212:213], v[231:232], v[229:230]
	v_div_fmas_f64 v[212:213], v[212:213], v[227:228], v[231:232]
	v_div_fixup_f64 v[212:213], v[212:213], v[210:211], 1.0
	v_mul_f64 v[210:211], v[225:226], v[212:213]
	v_xor_b32_e32 v213, 0x80000000, v213
.LBB102_574:
	s_andn2_saveexec_b32 s1, s1
	s_cbranch_execz .LBB102_576
; %bb.575:
	v_div_scale_f64 v[225:226], null, v[210:211], v[210:211], v[212:213]
	v_div_scale_f64 v[231:232], vcc_lo, v[212:213], v[210:211], v[212:213]
	v_rcp_f64_e32 v[227:228], v[225:226]
	v_fma_f64 v[229:230], -v[225:226], v[227:228], 1.0
	v_fma_f64 v[227:228], v[227:228], v[229:230], v[227:228]
	v_fma_f64 v[229:230], -v[225:226], v[227:228], 1.0
	v_fma_f64 v[227:228], v[227:228], v[229:230], v[227:228]
	v_mul_f64 v[229:230], v[231:232], v[227:228]
	v_fma_f64 v[225:226], -v[225:226], v[229:230], v[231:232]
	v_div_fmas_f64 v[225:226], v[225:226], v[227:228], v[229:230]
	v_div_fixup_f64 v[225:226], v[225:226], v[210:211], v[212:213]
	v_fma_f64 v[210:211], v[212:213], v[225:226], v[210:211]
	v_div_scale_f64 v[212:213], null, v[210:211], v[210:211], 1.0
	v_rcp_f64_e32 v[227:228], v[212:213]
	v_fma_f64 v[229:230], -v[212:213], v[227:228], 1.0
	v_fma_f64 v[227:228], v[227:228], v[229:230], v[227:228]
	v_fma_f64 v[229:230], -v[212:213], v[227:228], 1.0
	v_fma_f64 v[227:228], v[227:228], v[229:230], v[227:228]
	v_div_scale_f64 v[229:230], vcc_lo, 1.0, v[210:211], 1.0
	v_mul_f64 v[231:232], v[229:230], v[227:228]
	v_fma_f64 v[212:213], -v[212:213], v[231:232], v[229:230]
	v_div_fmas_f64 v[212:213], v[212:213], v[227:228], v[231:232]
	v_div_fixup_f64 v[210:211], v[212:213], v[210:211], 1.0
	v_mul_f64 v[212:213], v[225:226], -v[210:211]
.LBB102_576:
	s_or_b32 exec_lo, exec_lo, s1
.LBB102_577:
	s_or_b32 exec_lo, exec_lo, s0
	s_mov_b32 s0, exec_lo
	v_cmpx_ne_u32_e64 v224, v218
	s_xor_b32 s0, exec_lo, s0
	s_cbranch_execz .LBB102_583
; %bb.578:
	s_mov_b32 s1, exec_lo
	v_cmpx_eq_u32_e32 27, v224
	s_cbranch_execz .LBB102_582
; %bb.579:
	v_cmp_ne_u32_e32 vcc_lo, 27, v218
	s_xor_b32 s7, s16, -1
	s_and_b32 s9, s7, vcc_lo
	s_and_saveexec_b32 s7, s9
	s_cbranch_execz .LBB102_581
; %bb.580:
	v_ashrrev_i32_e32 v219, 31, v218
	v_lshlrev_b64 v[224:225], 2, v[218:219]
	v_add_co_u32 v224, vcc_lo, v216, v224
	v_add_co_ci_u32_e64 v225, null, v217, v225, vcc_lo
	s_clause 0x1
	global_load_dword v0, v[224:225], off
	global_load_dword v219, v[216:217], off offset:108
	s_waitcnt vmcnt(1)
	global_store_dword v[216:217], v0, off offset:108
	s_waitcnt vmcnt(0)
	global_store_dword v[224:225], v219, off
.LBB102_581:
	s_or_b32 exec_lo, exec_lo, s7
	v_mov_b32_e32 v224, v218
	v_mov_b32_e32 v0, v218
.LBB102_582:
	s_or_b32 exec_lo, exec_lo, s1
.LBB102_583:
	s_andn2_saveexec_b32 s0, s0
	s_cbranch_execz .LBB102_585
; %bb.584:
	v_mov_b32_e32 v224, 27
	ds_write2_b64 v1, v[94:95], v[96:97] offset0:56 offset1:57
	ds_write2_b64 v1, v[90:91], v[92:93] offset0:58 offset1:59
	;; [unrolled: 1-line block ×24, first 2 shown]
.LBB102_585:
	s_or_b32 exec_lo, exec_lo, s0
	s_mov_b32 s0, exec_lo
	s_waitcnt lgkmcnt(0)
	s_waitcnt_vscnt null, 0x0
	s_barrier
	buffer_gl0_inv
	v_cmpx_lt_i32_e32 27, v224
	s_cbranch_execz .LBB102_587
; %bb.586:
	v_mul_f64 v[218:219], v[212:213], v[100:101]
	v_mul_f64 v[100:101], v[210:211], v[100:101]
	v_fma_f64 v[218:219], v[210:211], v[98:99], -v[218:219]
	v_fma_f64 v[100:101], v[212:213], v[98:99], v[100:101]
	ds_read2_b64 v[210:213], v1 offset0:56 offset1:57
	s_waitcnt lgkmcnt(0)
	v_mul_f64 v[98:99], v[212:213], v[100:101]
	v_fma_f64 v[98:99], v[210:211], v[218:219], -v[98:99]
	v_mul_f64 v[210:211], v[210:211], v[100:101]
	v_add_f64 v[94:95], v[94:95], -v[98:99]
	v_fma_f64 v[210:211], v[212:213], v[218:219], v[210:211]
	v_add_f64 v[96:97], v[96:97], -v[210:211]
	ds_read2_b64 v[210:213], v1 offset0:58 offset1:59
	s_waitcnt lgkmcnt(0)
	v_mul_f64 v[98:99], v[212:213], v[100:101]
	v_fma_f64 v[98:99], v[210:211], v[218:219], -v[98:99]
	v_mul_f64 v[210:211], v[210:211], v[100:101]
	v_add_f64 v[90:91], v[90:91], -v[98:99]
	v_fma_f64 v[210:211], v[212:213], v[218:219], v[210:211]
	v_add_f64 v[92:93], v[92:93], -v[210:211]
	ds_read2_b64 v[210:213], v1 offset0:60 offset1:61
	s_waitcnt lgkmcnt(0)
	v_mul_f64 v[98:99], v[212:213], v[100:101]
	v_fma_f64 v[98:99], v[210:211], v[218:219], -v[98:99]
	v_mul_f64 v[210:211], v[210:211], v[100:101]
	v_add_f64 v[86:87], v[86:87], -v[98:99]
	v_fma_f64 v[210:211], v[212:213], v[218:219], v[210:211]
	v_add_f64 v[88:89], v[88:89], -v[210:211]
	ds_read2_b64 v[210:213], v1 offset0:62 offset1:63
	s_waitcnt lgkmcnt(0)
	v_mul_f64 v[98:99], v[212:213], v[100:101]
	v_fma_f64 v[98:99], v[210:211], v[218:219], -v[98:99]
	v_mul_f64 v[210:211], v[210:211], v[100:101]
	v_add_f64 v[82:83], v[82:83], -v[98:99]
	v_fma_f64 v[210:211], v[212:213], v[218:219], v[210:211]
	v_add_f64 v[84:85], v[84:85], -v[210:211]
	ds_read2_b64 v[210:213], v1 offset0:64 offset1:65
	s_waitcnt lgkmcnt(0)
	v_mul_f64 v[98:99], v[212:213], v[100:101]
	v_fma_f64 v[98:99], v[210:211], v[218:219], -v[98:99]
	v_mul_f64 v[210:211], v[210:211], v[100:101]
	v_add_f64 v[78:79], v[78:79], -v[98:99]
	v_fma_f64 v[210:211], v[212:213], v[218:219], v[210:211]
	v_add_f64 v[80:81], v[80:81], -v[210:211]
	ds_read2_b64 v[210:213], v1 offset0:66 offset1:67
	s_waitcnt lgkmcnt(0)
	v_mul_f64 v[98:99], v[212:213], v[100:101]
	v_fma_f64 v[98:99], v[210:211], v[218:219], -v[98:99]
	v_mul_f64 v[210:211], v[210:211], v[100:101]
	v_add_f64 v[74:75], v[74:75], -v[98:99]
	v_fma_f64 v[210:211], v[212:213], v[218:219], v[210:211]
	v_add_f64 v[76:77], v[76:77], -v[210:211]
	ds_read2_b64 v[210:213], v1 offset0:68 offset1:69
	s_waitcnt lgkmcnt(0)
	v_mul_f64 v[98:99], v[212:213], v[100:101]
	v_fma_f64 v[98:99], v[210:211], v[218:219], -v[98:99]
	v_mul_f64 v[210:211], v[210:211], v[100:101]
	v_add_f64 v[70:71], v[70:71], -v[98:99]
	v_fma_f64 v[210:211], v[212:213], v[218:219], v[210:211]
	v_add_f64 v[72:73], v[72:73], -v[210:211]
	ds_read2_b64 v[210:213], v1 offset0:70 offset1:71
	s_waitcnt lgkmcnt(0)
	v_mul_f64 v[98:99], v[212:213], v[100:101]
	v_fma_f64 v[98:99], v[210:211], v[218:219], -v[98:99]
	v_mul_f64 v[210:211], v[210:211], v[100:101]
	v_add_f64 v[66:67], v[66:67], -v[98:99]
	v_fma_f64 v[210:211], v[212:213], v[218:219], v[210:211]
	v_add_f64 v[68:69], v[68:69], -v[210:211]
	ds_read2_b64 v[210:213], v1 offset0:72 offset1:73
	s_waitcnt lgkmcnt(0)
	v_mul_f64 v[98:99], v[212:213], v[100:101]
	v_fma_f64 v[98:99], v[210:211], v[218:219], -v[98:99]
	v_mul_f64 v[210:211], v[210:211], v[100:101]
	v_add_f64 v[62:63], v[62:63], -v[98:99]
	v_fma_f64 v[210:211], v[212:213], v[218:219], v[210:211]
	v_add_f64 v[64:65], v[64:65], -v[210:211]
	ds_read2_b64 v[210:213], v1 offset0:74 offset1:75
	s_waitcnt lgkmcnt(0)
	v_mul_f64 v[98:99], v[212:213], v[100:101]
	v_fma_f64 v[98:99], v[210:211], v[218:219], -v[98:99]
	v_mul_f64 v[210:211], v[210:211], v[100:101]
	v_add_f64 v[58:59], v[58:59], -v[98:99]
	v_fma_f64 v[210:211], v[212:213], v[218:219], v[210:211]
	v_add_f64 v[60:61], v[60:61], -v[210:211]
	ds_read2_b64 v[210:213], v1 offset0:76 offset1:77
	s_waitcnt lgkmcnt(0)
	v_mul_f64 v[98:99], v[212:213], v[100:101]
	v_fma_f64 v[98:99], v[210:211], v[218:219], -v[98:99]
	v_mul_f64 v[210:211], v[210:211], v[100:101]
	v_add_f64 v[54:55], v[54:55], -v[98:99]
	v_fma_f64 v[210:211], v[212:213], v[218:219], v[210:211]
	v_add_f64 v[56:57], v[56:57], -v[210:211]
	ds_read2_b64 v[210:213], v1 offset0:78 offset1:79
	s_waitcnt lgkmcnt(0)
	v_mul_f64 v[98:99], v[212:213], v[100:101]
	v_fma_f64 v[98:99], v[210:211], v[218:219], -v[98:99]
	v_mul_f64 v[210:211], v[210:211], v[100:101]
	v_add_f64 v[50:51], v[50:51], -v[98:99]
	v_fma_f64 v[210:211], v[212:213], v[218:219], v[210:211]
	v_add_f64 v[52:53], v[52:53], -v[210:211]
	ds_read2_b64 v[210:213], v1 offset0:80 offset1:81
	s_waitcnt lgkmcnt(0)
	v_mul_f64 v[98:99], v[212:213], v[100:101]
	v_fma_f64 v[98:99], v[210:211], v[218:219], -v[98:99]
	v_mul_f64 v[210:211], v[210:211], v[100:101]
	v_add_f64 v[46:47], v[46:47], -v[98:99]
	v_fma_f64 v[210:211], v[212:213], v[218:219], v[210:211]
	v_add_f64 v[48:49], v[48:49], -v[210:211]
	ds_read2_b64 v[210:213], v1 offset0:82 offset1:83
	s_waitcnt lgkmcnt(0)
	v_mul_f64 v[98:99], v[212:213], v[100:101]
	v_fma_f64 v[98:99], v[210:211], v[218:219], -v[98:99]
	v_mul_f64 v[210:211], v[210:211], v[100:101]
	v_add_f64 v[42:43], v[42:43], -v[98:99]
	v_fma_f64 v[210:211], v[212:213], v[218:219], v[210:211]
	v_add_f64 v[44:45], v[44:45], -v[210:211]
	ds_read2_b64 v[210:213], v1 offset0:84 offset1:85
	s_waitcnt lgkmcnt(0)
	v_mul_f64 v[98:99], v[212:213], v[100:101]
	v_fma_f64 v[98:99], v[210:211], v[218:219], -v[98:99]
	v_mul_f64 v[210:211], v[210:211], v[100:101]
	v_add_f64 v[38:39], v[38:39], -v[98:99]
	v_fma_f64 v[210:211], v[212:213], v[218:219], v[210:211]
	v_add_f64 v[40:41], v[40:41], -v[210:211]
	ds_read2_b64 v[210:213], v1 offset0:86 offset1:87
	s_waitcnt lgkmcnt(0)
	v_mul_f64 v[98:99], v[212:213], v[100:101]
	v_fma_f64 v[98:99], v[210:211], v[218:219], -v[98:99]
	v_mul_f64 v[210:211], v[210:211], v[100:101]
	v_add_f64 v[34:35], v[34:35], -v[98:99]
	v_fma_f64 v[210:211], v[212:213], v[218:219], v[210:211]
	v_add_f64 v[36:37], v[36:37], -v[210:211]
	ds_read2_b64 v[210:213], v1 offset0:88 offset1:89
	s_waitcnt lgkmcnt(0)
	v_mul_f64 v[98:99], v[212:213], v[100:101]
	v_fma_f64 v[98:99], v[210:211], v[218:219], -v[98:99]
	v_mul_f64 v[210:211], v[210:211], v[100:101]
	v_add_f64 v[30:31], v[30:31], -v[98:99]
	v_fma_f64 v[210:211], v[212:213], v[218:219], v[210:211]
	v_add_f64 v[32:33], v[32:33], -v[210:211]
	ds_read2_b64 v[210:213], v1 offset0:90 offset1:91
	s_waitcnt lgkmcnt(0)
	v_mul_f64 v[98:99], v[212:213], v[100:101]
	v_fma_f64 v[98:99], v[210:211], v[218:219], -v[98:99]
	v_mul_f64 v[210:211], v[210:211], v[100:101]
	v_add_f64 v[26:27], v[26:27], -v[98:99]
	v_fma_f64 v[210:211], v[212:213], v[218:219], v[210:211]
	v_add_f64 v[28:29], v[28:29], -v[210:211]
	ds_read2_b64 v[210:213], v1 offset0:92 offset1:93
	s_waitcnt lgkmcnt(0)
	v_mul_f64 v[98:99], v[212:213], v[100:101]
	v_fma_f64 v[98:99], v[210:211], v[218:219], -v[98:99]
	v_mul_f64 v[210:211], v[210:211], v[100:101]
	v_add_f64 v[22:23], v[22:23], -v[98:99]
	v_fma_f64 v[210:211], v[212:213], v[218:219], v[210:211]
	v_add_f64 v[24:25], v[24:25], -v[210:211]
	ds_read2_b64 v[210:213], v1 offset0:94 offset1:95
	s_waitcnt lgkmcnt(0)
	v_mul_f64 v[98:99], v[212:213], v[100:101]
	v_fma_f64 v[98:99], v[210:211], v[218:219], -v[98:99]
	v_mul_f64 v[210:211], v[210:211], v[100:101]
	v_add_f64 v[18:19], v[18:19], -v[98:99]
	v_fma_f64 v[210:211], v[212:213], v[218:219], v[210:211]
	v_add_f64 v[20:21], v[20:21], -v[210:211]
	ds_read2_b64 v[210:213], v1 offset0:96 offset1:97
	s_waitcnt lgkmcnt(0)
	v_mul_f64 v[98:99], v[212:213], v[100:101]
	v_fma_f64 v[98:99], v[210:211], v[218:219], -v[98:99]
	v_mul_f64 v[210:211], v[210:211], v[100:101]
	v_add_f64 v[14:15], v[14:15], -v[98:99]
	v_fma_f64 v[210:211], v[212:213], v[218:219], v[210:211]
	v_add_f64 v[16:17], v[16:17], -v[210:211]
	ds_read2_b64 v[210:213], v1 offset0:98 offset1:99
	s_waitcnt lgkmcnt(0)
	v_mul_f64 v[98:99], v[212:213], v[100:101]
	v_fma_f64 v[98:99], v[210:211], v[218:219], -v[98:99]
	v_mul_f64 v[210:211], v[210:211], v[100:101]
	v_add_f64 v[10:11], v[10:11], -v[98:99]
	v_fma_f64 v[210:211], v[212:213], v[218:219], v[210:211]
	v_add_f64 v[12:13], v[12:13], -v[210:211]
	ds_read2_b64 v[210:213], v1 offset0:100 offset1:101
	s_waitcnt lgkmcnt(0)
	v_mul_f64 v[98:99], v[212:213], v[100:101]
	v_fma_f64 v[98:99], v[210:211], v[218:219], -v[98:99]
	v_mul_f64 v[210:211], v[210:211], v[100:101]
	v_add_f64 v[6:7], v[6:7], -v[98:99]
	v_fma_f64 v[210:211], v[212:213], v[218:219], v[210:211]
	v_add_f64 v[8:9], v[8:9], -v[210:211]
	ds_read2_b64 v[210:213], v1 offset0:102 offset1:103
	s_waitcnt lgkmcnt(0)
	v_mul_f64 v[98:99], v[212:213], v[100:101]
	v_fma_f64 v[98:99], v[210:211], v[218:219], -v[98:99]
	v_mul_f64 v[210:211], v[210:211], v[100:101]
	v_add_f64 v[2:3], v[2:3], -v[98:99]
	v_fma_f64 v[210:211], v[212:213], v[218:219], v[210:211]
	v_mov_b32_e32 v98, v218
	v_mov_b32_e32 v99, v219
	v_add_f64 v[4:5], v[4:5], -v[210:211]
.LBB102_587:
	s_or_b32 exec_lo, exec_lo, s0
	v_lshl_add_u32 v210, v224, 4, v1
	s_barrier
	buffer_gl0_inv
	v_mov_b32_e32 v218, 28
	ds_write2_b64 v210, v[94:95], v[96:97] offset1:1
	s_waitcnt lgkmcnt(0)
	s_barrier
	buffer_gl0_inv
	ds_read2_b64 v[210:213], v1 offset0:56 offset1:57
	s_cmp_lt_i32 s8, 30
	s_cbranch_scc1 .LBB102_590
; %bb.588:
	v_add3_u32 v219, v220, 0, 0x1d0
	v_mov_b32_e32 v218, 28
	s_mov_b32 s1, 29
	s_inst_prefetch 0x1
	.p2align	6
.LBB102_589:                            ; =>This Inner Loop Header: Depth=1
	s_waitcnt lgkmcnt(0)
	v_cmp_gt_f64_e32 vcc_lo, 0, v[212:213]
	v_cmp_gt_f64_e64 s0, 0, v[210:211]
	ds_read2_b64 v[225:228], v219 offset1:1
	v_xor_b32_e32 v230, 0x80000000, v211
	v_xor_b32_e32 v232, 0x80000000, v213
	v_mov_b32_e32 v229, v210
	v_mov_b32_e32 v231, v212
	v_add_nc_u32_e32 v219, 16, v219
	s_waitcnt lgkmcnt(0)
	v_xor_b32_e32 v234, 0x80000000, v228
	v_cndmask_b32_e64 v230, v211, v230, s0
	v_cndmask_b32_e32 v232, v213, v232, vcc_lo
	v_cmp_gt_f64_e32 vcc_lo, 0, v[227:228]
	v_cmp_gt_f64_e64 s0, 0, v[225:226]
	v_mov_b32_e32 v233, v227
	v_add_f64 v[229:230], v[229:230], v[231:232]
	v_xor_b32_e32 v232, 0x80000000, v226
	v_mov_b32_e32 v231, v225
	v_cndmask_b32_e32 v234, v228, v234, vcc_lo
	v_cndmask_b32_e64 v232, v226, v232, s0
	v_add_f64 v[231:232], v[231:232], v[233:234]
	v_cmp_lt_f64_e32 vcc_lo, v[229:230], v[231:232]
	v_cndmask_b32_e32 v211, v211, v226, vcc_lo
	v_cndmask_b32_e32 v210, v210, v225, vcc_lo
	;; [unrolled: 1-line block ×4, first 2 shown]
	v_cndmask_b32_e64 v218, v218, s1, vcc_lo
	s_add_i32 s1, s1, 1
	s_cmp_lg_u32 s8, s1
	s_cbranch_scc1 .LBB102_589
.LBB102_590:
	s_inst_prefetch 0x2
	s_waitcnt lgkmcnt(0)
	v_cmp_eq_f64_e32 vcc_lo, 0, v[210:211]
	v_cmp_eq_f64_e64 s0, 0, v[212:213]
	s_and_b32 s0, vcc_lo, s0
	s_and_saveexec_b32 s1, s0
	s_xor_b32 s0, exec_lo, s1
; %bb.591:
	v_cmp_ne_u32_e32 vcc_lo, 0, v223
	v_cndmask_b32_e32 v223, 29, v223, vcc_lo
; %bb.592:
	s_andn2_saveexec_b32 s0, s0
	s_cbranch_execz .LBB102_598
; %bb.593:
	v_cmp_ngt_f64_e64 s1, |v[210:211]|, |v[212:213]|
	s_and_saveexec_b32 s7, s1
	s_xor_b32 s1, exec_lo, s7
	s_cbranch_execz .LBB102_595
; %bb.594:
	v_div_scale_f64 v[225:226], null, v[212:213], v[212:213], v[210:211]
	v_div_scale_f64 v[231:232], vcc_lo, v[210:211], v[212:213], v[210:211]
	v_rcp_f64_e32 v[227:228], v[225:226]
	v_fma_f64 v[229:230], -v[225:226], v[227:228], 1.0
	v_fma_f64 v[227:228], v[227:228], v[229:230], v[227:228]
	v_fma_f64 v[229:230], -v[225:226], v[227:228], 1.0
	v_fma_f64 v[227:228], v[227:228], v[229:230], v[227:228]
	v_mul_f64 v[229:230], v[231:232], v[227:228]
	v_fma_f64 v[225:226], -v[225:226], v[229:230], v[231:232]
	v_div_fmas_f64 v[225:226], v[225:226], v[227:228], v[229:230]
	v_div_fixup_f64 v[225:226], v[225:226], v[212:213], v[210:211]
	v_fma_f64 v[210:211], v[210:211], v[225:226], v[212:213]
	v_div_scale_f64 v[212:213], null, v[210:211], v[210:211], 1.0
	v_rcp_f64_e32 v[227:228], v[212:213]
	v_fma_f64 v[229:230], -v[212:213], v[227:228], 1.0
	v_fma_f64 v[227:228], v[227:228], v[229:230], v[227:228]
	v_fma_f64 v[229:230], -v[212:213], v[227:228], 1.0
	v_fma_f64 v[227:228], v[227:228], v[229:230], v[227:228]
	v_div_scale_f64 v[229:230], vcc_lo, 1.0, v[210:211], 1.0
	v_mul_f64 v[231:232], v[229:230], v[227:228]
	v_fma_f64 v[212:213], -v[212:213], v[231:232], v[229:230]
	v_div_fmas_f64 v[212:213], v[212:213], v[227:228], v[231:232]
	v_div_fixup_f64 v[212:213], v[212:213], v[210:211], 1.0
	v_mul_f64 v[210:211], v[225:226], v[212:213]
	v_xor_b32_e32 v213, 0x80000000, v213
.LBB102_595:
	s_andn2_saveexec_b32 s1, s1
	s_cbranch_execz .LBB102_597
; %bb.596:
	v_div_scale_f64 v[225:226], null, v[210:211], v[210:211], v[212:213]
	v_div_scale_f64 v[231:232], vcc_lo, v[212:213], v[210:211], v[212:213]
	v_rcp_f64_e32 v[227:228], v[225:226]
	v_fma_f64 v[229:230], -v[225:226], v[227:228], 1.0
	v_fma_f64 v[227:228], v[227:228], v[229:230], v[227:228]
	v_fma_f64 v[229:230], -v[225:226], v[227:228], 1.0
	v_fma_f64 v[227:228], v[227:228], v[229:230], v[227:228]
	v_mul_f64 v[229:230], v[231:232], v[227:228]
	v_fma_f64 v[225:226], -v[225:226], v[229:230], v[231:232]
	v_div_fmas_f64 v[225:226], v[225:226], v[227:228], v[229:230]
	v_div_fixup_f64 v[225:226], v[225:226], v[210:211], v[212:213]
	v_fma_f64 v[210:211], v[212:213], v[225:226], v[210:211]
	v_div_scale_f64 v[212:213], null, v[210:211], v[210:211], 1.0
	v_rcp_f64_e32 v[227:228], v[212:213]
	v_fma_f64 v[229:230], -v[212:213], v[227:228], 1.0
	v_fma_f64 v[227:228], v[227:228], v[229:230], v[227:228]
	v_fma_f64 v[229:230], -v[212:213], v[227:228], 1.0
	v_fma_f64 v[227:228], v[227:228], v[229:230], v[227:228]
	v_div_scale_f64 v[229:230], vcc_lo, 1.0, v[210:211], 1.0
	v_mul_f64 v[231:232], v[229:230], v[227:228]
	v_fma_f64 v[212:213], -v[212:213], v[231:232], v[229:230]
	v_div_fmas_f64 v[212:213], v[212:213], v[227:228], v[231:232]
	v_div_fixup_f64 v[210:211], v[212:213], v[210:211], 1.0
	v_mul_f64 v[212:213], v[225:226], -v[210:211]
.LBB102_597:
	s_or_b32 exec_lo, exec_lo, s1
.LBB102_598:
	s_or_b32 exec_lo, exec_lo, s0
	s_mov_b32 s0, exec_lo
	v_cmpx_ne_u32_e64 v224, v218
	s_xor_b32 s0, exec_lo, s0
	s_cbranch_execz .LBB102_604
; %bb.599:
	s_mov_b32 s1, exec_lo
	v_cmpx_eq_u32_e32 28, v224
	s_cbranch_execz .LBB102_603
; %bb.600:
	v_cmp_ne_u32_e32 vcc_lo, 28, v218
	s_xor_b32 s7, s16, -1
	s_and_b32 s9, s7, vcc_lo
	s_and_saveexec_b32 s7, s9
	s_cbranch_execz .LBB102_602
; %bb.601:
	v_ashrrev_i32_e32 v219, 31, v218
	v_lshlrev_b64 v[224:225], 2, v[218:219]
	v_add_co_u32 v224, vcc_lo, v216, v224
	v_add_co_ci_u32_e64 v225, null, v217, v225, vcc_lo
	s_clause 0x1
	global_load_dword v0, v[224:225], off
	global_load_dword v219, v[216:217], off offset:112
	s_waitcnt vmcnt(1)
	global_store_dword v[216:217], v0, off offset:112
	s_waitcnt vmcnt(0)
	global_store_dword v[224:225], v219, off
.LBB102_602:
	s_or_b32 exec_lo, exec_lo, s7
	v_mov_b32_e32 v224, v218
	v_mov_b32_e32 v0, v218
.LBB102_603:
	s_or_b32 exec_lo, exec_lo, s1
.LBB102_604:
	s_andn2_saveexec_b32 s0, s0
	s_cbranch_execz .LBB102_606
; %bb.605:
	v_mov_b32_e32 v224, 28
	ds_write2_b64 v1, v[90:91], v[92:93] offset0:58 offset1:59
	ds_write2_b64 v1, v[86:87], v[88:89] offset0:60 offset1:61
	;; [unrolled: 1-line block ×23, first 2 shown]
.LBB102_606:
	s_or_b32 exec_lo, exec_lo, s0
	s_mov_b32 s0, exec_lo
	s_waitcnt lgkmcnt(0)
	s_waitcnt_vscnt null, 0x0
	s_barrier
	buffer_gl0_inv
	v_cmpx_lt_i32_e32 28, v224
	s_cbranch_execz .LBB102_608
; %bb.607:
	v_mul_f64 v[218:219], v[212:213], v[96:97]
	v_mul_f64 v[96:97], v[210:211], v[96:97]
	v_fma_f64 v[218:219], v[210:211], v[94:95], -v[218:219]
	v_fma_f64 v[96:97], v[212:213], v[94:95], v[96:97]
	ds_read2_b64 v[210:213], v1 offset0:58 offset1:59
	s_waitcnt lgkmcnt(0)
	v_mul_f64 v[94:95], v[212:213], v[96:97]
	v_fma_f64 v[94:95], v[210:211], v[218:219], -v[94:95]
	v_mul_f64 v[210:211], v[210:211], v[96:97]
	v_add_f64 v[90:91], v[90:91], -v[94:95]
	v_fma_f64 v[210:211], v[212:213], v[218:219], v[210:211]
	v_add_f64 v[92:93], v[92:93], -v[210:211]
	ds_read2_b64 v[210:213], v1 offset0:60 offset1:61
	s_waitcnt lgkmcnt(0)
	v_mul_f64 v[94:95], v[212:213], v[96:97]
	v_fma_f64 v[94:95], v[210:211], v[218:219], -v[94:95]
	v_mul_f64 v[210:211], v[210:211], v[96:97]
	v_add_f64 v[86:87], v[86:87], -v[94:95]
	v_fma_f64 v[210:211], v[212:213], v[218:219], v[210:211]
	v_add_f64 v[88:89], v[88:89], -v[210:211]
	;; [unrolled: 8-line block ×22, first 2 shown]
	ds_read2_b64 v[210:213], v1 offset0:102 offset1:103
	s_waitcnt lgkmcnt(0)
	v_mul_f64 v[94:95], v[212:213], v[96:97]
	v_fma_f64 v[94:95], v[210:211], v[218:219], -v[94:95]
	v_mul_f64 v[210:211], v[210:211], v[96:97]
	v_add_f64 v[2:3], v[2:3], -v[94:95]
	v_fma_f64 v[210:211], v[212:213], v[218:219], v[210:211]
	v_mov_b32_e32 v94, v218
	v_mov_b32_e32 v95, v219
	v_add_f64 v[4:5], v[4:5], -v[210:211]
.LBB102_608:
	s_or_b32 exec_lo, exec_lo, s0
	v_lshl_add_u32 v210, v224, 4, v1
	s_barrier
	buffer_gl0_inv
	v_mov_b32_e32 v218, 29
	ds_write2_b64 v210, v[90:91], v[92:93] offset1:1
	s_waitcnt lgkmcnt(0)
	s_barrier
	buffer_gl0_inv
	ds_read2_b64 v[210:213], v1 offset0:58 offset1:59
	s_cmp_lt_i32 s8, 31
	s_cbranch_scc1 .LBB102_611
; %bb.609:
	v_add3_u32 v219, v220, 0, 0x1e0
	v_mov_b32_e32 v218, 29
	s_mov_b32 s1, 30
	s_inst_prefetch 0x1
	.p2align	6
.LBB102_610:                            ; =>This Inner Loop Header: Depth=1
	s_waitcnt lgkmcnt(0)
	v_cmp_gt_f64_e32 vcc_lo, 0, v[212:213]
	v_cmp_gt_f64_e64 s0, 0, v[210:211]
	ds_read2_b64 v[225:228], v219 offset1:1
	v_xor_b32_e32 v230, 0x80000000, v211
	v_xor_b32_e32 v232, 0x80000000, v213
	v_mov_b32_e32 v229, v210
	v_mov_b32_e32 v231, v212
	v_add_nc_u32_e32 v219, 16, v219
	s_waitcnt lgkmcnt(0)
	v_xor_b32_e32 v234, 0x80000000, v228
	v_cndmask_b32_e64 v230, v211, v230, s0
	v_cndmask_b32_e32 v232, v213, v232, vcc_lo
	v_cmp_gt_f64_e32 vcc_lo, 0, v[227:228]
	v_cmp_gt_f64_e64 s0, 0, v[225:226]
	v_mov_b32_e32 v233, v227
	v_add_f64 v[229:230], v[229:230], v[231:232]
	v_xor_b32_e32 v232, 0x80000000, v226
	v_mov_b32_e32 v231, v225
	v_cndmask_b32_e32 v234, v228, v234, vcc_lo
	v_cndmask_b32_e64 v232, v226, v232, s0
	v_add_f64 v[231:232], v[231:232], v[233:234]
	v_cmp_lt_f64_e32 vcc_lo, v[229:230], v[231:232]
	v_cndmask_b32_e32 v211, v211, v226, vcc_lo
	v_cndmask_b32_e32 v210, v210, v225, vcc_lo
	;; [unrolled: 1-line block ×4, first 2 shown]
	v_cndmask_b32_e64 v218, v218, s1, vcc_lo
	s_add_i32 s1, s1, 1
	s_cmp_lg_u32 s8, s1
	s_cbranch_scc1 .LBB102_610
.LBB102_611:
	s_inst_prefetch 0x2
	s_waitcnt lgkmcnt(0)
	v_cmp_eq_f64_e32 vcc_lo, 0, v[210:211]
	v_cmp_eq_f64_e64 s0, 0, v[212:213]
	s_and_b32 s0, vcc_lo, s0
	s_and_saveexec_b32 s1, s0
	s_xor_b32 s0, exec_lo, s1
; %bb.612:
	v_cmp_ne_u32_e32 vcc_lo, 0, v223
	v_cndmask_b32_e32 v223, 30, v223, vcc_lo
; %bb.613:
	s_andn2_saveexec_b32 s0, s0
	s_cbranch_execz .LBB102_619
; %bb.614:
	v_cmp_ngt_f64_e64 s1, |v[210:211]|, |v[212:213]|
	s_and_saveexec_b32 s7, s1
	s_xor_b32 s1, exec_lo, s7
	s_cbranch_execz .LBB102_616
; %bb.615:
	v_div_scale_f64 v[225:226], null, v[212:213], v[212:213], v[210:211]
	v_div_scale_f64 v[231:232], vcc_lo, v[210:211], v[212:213], v[210:211]
	v_rcp_f64_e32 v[227:228], v[225:226]
	v_fma_f64 v[229:230], -v[225:226], v[227:228], 1.0
	v_fma_f64 v[227:228], v[227:228], v[229:230], v[227:228]
	v_fma_f64 v[229:230], -v[225:226], v[227:228], 1.0
	v_fma_f64 v[227:228], v[227:228], v[229:230], v[227:228]
	v_mul_f64 v[229:230], v[231:232], v[227:228]
	v_fma_f64 v[225:226], -v[225:226], v[229:230], v[231:232]
	v_div_fmas_f64 v[225:226], v[225:226], v[227:228], v[229:230]
	v_div_fixup_f64 v[225:226], v[225:226], v[212:213], v[210:211]
	v_fma_f64 v[210:211], v[210:211], v[225:226], v[212:213]
	v_div_scale_f64 v[212:213], null, v[210:211], v[210:211], 1.0
	v_rcp_f64_e32 v[227:228], v[212:213]
	v_fma_f64 v[229:230], -v[212:213], v[227:228], 1.0
	v_fma_f64 v[227:228], v[227:228], v[229:230], v[227:228]
	v_fma_f64 v[229:230], -v[212:213], v[227:228], 1.0
	v_fma_f64 v[227:228], v[227:228], v[229:230], v[227:228]
	v_div_scale_f64 v[229:230], vcc_lo, 1.0, v[210:211], 1.0
	v_mul_f64 v[231:232], v[229:230], v[227:228]
	v_fma_f64 v[212:213], -v[212:213], v[231:232], v[229:230]
	v_div_fmas_f64 v[212:213], v[212:213], v[227:228], v[231:232]
	v_div_fixup_f64 v[212:213], v[212:213], v[210:211], 1.0
	v_mul_f64 v[210:211], v[225:226], v[212:213]
	v_xor_b32_e32 v213, 0x80000000, v213
.LBB102_616:
	s_andn2_saveexec_b32 s1, s1
	s_cbranch_execz .LBB102_618
; %bb.617:
	v_div_scale_f64 v[225:226], null, v[210:211], v[210:211], v[212:213]
	v_div_scale_f64 v[231:232], vcc_lo, v[212:213], v[210:211], v[212:213]
	v_rcp_f64_e32 v[227:228], v[225:226]
	v_fma_f64 v[229:230], -v[225:226], v[227:228], 1.0
	v_fma_f64 v[227:228], v[227:228], v[229:230], v[227:228]
	v_fma_f64 v[229:230], -v[225:226], v[227:228], 1.0
	v_fma_f64 v[227:228], v[227:228], v[229:230], v[227:228]
	v_mul_f64 v[229:230], v[231:232], v[227:228]
	v_fma_f64 v[225:226], -v[225:226], v[229:230], v[231:232]
	v_div_fmas_f64 v[225:226], v[225:226], v[227:228], v[229:230]
	v_div_fixup_f64 v[225:226], v[225:226], v[210:211], v[212:213]
	v_fma_f64 v[210:211], v[212:213], v[225:226], v[210:211]
	v_div_scale_f64 v[212:213], null, v[210:211], v[210:211], 1.0
	v_rcp_f64_e32 v[227:228], v[212:213]
	v_fma_f64 v[229:230], -v[212:213], v[227:228], 1.0
	v_fma_f64 v[227:228], v[227:228], v[229:230], v[227:228]
	v_fma_f64 v[229:230], -v[212:213], v[227:228], 1.0
	v_fma_f64 v[227:228], v[227:228], v[229:230], v[227:228]
	v_div_scale_f64 v[229:230], vcc_lo, 1.0, v[210:211], 1.0
	v_mul_f64 v[231:232], v[229:230], v[227:228]
	v_fma_f64 v[212:213], -v[212:213], v[231:232], v[229:230]
	v_div_fmas_f64 v[212:213], v[212:213], v[227:228], v[231:232]
	v_div_fixup_f64 v[210:211], v[212:213], v[210:211], 1.0
	v_mul_f64 v[212:213], v[225:226], -v[210:211]
.LBB102_618:
	s_or_b32 exec_lo, exec_lo, s1
.LBB102_619:
	s_or_b32 exec_lo, exec_lo, s0
	s_mov_b32 s0, exec_lo
	v_cmpx_ne_u32_e64 v224, v218
	s_xor_b32 s0, exec_lo, s0
	s_cbranch_execz .LBB102_625
; %bb.620:
	s_mov_b32 s1, exec_lo
	v_cmpx_eq_u32_e32 29, v224
	s_cbranch_execz .LBB102_624
; %bb.621:
	v_cmp_ne_u32_e32 vcc_lo, 29, v218
	s_xor_b32 s7, s16, -1
	s_and_b32 s9, s7, vcc_lo
	s_and_saveexec_b32 s7, s9
	s_cbranch_execz .LBB102_623
; %bb.622:
	v_ashrrev_i32_e32 v219, 31, v218
	v_lshlrev_b64 v[224:225], 2, v[218:219]
	v_add_co_u32 v224, vcc_lo, v216, v224
	v_add_co_ci_u32_e64 v225, null, v217, v225, vcc_lo
	s_clause 0x1
	global_load_dword v0, v[224:225], off
	global_load_dword v219, v[216:217], off offset:116
	s_waitcnt vmcnt(1)
	global_store_dword v[216:217], v0, off offset:116
	s_waitcnt vmcnt(0)
	global_store_dword v[224:225], v219, off
.LBB102_623:
	s_or_b32 exec_lo, exec_lo, s7
	v_mov_b32_e32 v224, v218
	v_mov_b32_e32 v0, v218
.LBB102_624:
	s_or_b32 exec_lo, exec_lo, s1
.LBB102_625:
	s_andn2_saveexec_b32 s0, s0
	s_cbranch_execz .LBB102_627
; %bb.626:
	v_mov_b32_e32 v224, 29
	ds_write2_b64 v1, v[86:87], v[88:89] offset0:60 offset1:61
	ds_write2_b64 v1, v[82:83], v[84:85] offset0:62 offset1:63
	;; [unrolled: 1-line block ×22, first 2 shown]
.LBB102_627:
	s_or_b32 exec_lo, exec_lo, s0
	s_mov_b32 s0, exec_lo
	s_waitcnt lgkmcnt(0)
	s_waitcnt_vscnt null, 0x0
	s_barrier
	buffer_gl0_inv
	v_cmpx_lt_i32_e32 29, v224
	s_cbranch_execz .LBB102_629
; %bb.628:
	v_mul_f64 v[218:219], v[212:213], v[92:93]
	v_mul_f64 v[92:93], v[210:211], v[92:93]
	v_fma_f64 v[218:219], v[210:211], v[90:91], -v[218:219]
	v_fma_f64 v[92:93], v[212:213], v[90:91], v[92:93]
	ds_read2_b64 v[210:213], v1 offset0:60 offset1:61
	s_waitcnt lgkmcnt(0)
	v_mul_f64 v[90:91], v[212:213], v[92:93]
	v_fma_f64 v[90:91], v[210:211], v[218:219], -v[90:91]
	v_mul_f64 v[210:211], v[210:211], v[92:93]
	v_add_f64 v[86:87], v[86:87], -v[90:91]
	v_fma_f64 v[210:211], v[212:213], v[218:219], v[210:211]
	v_add_f64 v[88:89], v[88:89], -v[210:211]
	ds_read2_b64 v[210:213], v1 offset0:62 offset1:63
	s_waitcnt lgkmcnt(0)
	v_mul_f64 v[90:91], v[212:213], v[92:93]
	v_fma_f64 v[90:91], v[210:211], v[218:219], -v[90:91]
	v_mul_f64 v[210:211], v[210:211], v[92:93]
	v_add_f64 v[82:83], v[82:83], -v[90:91]
	v_fma_f64 v[210:211], v[212:213], v[218:219], v[210:211]
	v_add_f64 v[84:85], v[84:85], -v[210:211]
	;; [unrolled: 8-line block ×21, first 2 shown]
	ds_read2_b64 v[210:213], v1 offset0:102 offset1:103
	s_waitcnt lgkmcnt(0)
	v_mul_f64 v[90:91], v[212:213], v[92:93]
	v_fma_f64 v[90:91], v[210:211], v[218:219], -v[90:91]
	v_mul_f64 v[210:211], v[210:211], v[92:93]
	v_add_f64 v[2:3], v[2:3], -v[90:91]
	v_fma_f64 v[210:211], v[212:213], v[218:219], v[210:211]
	v_mov_b32_e32 v90, v218
	v_mov_b32_e32 v91, v219
	v_add_f64 v[4:5], v[4:5], -v[210:211]
.LBB102_629:
	s_or_b32 exec_lo, exec_lo, s0
	v_lshl_add_u32 v210, v224, 4, v1
	s_barrier
	buffer_gl0_inv
	v_mov_b32_e32 v218, 30
	ds_write2_b64 v210, v[86:87], v[88:89] offset1:1
	s_waitcnt lgkmcnt(0)
	s_barrier
	buffer_gl0_inv
	ds_read2_b64 v[210:213], v1 offset0:60 offset1:61
	s_cmp_lt_i32 s8, 32
	s_cbranch_scc1 .LBB102_632
; %bb.630:
	v_add3_u32 v219, v220, 0, 0x1f0
	v_mov_b32_e32 v218, 30
	s_mov_b32 s1, 31
	s_inst_prefetch 0x1
	.p2align	6
.LBB102_631:                            ; =>This Inner Loop Header: Depth=1
	s_waitcnt lgkmcnt(0)
	v_cmp_gt_f64_e32 vcc_lo, 0, v[212:213]
	v_cmp_gt_f64_e64 s0, 0, v[210:211]
	ds_read2_b64 v[225:228], v219 offset1:1
	v_xor_b32_e32 v230, 0x80000000, v211
	v_xor_b32_e32 v232, 0x80000000, v213
	v_mov_b32_e32 v229, v210
	v_mov_b32_e32 v231, v212
	v_add_nc_u32_e32 v219, 16, v219
	s_waitcnt lgkmcnt(0)
	v_xor_b32_e32 v234, 0x80000000, v228
	v_cndmask_b32_e64 v230, v211, v230, s0
	v_cndmask_b32_e32 v232, v213, v232, vcc_lo
	v_cmp_gt_f64_e32 vcc_lo, 0, v[227:228]
	v_cmp_gt_f64_e64 s0, 0, v[225:226]
	v_mov_b32_e32 v233, v227
	v_add_f64 v[229:230], v[229:230], v[231:232]
	v_xor_b32_e32 v232, 0x80000000, v226
	v_mov_b32_e32 v231, v225
	v_cndmask_b32_e32 v234, v228, v234, vcc_lo
	v_cndmask_b32_e64 v232, v226, v232, s0
	v_add_f64 v[231:232], v[231:232], v[233:234]
	v_cmp_lt_f64_e32 vcc_lo, v[229:230], v[231:232]
	v_cndmask_b32_e32 v211, v211, v226, vcc_lo
	v_cndmask_b32_e32 v210, v210, v225, vcc_lo
	;; [unrolled: 1-line block ×4, first 2 shown]
	v_cndmask_b32_e64 v218, v218, s1, vcc_lo
	s_add_i32 s1, s1, 1
	s_cmp_lg_u32 s8, s1
	s_cbranch_scc1 .LBB102_631
.LBB102_632:
	s_inst_prefetch 0x2
	s_waitcnt lgkmcnt(0)
	v_cmp_eq_f64_e32 vcc_lo, 0, v[210:211]
	v_cmp_eq_f64_e64 s0, 0, v[212:213]
	s_and_b32 s0, vcc_lo, s0
	s_and_saveexec_b32 s1, s0
	s_xor_b32 s0, exec_lo, s1
; %bb.633:
	v_cmp_ne_u32_e32 vcc_lo, 0, v223
	v_cndmask_b32_e32 v223, 31, v223, vcc_lo
; %bb.634:
	s_andn2_saveexec_b32 s0, s0
	s_cbranch_execz .LBB102_640
; %bb.635:
	v_cmp_ngt_f64_e64 s1, |v[210:211]|, |v[212:213]|
	s_and_saveexec_b32 s7, s1
	s_xor_b32 s1, exec_lo, s7
	s_cbranch_execz .LBB102_637
; %bb.636:
	v_div_scale_f64 v[225:226], null, v[212:213], v[212:213], v[210:211]
	v_div_scale_f64 v[231:232], vcc_lo, v[210:211], v[212:213], v[210:211]
	v_rcp_f64_e32 v[227:228], v[225:226]
	v_fma_f64 v[229:230], -v[225:226], v[227:228], 1.0
	v_fma_f64 v[227:228], v[227:228], v[229:230], v[227:228]
	v_fma_f64 v[229:230], -v[225:226], v[227:228], 1.0
	v_fma_f64 v[227:228], v[227:228], v[229:230], v[227:228]
	v_mul_f64 v[229:230], v[231:232], v[227:228]
	v_fma_f64 v[225:226], -v[225:226], v[229:230], v[231:232]
	v_div_fmas_f64 v[225:226], v[225:226], v[227:228], v[229:230]
	v_div_fixup_f64 v[225:226], v[225:226], v[212:213], v[210:211]
	v_fma_f64 v[210:211], v[210:211], v[225:226], v[212:213]
	v_div_scale_f64 v[212:213], null, v[210:211], v[210:211], 1.0
	v_rcp_f64_e32 v[227:228], v[212:213]
	v_fma_f64 v[229:230], -v[212:213], v[227:228], 1.0
	v_fma_f64 v[227:228], v[227:228], v[229:230], v[227:228]
	v_fma_f64 v[229:230], -v[212:213], v[227:228], 1.0
	v_fma_f64 v[227:228], v[227:228], v[229:230], v[227:228]
	v_div_scale_f64 v[229:230], vcc_lo, 1.0, v[210:211], 1.0
	v_mul_f64 v[231:232], v[229:230], v[227:228]
	v_fma_f64 v[212:213], -v[212:213], v[231:232], v[229:230]
	v_div_fmas_f64 v[212:213], v[212:213], v[227:228], v[231:232]
	v_div_fixup_f64 v[212:213], v[212:213], v[210:211], 1.0
	v_mul_f64 v[210:211], v[225:226], v[212:213]
	v_xor_b32_e32 v213, 0x80000000, v213
.LBB102_637:
	s_andn2_saveexec_b32 s1, s1
	s_cbranch_execz .LBB102_639
; %bb.638:
	v_div_scale_f64 v[225:226], null, v[210:211], v[210:211], v[212:213]
	v_div_scale_f64 v[231:232], vcc_lo, v[212:213], v[210:211], v[212:213]
	v_rcp_f64_e32 v[227:228], v[225:226]
	v_fma_f64 v[229:230], -v[225:226], v[227:228], 1.0
	v_fma_f64 v[227:228], v[227:228], v[229:230], v[227:228]
	v_fma_f64 v[229:230], -v[225:226], v[227:228], 1.0
	v_fma_f64 v[227:228], v[227:228], v[229:230], v[227:228]
	v_mul_f64 v[229:230], v[231:232], v[227:228]
	v_fma_f64 v[225:226], -v[225:226], v[229:230], v[231:232]
	v_div_fmas_f64 v[225:226], v[225:226], v[227:228], v[229:230]
	v_div_fixup_f64 v[225:226], v[225:226], v[210:211], v[212:213]
	v_fma_f64 v[210:211], v[212:213], v[225:226], v[210:211]
	v_div_scale_f64 v[212:213], null, v[210:211], v[210:211], 1.0
	v_rcp_f64_e32 v[227:228], v[212:213]
	v_fma_f64 v[229:230], -v[212:213], v[227:228], 1.0
	v_fma_f64 v[227:228], v[227:228], v[229:230], v[227:228]
	v_fma_f64 v[229:230], -v[212:213], v[227:228], 1.0
	v_fma_f64 v[227:228], v[227:228], v[229:230], v[227:228]
	v_div_scale_f64 v[229:230], vcc_lo, 1.0, v[210:211], 1.0
	v_mul_f64 v[231:232], v[229:230], v[227:228]
	v_fma_f64 v[212:213], -v[212:213], v[231:232], v[229:230]
	v_div_fmas_f64 v[212:213], v[212:213], v[227:228], v[231:232]
	v_div_fixup_f64 v[210:211], v[212:213], v[210:211], 1.0
	v_mul_f64 v[212:213], v[225:226], -v[210:211]
.LBB102_639:
	s_or_b32 exec_lo, exec_lo, s1
.LBB102_640:
	s_or_b32 exec_lo, exec_lo, s0
	s_mov_b32 s0, exec_lo
	v_cmpx_ne_u32_e64 v224, v218
	s_xor_b32 s0, exec_lo, s0
	s_cbranch_execz .LBB102_646
; %bb.641:
	s_mov_b32 s1, exec_lo
	v_cmpx_eq_u32_e32 30, v224
	s_cbranch_execz .LBB102_645
; %bb.642:
	v_cmp_ne_u32_e32 vcc_lo, 30, v218
	s_xor_b32 s7, s16, -1
	s_and_b32 s9, s7, vcc_lo
	s_and_saveexec_b32 s7, s9
	s_cbranch_execz .LBB102_644
; %bb.643:
	v_ashrrev_i32_e32 v219, 31, v218
	v_lshlrev_b64 v[224:225], 2, v[218:219]
	v_add_co_u32 v224, vcc_lo, v216, v224
	v_add_co_ci_u32_e64 v225, null, v217, v225, vcc_lo
	s_clause 0x1
	global_load_dword v0, v[224:225], off
	global_load_dword v219, v[216:217], off offset:120
	s_waitcnt vmcnt(1)
	global_store_dword v[216:217], v0, off offset:120
	s_waitcnt vmcnt(0)
	global_store_dword v[224:225], v219, off
.LBB102_644:
	s_or_b32 exec_lo, exec_lo, s7
	v_mov_b32_e32 v224, v218
	v_mov_b32_e32 v0, v218
.LBB102_645:
	s_or_b32 exec_lo, exec_lo, s1
.LBB102_646:
	s_andn2_saveexec_b32 s0, s0
	s_cbranch_execz .LBB102_648
; %bb.647:
	v_mov_b32_e32 v224, 30
	ds_write2_b64 v1, v[82:83], v[84:85] offset0:62 offset1:63
	ds_write2_b64 v1, v[78:79], v[80:81] offset0:64 offset1:65
	;; [unrolled: 1-line block ×21, first 2 shown]
.LBB102_648:
	s_or_b32 exec_lo, exec_lo, s0
	s_mov_b32 s0, exec_lo
	s_waitcnt lgkmcnt(0)
	s_waitcnt_vscnt null, 0x0
	s_barrier
	buffer_gl0_inv
	v_cmpx_lt_i32_e32 30, v224
	s_cbranch_execz .LBB102_650
; %bb.649:
	v_mul_f64 v[218:219], v[212:213], v[88:89]
	v_mul_f64 v[88:89], v[210:211], v[88:89]
	v_fma_f64 v[218:219], v[210:211], v[86:87], -v[218:219]
	v_fma_f64 v[88:89], v[212:213], v[86:87], v[88:89]
	ds_read2_b64 v[210:213], v1 offset0:62 offset1:63
	s_waitcnt lgkmcnt(0)
	v_mul_f64 v[86:87], v[212:213], v[88:89]
	v_fma_f64 v[86:87], v[210:211], v[218:219], -v[86:87]
	v_mul_f64 v[210:211], v[210:211], v[88:89]
	v_add_f64 v[82:83], v[82:83], -v[86:87]
	v_fma_f64 v[210:211], v[212:213], v[218:219], v[210:211]
	v_add_f64 v[84:85], v[84:85], -v[210:211]
	ds_read2_b64 v[210:213], v1 offset0:64 offset1:65
	s_waitcnt lgkmcnt(0)
	v_mul_f64 v[86:87], v[212:213], v[88:89]
	v_fma_f64 v[86:87], v[210:211], v[218:219], -v[86:87]
	v_mul_f64 v[210:211], v[210:211], v[88:89]
	v_add_f64 v[78:79], v[78:79], -v[86:87]
	v_fma_f64 v[210:211], v[212:213], v[218:219], v[210:211]
	v_add_f64 v[80:81], v[80:81], -v[210:211]
	ds_read2_b64 v[210:213], v1 offset0:66 offset1:67
	s_waitcnt lgkmcnt(0)
	v_mul_f64 v[86:87], v[212:213], v[88:89]
	v_fma_f64 v[86:87], v[210:211], v[218:219], -v[86:87]
	v_mul_f64 v[210:211], v[210:211], v[88:89]
	v_add_f64 v[74:75], v[74:75], -v[86:87]
	v_fma_f64 v[210:211], v[212:213], v[218:219], v[210:211]
	v_add_f64 v[76:77], v[76:77], -v[210:211]
	ds_read2_b64 v[210:213], v1 offset0:68 offset1:69
	s_waitcnt lgkmcnt(0)
	v_mul_f64 v[86:87], v[212:213], v[88:89]
	v_fma_f64 v[86:87], v[210:211], v[218:219], -v[86:87]
	v_mul_f64 v[210:211], v[210:211], v[88:89]
	v_add_f64 v[70:71], v[70:71], -v[86:87]
	v_fma_f64 v[210:211], v[212:213], v[218:219], v[210:211]
	v_add_f64 v[72:73], v[72:73], -v[210:211]
	ds_read2_b64 v[210:213], v1 offset0:70 offset1:71
	s_waitcnt lgkmcnt(0)
	v_mul_f64 v[86:87], v[212:213], v[88:89]
	v_fma_f64 v[86:87], v[210:211], v[218:219], -v[86:87]
	v_mul_f64 v[210:211], v[210:211], v[88:89]
	v_add_f64 v[66:67], v[66:67], -v[86:87]
	v_fma_f64 v[210:211], v[212:213], v[218:219], v[210:211]
	v_add_f64 v[68:69], v[68:69], -v[210:211]
	ds_read2_b64 v[210:213], v1 offset0:72 offset1:73
	s_waitcnt lgkmcnt(0)
	v_mul_f64 v[86:87], v[212:213], v[88:89]
	v_fma_f64 v[86:87], v[210:211], v[218:219], -v[86:87]
	v_mul_f64 v[210:211], v[210:211], v[88:89]
	v_add_f64 v[62:63], v[62:63], -v[86:87]
	v_fma_f64 v[210:211], v[212:213], v[218:219], v[210:211]
	v_add_f64 v[64:65], v[64:65], -v[210:211]
	ds_read2_b64 v[210:213], v1 offset0:74 offset1:75
	s_waitcnt lgkmcnt(0)
	v_mul_f64 v[86:87], v[212:213], v[88:89]
	v_fma_f64 v[86:87], v[210:211], v[218:219], -v[86:87]
	v_mul_f64 v[210:211], v[210:211], v[88:89]
	v_add_f64 v[58:59], v[58:59], -v[86:87]
	v_fma_f64 v[210:211], v[212:213], v[218:219], v[210:211]
	v_add_f64 v[60:61], v[60:61], -v[210:211]
	ds_read2_b64 v[210:213], v1 offset0:76 offset1:77
	s_waitcnt lgkmcnt(0)
	v_mul_f64 v[86:87], v[212:213], v[88:89]
	v_fma_f64 v[86:87], v[210:211], v[218:219], -v[86:87]
	v_mul_f64 v[210:211], v[210:211], v[88:89]
	v_add_f64 v[54:55], v[54:55], -v[86:87]
	v_fma_f64 v[210:211], v[212:213], v[218:219], v[210:211]
	v_add_f64 v[56:57], v[56:57], -v[210:211]
	ds_read2_b64 v[210:213], v1 offset0:78 offset1:79
	s_waitcnt lgkmcnt(0)
	v_mul_f64 v[86:87], v[212:213], v[88:89]
	v_fma_f64 v[86:87], v[210:211], v[218:219], -v[86:87]
	v_mul_f64 v[210:211], v[210:211], v[88:89]
	v_add_f64 v[50:51], v[50:51], -v[86:87]
	v_fma_f64 v[210:211], v[212:213], v[218:219], v[210:211]
	v_add_f64 v[52:53], v[52:53], -v[210:211]
	ds_read2_b64 v[210:213], v1 offset0:80 offset1:81
	s_waitcnt lgkmcnt(0)
	v_mul_f64 v[86:87], v[212:213], v[88:89]
	v_fma_f64 v[86:87], v[210:211], v[218:219], -v[86:87]
	v_mul_f64 v[210:211], v[210:211], v[88:89]
	v_add_f64 v[46:47], v[46:47], -v[86:87]
	v_fma_f64 v[210:211], v[212:213], v[218:219], v[210:211]
	v_add_f64 v[48:49], v[48:49], -v[210:211]
	ds_read2_b64 v[210:213], v1 offset0:82 offset1:83
	s_waitcnt lgkmcnt(0)
	v_mul_f64 v[86:87], v[212:213], v[88:89]
	v_fma_f64 v[86:87], v[210:211], v[218:219], -v[86:87]
	v_mul_f64 v[210:211], v[210:211], v[88:89]
	v_add_f64 v[42:43], v[42:43], -v[86:87]
	v_fma_f64 v[210:211], v[212:213], v[218:219], v[210:211]
	v_add_f64 v[44:45], v[44:45], -v[210:211]
	ds_read2_b64 v[210:213], v1 offset0:84 offset1:85
	s_waitcnt lgkmcnt(0)
	v_mul_f64 v[86:87], v[212:213], v[88:89]
	v_fma_f64 v[86:87], v[210:211], v[218:219], -v[86:87]
	v_mul_f64 v[210:211], v[210:211], v[88:89]
	v_add_f64 v[38:39], v[38:39], -v[86:87]
	v_fma_f64 v[210:211], v[212:213], v[218:219], v[210:211]
	v_add_f64 v[40:41], v[40:41], -v[210:211]
	ds_read2_b64 v[210:213], v1 offset0:86 offset1:87
	s_waitcnt lgkmcnt(0)
	v_mul_f64 v[86:87], v[212:213], v[88:89]
	v_fma_f64 v[86:87], v[210:211], v[218:219], -v[86:87]
	v_mul_f64 v[210:211], v[210:211], v[88:89]
	v_add_f64 v[34:35], v[34:35], -v[86:87]
	v_fma_f64 v[210:211], v[212:213], v[218:219], v[210:211]
	v_add_f64 v[36:37], v[36:37], -v[210:211]
	ds_read2_b64 v[210:213], v1 offset0:88 offset1:89
	s_waitcnt lgkmcnt(0)
	v_mul_f64 v[86:87], v[212:213], v[88:89]
	v_fma_f64 v[86:87], v[210:211], v[218:219], -v[86:87]
	v_mul_f64 v[210:211], v[210:211], v[88:89]
	v_add_f64 v[30:31], v[30:31], -v[86:87]
	v_fma_f64 v[210:211], v[212:213], v[218:219], v[210:211]
	v_add_f64 v[32:33], v[32:33], -v[210:211]
	ds_read2_b64 v[210:213], v1 offset0:90 offset1:91
	s_waitcnt lgkmcnt(0)
	v_mul_f64 v[86:87], v[212:213], v[88:89]
	v_fma_f64 v[86:87], v[210:211], v[218:219], -v[86:87]
	v_mul_f64 v[210:211], v[210:211], v[88:89]
	v_add_f64 v[26:27], v[26:27], -v[86:87]
	v_fma_f64 v[210:211], v[212:213], v[218:219], v[210:211]
	v_add_f64 v[28:29], v[28:29], -v[210:211]
	ds_read2_b64 v[210:213], v1 offset0:92 offset1:93
	s_waitcnt lgkmcnt(0)
	v_mul_f64 v[86:87], v[212:213], v[88:89]
	v_fma_f64 v[86:87], v[210:211], v[218:219], -v[86:87]
	v_mul_f64 v[210:211], v[210:211], v[88:89]
	v_add_f64 v[22:23], v[22:23], -v[86:87]
	v_fma_f64 v[210:211], v[212:213], v[218:219], v[210:211]
	v_add_f64 v[24:25], v[24:25], -v[210:211]
	ds_read2_b64 v[210:213], v1 offset0:94 offset1:95
	s_waitcnt lgkmcnt(0)
	v_mul_f64 v[86:87], v[212:213], v[88:89]
	v_fma_f64 v[86:87], v[210:211], v[218:219], -v[86:87]
	v_mul_f64 v[210:211], v[210:211], v[88:89]
	v_add_f64 v[18:19], v[18:19], -v[86:87]
	v_fma_f64 v[210:211], v[212:213], v[218:219], v[210:211]
	v_add_f64 v[20:21], v[20:21], -v[210:211]
	ds_read2_b64 v[210:213], v1 offset0:96 offset1:97
	s_waitcnt lgkmcnt(0)
	v_mul_f64 v[86:87], v[212:213], v[88:89]
	v_fma_f64 v[86:87], v[210:211], v[218:219], -v[86:87]
	v_mul_f64 v[210:211], v[210:211], v[88:89]
	v_add_f64 v[14:15], v[14:15], -v[86:87]
	v_fma_f64 v[210:211], v[212:213], v[218:219], v[210:211]
	v_add_f64 v[16:17], v[16:17], -v[210:211]
	ds_read2_b64 v[210:213], v1 offset0:98 offset1:99
	s_waitcnt lgkmcnt(0)
	v_mul_f64 v[86:87], v[212:213], v[88:89]
	v_fma_f64 v[86:87], v[210:211], v[218:219], -v[86:87]
	v_mul_f64 v[210:211], v[210:211], v[88:89]
	v_add_f64 v[10:11], v[10:11], -v[86:87]
	v_fma_f64 v[210:211], v[212:213], v[218:219], v[210:211]
	v_add_f64 v[12:13], v[12:13], -v[210:211]
	ds_read2_b64 v[210:213], v1 offset0:100 offset1:101
	s_waitcnt lgkmcnt(0)
	v_mul_f64 v[86:87], v[212:213], v[88:89]
	v_fma_f64 v[86:87], v[210:211], v[218:219], -v[86:87]
	v_mul_f64 v[210:211], v[210:211], v[88:89]
	v_add_f64 v[6:7], v[6:7], -v[86:87]
	v_fma_f64 v[210:211], v[212:213], v[218:219], v[210:211]
	v_add_f64 v[8:9], v[8:9], -v[210:211]
	ds_read2_b64 v[210:213], v1 offset0:102 offset1:103
	s_waitcnt lgkmcnt(0)
	v_mul_f64 v[86:87], v[212:213], v[88:89]
	v_fma_f64 v[86:87], v[210:211], v[218:219], -v[86:87]
	v_mul_f64 v[210:211], v[210:211], v[88:89]
	v_add_f64 v[2:3], v[2:3], -v[86:87]
	v_fma_f64 v[210:211], v[212:213], v[218:219], v[210:211]
	v_mov_b32_e32 v86, v218
	v_mov_b32_e32 v87, v219
	v_add_f64 v[4:5], v[4:5], -v[210:211]
.LBB102_650:
	s_or_b32 exec_lo, exec_lo, s0
	v_lshl_add_u32 v210, v224, 4, v1
	s_barrier
	buffer_gl0_inv
	v_mov_b32_e32 v218, 31
	ds_write2_b64 v210, v[82:83], v[84:85] offset1:1
	s_waitcnt lgkmcnt(0)
	s_barrier
	buffer_gl0_inv
	ds_read2_b64 v[210:213], v1 offset0:62 offset1:63
	s_cmp_lt_i32 s8, 33
	s_cbranch_scc1 .LBB102_653
; %bb.651:
	v_add3_u32 v219, v220, 0, 0x200
	v_mov_b32_e32 v218, 31
	s_mov_b32 s1, 32
	s_inst_prefetch 0x1
	.p2align	6
.LBB102_652:                            ; =>This Inner Loop Header: Depth=1
	s_waitcnt lgkmcnt(0)
	v_cmp_gt_f64_e32 vcc_lo, 0, v[212:213]
	v_cmp_gt_f64_e64 s0, 0, v[210:211]
	ds_read2_b64 v[225:228], v219 offset1:1
	v_xor_b32_e32 v230, 0x80000000, v211
	v_xor_b32_e32 v232, 0x80000000, v213
	v_mov_b32_e32 v229, v210
	v_mov_b32_e32 v231, v212
	v_add_nc_u32_e32 v219, 16, v219
	s_waitcnt lgkmcnt(0)
	v_xor_b32_e32 v234, 0x80000000, v228
	v_cndmask_b32_e64 v230, v211, v230, s0
	v_cndmask_b32_e32 v232, v213, v232, vcc_lo
	v_cmp_gt_f64_e32 vcc_lo, 0, v[227:228]
	v_cmp_gt_f64_e64 s0, 0, v[225:226]
	v_mov_b32_e32 v233, v227
	v_add_f64 v[229:230], v[229:230], v[231:232]
	v_xor_b32_e32 v232, 0x80000000, v226
	v_mov_b32_e32 v231, v225
	v_cndmask_b32_e32 v234, v228, v234, vcc_lo
	v_cndmask_b32_e64 v232, v226, v232, s0
	v_add_f64 v[231:232], v[231:232], v[233:234]
	v_cmp_lt_f64_e32 vcc_lo, v[229:230], v[231:232]
	v_cndmask_b32_e32 v211, v211, v226, vcc_lo
	v_cndmask_b32_e32 v210, v210, v225, vcc_lo
	;; [unrolled: 1-line block ×4, first 2 shown]
	v_cndmask_b32_e64 v218, v218, s1, vcc_lo
	s_add_i32 s1, s1, 1
	s_cmp_lg_u32 s8, s1
	s_cbranch_scc1 .LBB102_652
.LBB102_653:
	s_inst_prefetch 0x2
	s_waitcnt lgkmcnt(0)
	v_cmp_eq_f64_e32 vcc_lo, 0, v[210:211]
	v_cmp_eq_f64_e64 s0, 0, v[212:213]
	s_and_b32 s0, vcc_lo, s0
	s_and_saveexec_b32 s1, s0
	s_xor_b32 s0, exec_lo, s1
; %bb.654:
	v_cmp_ne_u32_e32 vcc_lo, 0, v223
	v_cndmask_b32_e32 v223, 32, v223, vcc_lo
; %bb.655:
	s_andn2_saveexec_b32 s0, s0
	s_cbranch_execz .LBB102_661
; %bb.656:
	v_cmp_ngt_f64_e64 s1, |v[210:211]|, |v[212:213]|
	s_and_saveexec_b32 s7, s1
	s_xor_b32 s1, exec_lo, s7
	s_cbranch_execz .LBB102_658
; %bb.657:
	v_div_scale_f64 v[225:226], null, v[212:213], v[212:213], v[210:211]
	v_div_scale_f64 v[231:232], vcc_lo, v[210:211], v[212:213], v[210:211]
	v_rcp_f64_e32 v[227:228], v[225:226]
	v_fma_f64 v[229:230], -v[225:226], v[227:228], 1.0
	v_fma_f64 v[227:228], v[227:228], v[229:230], v[227:228]
	v_fma_f64 v[229:230], -v[225:226], v[227:228], 1.0
	v_fma_f64 v[227:228], v[227:228], v[229:230], v[227:228]
	v_mul_f64 v[229:230], v[231:232], v[227:228]
	v_fma_f64 v[225:226], -v[225:226], v[229:230], v[231:232]
	v_div_fmas_f64 v[225:226], v[225:226], v[227:228], v[229:230]
	v_div_fixup_f64 v[225:226], v[225:226], v[212:213], v[210:211]
	v_fma_f64 v[210:211], v[210:211], v[225:226], v[212:213]
	v_div_scale_f64 v[212:213], null, v[210:211], v[210:211], 1.0
	v_rcp_f64_e32 v[227:228], v[212:213]
	v_fma_f64 v[229:230], -v[212:213], v[227:228], 1.0
	v_fma_f64 v[227:228], v[227:228], v[229:230], v[227:228]
	v_fma_f64 v[229:230], -v[212:213], v[227:228], 1.0
	v_fma_f64 v[227:228], v[227:228], v[229:230], v[227:228]
	v_div_scale_f64 v[229:230], vcc_lo, 1.0, v[210:211], 1.0
	v_mul_f64 v[231:232], v[229:230], v[227:228]
	v_fma_f64 v[212:213], -v[212:213], v[231:232], v[229:230]
	v_div_fmas_f64 v[212:213], v[212:213], v[227:228], v[231:232]
	v_div_fixup_f64 v[212:213], v[212:213], v[210:211], 1.0
	v_mul_f64 v[210:211], v[225:226], v[212:213]
	v_xor_b32_e32 v213, 0x80000000, v213
.LBB102_658:
	s_andn2_saveexec_b32 s1, s1
	s_cbranch_execz .LBB102_660
; %bb.659:
	v_div_scale_f64 v[225:226], null, v[210:211], v[210:211], v[212:213]
	v_div_scale_f64 v[231:232], vcc_lo, v[212:213], v[210:211], v[212:213]
	v_rcp_f64_e32 v[227:228], v[225:226]
	v_fma_f64 v[229:230], -v[225:226], v[227:228], 1.0
	v_fma_f64 v[227:228], v[227:228], v[229:230], v[227:228]
	v_fma_f64 v[229:230], -v[225:226], v[227:228], 1.0
	v_fma_f64 v[227:228], v[227:228], v[229:230], v[227:228]
	v_mul_f64 v[229:230], v[231:232], v[227:228]
	v_fma_f64 v[225:226], -v[225:226], v[229:230], v[231:232]
	v_div_fmas_f64 v[225:226], v[225:226], v[227:228], v[229:230]
	v_div_fixup_f64 v[225:226], v[225:226], v[210:211], v[212:213]
	v_fma_f64 v[210:211], v[212:213], v[225:226], v[210:211]
	v_div_scale_f64 v[212:213], null, v[210:211], v[210:211], 1.0
	v_rcp_f64_e32 v[227:228], v[212:213]
	v_fma_f64 v[229:230], -v[212:213], v[227:228], 1.0
	v_fma_f64 v[227:228], v[227:228], v[229:230], v[227:228]
	v_fma_f64 v[229:230], -v[212:213], v[227:228], 1.0
	v_fma_f64 v[227:228], v[227:228], v[229:230], v[227:228]
	v_div_scale_f64 v[229:230], vcc_lo, 1.0, v[210:211], 1.0
	v_mul_f64 v[231:232], v[229:230], v[227:228]
	v_fma_f64 v[212:213], -v[212:213], v[231:232], v[229:230]
	v_div_fmas_f64 v[212:213], v[212:213], v[227:228], v[231:232]
	v_div_fixup_f64 v[210:211], v[212:213], v[210:211], 1.0
	v_mul_f64 v[212:213], v[225:226], -v[210:211]
.LBB102_660:
	s_or_b32 exec_lo, exec_lo, s1
.LBB102_661:
	s_or_b32 exec_lo, exec_lo, s0
	s_mov_b32 s0, exec_lo
	v_cmpx_ne_u32_e64 v224, v218
	s_xor_b32 s0, exec_lo, s0
	s_cbranch_execz .LBB102_667
; %bb.662:
	s_mov_b32 s1, exec_lo
	v_cmpx_eq_u32_e32 31, v224
	s_cbranch_execz .LBB102_666
; %bb.663:
	v_cmp_ne_u32_e32 vcc_lo, 31, v218
	s_xor_b32 s7, s16, -1
	s_and_b32 s9, s7, vcc_lo
	s_and_saveexec_b32 s7, s9
	s_cbranch_execz .LBB102_665
; %bb.664:
	v_ashrrev_i32_e32 v219, 31, v218
	v_lshlrev_b64 v[224:225], 2, v[218:219]
	v_add_co_u32 v224, vcc_lo, v216, v224
	v_add_co_ci_u32_e64 v225, null, v217, v225, vcc_lo
	s_clause 0x1
	global_load_dword v0, v[224:225], off
	global_load_dword v219, v[216:217], off offset:124
	s_waitcnt vmcnt(1)
	global_store_dword v[216:217], v0, off offset:124
	s_waitcnt vmcnt(0)
	global_store_dword v[224:225], v219, off
.LBB102_665:
	s_or_b32 exec_lo, exec_lo, s7
	v_mov_b32_e32 v224, v218
	v_mov_b32_e32 v0, v218
.LBB102_666:
	s_or_b32 exec_lo, exec_lo, s1
.LBB102_667:
	s_andn2_saveexec_b32 s0, s0
	s_cbranch_execz .LBB102_669
; %bb.668:
	v_mov_b32_e32 v224, 31
	ds_write2_b64 v1, v[78:79], v[80:81] offset0:64 offset1:65
	ds_write2_b64 v1, v[74:75], v[76:77] offset0:66 offset1:67
	;; [unrolled: 1-line block ×20, first 2 shown]
.LBB102_669:
	s_or_b32 exec_lo, exec_lo, s0
	s_mov_b32 s0, exec_lo
	s_waitcnt lgkmcnt(0)
	s_waitcnt_vscnt null, 0x0
	s_barrier
	buffer_gl0_inv
	v_cmpx_lt_i32_e32 31, v224
	s_cbranch_execz .LBB102_671
; %bb.670:
	v_mul_f64 v[218:219], v[212:213], v[84:85]
	v_mul_f64 v[84:85], v[210:211], v[84:85]
	v_fma_f64 v[218:219], v[210:211], v[82:83], -v[218:219]
	v_fma_f64 v[84:85], v[212:213], v[82:83], v[84:85]
	ds_read2_b64 v[210:213], v1 offset0:64 offset1:65
	s_waitcnt lgkmcnt(0)
	v_mul_f64 v[82:83], v[212:213], v[84:85]
	v_fma_f64 v[82:83], v[210:211], v[218:219], -v[82:83]
	v_mul_f64 v[210:211], v[210:211], v[84:85]
	v_add_f64 v[78:79], v[78:79], -v[82:83]
	v_fma_f64 v[210:211], v[212:213], v[218:219], v[210:211]
	v_add_f64 v[80:81], v[80:81], -v[210:211]
	ds_read2_b64 v[210:213], v1 offset0:66 offset1:67
	s_waitcnt lgkmcnt(0)
	v_mul_f64 v[82:83], v[212:213], v[84:85]
	v_fma_f64 v[82:83], v[210:211], v[218:219], -v[82:83]
	v_mul_f64 v[210:211], v[210:211], v[84:85]
	v_add_f64 v[74:75], v[74:75], -v[82:83]
	v_fma_f64 v[210:211], v[212:213], v[218:219], v[210:211]
	v_add_f64 v[76:77], v[76:77], -v[210:211]
	ds_read2_b64 v[210:213], v1 offset0:68 offset1:69
	s_waitcnt lgkmcnt(0)
	v_mul_f64 v[82:83], v[212:213], v[84:85]
	v_fma_f64 v[82:83], v[210:211], v[218:219], -v[82:83]
	v_mul_f64 v[210:211], v[210:211], v[84:85]
	v_add_f64 v[70:71], v[70:71], -v[82:83]
	v_fma_f64 v[210:211], v[212:213], v[218:219], v[210:211]
	v_add_f64 v[72:73], v[72:73], -v[210:211]
	ds_read2_b64 v[210:213], v1 offset0:70 offset1:71
	s_waitcnt lgkmcnt(0)
	v_mul_f64 v[82:83], v[212:213], v[84:85]
	v_fma_f64 v[82:83], v[210:211], v[218:219], -v[82:83]
	v_mul_f64 v[210:211], v[210:211], v[84:85]
	v_add_f64 v[66:67], v[66:67], -v[82:83]
	v_fma_f64 v[210:211], v[212:213], v[218:219], v[210:211]
	v_add_f64 v[68:69], v[68:69], -v[210:211]
	ds_read2_b64 v[210:213], v1 offset0:72 offset1:73
	s_waitcnt lgkmcnt(0)
	v_mul_f64 v[82:83], v[212:213], v[84:85]
	v_fma_f64 v[82:83], v[210:211], v[218:219], -v[82:83]
	v_mul_f64 v[210:211], v[210:211], v[84:85]
	v_add_f64 v[62:63], v[62:63], -v[82:83]
	v_fma_f64 v[210:211], v[212:213], v[218:219], v[210:211]
	v_add_f64 v[64:65], v[64:65], -v[210:211]
	ds_read2_b64 v[210:213], v1 offset0:74 offset1:75
	s_waitcnt lgkmcnt(0)
	v_mul_f64 v[82:83], v[212:213], v[84:85]
	v_fma_f64 v[82:83], v[210:211], v[218:219], -v[82:83]
	v_mul_f64 v[210:211], v[210:211], v[84:85]
	v_add_f64 v[58:59], v[58:59], -v[82:83]
	v_fma_f64 v[210:211], v[212:213], v[218:219], v[210:211]
	v_add_f64 v[60:61], v[60:61], -v[210:211]
	ds_read2_b64 v[210:213], v1 offset0:76 offset1:77
	s_waitcnt lgkmcnt(0)
	v_mul_f64 v[82:83], v[212:213], v[84:85]
	v_fma_f64 v[82:83], v[210:211], v[218:219], -v[82:83]
	v_mul_f64 v[210:211], v[210:211], v[84:85]
	v_add_f64 v[54:55], v[54:55], -v[82:83]
	v_fma_f64 v[210:211], v[212:213], v[218:219], v[210:211]
	v_add_f64 v[56:57], v[56:57], -v[210:211]
	ds_read2_b64 v[210:213], v1 offset0:78 offset1:79
	s_waitcnt lgkmcnt(0)
	v_mul_f64 v[82:83], v[212:213], v[84:85]
	v_fma_f64 v[82:83], v[210:211], v[218:219], -v[82:83]
	v_mul_f64 v[210:211], v[210:211], v[84:85]
	v_add_f64 v[50:51], v[50:51], -v[82:83]
	v_fma_f64 v[210:211], v[212:213], v[218:219], v[210:211]
	v_add_f64 v[52:53], v[52:53], -v[210:211]
	ds_read2_b64 v[210:213], v1 offset0:80 offset1:81
	s_waitcnt lgkmcnt(0)
	v_mul_f64 v[82:83], v[212:213], v[84:85]
	v_fma_f64 v[82:83], v[210:211], v[218:219], -v[82:83]
	v_mul_f64 v[210:211], v[210:211], v[84:85]
	v_add_f64 v[46:47], v[46:47], -v[82:83]
	v_fma_f64 v[210:211], v[212:213], v[218:219], v[210:211]
	v_add_f64 v[48:49], v[48:49], -v[210:211]
	ds_read2_b64 v[210:213], v1 offset0:82 offset1:83
	s_waitcnt lgkmcnt(0)
	v_mul_f64 v[82:83], v[212:213], v[84:85]
	v_fma_f64 v[82:83], v[210:211], v[218:219], -v[82:83]
	v_mul_f64 v[210:211], v[210:211], v[84:85]
	v_add_f64 v[42:43], v[42:43], -v[82:83]
	v_fma_f64 v[210:211], v[212:213], v[218:219], v[210:211]
	v_add_f64 v[44:45], v[44:45], -v[210:211]
	ds_read2_b64 v[210:213], v1 offset0:84 offset1:85
	s_waitcnt lgkmcnt(0)
	v_mul_f64 v[82:83], v[212:213], v[84:85]
	v_fma_f64 v[82:83], v[210:211], v[218:219], -v[82:83]
	v_mul_f64 v[210:211], v[210:211], v[84:85]
	v_add_f64 v[38:39], v[38:39], -v[82:83]
	v_fma_f64 v[210:211], v[212:213], v[218:219], v[210:211]
	v_add_f64 v[40:41], v[40:41], -v[210:211]
	ds_read2_b64 v[210:213], v1 offset0:86 offset1:87
	s_waitcnt lgkmcnt(0)
	v_mul_f64 v[82:83], v[212:213], v[84:85]
	v_fma_f64 v[82:83], v[210:211], v[218:219], -v[82:83]
	v_mul_f64 v[210:211], v[210:211], v[84:85]
	v_add_f64 v[34:35], v[34:35], -v[82:83]
	v_fma_f64 v[210:211], v[212:213], v[218:219], v[210:211]
	v_add_f64 v[36:37], v[36:37], -v[210:211]
	ds_read2_b64 v[210:213], v1 offset0:88 offset1:89
	s_waitcnt lgkmcnt(0)
	v_mul_f64 v[82:83], v[212:213], v[84:85]
	v_fma_f64 v[82:83], v[210:211], v[218:219], -v[82:83]
	v_mul_f64 v[210:211], v[210:211], v[84:85]
	v_add_f64 v[30:31], v[30:31], -v[82:83]
	v_fma_f64 v[210:211], v[212:213], v[218:219], v[210:211]
	v_add_f64 v[32:33], v[32:33], -v[210:211]
	ds_read2_b64 v[210:213], v1 offset0:90 offset1:91
	s_waitcnt lgkmcnt(0)
	v_mul_f64 v[82:83], v[212:213], v[84:85]
	v_fma_f64 v[82:83], v[210:211], v[218:219], -v[82:83]
	v_mul_f64 v[210:211], v[210:211], v[84:85]
	v_add_f64 v[26:27], v[26:27], -v[82:83]
	v_fma_f64 v[210:211], v[212:213], v[218:219], v[210:211]
	v_add_f64 v[28:29], v[28:29], -v[210:211]
	ds_read2_b64 v[210:213], v1 offset0:92 offset1:93
	s_waitcnt lgkmcnt(0)
	v_mul_f64 v[82:83], v[212:213], v[84:85]
	v_fma_f64 v[82:83], v[210:211], v[218:219], -v[82:83]
	v_mul_f64 v[210:211], v[210:211], v[84:85]
	v_add_f64 v[22:23], v[22:23], -v[82:83]
	v_fma_f64 v[210:211], v[212:213], v[218:219], v[210:211]
	v_add_f64 v[24:25], v[24:25], -v[210:211]
	ds_read2_b64 v[210:213], v1 offset0:94 offset1:95
	s_waitcnt lgkmcnt(0)
	v_mul_f64 v[82:83], v[212:213], v[84:85]
	v_fma_f64 v[82:83], v[210:211], v[218:219], -v[82:83]
	v_mul_f64 v[210:211], v[210:211], v[84:85]
	v_add_f64 v[18:19], v[18:19], -v[82:83]
	v_fma_f64 v[210:211], v[212:213], v[218:219], v[210:211]
	v_add_f64 v[20:21], v[20:21], -v[210:211]
	ds_read2_b64 v[210:213], v1 offset0:96 offset1:97
	s_waitcnt lgkmcnt(0)
	v_mul_f64 v[82:83], v[212:213], v[84:85]
	v_fma_f64 v[82:83], v[210:211], v[218:219], -v[82:83]
	v_mul_f64 v[210:211], v[210:211], v[84:85]
	v_add_f64 v[14:15], v[14:15], -v[82:83]
	v_fma_f64 v[210:211], v[212:213], v[218:219], v[210:211]
	v_add_f64 v[16:17], v[16:17], -v[210:211]
	ds_read2_b64 v[210:213], v1 offset0:98 offset1:99
	s_waitcnt lgkmcnt(0)
	v_mul_f64 v[82:83], v[212:213], v[84:85]
	v_fma_f64 v[82:83], v[210:211], v[218:219], -v[82:83]
	v_mul_f64 v[210:211], v[210:211], v[84:85]
	v_add_f64 v[10:11], v[10:11], -v[82:83]
	v_fma_f64 v[210:211], v[212:213], v[218:219], v[210:211]
	v_add_f64 v[12:13], v[12:13], -v[210:211]
	ds_read2_b64 v[210:213], v1 offset0:100 offset1:101
	s_waitcnt lgkmcnt(0)
	v_mul_f64 v[82:83], v[212:213], v[84:85]
	v_fma_f64 v[82:83], v[210:211], v[218:219], -v[82:83]
	v_mul_f64 v[210:211], v[210:211], v[84:85]
	v_add_f64 v[6:7], v[6:7], -v[82:83]
	v_fma_f64 v[210:211], v[212:213], v[218:219], v[210:211]
	v_add_f64 v[8:9], v[8:9], -v[210:211]
	ds_read2_b64 v[210:213], v1 offset0:102 offset1:103
	s_waitcnt lgkmcnt(0)
	v_mul_f64 v[82:83], v[212:213], v[84:85]
	v_fma_f64 v[82:83], v[210:211], v[218:219], -v[82:83]
	v_mul_f64 v[210:211], v[210:211], v[84:85]
	v_add_f64 v[2:3], v[2:3], -v[82:83]
	v_fma_f64 v[210:211], v[212:213], v[218:219], v[210:211]
	v_mov_b32_e32 v82, v218
	v_mov_b32_e32 v83, v219
	v_add_f64 v[4:5], v[4:5], -v[210:211]
.LBB102_671:
	s_or_b32 exec_lo, exec_lo, s0
	v_lshl_add_u32 v210, v224, 4, v1
	s_barrier
	buffer_gl0_inv
	v_mov_b32_e32 v218, 32
	ds_write2_b64 v210, v[78:79], v[80:81] offset1:1
	s_waitcnt lgkmcnt(0)
	s_barrier
	buffer_gl0_inv
	ds_read2_b64 v[210:213], v1 offset0:64 offset1:65
	s_cmp_lt_i32 s8, 34
	s_cbranch_scc1 .LBB102_674
; %bb.672:
	v_add3_u32 v219, v220, 0, 0x210
	v_mov_b32_e32 v218, 32
	s_mov_b32 s1, 33
	s_inst_prefetch 0x1
	.p2align	6
.LBB102_673:                            ; =>This Inner Loop Header: Depth=1
	s_waitcnt lgkmcnt(0)
	v_cmp_gt_f64_e32 vcc_lo, 0, v[212:213]
	v_cmp_gt_f64_e64 s0, 0, v[210:211]
	ds_read2_b64 v[225:228], v219 offset1:1
	v_xor_b32_e32 v230, 0x80000000, v211
	v_xor_b32_e32 v232, 0x80000000, v213
	v_mov_b32_e32 v229, v210
	v_mov_b32_e32 v231, v212
	v_add_nc_u32_e32 v219, 16, v219
	s_waitcnt lgkmcnt(0)
	v_xor_b32_e32 v234, 0x80000000, v228
	v_cndmask_b32_e64 v230, v211, v230, s0
	v_cndmask_b32_e32 v232, v213, v232, vcc_lo
	v_cmp_gt_f64_e32 vcc_lo, 0, v[227:228]
	v_cmp_gt_f64_e64 s0, 0, v[225:226]
	v_mov_b32_e32 v233, v227
	v_add_f64 v[229:230], v[229:230], v[231:232]
	v_xor_b32_e32 v232, 0x80000000, v226
	v_mov_b32_e32 v231, v225
	v_cndmask_b32_e32 v234, v228, v234, vcc_lo
	v_cndmask_b32_e64 v232, v226, v232, s0
	v_add_f64 v[231:232], v[231:232], v[233:234]
	v_cmp_lt_f64_e32 vcc_lo, v[229:230], v[231:232]
	v_cndmask_b32_e32 v211, v211, v226, vcc_lo
	v_cndmask_b32_e32 v210, v210, v225, vcc_lo
	;; [unrolled: 1-line block ×4, first 2 shown]
	v_cndmask_b32_e64 v218, v218, s1, vcc_lo
	s_add_i32 s1, s1, 1
	s_cmp_lg_u32 s8, s1
	s_cbranch_scc1 .LBB102_673
.LBB102_674:
	s_inst_prefetch 0x2
	s_waitcnt lgkmcnt(0)
	v_cmp_eq_f64_e32 vcc_lo, 0, v[210:211]
	v_cmp_eq_f64_e64 s0, 0, v[212:213]
	s_and_b32 s0, vcc_lo, s0
	s_and_saveexec_b32 s1, s0
	s_xor_b32 s0, exec_lo, s1
; %bb.675:
	v_cmp_ne_u32_e32 vcc_lo, 0, v223
	v_cndmask_b32_e32 v223, 33, v223, vcc_lo
; %bb.676:
	s_andn2_saveexec_b32 s0, s0
	s_cbranch_execz .LBB102_682
; %bb.677:
	v_cmp_ngt_f64_e64 s1, |v[210:211]|, |v[212:213]|
	s_and_saveexec_b32 s7, s1
	s_xor_b32 s1, exec_lo, s7
	s_cbranch_execz .LBB102_679
; %bb.678:
	v_div_scale_f64 v[225:226], null, v[212:213], v[212:213], v[210:211]
	v_div_scale_f64 v[231:232], vcc_lo, v[210:211], v[212:213], v[210:211]
	v_rcp_f64_e32 v[227:228], v[225:226]
	v_fma_f64 v[229:230], -v[225:226], v[227:228], 1.0
	v_fma_f64 v[227:228], v[227:228], v[229:230], v[227:228]
	v_fma_f64 v[229:230], -v[225:226], v[227:228], 1.0
	v_fma_f64 v[227:228], v[227:228], v[229:230], v[227:228]
	v_mul_f64 v[229:230], v[231:232], v[227:228]
	v_fma_f64 v[225:226], -v[225:226], v[229:230], v[231:232]
	v_div_fmas_f64 v[225:226], v[225:226], v[227:228], v[229:230]
	v_div_fixup_f64 v[225:226], v[225:226], v[212:213], v[210:211]
	v_fma_f64 v[210:211], v[210:211], v[225:226], v[212:213]
	v_div_scale_f64 v[212:213], null, v[210:211], v[210:211], 1.0
	v_rcp_f64_e32 v[227:228], v[212:213]
	v_fma_f64 v[229:230], -v[212:213], v[227:228], 1.0
	v_fma_f64 v[227:228], v[227:228], v[229:230], v[227:228]
	v_fma_f64 v[229:230], -v[212:213], v[227:228], 1.0
	v_fma_f64 v[227:228], v[227:228], v[229:230], v[227:228]
	v_div_scale_f64 v[229:230], vcc_lo, 1.0, v[210:211], 1.0
	v_mul_f64 v[231:232], v[229:230], v[227:228]
	v_fma_f64 v[212:213], -v[212:213], v[231:232], v[229:230]
	v_div_fmas_f64 v[212:213], v[212:213], v[227:228], v[231:232]
	v_div_fixup_f64 v[212:213], v[212:213], v[210:211], 1.0
	v_mul_f64 v[210:211], v[225:226], v[212:213]
	v_xor_b32_e32 v213, 0x80000000, v213
.LBB102_679:
	s_andn2_saveexec_b32 s1, s1
	s_cbranch_execz .LBB102_681
; %bb.680:
	v_div_scale_f64 v[225:226], null, v[210:211], v[210:211], v[212:213]
	v_div_scale_f64 v[231:232], vcc_lo, v[212:213], v[210:211], v[212:213]
	v_rcp_f64_e32 v[227:228], v[225:226]
	v_fma_f64 v[229:230], -v[225:226], v[227:228], 1.0
	v_fma_f64 v[227:228], v[227:228], v[229:230], v[227:228]
	v_fma_f64 v[229:230], -v[225:226], v[227:228], 1.0
	v_fma_f64 v[227:228], v[227:228], v[229:230], v[227:228]
	v_mul_f64 v[229:230], v[231:232], v[227:228]
	v_fma_f64 v[225:226], -v[225:226], v[229:230], v[231:232]
	v_div_fmas_f64 v[225:226], v[225:226], v[227:228], v[229:230]
	v_div_fixup_f64 v[225:226], v[225:226], v[210:211], v[212:213]
	v_fma_f64 v[210:211], v[212:213], v[225:226], v[210:211]
	v_div_scale_f64 v[212:213], null, v[210:211], v[210:211], 1.0
	v_rcp_f64_e32 v[227:228], v[212:213]
	v_fma_f64 v[229:230], -v[212:213], v[227:228], 1.0
	v_fma_f64 v[227:228], v[227:228], v[229:230], v[227:228]
	v_fma_f64 v[229:230], -v[212:213], v[227:228], 1.0
	v_fma_f64 v[227:228], v[227:228], v[229:230], v[227:228]
	v_div_scale_f64 v[229:230], vcc_lo, 1.0, v[210:211], 1.0
	v_mul_f64 v[231:232], v[229:230], v[227:228]
	v_fma_f64 v[212:213], -v[212:213], v[231:232], v[229:230]
	v_div_fmas_f64 v[212:213], v[212:213], v[227:228], v[231:232]
	v_div_fixup_f64 v[210:211], v[212:213], v[210:211], 1.0
	v_mul_f64 v[212:213], v[225:226], -v[210:211]
.LBB102_681:
	s_or_b32 exec_lo, exec_lo, s1
.LBB102_682:
	s_or_b32 exec_lo, exec_lo, s0
	s_mov_b32 s0, exec_lo
	v_cmpx_ne_u32_e64 v224, v218
	s_xor_b32 s0, exec_lo, s0
	s_cbranch_execz .LBB102_688
; %bb.683:
	s_mov_b32 s1, exec_lo
	v_cmpx_eq_u32_e32 32, v224
	s_cbranch_execz .LBB102_687
; %bb.684:
	v_cmp_ne_u32_e32 vcc_lo, 32, v218
	s_xor_b32 s7, s16, -1
	s_and_b32 s9, s7, vcc_lo
	s_and_saveexec_b32 s7, s9
	s_cbranch_execz .LBB102_686
; %bb.685:
	v_ashrrev_i32_e32 v219, 31, v218
	v_lshlrev_b64 v[224:225], 2, v[218:219]
	v_add_co_u32 v224, vcc_lo, v216, v224
	v_add_co_ci_u32_e64 v225, null, v217, v225, vcc_lo
	s_clause 0x1
	global_load_dword v0, v[224:225], off
	global_load_dword v219, v[216:217], off offset:128
	s_waitcnt vmcnt(1)
	global_store_dword v[216:217], v0, off offset:128
	s_waitcnt vmcnt(0)
	global_store_dword v[224:225], v219, off
.LBB102_686:
	s_or_b32 exec_lo, exec_lo, s7
	v_mov_b32_e32 v224, v218
	v_mov_b32_e32 v0, v218
.LBB102_687:
	s_or_b32 exec_lo, exec_lo, s1
.LBB102_688:
	s_andn2_saveexec_b32 s0, s0
	s_cbranch_execz .LBB102_690
; %bb.689:
	v_mov_b32_e32 v224, 32
	ds_write2_b64 v1, v[74:75], v[76:77] offset0:66 offset1:67
	ds_write2_b64 v1, v[70:71], v[72:73] offset0:68 offset1:69
	;; [unrolled: 1-line block ×19, first 2 shown]
.LBB102_690:
	s_or_b32 exec_lo, exec_lo, s0
	s_mov_b32 s0, exec_lo
	s_waitcnt lgkmcnt(0)
	s_waitcnt_vscnt null, 0x0
	s_barrier
	buffer_gl0_inv
	v_cmpx_lt_i32_e32 32, v224
	s_cbranch_execz .LBB102_692
; %bb.691:
	v_mul_f64 v[218:219], v[212:213], v[80:81]
	v_mul_f64 v[80:81], v[210:211], v[80:81]
	v_fma_f64 v[218:219], v[210:211], v[78:79], -v[218:219]
	v_fma_f64 v[80:81], v[212:213], v[78:79], v[80:81]
	ds_read2_b64 v[210:213], v1 offset0:66 offset1:67
	s_waitcnt lgkmcnt(0)
	v_mul_f64 v[78:79], v[212:213], v[80:81]
	v_fma_f64 v[78:79], v[210:211], v[218:219], -v[78:79]
	v_mul_f64 v[210:211], v[210:211], v[80:81]
	v_add_f64 v[74:75], v[74:75], -v[78:79]
	v_fma_f64 v[210:211], v[212:213], v[218:219], v[210:211]
	v_add_f64 v[76:77], v[76:77], -v[210:211]
	ds_read2_b64 v[210:213], v1 offset0:68 offset1:69
	s_waitcnt lgkmcnt(0)
	v_mul_f64 v[78:79], v[212:213], v[80:81]
	v_fma_f64 v[78:79], v[210:211], v[218:219], -v[78:79]
	v_mul_f64 v[210:211], v[210:211], v[80:81]
	v_add_f64 v[70:71], v[70:71], -v[78:79]
	v_fma_f64 v[210:211], v[212:213], v[218:219], v[210:211]
	v_add_f64 v[72:73], v[72:73], -v[210:211]
	;; [unrolled: 8-line block ×18, first 2 shown]
	ds_read2_b64 v[210:213], v1 offset0:102 offset1:103
	s_waitcnt lgkmcnt(0)
	v_mul_f64 v[78:79], v[212:213], v[80:81]
	v_fma_f64 v[78:79], v[210:211], v[218:219], -v[78:79]
	v_mul_f64 v[210:211], v[210:211], v[80:81]
	v_add_f64 v[2:3], v[2:3], -v[78:79]
	v_fma_f64 v[210:211], v[212:213], v[218:219], v[210:211]
	v_mov_b32_e32 v78, v218
	v_mov_b32_e32 v79, v219
	v_add_f64 v[4:5], v[4:5], -v[210:211]
.LBB102_692:
	s_or_b32 exec_lo, exec_lo, s0
	v_lshl_add_u32 v210, v224, 4, v1
	s_barrier
	buffer_gl0_inv
	v_mov_b32_e32 v218, 33
	ds_write2_b64 v210, v[74:75], v[76:77] offset1:1
	s_waitcnt lgkmcnt(0)
	s_barrier
	buffer_gl0_inv
	ds_read2_b64 v[210:213], v1 offset0:66 offset1:67
	s_cmp_lt_i32 s8, 35
	s_cbranch_scc1 .LBB102_695
; %bb.693:
	v_add3_u32 v219, v220, 0, 0x220
	v_mov_b32_e32 v218, 33
	s_mov_b32 s1, 34
	s_inst_prefetch 0x1
	.p2align	6
.LBB102_694:                            ; =>This Inner Loop Header: Depth=1
	s_waitcnt lgkmcnt(0)
	v_cmp_gt_f64_e32 vcc_lo, 0, v[212:213]
	v_cmp_gt_f64_e64 s0, 0, v[210:211]
	ds_read2_b64 v[225:228], v219 offset1:1
	v_xor_b32_e32 v230, 0x80000000, v211
	v_xor_b32_e32 v232, 0x80000000, v213
	v_mov_b32_e32 v229, v210
	v_mov_b32_e32 v231, v212
	v_add_nc_u32_e32 v219, 16, v219
	s_waitcnt lgkmcnt(0)
	v_xor_b32_e32 v234, 0x80000000, v228
	v_cndmask_b32_e64 v230, v211, v230, s0
	v_cndmask_b32_e32 v232, v213, v232, vcc_lo
	v_cmp_gt_f64_e32 vcc_lo, 0, v[227:228]
	v_cmp_gt_f64_e64 s0, 0, v[225:226]
	v_mov_b32_e32 v233, v227
	v_add_f64 v[229:230], v[229:230], v[231:232]
	v_xor_b32_e32 v232, 0x80000000, v226
	v_mov_b32_e32 v231, v225
	v_cndmask_b32_e32 v234, v228, v234, vcc_lo
	v_cndmask_b32_e64 v232, v226, v232, s0
	v_add_f64 v[231:232], v[231:232], v[233:234]
	v_cmp_lt_f64_e32 vcc_lo, v[229:230], v[231:232]
	v_cndmask_b32_e32 v211, v211, v226, vcc_lo
	v_cndmask_b32_e32 v210, v210, v225, vcc_lo
	;; [unrolled: 1-line block ×4, first 2 shown]
	v_cndmask_b32_e64 v218, v218, s1, vcc_lo
	s_add_i32 s1, s1, 1
	s_cmp_lg_u32 s8, s1
	s_cbranch_scc1 .LBB102_694
.LBB102_695:
	s_inst_prefetch 0x2
	s_waitcnt lgkmcnt(0)
	v_cmp_eq_f64_e32 vcc_lo, 0, v[210:211]
	v_cmp_eq_f64_e64 s0, 0, v[212:213]
	s_and_b32 s0, vcc_lo, s0
	s_and_saveexec_b32 s1, s0
	s_xor_b32 s0, exec_lo, s1
; %bb.696:
	v_cmp_ne_u32_e32 vcc_lo, 0, v223
	v_cndmask_b32_e32 v223, 34, v223, vcc_lo
; %bb.697:
	s_andn2_saveexec_b32 s0, s0
	s_cbranch_execz .LBB102_703
; %bb.698:
	v_cmp_ngt_f64_e64 s1, |v[210:211]|, |v[212:213]|
	s_and_saveexec_b32 s7, s1
	s_xor_b32 s1, exec_lo, s7
	s_cbranch_execz .LBB102_700
; %bb.699:
	v_div_scale_f64 v[225:226], null, v[212:213], v[212:213], v[210:211]
	v_div_scale_f64 v[231:232], vcc_lo, v[210:211], v[212:213], v[210:211]
	v_rcp_f64_e32 v[227:228], v[225:226]
	v_fma_f64 v[229:230], -v[225:226], v[227:228], 1.0
	v_fma_f64 v[227:228], v[227:228], v[229:230], v[227:228]
	v_fma_f64 v[229:230], -v[225:226], v[227:228], 1.0
	v_fma_f64 v[227:228], v[227:228], v[229:230], v[227:228]
	v_mul_f64 v[229:230], v[231:232], v[227:228]
	v_fma_f64 v[225:226], -v[225:226], v[229:230], v[231:232]
	v_div_fmas_f64 v[225:226], v[225:226], v[227:228], v[229:230]
	v_div_fixup_f64 v[225:226], v[225:226], v[212:213], v[210:211]
	v_fma_f64 v[210:211], v[210:211], v[225:226], v[212:213]
	v_div_scale_f64 v[212:213], null, v[210:211], v[210:211], 1.0
	v_rcp_f64_e32 v[227:228], v[212:213]
	v_fma_f64 v[229:230], -v[212:213], v[227:228], 1.0
	v_fma_f64 v[227:228], v[227:228], v[229:230], v[227:228]
	v_fma_f64 v[229:230], -v[212:213], v[227:228], 1.0
	v_fma_f64 v[227:228], v[227:228], v[229:230], v[227:228]
	v_div_scale_f64 v[229:230], vcc_lo, 1.0, v[210:211], 1.0
	v_mul_f64 v[231:232], v[229:230], v[227:228]
	v_fma_f64 v[212:213], -v[212:213], v[231:232], v[229:230]
	v_div_fmas_f64 v[212:213], v[212:213], v[227:228], v[231:232]
	v_div_fixup_f64 v[212:213], v[212:213], v[210:211], 1.0
	v_mul_f64 v[210:211], v[225:226], v[212:213]
	v_xor_b32_e32 v213, 0x80000000, v213
.LBB102_700:
	s_andn2_saveexec_b32 s1, s1
	s_cbranch_execz .LBB102_702
; %bb.701:
	v_div_scale_f64 v[225:226], null, v[210:211], v[210:211], v[212:213]
	v_div_scale_f64 v[231:232], vcc_lo, v[212:213], v[210:211], v[212:213]
	v_rcp_f64_e32 v[227:228], v[225:226]
	v_fma_f64 v[229:230], -v[225:226], v[227:228], 1.0
	v_fma_f64 v[227:228], v[227:228], v[229:230], v[227:228]
	v_fma_f64 v[229:230], -v[225:226], v[227:228], 1.0
	v_fma_f64 v[227:228], v[227:228], v[229:230], v[227:228]
	v_mul_f64 v[229:230], v[231:232], v[227:228]
	v_fma_f64 v[225:226], -v[225:226], v[229:230], v[231:232]
	v_div_fmas_f64 v[225:226], v[225:226], v[227:228], v[229:230]
	v_div_fixup_f64 v[225:226], v[225:226], v[210:211], v[212:213]
	v_fma_f64 v[210:211], v[212:213], v[225:226], v[210:211]
	v_div_scale_f64 v[212:213], null, v[210:211], v[210:211], 1.0
	v_rcp_f64_e32 v[227:228], v[212:213]
	v_fma_f64 v[229:230], -v[212:213], v[227:228], 1.0
	v_fma_f64 v[227:228], v[227:228], v[229:230], v[227:228]
	v_fma_f64 v[229:230], -v[212:213], v[227:228], 1.0
	v_fma_f64 v[227:228], v[227:228], v[229:230], v[227:228]
	v_div_scale_f64 v[229:230], vcc_lo, 1.0, v[210:211], 1.0
	v_mul_f64 v[231:232], v[229:230], v[227:228]
	v_fma_f64 v[212:213], -v[212:213], v[231:232], v[229:230]
	v_div_fmas_f64 v[212:213], v[212:213], v[227:228], v[231:232]
	v_div_fixup_f64 v[210:211], v[212:213], v[210:211], 1.0
	v_mul_f64 v[212:213], v[225:226], -v[210:211]
.LBB102_702:
	s_or_b32 exec_lo, exec_lo, s1
.LBB102_703:
	s_or_b32 exec_lo, exec_lo, s0
	s_mov_b32 s0, exec_lo
	v_cmpx_ne_u32_e64 v224, v218
	s_xor_b32 s0, exec_lo, s0
	s_cbranch_execz .LBB102_709
; %bb.704:
	s_mov_b32 s1, exec_lo
	v_cmpx_eq_u32_e32 33, v224
	s_cbranch_execz .LBB102_708
; %bb.705:
	v_cmp_ne_u32_e32 vcc_lo, 33, v218
	s_xor_b32 s7, s16, -1
	s_and_b32 s9, s7, vcc_lo
	s_and_saveexec_b32 s7, s9
	s_cbranch_execz .LBB102_707
; %bb.706:
	v_ashrrev_i32_e32 v219, 31, v218
	v_lshlrev_b64 v[224:225], 2, v[218:219]
	v_add_co_u32 v224, vcc_lo, v216, v224
	v_add_co_ci_u32_e64 v225, null, v217, v225, vcc_lo
	s_clause 0x1
	global_load_dword v0, v[224:225], off
	global_load_dword v219, v[216:217], off offset:132
	s_waitcnt vmcnt(1)
	global_store_dword v[216:217], v0, off offset:132
	s_waitcnt vmcnt(0)
	global_store_dword v[224:225], v219, off
.LBB102_707:
	s_or_b32 exec_lo, exec_lo, s7
	v_mov_b32_e32 v224, v218
	v_mov_b32_e32 v0, v218
.LBB102_708:
	s_or_b32 exec_lo, exec_lo, s1
.LBB102_709:
	s_andn2_saveexec_b32 s0, s0
	s_cbranch_execz .LBB102_711
; %bb.710:
	v_mov_b32_e32 v224, 33
	ds_write2_b64 v1, v[70:71], v[72:73] offset0:68 offset1:69
	ds_write2_b64 v1, v[66:67], v[68:69] offset0:70 offset1:71
	;; [unrolled: 1-line block ×18, first 2 shown]
.LBB102_711:
	s_or_b32 exec_lo, exec_lo, s0
	s_mov_b32 s0, exec_lo
	s_waitcnt lgkmcnt(0)
	s_waitcnt_vscnt null, 0x0
	s_barrier
	buffer_gl0_inv
	v_cmpx_lt_i32_e32 33, v224
	s_cbranch_execz .LBB102_713
; %bb.712:
	v_mul_f64 v[218:219], v[212:213], v[76:77]
	v_mul_f64 v[76:77], v[210:211], v[76:77]
	v_fma_f64 v[218:219], v[210:211], v[74:75], -v[218:219]
	v_fma_f64 v[76:77], v[212:213], v[74:75], v[76:77]
	ds_read2_b64 v[210:213], v1 offset0:68 offset1:69
	s_waitcnt lgkmcnt(0)
	v_mul_f64 v[74:75], v[212:213], v[76:77]
	v_fma_f64 v[74:75], v[210:211], v[218:219], -v[74:75]
	v_mul_f64 v[210:211], v[210:211], v[76:77]
	v_add_f64 v[70:71], v[70:71], -v[74:75]
	v_fma_f64 v[210:211], v[212:213], v[218:219], v[210:211]
	v_add_f64 v[72:73], v[72:73], -v[210:211]
	ds_read2_b64 v[210:213], v1 offset0:70 offset1:71
	s_waitcnt lgkmcnt(0)
	v_mul_f64 v[74:75], v[212:213], v[76:77]
	v_fma_f64 v[74:75], v[210:211], v[218:219], -v[74:75]
	v_mul_f64 v[210:211], v[210:211], v[76:77]
	v_add_f64 v[66:67], v[66:67], -v[74:75]
	v_fma_f64 v[210:211], v[212:213], v[218:219], v[210:211]
	v_add_f64 v[68:69], v[68:69], -v[210:211]
	;; [unrolled: 8-line block ×17, first 2 shown]
	ds_read2_b64 v[210:213], v1 offset0:102 offset1:103
	s_waitcnt lgkmcnt(0)
	v_mul_f64 v[74:75], v[212:213], v[76:77]
	v_fma_f64 v[74:75], v[210:211], v[218:219], -v[74:75]
	v_mul_f64 v[210:211], v[210:211], v[76:77]
	v_add_f64 v[2:3], v[2:3], -v[74:75]
	v_fma_f64 v[210:211], v[212:213], v[218:219], v[210:211]
	v_mov_b32_e32 v74, v218
	v_mov_b32_e32 v75, v219
	v_add_f64 v[4:5], v[4:5], -v[210:211]
.LBB102_713:
	s_or_b32 exec_lo, exec_lo, s0
	v_lshl_add_u32 v210, v224, 4, v1
	s_barrier
	buffer_gl0_inv
	v_mov_b32_e32 v218, 34
	ds_write2_b64 v210, v[70:71], v[72:73] offset1:1
	s_waitcnt lgkmcnt(0)
	s_barrier
	buffer_gl0_inv
	ds_read2_b64 v[210:213], v1 offset0:68 offset1:69
	s_cmp_lt_i32 s8, 36
	s_cbranch_scc1 .LBB102_716
; %bb.714:
	v_add3_u32 v219, v220, 0, 0x230
	v_mov_b32_e32 v218, 34
	s_mov_b32 s1, 35
	s_inst_prefetch 0x1
	.p2align	6
.LBB102_715:                            ; =>This Inner Loop Header: Depth=1
	s_waitcnt lgkmcnt(0)
	v_cmp_gt_f64_e32 vcc_lo, 0, v[212:213]
	v_cmp_gt_f64_e64 s0, 0, v[210:211]
	ds_read2_b64 v[225:228], v219 offset1:1
	v_xor_b32_e32 v230, 0x80000000, v211
	v_xor_b32_e32 v232, 0x80000000, v213
	v_mov_b32_e32 v229, v210
	v_mov_b32_e32 v231, v212
	v_add_nc_u32_e32 v219, 16, v219
	s_waitcnt lgkmcnt(0)
	v_xor_b32_e32 v234, 0x80000000, v228
	v_cndmask_b32_e64 v230, v211, v230, s0
	v_cndmask_b32_e32 v232, v213, v232, vcc_lo
	v_cmp_gt_f64_e32 vcc_lo, 0, v[227:228]
	v_cmp_gt_f64_e64 s0, 0, v[225:226]
	v_mov_b32_e32 v233, v227
	v_add_f64 v[229:230], v[229:230], v[231:232]
	v_xor_b32_e32 v232, 0x80000000, v226
	v_mov_b32_e32 v231, v225
	v_cndmask_b32_e32 v234, v228, v234, vcc_lo
	v_cndmask_b32_e64 v232, v226, v232, s0
	v_add_f64 v[231:232], v[231:232], v[233:234]
	v_cmp_lt_f64_e32 vcc_lo, v[229:230], v[231:232]
	v_cndmask_b32_e32 v211, v211, v226, vcc_lo
	v_cndmask_b32_e32 v210, v210, v225, vcc_lo
	;; [unrolled: 1-line block ×4, first 2 shown]
	v_cndmask_b32_e64 v218, v218, s1, vcc_lo
	s_add_i32 s1, s1, 1
	s_cmp_lg_u32 s8, s1
	s_cbranch_scc1 .LBB102_715
.LBB102_716:
	s_inst_prefetch 0x2
	s_waitcnt lgkmcnt(0)
	v_cmp_eq_f64_e32 vcc_lo, 0, v[210:211]
	v_cmp_eq_f64_e64 s0, 0, v[212:213]
	s_and_b32 s0, vcc_lo, s0
	s_and_saveexec_b32 s1, s0
	s_xor_b32 s0, exec_lo, s1
; %bb.717:
	v_cmp_ne_u32_e32 vcc_lo, 0, v223
	v_cndmask_b32_e32 v223, 35, v223, vcc_lo
; %bb.718:
	s_andn2_saveexec_b32 s0, s0
	s_cbranch_execz .LBB102_724
; %bb.719:
	v_cmp_ngt_f64_e64 s1, |v[210:211]|, |v[212:213]|
	s_and_saveexec_b32 s7, s1
	s_xor_b32 s1, exec_lo, s7
	s_cbranch_execz .LBB102_721
; %bb.720:
	v_div_scale_f64 v[225:226], null, v[212:213], v[212:213], v[210:211]
	v_div_scale_f64 v[231:232], vcc_lo, v[210:211], v[212:213], v[210:211]
	v_rcp_f64_e32 v[227:228], v[225:226]
	v_fma_f64 v[229:230], -v[225:226], v[227:228], 1.0
	v_fma_f64 v[227:228], v[227:228], v[229:230], v[227:228]
	v_fma_f64 v[229:230], -v[225:226], v[227:228], 1.0
	v_fma_f64 v[227:228], v[227:228], v[229:230], v[227:228]
	v_mul_f64 v[229:230], v[231:232], v[227:228]
	v_fma_f64 v[225:226], -v[225:226], v[229:230], v[231:232]
	v_div_fmas_f64 v[225:226], v[225:226], v[227:228], v[229:230]
	v_div_fixup_f64 v[225:226], v[225:226], v[212:213], v[210:211]
	v_fma_f64 v[210:211], v[210:211], v[225:226], v[212:213]
	v_div_scale_f64 v[212:213], null, v[210:211], v[210:211], 1.0
	v_rcp_f64_e32 v[227:228], v[212:213]
	v_fma_f64 v[229:230], -v[212:213], v[227:228], 1.0
	v_fma_f64 v[227:228], v[227:228], v[229:230], v[227:228]
	v_fma_f64 v[229:230], -v[212:213], v[227:228], 1.0
	v_fma_f64 v[227:228], v[227:228], v[229:230], v[227:228]
	v_div_scale_f64 v[229:230], vcc_lo, 1.0, v[210:211], 1.0
	v_mul_f64 v[231:232], v[229:230], v[227:228]
	v_fma_f64 v[212:213], -v[212:213], v[231:232], v[229:230]
	v_div_fmas_f64 v[212:213], v[212:213], v[227:228], v[231:232]
	v_div_fixup_f64 v[212:213], v[212:213], v[210:211], 1.0
	v_mul_f64 v[210:211], v[225:226], v[212:213]
	v_xor_b32_e32 v213, 0x80000000, v213
.LBB102_721:
	s_andn2_saveexec_b32 s1, s1
	s_cbranch_execz .LBB102_723
; %bb.722:
	v_div_scale_f64 v[225:226], null, v[210:211], v[210:211], v[212:213]
	v_div_scale_f64 v[231:232], vcc_lo, v[212:213], v[210:211], v[212:213]
	v_rcp_f64_e32 v[227:228], v[225:226]
	v_fma_f64 v[229:230], -v[225:226], v[227:228], 1.0
	v_fma_f64 v[227:228], v[227:228], v[229:230], v[227:228]
	v_fma_f64 v[229:230], -v[225:226], v[227:228], 1.0
	v_fma_f64 v[227:228], v[227:228], v[229:230], v[227:228]
	v_mul_f64 v[229:230], v[231:232], v[227:228]
	v_fma_f64 v[225:226], -v[225:226], v[229:230], v[231:232]
	v_div_fmas_f64 v[225:226], v[225:226], v[227:228], v[229:230]
	v_div_fixup_f64 v[225:226], v[225:226], v[210:211], v[212:213]
	v_fma_f64 v[210:211], v[212:213], v[225:226], v[210:211]
	v_div_scale_f64 v[212:213], null, v[210:211], v[210:211], 1.0
	v_rcp_f64_e32 v[227:228], v[212:213]
	v_fma_f64 v[229:230], -v[212:213], v[227:228], 1.0
	v_fma_f64 v[227:228], v[227:228], v[229:230], v[227:228]
	v_fma_f64 v[229:230], -v[212:213], v[227:228], 1.0
	v_fma_f64 v[227:228], v[227:228], v[229:230], v[227:228]
	v_div_scale_f64 v[229:230], vcc_lo, 1.0, v[210:211], 1.0
	v_mul_f64 v[231:232], v[229:230], v[227:228]
	v_fma_f64 v[212:213], -v[212:213], v[231:232], v[229:230]
	v_div_fmas_f64 v[212:213], v[212:213], v[227:228], v[231:232]
	v_div_fixup_f64 v[210:211], v[212:213], v[210:211], 1.0
	v_mul_f64 v[212:213], v[225:226], -v[210:211]
.LBB102_723:
	s_or_b32 exec_lo, exec_lo, s1
.LBB102_724:
	s_or_b32 exec_lo, exec_lo, s0
	s_mov_b32 s0, exec_lo
	v_cmpx_ne_u32_e64 v224, v218
	s_xor_b32 s0, exec_lo, s0
	s_cbranch_execz .LBB102_730
; %bb.725:
	s_mov_b32 s1, exec_lo
	v_cmpx_eq_u32_e32 34, v224
	s_cbranch_execz .LBB102_729
; %bb.726:
	v_cmp_ne_u32_e32 vcc_lo, 34, v218
	s_xor_b32 s7, s16, -1
	s_and_b32 s9, s7, vcc_lo
	s_and_saveexec_b32 s7, s9
	s_cbranch_execz .LBB102_728
; %bb.727:
	v_ashrrev_i32_e32 v219, 31, v218
	v_lshlrev_b64 v[224:225], 2, v[218:219]
	v_add_co_u32 v224, vcc_lo, v216, v224
	v_add_co_ci_u32_e64 v225, null, v217, v225, vcc_lo
	s_clause 0x1
	global_load_dword v0, v[224:225], off
	global_load_dword v219, v[216:217], off offset:136
	s_waitcnt vmcnt(1)
	global_store_dword v[216:217], v0, off offset:136
	s_waitcnt vmcnt(0)
	global_store_dword v[224:225], v219, off
.LBB102_728:
	s_or_b32 exec_lo, exec_lo, s7
	v_mov_b32_e32 v224, v218
	v_mov_b32_e32 v0, v218
.LBB102_729:
	s_or_b32 exec_lo, exec_lo, s1
.LBB102_730:
	s_andn2_saveexec_b32 s0, s0
	s_cbranch_execz .LBB102_732
; %bb.731:
	v_mov_b32_e32 v224, 34
	ds_write2_b64 v1, v[66:67], v[68:69] offset0:70 offset1:71
	ds_write2_b64 v1, v[62:63], v[64:65] offset0:72 offset1:73
	;; [unrolled: 1-line block ×17, first 2 shown]
.LBB102_732:
	s_or_b32 exec_lo, exec_lo, s0
	s_mov_b32 s0, exec_lo
	s_waitcnt lgkmcnt(0)
	s_waitcnt_vscnt null, 0x0
	s_barrier
	buffer_gl0_inv
	v_cmpx_lt_i32_e32 34, v224
	s_cbranch_execz .LBB102_734
; %bb.733:
	v_mul_f64 v[218:219], v[212:213], v[72:73]
	v_mul_f64 v[72:73], v[210:211], v[72:73]
	v_fma_f64 v[218:219], v[210:211], v[70:71], -v[218:219]
	v_fma_f64 v[72:73], v[212:213], v[70:71], v[72:73]
	ds_read2_b64 v[210:213], v1 offset0:70 offset1:71
	s_waitcnt lgkmcnt(0)
	v_mul_f64 v[70:71], v[212:213], v[72:73]
	v_fma_f64 v[70:71], v[210:211], v[218:219], -v[70:71]
	v_mul_f64 v[210:211], v[210:211], v[72:73]
	v_add_f64 v[66:67], v[66:67], -v[70:71]
	v_fma_f64 v[210:211], v[212:213], v[218:219], v[210:211]
	v_add_f64 v[68:69], v[68:69], -v[210:211]
	ds_read2_b64 v[210:213], v1 offset0:72 offset1:73
	s_waitcnt lgkmcnt(0)
	v_mul_f64 v[70:71], v[212:213], v[72:73]
	v_fma_f64 v[70:71], v[210:211], v[218:219], -v[70:71]
	v_mul_f64 v[210:211], v[210:211], v[72:73]
	v_add_f64 v[62:63], v[62:63], -v[70:71]
	v_fma_f64 v[210:211], v[212:213], v[218:219], v[210:211]
	v_add_f64 v[64:65], v[64:65], -v[210:211]
	ds_read2_b64 v[210:213], v1 offset0:74 offset1:75
	s_waitcnt lgkmcnt(0)
	v_mul_f64 v[70:71], v[212:213], v[72:73]
	v_fma_f64 v[70:71], v[210:211], v[218:219], -v[70:71]
	v_mul_f64 v[210:211], v[210:211], v[72:73]
	v_add_f64 v[58:59], v[58:59], -v[70:71]
	v_fma_f64 v[210:211], v[212:213], v[218:219], v[210:211]
	v_add_f64 v[60:61], v[60:61], -v[210:211]
	ds_read2_b64 v[210:213], v1 offset0:76 offset1:77
	s_waitcnt lgkmcnt(0)
	v_mul_f64 v[70:71], v[212:213], v[72:73]
	v_fma_f64 v[70:71], v[210:211], v[218:219], -v[70:71]
	v_mul_f64 v[210:211], v[210:211], v[72:73]
	v_add_f64 v[54:55], v[54:55], -v[70:71]
	v_fma_f64 v[210:211], v[212:213], v[218:219], v[210:211]
	v_add_f64 v[56:57], v[56:57], -v[210:211]
	ds_read2_b64 v[210:213], v1 offset0:78 offset1:79
	s_waitcnt lgkmcnt(0)
	v_mul_f64 v[70:71], v[212:213], v[72:73]
	v_fma_f64 v[70:71], v[210:211], v[218:219], -v[70:71]
	v_mul_f64 v[210:211], v[210:211], v[72:73]
	v_add_f64 v[50:51], v[50:51], -v[70:71]
	v_fma_f64 v[210:211], v[212:213], v[218:219], v[210:211]
	v_add_f64 v[52:53], v[52:53], -v[210:211]
	ds_read2_b64 v[210:213], v1 offset0:80 offset1:81
	s_waitcnt lgkmcnt(0)
	v_mul_f64 v[70:71], v[212:213], v[72:73]
	v_fma_f64 v[70:71], v[210:211], v[218:219], -v[70:71]
	v_mul_f64 v[210:211], v[210:211], v[72:73]
	v_add_f64 v[46:47], v[46:47], -v[70:71]
	v_fma_f64 v[210:211], v[212:213], v[218:219], v[210:211]
	v_add_f64 v[48:49], v[48:49], -v[210:211]
	ds_read2_b64 v[210:213], v1 offset0:82 offset1:83
	s_waitcnt lgkmcnt(0)
	v_mul_f64 v[70:71], v[212:213], v[72:73]
	v_fma_f64 v[70:71], v[210:211], v[218:219], -v[70:71]
	v_mul_f64 v[210:211], v[210:211], v[72:73]
	v_add_f64 v[42:43], v[42:43], -v[70:71]
	v_fma_f64 v[210:211], v[212:213], v[218:219], v[210:211]
	v_add_f64 v[44:45], v[44:45], -v[210:211]
	ds_read2_b64 v[210:213], v1 offset0:84 offset1:85
	s_waitcnt lgkmcnt(0)
	v_mul_f64 v[70:71], v[212:213], v[72:73]
	v_fma_f64 v[70:71], v[210:211], v[218:219], -v[70:71]
	v_mul_f64 v[210:211], v[210:211], v[72:73]
	v_add_f64 v[38:39], v[38:39], -v[70:71]
	v_fma_f64 v[210:211], v[212:213], v[218:219], v[210:211]
	v_add_f64 v[40:41], v[40:41], -v[210:211]
	ds_read2_b64 v[210:213], v1 offset0:86 offset1:87
	s_waitcnt lgkmcnt(0)
	v_mul_f64 v[70:71], v[212:213], v[72:73]
	v_fma_f64 v[70:71], v[210:211], v[218:219], -v[70:71]
	v_mul_f64 v[210:211], v[210:211], v[72:73]
	v_add_f64 v[34:35], v[34:35], -v[70:71]
	v_fma_f64 v[210:211], v[212:213], v[218:219], v[210:211]
	v_add_f64 v[36:37], v[36:37], -v[210:211]
	ds_read2_b64 v[210:213], v1 offset0:88 offset1:89
	s_waitcnt lgkmcnt(0)
	v_mul_f64 v[70:71], v[212:213], v[72:73]
	v_fma_f64 v[70:71], v[210:211], v[218:219], -v[70:71]
	v_mul_f64 v[210:211], v[210:211], v[72:73]
	v_add_f64 v[30:31], v[30:31], -v[70:71]
	v_fma_f64 v[210:211], v[212:213], v[218:219], v[210:211]
	v_add_f64 v[32:33], v[32:33], -v[210:211]
	ds_read2_b64 v[210:213], v1 offset0:90 offset1:91
	s_waitcnt lgkmcnt(0)
	v_mul_f64 v[70:71], v[212:213], v[72:73]
	v_fma_f64 v[70:71], v[210:211], v[218:219], -v[70:71]
	v_mul_f64 v[210:211], v[210:211], v[72:73]
	v_add_f64 v[26:27], v[26:27], -v[70:71]
	v_fma_f64 v[210:211], v[212:213], v[218:219], v[210:211]
	v_add_f64 v[28:29], v[28:29], -v[210:211]
	ds_read2_b64 v[210:213], v1 offset0:92 offset1:93
	s_waitcnt lgkmcnt(0)
	v_mul_f64 v[70:71], v[212:213], v[72:73]
	v_fma_f64 v[70:71], v[210:211], v[218:219], -v[70:71]
	v_mul_f64 v[210:211], v[210:211], v[72:73]
	v_add_f64 v[22:23], v[22:23], -v[70:71]
	v_fma_f64 v[210:211], v[212:213], v[218:219], v[210:211]
	v_add_f64 v[24:25], v[24:25], -v[210:211]
	ds_read2_b64 v[210:213], v1 offset0:94 offset1:95
	s_waitcnt lgkmcnt(0)
	v_mul_f64 v[70:71], v[212:213], v[72:73]
	v_fma_f64 v[70:71], v[210:211], v[218:219], -v[70:71]
	v_mul_f64 v[210:211], v[210:211], v[72:73]
	v_add_f64 v[18:19], v[18:19], -v[70:71]
	v_fma_f64 v[210:211], v[212:213], v[218:219], v[210:211]
	v_add_f64 v[20:21], v[20:21], -v[210:211]
	ds_read2_b64 v[210:213], v1 offset0:96 offset1:97
	s_waitcnt lgkmcnt(0)
	v_mul_f64 v[70:71], v[212:213], v[72:73]
	v_fma_f64 v[70:71], v[210:211], v[218:219], -v[70:71]
	v_mul_f64 v[210:211], v[210:211], v[72:73]
	v_add_f64 v[14:15], v[14:15], -v[70:71]
	v_fma_f64 v[210:211], v[212:213], v[218:219], v[210:211]
	v_add_f64 v[16:17], v[16:17], -v[210:211]
	ds_read2_b64 v[210:213], v1 offset0:98 offset1:99
	s_waitcnt lgkmcnt(0)
	v_mul_f64 v[70:71], v[212:213], v[72:73]
	v_fma_f64 v[70:71], v[210:211], v[218:219], -v[70:71]
	v_mul_f64 v[210:211], v[210:211], v[72:73]
	v_add_f64 v[10:11], v[10:11], -v[70:71]
	v_fma_f64 v[210:211], v[212:213], v[218:219], v[210:211]
	v_add_f64 v[12:13], v[12:13], -v[210:211]
	ds_read2_b64 v[210:213], v1 offset0:100 offset1:101
	s_waitcnt lgkmcnt(0)
	v_mul_f64 v[70:71], v[212:213], v[72:73]
	v_fma_f64 v[70:71], v[210:211], v[218:219], -v[70:71]
	v_mul_f64 v[210:211], v[210:211], v[72:73]
	v_add_f64 v[6:7], v[6:7], -v[70:71]
	v_fma_f64 v[210:211], v[212:213], v[218:219], v[210:211]
	v_add_f64 v[8:9], v[8:9], -v[210:211]
	ds_read2_b64 v[210:213], v1 offset0:102 offset1:103
	s_waitcnt lgkmcnt(0)
	v_mul_f64 v[70:71], v[212:213], v[72:73]
	v_fma_f64 v[70:71], v[210:211], v[218:219], -v[70:71]
	v_mul_f64 v[210:211], v[210:211], v[72:73]
	v_add_f64 v[2:3], v[2:3], -v[70:71]
	v_fma_f64 v[210:211], v[212:213], v[218:219], v[210:211]
	v_mov_b32_e32 v70, v218
	v_mov_b32_e32 v71, v219
	v_add_f64 v[4:5], v[4:5], -v[210:211]
.LBB102_734:
	s_or_b32 exec_lo, exec_lo, s0
	v_lshl_add_u32 v210, v224, 4, v1
	s_barrier
	buffer_gl0_inv
	v_mov_b32_e32 v218, 35
	ds_write2_b64 v210, v[66:67], v[68:69] offset1:1
	s_waitcnt lgkmcnt(0)
	s_barrier
	buffer_gl0_inv
	ds_read2_b64 v[210:213], v1 offset0:70 offset1:71
	s_cmp_lt_i32 s8, 37
	s_cbranch_scc1 .LBB102_737
; %bb.735:
	v_add3_u32 v219, v220, 0, 0x240
	v_mov_b32_e32 v218, 35
	s_mov_b32 s1, 36
	s_inst_prefetch 0x1
	.p2align	6
.LBB102_736:                            ; =>This Inner Loop Header: Depth=1
	s_waitcnt lgkmcnt(0)
	v_cmp_gt_f64_e32 vcc_lo, 0, v[212:213]
	v_cmp_gt_f64_e64 s0, 0, v[210:211]
	ds_read2_b64 v[225:228], v219 offset1:1
	v_xor_b32_e32 v230, 0x80000000, v211
	v_xor_b32_e32 v232, 0x80000000, v213
	v_mov_b32_e32 v229, v210
	v_mov_b32_e32 v231, v212
	v_add_nc_u32_e32 v219, 16, v219
	s_waitcnt lgkmcnt(0)
	v_xor_b32_e32 v234, 0x80000000, v228
	v_cndmask_b32_e64 v230, v211, v230, s0
	v_cndmask_b32_e32 v232, v213, v232, vcc_lo
	v_cmp_gt_f64_e32 vcc_lo, 0, v[227:228]
	v_cmp_gt_f64_e64 s0, 0, v[225:226]
	v_mov_b32_e32 v233, v227
	v_add_f64 v[229:230], v[229:230], v[231:232]
	v_xor_b32_e32 v232, 0x80000000, v226
	v_mov_b32_e32 v231, v225
	v_cndmask_b32_e32 v234, v228, v234, vcc_lo
	v_cndmask_b32_e64 v232, v226, v232, s0
	v_add_f64 v[231:232], v[231:232], v[233:234]
	v_cmp_lt_f64_e32 vcc_lo, v[229:230], v[231:232]
	v_cndmask_b32_e32 v211, v211, v226, vcc_lo
	v_cndmask_b32_e32 v210, v210, v225, vcc_lo
	;; [unrolled: 1-line block ×4, first 2 shown]
	v_cndmask_b32_e64 v218, v218, s1, vcc_lo
	s_add_i32 s1, s1, 1
	s_cmp_lg_u32 s8, s1
	s_cbranch_scc1 .LBB102_736
.LBB102_737:
	s_inst_prefetch 0x2
	s_waitcnt lgkmcnt(0)
	v_cmp_eq_f64_e32 vcc_lo, 0, v[210:211]
	v_cmp_eq_f64_e64 s0, 0, v[212:213]
	s_and_b32 s0, vcc_lo, s0
	s_and_saveexec_b32 s1, s0
	s_xor_b32 s0, exec_lo, s1
; %bb.738:
	v_cmp_ne_u32_e32 vcc_lo, 0, v223
	v_cndmask_b32_e32 v223, 36, v223, vcc_lo
; %bb.739:
	s_andn2_saveexec_b32 s0, s0
	s_cbranch_execz .LBB102_745
; %bb.740:
	v_cmp_ngt_f64_e64 s1, |v[210:211]|, |v[212:213]|
	s_and_saveexec_b32 s7, s1
	s_xor_b32 s1, exec_lo, s7
	s_cbranch_execz .LBB102_742
; %bb.741:
	v_div_scale_f64 v[225:226], null, v[212:213], v[212:213], v[210:211]
	v_div_scale_f64 v[231:232], vcc_lo, v[210:211], v[212:213], v[210:211]
	v_rcp_f64_e32 v[227:228], v[225:226]
	v_fma_f64 v[229:230], -v[225:226], v[227:228], 1.0
	v_fma_f64 v[227:228], v[227:228], v[229:230], v[227:228]
	v_fma_f64 v[229:230], -v[225:226], v[227:228], 1.0
	v_fma_f64 v[227:228], v[227:228], v[229:230], v[227:228]
	v_mul_f64 v[229:230], v[231:232], v[227:228]
	v_fma_f64 v[225:226], -v[225:226], v[229:230], v[231:232]
	v_div_fmas_f64 v[225:226], v[225:226], v[227:228], v[229:230]
	v_div_fixup_f64 v[225:226], v[225:226], v[212:213], v[210:211]
	v_fma_f64 v[210:211], v[210:211], v[225:226], v[212:213]
	v_div_scale_f64 v[212:213], null, v[210:211], v[210:211], 1.0
	v_rcp_f64_e32 v[227:228], v[212:213]
	v_fma_f64 v[229:230], -v[212:213], v[227:228], 1.0
	v_fma_f64 v[227:228], v[227:228], v[229:230], v[227:228]
	v_fma_f64 v[229:230], -v[212:213], v[227:228], 1.0
	v_fma_f64 v[227:228], v[227:228], v[229:230], v[227:228]
	v_div_scale_f64 v[229:230], vcc_lo, 1.0, v[210:211], 1.0
	v_mul_f64 v[231:232], v[229:230], v[227:228]
	v_fma_f64 v[212:213], -v[212:213], v[231:232], v[229:230]
	v_div_fmas_f64 v[212:213], v[212:213], v[227:228], v[231:232]
	v_div_fixup_f64 v[212:213], v[212:213], v[210:211], 1.0
	v_mul_f64 v[210:211], v[225:226], v[212:213]
	v_xor_b32_e32 v213, 0x80000000, v213
.LBB102_742:
	s_andn2_saveexec_b32 s1, s1
	s_cbranch_execz .LBB102_744
; %bb.743:
	v_div_scale_f64 v[225:226], null, v[210:211], v[210:211], v[212:213]
	v_div_scale_f64 v[231:232], vcc_lo, v[212:213], v[210:211], v[212:213]
	v_rcp_f64_e32 v[227:228], v[225:226]
	v_fma_f64 v[229:230], -v[225:226], v[227:228], 1.0
	v_fma_f64 v[227:228], v[227:228], v[229:230], v[227:228]
	v_fma_f64 v[229:230], -v[225:226], v[227:228], 1.0
	v_fma_f64 v[227:228], v[227:228], v[229:230], v[227:228]
	v_mul_f64 v[229:230], v[231:232], v[227:228]
	v_fma_f64 v[225:226], -v[225:226], v[229:230], v[231:232]
	v_div_fmas_f64 v[225:226], v[225:226], v[227:228], v[229:230]
	v_div_fixup_f64 v[225:226], v[225:226], v[210:211], v[212:213]
	v_fma_f64 v[210:211], v[212:213], v[225:226], v[210:211]
	v_div_scale_f64 v[212:213], null, v[210:211], v[210:211], 1.0
	v_rcp_f64_e32 v[227:228], v[212:213]
	v_fma_f64 v[229:230], -v[212:213], v[227:228], 1.0
	v_fma_f64 v[227:228], v[227:228], v[229:230], v[227:228]
	v_fma_f64 v[229:230], -v[212:213], v[227:228], 1.0
	v_fma_f64 v[227:228], v[227:228], v[229:230], v[227:228]
	v_div_scale_f64 v[229:230], vcc_lo, 1.0, v[210:211], 1.0
	v_mul_f64 v[231:232], v[229:230], v[227:228]
	v_fma_f64 v[212:213], -v[212:213], v[231:232], v[229:230]
	v_div_fmas_f64 v[212:213], v[212:213], v[227:228], v[231:232]
	v_div_fixup_f64 v[210:211], v[212:213], v[210:211], 1.0
	v_mul_f64 v[212:213], v[225:226], -v[210:211]
.LBB102_744:
	s_or_b32 exec_lo, exec_lo, s1
.LBB102_745:
	s_or_b32 exec_lo, exec_lo, s0
	s_mov_b32 s0, exec_lo
	v_cmpx_ne_u32_e64 v224, v218
	s_xor_b32 s0, exec_lo, s0
	s_cbranch_execz .LBB102_751
; %bb.746:
	s_mov_b32 s1, exec_lo
	v_cmpx_eq_u32_e32 35, v224
	s_cbranch_execz .LBB102_750
; %bb.747:
	v_cmp_ne_u32_e32 vcc_lo, 35, v218
	s_xor_b32 s7, s16, -1
	s_and_b32 s9, s7, vcc_lo
	s_and_saveexec_b32 s7, s9
	s_cbranch_execz .LBB102_749
; %bb.748:
	v_ashrrev_i32_e32 v219, 31, v218
	v_lshlrev_b64 v[224:225], 2, v[218:219]
	v_add_co_u32 v224, vcc_lo, v216, v224
	v_add_co_ci_u32_e64 v225, null, v217, v225, vcc_lo
	s_clause 0x1
	global_load_dword v0, v[224:225], off
	global_load_dword v219, v[216:217], off offset:140
	s_waitcnt vmcnt(1)
	global_store_dword v[216:217], v0, off offset:140
	s_waitcnt vmcnt(0)
	global_store_dword v[224:225], v219, off
.LBB102_749:
	s_or_b32 exec_lo, exec_lo, s7
	v_mov_b32_e32 v224, v218
	v_mov_b32_e32 v0, v218
.LBB102_750:
	s_or_b32 exec_lo, exec_lo, s1
.LBB102_751:
	s_andn2_saveexec_b32 s0, s0
	s_cbranch_execz .LBB102_753
; %bb.752:
	v_mov_b32_e32 v224, 35
	ds_write2_b64 v1, v[62:63], v[64:65] offset0:72 offset1:73
	ds_write2_b64 v1, v[58:59], v[60:61] offset0:74 offset1:75
	ds_write2_b64 v1, v[54:55], v[56:57] offset0:76 offset1:77
	ds_write2_b64 v1, v[50:51], v[52:53] offset0:78 offset1:79
	ds_write2_b64 v1, v[46:47], v[48:49] offset0:80 offset1:81
	ds_write2_b64 v1, v[42:43], v[44:45] offset0:82 offset1:83
	ds_write2_b64 v1, v[38:39], v[40:41] offset0:84 offset1:85
	ds_write2_b64 v1, v[34:35], v[36:37] offset0:86 offset1:87
	ds_write2_b64 v1, v[30:31], v[32:33] offset0:88 offset1:89
	ds_write2_b64 v1, v[26:27], v[28:29] offset0:90 offset1:91
	ds_write2_b64 v1, v[22:23], v[24:25] offset0:92 offset1:93
	ds_write2_b64 v1, v[18:19], v[20:21] offset0:94 offset1:95
	ds_write2_b64 v1, v[14:15], v[16:17] offset0:96 offset1:97
	ds_write2_b64 v1, v[10:11], v[12:13] offset0:98 offset1:99
	ds_write2_b64 v1, v[6:7], v[8:9] offset0:100 offset1:101
	ds_write2_b64 v1, v[2:3], v[4:5] offset0:102 offset1:103
.LBB102_753:
	s_or_b32 exec_lo, exec_lo, s0
	s_mov_b32 s0, exec_lo
	s_waitcnt lgkmcnt(0)
	s_waitcnt_vscnt null, 0x0
	s_barrier
	buffer_gl0_inv
	v_cmpx_lt_i32_e32 35, v224
	s_cbranch_execz .LBB102_755
; %bb.754:
	v_mul_f64 v[218:219], v[210:211], v[68:69]
	v_mul_f64 v[68:69], v[212:213], v[68:69]
	v_fma_f64 v[218:219], v[212:213], v[66:67], v[218:219]
	v_fma_f64 v[66:67], v[210:211], v[66:67], -v[68:69]
	ds_read2_b64 v[210:213], v1 offset0:72 offset1:73
	s_waitcnt lgkmcnt(0)
	v_mul_f64 v[68:69], v[212:213], v[218:219]
	v_fma_f64 v[68:69], v[210:211], v[66:67], -v[68:69]
	v_mul_f64 v[210:211], v[210:211], v[218:219]
	v_add_f64 v[62:63], v[62:63], -v[68:69]
	v_fma_f64 v[210:211], v[212:213], v[66:67], v[210:211]
	v_add_f64 v[64:65], v[64:65], -v[210:211]
	ds_read2_b64 v[210:213], v1 offset0:74 offset1:75
	s_waitcnt lgkmcnt(0)
	v_mul_f64 v[68:69], v[212:213], v[218:219]
	v_fma_f64 v[68:69], v[210:211], v[66:67], -v[68:69]
	v_mul_f64 v[210:211], v[210:211], v[218:219]
	v_add_f64 v[58:59], v[58:59], -v[68:69]
	v_fma_f64 v[210:211], v[212:213], v[66:67], v[210:211]
	v_add_f64 v[60:61], v[60:61], -v[210:211]
	;; [unrolled: 8-line block ×15, first 2 shown]
	ds_read2_b64 v[210:213], v1 offset0:102 offset1:103
	s_waitcnt lgkmcnt(0)
	v_mul_f64 v[68:69], v[212:213], v[218:219]
	v_fma_f64 v[68:69], v[210:211], v[66:67], -v[68:69]
	v_mul_f64 v[210:211], v[210:211], v[218:219]
	v_add_f64 v[2:3], v[2:3], -v[68:69]
	v_fma_f64 v[210:211], v[212:213], v[66:67], v[210:211]
	v_mov_b32_e32 v68, v218
	v_mov_b32_e32 v69, v219
	v_add_f64 v[4:5], v[4:5], -v[210:211]
.LBB102_755:
	s_or_b32 exec_lo, exec_lo, s0
	v_lshl_add_u32 v210, v224, 4, v1
	s_barrier
	buffer_gl0_inv
	v_mov_b32_e32 v218, 36
	ds_write2_b64 v210, v[62:63], v[64:65] offset1:1
	s_waitcnt lgkmcnt(0)
	s_barrier
	buffer_gl0_inv
	ds_read2_b64 v[210:213], v1 offset0:72 offset1:73
	s_cmp_lt_i32 s8, 38
	s_cbranch_scc1 .LBB102_758
; %bb.756:
	v_add3_u32 v219, v220, 0, 0x250
	v_mov_b32_e32 v218, 36
	s_mov_b32 s1, 37
	s_inst_prefetch 0x1
	.p2align	6
.LBB102_757:                            ; =>This Inner Loop Header: Depth=1
	s_waitcnt lgkmcnt(0)
	v_cmp_gt_f64_e32 vcc_lo, 0, v[212:213]
	v_cmp_gt_f64_e64 s0, 0, v[210:211]
	ds_read2_b64 v[225:228], v219 offset1:1
	v_xor_b32_e32 v230, 0x80000000, v211
	v_xor_b32_e32 v232, 0x80000000, v213
	v_mov_b32_e32 v229, v210
	v_mov_b32_e32 v231, v212
	v_add_nc_u32_e32 v219, 16, v219
	s_waitcnt lgkmcnt(0)
	v_xor_b32_e32 v234, 0x80000000, v228
	v_cndmask_b32_e64 v230, v211, v230, s0
	v_cndmask_b32_e32 v232, v213, v232, vcc_lo
	v_cmp_gt_f64_e32 vcc_lo, 0, v[227:228]
	v_cmp_gt_f64_e64 s0, 0, v[225:226]
	v_mov_b32_e32 v233, v227
	v_add_f64 v[229:230], v[229:230], v[231:232]
	v_xor_b32_e32 v232, 0x80000000, v226
	v_mov_b32_e32 v231, v225
	v_cndmask_b32_e32 v234, v228, v234, vcc_lo
	v_cndmask_b32_e64 v232, v226, v232, s0
	v_add_f64 v[231:232], v[231:232], v[233:234]
	v_cmp_lt_f64_e32 vcc_lo, v[229:230], v[231:232]
	v_cndmask_b32_e32 v211, v211, v226, vcc_lo
	v_cndmask_b32_e32 v210, v210, v225, vcc_lo
	;; [unrolled: 1-line block ×4, first 2 shown]
	v_cndmask_b32_e64 v218, v218, s1, vcc_lo
	s_add_i32 s1, s1, 1
	s_cmp_lg_u32 s8, s1
	s_cbranch_scc1 .LBB102_757
.LBB102_758:
	s_inst_prefetch 0x2
	s_waitcnt lgkmcnt(0)
	v_cmp_eq_f64_e32 vcc_lo, 0, v[210:211]
	v_cmp_eq_f64_e64 s0, 0, v[212:213]
	s_and_b32 s0, vcc_lo, s0
	s_and_saveexec_b32 s1, s0
	s_xor_b32 s0, exec_lo, s1
; %bb.759:
	v_cmp_ne_u32_e32 vcc_lo, 0, v223
	v_cndmask_b32_e32 v223, 37, v223, vcc_lo
; %bb.760:
	s_andn2_saveexec_b32 s0, s0
	s_cbranch_execz .LBB102_766
; %bb.761:
	v_cmp_ngt_f64_e64 s1, |v[210:211]|, |v[212:213]|
	s_and_saveexec_b32 s7, s1
	s_xor_b32 s1, exec_lo, s7
	s_cbranch_execz .LBB102_763
; %bb.762:
	v_div_scale_f64 v[225:226], null, v[212:213], v[212:213], v[210:211]
	v_div_scale_f64 v[231:232], vcc_lo, v[210:211], v[212:213], v[210:211]
	v_rcp_f64_e32 v[227:228], v[225:226]
	v_fma_f64 v[229:230], -v[225:226], v[227:228], 1.0
	v_fma_f64 v[227:228], v[227:228], v[229:230], v[227:228]
	v_fma_f64 v[229:230], -v[225:226], v[227:228], 1.0
	v_fma_f64 v[227:228], v[227:228], v[229:230], v[227:228]
	v_mul_f64 v[229:230], v[231:232], v[227:228]
	v_fma_f64 v[225:226], -v[225:226], v[229:230], v[231:232]
	v_div_fmas_f64 v[225:226], v[225:226], v[227:228], v[229:230]
	v_div_fixup_f64 v[225:226], v[225:226], v[212:213], v[210:211]
	v_fma_f64 v[210:211], v[210:211], v[225:226], v[212:213]
	v_div_scale_f64 v[212:213], null, v[210:211], v[210:211], 1.0
	v_rcp_f64_e32 v[227:228], v[212:213]
	v_fma_f64 v[229:230], -v[212:213], v[227:228], 1.0
	v_fma_f64 v[227:228], v[227:228], v[229:230], v[227:228]
	v_fma_f64 v[229:230], -v[212:213], v[227:228], 1.0
	v_fma_f64 v[227:228], v[227:228], v[229:230], v[227:228]
	v_div_scale_f64 v[229:230], vcc_lo, 1.0, v[210:211], 1.0
	v_mul_f64 v[231:232], v[229:230], v[227:228]
	v_fma_f64 v[212:213], -v[212:213], v[231:232], v[229:230]
	v_div_fmas_f64 v[212:213], v[212:213], v[227:228], v[231:232]
	v_div_fixup_f64 v[212:213], v[212:213], v[210:211], 1.0
	v_mul_f64 v[210:211], v[225:226], v[212:213]
	v_xor_b32_e32 v213, 0x80000000, v213
.LBB102_763:
	s_andn2_saveexec_b32 s1, s1
	s_cbranch_execz .LBB102_765
; %bb.764:
	v_div_scale_f64 v[225:226], null, v[210:211], v[210:211], v[212:213]
	v_div_scale_f64 v[231:232], vcc_lo, v[212:213], v[210:211], v[212:213]
	v_rcp_f64_e32 v[227:228], v[225:226]
	v_fma_f64 v[229:230], -v[225:226], v[227:228], 1.0
	v_fma_f64 v[227:228], v[227:228], v[229:230], v[227:228]
	v_fma_f64 v[229:230], -v[225:226], v[227:228], 1.0
	v_fma_f64 v[227:228], v[227:228], v[229:230], v[227:228]
	v_mul_f64 v[229:230], v[231:232], v[227:228]
	v_fma_f64 v[225:226], -v[225:226], v[229:230], v[231:232]
	v_div_fmas_f64 v[225:226], v[225:226], v[227:228], v[229:230]
	v_div_fixup_f64 v[225:226], v[225:226], v[210:211], v[212:213]
	v_fma_f64 v[210:211], v[212:213], v[225:226], v[210:211]
	v_div_scale_f64 v[212:213], null, v[210:211], v[210:211], 1.0
	v_rcp_f64_e32 v[227:228], v[212:213]
	v_fma_f64 v[229:230], -v[212:213], v[227:228], 1.0
	v_fma_f64 v[227:228], v[227:228], v[229:230], v[227:228]
	v_fma_f64 v[229:230], -v[212:213], v[227:228], 1.0
	v_fma_f64 v[227:228], v[227:228], v[229:230], v[227:228]
	v_div_scale_f64 v[229:230], vcc_lo, 1.0, v[210:211], 1.0
	v_mul_f64 v[231:232], v[229:230], v[227:228]
	v_fma_f64 v[212:213], -v[212:213], v[231:232], v[229:230]
	v_div_fmas_f64 v[212:213], v[212:213], v[227:228], v[231:232]
	v_div_fixup_f64 v[210:211], v[212:213], v[210:211], 1.0
	v_mul_f64 v[212:213], v[225:226], -v[210:211]
.LBB102_765:
	s_or_b32 exec_lo, exec_lo, s1
.LBB102_766:
	s_or_b32 exec_lo, exec_lo, s0
	s_mov_b32 s0, exec_lo
	v_cmpx_ne_u32_e64 v224, v218
	s_xor_b32 s0, exec_lo, s0
	s_cbranch_execz .LBB102_772
; %bb.767:
	s_mov_b32 s1, exec_lo
	v_cmpx_eq_u32_e32 36, v224
	s_cbranch_execz .LBB102_771
; %bb.768:
	v_cmp_ne_u32_e32 vcc_lo, 36, v218
	s_xor_b32 s7, s16, -1
	s_and_b32 s9, s7, vcc_lo
	s_and_saveexec_b32 s7, s9
	s_cbranch_execz .LBB102_770
; %bb.769:
	v_ashrrev_i32_e32 v219, 31, v218
	v_lshlrev_b64 v[224:225], 2, v[218:219]
	v_add_co_u32 v224, vcc_lo, v216, v224
	v_add_co_ci_u32_e64 v225, null, v217, v225, vcc_lo
	s_clause 0x1
	global_load_dword v0, v[224:225], off
	global_load_dword v219, v[216:217], off offset:144
	s_waitcnt vmcnt(1)
	global_store_dword v[216:217], v0, off offset:144
	s_waitcnt vmcnt(0)
	global_store_dword v[224:225], v219, off
.LBB102_770:
	s_or_b32 exec_lo, exec_lo, s7
	v_mov_b32_e32 v224, v218
	v_mov_b32_e32 v0, v218
.LBB102_771:
	s_or_b32 exec_lo, exec_lo, s1
.LBB102_772:
	s_andn2_saveexec_b32 s0, s0
	s_cbranch_execz .LBB102_774
; %bb.773:
	v_mov_b32_e32 v224, 36
	ds_write2_b64 v1, v[58:59], v[60:61] offset0:74 offset1:75
	ds_write2_b64 v1, v[54:55], v[56:57] offset0:76 offset1:77
	;; [unrolled: 1-line block ×15, first 2 shown]
.LBB102_774:
	s_or_b32 exec_lo, exec_lo, s0
	s_mov_b32 s0, exec_lo
	s_waitcnt lgkmcnt(0)
	s_waitcnt_vscnt null, 0x0
	s_barrier
	buffer_gl0_inv
	v_cmpx_lt_i32_e32 36, v224
	s_cbranch_execz .LBB102_776
; %bb.775:
	v_mul_f64 v[218:219], v[210:211], v[64:65]
	v_mul_f64 v[64:65], v[212:213], v[64:65]
	v_fma_f64 v[218:219], v[212:213], v[62:63], v[218:219]
	v_fma_f64 v[62:63], v[210:211], v[62:63], -v[64:65]
	ds_read2_b64 v[210:213], v1 offset0:74 offset1:75
	s_waitcnt lgkmcnt(0)
	v_mul_f64 v[64:65], v[212:213], v[218:219]
	v_fma_f64 v[64:65], v[210:211], v[62:63], -v[64:65]
	v_mul_f64 v[210:211], v[210:211], v[218:219]
	v_add_f64 v[58:59], v[58:59], -v[64:65]
	v_fma_f64 v[210:211], v[212:213], v[62:63], v[210:211]
	v_add_f64 v[60:61], v[60:61], -v[210:211]
	ds_read2_b64 v[210:213], v1 offset0:76 offset1:77
	s_waitcnt lgkmcnt(0)
	v_mul_f64 v[64:65], v[212:213], v[218:219]
	v_fma_f64 v[64:65], v[210:211], v[62:63], -v[64:65]
	v_mul_f64 v[210:211], v[210:211], v[218:219]
	v_add_f64 v[54:55], v[54:55], -v[64:65]
	v_fma_f64 v[210:211], v[212:213], v[62:63], v[210:211]
	v_add_f64 v[56:57], v[56:57], -v[210:211]
	;; [unrolled: 8-line block ×14, first 2 shown]
	ds_read2_b64 v[210:213], v1 offset0:102 offset1:103
	s_waitcnt lgkmcnt(0)
	v_mul_f64 v[64:65], v[212:213], v[218:219]
	v_fma_f64 v[64:65], v[210:211], v[62:63], -v[64:65]
	v_mul_f64 v[210:211], v[210:211], v[218:219]
	v_add_f64 v[2:3], v[2:3], -v[64:65]
	v_fma_f64 v[210:211], v[212:213], v[62:63], v[210:211]
	v_mov_b32_e32 v64, v218
	v_mov_b32_e32 v65, v219
	v_add_f64 v[4:5], v[4:5], -v[210:211]
.LBB102_776:
	s_or_b32 exec_lo, exec_lo, s0
	v_lshl_add_u32 v210, v224, 4, v1
	s_barrier
	buffer_gl0_inv
	v_mov_b32_e32 v218, 37
	ds_write2_b64 v210, v[58:59], v[60:61] offset1:1
	s_waitcnt lgkmcnt(0)
	s_barrier
	buffer_gl0_inv
	ds_read2_b64 v[210:213], v1 offset0:74 offset1:75
	s_cmp_lt_i32 s8, 39
	s_cbranch_scc1 .LBB102_779
; %bb.777:
	v_add3_u32 v219, v220, 0, 0x260
	v_mov_b32_e32 v218, 37
	s_mov_b32 s1, 38
	s_inst_prefetch 0x1
	.p2align	6
.LBB102_778:                            ; =>This Inner Loop Header: Depth=1
	s_waitcnt lgkmcnt(0)
	v_cmp_gt_f64_e32 vcc_lo, 0, v[212:213]
	v_cmp_gt_f64_e64 s0, 0, v[210:211]
	ds_read2_b64 v[225:228], v219 offset1:1
	v_xor_b32_e32 v230, 0x80000000, v211
	v_xor_b32_e32 v232, 0x80000000, v213
	v_mov_b32_e32 v229, v210
	v_mov_b32_e32 v231, v212
	v_add_nc_u32_e32 v219, 16, v219
	s_waitcnt lgkmcnt(0)
	v_xor_b32_e32 v234, 0x80000000, v228
	v_cndmask_b32_e64 v230, v211, v230, s0
	v_cndmask_b32_e32 v232, v213, v232, vcc_lo
	v_cmp_gt_f64_e32 vcc_lo, 0, v[227:228]
	v_cmp_gt_f64_e64 s0, 0, v[225:226]
	v_mov_b32_e32 v233, v227
	v_add_f64 v[229:230], v[229:230], v[231:232]
	v_xor_b32_e32 v232, 0x80000000, v226
	v_mov_b32_e32 v231, v225
	v_cndmask_b32_e32 v234, v228, v234, vcc_lo
	v_cndmask_b32_e64 v232, v226, v232, s0
	v_add_f64 v[231:232], v[231:232], v[233:234]
	v_cmp_lt_f64_e32 vcc_lo, v[229:230], v[231:232]
	v_cndmask_b32_e32 v211, v211, v226, vcc_lo
	v_cndmask_b32_e32 v210, v210, v225, vcc_lo
	;; [unrolled: 1-line block ×4, first 2 shown]
	v_cndmask_b32_e64 v218, v218, s1, vcc_lo
	s_add_i32 s1, s1, 1
	s_cmp_lg_u32 s8, s1
	s_cbranch_scc1 .LBB102_778
.LBB102_779:
	s_inst_prefetch 0x2
	s_waitcnt lgkmcnt(0)
	v_cmp_eq_f64_e32 vcc_lo, 0, v[210:211]
	v_cmp_eq_f64_e64 s0, 0, v[212:213]
	s_and_b32 s0, vcc_lo, s0
	s_and_saveexec_b32 s1, s0
	s_xor_b32 s0, exec_lo, s1
; %bb.780:
	v_cmp_ne_u32_e32 vcc_lo, 0, v223
	v_cndmask_b32_e32 v223, 38, v223, vcc_lo
; %bb.781:
	s_andn2_saveexec_b32 s0, s0
	s_cbranch_execz .LBB102_787
; %bb.782:
	v_cmp_ngt_f64_e64 s1, |v[210:211]|, |v[212:213]|
	s_and_saveexec_b32 s7, s1
	s_xor_b32 s1, exec_lo, s7
	s_cbranch_execz .LBB102_784
; %bb.783:
	v_div_scale_f64 v[225:226], null, v[212:213], v[212:213], v[210:211]
	v_div_scale_f64 v[231:232], vcc_lo, v[210:211], v[212:213], v[210:211]
	v_rcp_f64_e32 v[227:228], v[225:226]
	v_fma_f64 v[229:230], -v[225:226], v[227:228], 1.0
	v_fma_f64 v[227:228], v[227:228], v[229:230], v[227:228]
	v_fma_f64 v[229:230], -v[225:226], v[227:228], 1.0
	v_fma_f64 v[227:228], v[227:228], v[229:230], v[227:228]
	v_mul_f64 v[229:230], v[231:232], v[227:228]
	v_fma_f64 v[225:226], -v[225:226], v[229:230], v[231:232]
	v_div_fmas_f64 v[225:226], v[225:226], v[227:228], v[229:230]
	v_div_fixup_f64 v[225:226], v[225:226], v[212:213], v[210:211]
	v_fma_f64 v[210:211], v[210:211], v[225:226], v[212:213]
	v_div_scale_f64 v[212:213], null, v[210:211], v[210:211], 1.0
	v_rcp_f64_e32 v[227:228], v[212:213]
	v_fma_f64 v[229:230], -v[212:213], v[227:228], 1.0
	v_fma_f64 v[227:228], v[227:228], v[229:230], v[227:228]
	v_fma_f64 v[229:230], -v[212:213], v[227:228], 1.0
	v_fma_f64 v[227:228], v[227:228], v[229:230], v[227:228]
	v_div_scale_f64 v[229:230], vcc_lo, 1.0, v[210:211], 1.0
	v_mul_f64 v[231:232], v[229:230], v[227:228]
	v_fma_f64 v[212:213], -v[212:213], v[231:232], v[229:230]
	v_div_fmas_f64 v[212:213], v[212:213], v[227:228], v[231:232]
	v_div_fixup_f64 v[212:213], v[212:213], v[210:211], 1.0
	v_mul_f64 v[210:211], v[225:226], v[212:213]
	v_xor_b32_e32 v213, 0x80000000, v213
.LBB102_784:
	s_andn2_saveexec_b32 s1, s1
	s_cbranch_execz .LBB102_786
; %bb.785:
	v_div_scale_f64 v[225:226], null, v[210:211], v[210:211], v[212:213]
	v_div_scale_f64 v[231:232], vcc_lo, v[212:213], v[210:211], v[212:213]
	v_rcp_f64_e32 v[227:228], v[225:226]
	v_fma_f64 v[229:230], -v[225:226], v[227:228], 1.0
	v_fma_f64 v[227:228], v[227:228], v[229:230], v[227:228]
	v_fma_f64 v[229:230], -v[225:226], v[227:228], 1.0
	v_fma_f64 v[227:228], v[227:228], v[229:230], v[227:228]
	v_mul_f64 v[229:230], v[231:232], v[227:228]
	v_fma_f64 v[225:226], -v[225:226], v[229:230], v[231:232]
	v_div_fmas_f64 v[225:226], v[225:226], v[227:228], v[229:230]
	v_div_fixup_f64 v[225:226], v[225:226], v[210:211], v[212:213]
	v_fma_f64 v[210:211], v[212:213], v[225:226], v[210:211]
	v_div_scale_f64 v[212:213], null, v[210:211], v[210:211], 1.0
	v_rcp_f64_e32 v[227:228], v[212:213]
	v_fma_f64 v[229:230], -v[212:213], v[227:228], 1.0
	v_fma_f64 v[227:228], v[227:228], v[229:230], v[227:228]
	v_fma_f64 v[229:230], -v[212:213], v[227:228], 1.0
	v_fma_f64 v[227:228], v[227:228], v[229:230], v[227:228]
	v_div_scale_f64 v[229:230], vcc_lo, 1.0, v[210:211], 1.0
	v_mul_f64 v[231:232], v[229:230], v[227:228]
	v_fma_f64 v[212:213], -v[212:213], v[231:232], v[229:230]
	v_div_fmas_f64 v[212:213], v[212:213], v[227:228], v[231:232]
	v_div_fixup_f64 v[210:211], v[212:213], v[210:211], 1.0
	v_mul_f64 v[212:213], v[225:226], -v[210:211]
.LBB102_786:
	s_or_b32 exec_lo, exec_lo, s1
.LBB102_787:
	s_or_b32 exec_lo, exec_lo, s0
	s_mov_b32 s0, exec_lo
	v_cmpx_ne_u32_e64 v224, v218
	s_xor_b32 s0, exec_lo, s0
	s_cbranch_execz .LBB102_793
; %bb.788:
	s_mov_b32 s1, exec_lo
	v_cmpx_eq_u32_e32 37, v224
	s_cbranch_execz .LBB102_792
; %bb.789:
	v_cmp_ne_u32_e32 vcc_lo, 37, v218
	s_xor_b32 s7, s16, -1
	s_and_b32 s9, s7, vcc_lo
	s_and_saveexec_b32 s7, s9
	s_cbranch_execz .LBB102_791
; %bb.790:
	v_ashrrev_i32_e32 v219, 31, v218
	v_lshlrev_b64 v[224:225], 2, v[218:219]
	v_add_co_u32 v224, vcc_lo, v216, v224
	v_add_co_ci_u32_e64 v225, null, v217, v225, vcc_lo
	s_clause 0x1
	global_load_dword v0, v[224:225], off
	global_load_dword v219, v[216:217], off offset:148
	s_waitcnt vmcnt(1)
	global_store_dword v[216:217], v0, off offset:148
	s_waitcnt vmcnt(0)
	global_store_dword v[224:225], v219, off
.LBB102_791:
	s_or_b32 exec_lo, exec_lo, s7
	v_mov_b32_e32 v224, v218
	v_mov_b32_e32 v0, v218
.LBB102_792:
	s_or_b32 exec_lo, exec_lo, s1
.LBB102_793:
	s_andn2_saveexec_b32 s0, s0
	s_cbranch_execz .LBB102_795
; %bb.794:
	v_mov_b32_e32 v224, 37
	ds_write2_b64 v1, v[54:55], v[56:57] offset0:76 offset1:77
	ds_write2_b64 v1, v[50:51], v[52:53] offset0:78 offset1:79
	;; [unrolled: 1-line block ×14, first 2 shown]
.LBB102_795:
	s_or_b32 exec_lo, exec_lo, s0
	s_mov_b32 s0, exec_lo
	s_waitcnt lgkmcnt(0)
	s_waitcnt_vscnt null, 0x0
	s_barrier
	buffer_gl0_inv
	v_cmpx_lt_i32_e32 37, v224
	s_cbranch_execz .LBB102_797
; %bb.796:
	v_mul_f64 v[218:219], v[210:211], v[60:61]
	v_mul_f64 v[60:61], v[212:213], v[60:61]
	v_fma_f64 v[218:219], v[212:213], v[58:59], v[218:219]
	v_fma_f64 v[58:59], v[210:211], v[58:59], -v[60:61]
	ds_read2_b64 v[210:213], v1 offset0:76 offset1:77
	s_waitcnt lgkmcnt(0)
	v_mul_f64 v[60:61], v[212:213], v[218:219]
	v_fma_f64 v[60:61], v[210:211], v[58:59], -v[60:61]
	v_mul_f64 v[210:211], v[210:211], v[218:219]
	v_add_f64 v[54:55], v[54:55], -v[60:61]
	v_fma_f64 v[210:211], v[212:213], v[58:59], v[210:211]
	v_add_f64 v[56:57], v[56:57], -v[210:211]
	ds_read2_b64 v[210:213], v1 offset0:78 offset1:79
	s_waitcnt lgkmcnt(0)
	v_mul_f64 v[60:61], v[212:213], v[218:219]
	v_fma_f64 v[60:61], v[210:211], v[58:59], -v[60:61]
	v_mul_f64 v[210:211], v[210:211], v[218:219]
	v_add_f64 v[50:51], v[50:51], -v[60:61]
	v_fma_f64 v[210:211], v[212:213], v[58:59], v[210:211]
	v_add_f64 v[52:53], v[52:53], -v[210:211]
	;; [unrolled: 8-line block ×13, first 2 shown]
	ds_read2_b64 v[210:213], v1 offset0:102 offset1:103
	s_waitcnt lgkmcnt(0)
	v_mul_f64 v[60:61], v[212:213], v[218:219]
	v_fma_f64 v[60:61], v[210:211], v[58:59], -v[60:61]
	v_mul_f64 v[210:211], v[210:211], v[218:219]
	v_add_f64 v[2:3], v[2:3], -v[60:61]
	v_fma_f64 v[210:211], v[212:213], v[58:59], v[210:211]
	v_mov_b32_e32 v60, v218
	v_mov_b32_e32 v61, v219
	v_add_f64 v[4:5], v[4:5], -v[210:211]
.LBB102_797:
	s_or_b32 exec_lo, exec_lo, s0
	v_lshl_add_u32 v210, v224, 4, v1
	s_barrier
	buffer_gl0_inv
	v_mov_b32_e32 v218, 38
	ds_write2_b64 v210, v[54:55], v[56:57] offset1:1
	s_waitcnt lgkmcnt(0)
	s_barrier
	buffer_gl0_inv
	ds_read2_b64 v[210:213], v1 offset0:76 offset1:77
	s_cmp_lt_i32 s8, 40
	s_cbranch_scc1 .LBB102_800
; %bb.798:
	v_add3_u32 v219, v220, 0, 0x270
	v_mov_b32_e32 v218, 38
	s_mov_b32 s1, 39
	s_inst_prefetch 0x1
	.p2align	6
.LBB102_799:                            ; =>This Inner Loop Header: Depth=1
	s_waitcnt lgkmcnt(0)
	v_cmp_gt_f64_e32 vcc_lo, 0, v[212:213]
	v_cmp_gt_f64_e64 s0, 0, v[210:211]
	ds_read2_b64 v[225:228], v219 offset1:1
	v_xor_b32_e32 v230, 0x80000000, v211
	v_xor_b32_e32 v232, 0x80000000, v213
	v_mov_b32_e32 v229, v210
	v_mov_b32_e32 v231, v212
	v_add_nc_u32_e32 v219, 16, v219
	s_waitcnt lgkmcnt(0)
	v_xor_b32_e32 v234, 0x80000000, v228
	v_cndmask_b32_e64 v230, v211, v230, s0
	v_cndmask_b32_e32 v232, v213, v232, vcc_lo
	v_cmp_gt_f64_e32 vcc_lo, 0, v[227:228]
	v_cmp_gt_f64_e64 s0, 0, v[225:226]
	v_mov_b32_e32 v233, v227
	v_add_f64 v[229:230], v[229:230], v[231:232]
	v_xor_b32_e32 v232, 0x80000000, v226
	v_mov_b32_e32 v231, v225
	v_cndmask_b32_e32 v234, v228, v234, vcc_lo
	v_cndmask_b32_e64 v232, v226, v232, s0
	v_add_f64 v[231:232], v[231:232], v[233:234]
	v_cmp_lt_f64_e32 vcc_lo, v[229:230], v[231:232]
	v_cndmask_b32_e32 v211, v211, v226, vcc_lo
	v_cndmask_b32_e32 v210, v210, v225, vcc_lo
	;; [unrolled: 1-line block ×4, first 2 shown]
	v_cndmask_b32_e64 v218, v218, s1, vcc_lo
	s_add_i32 s1, s1, 1
	s_cmp_lg_u32 s8, s1
	s_cbranch_scc1 .LBB102_799
.LBB102_800:
	s_inst_prefetch 0x2
	s_waitcnt lgkmcnt(0)
	v_cmp_eq_f64_e32 vcc_lo, 0, v[210:211]
	v_cmp_eq_f64_e64 s0, 0, v[212:213]
	s_and_b32 s0, vcc_lo, s0
	s_and_saveexec_b32 s1, s0
	s_xor_b32 s0, exec_lo, s1
; %bb.801:
	v_cmp_ne_u32_e32 vcc_lo, 0, v223
	v_cndmask_b32_e32 v223, 39, v223, vcc_lo
; %bb.802:
	s_andn2_saveexec_b32 s0, s0
	s_cbranch_execz .LBB102_808
; %bb.803:
	v_cmp_ngt_f64_e64 s1, |v[210:211]|, |v[212:213]|
	s_and_saveexec_b32 s7, s1
	s_xor_b32 s1, exec_lo, s7
	s_cbranch_execz .LBB102_805
; %bb.804:
	v_div_scale_f64 v[225:226], null, v[212:213], v[212:213], v[210:211]
	v_div_scale_f64 v[231:232], vcc_lo, v[210:211], v[212:213], v[210:211]
	v_rcp_f64_e32 v[227:228], v[225:226]
	v_fma_f64 v[229:230], -v[225:226], v[227:228], 1.0
	v_fma_f64 v[227:228], v[227:228], v[229:230], v[227:228]
	v_fma_f64 v[229:230], -v[225:226], v[227:228], 1.0
	v_fma_f64 v[227:228], v[227:228], v[229:230], v[227:228]
	v_mul_f64 v[229:230], v[231:232], v[227:228]
	v_fma_f64 v[225:226], -v[225:226], v[229:230], v[231:232]
	v_div_fmas_f64 v[225:226], v[225:226], v[227:228], v[229:230]
	v_div_fixup_f64 v[225:226], v[225:226], v[212:213], v[210:211]
	v_fma_f64 v[210:211], v[210:211], v[225:226], v[212:213]
	v_div_scale_f64 v[212:213], null, v[210:211], v[210:211], 1.0
	v_rcp_f64_e32 v[227:228], v[212:213]
	v_fma_f64 v[229:230], -v[212:213], v[227:228], 1.0
	v_fma_f64 v[227:228], v[227:228], v[229:230], v[227:228]
	v_fma_f64 v[229:230], -v[212:213], v[227:228], 1.0
	v_fma_f64 v[227:228], v[227:228], v[229:230], v[227:228]
	v_div_scale_f64 v[229:230], vcc_lo, 1.0, v[210:211], 1.0
	v_mul_f64 v[231:232], v[229:230], v[227:228]
	v_fma_f64 v[212:213], -v[212:213], v[231:232], v[229:230]
	v_div_fmas_f64 v[212:213], v[212:213], v[227:228], v[231:232]
	v_div_fixup_f64 v[212:213], v[212:213], v[210:211], 1.0
	v_mul_f64 v[210:211], v[225:226], v[212:213]
	v_xor_b32_e32 v213, 0x80000000, v213
.LBB102_805:
	s_andn2_saveexec_b32 s1, s1
	s_cbranch_execz .LBB102_807
; %bb.806:
	v_div_scale_f64 v[225:226], null, v[210:211], v[210:211], v[212:213]
	v_div_scale_f64 v[231:232], vcc_lo, v[212:213], v[210:211], v[212:213]
	v_rcp_f64_e32 v[227:228], v[225:226]
	v_fma_f64 v[229:230], -v[225:226], v[227:228], 1.0
	v_fma_f64 v[227:228], v[227:228], v[229:230], v[227:228]
	v_fma_f64 v[229:230], -v[225:226], v[227:228], 1.0
	v_fma_f64 v[227:228], v[227:228], v[229:230], v[227:228]
	v_mul_f64 v[229:230], v[231:232], v[227:228]
	v_fma_f64 v[225:226], -v[225:226], v[229:230], v[231:232]
	v_div_fmas_f64 v[225:226], v[225:226], v[227:228], v[229:230]
	v_div_fixup_f64 v[225:226], v[225:226], v[210:211], v[212:213]
	v_fma_f64 v[210:211], v[212:213], v[225:226], v[210:211]
	v_div_scale_f64 v[212:213], null, v[210:211], v[210:211], 1.0
	v_rcp_f64_e32 v[227:228], v[212:213]
	v_fma_f64 v[229:230], -v[212:213], v[227:228], 1.0
	v_fma_f64 v[227:228], v[227:228], v[229:230], v[227:228]
	v_fma_f64 v[229:230], -v[212:213], v[227:228], 1.0
	v_fma_f64 v[227:228], v[227:228], v[229:230], v[227:228]
	v_div_scale_f64 v[229:230], vcc_lo, 1.0, v[210:211], 1.0
	v_mul_f64 v[231:232], v[229:230], v[227:228]
	v_fma_f64 v[212:213], -v[212:213], v[231:232], v[229:230]
	v_div_fmas_f64 v[212:213], v[212:213], v[227:228], v[231:232]
	v_div_fixup_f64 v[210:211], v[212:213], v[210:211], 1.0
	v_mul_f64 v[212:213], v[225:226], -v[210:211]
.LBB102_807:
	s_or_b32 exec_lo, exec_lo, s1
.LBB102_808:
	s_or_b32 exec_lo, exec_lo, s0
	s_mov_b32 s0, exec_lo
	v_cmpx_ne_u32_e64 v224, v218
	s_xor_b32 s0, exec_lo, s0
	s_cbranch_execz .LBB102_814
; %bb.809:
	s_mov_b32 s1, exec_lo
	v_cmpx_eq_u32_e32 38, v224
	s_cbranch_execz .LBB102_813
; %bb.810:
	v_cmp_ne_u32_e32 vcc_lo, 38, v218
	s_xor_b32 s7, s16, -1
	s_and_b32 s9, s7, vcc_lo
	s_and_saveexec_b32 s7, s9
	s_cbranch_execz .LBB102_812
; %bb.811:
	v_ashrrev_i32_e32 v219, 31, v218
	v_lshlrev_b64 v[224:225], 2, v[218:219]
	v_add_co_u32 v224, vcc_lo, v216, v224
	v_add_co_ci_u32_e64 v225, null, v217, v225, vcc_lo
	s_clause 0x1
	global_load_dword v0, v[224:225], off
	global_load_dword v219, v[216:217], off offset:152
	s_waitcnt vmcnt(1)
	global_store_dword v[216:217], v0, off offset:152
	s_waitcnt vmcnt(0)
	global_store_dword v[224:225], v219, off
.LBB102_812:
	s_or_b32 exec_lo, exec_lo, s7
	v_mov_b32_e32 v224, v218
	v_mov_b32_e32 v0, v218
.LBB102_813:
	s_or_b32 exec_lo, exec_lo, s1
.LBB102_814:
	s_andn2_saveexec_b32 s0, s0
	s_cbranch_execz .LBB102_816
; %bb.815:
	v_mov_b32_e32 v224, 38
	ds_write2_b64 v1, v[50:51], v[52:53] offset0:78 offset1:79
	ds_write2_b64 v1, v[46:47], v[48:49] offset0:80 offset1:81
	;; [unrolled: 1-line block ×13, first 2 shown]
.LBB102_816:
	s_or_b32 exec_lo, exec_lo, s0
	s_mov_b32 s0, exec_lo
	s_waitcnt lgkmcnt(0)
	s_waitcnt_vscnt null, 0x0
	s_barrier
	buffer_gl0_inv
	v_cmpx_lt_i32_e32 38, v224
	s_cbranch_execz .LBB102_818
; %bb.817:
	v_mul_f64 v[218:219], v[210:211], v[56:57]
	v_mul_f64 v[56:57], v[212:213], v[56:57]
	v_fma_f64 v[218:219], v[212:213], v[54:55], v[218:219]
	v_fma_f64 v[54:55], v[210:211], v[54:55], -v[56:57]
	ds_read2_b64 v[210:213], v1 offset0:78 offset1:79
	s_waitcnt lgkmcnt(0)
	v_mul_f64 v[56:57], v[212:213], v[218:219]
	v_fma_f64 v[56:57], v[210:211], v[54:55], -v[56:57]
	v_mul_f64 v[210:211], v[210:211], v[218:219]
	v_add_f64 v[50:51], v[50:51], -v[56:57]
	v_fma_f64 v[210:211], v[212:213], v[54:55], v[210:211]
	v_add_f64 v[52:53], v[52:53], -v[210:211]
	ds_read2_b64 v[210:213], v1 offset0:80 offset1:81
	s_waitcnt lgkmcnt(0)
	v_mul_f64 v[56:57], v[212:213], v[218:219]
	v_fma_f64 v[56:57], v[210:211], v[54:55], -v[56:57]
	v_mul_f64 v[210:211], v[210:211], v[218:219]
	v_add_f64 v[46:47], v[46:47], -v[56:57]
	v_fma_f64 v[210:211], v[212:213], v[54:55], v[210:211]
	v_add_f64 v[48:49], v[48:49], -v[210:211]
	;; [unrolled: 8-line block ×12, first 2 shown]
	ds_read2_b64 v[210:213], v1 offset0:102 offset1:103
	s_waitcnt lgkmcnt(0)
	v_mul_f64 v[56:57], v[212:213], v[218:219]
	v_fma_f64 v[56:57], v[210:211], v[54:55], -v[56:57]
	v_mul_f64 v[210:211], v[210:211], v[218:219]
	v_add_f64 v[2:3], v[2:3], -v[56:57]
	v_fma_f64 v[210:211], v[212:213], v[54:55], v[210:211]
	v_mov_b32_e32 v56, v218
	v_mov_b32_e32 v57, v219
	v_add_f64 v[4:5], v[4:5], -v[210:211]
.LBB102_818:
	s_or_b32 exec_lo, exec_lo, s0
	v_lshl_add_u32 v210, v224, 4, v1
	s_barrier
	buffer_gl0_inv
	v_mov_b32_e32 v218, 39
	ds_write2_b64 v210, v[50:51], v[52:53] offset1:1
	s_waitcnt lgkmcnt(0)
	s_barrier
	buffer_gl0_inv
	ds_read2_b64 v[210:213], v1 offset0:78 offset1:79
	s_cmp_lt_i32 s8, 41
	s_cbranch_scc1 .LBB102_821
; %bb.819:
	v_add3_u32 v219, v220, 0, 0x280
	v_mov_b32_e32 v218, 39
	s_mov_b32 s1, 40
	s_inst_prefetch 0x1
	.p2align	6
.LBB102_820:                            ; =>This Inner Loop Header: Depth=1
	s_waitcnt lgkmcnt(0)
	v_cmp_gt_f64_e32 vcc_lo, 0, v[212:213]
	v_cmp_gt_f64_e64 s0, 0, v[210:211]
	ds_read2_b64 v[225:228], v219 offset1:1
	v_xor_b32_e32 v230, 0x80000000, v211
	v_xor_b32_e32 v232, 0x80000000, v213
	v_mov_b32_e32 v229, v210
	v_mov_b32_e32 v231, v212
	v_add_nc_u32_e32 v219, 16, v219
	s_waitcnt lgkmcnt(0)
	v_xor_b32_e32 v234, 0x80000000, v228
	v_cndmask_b32_e64 v230, v211, v230, s0
	v_cndmask_b32_e32 v232, v213, v232, vcc_lo
	v_cmp_gt_f64_e32 vcc_lo, 0, v[227:228]
	v_cmp_gt_f64_e64 s0, 0, v[225:226]
	v_mov_b32_e32 v233, v227
	v_add_f64 v[229:230], v[229:230], v[231:232]
	v_xor_b32_e32 v232, 0x80000000, v226
	v_mov_b32_e32 v231, v225
	v_cndmask_b32_e32 v234, v228, v234, vcc_lo
	v_cndmask_b32_e64 v232, v226, v232, s0
	v_add_f64 v[231:232], v[231:232], v[233:234]
	v_cmp_lt_f64_e32 vcc_lo, v[229:230], v[231:232]
	v_cndmask_b32_e32 v211, v211, v226, vcc_lo
	v_cndmask_b32_e32 v210, v210, v225, vcc_lo
	;; [unrolled: 1-line block ×4, first 2 shown]
	v_cndmask_b32_e64 v218, v218, s1, vcc_lo
	s_add_i32 s1, s1, 1
	s_cmp_lg_u32 s8, s1
	s_cbranch_scc1 .LBB102_820
.LBB102_821:
	s_inst_prefetch 0x2
	s_waitcnt lgkmcnt(0)
	v_cmp_eq_f64_e32 vcc_lo, 0, v[210:211]
	v_cmp_eq_f64_e64 s0, 0, v[212:213]
	s_and_b32 s0, vcc_lo, s0
	s_and_saveexec_b32 s1, s0
	s_xor_b32 s0, exec_lo, s1
; %bb.822:
	v_cmp_ne_u32_e32 vcc_lo, 0, v223
	v_cndmask_b32_e32 v223, 40, v223, vcc_lo
; %bb.823:
	s_andn2_saveexec_b32 s0, s0
	s_cbranch_execz .LBB102_829
; %bb.824:
	v_cmp_ngt_f64_e64 s1, |v[210:211]|, |v[212:213]|
	s_and_saveexec_b32 s7, s1
	s_xor_b32 s1, exec_lo, s7
	s_cbranch_execz .LBB102_826
; %bb.825:
	v_div_scale_f64 v[225:226], null, v[212:213], v[212:213], v[210:211]
	v_div_scale_f64 v[231:232], vcc_lo, v[210:211], v[212:213], v[210:211]
	v_rcp_f64_e32 v[227:228], v[225:226]
	v_fma_f64 v[229:230], -v[225:226], v[227:228], 1.0
	v_fma_f64 v[227:228], v[227:228], v[229:230], v[227:228]
	v_fma_f64 v[229:230], -v[225:226], v[227:228], 1.0
	v_fma_f64 v[227:228], v[227:228], v[229:230], v[227:228]
	v_mul_f64 v[229:230], v[231:232], v[227:228]
	v_fma_f64 v[225:226], -v[225:226], v[229:230], v[231:232]
	v_div_fmas_f64 v[225:226], v[225:226], v[227:228], v[229:230]
	v_div_fixup_f64 v[225:226], v[225:226], v[212:213], v[210:211]
	v_fma_f64 v[210:211], v[210:211], v[225:226], v[212:213]
	v_div_scale_f64 v[212:213], null, v[210:211], v[210:211], 1.0
	v_rcp_f64_e32 v[227:228], v[212:213]
	v_fma_f64 v[229:230], -v[212:213], v[227:228], 1.0
	v_fma_f64 v[227:228], v[227:228], v[229:230], v[227:228]
	v_fma_f64 v[229:230], -v[212:213], v[227:228], 1.0
	v_fma_f64 v[227:228], v[227:228], v[229:230], v[227:228]
	v_div_scale_f64 v[229:230], vcc_lo, 1.0, v[210:211], 1.0
	v_mul_f64 v[231:232], v[229:230], v[227:228]
	v_fma_f64 v[212:213], -v[212:213], v[231:232], v[229:230]
	v_div_fmas_f64 v[212:213], v[212:213], v[227:228], v[231:232]
	v_div_fixup_f64 v[212:213], v[212:213], v[210:211], 1.0
	v_mul_f64 v[210:211], v[225:226], v[212:213]
	v_xor_b32_e32 v213, 0x80000000, v213
.LBB102_826:
	s_andn2_saveexec_b32 s1, s1
	s_cbranch_execz .LBB102_828
; %bb.827:
	v_div_scale_f64 v[225:226], null, v[210:211], v[210:211], v[212:213]
	v_div_scale_f64 v[231:232], vcc_lo, v[212:213], v[210:211], v[212:213]
	v_rcp_f64_e32 v[227:228], v[225:226]
	v_fma_f64 v[229:230], -v[225:226], v[227:228], 1.0
	v_fma_f64 v[227:228], v[227:228], v[229:230], v[227:228]
	v_fma_f64 v[229:230], -v[225:226], v[227:228], 1.0
	v_fma_f64 v[227:228], v[227:228], v[229:230], v[227:228]
	v_mul_f64 v[229:230], v[231:232], v[227:228]
	v_fma_f64 v[225:226], -v[225:226], v[229:230], v[231:232]
	v_div_fmas_f64 v[225:226], v[225:226], v[227:228], v[229:230]
	v_div_fixup_f64 v[225:226], v[225:226], v[210:211], v[212:213]
	v_fma_f64 v[210:211], v[212:213], v[225:226], v[210:211]
	v_div_scale_f64 v[212:213], null, v[210:211], v[210:211], 1.0
	v_rcp_f64_e32 v[227:228], v[212:213]
	v_fma_f64 v[229:230], -v[212:213], v[227:228], 1.0
	v_fma_f64 v[227:228], v[227:228], v[229:230], v[227:228]
	v_fma_f64 v[229:230], -v[212:213], v[227:228], 1.0
	v_fma_f64 v[227:228], v[227:228], v[229:230], v[227:228]
	v_div_scale_f64 v[229:230], vcc_lo, 1.0, v[210:211], 1.0
	v_mul_f64 v[231:232], v[229:230], v[227:228]
	v_fma_f64 v[212:213], -v[212:213], v[231:232], v[229:230]
	v_div_fmas_f64 v[212:213], v[212:213], v[227:228], v[231:232]
	v_div_fixup_f64 v[210:211], v[212:213], v[210:211], 1.0
	v_mul_f64 v[212:213], v[225:226], -v[210:211]
.LBB102_828:
	s_or_b32 exec_lo, exec_lo, s1
.LBB102_829:
	s_or_b32 exec_lo, exec_lo, s0
	s_mov_b32 s0, exec_lo
	v_cmpx_ne_u32_e64 v224, v218
	s_xor_b32 s0, exec_lo, s0
	s_cbranch_execz .LBB102_835
; %bb.830:
	s_mov_b32 s1, exec_lo
	v_cmpx_eq_u32_e32 39, v224
	s_cbranch_execz .LBB102_834
; %bb.831:
	v_cmp_ne_u32_e32 vcc_lo, 39, v218
	s_xor_b32 s7, s16, -1
	s_and_b32 s9, s7, vcc_lo
	s_and_saveexec_b32 s7, s9
	s_cbranch_execz .LBB102_833
; %bb.832:
	v_ashrrev_i32_e32 v219, 31, v218
	v_lshlrev_b64 v[224:225], 2, v[218:219]
	v_add_co_u32 v224, vcc_lo, v216, v224
	v_add_co_ci_u32_e64 v225, null, v217, v225, vcc_lo
	s_clause 0x1
	global_load_dword v0, v[224:225], off
	global_load_dword v219, v[216:217], off offset:156
	s_waitcnt vmcnt(1)
	global_store_dword v[216:217], v0, off offset:156
	s_waitcnt vmcnt(0)
	global_store_dword v[224:225], v219, off
.LBB102_833:
	s_or_b32 exec_lo, exec_lo, s7
	v_mov_b32_e32 v224, v218
	v_mov_b32_e32 v0, v218
.LBB102_834:
	s_or_b32 exec_lo, exec_lo, s1
.LBB102_835:
	s_andn2_saveexec_b32 s0, s0
	s_cbranch_execz .LBB102_837
; %bb.836:
	v_mov_b32_e32 v224, 39
	ds_write2_b64 v1, v[46:47], v[48:49] offset0:80 offset1:81
	ds_write2_b64 v1, v[42:43], v[44:45] offset0:82 offset1:83
	ds_write2_b64 v1, v[38:39], v[40:41] offset0:84 offset1:85
	ds_write2_b64 v1, v[34:35], v[36:37] offset0:86 offset1:87
	ds_write2_b64 v1, v[30:31], v[32:33] offset0:88 offset1:89
	ds_write2_b64 v1, v[26:27], v[28:29] offset0:90 offset1:91
	ds_write2_b64 v1, v[22:23], v[24:25] offset0:92 offset1:93
	ds_write2_b64 v1, v[18:19], v[20:21] offset0:94 offset1:95
	ds_write2_b64 v1, v[14:15], v[16:17] offset0:96 offset1:97
	ds_write2_b64 v1, v[10:11], v[12:13] offset0:98 offset1:99
	ds_write2_b64 v1, v[6:7], v[8:9] offset0:100 offset1:101
	ds_write2_b64 v1, v[2:3], v[4:5] offset0:102 offset1:103
.LBB102_837:
	s_or_b32 exec_lo, exec_lo, s0
	s_mov_b32 s0, exec_lo
	s_waitcnt lgkmcnt(0)
	s_waitcnt_vscnt null, 0x0
	s_barrier
	buffer_gl0_inv
	v_cmpx_lt_i32_e32 39, v224
	s_cbranch_execz .LBB102_839
; %bb.838:
	v_mul_f64 v[218:219], v[210:211], v[52:53]
	v_mul_f64 v[52:53], v[212:213], v[52:53]
	v_fma_f64 v[218:219], v[212:213], v[50:51], v[218:219]
	v_fma_f64 v[50:51], v[210:211], v[50:51], -v[52:53]
	ds_read2_b64 v[210:213], v1 offset0:80 offset1:81
	s_waitcnt lgkmcnt(0)
	v_mul_f64 v[52:53], v[212:213], v[218:219]
	v_fma_f64 v[52:53], v[210:211], v[50:51], -v[52:53]
	v_mul_f64 v[210:211], v[210:211], v[218:219]
	v_add_f64 v[46:47], v[46:47], -v[52:53]
	v_fma_f64 v[210:211], v[212:213], v[50:51], v[210:211]
	v_add_f64 v[48:49], v[48:49], -v[210:211]
	ds_read2_b64 v[210:213], v1 offset0:82 offset1:83
	s_waitcnt lgkmcnt(0)
	v_mul_f64 v[52:53], v[212:213], v[218:219]
	v_fma_f64 v[52:53], v[210:211], v[50:51], -v[52:53]
	v_mul_f64 v[210:211], v[210:211], v[218:219]
	v_add_f64 v[42:43], v[42:43], -v[52:53]
	v_fma_f64 v[210:211], v[212:213], v[50:51], v[210:211]
	v_add_f64 v[44:45], v[44:45], -v[210:211]
	;; [unrolled: 8-line block ×11, first 2 shown]
	ds_read2_b64 v[210:213], v1 offset0:102 offset1:103
	s_waitcnt lgkmcnt(0)
	v_mul_f64 v[52:53], v[212:213], v[218:219]
	v_fma_f64 v[52:53], v[210:211], v[50:51], -v[52:53]
	v_mul_f64 v[210:211], v[210:211], v[218:219]
	v_add_f64 v[2:3], v[2:3], -v[52:53]
	v_fma_f64 v[210:211], v[212:213], v[50:51], v[210:211]
	v_mov_b32_e32 v52, v218
	v_mov_b32_e32 v53, v219
	v_add_f64 v[4:5], v[4:5], -v[210:211]
.LBB102_839:
	s_or_b32 exec_lo, exec_lo, s0
	v_lshl_add_u32 v210, v224, 4, v1
	s_barrier
	buffer_gl0_inv
	v_mov_b32_e32 v218, 40
	ds_write2_b64 v210, v[46:47], v[48:49] offset1:1
	s_waitcnt lgkmcnt(0)
	s_barrier
	buffer_gl0_inv
	ds_read2_b64 v[210:213], v1 offset0:80 offset1:81
	s_cmp_lt_i32 s8, 42
	s_cbranch_scc1 .LBB102_842
; %bb.840:
	v_add3_u32 v219, v220, 0, 0x290
	v_mov_b32_e32 v218, 40
	s_mov_b32 s1, 41
	s_inst_prefetch 0x1
	.p2align	6
.LBB102_841:                            ; =>This Inner Loop Header: Depth=1
	s_waitcnt lgkmcnt(0)
	v_cmp_gt_f64_e32 vcc_lo, 0, v[212:213]
	v_cmp_gt_f64_e64 s0, 0, v[210:211]
	ds_read2_b64 v[225:228], v219 offset1:1
	v_xor_b32_e32 v230, 0x80000000, v211
	v_xor_b32_e32 v232, 0x80000000, v213
	v_mov_b32_e32 v229, v210
	v_mov_b32_e32 v231, v212
	v_add_nc_u32_e32 v219, 16, v219
	s_waitcnt lgkmcnt(0)
	v_xor_b32_e32 v234, 0x80000000, v228
	v_cndmask_b32_e64 v230, v211, v230, s0
	v_cndmask_b32_e32 v232, v213, v232, vcc_lo
	v_cmp_gt_f64_e32 vcc_lo, 0, v[227:228]
	v_cmp_gt_f64_e64 s0, 0, v[225:226]
	v_mov_b32_e32 v233, v227
	v_add_f64 v[229:230], v[229:230], v[231:232]
	v_xor_b32_e32 v232, 0x80000000, v226
	v_mov_b32_e32 v231, v225
	v_cndmask_b32_e32 v234, v228, v234, vcc_lo
	v_cndmask_b32_e64 v232, v226, v232, s0
	v_add_f64 v[231:232], v[231:232], v[233:234]
	v_cmp_lt_f64_e32 vcc_lo, v[229:230], v[231:232]
	v_cndmask_b32_e32 v211, v211, v226, vcc_lo
	v_cndmask_b32_e32 v210, v210, v225, vcc_lo
	;; [unrolled: 1-line block ×4, first 2 shown]
	v_cndmask_b32_e64 v218, v218, s1, vcc_lo
	s_add_i32 s1, s1, 1
	s_cmp_lg_u32 s8, s1
	s_cbranch_scc1 .LBB102_841
.LBB102_842:
	s_inst_prefetch 0x2
	s_waitcnt lgkmcnt(0)
	v_cmp_eq_f64_e32 vcc_lo, 0, v[210:211]
	v_cmp_eq_f64_e64 s0, 0, v[212:213]
	s_and_b32 s0, vcc_lo, s0
	s_and_saveexec_b32 s1, s0
	s_xor_b32 s0, exec_lo, s1
; %bb.843:
	v_cmp_ne_u32_e32 vcc_lo, 0, v223
	v_cndmask_b32_e32 v223, 41, v223, vcc_lo
; %bb.844:
	s_andn2_saveexec_b32 s0, s0
	s_cbranch_execz .LBB102_850
; %bb.845:
	v_cmp_ngt_f64_e64 s1, |v[210:211]|, |v[212:213]|
	s_and_saveexec_b32 s7, s1
	s_xor_b32 s1, exec_lo, s7
	s_cbranch_execz .LBB102_847
; %bb.846:
	v_div_scale_f64 v[225:226], null, v[212:213], v[212:213], v[210:211]
	v_div_scale_f64 v[231:232], vcc_lo, v[210:211], v[212:213], v[210:211]
	v_rcp_f64_e32 v[227:228], v[225:226]
	v_fma_f64 v[229:230], -v[225:226], v[227:228], 1.0
	v_fma_f64 v[227:228], v[227:228], v[229:230], v[227:228]
	v_fma_f64 v[229:230], -v[225:226], v[227:228], 1.0
	v_fma_f64 v[227:228], v[227:228], v[229:230], v[227:228]
	v_mul_f64 v[229:230], v[231:232], v[227:228]
	v_fma_f64 v[225:226], -v[225:226], v[229:230], v[231:232]
	v_div_fmas_f64 v[225:226], v[225:226], v[227:228], v[229:230]
	v_div_fixup_f64 v[225:226], v[225:226], v[212:213], v[210:211]
	v_fma_f64 v[210:211], v[210:211], v[225:226], v[212:213]
	v_div_scale_f64 v[212:213], null, v[210:211], v[210:211], 1.0
	v_rcp_f64_e32 v[227:228], v[212:213]
	v_fma_f64 v[229:230], -v[212:213], v[227:228], 1.0
	v_fma_f64 v[227:228], v[227:228], v[229:230], v[227:228]
	v_fma_f64 v[229:230], -v[212:213], v[227:228], 1.0
	v_fma_f64 v[227:228], v[227:228], v[229:230], v[227:228]
	v_div_scale_f64 v[229:230], vcc_lo, 1.0, v[210:211], 1.0
	v_mul_f64 v[231:232], v[229:230], v[227:228]
	v_fma_f64 v[212:213], -v[212:213], v[231:232], v[229:230]
	v_div_fmas_f64 v[212:213], v[212:213], v[227:228], v[231:232]
	v_div_fixup_f64 v[212:213], v[212:213], v[210:211], 1.0
	v_mul_f64 v[210:211], v[225:226], v[212:213]
	v_xor_b32_e32 v213, 0x80000000, v213
.LBB102_847:
	s_andn2_saveexec_b32 s1, s1
	s_cbranch_execz .LBB102_849
; %bb.848:
	v_div_scale_f64 v[225:226], null, v[210:211], v[210:211], v[212:213]
	v_div_scale_f64 v[231:232], vcc_lo, v[212:213], v[210:211], v[212:213]
	v_rcp_f64_e32 v[227:228], v[225:226]
	v_fma_f64 v[229:230], -v[225:226], v[227:228], 1.0
	v_fma_f64 v[227:228], v[227:228], v[229:230], v[227:228]
	v_fma_f64 v[229:230], -v[225:226], v[227:228], 1.0
	v_fma_f64 v[227:228], v[227:228], v[229:230], v[227:228]
	v_mul_f64 v[229:230], v[231:232], v[227:228]
	v_fma_f64 v[225:226], -v[225:226], v[229:230], v[231:232]
	v_div_fmas_f64 v[225:226], v[225:226], v[227:228], v[229:230]
	v_div_fixup_f64 v[225:226], v[225:226], v[210:211], v[212:213]
	v_fma_f64 v[210:211], v[212:213], v[225:226], v[210:211]
	v_div_scale_f64 v[212:213], null, v[210:211], v[210:211], 1.0
	v_rcp_f64_e32 v[227:228], v[212:213]
	v_fma_f64 v[229:230], -v[212:213], v[227:228], 1.0
	v_fma_f64 v[227:228], v[227:228], v[229:230], v[227:228]
	v_fma_f64 v[229:230], -v[212:213], v[227:228], 1.0
	v_fma_f64 v[227:228], v[227:228], v[229:230], v[227:228]
	v_div_scale_f64 v[229:230], vcc_lo, 1.0, v[210:211], 1.0
	v_mul_f64 v[231:232], v[229:230], v[227:228]
	v_fma_f64 v[212:213], -v[212:213], v[231:232], v[229:230]
	v_div_fmas_f64 v[212:213], v[212:213], v[227:228], v[231:232]
	v_div_fixup_f64 v[210:211], v[212:213], v[210:211], 1.0
	v_mul_f64 v[212:213], v[225:226], -v[210:211]
.LBB102_849:
	s_or_b32 exec_lo, exec_lo, s1
.LBB102_850:
	s_or_b32 exec_lo, exec_lo, s0
	s_mov_b32 s0, exec_lo
	v_cmpx_ne_u32_e64 v224, v218
	s_xor_b32 s0, exec_lo, s0
	s_cbranch_execz .LBB102_856
; %bb.851:
	s_mov_b32 s1, exec_lo
	v_cmpx_eq_u32_e32 40, v224
	s_cbranch_execz .LBB102_855
; %bb.852:
	v_cmp_ne_u32_e32 vcc_lo, 40, v218
	s_xor_b32 s7, s16, -1
	s_and_b32 s9, s7, vcc_lo
	s_and_saveexec_b32 s7, s9
	s_cbranch_execz .LBB102_854
; %bb.853:
	v_ashrrev_i32_e32 v219, 31, v218
	v_lshlrev_b64 v[224:225], 2, v[218:219]
	v_add_co_u32 v224, vcc_lo, v216, v224
	v_add_co_ci_u32_e64 v225, null, v217, v225, vcc_lo
	s_clause 0x1
	global_load_dword v0, v[224:225], off
	global_load_dword v219, v[216:217], off offset:160
	s_waitcnt vmcnt(1)
	global_store_dword v[216:217], v0, off offset:160
	s_waitcnt vmcnt(0)
	global_store_dword v[224:225], v219, off
.LBB102_854:
	s_or_b32 exec_lo, exec_lo, s7
	v_mov_b32_e32 v224, v218
	v_mov_b32_e32 v0, v218
.LBB102_855:
	s_or_b32 exec_lo, exec_lo, s1
.LBB102_856:
	s_andn2_saveexec_b32 s0, s0
	s_cbranch_execz .LBB102_858
; %bb.857:
	v_mov_b32_e32 v224, 40
	ds_write2_b64 v1, v[42:43], v[44:45] offset0:82 offset1:83
	ds_write2_b64 v1, v[38:39], v[40:41] offset0:84 offset1:85
	ds_write2_b64 v1, v[34:35], v[36:37] offset0:86 offset1:87
	ds_write2_b64 v1, v[30:31], v[32:33] offset0:88 offset1:89
	ds_write2_b64 v1, v[26:27], v[28:29] offset0:90 offset1:91
	ds_write2_b64 v1, v[22:23], v[24:25] offset0:92 offset1:93
	ds_write2_b64 v1, v[18:19], v[20:21] offset0:94 offset1:95
	ds_write2_b64 v1, v[14:15], v[16:17] offset0:96 offset1:97
	ds_write2_b64 v1, v[10:11], v[12:13] offset0:98 offset1:99
	ds_write2_b64 v1, v[6:7], v[8:9] offset0:100 offset1:101
	ds_write2_b64 v1, v[2:3], v[4:5] offset0:102 offset1:103
.LBB102_858:
	s_or_b32 exec_lo, exec_lo, s0
	s_mov_b32 s0, exec_lo
	s_waitcnt lgkmcnt(0)
	s_waitcnt_vscnt null, 0x0
	s_barrier
	buffer_gl0_inv
	v_cmpx_lt_i32_e32 40, v224
	s_cbranch_execz .LBB102_860
; %bb.859:
	v_mul_f64 v[218:219], v[210:211], v[48:49]
	v_mul_f64 v[48:49], v[212:213], v[48:49]
	v_fma_f64 v[218:219], v[212:213], v[46:47], v[218:219]
	v_fma_f64 v[46:47], v[210:211], v[46:47], -v[48:49]
	ds_read2_b64 v[210:213], v1 offset0:82 offset1:83
	s_waitcnt lgkmcnt(0)
	v_mul_f64 v[48:49], v[212:213], v[218:219]
	v_fma_f64 v[48:49], v[210:211], v[46:47], -v[48:49]
	v_mul_f64 v[210:211], v[210:211], v[218:219]
	v_add_f64 v[42:43], v[42:43], -v[48:49]
	v_fma_f64 v[210:211], v[212:213], v[46:47], v[210:211]
	v_add_f64 v[44:45], v[44:45], -v[210:211]
	ds_read2_b64 v[210:213], v1 offset0:84 offset1:85
	s_waitcnt lgkmcnt(0)
	v_mul_f64 v[48:49], v[212:213], v[218:219]
	v_fma_f64 v[48:49], v[210:211], v[46:47], -v[48:49]
	v_mul_f64 v[210:211], v[210:211], v[218:219]
	v_add_f64 v[38:39], v[38:39], -v[48:49]
	v_fma_f64 v[210:211], v[212:213], v[46:47], v[210:211]
	v_add_f64 v[40:41], v[40:41], -v[210:211]
	;; [unrolled: 8-line block ×10, first 2 shown]
	ds_read2_b64 v[210:213], v1 offset0:102 offset1:103
	s_waitcnt lgkmcnt(0)
	v_mul_f64 v[48:49], v[212:213], v[218:219]
	v_fma_f64 v[48:49], v[210:211], v[46:47], -v[48:49]
	v_mul_f64 v[210:211], v[210:211], v[218:219]
	v_add_f64 v[2:3], v[2:3], -v[48:49]
	v_fma_f64 v[210:211], v[212:213], v[46:47], v[210:211]
	v_mov_b32_e32 v48, v218
	v_mov_b32_e32 v49, v219
	v_add_f64 v[4:5], v[4:5], -v[210:211]
.LBB102_860:
	s_or_b32 exec_lo, exec_lo, s0
	v_lshl_add_u32 v210, v224, 4, v1
	s_barrier
	buffer_gl0_inv
	v_mov_b32_e32 v218, 41
	ds_write2_b64 v210, v[42:43], v[44:45] offset1:1
	s_waitcnt lgkmcnt(0)
	s_barrier
	buffer_gl0_inv
	ds_read2_b64 v[210:213], v1 offset0:82 offset1:83
	s_cmp_lt_i32 s8, 43
	s_cbranch_scc1 .LBB102_863
; %bb.861:
	v_add3_u32 v219, v220, 0, 0x2a0
	v_mov_b32_e32 v218, 41
	s_mov_b32 s1, 42
	s_inst_prefetch 0x1
	.p2align	6
.LBB102_862:                            ; =>This Inner Loop Header: Depth=1
	s_waitcnt lgkmcnt(0)
	v_cmp_gt_f64_e32 vcc_lo, 0, v[212:213]
	v_cmp_gt_f64_e64 s0, 0, v[210:211]
	ds_read2_b64 v[225:228], v219 offset1:1
	v_xor_b32_e32 v230, 0x80000000, v211
	v_xor_b32_e32 v232, 0x80000000, v213
	v_mov_b32_e32 v229, v210
	v_mov_b32_e32 v231, v212
	v_add_nc_u32_e32 v219, 16, v219
	s_waitcnt lgkmcnt(0)
	v_xor_b32_e32 v234, 0x80000000, v228
	v_cndmask_b32_e64 v230, v211, v230, s0
	v_cndmask_b32_e32 v232, v213, v232, vcc_lo
	v_cmp_gt_f64_e32 vcc_lo, 0, v[227:228]
	v_cmp_gt_f64_e64 s0, 0, v[225:226]
	v_mov_b32_e32 v233, v227
	v_add_f64 v[229:230], v[229:230], v[231:232]
	v_xor_b32_e32 v232, 0x80000000, v226
	v_mov_b32_e32 v231, v225
	v_cndmask_b32_e32 v234, v228, v234, vcc_lo
	v_cndmask_b32_e64 v232, v226, v232, s0
	v_add_f64 v[231:232], v[231:232], v[233:234]
	v_cmp_lt_f64_e32 vcc_lo, v[229:230], v[231:232]
	v_cndmask_b32_e32 v211, v211, v226, vcc_lo
	v_cndmask_b32_e32 v210, v210, v225, vcc_lo
	;; [unrolled: 1-line block ×4, first 2 shown]
	v_cndmask_b32_e64 v218, v218, s1, vcc_lo
	s_add_i32 s1, s1, 1
	s_cmp_lg_u32 s8, s1
	s_cbranch_scc1 .LBB102_862
.LBB102_863:
	s_inst_prefetch 0x2
	s_waitcnt lgkmcnt(0)
	v_cmp_eq_f64_e32 vcc_lo, 0, v[210:211]
	v_cmp_eq_f64_e64 s0, 0, v[212:213]
	s_and_b32 s0, vcc_lo, s0
	s_and_saveexec_b32 s1, s0
	s_xor_b32 s0, exec_lo, s1
; %bb.864:
	v_cmp_ne_u32_e32 vcc_lo, 0, v223
	v_cndmask_b32_e32 v223, 42, v223, vcc_lo
; %bb.865:
	s_andn2_saveexec_b32 s0, s0
	s_cbranch_execz .LBB102_871
; %bb.866:
	v_cmp_ngt_f64_e64 s1, |v[210:211]|, |v[212:213]|
	s_and_saveexec_b32 s7, s1
	s_xor_b32 s1, exec_lo, s7
	s_cbranch_execz .LBB102_868
; %bb.867:
	v_div_scale_f64 v[225:226], null, v[212:213], v[212:213], v[210:211]
	v_div_scale_f64 v[231:232], vcc_lo, v[210:211], v[212:213], v[210:211]
	v_rcp_f64_e32 v[227:228], v[225:226]
	v_fma_f64 v[229:230], -v[225:226], v[227:228], 1.0
	v_fma_f64 v[227:228], v[227:228], v[229:230], v[227:228]
	v_fma_f64 v[229:230], -v[225:226], v[227:228], 1.0
	v_fma_f64 v[227:228], v[227:228], v[229:230], v[227:228]
	v_mul_f64 v[229:230], v[231:232], v[227:228]
	v_fma_f64 v[225:226], -v[225:226], v[229:230], v[231:232]
	v_div_fmas_f64 v[225:226], v[225:226], v[227:228], v[229:230]
	v_div_fixup_f64 v[225:226], v[225:226], v[212:213], v[210:211]
	v_fma_f64 v[210:211], v[210:211], v[225:226], v[212:213]
	v_div_scale_f64 v[212:213], null, v[210:211], v[210:211], 1.0
	v_rcp_f64_e32 v[227:228], v[212:213]
	v_fma_f64 v[229:230], -v[212:213], v[227:228], 1.0
	v_fma_f64 v[227:228], v[227:228], v[229:230], v[227:228]
	v_fma_f64 v[229:230], -v[212:213], v[227:228], 1.0
	v_fma_f64 v[227:228], v[227:228], v[229:230], v[227:228]
	v_div_scale_f64 v[229:230], vcc_lo, 1.0, v[210:211], 1.0
	v_mul_f64 v[231:232], v[229:230], v[227:228]
	v_fma_f64 v[212:213], -v[212:213], v[231:232], v[229:230]
	v_div_fmas_f64 v[212:213], v[212:213], v[227:228], v[231:232]
	v_div_fixup_f64 v[212:213], v[212:213], v[210:211], 1.0
	v_mul_f64 v[210:211], v[225:226], v[212:213]
	v_xor_b32_e32 v213, 0x80000000, v213
.LBB102_868:
	s_andn2_saveexec_b32 s1, s1
	s_cbranch_execz .LBB102_870
; %bb.869:
	v_div_scale_f64 v[225:226], null, v[210:211], v[210:211], v[212:213]
	v_div_scale_f64 v[231:232], vcc_lo, v[212:213], v[210:211], v[212:213]
	v_rcp_f64_e32 v[227:228], v[225:226]
	v_fma_f64 v[229:230], -v[225:226], v[227:228], 1.0
	v_fma_f64 v[227:228], v[227:228], v[229:230], v[227:228]
	v_fma_f64 v[229:230], -v[225:226], v[227:228], 1.0
	v_fma_f64 v[227:228], v[227:228], v[229:230], v[227:228]
	v_mul_f64 v[229:230], v[231:232], v[227:228]
	v_fma_f64 v[225:226], -v[225:226], v[229:230], v[231:232]
	v_div_fmas_f64 v[225:226], v[225:226], v[227:228], v[229:230]
	v_div_fixup_f64 v[225:226], v[225:226], v[210:211], v[212:213]
	v_fma_f64 v[210:211], v[212:213], v[225:226], v[210:211]
	v_div_scale_f64 v[212:213], null, v[210:211], v[210:211], 1.0
	v_rcp_f64_e32 v[227:228], v[212:213]
	v_fma_f64 v[229:230], -v[212:213], v[227:228], 1.0
	v_fma_f64 v[227:228], v[227:228], v[229:230], v[227:228]
	v_fma_f64 v[229:230], -v[212:213], v[227:228], 1.0
	v_fma_f64 v[227:228], v[227:228], v[229:230], v[227:228]
	v_div_scale_f64 v[229:230], vcc_lo, 1.0, v[210:211], 1.0
	v_mul_f64 v[231:232], v[229:230], v[227:228]
	v_fma_f64 v[212:213], -v[212:213], v[231:232], v[229:230]
	v_div_fmas_f64 v[212:213], v[212:213], v[227:228], v[231:232]
	v_div_fixup_f64 v[210:211], v[212:213], v[210:211], 1.0
	v_mul_f64 v[212:213], v[225:226], -v[210:211]
.LBB102_870:
	s_or_b32 exec_lo, exec_lo, s1
.LBB102_871:
	s_or_b32 exec_lo, exec_lo, s0
	s_mov_b32 s0, exec_lo
	v_cmpx_ne_u32_e64 v224, v218
	s_xor_b32 s0, exec_lo, s0
	s_cbranch_execz .LBB102_877
; %bb.872:
	s_mov_b32 s1, exec_lo
	v_cmpx_eq_u32_e32 41, v224
	s_cbranch_execz .LBB102_876
; %bb.873:
	v_cmp_ne_u32_e32 vcc_lo, 41, v218
	s_xor_b32 s7, s16, -1
	s_and_b32 s9, s7, vcc_lo
	s_and_saveexec_b32 s7, s9
	s_cbranch_execz .LBB102_875
; %bb.874:
	v_ashrrev_i32_e32 v219, 31, v218
	v_lshlrev_b64 v[224:225], 2, v[218:219]
	v_add_co_u32 v224, vcc_lo, v216, v224
	v_add_co_ci_u32_e64 v225, null, v217, v225, vcc_lo
	s_clause 0x1
	global_load_dword v0, v[224:225], off
	global_load_dword v219, v[216:217], off offset:164
	s_waitcnt vmcnt(1)
	global_store_dword v[216:217], v0, off offset:164
	s_waitcnt vmcnt(0)
	global_store_dword v[224:225], v219, off
.LBB102_875:
	s_or_b32 exec_lo, exec_lo, s7
	v_mov_b32_e32 v224, v218
	v_mov_b32_e32 v0, v218
.LBB102_876:
	s_or_b32 exec_lo, exec_lo, s1
.LBB102_877:
	s_andn2_saveexec_b32 s0, s0
	s_cbranch_execz .LBB102_879
; %bb.878:
	v_mov_b32_e32 v224, 41
	ds_write2_b64 v1, v[38:39], v[40:41] offset0:84 offset1:85
	ds_write2_b64 v1, v[34:35], v[36:37] offset0:86 offset1:87
	;; [unrolled: 1-line block ×10, first 2 shown]
.LBB102_879:
	s_or_b32 exec_lo, exec_lo, s0
	s_mov_b32 s0, exec_lo
	s_waitcnt lgkmcnt(0)
	s_waitcnt_vscnt null, 0x0
	s_barrier
	buffer_gl0_inv
	v_cmpx_lt_i32_e32 41, v224
	s_cbranch_execz .LBB102_881
; %bb.880:
	v_mul_f64 v[218:219], v[210:211], v[44:45]
	v_mul_f64 v[44:45], v[212:213], v[44:45]
	v_fma_f64 v[218:219], v[212:213], v[42:43], v[218:219]
	v_fma_f64 v[42:43], v[210:211], v[42:43], -v[44:45]
	ds_read2_b64 v[210:213], v1 offset0:84 offset1:85
	s_waitcnt lgkmcnt(0)
	v_mul_f64 v[44:45], v[212:213], v[218:219]
	v_fma_f64 v[44:45], v[210:211], v[42:43], -v[44:45]
	v_mul_f64 v[210:211], v[210:211], v[218:219]
	v_add_f64 v[38:39], v[38:39], -v[44:45]
	v_fma_f64 v[210:211], v[212:213], v[42:43], v[210:211]
	v_add_f64 v[40:41], v[40:41], -v[210:211]
	ds_read2_b64 v[210:213], v1 offset0:86 offset1:87
	s_waitcnt lgkmcnt(0)
	v_mul_f64 v[44:45], v[212:213], v[218:219]
	v_fma_f64 v[44:45], v[210:211], v[42:43], -v[44:45]
	v_mul_f64 v[210:211], v[210:211], v[218:219]
	v_add_f64 v[34:35], v[34:35], -v[44:45]
	v_fma_f64 v[210:211], v[212:213], v[42:43], v[210:211]
	v_add_f64 v[36:37], v[36:37], -v[210:211]
	ds_read2_b64 v[210:213], v1 offset0:88 offset1:89
	s_waitcnt lgkmcnt(0)
	v_mul_f64 v[44:45], v[212:213], v[218:219]
	v_fma_f64 v[44:45], v[210:211], v[42:43], -v[44:45]
	v_mul_f64 v[210:211], v[210:211], v[218:219]
	v_add_f64 v[30:31], v[30:31], -v[44:45]
	v_fma_f64 v[210:211], v[212:213], v[42:43], v[210:211]
	v_add_f64 v[32:33], v[32:33], -v[210:211]
	ds_read2_b64 v[210:213], v1 offset0:90 offset1:91
	s_waitcnt lgkmcnt(0)
	v_mul_f64 v[44:45], v[212:213], v[218:219]
	v_fma_f64 v[44:45], v[210:211], v[42:43], -v[44:45]
	v_mul_f64 v[210:211], v[210:211], v[218:219]
	v_add_f64 v[26:27], v[26:27], -v[44:45]
	v_fma_f64 v[210:211], v[212:213], v[42:43], v[210:211]
	v_add_f64 v[28:29], v[28:29], -v[210:211]
	ds_read2_b64 v[210:213], v1 offset0:92 offset1:93
	s_waitcnt lgkmcnt(0)
	v_mul_f64 v[44:45], v[212:213], v[218:219]
	v_fma_f64 v[44:45], v[210:211], v[42:43], -v[44:45]
	v_mul_f64 v[210:211], v[210:211], v[218:219]
	v_add_f64 v[22:23], v[22:23], -v[44:45]
	v_fma_f64 v[210:211], v[212:213], v[42:43], v[210:211]
	v_add_f64 v[24:25], v[24:25], -v[210:211]
	ds_read2_b64 v[210:213], v1 offset0:94 offset1:95
	s_waitcnt lgkmcnt(0)
	v_mul_f64 v[44:45], v[212:213], v[218:219]
	v_fma_f64 v[44:45], v[210:211], v[42:43], -v[44:45]
	v_mul_f64 v[210:211], v[210:211], v[218:219]
	v_add_f64 v[18:19], v[18:19], -v[44:45]
	v_fma_f64 v[210:211], v[212:213], v[42:43], v[210:211]
	v_add_f64 v[20:21], v[20:21], -v[210:211]
	ds_read2_b64 v[210:213], v1 offset0:96 offset1:97
	s_waitcnt lgkmcnt(0)
	v_mul_f64 v[44:45], v[212:213], v[218:219]
	v_fma_f64 v[44:45], v[210:211], v[42:43], -v[44:45]
	v_mul_f64 v[210:211], v[210:211], v[218:219]
	v_add_f64 v[14:15], v[14:15], -v[44:45]
	v_fma_f64 v[210:211], v[212:213], v[42:43], v[210:211]
	v_add_f64 v[16:17], v[16:17], -v[210:211]
	ds_read2_b64 v[210:213], v1 offset0:98 offset1:99
	s_waitcnt lgkmcnt(0)
	v_mul_f64 v[44:45], v[212:213], v[218:219]
	v_fma_f64 v[44:45], v[210:211], v[42:43], -v[44:45]
	v_mul_f64 v[210:211], v[210:211], v[218:219]
	v_add_f64 v[10:11], v[10:11], -v[44:45]
	v_fma_f64 v[210:211], v[212:213], v[42:43], v[210:211]
	v_add_f64 v[12:13], v[12:13], -v[210:211]
	ds_read2_b64 v[210:213], v1 offset0:100 offset1:101
	s_waitcnt lgkmcnt(0)
	v_mul_f64 v[44:45], v[212:213], v[218:219]
	v_fma_f64 v[44:45], v[210:211], v[42:43], -v[44:45]
	v_mul_f64 v[210:211], v[210:211], v[218:219]
	v_add_f64 v[6:7], v[6:7], -v[44:45]
	v_fma_f64 v[210:211], v[212:213], v[42:43], v[210:211]
	v_add_f64 v[8:9], v[8:9], -v[210:211]
	ds_read2_b64 v[210:213], v1 offset0:102 offset1:103
	s_waitcnt lgkmcnt(0)
	v_mul_f64 v[44:45], v[212:213], v[218:219]
	v_fma_f64 v[44:45], v[210:211], v[42:43], -v[44:45]
	v_mul_f64 v[210:211], v[210:211], v[218:219]
	v_add_f64 v[2:3], v[2:3], -v[44:45]
	v_fma_f64 v[210:211], v[212:213], v[42:43], v[210:211]
	v_mov_b32_e32 v44, v218
	v_mov_b32_e32 v45, v219
	v_add_f64 v[4:5], v[4:5], -v[210:211]
.LBB102_881:
	s_or_b32 exec_lo, exec_lo, s0
	v_lshl_add_u32 v210, v224, 4, v1
	s_barrier
	buffer_gl0_inv
	v_mov_b32_e32 v218, 42
	ds_write2_b64 v210, v[38:39], v[40:41] offset1:1
	s_waitcnt lgkmcnt(0)
	s_barrier
	buffer_gl0_inv
	ds_read2_b64 v[210:213], v1 offset0:84 offset1:85
	s_cmp_lt_i32 s8, 44
	s_cbranch_scc1 .LBB102_884
; %bb.882:
	v_add3_u32 v219, v220, 0, 0x2b0
	v_mov_b32_e32 v218, 42
	s_mov_b32 s1, 43
	s_inst_prefetch 0x1
	.p2align	6
.LBB102_883:                            ; =>This Inner Loop Header: Depth=1
	s_waitcnt lgkmcnt(0)
	v_cmp_gt_f64_e32 vcc_lo, 0, v[212:213]
	v_cmp_gt_f64_e64 s0, 0, v[210:211]
	ds_read2_b64 v[225:228], v219 offset1:1
	v_xor_b32_e32 v230, 0x80000000, v211
	v_xor_b32_e32 v232, 0x80000000, v213
	v_mov_b32_e32 v229, v210
	v_mov_b32_e32 v231, v212
	v_add_nc_u32_e32 v219, 16, v219
	s_waitcnt lgkmcnt(0)
	v_xor_b32_e32 v234, 0x80000000, v228
	v_cndmask_b32_e64 v230, v211, v230, s0
	v_cndmask_b32_e32 v232, v213, v232, vcc_lo
	v_cmp_gt_f64_e32 vcc_lo, 0, v[227:228]
	v_cmp_gt_f64_e64 s0, 0, v[225:226]
	v_mov_b32_e32 v233, v227
	v_add_f64 v[229:230], v[229:230], v[231:232]
	v_xor_b32_e32 v232, 0x80000000, v226
	v_mov_b32_e32 v231, v225
	v_cndmask_b32_e32 v234, v228, v234, vcc_lo
	v_cndmask_b32_e64 v232, v226, v232, s0
	v_add_f64 v[231:232], v[231:232], v[233:234]
	v_cmp_lt_f64_e32 vcc_lo, v[229:230], v[231:232]
	v_cndmask_b32_e32 v211, v211, v226, vcc_lo
	v_cndmask_b32_e32 v210, v210, v225, vcc_lo
	;; [unrolled: 1-line block ×4, first 2 shown]
	v_cndmask_b32_e64 v218, v218, s1, vcc_lo
	s_add_i32 s1, s1, 1
	s_cmp_lg_u32 s8, s1
	s_cbranch_scc1 .LBB102_883
.LBB102_884:
	s_inst_prefetch 0x2
	s_waitcnt lgkmcnt(0)
	v_cmp_eq_f64_e32 vcc_lo, 0, v[210:211]
	v_cmp_eq_f64_e64 s0, 0, v[212:213]
	s_and_b32 s0, vcc_lo, s0
	s_and_saveexec_b32 s1, s0
	s_xor_b32 s0, exec_lo, s1
; %bb.885:
	v_cmp_ne_u32_e32 vcc_lo, 0, v223
	v_cndmask_b32_e32 v223, 43, v223, vcc_lo
; %bb.886:
	s_andn2_saveexec_b32 s0, s0
	s_cbranch_execz .LBB102_892
; %bb.887:
	v_cmp_ngt_f64_e64 s1, |v[210:211]|, |v[212:213]|
	s_and_saveexec_b32 s7, s1
	s_xor_b32 s1, exec_lo, s7
	s_cbranch_execz .LBB102_889
; %bb.888:
	v_div_scale_f64 v[225:226], null, v[212:213], v[212:213], v[210:211]
	v_div_scale_f64 v[231:232], vcc_lo, v[210:211], v[212:213], v[210:211]
	v_rcp_f64_e32 v[227:228], v[225:226]
	v_fma_f64 v[229:230], -v[225:226], v[227:228], 1.0
	v_fma_f64 v[227:228], v[227:228], v[229:230], v[227:228]
	v_fma_f64 v[229:230], -v[225:226], v[227:228], 1.0
	v_fma_f64 v[227:228], v[227:228], v[229:230], v[227:228]
	v_mul_f64 v[229:230], v[231:232], v[227:228]
	v_fma_f64 v[225:226], -v[225:226], v[229:230], v[231:232]
	v_div_fmas_f64 v[225:226], v[225:226], v[227:228], v[229:230]
	v_div_fixup_f64 v[225:226], v[225:226], v[212:213], v[210:211]
	v_fma_f64 v[210:211], v[210:211], v[225:226], v[212:213]
	v_div_scale_f64 v[212:213], null, v[210:211], v[210:211], 1.0
	v_rcp_f64_e32 v[227:228], v[212:213]
	v_fma_f64 v[229:230], -v[212:213], v[227:228], 1.0
	v_fma_f64 v[227:228], v[227:228], v[229:230], v[227:228]
	v_fma_f64 v[229:230], -v[212:213], v[227:228], 1.0
	v_fma_f64 v[227:228], v[227:228], v[229:230], v[227:228]
	v_div_scale_f64 v[229:230], vcc_lo, 1.0, v[210:211], 1.0
	v_mul_f64 v[231:232], v[229:230], v[227:228]
	v_fma_f64 v[212:213], -v[212:213], v[231:232], v[229:230]
	v_div_fmas_f64 v[212:213], v[212:213], v[227:228], v[231:232]
	v_div_fixup_f64 v[212:213], v[212:213], v[210:211], 1.0
	v_mul_f64 v[210:211], v[225:226], v[212:213]
	v_xor_b32_e32 v213, 0x80000000, v213
.LBB102_889:
	s_andn2_saveexec_b32 s1, s1
	s_cbranch_execz .LBB102_891
; %bb.890:
	v_div_scale_f64 v[225:226], null, v[210:211], v[210:211], v[212:213]
	v_div_scale_f64 v[231:232], vcc_lo, v[212:213], v[210:211], v[212:213]
	v_rcp_f64_e32 v[227:228], v[225:226]
	v_fma_f64 v[229:230], -v[225:226], v[227:228], 1.0
	v_fma_f64 v[227:228], v[227:228], v[229:230], v[227:228]
	v_fma_f64 v[229:230], -v[225:226], v[227:228], 1.0
	v_fma_f64 v[227:228], v[227:228], v[229:230], v[227:228]
	v_mul_f64 v[229:230], v[231:232], v[227:228]
	v_fma_f64 v[225:226], -v[225:226], v[229:230], v[231:232]
	v_div_fmas_f64 v[225:226], v[225:226], v[227:228], v[229:230]
	v_div_fixup_f64 v[225:226], v[225:226], v[210:211], v[212:213]
	v_fma_f64 v[210:211], v[212:213], v[225:226], v[210:211]
	v_div_scale_f64 v[212:213], null, v[210:211], v[210:211], 1.0
	v_rcp_f64_e32 v[227:228], v[212:213]
	v_fma_f64 v[229:230], -v[212:213], v[227:228], 1.0
	v_fma_f64 v[227:228], v[227:228], v[229:230], v[227:228]
	v_fma_f64 v[229:230], -v[212:213], v[227:228], 1.0
	v_fma_f64 v[227:228], v[227:228], v[229:230], v[227:228]
	v_div_scale_f64 v[229:230], vcc_lo, 1.0, v[210:211], 1.0
	v_mul_f64 v[231:232], v[229:230], v[227:228]
	v_fma_f64 v[212:213], -v[212:213], v[231:232], v[229:230]
	v_div_fmas_f64 v[212:213], v[212:213], v[227:228], v[231:232]
	v_div_fixup_f64 v[210:211], v[212:213], v[210:211], 1.0
	v_mul_f64 v[212:213], v[225:226], -v[210:211]
.LBB102_891:
	s_or_b32 exec_lo, exec_lo, s1
.LBB102_892:
	s_or_b32 exec_lo, exec_lo, s0
	s_mov_b32 s0, exec_lo
	v_cmpx_ne_u32_e64 v224, v218
	s_xor_b32 s0, exec_lo, s0
	s_cbranch_execz .LBB102_898
; %bb.893:
	s_mov_b32 s1, exec_lo
	v_cmpx_eq_u32_e32 42, v224
	s_cbranch_execz .LBB102_897
; %bb.894:
	v_cmp_ne_u32_e32 vcc_lo, 42, v218
	s_xor_b32 s7, s16, -1
	s_and_b32 s9, s7, vcc_lo
	s_and_saveexec_b32 s7, s9
	s_cbranch_execz .LBB102_896
; %bb.895:
	v_ashrrev_i32_e32 v219, 31, v218
	v_lshlrev_b64 v[224:225], 2, v[218:219]
	v_add_co_u32 v224, vcc_lo, v216, v224
	v_add_co_ci_u32_e64 v225, null, v217, v225, vcc_lo
	s_clause 0x1
	global_load_dword v0, v[224:225], off
	global_load_dword v219, v[216:217], off offset:168
	s_waitcnt vmcnt(1)
	global_store_dword v[216:217], v0, off offset:168
	s_waitcnt vmcnt(0)
	global_store_dword v[224:225], v219, off
.LBB102_896:
	s_or_b32 exec_lo, exec_lo, s7
	v_mov_b32_e32 v224, v218
	v_mov_b32_e32 v0, v218
.LBB102_897:
	s_or_b32 exec_lo, exec_lo, s1
.LBB102_898:
	s_andn2_saveexec_b32 s0, s0
	s_cbranch_execz .LBB102_900
; %bb.899:
	v_mov_b32_e32 v224, 42
	ds_write2_b64 v1, v[34:35], v[36:37] offset0:86 offset1:87
	ds_write2_b64 v1, v[30:31], v[32:33] offset0:88 offset1:89
	;; [unrolled: 1-line block ×9, first 2 shown]
.LBB102_900:
	s_or_b32 exec_lo, exec_lo, s0
	s_mov_b32 s0, exec_lo
	s_waitcnt lgkmcnt(0)
	s_waitcnt_vscnt null, 0x0
	s_barrier
	buffer_gl0_inv
	v_cmpx_lt_i32_e32 42, v224
	s_cbranch_execz .LBB102_902
; %bb.901:
	v_mul_f64 v[218:219], v[210:211], v[40:41]
	v_mul_f64 v[40:41], v[212:213], v[40:41]
	v_fma_f64 v[218:219], v[212:213], v[38:39], v[218:219]
	v_fma_f64 v[38:39], v[210:211], v[38:39], -v[40:41]
	ds_read2_b64 v[210:213], v1 offset0:86 offset1:87
	s_waitcnt lgkmcnt(0)
	v_mul_f64 v[40:41], v[212:213], v[218:219]
	v_fma_f64 v[40:41], v[210:211], v[38:39], -v[40:41]
	v_mul_f64 v[210:211], v[210:211], v[218:219]
	v_add_f64 v[34:35], v[34:35], -v[40:41]
	v_fma_f64 v[210:211], v[212:213], v[38:39], v[210:211]
	v_add_f64 v[36:37], v[36:37], -v[210:211]
	ds_read2_b64 v[210:213], v1 offset0:88 offset1:89
	s_waitcnt lgkmcnt(0)
	v_mul_f64 v[40:41], v[212:213], v[218:219]
	v_fma_f64 v[40:41], v[210:211], v[38:39], -v[40:41]
	v_mul_f64 v[210:211], v[210:211], v[218:219]
	v_add_f64 v[30:31], v[30:31], -v[40:41]
	v_fma_f64 v[210:211], v[212:213], v[38:39], v[210:211]
	v_add_f64 v[32:33], v[32:33], -v[210:211]
	;; [unrolled: 8-line block ×8, first 2 shown]
	ds_read2_b64 v[210:213], v1 offset0:102 offset1:103
	s_waitcnt lgkmcnt(0)
	v_mul_f64 v[40:41], v[212:213], v[218:219]
	v_fma_f64 v[40:41], v[210:211], v[38:39], -v[40:41]
	v_mul_f64 v[210:211], v[210:211], v[218:219]
	v_add_f64 v[2:3], v[2:3], -v[40:41]
	v_fma_f64 v[210:211], v[212:213], v[38:39], v[210:211]
	v_mov_b32_e32 v40, v218
	v_mov_b32_e32 v41, v219
	v_add_f64 v[4:5], v[4:5], -v[210:211]
.LBB102_902:
	s_or_b32 exec_lo, exec_lo, s0
	v_lshl_add_u32 v210, v224, 4, v1
	s_barrier
	buffer_gl0_inv
	v_mov_b32_e32 v218, 43
	ds_write2_b64 v210, v[34:35], v[36:37] offset1:1
	s_waitcnt lgkmcnt(0)
	s_barrier
	buffer_gl0_inv
	ds_read2_b64 v[210:213], v1 offset0:86 offset1:87
	s_cmp_lt_i32 s8, 45
	s_cbranch_scc1 .LBB102_905
; %bb.903:
	v_add3_u32 v219, v220, 0, 0x2c0
	v_mov_b32_e32 v218, 43
	s_mov_b32 s1, 44
	s_inst_prefetch 0x1
	.p2align	6
.LBB102_904:                            ; =>This Inner Loop Header: Depth=1
	s_waitcnt lgkmcnt(0)
	v_cmp_gt_f64_e32 vcc_lo, 0, v[212:213]
	v_cmp_gt_f64_e64 s0, 0, v[210:211]
	ds_read2_b64 v[225:228], v219 offset1:1
	v_xor_b32_e32 v230, 0x80000000, v211
	v_xor_b32_e32 v232, 0x80000000, v213
	v_mov_b32_e32 v229, v210
	v_mov_b32_e32 v231, v212
	v_add_nc_u32_e32 v219, 16, v219
	s_waitcnt lgkmcnt(0)
	v_xor_b32_e32 v234, 0x80000000, v228
	v_cndmask_b32_e64 v230, v211, v230, s0
	v_cndmask_b32_e32 v232, v213, v232, vcc_lo
	v_cmp_gt_f64_e32 vcc_lo, 0, v[227:228]
	v_cmp_gt_f64_e64 s0, 0, v[225:226]
	v_mov_b32_e32 v233, v227
	v_add_f64 v[229:230], v[229:230], v[231:232]
	v_xor_b32_e32 v232, 0x80000000, v226
	v_mov_b32_e32 v231, v225
	v_cndmask_b32_e32 v234, v228, v234, vcc_lo
	v_cndmask_b32_e64 v232, v226, v232, s0
	v_add_f64 v[231:232], v[231:232], v[233:234]
	v_cmp_lt_f64_e32 vcc_lo, v[229:230], v[231:232]
	v_cndmask_b32_e32 v211, v211, v226, vcc_lo
	v_cndmask_b32_e32 v210, v210, v225, vcc_lo
	;; [unrolled: 1-line block ×4, first 2 shown]
	v_cndmask_b32_e64 v218, v218, s1, vcc_lo
	s_add_i32 s1, s1, 1
	s_cmp_lg_u32 s8, s1
	s_cbranch_scc1 .LBB102_904
.LBB102_905:
	s_inst_prefetch 0x2
	s_waitcnt lgkmcnt(0)
	v_cmp_eq_f64_e32 vcc_lo, 0, v[210:211]
	v_cmp_eq_f64_e64 s0, 0, v[212:213]
	s_and_b32 s0, vcc_lo, s0
	s_and_saveexec_b32 s1, s0
	s_xor_b32 s0, exec_lo, s1
; %bb.906:
	v_cmp_ne_u32_e32 vcc_lo, 0, v223
	v_cndmask_b32_e32 v223, 44, v223, vcc_lo
; %bb.907:
	s_andn2_saveexec_b32 s0, s0
	s_cbranch_execz .LBB102_913
; %bb.908:
	v_cmp_ngt_f64_e64 s1, |v[210:211]|, |v[212:213]|
	s_and_saveexec_b32 s7, s1
	s_xor_b32 s1, exec_lo, s7
	s_cbranch_execz .LBB102_910
; %bb.909:
	v_div_scale_f64 v[225:226], null, v[212:213], v[212:213], v[210:211]
	v_div_scale_f64 v[231:232], vcc_lo, v[210:211], v[212:213], v[210:211]
	v_rcp_f64_e32 v[227:228], v[225:226]
	v_fma_f64 v[229:230], -v[225:226], v[227:228], 1.0
	v_fma_f64 v[227:228], v[227:228], v[229:230], v[227:228]
	v_fma_f64 v[229:230], -v[225:226], v[227:228], 1.0
	v_fma_f64 v[227:228], v[227:228], v[229:230], v[227:228]
	v_mul_f64 v[229:230], v[231:232], v[227:228]
	v_fma_f64 v[225:226], -v[225:226], v[229:230], v[231:232]
	v_div_fmas_f64 v[225:226], v[225:226], v[227:228], v[229:230]
	v_div_fixup_f64 v[225:226], v[225:226], v[212:213], v[210:211]
	v_fma_f64 v[210:211], v[210:211], v[225:226], v[212:213]
	v_div_scale_f64 v[212:213], null, v[210:211], v[210:211], 1.0
	v_rcp_f64_e32 v[227:228], v[212:213]
	v_fma_f64 v[229:230], -v[212:213], v[227:228], 1.0
	v_fma_f64 v[227:228], v[227:228], v[229:230], v[227:228]
	v_fma_f64 v[229:230], -v[212:213], v[227:228], 1.0
	v_fma_f64 v[227:228], v[227:228], v[229:230], v[227:228]
	v_div_scale_f64 v[229:230], vcc_lo, 1.0, v[210:211], 1.0
	v_mul_f64 v[231:232], v[229:230], v[227:228]
	v_fma_f64 v[212:213], -v[212:213], v[231:232], v[229:230]
	v_div_fmas_f64 v[212:213], v[212:213], v[227:228], v[231:232]
	v_div_fixup_f64 v[212:213], v[212:213], v[210:211], 1.0
	v_mul_f64 v[210:211], v[225:226], v[212:213]
	v_xor_b32_e32 v213, 0x80000000, v213
.LBB102_910:
	s_andn2_saveexec_b32 s1, s1
	s_cbranch_execz .LBB102_912
; %bb.911:
	v_div_scale_f64 v[225:226], null, v[210:211], v[210:211], v[212:213]
	v_div_scale_f64 v[231:232], vcc_lo, v[212:213], v[210:211], v[212:213]
	v_rcp_f64_e32 v[227:228], v[225:226]
	v_fma_f64 v[229:230], -v[225:226], v[227:228], 1.0
	v_fma_f64 v[227:228], v[227:228], v[229:230], v[227:228]
	v_fma_f64 v[229:230], -v[225:226], v[227:228], 1.0
	v_fma_f64 v[227:228], v[227:228], v[229:230], v[227:228]
	v_mul_f64 v[229:230], v[231:232], v[227:228]
	v_fma_f64 v[225:226], -v[225:226], v[229:230], v[231:232]
	v_div_fmas_f64 v[225:226], v[225:226], v[227:228], v[229:230]
	v_div_fixup_f64 v[225:226], v[225:226], v[210:211], v[212:213]
	v_fma_f64 v[210:211], v[212:213], v[225:226], v[210:211]
	v_div_scale_f64 v[212:213], null, v[210:211], v[210:211], 1.0
	v_rcp_f64_e32 v[227:228], v[212:213]
	v_fma_f64 v[229:230], -v[212:213], v[227:228], 1.0
	v_fma_f64 v[227:228], v[227:228], v[229:230], v[227:228]
	v_fma_f64 v[229:230], -v[212:213], v[227:228], 1.0
	v_fma_f64 v[227:228], v[227:228], v[229:230], v[227:228]
	v_div_scale_f64 v[229:230], vcc_lo, 1.0, v[210:211], 1.0
	v_mul_f64 v[231:232], v[229:230], v[227:228]
	v_fma_f64 v[212:213], -v[212:213], v[231:232], v[229:230]
	v_div_fmas_f64 v[212:213], v[212:213], v[227:228], v[231:232]
	v_div_fixup_f64 v[210:211], v[212:213], v[210:211], 1.0
	v_mul_f64 v[212:213], v[225:226], -v[210:211]
.LBB102_912:
	s_or_b32 exec_lo, exec_lo, s1
.LBB102_913:
	s_or_b32 exec_lo, exec_lo, s0
	s_mov_b32 s0, exec_lo
	v_cmpx_ne_u32_e64 v224, v218
	s_xor_b32 s0, exec_lo, s0
	s_cbranch_execz .LBB102_919
; %bb.914:
	s_mov_b32 s1, exec_lo
	v_cmpx_eq_u32_e32 43, v224
	s_cbranch_execz .LBB102_918
; %bb.915:
	v_cmp_ne_u32_e32 vcc_lo, 43, v218
	s_xor_b32 s7, s16, -1
	s_and_b32 s9, s7, vcc_lo
	s_and_saveexec_b32 s7, s9
	s_cbranch_execz .LBB102_917
; %bb.916:
	v_ashrrev_i32_e32 v219, 31, v218
	v_lshlrev_b64 v[224:225], 2, v[218:219]
	v_add_co_u32 v224, vcc_lo, v216, v224
	v_add_co_ci_u32_e64 v225, null, v217, v225, vcc_lo
	s_clause 0x1
	global_load_dword v0, v[224:225], off
	global_load_dword v219, v[216:217], off offset:172
	s_waitcnt vmcnt(1)
	global_store_dword v[216:217], v0, off offset:172
	s_waitcnt vmcnt(0)
	global_store_dword v[224:225], v219, off
.LBB102_917:
	s_or_b32 exec_lo, exec_lo, s7
	v_mov_b32_e32 v224, v218
	v_mov_b32_e32 v0, v218
.LBB102_918:
	s_or_b32 exec_lo, exec_lo, s1
.LBB102_919:
	s_andn2_saveexec_b32 s0, s0
	s_cbranch_execz .LBB102_921
; %bb.920:
	v_mov_b32_e32 v224, 43
	ds_write2_b64 v1, v[30:31], v[32:33] offset0:88 offset1:89
	ds_write2_b64 v1, v[26:27], v[28:29] offset0:90 offset1:91
	;; [unrolled: 1-line block ×8, first 2 shown]
.LBB102_921:
	s_or_b32 exec_lo, exec_lo, s0
	s_mov_b32 s0, exec_lo
	s_waitcnt lgkmcnt(0)
	s_waitcnt_vscnt null, 0x0
	s_barrier
	buffer_gl0_inv
	v_cmpx_lt_i32_e32 43, v224
	s_cbranch_execz .LBB102_923
; %bb.922:
	v_mul_f64 v[218:219], v[210:211], v[36:37]
	v_mul_f64 v[36:37], v[212:213], v[36:37]
	v_fma_f64 v[218:219], v[212:213], v[34:35], v[218:219]
	v_fma_f64 v[34:35], v[210:211], v[34:35], -v[36:37]
	ds_read2_b64 v[210:213], v1 offset0:88 offset1:89
	s_waitcnt lgkmcnt(0)
	v_mul_f64 v[36:37], v[212:213], v[218:219]
	v_fma_f64 v[36:37], v[210:211], v[34:35], -v[36:37]
	v_mul_f64 v[210:211], v[210:211], v[218:219]
	v_add_f64 v[30:31], v[30:31], -v[36:37]
	v_fma_f64 v[210:211], v[212:213], v[34:35], v[210:211]
	v_add_f64 v[32:33], v[32:33], -v[210:211]
	ds_read2_b64 v[210:213], v1 offset0:90 offset1:91
	s_waitcnt lgkmcnt(0)
	v_mul_f64 v[36:37], v[212:213], v[218:219]
	v_fma_f64 v[36:37], v[210:211], v[34:35], -v[36:37]
	v_mul_f64 v[210:211], v[210:211], v[218:219]
	v_add_f64 v[26:27], v[26:27], -v[36:37]
	v_fma_f64 v[210:211], v[212:213], v[34:35], v[210:211]
	v_add_f64 v[28:29], v[28:29], -v[210:211]
	;; [unrolled: 8-line block ×7, first 2 shown]
	ds_read2_b64 v[210:213], v1 offset0:102 offset1:103
	s_waitcnt lgkmcnt(0)
	v_mul_f64 v[36:37], v[212:213], v[218:219]
	v_fma_f64 v[36:37], v[210:211], v[34:35], -v[36:37]
	v_mul_f64 v[210:211], v[210:211], v[218:219]
	v_add_f64 v[2:3], v[2:3], -v[36:37]
	v_fma_f64 v[210:211], v[212:213], v[34:35], v[210:211]
	v_mov_b32_e32 v36, v218
	v_mov_b32_e32 v37, v219
	v_add_f64 v[4:5], v[4:5], -v[210:211]
.LBB102_923:
	s_or_b32 exec_lo, exec_lo, s0
	v_lshl_add_u32 v210, v224, 4, v1
	s_barrier
	buffer_gl0_inv
	v_mov_b32_e32 v218, 44
	ds_write2_b64 v210, v[30:31], v[32:33] offset1:1
	s_waitcnt lgkmcnt(0)
	s_barrier
	buffer_gl0_inv
	ds_read2_b64 v[210:213], v1 offset0:88 offset1:89
	s_cmp_lt_i32 s8, 46
	s_cbranch_scc1 .LBB102_926
; %bb.924:
	v_add3_u32 v219, v220, 0, 0x2d0
	v_mov_b32_e32 v218, 44
	s_mov_b32 s1, 45
	s_inst_prefetch 0x1
	.p2align	6
.LBB102_925:                            ; =>This Inner Loop Header: Depth=1
	s_waitcnt lgkmcnt(0)
	v_cmp_gt_f64_e32 vcc_lo, 0, v[212:213]
	v_cmp_gt_f64_e64 s0, 0, v[210:211]
	ds_read2_b64 v[225:228], v219 offset1:1
	v_xor_b32_e32 v230, 0x80000000, v211
	v_xor_b32_e32 v232, 0x80000000, v213
	v_mov_b32_e32 v229, v210
	v_mov_b32_e32 v231, v212
	v_add_nc_u32_e32 v219, 16, v219
	s_waitcnt lgkmcnt(0)
	v_xor_b32_e32 v234, 0x80000000, v228
	v_cndmask_b32_e64 v230, v211, v230, s0
	v_cndmask_b32_e32 v232, v213, v232, vcc_lo
	v_cmp_gt_f64_e32 vcc_lo, 0, v[227:228]
	v_cmp_gt_f64_e64 s0, 0, v[225:226]
	v_mov_b32_e32 v233, v227
	v_add_f64 v[229:230], v[229:230], v[231:232]
	v_xor_b32_e32 v232, 0x80000000, v226
	v_mov_b32_e32 v231, v225
	v_cndmask_b32_e32 v234, v228, v234, vcc_lo
	v_cndmask_b32_e64 v232, v226, v232, s0
	v_add_f64 v[231:232], v[231:232], v[233:234]
	v_cmp_lt_f64_e32 vcc_lo, v[229:230], v[231:232]
	v_cndmask_b32_e32 v211, v211, v226, vcc_lo
	v_cndmask_b32_e32 v210, v210, v225, vcc_lo
	;; [unrolled: 1-line block ×4, first 2 shown]
	v_cndmask_b32_e64 v218, v218, s1, vcc_lo
	s_add_i32 s1, s1, 1
	s_cmp_lg_u32 s8, s1
	s_cbranch_scc1 .LBB102_925
.LBB102_926:
	s_inst_prefetch 0x2
	s_waitcnt lgkmcnt(0)
	v_cmp_eq_f64_e32 vcc_lo, 0, v[210:211]
	v_cmp_eq_f64_e64 s0, 0, v[212:213]
	s_and_b32 s0, vcc_lo, s0
	s_and_saveexec_b32 s1, s0
	s_xor_b32 s0, exec_lo, s1
; %bb.927:
	v_cmp_ne_u32_e32 vcc_lo, 0, v223
	v_cndmask_b32_e32 v223, 45, v223, vcc_lo
; %bb.928:
	s_andn2_saveexec_b32 s0, s0
	s_cbranch_execz .LBB102_934
; %bb.929:
	v_cmp_ngt_f64_e64 s1, |v[210:211]|, |v[212:213]|
	s_and_saveexec_b32 s7, s1
	s_xor_b32 s1, exec_lo, s7
	s_cbranch_execz .LBB102_931
; %bb.930:
	v_div_scale_f64 v[225:226], null, v[212:213], v[212:213], v[210:211]
	v_div_scale_f64 v[231:232], vcc_lo, v[210:211], v[212:213], v[210:211]
	v_rcp_f64_e32 v[227:228], v[225:226]
	v_fma_f64 v[229:230], -v[225:226], v[227:228], 1.0
	v_fma_f64 v[227:228], v[227:228], v[229:230], v[227:228]
	v_fma_f64 v[229:230], -v[225:226], v[227:228], 1.0
	v_fma_f64 v[227:228], v[227:228], v[229:230], v[227:228]
	v_mul_f64 v[229:230], v[231:232], v[227:228]
	v_fma_f64 v[225:226], -v[225:226], v[229:230], v[231:232]
	v_div_fmas_f64 v[225:226], v[225:226], v[227:228], v[229:230]
	v_div_fixup_f64 v[225:226], v[225:226], v[212:213], v[210:211]
	v_fma_f64 v[210:211], v[210:211], v[225:226], v[212:213]
	v_div_scale_f64 v[212:213], null, v[210:211], v[210:211], 1.0
	v_rcp_f64_e32 v[227:228], v[212:213]
	v_fma_f64 v[229:230], -v[212:213], v[227:228], 1.0
	v_fma_f64 v[227:228], v[227:228], v[229:230], v[227:228]
	v_fma_f64 v[229:230], -v[212:213], v[227:228], 1.0
	v_fma_f64 v[227:228], v[227:228], v[229:230], v[227:228]
	v_div_scale_f64 v[229:230], vcc_lo, 1.0, v[210:211], 1.0
	v_mul_f64 v[231:232], v[229:230], v[227:228]
	v_fma_f64 v[212:213], -v[212:213], v[231:232], v[229:230]
	v_div_fmas_f64 v[212:213], v[212:213], v[227:228], v[231:232]
	v_div_fixup_f64 v[212:213], v[212:213], v[210:211], 1.0
	v_mul_f64 v[210:211], v[225:226], v[212:213]
	v_xor_b32_e32 v213, 0x80000000, v213
.LBB102_931:
	s_andn2_saveexec_b32 s1, s1
	s_cbranch_execz .LBB102_933
; %bb.932:
	v_div_scale_f64 v[225:226], null, v[210:211], v[210:211], v[212:213]
	v_div_scale_f64 v[231:232], vcc_lo, v[212:213], v[210:211], v[212:213]
	v_rcp_f64_e32 v[227:228], v[225:226]
	v_fma_f64 v[229:230], -v[225:226], v[227:228], 1.0
	v_fma_f64 v[227:228], v[227:228], v[229:230], v[227:228]
	v_fma_f64 v[229:230], -v[225:226], v[227:228], 1.0
	v_fma_f64 v[227:228], v[227:228], v[229:230], v[227:228]
	v_mul_f64 v[229:230], v[231:232], v[227:228]
	v_fma_f64 v[225:226], -v[225:226], v[229:230], v[231:232]
	v_div_fmas_f64 v[225:226], v[225:226], v[227:228], v[229:230]
	v_div_fixup_f64 v[225:226], v[225:226], v[210:211], v[212:213]
	v_fma_f64 v[210:211], v[212:213], v[225:226], v[210:211]
	v_div_scale_f64 v[212:213], null, v[210:211], v[210:211], 1.0
	v_rcp_f64_e32 v[227:228], v[212:213]
	v_fma_f64 v[229:230], -v[212:213], v[227:228], 1.0
	v_fma_f64 v[227:228], v[227:228], v[229:230], v[227:228]
	v_fma_f64 v[229:230], -v[212:213], v[227:228], 1.0
	v_fma_f64 v[227:228], v[227:228], v[229:230], v[227:228]
	v_div_scale_f64 v[229:230], vcc_lo, 1.0, v[210:211], 1.0
	v_mul_f64 v[231:232], v[229:230], v[227:228]
	v_fma_f64 v[212:213], -v[212:213], v[231:232], v[229:230]
	v_div_fmas_f64 v[212:213], v[212:213], v[227:228], v[231:232]
	v_div_fixup_f64 v[210:211], v[212:213], v[210:211], 1.0
	v_mul_f64 v[212:213], v[225:226], -v[210:211]
.LBB102_933:
	s_or_b32 exec_lo, exec_lo, s1
.LBB102_934:
	s_or_b32 exec_lo, exec_lo, s0
	s_mov_b32 s0, exec_lo
	v_cmpx_ne_u32_e64 v224, v218
	s_xor_b32 s0, exec_lo, s0
	s_cbranch_execz .LBB102_940
; %bb.935:
	s_mov_b32 s1, exec_lo
	v_cmpx_eq_u32_e32 44, v224
	s_cbranch_execz .LBB102_939
; %bb.936:
	v_cmp_ne_u32_e32 vcc_lo, 44, v218
	s_xor_b32 s7, s16, -1
	s_and_b32 s9, s7, vcc_lo
	s_and_saveexec_b32 s7, s9
	s_cbranch_execz .LBB102_938
; %bb.937:
	v_ashrrev_i32_e32 v219, 31, v218
	v_lshlrev_b64 v[224:225], 2, v[218:219]
	v_add_co_u32 v224, vcc_lo, v216, v224
	v_add_co_ci_u32_e64 v225, null, v217, v225, vcc_lo
	s_clause 0x1
	global_load_dword v0, v[224:225], off
	global_load_dword v219, v[216:217], off offset:176
	s_waitcnt vmcnt(1)
	global_store_dword v[216:217], v0, off offset:176
	s_waitcnt vmcnt(0)
	global_store_dword v[224:225], v219, off
.LBB102_938:
	s_or_b32 exec_lo, exec_lo, s7
	v_mov_b32_e32 v224, v218
	v_mov_b32_e32 v0, v218
.LBB102_939:
	s_or_b32 exec_lo, exec_lo, s1
.LBB102_940:
	s_andn2_saveexec_b32 s0, s0
	s_cbranch_execz .LBB102_942
; %bb.941:
	v_mov_b32_e32 v224, 44
	ds_write2_b64 v1, v[26:27], v[28:29] offset0:90 offset1:91
	ds_write2_b64 v1, v[22:23], v[24:25] offset0:92 offset1:93
	;; [unrolled: 1-line block ×7, first 2 shown]
.LBB102_942:
	s_or_b32 exec_lo, exec_lo, s0
	s_mov_b32 s0, exec_lo
	s_waitcnt lgkmcnt(0)
	s_waitcnt_vscnt null, 0x0
	s_barrier
	buffer_gl0_inv
	v_cmpx_lt_i32_e32 44, v224
	s_cbranch_execz .LBB102_944
; %bb.943:
	v_mul_f64 v[218:219], v[210:211], v[32:33]
	v_mul_f64 v[32:33], v[212:213], v[32:33]
	v_fma_f64 v[218:219], v[212:213], v[30:31], v[218:219]
	v_fma_f64 v[30:31], v[210:211], v[30:31], -v[32:33]
	ds_read2_b64 v[210:213], v1 offset0:90 offset1:91
	s_waitcnt lgkmcnt(0)
	v_mul_f64 v[32:33], v[212:213], v[218:219]
	v_fma_f64 v[32:33], v[210:211], v[30:31], -v[32:33]
	v_mul_f64 v[210:211], v[210:211], v[218:219]
	v_add_f64 v[26:27], v[26:27], -v[32:33]
	v_fma_f64 v[210:211], v[212:213], v[30:31], v[210:211]
	v_add_f64 v[28:29], v[28:29], -v[210:211]
	ds_read2_b64 v[210:213], v1 offset0:92 offset1:93
	s_waitcnt lgkmcnt(0)
	v_mul_f64 v[32:33], v[212:213], v[218:219]
	v_fma_f64 v[32:33], v[210:211], v[30:31], -v[32:33]
	v_mul_f64 v[210:211], v[210:211], v[218:219]
	v_add_f64 v[22:23], v[22:23], -v[32:33]
	v_fma_f64 v[210:211], v[212:213], v[30:31], v[210:211]
	v_add_f64 v[24:25], v[24:25], -v[210:211]
	;; [unrolled: 8-line block ×6, first 2 shown]
	ds_read2_b64 v[210:213], v1 offset0:102 offset1:103
	s_waitcnt lgkmcnt(0)
	v_mul_f64 v[32:33], v[212:213], v[218:219]
	v_fma_f64 v[32:33], v[210:211], v[30:31], -v[32:33]
	v_mul_f64 v[210:211], v[210:211], v[218:219]
	v_add_f64 v[2:3], v[2:3], -v[32:33]
	v_fma_f64 v[210:211], v[212:213], v[30:31], v[210:211]
	v_mov_b32_e32 v32, v218
	v_mov_b32_e32 v33, v219
	v_add_f64 v[4:5], v[4:5], -v[210:211]
.LBB102_944:
	s_or_b32 exec_lo, exec_lo, s0
	v_lshl_add_u32 v210, v224, 4, v1
	s_barrier
	buffer_gl0_inv
	v_mov_b32_e32 v218, 45
	ds_write2_b64 v210, v[26:27], v[28:29] offset1:1
	s_waitcnt lgkmcnt(0)
	s_barrier
	buffer_gl0_inv
	ds_read2_b64 v[210:213], v1 offset0:90 offset1:91
	s_cmp_lt_i32 s8, 47
	s_cbranch_scc1 .LBB102_947
; %bb.945:
	v_add3_u32 v219, v220, 0, 0x2e0
	v_mov_b32_e32 v218, 45
	s_mov_b32 s1, 46
	s_inst_prefetch 0x1
	.p2align	6
.LBB102_946:                            ; =>This Inner Loop Header: Depth=1
	s_waitcnt lgkmcnt(0)
	v_cmp_gt_f64_e32 vcc_lo, 0, v[212:213]
	v_cmp_gt_f64_e64 s0, 0, v[210:211]
	ds_read2_b64 v[225:228], v219 offset1:1
	v_xor_b32_e32 v230, 0x80000000, v211
	v_xor_b32_e32 v232, 0x80000000, v213
	v_mov_b32_e32 v229, v210
	v_mov_b32_e32 v231, v212
	v_add_nc_u32_e32 v219, 16, v219
	s_waitcnt lgkmcnt(0)
	v_xor_b32_e32 v234, 0x80000000, v228
	v_cndmask_b32_e64 v230, v211, v230, s0
	v_cndmask_b32_e32 v232, v213, v232, vcc_lo
	v_cmp_gt_f64_e32 vcc_lo, 0, v[227:228]
	v_cmp_gt_f64_e64 s0, 0, v[225:226]
	v_mov_b32_e32 v233, v227
	v_add_f64 v[229:230], v[229:230], v[231:232]
	v_xor_b32_e32 v232, 0x80000000, v226
	v_mov_b32_e32 v231, v225
	v_cndmask_b32_e32 v234, v228, v234, vcc_lo
	v_cndmask_b32_e64 v232, v226, v232, s0
	v_add_f64 v[231:232], v[231:232], v[233:234]
	v_cmp_lt_f64_e32 vcc_lo, v[229:230], v[231:232]
	v_cndmask_b32_e32 v211, v211, v226, vcc_lo
	v_cndmask_b32_e32 v210, v210, v225, vcc_lo
	;; [unrolled: 1-line block ×4, first 2 shown]
	v_cndmask_b32_e64 v218, v218, s1, vcc_lo
	s_add_i32 s1, s1, 1
	s_cmp_lg_u32 s8, s1
	s_cbranch_scc1 .LBB102_946
.LBB102_947:
	s_inst_prefetch 0x2
	s_waitcnt lgkmcnt(0)
	v_cmp_eq_f64_e32 vcc_lo, 0, v[210:211]
	v_cmp_eq_f64_e64 s0, 0, v[212:213]
	s_and_b32 s0, vcc_lo, s0
	s_and_saveexec_b32 s1, s0
	s_xor_b32 s0, exec_lo, s1
; %bb.948:
	v_cmp_ne_u32_e32 vcc_lo, 0, v223
	v_cndmask_b32_e32 v223, 46, v223, vcc_lo
; %bb.949:
	s_andn2_saveexec_b32 s0, s0
	s_cbranch_execz .LBB102_955
; %bb.950:
	v_cmp_ngt_f64_e64 s1, |v[210:211]|, |v[212:213]|
	s_and_saveexec_b32 s7, s1
	s_xor_b32 s1, exec_lo, s7
	s_cbranch_execz .LBB102_952
; %bb.951:
	v_div_scale_f64 v[225:226], null, v[212:213], v[212:213], v[210:211]
	v_div_scale_f64 v[231:232], vcc_lo, v[210:211], v[212:213], v[210:211]
	v_rcp_f64_e32 v[227:228], v[225:226]
	v_fma_f64 v[229:230], -v[225:226], v[227:228], 1.0
	v_fma_f64 v[227:228], v[227:228], v[229:230], v[227:228]
	v_fma_f64 v[229:230], -v[225:226], v[227:228], 1.0
	v_fma_f64 v[227:228], v[227:228], v[229:230], v[227:228]
	v_mul_f64 v[229:230], v[231:232], v[227:228]
	v_fma_f64 v[225:226], -v[225:226], v[229:230], v[231:232]
	v_div_fmas_f64 v[225:226], v[225:226], v[227:228], v[229:230]
	v_div_fixup_f64 v[225:226], v[225:226], v[212:213], v[210:211]
	v_fma_f64 v[210:211], v[210:211], v[225:226], v[212:213]
	v_div_scale_f64 v[212:213], null, v[210:211], v[210:211], 1.0
	v_rcp_f64_e32 v[227:228], v[212:213]
	v_fma_f64 v[229:230], -v[212:213], v[227:228], 1.0
	v_fma_f64 v[227:228], v[227:228], v[229:230], v[227:228]
	v_fma_f64 v[229:230], -v[212:213], v[227:228], 1.0
	v_fma_f64 v[227:228], v[227:228], v[229:230], v[227:228]
	v_div_scale_f64 v[229:230], vcc_lo, 1.0, v[210:211], 1.0
	v_mul_f64 v[231:232], v[229:230], v[227:228]
	v_fma_f64 v[212:213], -v[212:213], v[231:232], v[229:230]
	v_div_fmas_f64 v[212:213], v[212:213], v[227:228], v[231:232]
	v_div_fixup_f64 v[212:213], v[212:213], v[210:211], 1.0
	v_mul_f64 v[210:211], v[225:226], v[212:213]
	v_xor_b32_e32 v213, 0x80000000, v213
.LBB102_952:
	s_andn2_saveexec_b32 s1, s1
	s_cbranch_execz .LBB102_954
; %bb.953:
	v_div_scale_f64 v[225:226], null, v[210:211], v[210:211], v[212:213]
	v_div_scale_f64 v[231:232], vcc_lo, v[212:213], v[210:211], v[212:213]
	v_rcp_f64_e32 v[227:228], v[225:226]
	v_fma_f64 v[229:230], -v[225:226], v[227:228], 1.0
	v_fma_f64 v[227:228], v[227:228], v[229:230], v[227:228]
	v_fma_f64 v[229:230], -v[225:226], v[227:228], 1.0
	v_fma_f64 v[227:228], v[227:228], v[229:230], v[227:228]
	v_mul_f64 v[229:230], v[231:232], v[227:228]
	v_fma_f64 v[225:226], -v[225:226], v[229:230], v[231:232]
	v_div_fmas_f64 v[225:226], v[225:226], v[227:228], v[229:230]
	v_div_fixup_f64 v[225:226], v[225:226], v[210:211], v[212:213]
	v_fma_f64 v[210:211], v[212:213], v[225:226], v[210:211]
	v_div_scale_f64 v[212:213], null, v[210:211], v[210:211], 1.0
	v_rcp_f64_e32 v[227:228], v[212:213]
	v_fma_f64 v[229:230], -v[212:213], v[227:228], 1.0
	v_fma_f64 v[227:228], v[227:228], v[229:230], v[227:228]
	v_fma_f64 v[229:230], -v[212:213], v[227:228], 1.0
	v_fma_f64 v[227:228], v[227:228], v[229:230], v[227:228]
	v_div_scale_f64 v[229:230], vcc_lo, 1.0, v[210:211], 1.0
	v_mul_f64 v[231:232], v[229:230], v[227:228]
	v_fma_f64 v[212:213], -v[212:213], v[231:232], v[229:230]
	v_div_fmas_f64 v[212:213], v[212:213], v[227:228], v[231:232]
	v_div_fixup_f64 v[210:211], v[212:213], v[210:211], 1.0
	v_mul_f64 v[212:213], v[225:226], -v[210:211]
.LBB102_954:
	s_or_b32 exec_lo, exec_lo, s1
.LBB102_955:
	s_or_b32 exec_lo, exec_lo, s0
	s_mov_b32 s0, exec_lo
	v_cmpx_ne_u32_e64 v224, v218
	s_xor_b32 s0, exec_lo, s0
	s_cbranch_execz .LBB102_961
; %bb.956:
	s_mov_b32 s1, exec_lo
	v_cmpx_eq_u32_e32 45, v224
	s_cbranch_execz .LBB102_960
; %bb.957:
	v_cmp_ne_u32_e32 vcc_lo, 45, v218
	s_xor_b32 s7, s16, -1
	s_and_b32 s9, s7, vcc_lo
	s_and_saveexec_b32 s7, s9
	s_cbranch_execz .LBB102_959
; %bb.958:
	v_ashrrev_i32_e32 v219, 31, v218
	v_lshlrev_b64 v[224:225], 2, v[218:219]
	v_add_co_u32 v224, vcc_lo, v216, v224
	v_add_co_ci_u32_e64 v225, null, v217, v225, vcc_lo
	s_clause 0x1
	global_load_dword v0, v[224:225], off
	global_load_dword v219, v[216:217], off offset:180
	s_waitcnt vmcnt(1)
	global_store_dword v[216:217], v0, off offset:180
	s_waitcnt vmcnt(0)
	global_store_dword v[224:225], v219, off
.LBB102_959:
	s_or_b32 exec_lo, exec_lo, s7
	v_mov_b32_e32 v224, v218
	v_mov_b32_e32 v0, v218
.LBB102_960:
	s_or_b32 exec_lo, exec_lo, s1
.LBB102_961:
	s_andn2_saveexec_b32 s0, s0
	s_cbranch_execz .LBB102_963
; %bb.962:
	v_mov_b32_e32 v224, 45
	ds_write2_b64 v1, v[22:23], v[24:25] offset0:92 offset1:93
	ds_write2_b64 v1, v[18:19], v[20:21] offset0:94 offset1:95
	;; [unrolled: 1-line block ×6, first 2 shown]
.LBB102_963:
	s_or_b32 exec_lo, exec_lo, s0
	s_mov_b32 s0, exec_lo
	s_waitcnt lgkmcnt(0)
	s_waitcnt_vscnt null, 0x0
	s_barrier
	buffer_gl0_inv
	v_cmpx_lt_i32_e32 45, v224
	s_cbranch_execz .LBB102_965
; %bb.964:
	v_mul_f64 v[218:219], v[210:211], v[28:29]
	v_mul_f64 v[28:29], v[212:213], v[28:29]
	v_fma_f64 v[218:219], v[212:213], v[26:27], v[218:219]
	v_fma_f64 v[26:27], v[210:211], v[26:27], -v[28:29]
	ds_read2_b64 v[210:213], v1 offset0:92 offset1:93
	s_waitcnt lgkmcnt(0)
	v_mul_f64 v[28:29], v[212:213], v[218:219]
	v_fma_f64 v[28:29], v[210:211], v[26:27], -v[28:29]
	v_mul_f64 v[210:211], v[210:211], v[218:219]
	v_add_f64 v[22:23], v[22:23], -v[28:29]
	v_fma_f64 v[210:211], v[212:213], v[26:27], v[210:211]
	v_add_f64 v[24:25], v[24:25], -v[210:211]
	ds_read2_b64 v[210:213], v1 offset0:94 offset1:95
	s_waitcnt lgkmcnt(0)
	v_mul_f64 v[28:29], v[212:213], v[218:219]
	v_fma_f64 v[28:29], v[210:211], v[26:27], -v[28:29]
	v_mul_f64 v[210:211], v[210:211], v[218:219]
	v_add_f64 v[18:19], v[18:19], -v[28:29]
	v_fma_f64 v[210:211], v[212:213], v[26:27], v[210:211]
	v_add_f64 v[20:21], v[20:21], -v[210:211]
	;; [unrolled: 8-line block ×5, first 2 shown]
	ds_read2_b64 v[210:213], v1 offset0:102 offset1:103
	s_waitcnt lgkmcnt(0)
	v_mul_f64 v[28:29], v[212:213], v[218:219]
	v_fma_f64 v[28:29], v[210:211], v[26:27], -v[28:29]
	v_mul_f64 v[210:211], v[210:211], v[218:219]
	v_add_f64 v[2:3], v[2:3], -v[28:29]
	v_fma_f64 v[210:211], v[212:213], v[26:27], v[210:211]
	v_mov_b32_e32 v28, v218
	v_mov_b32_e32 v29, v219
	v_add_f64 v[4:5], v[4:5], -v[210:211]
.LBB102_965:
	s_or_b32 exec_lo, exec_lo, s0
	v_lshl_add_u32 v210, v224, 4, v1
	s_barrier
	buffer_gl0_inv
	v_mov_b32_e32 v218, 46
	ds_write2_b64 v210, v[22:23], v[24:25] offset1:1
	s_waitcnt lgkmcnt(0)
	s_barrier
	buffer_gl0_inv
	ds_read2_b64 v[210:213], v1 offset0:92 offset1:93
	s_cmp_lt_i32 s8, 48
	s_cbranch_scc1 .LBB102_968
; %bb.966:
	v_add3_u32 v219, v220, 0, 0x2f0
	v_mov_b32_e32 v218, 46
	s_mov_b32 s1, 47
	s_inst_prefetch 0x1
	.p2align	6
.LBB102_967:                            ; =>This Inner Loop Header: Depth=1
	s_waitcnt lgkmcnt(0)
	v_cmp_gt_f64_e32 vcc_lo, 0, v[212:213]
	v_cmp_gt_f64_e64 s0, 0, v[210:211]
	ds_read2_b64 v[225:228], v219 offset1:1
	v_xor_b32_e32 v230, 0x80000000, v211
	v_xor_b32_e32 v232, 0x80000000, v213
	v_mov_b32_e32 v229, v210
	v_mov_b32_e32 v231, v212
	v_add_nc_u32_e32 v219, 16, v219
	s_waitcnt lgkmcnt(0)
	v_xor_b32_e32 v234, 0x80000000, v228
	v_cndmask_b32_e64 v230, v211, v230, s0
	v_cndmask_b32_e32 v232, v213, v232, vcc_lo
	v_cmp_gt_f64_e32 vcc_lo, 0, v[227:228]
	v_cmp_gt_f64_e64 s0, 0, v[225:226]
	v_mov_b32_e32 v233, v227
	v_add_f64 v[229:230], v[229:230], v[231:232]
	v_xor_b32_e32 v232, 0x80000000, v226
	v_mov_b32_e32 v231, v225
	v_cndmask_b32_e32 v234, v228, v234, vcc_lo
	v_cndmask_b32_e64 v232, v226, v232, s0
	v_add_f64 v[231:232], v[231:232], v[233:234]
	v_cmp_lt_f64_e32 vcc_lo, v[229:230], v[231:232]
	v_cndmask_b32_e32 v211, v211, v226, vcc_lo
	v_cndmask_b32_e32 v210, v210, v225, vcc_lo
	;; [unrolled: 1-line block ×4, first 2 shown]
	v_cndmask_b32_e64 v218, v218, s1, vcc_lo
	s_add_i32 s1, s1, 1
	s_cmp_lg_u32 s8, s1
	s_cbranch_scc1 .LBB102_967
.LBB102_968:
	s_inst_prefetch 0x2
	s_waitcnt lgkmcnt(0)
	v_cmp_eq_f64_e32 vcc_lo, 0, v[210:211]
	v_cmp_eq_f64_e64 s0, 0, v[212:213]
	s_and_b32 s0, vcc_lo, s0
	s_and_saveexec_b32 s1, s0
	s_xor_b32 s0, exec_lo, s1
; %bb.969:
	v_cmp_ne_u32_e32 vcc_lo, 0, v223
	v_cndmask_b32_e32 v223, 47, v223, vcc_lo
; %bb.970:
	s_andn2_saveexec_b32 s0, s0
	s_cbranch_execz .LBB102_976
; %bb.971:
	v_cmp_ngt_f64_e64 s1, |v[210:211]|, |v[212:213]|
	s_and_saveexec_b32 s7, s1
	s_xor_b32 s1, exec_lo, s7
	s_cbranch_execz .LBB102_973
; %bb.972:
	v_div_scale_f64 v[225:226], null, v[212:213], v[212:213], v[210:211]
	v_div_scale_f64 v[231:232], vcc_lo, v[210:211], v[212:213], v[210:211]
	v_rcp_f64_e32 v[227:228], v[225:226]
	v_fma_f64 v[229:230], -v[225:226], v[227:228], 1.0
	v_fma_f64 v[227:228], v[227:228], v[229:230], v[227:228]
	v_fma_f64 v[229:230], -v[225:226], v[227:228], 1.0
	v_fma_f64 v[227:228], v[227:228], v[229:230], v[227:228]
	v_mul_f64 v[229:230], v[231:232], v[227:228]
	v_fma_f64 v[225:226], -v[225:226], v[229:230], v[231:232]
	v_div_fmas_f64 v[225:226], v[225:226], v[227:228], v[229:230]
	v_div_fixup_f64 v[225:226], v[225:226], v[212:213], v[210:211]
	v_fma_f64 v[210:211], v[210:211], v[225:226], v[212:213]
	v_div_scale_f64 v[212:213], null, v[210:211], v[210:211], 1.0
	v_rcp_f64_e32 v[227:228], v[212:213]
	v_fma_f64 v[229:230], -v[212:213], v[227:228], 1.0
	v_fma_f64 v[227:228], v[227:228], v[229:230], v[227:228]
	v_fma_f64 v[229:230], -v[212:213], v[227:228], 1.0
	v_fma_f64 v[227:228], v[227:228], v[229:230], v[227:228]
	v_div_scale_f64 v[229:230], vcc_lo, 1.0, v[210:211], 1.0
	v_mul_f64 v[231:232], v[229:230], v[227:228]
	v_fma_f64 v[212:213], -v[212:213], v[231:232], v[229:230]
	v_div_fmas_f64 v[212:213], v[212:213], v[227:228], v[231:232]
	v_div_fixup_f64 v[212:213], v[212:213], v[210:211], 1.0
	v_mul_f64 v[210:211], v[225:226], v[212:213]
	v_xor_b32_e32 v213, 0x80000000, v213
.LBB102_973:
	s_andn2_saveexec_b32 s1, s1
	s_cbranch_execz .LBB102_975
; %bb.974:
	v_div_scale_f64 v[225:226], null, v[210:211], v[210:211], v[212:213]
	v_div_scale_f64 v[231:232], vcc_lo, v[212:213], v[210:211], v[212:213]
	v_rcp_f64_e32 v[227:228], v[225:226]
	v_fma_f64 v[229:230], -v[225:226], v[227:228], 1.0
	v_fma_f64 v[227:228], v[227:228], v[229:230], v[227:228]
	v_fma_f64 v[229:230], -v[225:226], v[227:228], 1.0
	v_fma_f64 v[227:228], v[227:228], v[229:230], v[227:228]
	v_mul_f64 v[229:230], v[231:232], v[227:228]
	v_fma_f64 v[225:226], -v[225:226], v[229:230], v[231:232]
	v_div_fmas_f64 v[225:226], v[225:226], v[227:228], v[229:230]
	v_div_fixup_f64 v[225:226], v[225:226], v[210:211], v[212:213]
	v_fma_f64 v[210:211], v[212:213], v[225:226], v[210:211]
	v_div_scale_f64 v[212:213], null, v[210:211], v[210:211], 1.0
	v_rcp_f64_e32 v[227:228], v[212:213]
	v_fma_f64 v[229:230], -v[212:213], v[227:228], 1.0
	v_fma_f64 v[227:228], v[227:228], v[229:230], v[227:228]
	v_fma_f64 v[229:230], -v[212:213], v[227:228], 1.0
	v_fma_f64 v[227:228], v[227:228], v[229:230], v[227:228]
	v_div_scale_f64 v[229:230], vcc_lo, 1.0, v[210:211], 1.0
	v_mul_f64 v[231:232], v[229:230], v[227:228]
	v_fma_f64 v[212:213], -v[212:213], v[231:232], v[229:230]
	v_div_fmas_f64 v[212:213], v[212:213], v[227:228], v[231:232]
	v_div_fixup_f64 v[210:211], v[212:213], v[210:211], 1.0
	v_mul_f64 v[212:213], v[225:226], -v[210:211]
.LBB102_975:
	s_or_b32 exec_lo, exec_lo, s1
.LBB102_976:
	s_or_b32 exec_lo, exec_lo, s0
	s_mov_b32 s0, exec_lo
	v_cmpx_ne_u32_e64 v224, v218
	s_xor_b32 s0, exec_lo, s0
	s_cbranch_execz .LBB102_982
; %bb.977:
	s_mov_b32 s1, exec_lo
	v_cmpx_eq_u32_e32 46, v224
	s_cbranch_execz .LBB102_981
; %bb.978:
	v_cmp_ne_u32_e32 vcc_lo, 46, v218
	s_xor_b32 s7, s16, -1
	s_and_b32 s9, s7, vcc_lo
	s_and_saveexec_b32 s7, s9
	s_cbranch_execz .LBB102_980
; %bb.979:
	v_ashrrev_i32_e32 v219, 31, v218
	v_lshlrev_b64 v[224:225], 2, v[218:219]
	v_add_co_u32 v224, vcc_lo, v216, v224
	v_add_co_ci_u32_e64 v225, null, v217, v225, vcc_lo
	s_clause 0x1
	global_load_dword v0, v[224:225], off
	global_load_dword v219, v[216:217], off offset:184
	s_waitcnt vmcnt(1)
	global_store_dword v[216:217], v0, off offset:184
	s_waitcnt vmcnt(0)
	global_store_dword v[224:225], v219, off
.LBB102_980:
	s_or_b32 exec_lo, exec_lo, s7
	v_mov_b32_e32 v224, v218
	v_mov_b32_e32 v0, v218
.LBB102_981:
	s_or_b32 exec_lo, exec_lo, s1
.LBB102_982:
	s_andn2_saveexec_b32 s0, s0
	s_cbranch_execz .LBB102_984
; %bb.983:
	v_mov_b32_e32 v224, 46
	ds_write2_b64 v1, v[18:19], v[20:21] offset0:94 offset1:95
	ds_write2_b64 v1, v[14:15], v[16:17] offset0:96 offset1:97
	;; [unrolled: 1-line block ×5, first 2 shown]
.LBB102_984:
	s_or_b32 exec_lo, exec_lo, s0
	s_mov_b32 s0, exec_lo
	s_waitcnt lgkmcnt(0)
	s_waitcnt_vscnt null, 0x0
	s_barrier
	buffer_gl0_inv
	v_cmpx_lt_i32_e32 46, v224
	s_cbranch_execz .LBB102_986
; %bb.985:
	v_mul_f64 v[218:219], v[210:211], v[24:25]
	v_mul_f64 v[24:25], v[212:213], v[24:25]
	v_fma_f64 v[218:219], v[212:213], v[22:23], v[218:219]
	v_fma_f64 v[22:23], v[210:211], v[22:23], -v[24:25]
	ds_read2_b64 v[210:213], v1 offset0:94 offset1:95
	s_waitcnt lgkmcnt(0)
	v_mul_f64 v[24:25], v[212:213], v[218:219]
	v_fma_f64 v[24:25], v[210:211], v[22:23], -v[24:25]
	v_mul_f64 v[210:211], v[210:211], v[218:219]
	v_add_f64 v[18:19], v[18:19], -v[24:25]
	v_fma_f64 v[210:211], v[212:213], v[22:23], v[210:211]
	v_add_f64 v[20:21], v[20:21], -v[210:211]
	ds_read2_b64 v[210:213], v1 offset0:96 offset1:97
	s_waitcnt lgkmcnt(0)
	v_mul_f64 v[24:25], v[212:213], v[218:219]
	v_fma_f64 v[24:25], v[210:211], v[22:23], -v[24:25]
	v_mul_f64 v[210:211], v[210:211], v[218:219]
	v_add_f64 v[14:15], v[14:15], -v[24:25]
	v_fma_f64 v[210:211], v[212:213], v[22:23], v[210:211]
	v_add_f64 v[16:17], v[16:17], -v[210:211]
	;; [unrolled: 8-line block ×4, first 2 shown]
	ds_read2_b64 v[210:213], v1 offset0:102 offset1:103
	s_waitcnt lgkmcnt(0)
	v_mul_f64 v[24:25], v[212:213], v[218:219]
	v_fma_f64 v[24:25], v[210:211], v[22:23], -v[24:25]
	v_mul_f64 v[210:211], v[210:211], v[218:219]
	v_add_f64 v[2:3], v[2:3], -v[24:25]
	v_fma_f64 v[210:211], v[212:213], v[22:23], v[210:211]
	v_mov_b32_e32 v24, v218
	v_mov_b32_e32 v25, v219
	v_add_f64 v[4:5], v[4:5], -v[210:211]
.LBB102_986:
	s_or_b32 exec_lo, exec_lo, s0
	v_lshl_add_u32 v210, v224, 4, v1
	s_barrier
	buffer_gl0_inv
	v_mov_b32_e32 v218, 47
	ds_write2_b64 v210, v[18:19], v[20:21] offset1:1
	s_waitcnt lgkmcnt(0)
	s_barrier
	buffer_gl0_inv
	ds_read2_b64 v[210:213], v1 offset0:94 offset1:95
	s_cmp_lt_i32 s8, 49
	s_cbranch_scc1 .LBB102_989
; %bb.987:
	v_add3_u32 v219, v220, 0, 0x300
	v_mov_b32_e32 v218, 47
	s_mov_b32 s1, 48
	s_inst_prefetch 0x1
	.p2align	6
.LBB102_988:                            ; =>This Inner Loop Header: Depth=1
	s_waitcnt lgkmcnt(0)
	v_cmp_gt_f64_e32 vcc_lo, 0, v[212:213]
	v_cmp_gt_f64_e64 s0, 0, v[210:211]
	ds_read2_b64 v[225:228], v219 offset1:1
	v_xor_b32_e32 v230, 0x80000000, v211
	v_xor_b32_e32 v232, 0x80000000, v213
	v_mov_b32_e32 v229, v210
	v_mov_b32_e32 v231, v212
	v_add_nc_u32_e32 v219, 16, v219
	s_waitcnt lgkmcnt(0)
	v_xor_b32_e32 v234, 0x80000000, v228
	v_cndmask_b32_e64 v230, v211, v230, s0
	v_cndmask_b32_e32 v232, v213, v232, vcc_lo
	v_cmp_gt_f64_e32 vcc_lo, 0, v[227:228]
	v_cmp_gt_f64_e64 s0, 0, v[225:226]
	v_mov_b32_e32 v233, v227
	v_add_f64 v[229:230], v[229:230], v[231:232]
	v_xor_b32_e32 v232, 0x80000000, v226
	v_mov_b32_e32 v231, v225
	v_cndmask_b32_e32 v234, v228, v234, vcc_lo
	v_cndmask_b32_e64 v232, v226, v232, s0
	v_add_f64 v[231:232], v[231:232], v[233:234]
	v_cmp_lt_f64_e32 vcc_lo, v[229:230], v[231:232]
	v_cndmask_b32_e32 v211, v211, v226, vcc_lo
	v_cndmask_b32_e32 v210, v210, v225, vcc_lo
	;; [unrolled: 1-line block ×4, first 2 shown]
	v_cndmask_b32_e64 v218, v218, s1, vcc_lo
	s_add_i32 s1, s1, 1
	s_cmp_lg_u32 s8, s1
	s_cbranch_scc1 .LBB102_988
.LBB102_989:
	s_inst_prefetch 0x2
	s_waitcnt lgkmcnt(0)
	v_cmp_eq_f64_e32 vcc_lo, 0, v[210:211]
	v_cmp_eq_f64_e64 s0, 0, v[212:213]
	s_and_b32 s0, vcc_lo, s0
	s_and_saveexec_b32 s1, s0
	s_xor_b32 s0, exec_lo, s1
; %bb.990:
	v_cmp_ne_u32_e32 vcc_lo, 0, v223
	v_cndmask_b32_e32 v223, 48, v223, vcc_lo
; %bb.991:
	s_andn2_saveexec_b32 s0, s0
	s_cbranch_execz .LBB102_997
; %bb.992:
	v_cmp_ngt_f64_e64 s1, |v[210:211]|, |v[212:213]|
	s_and_saveexec_b32 s7, s1
	s_xor_b32 s1, exec_lo, s7
	s_cbranch_execz .LBB102_994
; %bb.993:
	v_div_scale_f64 v[225:226], null, v[212:213], v[212:213], v[210:211]
	v_div_scale_f64 v[231:232], vcc_lo, v[210:211], v[212:213], v[210:211]
	v_rcp_f64_e32 v[227:228], v[225:226]
	v_fma_f64 v[229:230], -v[225:226], v[227:228], 1.0
	v_fma_f64 v[227:228], v[227:228], v[229:230], v[227:228]
	v_fma_f64 v[229:230], -v[225:226], v[227:228], 1.0
	v_fma_f64 v[227:228], v[227:228], v[229:230], v[227:228]
	v_mul_f64 v[229:230], v[231:232], v[227:228]
	v_fma_f64 v[225:226], -v[225:226], v[229:230], v[231:232]
	v_div_fmas_f64 v[225:226], v[225:226], v[227:228], v[229:230]
	v_div_fixup_f64 v[225:226], v[225:226], v[212:213], v[210:211]
	v_fma_f64 v[210:211], v[210:211], v[225:226], v[212:213]
	v_div_scale_f64 v[212:213], null, v[210:211], v[210:211], 1.0
	v_rcp_f64_e32 v[227:228], v[212:213]
	v_fma_f64 v[229:230], -v[212:213], v[227:228], 1.0
	v_fma_f64 v[227:228], v[227:228], v[229:230], v[227:228]
	v_fma_f64 v[229:230], -v[212:213], v[227:228], 1.0
	v_fma_f64 v[227:228], v[227:228], v[229:230], v[227:228]
	v_div_scale_f64 v[229:230], vcc_lo, 1.0, v[210:211], 1.0
	v_mul_f64 v[231:232], v[229:230], v[227:228]
	v_fma_f64 v[212:213], -v[212:213], v[231:232], v[229:230]
	v_div_fmas_f64 v[212:213], v[212:213], v[227:228], v[231:232]
	v_div_fixup_f64 v[212:213], v[212:213], v[210:211], 1.0
	v_mul_f64 v[210:211], v[225:226], v[212:213]
	v_xor_b32_e32 v213, 0x80000000, v213
.LBB102_994:
	s_andn2_saveexec_b32 s1, s1
	s_cbranch_execz .LBB102_996
; %bb.995:
	v_div_scale_f64 v[225:226], null, v[210:211], v[210:211], v[212:213]
	v_div_scale_f64 v[231:232], vcc_lo, v[212:213], v[210:211], v[212:213]
	v_rcp_f64_e32 v[227:228], v[225:226]
	v_fma_f64 v[229:230], -v[225:226], v[227:228], 1.0
	v_fma_f64 v[227:228], v[227:228], v[229:230], v[227:228]
	v_fma_f64 v[229:230], -v[225:226], v[227:228], 1.0
	v_fma_f64 v[227:228], v[227:228], v[229:230], v[227:228]
	v_mul_f64 v[229:230], v[231:232], v[227:228]
	v_fma_f64 v[225:226], -v[225:226], v[229:230], v[231:232]
	v_div_fmas_f64 v[225:226], v[225:226], v[227:228], v[229:230]
	v_div_fixup_f64 v[225:226], v[225:226], v[210:211], v[212:213]
	v_fma_f64 v[210:211], v[212:213], v[225:226], v[210:211]
	v_div_scale_f64 v[212:213], null, v[210:211], v[210:211], 1.0
	v_rcp_f64_e32 v[227:228], v[212:213]
	v_fma_f64 v[229:230], -v[212:213], v[227:228], 1.0
	v_fma_f64 v[227:228], v[227:228], v[229:230], v[227:228]
	v_fma_f64 v[229:230], -v[212:213], v[227:228], 1.0
	v_fma_f64 v[227:228], v[227:228], v[229:230], v[227:228]
	v_div_scale_f64 v[229:230], vcc_lo, 1.0, v[210:211], 1.0
	v_mul_f64 v[231:232], v[229:230], v[227:228]
	v_fma_f64 v[212:213], -v[212:213], v[231:232], v[229:230]
	v_div_fmas_f64 v[212:213], v[212:213], v[227:228], v[231:232]
	v_div_fixup_f64 v[210:211], v[212:213], v[210:211], 1.0
	v_mul_f64 v[212:213], v[225:226], -v[210:211]
.LBB102_996:
	s_or_b32 exec_lo, exec_lo, s1
.LBB102_997:
	s_or_b32 exec_lo, exec_lo, s0
	s_mov_b32 s0, exec_lo
	v_cmpx_ne_u32_e64 v224, v218
	s_xor_b32 s0, exec_lo, s0
	s_cbranch_execz .LBB102_1003
; %bb.998:
	s_mov_b32 s1, exec_lo
	v_cmpx_eq_u32_e32 47, v224
	s_cbranch_execz .LBB102_1002
; %bb.999:
	v_cmp_ne_u32_e32 vcc_lo, 47, v218
	s_xor_b32 s7, s16, -1
	s_and_b32 s9, s7, vcc_lo
	s_and_saveexec_b32 s7, s9
	s_cbranch_execz .LBB102_1001
; %bb.1000:
	v_ashrrev_i32_e32 v219, 31, v218
	v_lshlrev_b64 v[224:225], 2, v[218:219]
	v_add_co_u32 v224, vcc_lo, v216, v224
	v_add_co_ci_u32_e64 v225, null, v217, v225, vcc_lo
	s_clause 0x1
	global_load_dword v0, v[224:225], off
	global_load_dword v219, v[216:217], off offset:188
	s_waitcnt vmcnt(1)
	global_store_dword v[216:217], v0, off offset:188
	s_waitcnt vmcnt(0)
	global_store_dword v[224:225], v219, off
.LBB102_1001:
	s_or_b32 exec_lo, exec_lo, s7
	v_mov_b32_e32 v224, v218
	v_mov_b32_e32 v0, v218
.LBB102_1002:
	s_or_b32 exec_lo, exec_lo, s1
.LBB102_1003:
	s_andn2_saveexec_b32 s0, s0
	s_cbranch_execz .LBB102_1005
; %bb.1004:
	v_mov_b32_e32 v224, 47
	ds_write2_b64 v1, v[14:15], v[16:17] offset0:96 offset1:97
	ds_write2_b64 v1, v[10:11], v[12:13] offset0:98 offset1:99
	;; [unrolled: 1-line block ×4, first 2 shown]
.LBB102_1005:
	s_or_b32 exec_lo, exec_lo, s0
	s_mov_b32 s0, exec_lo
	s_waitcnt lgkmcnt(0)
	s_waitcnt_vscnt null, 0x0
	s_barrier
	buffer_gl0_inv
	v_cmpx_lt_i32_e32 47, v224
	s_cbranch_execz .LBB102_1007
; %bb.1006:
	v_mul_f64 v[218:219], v[210:211], v[20:21]
	v_mul_f64 v[20:21], v[212:213], v[20:21]
	ds_read2_b64 v[225:228], v1 offset0:96 offset1:97
	ds_read2_b64 v[229:232], v1 offset0:98 offset1:99
	;; [unrolled: 1-line block ×4, first 2 shown]
	v_fma_f64 v[212:213], v[212:213], v[18:19], v[218:219]
	v_fma_f64 v[18:19], v[210:211], v[18:19], -v[20:21]
	s_waitcnt lgkmcnt(3)
	v_mul_f64 v[20:21], v[227:228], v[212:213]
	v_mul_f64 v[210:211], v[225:226], v[212:213]
	s_waitcnt lgkmcnt(2)
	v_mul_f64 v[218:219], v[231:232], v[212:213]
	v_mul_f64 v[241:242], v[229:230], v[212:213]
	;; [unrolled: 3-line block ×4, first 2 shown]
	v_fma_f64 v[20:21], v[225:226], v[18:19], -v[20:21]
	v_fma_f64 v[210:211], v[227:228], v[18:19], v[210:211]
	v_fma_f64 v[218:219], v[229:230], v[18:19], -v[218:219]
	v_fma_f64 v[225:226], v[231:232], v[18:19], v[241:242]
	;; [unrolled: 2-line block ×4, first 2 shown]
	v_add_f64 v[14:15], v[14:15], -v[20:21]
	v_add_f64 v[16:17], v[16:17], -v[210:211]
	;; [unrolled: 1-line block ×8, first 2 shown]
	v_mov_b32_e32 v20, v212
	v_mov_b32_e32 v21, v213
.LBB102_1007:
	s_or_b32 exec_lo, exec_lo, s0
	v_lshl_add_u32 v210, v224, 4, v1
	s_barrier
	buffer_gl0_inv
	v_mov_b32_e32 v218, 48
	ds_write2_b64 v210, v[14:15], v[16:17] offset1:1
	s_waitcnt lgkmcnt(0)
	s_barrier
	buffer_gl0_inv
	ds_read2_b64 v[210:213], v1 offset0:96 offset1:97
	s_cmp_lt_i32 s8, 50
	s_cbranch_scc1 .LBB102_1010
; %bb.1008:
	v_add3_u32 v219, v220, 0, 0x310
	v_mov_b32_e32 v218, 48
	s_mov_b32 s1, 49
	s_inst_prefetch 0x1
	.p2align	6
.LBB102_1009:                           ; =>This Inner Loop Header: Depth=1
	s_waitcnt lgkmcnt(0)
	v_cmp_gt_f64_e32 vcc_lo, 0, v[212:213]
	v_cmp_gt_f64_e64 s0, 0, v[210:211]
	ds_read2_b64 v[225:228], v219 offset1:1
	v_xor_b32_e32 v230, 0x80000000, v211
	v_xor_b32_e32 v232, 0x80000000, v213
	v_mov_b32_e32 v229, v210
	v_mov_b32_e32 v231, v212
	v_add_nc_u32_e32 v219, 16, v219
	s_waitcnt lgkmcnt(0)
	v_xor_b32_e32 v234, 0x80000000, v228
	v_cndmask_b32_e64 v230, v211, v230, s0
	v_cndmask_b32_e32 v232, v213, v232, vcc_lo
	v_cmp_gt_f64_e32 vcc_lo, 0, v[227:228]
	v_cmp_gt_f64_e64 s0, 0, v[225:226]
	v_mov_b32_e32 v233, v227
	v_add_f64 v[229:230], v[229:230], v[231:232]
	v_xor_b32_e32 v232, 0x80000000, v226
	v_mov_b32_e32 v231, v225
	v_cndmask_b32_e32 v234, v228, v234, vcc_lo
	v_cndmask_b32_e64 v232, v226, v232, s0
	v_add_f64 v[231:232], v[231:232], v[233:234]
	v_cmp_lt_f64_e32 vcc_lo, v[229:230], v[231:232]
	v_cndmask_b32_e32 v211, v211, v226, vcc_lo
	v_cndmask_b32_e32 v210, v210, v225, vcc_lo
	;; [unrolled: 1-line block ×4, first 2 shown]
	v_cndmask_b32_e64 v218, v218, s1, vcc_lo
	s_add_i32 s1, s1, 1
	s_cmp_lg_u32 s8, s1
	s_cbranch_scc1 .LBB102_1009
.LBB102_1010:
	s_inst_prefetch 0x2
	s_waitcnt lgkmcnt(0)
	v_cmp_eq_f64_e32 vcc_lo, 0, v[210:211]
	v_cmp_eq_f64_e64 s0, 0, v[212:213]
	s_and_b32 s0, vcc_lo, s0
	s_and_saveexec_b32 s1, s0
	s_xor_b32 s0, exec_lo, s1
; %bb.1011:
	v_cmp_ne_u32_e32 vcc_lo, 0, v223
	v_cndmask_b32_e32 v223, 49, v223, vcc_lo
; %bb.1012:
	s_andn2_saveexec_b32 s0, s0
	s_cbranch_execz .LBB102_1018
; %bb.1013:
	v_cmp_ngt_f64_e64 s1, |v[210:211]|, |v[212:213]|
	s_and_saveexec_b32 s7, s1
	s_xor_b32 s1, exec_lo, s7
	s_cbranch_execz .LBB102_1015
; %bb.1014:
	v_div_scale_f64 v[225:226], null, v[212:213], v[212:213], v[210:211]
	v_div_scale_f64 v[231:232], vcc_lo, v[210:211], v[212:213], v[210:211]
	v_rcp_f64_e32 v[227:228], v[225:226]
	v_fma_f64 v[229:230], -v[225:226], v[227:228], 1.0
	v_fma_f64 v[227:228], v[227:228], v[229:230], v[227:228]
	v_fma_f64 v[229:230], -v[225:226], v[227:228], 1.0
	v_fma_f64 v[227:228], v[227:228], v[229:230], v[227:228]
	v_mul_f64 v[229:230], v[231:232], v[227:228]
	v_fma_f64 v[225:226], -v[225:226], v[229:230], v[231:232]
	v_div_fmas_f64 v[225:226], v[225:226], v[227:228], v[229:230]
	v_div_fixup_f64 v[225:226], v[225:226], v[212:213], v[210:211]
	v_fma_f64 v[210:211], v[210:211], v[225:226], v[212:213]
	v_div_scale_f64 v[212:213], null, v[210:211], v[210:211], 1.0
	v_rcp_f64_e32 v[227:228], v[212:213]
	v_fma_f64 v[229:230], -v[212:213], v[227:228], 1.0
	v_fma_f64 v[227:228], v[227:228], v[229:230], v[227:228]
	v_fma_f64 v[229:230], -v[212:213], v[227:228], 1.0
	v_fma_f64 v[227:228], v[227:228], v[229:230], v[227:228]
	v_div_scale_f64 v[229:230], vcc_lo, 1.0, v[210:211], 1.0
	v_mul_f64 v[231:232], v[229:230], v[227:228]
	v_fma_f64 v[212:213], -v[212:213], v[231:232], v[229:230]
	v_div_fmas_f64 v[212:213], v[212:213], v[227:228], v[231:232]
	v_div_fixup_f64 v[212:213], v[212:213], v[210:211], 1.0
	v_mul_f64 v[210:211], v[225:226], v[212:213]
	v_xor_b32_e32 v213, 0x80000000, v213
.LBB102_1015:
	s_andn2_saveexec_b32 s1, s1
	s_cbranch_execz .LBB102_1017
; %bb.1016:
	v_div_scale_f64 v[225:226], null, v[210:211], v[210:211], v[212:213]
	v_div_scale_f64 v[231:232], vcc_lo, v[212:213], v[210:211], v[212:213]
	v_rcp_f64_e32 v[227:228], v[225:226]
	v_fma_f64 v[229:230], -v[225:226], v[227:228], 1.0
	v_fma_f64 v[227:228], v[227:228], v[229:230], v[227:228]
	v_fma_f64 v[229:230], -v[225:226], v[227:228], 1.0
	v_fma_f64 v[227:228], v[227:228], v[229:230], v[227:228]
	v_mul_f64 v[229:230], v[231:232], v[227:228]
	v_fma_f64 v[225:226], -v[225:226], v[229:230], v[231:232]
	v_div_fmas_f64 v[225:226], v[225:226], v[227:228], v[229:230]
	v_div_fixup_f64 v[225:226], v[225:226], v[210:211], v[212:213]
	v_fma_f64 v[210:211], v[212:213], v[225:226], v[210:211]
	v_div_scale_f64 v[212:213], null, v[210:211], v[210:211], 1.0
	v_rcp_f64_e32 v[227:228], v[212:213]
	v_fma_f64 v[229:230], -v[212:213], v[227:228], 1.0
	v_fma_f64 v[227:228], v[227:228], v[229:230], v[227:228]
	v_fma_f64 v[229:230], -v[212:213], v[227:228], 1.0
	v_fma_f64 v[227:228], v[227:228], v[229:230], v[227:228]
	v_div_scale_f64 v[229:230], vcc_lo, 1.0, v[210:211], 1.0
	v_mul_f64 v[231:232], v[229:230], v[227:228]
	v_fma_f64 v[212:213], -v[212:213], v[231:232], v[229:230]
	v_div_fmas_f64 v[212:213], v[212:213], v[227:228], v[231:232]
	v_div_fixup_f64 v[210:211], v[212:213], v[210:211], 1.0
	v_mul_f64 v[212:213], v[225:226], -v[210:211]
.LBB102_1017:
	s_or_b32 exec_lo, exec_lo, s1
.LBB102_1018:
	s_or_b32 exec_lo, exec_lo, s0
	s_mov_b32 s0, exec_lo
	v_cmpx_ne_u32_e64 v224, v218
	s_xor_b32 s0, exec_lo, s0
	s_cbranch_execz .LBB102_1024
; %bb.1019:
	s_mov_b32 s1, exec_lo
	v_cmpx_eq_u32_e32 48, v224
	s_cbranch_execz .LBB102_1023
; %bb.1020:
	v_cmp_ne_u32_e32 vcc_lo, 48, v218
	s_xor_b32 s7, s16, -1
	s_and_b32 s9, s7, vcc_lo
	s_and_saveexec_b32 s7, s9
	s_cbranch_execz .LBB102_1022
; %bb.1021:
	v_ashrrev_i32_e32 v219, 31, v218
	v_lshlrev_b64 v[224:225], 2, v[218:219]
	v_add_co_u32 v224, vcc_lo, v216, v224
	v_add_co_ci_u32_e64 v225, null, v217, v225, vcc_lo
	s_clause 0x1
	global_load_dword v0, v[224:225], off
	global_load_dword v219, v[216:217], off offset:192
	s_waitcnt vmcnt(1)
	global_store_dword v[216:217], v0, off offset:192
	s_waitcnt vmcnt(0)
	global_store_dword v[224:225], v219, off
.LBB102_1022:
	s_or_b32 exec_lo, exec_lo, s7
	v_mov_b32_e32 v224, v218
	v_mov_b32_e32 v0, v218
.LBB102_1023:
	s_or_b32 exec_lo, exec_lo, s1
.LBB102_1024:
	s_andn2_saveexec_b32 s0, s0
	s_cbranch_execz .LBB102_1026
; %bb.1025:
	v_mov_b32_e32 v224, 48
	ds_write2_b64 v1, v[10:11], v[12:13] offset0:98 offset1:99
	ds_write2_b64 v1, v[6:7], v[8:9] offset0:100 offset1:101
	;; [unrolled: 1-line block ×3, first 2 shown]
.LBB102_1026:
	s_or_b32 exec_lo, exec_lo, s0
	s_mov_b32 s0, exec_lo
	s_waitcnt lgkmcnt(0)
	s_waitcnt_vscnt null, 0x0
	s_barrier
	buffer_gl0_inv
	v_cmpx_lt_i32_e32 48, v224
	s_cbranch_execz .LBB102_1028
; %bb.1027:
	v_mul_f64 v[218:219], v[210:211], v[16:17]
	v_mul_f64 v[16:17], v[212:213], v[16:17]
	ds_read2_b64 v[225:228], v1 offset0:98 offset1:99
	ds_read2_b64 v[229:232], v1 offset0:100 offset1:101
	;; [unrolled: 1-line block ×3, first 2 shown]
	v_fma_f64 v[212:213], v[212:213], v[14:15], v[218:219]
	v_fma_f64 v[14:15], v[210:211], v[14:15], -v[16:17]
	s_waitcnt lgkmcnt(2)
	v_mul_f64 v[16:17], v[227:228], v[212:213]
	v_mul_f64 v[210:211], v[225:226], v[212:213]
	s_waitcnt lgkmcnt(1)
	v_mul_f64 v[218:219], v[231:232], v[212:213]
	v_mul_f64 v[237:238], v[229:230], v[212:213]
	;; [unrolled: 3-line block ×3, first 2 shown]
	v_fma_f64 v[16:17], v[225:226], v[14:15], -v[16:17]
	v_fma_f64 v[210:211], v[227:228], v[14:15], v[210:211]
	v_fma_f64 v[218:219], v[229:230], v[14:15], -v[218:219]
	v_fma_f64 v[225:226], v[231:232], v[14:15], v[237:238]
	;; [unrolled: 2-line block ×3, first 2 shown]
	v_add_f64 v[10:11], v[10:11], -v[16:17]
	v_add_f64 v[12:13], v[12:13], -v[210:211]
	v_add_f64 v[6:7], v[6:7], -v[218:219]
	v_add_f64 v[8:9], v[8:9], -v[225:226]
	v_add_f64 v[2:3], v[2:3], -v[227:228]
	v_add_f64 v[4:5], v[4:5], -v[229:230]
	v_mov_b32_e32 v16, v212
	v_mov_b32_e32 v17, v213
.LBB102_1028:
	s_or_b32 exec_lo, exec_lo, s0
	v_lshl_add_u32 v210, v224, 4, v1
	s_barrier
	buffer_gl0_inv
	v_mov_b32_e32 v218, 49
	ds_write2_b64 v210, v[10:11], v[12:13] offset1:1
	s_waitcnt lgkmcnt(0)
	s_barrier
	buffer_gl0_inv
	ds_read2_b64 v[210:213], v1 offset0:98 offset1:99
	s_cmp_lt_i32 s8, 51
	s_cbranch_scc1 .LBB102_1031
; %bb.1029:
	v_add3_u32 v219, v220, 0, 0x320
	v_mov_b32_e32 v218, 49
	s_mov_b32 s1, 50
	s_inst_prefetch 0x1
	.p2align	6
.LBB102_1030:                           ; =>This Inner Loop Header: Depth=1
	s_waitcnt lgkmcnt(0)
	v_cmp_gt_f64_e32 vcc_lo, 0, v[212:213]
	v_cmp_gt_f64_e64 s0, 0, v[210:211]
	ds_read2_b64 v[225:228], v219 offset1:1
	v_xor_b32_e32 v230, 0x80000000, v211
	v_xor_b32_e32 v232, 0x80000000, v213
	v_mov_b32_e32 v229, v210
	v_mov_b32_e32 v231, v212
	v_add_nc_u32_e32 v219, 16, v219
	s_waitcnt lgkmcnt(0)
	v_xor_b32_e32 v234, 0x80000000, v228
	v_cndmask_b32_e64 v230, v211, v230, s0
	v_cndmask_b32_e32 v232, v213, v232, vcc_lo
	v_cmp_gt_f64_e32 vcc_lo, 0, v[227:228]
	v_cmp_gt_f64_e64 s0, 0, v[225:226]
	v_mov_b32_e32 v233, v227
	v_add_f64 v[229:230], v[229:230], v[231:232]
	v_xor_b32_e32 v232, 0x80000000, v226
	v_mov_b32_e32 v231, v225
	v_cndmask_b32_e32 v234, v228, v234, vcc_lo
	v_cndmask_b32_e64 v232, v226, v232, s0
	v_add_f64 v[231:232], v[231:232], v[233:234]
	v_cmp_lt_f64_e32 vcc_lo, v[229:230], v[231:232]
	v_cndmask_b32_e32 v211, v211, v226, vcc_lo
	v_cndmask_b32_e32 v210, v210, v225, vcc_lo
	;; [unrolled: 1-line block ×4, first 2 shown]
	v_cndmask_b32_e64 v218, v218, s1, vcc_lo
	s_add_i32 s1, s1, 1
	s_cmp_lg_u32 s8, s1
	s_cbranch_scc1 .LBB102_1030
.LBB102_1031:
	s_inst_prefetch 0x2
	s_waitcnt lgkmcnt(0)
	v_cmp_eq_f64_e32 vcc_lo, 0, v[210:211]
	v_cmp_eq_f64_e64 s0, 0, v[212:213]
	s_and_b32 s0, vcc_lo, s0
	s_and_saveexec_b32 s1, s0
	s_xor_b32 s0, exec_lo, s1
; %bb.1032:
	v_cmp_ne_u32_e32 vcc_lo, 0, v223
	v_cndmask_b32_e32 v223, 50, v223, vcc_lo
; %bb.1033:
	s_andn2_saveexec_b32 s0, s0
	s_cbranch_execz .LBB102_1039
; %bb.1034:
	v_cmp_ngt_f64_e64 s1, |v[210:211]|, |v[212:213]|
	s_and_saveexec_b32 s7, s1
	s_xor_b32 s1, exec_lo, s7
	s_cbranch_execz .LBB102_1036
; %bb.1035:
	v_div_scale_f64 v[225:226], null, v[212:213], v[212:213], v[210:211]
	v_div_scale_f64 v[231:232], vcc_lo, v[210:211], v[212:213], v[210:211]
	v_rcp_f64_e32 v[227:228], v[225:226]
	v_fma_f64 v[229:230], -v[225:226], v[227:228], 1.0
	v_fma_f64 v[227:228], v[227:228], v[229:230], v[227:228]
	v_fma_f64 v[229:230], -v[225:226], v[227:228], 1.0
	v_fma_f64 v[227:228], v[227:228], v[229:230], v[227:228]
	v_mul_f64 v[229:230], v[231:232], v[227:228]
	v_fma_f64 v[225:226], -v[225:226], v[229:230], v[231:232]
	v_div_fmas_f64 v[225:226], v[225:226], v[227:228], v[229:230]
	v_div_fixup_f64 v[225:226], v[225:226], v[212:213], v[210:211]
	v_fma_f64 v[210:211], v[210:211], v[225:226], v[212:213]
	v_div_scale_f64 v[212:213], null, v[210:211], v[210:211], 1.0
	v_rcp_f64_e32 v[227:228], v[212:213]
	v_fma_f64 v[229:230], -v[212:213], v[227:228], 1.0
	v_fma_f64 v[227:228], v[227:228], v[229:230], v[227:228]
	v_fma_f64 v[229:230], -v[212:213], v[227:228], 1.0
	v_fma_f64 v[227:228], v[227:228], v[229:230], v[227:228]
	v_div_scale_f64 v[229:230], vcc_lo, 1.0, v[210:211], 1.0
	v_mul_f64 v[231:232], v[229:230], v[227:228]
	v_fma_f64 v[212:213], -v[212:213], v[231:232], v[229:230]
	v_div_fmas_f64 v[212:213], v[212:213], v[227:228], v[231:232]
	v_div_fixup_f64 v[212:213], v[212:213], v[210:211], 1.0
	v_mul_f64 v[210:211], v[225:226], v[212:213]
	v_xor_b32_e32 v213, 0x80000000, v213
.LBB102_1036:
	s_andn2_saveexec_b32 s1, s1
	s_cbranch_execz .LBB102_1038
; %bb.1037:
	v_div_scale_f64 v[225:226], null, v[210:211], v[210:211], v[212:213]
	v_div_scale_f64 v[231:232], vcc_lo, v[212:213], v[210:211], v[212:213]
	v_rcp_f64_e32 v[227:228], v[225:226]
	v_fma_f64 v[229:230], -v[225:226], v[227:228], 1.0
	v_fma_f64 v[227:228], v[227:228], v[229:230], v[227:228]
	v_fma_f64 v[229:230], -v[225:226], v[227:228], 1.0
	v_fma_f64 v[227:228], v[227:228], v[229:230], v[227:228]
	v_mul_f64 v[229:230], v[231:232], v[227:228]
	v_fma_f64 v[225:226], -v[225:226], v[229:230], v[231:232]
	v_div_fmas_f64 v[225:226], v[225:226], v[227:228], v[229:230]
	v_div_fixup_f64 v[225:226], v[225:226], v[210:211], v[212:213]
	v_fma_f64 v[210:211], v[212:213], v[225:226], v[210:211]
	v_div_scale_f64 v[212:213], null, v[210:211], v[210:211], 1.0
	v_rcp_f64_e32 v[227:228], v[212:213]
	v_fma_f64 v[229:230], -v[212:213], v[227:228], 1.0
	v_fma_f64 v[227:228], v[227:228], v[229:230], v[227:228]
	v_fma_f64 v[229:230], -v[212:213], v[227:228], 1.0
	v_fma_f64 v[227:228], v[227:228], v[229:230], v[227:228]
	v_div_scale_f64 v[229:230], vcc_lo, 1.0, v[210:211], 1.0
	v_mul_f64 v[231:232], v[229:230], v[227:228]
	v_fma_f64 v[212:213], -v[212:213], v[231:232], v[229:230]
	v_div_fmas_f64 v[212:213], v[212:213], v[227:228], v[231:232]
	v_div_fixup_f64 v[210:211], v[212:213], v[210:211], 1.0
	v_mul_f64 v[212:213], v[225:226], -v[210:211]
.LBB102_1038:
	s_or_b32 exec_lo, exec_lo, s1
.LBB102_1039:
	s_or_b32 exec_lo, exec_lo, s0
	s_mov_b32 s0, exec_lo
	v_cmpx_ne_u32_e64 v224, v218
	s_xor_b32 s0, exec_lo, s0
	s_cbranch_execz .LBB102_1045
; %bb.1040:
	s_mov_b32 s1, exec_lo
	v_cmpx_eq_u32_e32 49, v224
	s_cbranch_execz .LBB102_1044
; %bb.1041:
	v_cmp_ne_u32_e32 vcc_lo, 49, v218
	s_xor_b32 s7, s16, -1
	s_and_b32 s9, s7, vcc_lo
	s_and_saveexec_b32 s7, s9
	s_cbranch_execz .LBB102_1043
; %bb.1042:
	v_ashrrev_i32_e32 v219, 31, v218
	v_lshlrev_b64 v[224:225], 2, v[218:219]
	v_add_co_u32 v224, vcc_lo, v216, v224
	v_add_co_ci_u32_e64 v225, null, v217, v225, vcc_lo
	s_clause 0x1
	global_load_dword v0, v[224:225], off
	global_load_dword v219, v[216:217], off offset:196
	s_waitcnt vmcnt(1)
	global_store_dword v[216:217], v0, off offset:196
	s_waitcnt vmcnt(0)
	global_store_dword v[224:225], v219, off
.LBB102_1043:
	s_or_b32 exec_lo, exec_lo, s7
	v_mov_b32_e32 v224, v218
	v_mov_b32_e32 v0, v218
.LBB102_1044:
	s_or_b32 exec_lo, exec_lo, s1
.LBB102_1045:
	s_andn2_saveexec_b32 s0, s0
	s_cbranch_execz .LBB102_1047
; %bb.1046:
	v_mov_b32_e32 v224, 49
	ds_write2_b64 v1, v[6:7], v[8:9] offset0:100 offset1:101
	ds_write2_b64 v1, v[2:3], v[4:5] offset0:102 offset1:103
.LBB102_1047:
	s_or_b32 exec_lo, exec_lo, s0
	s_mov_b32 s0, exec_lo
	s_waitcnt lgkmcnt(0)
	s_waitcnt_vscnt null, 0x0
	s_barrier
	buffer_gl0_inv
	v_cmpx_lt_i32_e32 49, v224
	s_cbranch_execz .LBB102_1049
; %bb.1048:
	v_mul_f64 v[218:219], v[210:211], v[12:13]
	v_mul_f64 v[12:13], v[212:213], v[12:13]
	ds_read2_b64 v[225:228], v1 offset0:100 offset1:101
	ds_read2_b64 v[229:232], v1 offset0:102 offset1:103
	v_fma_f64 v[212:213], v[212:213], v[10:11], v[218:219]
	v_fma_f64 v[10:11], v[210:211], v[10:11], -v[12:13]
	s_waitcnt lgkmcnt(1)
	v_mul_f64 v[12:13], v[227:228], v[212:213]
	v_mul_f64 v[210:211], v[225:226], v[212:213]
	s_waitcnt lgkmcnt(0)
	v_mul_f64 v[218:219], v[231:232], v[212:213]
	v_mul_f64 v[233:234], v[229:230], v[212:213]
	v_fma_f64 v[12:13], v[225:226], v[10:11], -v[12:13]
	v_fma_f64 v[210:211], v[227:228], v[10:11], v[210:211]
	v_fma_f64 v[218:219], v[229:230], v[10:11], -v[218:219]
	v_fma_f64 v[225:226], v[231:232], v[10:11], v[233:234]
	v_add_f64 v[6:7], v[6:7], -v[12:13]
	v_add_f64 v[8:9], v[8:9], -v[210:211]
	;; [unrolled: 1-line block ×4, first 2 shown]
	v_mov_b32_e32 v12, v212
	v_mov_b32_e32 v13, v213
.LBB102_1049:
	s_or_b32 exec_lo, exec_lo, s0
	v_lshl_add_u32 v210, v224, 4, v1
	s_barrier
	buffer_gl0_inv
	v_mov_b32_e32 v218, 50
	ds_write2_b64 v210, v[6:7], v[8:9] offset1:1
	s_waitcnt lgkmcnt(0)
	s_barrier
	buffer_gl0_inv
	ds_read2_b64 v[210:213], v1 offset0:100 offset1:101
	s_cmp_lt_i32 s8, 52
	s_cbranch_scc1 .LBB102_1052
; %bb.1050:
	v_add3_u32 v219, v220, 0, 0x330
	v_mov_b32_e32 v218, 50
	s_mov_b32 s1, 51
	s_inst_prefetch 0x1
	.p2align	6
.LBB102_1051:                           ; =>This Inner Loop Header: Depth=1
	s_waitcnt lgkmcnt(0)
	v_cmp_gt_f64_e32 vcc_lo, 0, v[212:213]
	v_cmp_gt_f64_e64 s0, 0, v[210:211]
	ds_read2_b64 v[225:228], v219 offset1:1
	v_xor_b32_e32 v230, 0x80000000, v211
	v_xor_b32_e32 v232, 0x80000000, v213
	v_mov_b32_e32 v229, v210
	v_mov_b32_e32 v231, v212
	v_add_nc_u32_e32 v219, 16, v219
	s_waitcnt lgkmcnt(0)
	v_xor_b32_e32 v234, 0x80000000, v228
	v_cndmask_b32_e64 v230, v211, v230, s0
	v_cndmask_b32_e32 v232, v213, v232, vcc_lo
	v_cmp_gt_f64_e32 vcc_lo, 0, v[227:228]
	v_cmp_gt_f64_e64 s0, 0, v[225:226]
	v_mov_b32_e32 v233, v227
	v_add_f64 v[229:230], v[229:230], v[231:232]
	v_xor_b32_e32 v232, 0x80000000, v226
	v_mov_b32_e32 v231, v225
	v_cndmask_b32_e32 v234, v228, v234, vcc_lo
	v_cndmask_b32_e64 v232, v226, v232, s0
	v_add_f64 v[231:232], v[231:232], v[233:234]
	v_cmp_lt_f64_e32 vcc_lo, v[229:230], v[231:232]
	v_cndmask_b32_e32 v211, v211, v226, vcc_lo
	v_cndmask_b32_e32 v210, v210, v225, vcc_lo
	;; [unrolled: 1-line block ×4, first 2 shown]
	v_cndmask_b32_e64 v218, v218, s1, vcc_lo
	s_add_i32 s1, s1, 1
	s_cmp_lg_u32 s8, s1
	s_cbranch_scc1 .LBB102_1051
.LBB102_1052:
	s_inst_prefetch 0x2
	s_waitcnt lgkmcnt(0)
	v_cmp_eq_f64_e32 vcc_lo, 0, v[210:211]
	v_cmp_eq_f64_e64 s0, 0, v[212:213]
	s_and_b32 s0, vcc_lo, s0
	s_and_saveexec_b32 s1, s0
	s_xor_b32 s0, exec_lo, s1
; %bb.1053:
	v_cmp_ne_u32_e32 vcc_lo, 0, v223
	v_cndmask_b32_e32 v223, 51, v223, vcc_lo
; %bb.1054:
	s_andn2_saveexec_b32 s0, s0
	s_cbranch_execz .LBB102_1060
; %bb.1055:
	v_cmp_ngt_f64_e64 s1, |v[210:211]|, |v[212:213]|
	s_and_saveexec_b32 s7, s1
	s_xor_b32 s1, exec_lo, s7
	s_cbranch_execz .LBB102_1057
; %bb.1056:
	v_div_scale_f64 v[225:226], null, v[212:213], v[212:213], v[210:211]
	v_div_scale_f64 v[231:232], vcc_lo, v[210:211], v[212:213], v[210:211]
	v_rcp_f64_e32 v[227:228], v[225:226]
	v_fma_f64 v[229:230], -v[225:226], v[227:228], 1.0
	v_fma_f64 v[227:228], v[227:228], v[229:230], v[227:228]
	v_fma_f64 v[229:230], -v[225:226], v[227:228], 1.0
	v_fma_f64 v[227:228], v[227:228], v[229:230], v[227:228]
	v_mul_f64 v[229:230], v[231:232], v[227:228]
	v_fma_f64 v[225:226], -v[225:226], v[229:230], v[231:232]
	v_div_fmas_f64 v[225:226], v[225:226], v[227:228], v[229:230]
	v_div_fixup_f64 v[225:226], v[225:226], v[212:213], v[210:211]
	v_fma_f64 v[210:211], v[210:211], v[225:226], v[212:213]
	v_div_scale_f64 v[212:213], null, v[210:211], v[210:211], 1.0
	v_rcp_f64_e32 v[227:228], v[212:213]
	v_fma_f64 v[229:230], -v[212:213], v[227:228], 1.0
	v_fma_f64 v[227:228], v[227:228], v[229:230], v[227:228]
	v_fma_f64 v[229:230], -v[212:213], v[227:228], 1.0
	v_fma_f64 v[227:228], v[227:228], v[229:230], v[227:228]
	v_div_scale_f64 v[229:230], vcc_lo, 1.0, v[210:211], 1.0
	v_mul_f64 v[231:232], v[229:230], v[227:228]
	v_fma_f64 v[212:213], -v[212:213], v[231:232], v[229:230]
	v_div_fmas_f64 v[212:213], v[212:213], v[227:228], v[231:232]
	v_div_fixup_f64 v[212:213], v[212:213], v[210:211], 1.0
	v_mul_f64 v[210:211], v[225:226], v[212:213]
	v_xor_b32_e32 v213, 0x80000000, v213
.LBB102_1057:
	s_andn2_saveexec_b32 s1, s1
	s_cbranch_execz .LBB102_1059
; %bb.1058:
	v_div_scale_f64 v[225:226], null, v[210:211], v[210:211], v[212:213]
	v_div_scale_f64 v[231:232], vcc_lo, v[212:213], v[210:211], v[212:213]
	v_rcp_f64_e32 v[227:228], v[225:226]
	v_fma_f64 v[229:230], -v[225:226], v[227:228], 1.0
	v_fma_f64 v[227:228], v[227:228], v[229:230], v[227:228]
	v_fma_f64 v[229:230], -v[225:226], v[227:228], 1.0
	v_fma_f64 v[227:228], v[227:228], v[229:230], v[227:228]
	v_mul_f64 v[229:230], v[231:232], v[227:228]
	v_fma_f64 v[225:226], -v[225:226], v[229:230], v[231:232]
	v_div_fmas_f64 v[225:226], v[225:226], v[227:228], v[229:230]
	v_div_fixup_f64 v[225:226], v[225:226], v[210:211], v[212:213]
	v_fma_f64 v[210:211], v[212:213], v[225:226], v[210:211]
	v_div_scale_f64 v[212:213], null, v[210:211], v[210:211], 1.0
	v_rcp_f64_e32 v[227:228], v[212:213]
	v_fma_f64 v[229:230], -v[212:213], v[227:228], 1.0
	v_fma_f64 v[227:228], v[227:228], v[229:230], v[227:228]
	v_fma_f64 v[229:230], -v[212:213], v[227:228], 1.0
	v_fma_f64 v[227:228], v[227:228], v[229:230], v[227:228]
	v_div_scale_f64 v[229:230], vcc_lo, 1.0, v[210:211], 1.0
	v_mul_f64 v[231:232], v[229:230], v[227:228]
	v_fma_f64 v[212:213], -v[212:213], v[231:232], v[229:230]
	v_div_fmas_f64 v[212:213], v[212:213], v[227:228], v[231:232]
	v_div_fixup_f64 v[210:211], v[212:213], v[210:211], 1.0
	v_mul_f64 v[212:213], v[225:226], -v[210:211]
.LBB102_1059:
	s_or_b32 exec_lo, exec_lo, s1
.LBB102_1060:
	s_or_b32 exec_lo, exec_lo, s0
	s_mov_b32 s0, exec_lo
	v_cmpx_ne_u32_e64 v224, v218
	s_xor_b32 s0, exec_lo, s0
	s_cbranch_execz .LBB102_1066
; %bb.1061:
	s_mov_b32 s1, exec_lo
	v_cmpx_eq_u32_e32 50, v224
	s_cbranch_execz .LBB102_1065
; %bb.1062:
	v_cmp_ne_u32_e32 vcc_lo, 50, v218
	s_xor_b32 s7, s16, -1
	s_and_b32 s9, s7, vcc_lo
	s_and_saveexec_b32 s7, s9
	s_cbranch_execz .LBB102_1064
; %bb.1063:
	v_ashrrev_i32_e32 v219, 31, v218
	v_lshlrev_b64 v[224:225], 2, v[218:219]
	v_add_co_u32 v224, vcc_lo, v216, v224
	v_add_co_ci_u32_e64 v225, null, v217, v225, vcc_lo
	s_clause 0x1
	global_load_dword v0, v[224:225], off
	global_load_dword v219, v[216:217], off offset:200
	s_waitcnt vmcnt(1)
	global_store_dword v[216:217], v0, off offset:200
	s_waitcnt vmcnt(0)
	global_store_dword v[224:225], v219, off
.LBB102_1064:
	s_or_b32 exec_lo, exec_lo, s7
	v_mov_b32_e32 v224, v218
	v_mov_b32_e32 v0, v218
.LBB102_1065:
	s_or_b32 exec_lo, exec_lo, s1
.LBB102_1066:
	s_andn2_saveexec_b32 s0, s0
; %bb.1067:
	v_mov_b32_e32 v224, 50
	ds_write2_b64 v1, v[2:3], v[4:5] offset0:102 offset1:103
; %bb.1068:
	s_or_b32 exec_lo, exec_lo, s0
	s_mov_b32 s0, exec_lo
	s_waitcnt lgkmcnt(0)
	s_waitcnt_vscnt null, 0x0
	s_barrier
	buffer_gl0_inv
	v_cmpx_lt_i32_e32 50, v224
	s_cbranch_execz .LBB102_1070
; %bb.1069:
	v_mul_f64 v[218:219], v[210:211], v[8:9]
	v_mul_f64 v[8:9], v[212:213], v[8:9]
	ds_read2_b64 v[225:228], v1 offset0:102 offset1:103
	v_fma_f64 v[212:213], v[212:213], v[6:7], v[218:219]
	v_fma_f64 v[6:7], v[210:211], v[6:7], -v[8:9]
	s_waitcnt lgkmcnt(0)
	v_mul_f64 v[8:9], v[227:228], v[212:213]
	v_mul_f64 v[210:211], v[225:226], v[212:213]
	v_fma_f64 v[8:9], v[225:226], v[6:7], -v[8:9]
	v_fma_f64 v[210:211], v[227:228], v[6:7], v[210:211]
	v_add_f64 v[2:3], v[2:3], -v[8:9]
	v_add_f64 v[4:5], v[4:5], -v[210:211]
	v_mov_b32_e32 v8, v212
	v_mov_b32_e32 v9, v213
.LBB102_1070:
	s_or_b32 exec_lo, exec_lo, s0
	v_lshl_add_u32 v210, v224, 4, v1
	s_barrier
	buffer_gl0_inv
	v_mov_b32_e32 v218, 51
	ds_write2_b64 v210, v[2:3], v[4:5] offset1:1
	s_waitcnt lgkmcnt(0)
	s_barrier
	buffer_gl0_inv
	ds_read2_b64 v[210:213], v1 offset0:102 offset1:103
	s_cmp_lt_i32 s8, 53
	s_cbranch_scc1 .LBB102_1073
; %bb.1071:
	v_add3_u32 v1, v220, 0, 0x340
	v_mov_b32_e32 v218, 51
	s_mov_b32 s1, 52
	s_inst_prefetch 0x1
	.p2align	6
.LBB102_1072:                           ; =>This Inner Loop Header: Depth=1
	s_waitcnt lgkmcnt(0)
	v_cmp_gt_f64_e32 vcc_lo, 0, v[212:213]
	v_cmp_gt_f64_e64 s0, 0, v[210:211]
	ds_read2_b64 v[225:228], v1 offset1:1
	v_xor_b32_e32 v220, 0x80000000, v211
	v_xor_b32_e32 v230, 0x80000000, v213
	v_mov_b32_e32 v219, v210
	v_mov_b32_e32 v229, v212
	v_add_nc_u32_e32 v1, 16, v1
	s_waitcnt lgkmcnt(0)
	v_xor_b32_e32 v232, 0x80000000, v228
	v_cndmask_b32_e64 v220, v211, v220, s0
	v_cndmask_b32_e32 v230, v213, v230, vcc_lo
	v_cmp_gt_f64_e32 vcc_lo, 0, v[227:228]
	v_cmp_gt_f64_e64 s0, 0, v[225:226]
	v_mov_b32_e32 v231, v227
	v_add_f64 v[219:220], v[219:220], v[229:230]
	v_xor_b32_e32 v230, 0x80000000, v226
	v_mov_b32_e32 v229, v225
	v_cndmask_b32_e32 v232, v228, v232, vcc_lo
	v_cndmask_b32_e64 v230, v226, v230, s0
	v_add_f64 v[229:230], v[229:230], v[231:232]
	v_cmp_lt_f64_e32 vcc_lo, v[219:220], v[229:230]
	v_cndmask_b32_e32 v211, v211, v226, vcc_lo
	v_cndmask_b32_e32 v210, v210, v225, vcc_lo
	;; [unrolled: 1-line block ×4, first 2 shown]
	v_cndmask_b32_e64 v218, v218, s1, vcc_lo
	s_add_i32 s1, s1, 1
	s_cmp_lg_u32 s8, s1
	s_cbranch_scc1 .LBB102_1072
.LBB102_1073:
	s_inst_prefetch 0x2
	s_waitcnt lgkmcnt(0)
	v_cmp_eq_f64_e32 vcc_lo, 0, v[210:211]
	v_cmp_eq_f64_e64 s0, 0, v[212:213]
	s_and_b32 s0, vcc_lo, s0
	s_and_saveexec_b32 s1, s0
	s_xor_b32 s0, exec_lo, s1
; %bb.1074:
	v_cmp_ne_u32_e32 vcc_lo, 0, v223
	v_cndmask_b32_e32 v223, 52, v223, vcc_lo
; %bb.1075:
	s_andn2_saveexec_b32 s0, s0
	s_cbranch_execz .LBB102_1081
; %bb.1076:
	v_cmp_ngt_f64_e64 s1, |v[210:211]|, |v[212:213]|
	s_and_saveexec_b32 s7, s1
	s_xor_b32 s1, exec_lo, s7
	s_cbranch_execz .LBB102_1078
; %bb.1077:
	v_div_scale_f64 v[219:220], null, v[212:213], v[212:213], v[210:211]
	v_div_scale_f64 v[229:230], vcc_lo, v[210:211], v[212:213], v[210:211]
	v_rcp_f64_e32 v[225:226], v[219:220]
	v_fma_f64 v[227:228], -v[219:220], v[225:226], 1.0
	v_fma_f64 v[225:226], v[225:226], v[227:228], v[225:226]
	v_fma_f64 v[227:228], -v[219:220], v[225:226], 1.0
	v_fma_f64 v[225:226], v[225:226], v[227:228], v[225:226]
	v_mul_f64 v[227:228], v[229:230], v[225:226]
	v_fma_f64 v[219:220], -v[219:220], v[227:228], v[229:230]
	v_div_fmas_f64 v[219:220], v[219:220], v[225:226], v[227:228]
	v_div_fixup_f64 v[219:220], v[219:220], v[212:213], v[210:211]
	v_fma_f64 v[210:211], v[210:211], v[219:220], v[212:213]
	v_div_scale_f64 v[212:213], null, v[210:211], v[210:211], 1.0
	v_rcp_f64_e32 v[225:226], v[212:213]
	v_fma_f64 v[227:228], -v[212:213], v[225:226], 1.0
	v_fma_f64 v[225:226], v[225:226], v[227:228], v[225:226]
	v_fma_f64 v[227:228], -v[212:213], v[225:226], 1.0
	v_fma_f64 v[225:226], v[225:226], v[227:228], v[225:226]
	v_div_scale_f64 v[227:228], vcc_lo, 1.0, v[210:211], 1.0
	v_mul_f64 v[229:230], v[227:228], v[225:226]
	v_fma_f64 v[212:213], -v[212:213], v[229:230], v[227:228]
	v_div_fmas_f64 v[212:213], v[212:213], v[225:226], v[229:230]
	v_div_fixup_f64 v[212:213], v[212:213], v[210:211], 1.0
	v_mul_f64 v[210:211], v[219:220], v[212:213]
	v_xor_b32_e32 v213, 0x80000000, v213
.LBB102_1078:
	s_andn2_saveexec_b32 s1, s1
	s_cbranch_execz .LBB102_1080
; %bb.1079:
	v_div_scale_f64 v[219:220], null, v[210:211], v[210:211], v[212:213]
	v_div_scale_f64 v[229:230], vcc_lo, v[212:213], v[210:211], v[212:213]
	v_rcp_f64_e32 v[225:226], v[219:220]
	v_fma_f64 v[227:228], -v[219:220], v[225:226], 1.0
	v_fma_f64 v[225:226], v[225:226], v[227:228], v[225:226]
	v_fma_f64 v[227:228], -v[219:220], v[225:226], 1.0
	v_fma_f64 v[225:226], v[225:226], v[227:228], v[225:226]
	v_mul_f64 v[227:228], v[229:230], v[225:226]
	v_fma_f64 v[219:220], -v[219:220], v[227:228], v[229:230]
	v_div_fmas_f64 v[219:220], v[219:220], v[225:226], v[227:228]
	v_div_fixup_f64 v[219:220], v[219:220], v[210:211], v[212:213]
	v_fma_f64 v[210:211], v[212:213], v[219:220], v[210:211]
	v_div_scale_f64 v[212:213], null, v[210:211], v[210:211], 1.0
	v_rcp_f64_e32 v[225:226], v[212:213]
	v_fma_f64 v[227:228], -v[212:213], v[225:226], 1.0
	v_fma_f64 v[225:226], v[225:226], v[227:228], v[225:226]
	v_fma_f64 v[227:228], -v[212:213], v[225:226], 1.0
	v_fma_f64 v[225:226], v[225:226], v[227:228], v[225:226]
	v_div_scale_f64 v[227:228], vcc_lo, 1.0, v[210:211], 1.0
	v_mul_f64 v[229:230], v[227:228], v[225:226]
	v_fma_f64 v[212:213], -v[212:213], v[229:230], v[227:228]
	v_div_fmas_f64 v[212:213], v[212:213], v[225:226], v[229:230]
	v_div_fixup_f64 v[210:211], v[212:213], v[210:211], 1.0
	v_mul_f64 v[212:213], v[219:220], -v[210:211]
.LBB102_1080:
	s_or_b32 exec_lo, exec_lo, s1
.LBB102_1081:
	s_or_b32 exec_lo, exec_lo, s0
	v_mov_b32_e32 v219, 51
	s_mov_b32 s0, exec_lo
	v_cmpx_ne_u32_e64 v224, v218
	s_cbranch_execz .LBB102_1087
; %bb.1082:
	s_mov_b32 s1, exec_lo
	v_cmpx_eq_u32_e32 51, v224
	s_cbranch_execz .LBB102_1086
; %bb.1083:
	v_cmp_ne_u32_e32 vcc_lo, 51, v218
	s_xor_b32 s7, s16, -1
	s_and_b32 s8, s7, vcc_lo
	s_and_saveexec_b32 s7, s8
	s_cbranch_execz .LBB102_1085
; %bb.1084:
	v_ashrrev_i32_e32 v219, 31, v218
	v_lshlrev_b64 v[0:1], 2, v[218:219]
	v_add_co_u32 v0, vcc_lo, v216, v0
	v_add_co_ci_u32_e64 v1, null, v217, v1, vcc_lo
	s_clause 0x1
	global_load_dword v219, v[0:1], off
	global_load_dword v220, v[216:217], off offset:204
	s_waitcnt vmcnt(1)
	global_store_dword v[216:217], v219, off offset:204
	s_waitcnt vmcnt(0)
	global_store_dword v[0:1], v220, off
.LBB102_1085:
	s_or_b32 exec_lo, exec_lo, s7
	v_mov_b32_e32 v224, v218
	v_mov_b32_e32 v0, v218
.LBB102_1086:
	s_or_b32 exec_lo, exec_lo, s1
	v_mov_b32_e32 v219, v224
.LBB102_1087:
	s_or_b32 exec_lo, exec_lo, s0
	s_mov_b32 s0, exec_lo
	s_waitcnt_vscnt null, 0x0
	s_barrier
	buffer_gl0_inv
	v_cmpx_lt_i32_e32 51, v219
	s_cbranch_execz .LBB102_1089
; %bb.1088:
	v_mul_f64 v[216:217], v[212:213], v[4:5]
	v_mul_f64 v[4:5], v[210:211], v[4:5]
	v_fma_f64 v[210:211], v[210:211], v[2:3], -v[216:217]
	v_fma_f64 v[4:5], v[212:213], v[2:3], v[4:5]
	v_mov_b32_e32 v2, v210
	v_mov_b32_e32 v3, v211
.LBB102_1089:
	s_or_b32 exec_lo, exec_lo, s0
	v_ashrrev_i32_e32 v220, 31, v219
	s_mov_b32 s0, exec_lo
	s_barrier
	buffer_gl0_inv
	v_cmpx_gt_i32_e32 52, v219
	s_cbranch_execz .LBB102_1091
; %bb.1090:
	v_mul_lo_u32 v1, s15, v214
	v_mul_lo_u32 v212, s14, v215
	v_mad_u64_u32 v[210:211], null, s14, v214, 0
	s_lshl_b64 s[8:9], s[12:13], 2
	v_add3_u32 v0, v0, s17, 1
	v_add3_u32 v211, v211, v212, v1
	v_lshlrev_b64 v[210:211], 2, v[210:211]
	v_add_co_u32 v1, vcc_lo, s10, v210
	v_add_co_ci_u32_e64 v212, null, s11, v211, vcc_lo
	v_lshlrev_b64 v[210:211], 2, v[219:220]
	v_add_co_u32 v1, vcc_lo, v1, s8
	v_add_co_ci_u32_e64 v212, null, s9, v212, vcc_lo
	v_add_co_u32 v210, vcc_lo, v1, v210
	v_add_co_ci_u32_e64 v211, null, v212, v211, vcc_lo
	global_store_dword v[210:211], v0, off
.LBB102_1091:
	s_or_b32 exec_lo, exec_lo, s0
	s_mov_b32 s1, exec_lo
	v_cmpx_eq_u32_e32 0, v219
	s_cbranch_execz .LBB102_1094
; %bb.1092:
	v_lshlrev_b64 v[0:1], 2, v[214:215]
	v_cmp_ne_u32_e64 s0, 0, v223
	v_add_co_u32 v0, vcc_lo, s4, v0
	v_add_co_ci_u32_e64 v1, null, s5, v1, vcc_lo
	global_load_dword v210, v[0:1], off
	s_waitcnt vmcnt(0)
	v_cmp_eq_u32_e32 vcc_lo, 0, v210
	s_and_b32 s0, vcc_lo, s0
	s_and_b32 exec_lo, exec_lo, s0
	s_cbranch_execz .LBB102_1094
; %bb.1093:
	v_add_nc_u32_e32 v210, s17, v223
	global_store_dword v[0:1], v210, off
.LBB102_1094:
	s_or_b32 exec_lo, exec_lo, s1
	v_add3_u32 v0, s6, s6, v219
	v_lshlrev_b64 v[210:211], 4, v[219:220]
	v_add_nc_u32_e32 v212, s6, v0
	v_ashrrev_i32_e32 v1, 31, v0
	v_add_co_u32 v210, vcc_lo, v221, v210
	v_add_co_ci_u32_e64 v211, null, v222, v211, vcc_lo
	v_add_nc_u32_e32 v216, s6, v212
	v_add_co_u32 v214, vcc_lo, v210, s2
	v_ashrrev_i32_e32 v213, 31, v212
	v_add_co_ci_u32_e64 v215, null, s3, v211, vcc_lo
	v_ashrrev_i32_e32 v217, 31, v216
	v_lshlrev_b64 v[0:1], 4, v[0:1]
	global_store_dwordx4 v[210:211], v[202:205], off
	global_store_dwordx4 v[214:215], v[206:209], off
	v_lshlrev_b64 v[202:203], 4, v[212:213]
	v_add_nc_u32_e32 v206, s6, v216
	v_lshlrev_b64 v[204:205], 4, v[216:217]
	v_add_co_u32 v0, vcc_lo, v221, v0
	v_add_co_ci_u32_e64 v1, null, v222, v1, vcc_lo
	v_add_co_u32 v202, vcc_lo, v221, v202
	v_add_co_ci_u32_e64 v203, null, v222, v203, vcc_lo
	v_add_co_u32 v204, vcc_lo, v221, v204
	v_add_nc_u32_e32 v208, s6, v206
	v_add_co_ci_u32_e64 v205, null, v222, v205, vcc_lo
	v_ashrrev_i32_e32 v207, 31, v206
	global_store_dwordx4 v[0:1], v[198:201], off
	global_store_dwordx4 v[202:203], v[194:197], off
	global_store_dwordx4 v[204:205], v[190:193], off
	v_add_nc_u32_e32 v192, s6, v208
	v_ashrrev_i32_e32 v209, 31, v208
	v_lshlrev_b64 v[0:1], 4, v[206:207]
	v_add_nc_u32_e32 v194, s6, v192
	v_lshlrev_b64 v[190:191], 4, v[208:209]
	v_ashrrev_i32_e32 v193, 31, v192
	v_add_co_u32 v0, vcc_lo, v221, v0
	v_add_nc_u32_e32 v196, s6, v194
	v_add_co_ci_u32_e64 v1, null, v222, v1, vcc_lo
	v_add_co_u32 v190, vcc_lo, v221, v190
	v_ashrrev_i32_e32 v195, 31, v194
	v_add_co_ci_u32_e64 v191, null, v222, v191, vcc_lo
	v_ashrrev_i32_e32 v197, 31, v196
	v_lshlrev_b64 v[192:193], 4, v[192:193]
	global_store_dwordx4 v[0:1], v[186:189], off
	global_store_dwordx4 v[190:191], v[182:185], off
	v_lshlrev_b64 v[0:1], 4, v[194:195]
	v_add_nc_u32_e32 v186, s6, v196
	v_lshlrev_b64 v[184:185], 4, v[196:197]
	v_add_co_u32 v182, vcc_lo, v221, v192
	v_add_co_ci_u32_e64 v183, null, v222, v193, vcc_lo
	v_add_co_u32 v0, vcc_lo, v221, v0
	v_add_co_ci_u32_e64 v1, null, v222, v1, vcc_lo
	v_add_co_u32 v184, vcc_lo, v221, v184
	v_add_nc_u32_e32 v188, s6, v186
	v_add_co_ci_u32_e64 v185, null, v222, v185, vcc_lo
	v_ashrrev_i32_e32 v187, 31, v186
	global_store_dwordx4 v[182:183], v[178:181], off
	global_store_dwordx4 v[0:1], v[174:177], off
	global_store_dwordx4 v[184:185], v[170:173], off
	v_add_nc_u32_e32 v170, s6, v188
	v_ashrrev_i32_e32 v189, 31, v188
	v_lshlrev_b64 v[178:179], 4, v[186:187]
	v_add_nc_u32_e32 v174, s6, v170
	v_lshlrev_b64 v[0:1], 4, v[188:189]
	v_ashrrev_i32_e32 v171, 31, v170
	v_add_co_u32 v172, vcc_lo, v221, v178
	v_add_nc_u32_e32 v176, s6, v174
	v_add_co_ci_u32_e64 v173, null, v222, v179, vcc_lo
	v_add_co_u32 v0, vcc_lo, v221, v0
	v_ashrrev_i32_e32 v175, 31, v174
	v_add_co_ci_u32_e64 v1, null, v222, v1, vcc_lo
	v_ashrrev_i32_e32 v177, 31, v176
	v_lshlrev_b64 v[170:171], 4, v[170:171]
	global_store_dwordx4 v[172:173], v[166:169], off
	global_store_dwordx4 v[0:1], v[162:165], off
	v_lshlrev_b64 v[0:1], 4, v[174:175]
	v_add_nc_u32_e32 v166, s6, v176
	v_lshlrev_b64 v[164:165], 4, v[176:177]
	v_add_co_u32 v162, vcc_lo, v221, v170
	v_add_co_ci_u32_e64 v163, null, v222, v171, vcc_lo
	v_add_co_u32 v0, vcc_lo, v221, v0
	v_add_co_ci_u32_e64 v1, null, v222, v1, vcc_lo
	v_add_co_u32 v164, vcc_lo, v221, v164
	v_add_nc_u32_e32 v168, s6, v166
	v_add_co_ci_u32_e64 v165, null, v222, v165, vcc_lo
	v_ashrrev_i32_e32 v167, 31, v166
	global_store_dwordx4 v[162:163], v[158:161], off
	global_store_dwordx4 v[0:1], v[154:157], off
	global_store_dwordx4 v[164:165], v[150:153], off
	v_add_nc_u32_e32 v150, s6, v168
	v_ashrrev_i32_e32 v169, 31, v168
	v_lshlrev_b64 v[158:159], 4, v[166:167]
	v_add_nc_u32_e32 v154, s6, v150
	v_lshlrev_b64 v[0:1], 4, v[168:169]
	v_ashrrev_i32_e32 v151, 31, v150
	v_add_co_u32 v152, vcc_lo, v221, v158
	v_add_nc_u32_e32 v156, s6, v154
	v_add_co_ci_u32_e64 v153, null, v222, v159, vcc_lo
	v_add_co_u32 v0, vcc_lo, v221, v0
	v_ashrrev_i32_e32 v155, 31, v154
	v_add_co_ci_u32_e64 v1, null, v222, v1, vcc_lo
	v_ashrrev_i32_e32 v157, 31, v156
	v_lshlrev_b64 v[150:151], 4, v[150:151]
	global_store_dwordx4 v[152:153], v[146:149], off
	global_store_dwordx4 v[0:1], v[142:145], off
	v_lshlrev_b64 v[0:1], 4, v[154:155]
	v_add_nc_u32_e32 v146, s6, v156
	v_lshlrev_b64 v[144:145], 4, v[156:157]
	v_add_co_u32 v142, vcc_lo, v221, v150
	v_add_co_ci_u32_e64 v143, null, v222, v151, vcc_lo
	v_add_co_u32 v0, vcc_lo, v221, v0
	v_add_co_ci_u32_e64 v1, null, v222, v1, vcc_lo
	v_add_co_u32 v144, vcc_lo, v221, v144
	v_add_nc_u32_e32 v148, s6, v146
	v_add_co_ci_u32_e64 v145, null, v222, v145, vcc_lo
	v_ashrrev_i32_e32 v147, 31, v146
	global_store_dwordx4 v[142:143], v[138:141], off
	global_store_dwordx4 v[0:1], v[134:137], off
	global_store_dwordx4 v[144:145], v[130:133], off
	v_add_nc_u32_e32 v130, s6, v148
	v_ashrrev_i32_e32 v149, 31, v148
	v_lshlrev_b64 v[138:139], 4, v[146:147]
	v_add_nc_u32_e32 v134, s6, v130
	v_lshlrev_b64 v[0:1], 4, v[148:149]
	v_ashrrev_i32_e32 v131, 31, v130
	v_add_co_u32 v132, vcc_lo, v221, v138
	v_add_nc_u32_e32 v136, s6, v134
	v_add_co_ci_u32_e64 v133, null, v222, v139, vcc_lo
	v_add_co_u32 v0, vcc_lo, v221, v0
	v_ashrrev_i32_e32 v135, 31, v134
	v_add_co_ci_u32_e64 v1, null, v222, v1, vcc_lo
	v_ashrrev_i32_e32 v137, 31, v136
	v_lshlrev_b64 v[130:131], 4, v[130:131]
	global_store_dwordx4 v[132:133], v[126:129], off
	global_store_dwordx4 v[0:1], v[122:125], off
	v_lshlrev_b64 v[0:1], 4, v[134:135]
	v_add_nc_u32_e32 v126, s6, v136
	v_lshlrev_b64 v[124:125], 4, v[136:137]
	v_add_co_u32 v122, vcc_lo, v221, v130
	v_add_co_ci_u32_e64 v123, null, v222, v131, vcc_lo
	v_add_co_u32 v0, vcc_lo, v221, v0
	v_add_co_ci_u32_e64 v1, null, v222, v1, vcc_lo
	v_add_co_u32 v124, vcc_lo, v221, v124
	v_add_nc_u32_e32 v128, s6, v126
	v_add_co_ci_u32_e64 v125, null, v222, v125, vcc_lo
	v_ashrrev_i32_e32 v127, 31, v126
	global_store_dwordx4 v[122:123], v[118:121], off
	global_store_dwordx4 v[0:1], v[114:117], off
	global_store_dwordx4 v[124:125], v[110:113], off
	v_add_nc_u32_e32 v110, s6, v128
	v_ashrrev_i32_e32 v129, 31, v128
	v_lshlrev_b64 v[118:119], 4, v[126:127]
	v_add_nc_u32_e32 v114, s6, v110
	v_lshlrev_b64 v[0:1], 4, v[128:129]
	v_ashrrev_i32_e32 v111, 31, v110
	v_add_co_u32 v112, vcc_lo, v221, v118
	v_add_nc_u32_e32 v116, s6, v114
	v_add_co_ci_u32_e64 v113, null, v222, v119, vcc_lo
	v_add_co_u32 v0, vcc_lo, v221, v0
	v_ashrrev_i32_e32 v115, 31, v114
	v_add_co_ci_u32_e64 v1, null, v222, v1, vcc_lo
	v_ashrrev_i32_e32 v117, 31, v116
	v_lshlrev_b64 v[110:111], 4, v[110:111]
	global_store_dwordx4 v[112:113], v[106:109], off
	global_store_dwordx4 v[0:1], v[102:105], off
	v_lshlrev_b64 v[0:1], 4, v[114:115]
	v_add_nc_u32_e32 v106, s6, v116
	v_lshlrev_b64 v[104:105], 4, v[116:117]
	v_add_co_u32 v102, vcc_lo, v221, v110
	v_add_co_ci_u32_e64 v103, null, v222, v111, vcc_lo
	v_add_co_u32 v0, vcc_lo, v221, v0
	v_add_co_ci_u32_e64 v1, null, v222, v1, vcc_lo
	v_add_co_u32 v104, vcc_lo, v221, v104
	v_add_nc_u32_e32 v108, s6, v106
	v_add_co_ci_u32_e64 v105, null, v222, v105, vcc_lo
	v_ashrrev_i32_e32 v107, 31, v106
	global_store_dwordx4 v[102:103], v[98:101], off
	global_store_dwordx4 v[0:1], v[94:97], off
	global_store_dwordx4 v[104:105], v[90:93], off
	v_add_nc_u32_e32 v90, s6, v108
	v_ashrrev_i32_e32 v109, 31, v108
	v_lshlrev_b64 v[98:99], 4, v[106:107]
	v_add_nc_u32_e32 v94, s6, v90
	v_lshlrev_b64 v[0:1], 4, v[108:109]
	v_ashrrev_i32_e32 v91, 31, v90
	v_add_co_u32 v92, vcc_lo, v221, v98
	v_add_nc_u32_e32 v96, s6, v94
	v_add_co_ci_u32_e64 v93, null, v222, v99, vcc_lo
	v_add_co_u32 v0, vcc_lo, v221, v0
	v_ashrrev_i32_e32 v95, 31, v94
	v_add_co_ci_u32_e64 v1, null, v222, v1, vcc_lo
	v_ashrrev_i32_e32 v97, 31, v96
	v_lshlrev_b64 v[90:91], 4, v[90:91]
	global_store_dwordx4 v[92:93], v[86:89], off
	global_store_dwordx4 v[0:1], v[82:85], off
	v_lshlrev_b64 v[0:1], 4, v[94:95]
	v_add_nc_u32_e32 v86, s6, v96
	v_lshlrev_b64 v[84:85], 4, v[96:97]
	v_add_co_u32 v82, vcc_lo, v221, v90
	v_add_co_ci_u32_e64 v83, null, v222, v91, vcc_lo
	v_add_co_u32 v0, vcc_lo, v221, v0
	v_add_co_ci_u32_e64 v1, null, v222, v1, vcc_lo
	v_add_co_u32 v84, vcc_lo, v221, v84
	v_add_nc_u32_e32 v88, s6, v86
	v_add_co_ci_u32_e64 v85, null, v222, v85, vcc_lo
	v_ashrrev_i32_e32 v87, 31, v86
	global_store_dwordx4 v[82:83], v[78:81], off
	global_store_dwordx4 v[0:1], v[74:77], off
	global_store_dwordx4 v[84:85], v[70:73], off
	v_add_nc_u32_e32 v70, s6, v88
	v_ashrrev_i32_e32 v89, 31, v88
	v_lshlrev_b64 v[78:79], 4, v[86:87]
	v_add_nc_u32_e32 v74, s6, v70
	v_lshlrev_b64 v[0:1], 4, v[88:89]
	v_ashrrev_i32_e32 v71, 31, v70
	v_add_co_u32 v72, vcc_lo, v221, v78
	v_add_nc_u32_e32 v76, s6, v74
	v_add_co_ci_u32_e64 v73, null, v222, v79, vcc_lo
	v_add_co_u32 v0, vcc_lo, v221, v0
	v_ashrrev_i32_e32 v75, 31, v74
	v_add_co_ci_u32_e64 v1, null, v222, v1, vcc_lo
	v_ashrrev_i32_e32 v77, 31, v76
	v_lshlrev_b64 v[70:71], 4, v[70:71]
	global_store_dwordx4 v[72:73], v[66:69], off
	global_store_dwordx4 v[0:1], v[62:65], off
	v_lshlrev_b64 v[0:1], 4, v[74:75]
	v_add_nc_u32_e32 v66, s6, v76
	v_lshlrev_b64 v[64:65], 4, v[76:77]
	v_add_co_u32 v62, vcc_lo, v221, v70
	v_add_co_ci_u32_e64 v63, null, v222, v71, vcc_lo
	v_add_co_u32 v0, vcc_lo, v221, v0
	v_add_co_ci_u32_e64 v1, null, v222, v1, vcc_lo
	v_add_co_u32 v64, vcc_lo, v221, v64
	v_add_nc_u32_e32 v68, s6, v66
	v_add_co_ci_u32_e64 v65, null, v222, v65, vcc_lo
	v_ashrrev_i32_e32 v67, 31, v66
	global_store_dwordx4 v[62:63], v[58:61], off
	global_store_dwordx4 v[0:1], v[54:57], off
	global_store_dwordx4 v[64:65], v[50:53], off
	v_add_nc_u32_e32 v50, s6, v68
	v_ashrrev_i32_e32 v69, 31, v68
	v_lshlrev_b64 v[58:59], 4, v[66:67]
	v_add_nc_u32_e32 v54, s6, v50
	v_lshlrev_b64 v[0:1], 4, v[68:69]
	v_ashrrev_i32_e32 v51, 31, v50
	v_add_co_u32 v52, vcc_lo, v221, v58
	v_add_nc_u32_e32 v56, s6, v54
	v_add_co_ci_u32_e64 v53, null, v222, v59, vcc_lo
	v_add_co_u32 v0, vcc_lo, v221, v0
	v_ashrrev_i32_e32 v55, 31, v54
	v_add_co_ci_u32_e64 v1, null, v222, v1, vcc_lo
	v_ashrrev_i32_e32 v57, 31, v56
	v_lshlrev_b64 v[50:51], 4, v[50:51]
	global_store_dwordx4 v[52:53], v[46:49], off
	global_store_dwordx4 v[0:1], v[42:45], off
	v_lshlrev_b64 v[0:1], 4, v[54:55]
	v_add_nc_u32_e32 v46, s6, v56
	v_lshlrev_b64 v[44:45], 4, v[56:57]
	v_add_co_u32 v42, vcc_lo, v221, v50
	v_add_co_ci_u32_e64 v43, null, v222, v51, vcc_lo
	v_add_co_u32 v0, vcc_lo, v221, v0
	v_add_nc_u32_e32 v48, s6, v46
	v_add_co_ci_u32_e64 v1, null, v222, v1, vcc_lo
	v_add_co_u32 v44, vcc_lo, v221, v44
	v_ashrrev_i32_e32 v47, 31, v46
	v_add_co_ci_u32_e64 v45, null, v222, v45, vcc_lo
	v_ashrrev_i32_e32 v49, 31, v48
	global_store_dwordx4 v[42:43], v[38:41], off
	v_lshlrev_b64 v[38:39], 4, v[46:47]
	global_store_dwordx4 v[0:1], v[34:37], off
	global_store_dwordx4 v[44:45], v[30:33], off
	v_add_nc_u32_e32 v30, s6, v48
	v_lshlrev_b64 v[0:1], 4, v[48:49]
	v_add_co_u32 v32, vcc_lo, v221, v38
	v_add_nc_u32_e32 v34, s6, v30
	v_add_co_ci_u32_e64 v33, null, v222, v39, vcc_lo
	v_add_co_u32 v0, vcc_lo, v221, v0
	v_add_co_ci_u32_e64 v1, null, v222, v1, vcc_lo
	v_add_nc_u32_e32 v36, s6, v34
	v_ashrrev_i32_e32 v31, 31, v30
	global_store_dwordx4 v[32:33], v[26:29], off
	global_store_dwordx4 v[0:1], v[22:25], off
	v_ashrrev_i32_e32 v35, 31, v34
	v_add_nc_u32_e32 v22, s6, v36
	v_lshlrev_b64 v[26:27], 4, v[30:31]
	v_ashrrev_i32_e32 v37, 31, v36
	v_lshlrev_b64 v[0:1], 4, v[34:35]
	v_add_nc_u32_e32 v28, s6, v22
	v_ashrrev_i32_e32 v23, 31, v22
	v_add_co_u32 v24, vcc_lo, v221, v26
	v_add_co_ci_u32_e64 v25, null, v222, v27, vcc_lo
	v_ashrrev_i32_e32 v29, 31, v28
	v_lshlrev_b64 v[26:27], 4, v[36:37]
	v_lshlrev_b64 v[22:23], 4, v[22:23]
	v_add_co_u32 v0, vcc_lo, v221, v0
	v_lshlrev_b64 v[28:29], 4, v[28:29]
	v_add_co_ci_u32_e64 v1, null, v222, v1, vcc_lo
	v_add_co_u32 v26, vcc_lo, v221, v26
	v_add_co_ci_u32_e64 v27, null, v222, v27, vcc_lo
	v_add_co_u32 v22, vcc_lo, v221, v22
	;; [unrolled: 2-line block ×3, first 2 shown]
	v_add_co_ci_u32_e64 v29, null, v222, v29, vcc_lo
	global_store_dwordx4 v[24:25], v[18:21], off
	global_store_dwordx4 v[0:1], v[14:17], off
	;; [unrolled: 1-line block ×5, first 2 shown]
.LBB102_1095:
	s_endpgm
	.section	.rodata,"a",@progbits
	.p2align	6, 0x0
	.amdhsa_kernel _ZN9rocsolver6v33100L18getf2_small_kernelILi52E19rocblas_complex_numIdEiiPS3_EEvT1_T3_lS5_lPS5_llPT2_S5_S5_S7_l
		.amdhsa_group_segment_fixed_size 0
		.amdhsa_private_segment_fixed_size 0
		.amdhsa_kernarg_size 352
		.amdhsa_user_sgpr_count 6
		.amdhsa_user_sgpr_private_segment_buffer 1
		.amdhsa_user_sgpr_dispatch_ptr 0
		.amdhsa_user_sgpr_queue_ptr 0
		.amdhsa_user_sgpr_kernarg_segment_ptr 1
		.amdhsa_user_sgpr_dispatch_id 0
		.amdhsa_user_sgpr_flat_scratch_init 0
		.amdhsa_user_sgpr_private_segment_size 0
		.amdhsa_wavefront_size32 1
		.amdhsa_uses_dynamic_stack 0
		.amdhsa_system_sgpr_private_segment_wavefront_offset 0
		.amdhsa_system_sgpr_workgroup_id_x 1
		.amdhsa_system_sgpr_workgroup_id_y 1
		.amdhsa_system_sgpr_workgroup_id_z 0
		.amdhsa_system_sgpr_workgroup_info 0
		.amdhsa_system_vgpr_workitem_id 1
		.amdhsa_next_free_vgpr 253
		.amdhsa_next_free_sgpr 20
		.amdhsa_reserve_vcc 1
		.amdhsa_reserve_flat_scratch 0
		.amdhsa_float_round_mode_32 0
		.amdhsa_float_round_mode_16_64 0
		.amdhsa_float_denorm_mode_32 3
		.amdhsa_float_denorm_mode_16_64 3
		.amdhsa_dx10_clamp 1
		.amdhsa_ieee_mode 1
		.amdhsa_fp16_overflow 0
		.amdhsa_workgroup_processor_mode 1
		.amdhsa_memory_ordered 1
		.amdhsa_forward_progress 1
		.amdhsa_shared_vgpr_count 0
		.amdhsa_exception_fp_ieee_invalid_op 0
		.amdhsa_exception_fp_denorm_src 0
		.amdhsa_exception_fp_ieee_div_zero 0
		.amdhsa_exception_fp_ieee_overflow 0
		.amdhsa_exception_fp_ieee_underflow 0
		.amdhsa_exception_fp_ieee_inexact 0
		.amdhsa_exception_int_div_zero 0
	.end_amdhsa_kernel
	.section	.text._ZN9rocsolver6v33100L18getf2_small_kernelILi52E19rocblas_complex_numIdEiiPS3_EEvT1_T3_lS5_lPS5_llPT2_S5_S5_S7_l,"axG",@progbits,_ZN9rocsolver6v33100L18getf2_small_kernelILi52E19rocblas_complex_numIdEiiPS3_EEvT1_T3_lS5_lPS5_llPT2_S5_S5_S7_l,comdat
.Lfunc_end102:
	.size	_ZN9rocsolver6v33100L18getf2_small_kernelILi52E19rocblas_complex_numIdEiiPS3_EEvT1_T3_lS5_lPS5_llPT2_S5_S5_S7_l, .Lfunc_end102-_ZN9rocsolver6v33100L18getf2_small_kernelILi52E19rocblas_complex_numIdEiiPS3_EEvT1_T3_lS5_lPS5_llPT2_S5_S5_S7_l
                                        ; -- End function
	.set _ZN9rocsolver6v33100L18getf2_small_kernelILi52E19rocblas_complex_numIdEiiPS3_EEvT1_T3_lS5_lPS5_llPT2_S5_S5_S7_l.num_vgpr, 253
	.set _ZN9rocsolver6v33100L18getf2_small_kernelILi52E19rocblas_complex_numIdEiiPS3_EEvT1_T3_lS5_lPS5_llPT2_S5_S5_S7_l.num_agpr, 0
	.set _ZN9rocsolver6v33100L18getf2_small_kernelILi52E19rocblas_complex_numIdEiiPS3_EEvT1_T3_lS5_lPS5_llPT2_S5_S5_S7_l.numbered_sgpr, 20
	.set _ZN9rocsolver6v33100L18getf2_small_kernelILi52E19rocblas_complex_numIdEiiPS3_EEvT1_T3_lS5_lPS5_llPT2_S5_S5_S7_l.num_named_barrier, 0
	.set _ZN9rocsolver6v33100L18getf2_small_kernelILi52E19rocblas_complex_numIdEiiPS3_EEvT1_T3_lS5_lPS5_llPT2_S5_S5_S7_l.private_seg_size, 0
	.set _ZN9rocsolver6v33100L18getf2_small_kernelILi52E19rocblas_complex_numIdEiiPS3_EEvT1_T3_lS5_lPS5_llPT2_S5_S5_S7_l.uses_vcc, 1
	.set _ZN9rocsolver6v33100L18getf2_small_kernelILi52E19rocblas_complex_numIdEiiPS3_EEvT1_T3_lS5_lPS5_llPT2_S5_S5_S7_l.uses_flat_scratch, 0
	.set _ZN9rocsolver6v33100L18getf2_small_kernelILi52E19rocblas_complex_numIdEiiPS3_EEvT1_T3_lS5_lPS5_llPT2_S5_S5_S7_l.has_dyn_sized_stack, 0
	.set _ZN9rocsolver6v33100L18getf2_small_kernelILi52E19rocblas_complex_numIdEiiPS3_EEvT1_T3_lS5_lPS5_llPT2_S5_S5_S7_l.has_recursion, 0
	.set _ZN9rocsolver6v33100L18getf2_small_kernelILi52E19rocblas_complex_numIdEiiPS3_EEvT1_T3_lS5_lPS5_llPT2_S5_S5_S7_l.has_indirect_call, 0
	.section	.AMDGPU.csdata,"",@progbits
; Kernel info:
; codeLenInByte = 145872
; TotalNumSgprs: 22
; NumVgprs: 253
; ScratchSize: 0
; MemoryBound: 0
; FloatMode: 240
; IeeeMode: 1
; LDSByteSize: 0 bytes/workgroup (compile time only)
; SGPRBlocks: 0
; VGPRBlocks: 31
; NumSGPRsForWavesPerEU: 22
; NumVGPRsForWavesPerEU: 253
; Occupancy: 4
; WaveLimiterHint : 0
; COMPUTE_PGM_RSRC2:SCRATCH_EN: 0
; COMPUTE_PGM_RSRC2:USER_SGPR: 6
; COMPUTE_PGM_RSRC2:TRAP_HANDLER: 0
; COMPUTE_PGM_RSRC2:TGID_X_EN: 1
; COMPUTE_PGM_RSRC2:TGID_Y_EN: 1
; COMPUTE_PGM_RSRC2:TGID_Z_EN: 0
; COMPUTE_PGM_RSRC2:TIDIG_COMP_CNT: 1
	.section	.text._ZN9rocsolver6v33100L23getf2_npvt_small_kernelILi52E19rocblas_complex_numIdEiiPS3_EEvT1_T3_lS5_lPT2_S5_S5_,"axG",@progbits,_ZN9rocsolver6v33100L23getf2_npvt_small_kernelILi52E19rocblas_complex_numIdEiiPS3_EEvT1_T3_lS5_lPT2_S5_S5_,comdat
	.globl	_ZN9rocsolver6v33100L23getf2_npvt_small_kernelILi52E19rocblas_complex_numIdEiiPS3_EEvT1_T3_lS5_lPT2_S5_S5_ ; -- Begin function _ZN9rocsolver6v33100L23getf2_npvt_small_kernelILi52E19rocblas_complex_numIdEiiPS3_EEvT1_T3_lS5_lPT2_S5_S5_
	.p2align	8
	.type	_ZN9rocsolver6v33100L23getf2_npvt_small_kernelILi52E19rocblas_complex_numIdEiiPS3_EEvT1_T3_lS5_lPT2_S5_S5_,@function
_ZN9rocsolver6v33100L23getf2_npvt_small_kernelILi52E19rocblas_complex_numIdEiiPS3_EEvT1_T3_lS5_lPT2_S5_S5_: ; @_ZN9rocsolver6v33100L23getf2_npvt_small_kernelILi52E19rocblas_complex_numIdEiiPS3_EEvT1_T3_lS5_lPT2_S5_S5_
; %bb.0:
	s_mov_b64 s[18:19], s[2:3]
	s_mov_b64 s[16:17], s[0:1]
	s_clause 0x1
	s_load_dword s0, s[4:5], 0x44
	s_load_dwordx2 s[12:13], s[4:5], 0x30
	s_add_u32 s16, s16, s8
	s_addc_u32 s17, s17, 0
	s_waitcnt lgkmcnt(0)
	s_lshr_b32 s14, s0, 16
	s_mov_b32 s0, exec_lo
	v_mad_u64_u32 v[2:3], null, s7, s14, v[1:2]
	v_cmpx_gt_i32_e64 s12, v2
	s_cbranch_execnz .LBB103_1
; %bb.474:
	s_getpc_b64 s[20:21]
.Lpost_getpc5:
	s_add_u32 s20, s20, (.LBB103_473-.Lpost_getpc5)&4294967295
	s_addc_u32 s21, s21, (.LBB103_473-.Lpost_getpc5)>>32
	s_setpc_b64 s[20:21]
.LBB103_1:
	s_clause 0x2
	s_load_dwordx4 s[8:11], s[4:5], 0x20
	s_load_dword s6, s[4:5], 0x18
	s_load_dwordx4 s[0:3], s[4:5], 0x8
	v_ashrrev_i32_e32 v3, 31, v2
	v_mad_u32_u24 v253, 0x340, v1, 0
	v_lshlrev_b32_e32 v1, 4, v1
	s_mulk_i32 s14, 0x340
	v_add3_u32 v255, 0, s14, v1
	s_waitcnt lgkmcnt(0)
	v_mul_lo_u32 v5, s9, v2
	v_mul_lo_u32 v7, s8, v3
	buffer_store_dword v2, off, s[16:19], 0 offset:1088 ; 4-byte Folded Spill
	buffer_store_dword v3, off, s[16:19], 0 offset:1092 ; 4-byte Folded Spill
	v_add3_u32 v4, s6, s6, v0
	s_lshl_b64 s[2:3], s[2:3], 4
	s_ashr_i32 s7, s6, 31
	v_add_nc_u32_e32 v6, s6, v4
	v_add_nc_u32_e32 v8, s6, v6
	;; [unrolled: 1-line block ×3, first 2 shown]
	v_ashrrev_i32_e32 v9, 31, v8
	v_add_nc_u32_e32 v12, s6, v10
	v_ashrrev_i32_e32 v11, 31, v10
	v_lshlrev_b64 v[8:9], 4, v[8:9]
	v_add_nc_u32_e32 v14, s6, v12
	v_ashrrev_i32_e32 v13, 31, v12
	v_lshlrev_b64 v[10:11], 4, v[10:11]
	v_ashrrev_i32_e32 v15, 31, v14
	v_mad_u64_u32 v[2:3], null, s8, v2, 0
	v_add3_u32 v3, v3, v7, v5
	v_ashrrev_i32_e32 v5, 31, v4
	v_ashrrev_i32_e32 v7, 31, v6
	v_lshlrev_b64 v[2:3], 4, v[2:3]
	v_lshlrev_b64 v[4:5], 4, v[4:5]
	v_lshlrev_b64 v[6:7], 4, v[6:7]
	v_add_co_u32 v2, vcc_lo, s0, v2
	v_add_co_ci_u32_e64 v3, null, s1, v3, vcc_lo
	s_lshl_b64 s[0:1], s[6:7], 4
	v_add_co_u32 v2, vcc_lo, v2, s2
	v_add_co_ci_u32_e64 v3, null, s3, v3, vcc_lo
	v_add_co_u32 v16, vcc_lo, v2, v4
	v_add_co_ci_u32_e64 v17, null, v3, v5, vcc_lo
	v_add_co_u32 v76, vcc_lo, v2, v6
	v_add_nc_u32_e32 v6, s6, v14
	v_lshlrev_b64 v[4:5], 4, v[12:13]
	v_add_co_ci_u32_e64 v77, null, v3, v7, vcc_lo
	v_add_co_u32 v78, vcc_lo, v2, v8
	v_add_co_ci_u32_e64 v79, null, v3, v9, vcc_lo
	v_add_co_u32 v80, vcc_lo, v2, v10
	v_ashrrev_i32_e32 v7, 31, v6
	v_add_nc_u32_e32 v10, s6, v6
	v_lshlrev_b64 v[8:9], 4, v[14:15]
	v_add_co_ci_u32_e64 v81, null, v3, v11, vcc_lo
	v_add_co_u32 v12, vcc_lo, v2, v4
	v_add_co_ci_u32_e64 v13, null, v3, v5, vcc_lo
	v_lshlrev_b64 v[4:5], 4, v[6:7]
	v_ashrrev_i32_e32 v11, 31, v10
	v_add_nc_u32_e32 v6, s6, v10
	v_add_co_u32 v14, vcc_lo, v2, v8
	v_add_co_ci_u32_e64 v15, null, v3, v9, vcc_lo
	v_lshlrev_b64 v[8:9], 4, v[10:11]
	v_ashrrev_i32_e32 v7, 31, v6
	v_add_nc_u32_e32 v10, s6, v6
	;; [unrolled: 5-line block ×41, first 2 shown]
	v_add_co_u32 v227, vcc_lo, v2, v8
	v_add_co_ci_u32_e64 v228, null, v3, v9, vcc_lo
	v_lshlrev_b64 v[8:9], 4, v[10:11]
	v_add_nc_u32_e32 v10, s6, v6
	v_ashrrev_i32_e32 v7, 31, v6
	v_add_co_u32 v229, vcc_lo, v2, v4
	v_add_co_ci_u32_e64 v230, null, v3, v5, vcc_lo
	v_ashrrev_i32_e32 v11, 31, v10
	v_lshlrev_b64 v[4:5], 4, v[6:7]
	v_add_co_u32 v8, vcc_lo, v2, v8
	v_add_co_ci_u32_e64 v9, null, v3, v9, vcc_lo
	v_lshlrev_b64 v[6:7], 4, v[10:11]
	v_add_co_u32 v231, vcc_lo, v2, v4
	v_lshlrev_b32_e32 v4, 4, v0
	v_add_co_ci_u32_e64 v232, null, v3, v5, vcc_lo
	v_add_co_u32 v233, vcc_lo, v2, v6
	v_add_co_ci_u32_e64 v234, null, v3, v7, vcc_lo
	v_add_co_u32 v2, vcc_lo, v2, v4
	;; [unrolled: 2-line block ×3, first 2 shown]
	v_add_co_ci_u32_e64 v5, null, s1, v3, vcc_lo
	buffer_store_dword v2, off, s[16:19], 0 offset:408 ; 4-byte Folded Spill
	buffer_store_dword v3, off, s[16:19], 0 offset:412 ; 4-byte Folded Spill
	v_cmp_ne_u32_e64 s1, 0, v0
	v_cmp_eq_u32_e64 s0, 0, v0
	global_load_dwordx4 v[72:75], v[2:3], off
	s_waitcnt vmcnt(0)
	buffer_store_dword v72, off, s[16:19], 0 offset:16 ; 4-byte Folded Spill
	buffer_store_dword v73, off, s[16:19], 0 offset:20 ; 4-byte Folded Spill
	;; [unrolled: 1-line block ×6, first 2 shown]
	global_load_dwordx4 v[1:4], v[4:5], off
	s_waitcnt vmcnt(0)
	buffer_store_dword v1, off, s[16:19], 0 ; 4-byte Folded Spill
	buffer_store_dword v2, off, s[16:19], 0 offset:4 ; 4-byte Folded Spill
	buffer_store_dword v3, off, s[16:19], 0 offset:8 ; 4-byte Folded Spill
	;; [unrolled: 1-line block ×5, first 2 shown]
	global_load_dwordx4 v[197:200], v[16:17], off
	buffer_store_dword v76, off, s[16:19], 0 offset:832 ; 4-byte Folded Spill
	buffer_store_dword v77, off, s[16:19], 0 offset:836 ; 4-byte Folded Spill
	global_load_dwordx4 v[193:196], v[76:77], off
	buffer_store_dword v78, off, s[16:19], 0 offset:824 ; 4-byte Folded Spill
	buffer_store_dword v79, off, s[16:19], 0 offset:828 ; 4-byte Folded Spill
	;; [unrolled: 3-line block ×49, first 2 shown]
	global_load_dwordx4 v[1:4], v[233:234], off
	s_and_saveexec_b32 s3, s0
	s_cbranch_execz .LBB103_8
; %bb.2:
	s_clause 0x3
	buffer_load_dword v203, off, s[16:19], 0 offset:16
	buffer_load_dword v204, off, s[16:19], 0 offset:20
	;; [unrolled: 1-line block ×4, first 2 shown]
	s_waitcnt vmcnt(0)
	ds_write2_b64 v255, v[203:204], v[205:206] offset1:1
	s_clause 0x3
	buffer_load_dword v203, off, s[16:19], 0
	buffer_load_dword v204, off, s[16:19], 0 offset:4
	buffer_load_dword v205, off, s[16:19], 0 offset:8
	;; [unrolled: 1-line block ×3, first 2 shown]
	s_waitcnt vmcnt(0)
	ds_write2_b64 v253, v[203:204], v[205:206] offset0:2 offset1:3
	ds_write2_b64 v253, v[197:198], v[199:200] offset0:4 offset1:5
	;; [unrolled: 1-line block ×51, first 2 shown]
	ds_read2_b64 v[209:212], v255 offset1:1
	s_waitcnt lgkmcnt(0)
	v_cmp_neq_f64_e32 vcc_lo, 0, v[209:210]
	v_cmp_neq_f64_e64 s2, 0, v[211:212]
	s_or_b32 s2, vcc_lo, s2
	s_and_b32 exec_lo, exec_lo, s2
	s_cbranch_execz .LBB103_8
; %bb.3:
	v_cmp_ngt_f64_e64 s2, |v[209:210]|, |v[211:212]|
                                        ; implicit-def: $vgpr213_vgpr214
	s_and_saveexec_b32 s4, s2
	s_xor_b32 s2, exec_lo, s4
                                        ; implicit-def: $vgpr215_vgpr216
	s_cbranch_execz .LBB103_5
; %bb.4:
	v_div_scale_f64 v[213:214], null, v[211:212], v[211:212], v[209:210]
	v_div_scale_f64 v[219:220], vcc_lo, v[209:210], v[211:212], v[209:210]
	v_rcp_f64_e32 v[215:216], v[213:214]
	v_fma_f64 v[217:218], -v[213:214], v[215:216], 1.0
	v_fma_f64 v[215:216], v[215:216], v[217:218], v[215:216]
	v_fma_f64 v[217:218], -v[213:214], v[215:216], 1.0
	v_fma_f64 v[215:216], v[215:216], v[217:218], v[215:216]
	v_mul_f64 v[217:218], v[219:220], v[215:216]
	v_fma_f64 v[213:214], -v[213:214], v[217:218], v[219:220]
	v_div_fmas_f64 v[213:214], v[213:214], v[215:216], v[217:218]
	v_div_fixup_f64 v[213:214], v[213:214], v[211:212], v[209:210]
	v_fma_f64 v[209:210], v[209:210], v[213:214], v[211:212]
	v_div_scale_f64 v[211:212], null, v[209:210], v[209:210], 1.0
	v_rcp_f64_e32 v[215:216], v[211:212]
	v_fma_f64 v[217:218], -v[211:212], v[215:216], 1.0
	v_fma_f64 v[215:216], v[215:216], v[217:218], v[215:216]
	v_fma_f64 v[217:218], -v[211:212], v[215:216], 1.0
	v_fma_f64 v[215:216], v[215:216], v[217:218], v[215:216]
	v_div_scale_f64 v[217:218], vcc_lo, 1.0, v[209:210], 1.0
	v_mul_f64 v[219:220], v[217:218], v[215:216]
	v_fma_f64 v[211:212], -v[211:212], v[219:220], v[217:218]
	v_div_fmas_f64 v[211:212], v[211:212], v[215:216], v[219:220]
	v_div_fixup_f64 v[215:216], v[211:212], v[209:210], 1.0
                                        ; implicit-def: $vgpr209_vgpr210
	v_mul_f64 v[213:214], v[213:214], v[215:216]
	v_xor_b32_e32 v216, 0x80000000, v216
.LBB103_5:
	s_andn2_saveexec_b32 s2, s2
	s_cbranch_execz .LBB103_7
; %bb.6:
	v_div_scale_f64 v[213:214], null, v[209:210], v[209:210], v[211:212]
	v_div_scale_f64 v[219:220], vcc_lo, v[211:212], v[209:210], v[211:212]
	v_rcp_f64_e32 v[215:216], v[213:214]
	v_fma_f64 v[217:218], -v[213:214], v[215:216], 1.0
	v_fma_f64 v[215:216], v[215:216], v[217:218], v[215:216]
	v_fma_f64 v[217:218], -v[213:214], v[215:216], 1.0
	v_fma_f64 v[215:216], v[215:216], v[217:218], v[215:216]
	v_mul_f64 v[217:218], v[219:220], v[215:216]
	v_fma_f64 v[213:214], -v[213:214], v[217:218], v[219:220]
	v_div_fmas_f64 v[213:214], v[213:214], v[215:216], v[217:218]
	v_div_fixup_f64 v[215:216], v[213:214], v[209:210], v[211:212]
	v_fma_f64 v[209:210], v[211:212], v[215:216], v[209:210]
	v_div_scale_f64 v[211:212], null, v[209:210], v[209:210], 1.0
	v_rcp_f64_e32 v[213:214], v[211:212]
	v_fma_f64 v[217:218], -v[211:212], v[213:214], 1.0
	v_fma_f64 v[213:214], v[213:214], v[217:218], v[213:214]
	v_fma_f64 v[217:218], -v[211:212], v[213:214], 1.0
	v_fma_f64 v[213:214], v[213:214], v[217:218], v[213:214]
	v_div_scale_f64 v[217:218], vcc_lo, 1.0, v[209:210], 1.0
	v_mul_f64 v[219:220], v[217:218], v[213:214]
	v_fma_f64 v[211:212], -v[211:212], v[219:220], v[217:218]
	v_div_fmas_f64 v[211:212], v[211:212], v[213:214], v[219:220]
	v_div_fixup_f64 v[213:214], v[211:212], v[209:210], 1.0
	v_mul_f64 v[215:216], v[215:216], -v[213:214]
.LBB103_7:
	s_or_b32 exec_lo, exec_lo, s2
	ds_write2_b64 v255, v[213:214], v[215:216] offset1:1
.LBB103_8:
	s_or_b32 exec_lo, exec_lo, s3
	s_waitcnt vmcnt(0) lgkmcnt(0)
	s_waitcnt_vscnt null, 0x0
	s_barrier
	buffer_gl0_inv
	ds_read2_b64 v[203:206], v255 offset1:1
	s_waitcnt lgkmcnt(0)
	buffer_store_dword v203, off, s[16:19], 0 offset:424 ; 4-byte Folded Spill
	buffer_store_dword v204, off, s[16:19], 0 offset:428 ; 4-byte Folded Spill
	;; [unrolled: 1-line block ×4, first 2 shown]
	s_and_saveexec_b32 s2, s1
	s_cbranch_execz .LBB103_10
; %bb.9:
	s_clause 0x7
	buffer_load_dword v205, off, s[16:19], 0 offset:16
	buffer_load_dword v206, off, s[16:19], 0 offset:20
	;; [unrolled: 1-line block ×8, first 2 shown]
	s_waitcnt vmcnt(0)
	v_mul_f64 v[209:210], v[213:214], v[207:208]
	v_mul_f64 v[207:208], v[211:212], v[207:208]
	v_fma_f64 v[209:210], v[211:212], v[205:206], -v[209:210]
	v_fma_f64 v[207:208], v[213:214], v[205:206], v[207:208]
	ds_read2_b64 v[211:214], v253 offset0:2 offset1:3
	s_waitcnt lgkmcnt(0)
	v_mul_f64 v[205:206], v[213:214], v[207:208]
	v_fma_f64 v[205:206], v[211:212], v[209:210], -v[205:206]
	v_mul_f64 v[211:212], v[211:212], v[207:208]
	v_fma_f64 v[211:212], v[213:214], v[209:210], v[211:212]
	s_clause 0x3
	buffer_load_dword v213, off, s[16:19], 0
	buffer_load_dword v214, off, s[16:19], 0 offset:4
	buffer_load_dword v215, off, s[16:19], 0 offset:8
	;; [unrolled: 1-line block ×3, first 2 shown]
	s_waitcnt vmcnt(2)
	v_add_f64 v[213:214], v[213:214], -v[205:206]
	s_waitcnt vmcnt(0)
	v_add_f64 v[215:216], v[215:216], -v[211:212]
	buffer_store_dword v213, off, s[16:19], 0 ; 4-byte Folded Spill
	buffer_store_dword v214, off, s[16:19], 0 offset:4 ; 4-byte Folded Spill
	buffer_store_dword v215, off, s[16:19], 0 offset:8 ; 4-byte Folded Spill
	;; [unrolled: 1-line block ×3, first 2 shown]
	ds_read2_b64 v[211:214], v253 offset0:4 offset1:5
	s_waitcnt lgkmcnt(0)
	v_mul_f64 v[205:206], v[213:214], v[207:208]
	v_fma_f64 v[205:206], v[211:212], v[209:210], -v[205:206]
	v_mul_f64 v[211:212], v[211:212], v[207:208]
	v_add_f64 v[197:198], v[197:198], -v[205:206]
	v_fma_f64 v[211:212], v[213:214], v[209:210], v[211:212]
	v_add_f64 v[199:200], v[199:200], -v[211:212]
	ds_read2_b64 v[211:214], v253 offset0:6 offset1:7
	s_waitcnt lgkmcnt(0)
	v_mul_f64 v[205:206], v[213:214], v[207:208]
	v_fma_f64 v[205:206], v[211:212], v[209:210], -v[205:206]
	v_mul_f64 v[211:212], v[211:212], v[207:208]
	v_add_f64 v[193:194], v[193:194], -v[205:206]
	v_fma_f64 v[211:212], v[213:214], v[209:210], v[211:212]
	v_add_f64 v[195:196], v[195:196], -v[211:212]
	;; [unrolled: 8-line block ×49, first 2 shown]
	ds_read2_b64 v[211:214], v253 offset0:102 offset1:103
	s_waitcnt lgkmcnt(0)
	v_mul_f64 v[205:206], v[213:214], v[207:208]
	v_fma_f64 v[205:206], v[211:212], v[209:210], -v[205:206]
	v_mul_f64 v[211:212], v[211:212], v[207:208]
	v_add_f64 v[1:2], v[1:2], -v[205:206]
	v_fma_f64 v[211:212], v[213:214], v[209:210], v[211:212]
	v_mov_b32_e32 v205, v209
	v_mov_b32_e32 v206, v210
	buffer_store_dword v205, off, s[16:19], 0 offset:16 ; 4-byte Folded Spill
	buffer_store_dword v206, off, s[16:19], 0 offset:20 ; 4-byte Folded Spill
	;; [unrolled: 1-line block ×4, first 2 shown]
	v_add_f64 v[3:4], v[3:4], -v[211:212]
.LBB103_10:
	s_or_b32 exec_lo, exec_lo, s2
	s_mov_b32 s2, exec_lo
	s_waitcnt_vscnt null, 0x0
	s_barrier
	buffer_gl0_inv
	v_cmpx_eq_u32_e32 1, v0
	s_cbranch_execz .LBB103_17
; %bb.11:
	s_clause 0x3
	buffer_load_dword v203, off, s[16:19], 0
	buffer_load_dword v204, off, s[16:19], 0 offset:4
	buffer_load_dword v205, off, s[16:19], 0 offset:8
	;; [unrolled: 1-line block ×3, first 2 shown]
	s_waitcnt vmcnt(0)
	ds_write2_b64 v255, v[203:204], v[205:206] offset1:1
	ds_write2_b64 v253, v[197:198], v[199:200] offset0:4 offset1:5
	ds_write2_b64 v253, v[193:194], v[195:196] offset0:6 offset1:7
	ds_write2_b64 v253, v[189:190], v[191:192] offset0:8 offset1:9
	ds_write2_b64 v253, v[185:186], v[187:188] offset0:10 offset1:11
	ds_write2_b64 v253, v[181:182], v[183:184] offset0:12 offset1:13
	ds_write2_b64 v253, v[177:178], v[179:180] offset0:14 offset1:15
	ds_write2_b64 v253, v[173:174], v[175:176] offset0:16 offset1:17
	ds_write2_b64 v253, v[169:170], v[171:172] offset0:18 offset1:19
	ds_write2_b64 v253, v[165:166], v[167:168] offset0:20 offset1:21
	ds_write2_b64 v253, v[161:162], v[163:164] offset0:22 offset1:23
	ds_write2_b64 v253, v[157:158], v[159:160] offset0:24 offset1:25
	ds_write2_b64 v253, v[153:154], v[155:156] offset0:26 offset1:27
	ds_write2_b64 v253, v[149:150], v[151:152] offset0:28 offset1:29
	ds_write2_b64 v253, v[145:146], v[147:148] offset0:30 offset1:31
	ds_write2_b64 v253, v[141:142], v[143:144] offset0:32 offset1:33
	ds_write2_b64 v253, v[137:138], v[139:140] offset0:34 offset1:35
	ds_write2_b64 v253, v[133:134], v[135:136] offset0:36 offset1:37
	ds_write2_b64 v253, v[129:130], v[131:132] offset0:38 offset1:39
	ds_write2_b64 v253, v[125:126], v[127:128] offset0:40 offset1:41
	ds_write2_b64 v253, v[121:122], v[123:124] offset0:42 offset1:43
	ds_write2_b64 v253, v[117:118], v[119:120] offset0:44 offset1:45
	ds_write2_b64 v253, v[113:114], v[115:116] offset0:46 offset1:47
	ds_write2_b64 v253, v[109:110], v[111:112] offset0:48 offset1:49
	ds_write2_b64 v253, v[105:106], v[107:108] offset0:50 offset1:51
	ds_write2_b64 v253, v[101:102], v[103:104] offset0:52 offset1:53
	ds_write2_b64 v253, v[97:98], v[99:100] offset0:54 offset1:55
	ds_write2_b64 v253, v[93:94], v[95:96] offset0:56 offset1:57
	ds_write2_b64 v253, v[89:90], v[91:92] offset0:58 offset1:59
	ds_write2_b64 v253, v[85:86], v[87:88] offset0:60 offset1:61
	ds_write2_b64 v253, v[81:82], v[83:84] offset0:62 offset1:63
	ds_write2_b64 v253, v[77:78], v[79:80] offset0:64 offset1:65
	ds_write2_b64 v253, v[73:74], v[75:76] offset0:66 offset1:67
	ds_write2_b64 v253, v[69:70], v[71:72] offset0:68 offset1:69
	ds_write2_b64 v253, v[65:66], v[67:68] offset0:70 offset1:71
	ds_write2_b64 v253, v[61:62], v[63:64] offset0:72 offset1:73
	ds_write2_b64 v253, v[57:58], v[59:60] offset0:74 offset1:75
	ds_write2_b64 v253, v[53:54], v[55:56] offset0:76 offset1:77
	ds_write2_b64 v253, v[49:50], v[51:52] offset0:78 offset1:79
	ds_write2_b64 v253, v[45:46], v[47:48] offset0:80 offset1:81
	ds_write2_b64 v253, v[41:42], v[43:44] offset0:82 offset1:83
	ds_write2_b64 v253, v[37:38], v[39:40] offset0:84 offset1:85
	ds_write2_b64 v253, v[33:34], v[35:36] offset0:86 offset1:87
	ds_write2_b64 v253, v[29:30], v[31:32] offset0:88 offset1:89
	ds_write2_b64 v253, v[25:26], v[27:28] offset0:90 offset1:91
	ds_write2_b64 v253, v[21:22], v[23:24] offset0:92 offset1:93
	ds_write2_b64 v253, v[17:18], v[19:20] offset0:94 offset1:95
	ds_write2_b64 v253, v[13:14], v[15:16] offset0:96 offset1:97
	ds_write2_b64 v253, v[9:10], v[11:12] offset0:98 offset1:99
	ds_write2_b64 v253, v[5:6], v[7:8] offset0:100 offset1:101
	ds_write2_b64 v253, v[1:2], v[3:4] offset0:102 offset1:103
	ds_read2_b64 v[209:212], v255 offset1:1
	s_waitcnt lgkmcnt(0)
	v_cmp_neq_f64_e32 vcc_lo, 0, v[209:210]
	v_cmp_neq_f64_e64 s1, 0, v[211:212]
	s_or_b32 s1, vcc_lo, s1
	s_and_b32 exec_lo, exec_lo, s1
	s_cbranch_execz .LBB103_17
; %bb.12:
	v_cmp_ngt_f64_e64 s1, |v[209:210]|, |v[211:212]|
                                        ; implicit-def: $vgpr213_vgpr214
	s_and_saveexec_b32 s3, s1
	s_xor_b32 s1, exec_lo, s3
                                        ; implicit-def: $vgpr215_vgpr216
	s_cbranch_execz .LBB103_14
; %bb.13:
	v_div_scale_f64 v[213:214], null, v[211:212], v[211:212], v[209:210]
	v_div_scale_f64 v[219:220], vcc_lo, v[209:210], v[211:212], v[209:210]
	v_rcp_f64_e32 v[215:216], v[213:214]
	v_fma_f64 v[217:218], -v[213:214], v[215:216], 1.0
	v_fma_f64 v[215:216], v[215:216], v[217:218], v[215:216]
	v_fma_f64 v[217:218], -v[213:214], v[215:216], 1.0
	v_fma_f64 v[215:216], v[215:216], v[217:218], v[215:216]
	v_mul_f64 v[217:218], v[219:220], v[215:216]
	v_fma_f64 v[213:214], -v[213:214], v[217:218], v[219:220]
	v_div_fmas_f64 v[213:214], v[213:214], v[215:216], v[217:218]
	v_div_fixup_f64 v[213:214], v[213:214], v[211:212], v[209:210]
	v_fma_f64 v[209:210], v[209:210], v[213:214], v[211:212]
	v_div_scale_f64 v[211:212], null, v[209:210], v[209:210], 1.0
	v_rcp_f64_e32 v[215:216], v[211:212]
	v_fma_f64 v[217:218], -v[211:212], v[215:216], 1.0
	v_fma_f64 v[215:216], v[215:216], v[217:218], v[215:216]
	v_fma_f64 v[217:218], -v[211:212], v[215:216], 1.0
	v_fma_f64 v[215:216], v[215:216], v[217:218], v[215:216]
	v_div_scale_f64 v[217:218], vcc_lo, 1.0, v[209:210], 1.0
	v_mul_f64 v[219:220], v[217:218], v[215:216]
	v_fma_f64 v[211:212], -v[211:212], v[219:220], v[217:218]
	v_div_fmas_f64 v[211:212], v[211:212], v[215:216], v[219:220]
	v_div_fixup_f64 v[215:216], v[211:212], v[209:210], 1.0
                                        ; implicit-def: $vgpr209_vgpr210
	v_mul_f64 v[213:214], v[213:214], v[215:216]
	v_xor_b32_e32 v216, 0x80000000, v216
.LBB103_14:
	s_andn2_saveexec_b32 s1, s1
	s_cbranch_execz .LBB103_16
; %bb.15:
	v_div_scale_f64 v[213:214], null, v[209:210], v[209:210], v[211:212]
	v_div_scale_f64 v[219:220], vcc_lo, v[211:212], v[209:210], v[211:212]
	v_rcp_f64_e32 v[215:216], v[213:214]
	v_fma_f64 v[217:218], -v[213:214], v[215:216], 1.0
	v_fma_f64 v[215:216], v[215:216], v[217:218], v[215:216]
	v_fma_f64 v[217:218], -v[213:214], v[215:216], 1.0
	v_fma_f64 v[215:216], v[215:216], v[217:218], v[215:216]
	v_mul_f64 v[217:218], v[219:220], v[215:216]
	v_fma_f64 v[213:214], -v[213:214], v[217:218], v[219:220]
	v_div_fmas_f64 v[213:214], v[213:214], v[215:216], v[217:218]
	v_div_fixup_f64 v[215:216], v[213:214], v[209:210], v[211:212]
	v_fma_f64 v[209:210], v[211:212], v[215:216], v[209:210]
	v_div_scale_f64 v[211:212], null, v[209:210], v[209:210], 1.0
	v_rcp_f64_e32 v[213:214], v[211:212]
	v_fma_f64 v[217:218], -v[211:212], v[213:214], 1.0
	v_fma_f64 v[213:214], v[213:214], v[217:218], v[213:214]
	v_fma_f64 v[217:218], -v[211:212], v[213:214], 1.0
	v_fma_f64 v[213:214], v[213:214], v[217:218], v[213:214]
	v_div_scale_f64 v[217:218], vcc_lo, 1.0, v[209:210], 1.0
	v_mul_f64 v[219:220], v[217:218], v[213:214]
	v_fma_f64 v[211:212], -v[211:212], v[219:220], v[217:218]
	v_div_fmas_f64 v[211:212], v[211:212], v[213:214], v[219:220]
	v_div_fixup_f64 v[213:214], v[211:212], v[209:210], 1.0
	v_mul_f64 v[215:216], v[215:216], -v[213:214]
.LBB103_16:
	s_or_b32 exec_lo, exec_lo, s1
	ds_write2_b64 v255, v[213:214], v[215:216] offset1:1
.LBB103_17:
	s_or_b32 exec_lo, exec_lo, s2
	s_waitcnt lgkmcnt(0)
	s_barrier
	buffer_gl0_inv
	ds_read2_b64 v[203:206], v255 offset1:1
	s_mov_b32 s1, exec_lo
	s_waitcnt lgkmcnt(0)
	buffer_store_dword v203, off, s[16:19], 0 offset:440 ; 4-byte Folded Spill
	buffer_store_dword v204, off, s[16:19], 0 offset:444 ; 4-byte Folded Spill
	;; [unrolled: 1-line block ×4, first 2 shown]
	v_cmpx_lt_u32_e32 1, v0
	s_cbranch_execz .LBB103_19
; %bb.18:
	s_clause 0x7
	buffer_load_dword v213, off, s[16:19], 0
	buffer_load_dword v214, off, s[16:19], 0 offset:4
	buffer_load_dword v215, off, s[16:19], 0 offset:8
	;; [unrolled: 1-line block ×7, first 2 shown]
	s_waitcnt vmcnt(2)
	v_mul_f64 v[203:204], v[217:218], v[215:216]
	s_waitcnt vmcnt(0)
	v_mul_f64 v[209:210], v[219:220], v[215:216]
	v_fma_f64 v[215:216], v[219:220], v[213:214], v[203:204]
	v_fma_f64 v[209:210], v[217:218], v[213:214], -v[209:210]
	ds_read2_b64 v[211:214], v253 offset0:4 offset1:5
	s_waitcnt lgkmcnt(0)
	v_mul_f64 v[201:202], v[213:214], v[215:216]
	v_fma_f64 v[201:202], v[211:212], v[209:210], -v[201:202]
	v_mul_f64 v[211:212], v[211:212], v[215:216]
	v_add_f64 v[197:198], v[197:198], -v[201:202]
	v_fma_f64 v[211:212], v[213:214], v[209:210], v[211:212]
	v_add_f64 v[199:200], v[199:200], -v[211:212]
	ds_read2_b64 v[211:214], v253 offset0:6 offset1:7
	s_waitcnt lgkmcnt(0)
	v_mul_f64 v[201:202], v[213:214], v[215:216]
	v_fma_f64 v[201:202], v[211:212], v[209:210], -v[201:202]
	v_mul_f64 v[211:212], v[211:212], v[215:216]
	v_add_f64 v[193:194], v[193:194], -v[201:202]
	v_fma_f64 v[211:212], v[213:214], v[209:210], v[211:212]
	v_add_f64 v[195:196], v[195:196], -v[211:212]
	;; [unrolled: 8-line block ×49, first 2 shown]
	ds_read2_b64 v[211:214], v253 offset0:102 offset1:103
	s_waitcnt lgkmcnt(0)
	v_mul_f64 v[201:202], v[213:214], v[215:216]
	v_fma_f64 v[201:202], v[211:212], v[209:210], -v[201:202]
	v_mul_f64 v[211:212], v[211:212], v[215:216]
	v_add_f64 v[1:2], v[1:2], -v[201:202]
	v_fma_f64 v[211:212], v[213:214], v[209:210], v[211:212]
	v_mov_b32_e32 v214, v210
	v_mov_b32_e32 v213, v209
	buffer_store_dword v213, off, s[16:19], 0 ; 4-byte Folded Spill
	buffer_store_dword v214, off, s[16:19], 0 offset:4 ; 4-byte Folded Spill
	buffer_store_dword v215, off, s[16:19], 0 offset:8 ; 4-byte Folded Spill
	;; [unrolled: 1-line block ×3, first 2 shown]
	v_add_f64 v[3:4], v[3:4], -v[211:212]
.LBB103_19:
	s_or_b32 exec_lo, exec_lo, s1
	s_mov_b32 s2, exec_lo
	s_waitcnt_vscnt null, 0x0
	s_barrier
	buffer_gl0_inv
	v_cmpx_eq_u32_e32 2, v0
	s_cbranch_execz .LBB103_26
; %bb.20:
	ds_write2_b64 v255, v[197:198], v[199:200] offset1:1
	ds_write2_b64 v253, v[193:194], v[195:196] offset0:6 offset1:7
	ds_write2_b64 v253, v[189:190], v[191:192] offset0:8 offset1:9
	;; [unrolled: 1-line block ×49, first 2 shown]
	ds_read2_b64 v[209:212], v255 offset1:1
	s_waitcnt lgkmcnt(0)
	v_cmp_neq_f64_e32 vcc_lo, 0, v[209:210]
	v_cmp_neq_f64_e64 s1, 0, v[211:212]
	s_or_b32 s1, vcc_lo, s1
	s_and_b32 exec_lo, exec_lo, s1
	s_cbranch_execz .LBB103_26
; %bb.21:
	v_cmp_ngt_f64_e64 s1, |v[209:210]|, |v[211:212]|
                                        ; implicit-def: $vgpr213_vgpr214
	s_and_saveexec_b32 s3, s1
	s_xor_b32 s1, exec_lo, s3
                                        ; implicit-def: $vgpr215_vgpr216
	s_cbranch_execz .LBB103_23
; %bb.22:
	v_div_scale_f64 v[213:214], null, v[211:212], v[211:212], v[209:210]
	v_div_scale_f64 v[219:220], vcc_lo, v[209:210], v[211:212], v[209:210]
	v_rcp_f64_e32 v[215:216], v[213:214]
	v_fma_f64 v[217:218], -v[213:214], v[215:216], 1.0
	v_fma_f64 v[215:216], v[215:216], v[217:218], v[215:216]
	v_fma_f64 v[217:218], -v[213:214], v[215:216], 1.0
	v_fma_f64 v[215:216], v[215:216], v[217:218], v[215:216]
	v_mul_f64 v[217:218], v[219:220], v[215:216]
	v_fma_f64 v[213:214], -v[213:214], v[217:218], v[219:220]
	v_div_fmas_f64 v[213:214], v[213:214], v[215:216], v[217:218]
	v_div_fixup_f64 v[213:214], v[213:214], v[211:212], v[209:210]
	v_fma_f64 v[209:210], v[209:210], v[213:214], v[211:212]
	v_div_scale_f64 v[211:212], null, v[209:210], v[209:210], 1.0
	v_rcp_f64_e32 v[215:216], v[211:212]
	v_fma_f64 v[217:218], -v[211:212], v[215:216], 1.0
	v_fma_f64 v[215:216], v[215:216], v[217:218], v[215:216]
	v_fma_f64 v[217:218], -v[211:212], v[215:216], 1.0
	v_fma_f64 v[215:216], v[215:216], v[217:218], v[215:216]
	v_div_scale_f64 v[217:218], vcc_lo, 1.0, v[209:210], 1.0
	v_mul_f64 v[219:220], v[217:218], v[215:216]
	v_fma_f64 v[211:212], -v[211:212], v[219:220], v[217:218]
	v_div_fmas_f64 v[211:212], v[211:212], v[215:216], v[219:220]
	v_div_fixup_f64 v[215:216], v[211:212], v[209:210], 1.0
                                        ; implicit-def: $vgpr209_vgpr210
	v_mul_f64 v[213:214], v[213:214], v[215:216]
	v_xor_b32_e32 v216, 0x80000000, v216
.LBB103_23:
	s_andn2_saveexec_b32 s1, s1
	s_cbranch_execz .LBB103_25
; %bb.24:
	v_div_scale_f64 v[213:214], null, v[209:210], v[209:210], v[211:212]
	v_div_scale_f64 v[219:220], vcc_lo, v[211:212], v[209:210], v[211:212]
	v_rcp_f64_e32 v[215:216], v[213:214]
	v_fma_f64 v[217:218], -v[213:214], v[215:216], 1.0
	v_fma_f64 v[215:216], v[215:216], v[217:218], v[215:216]
	v_fma_f64 v[217:218], -v[213:214], v[215:216], 1.0
	v_fma_f64 v[215:216], v[215:216], v[217:218], v[215:216]
	v_mul_f64 v[217:218], v[219:220], v[215:216]
	v_fma_f64 v[213:214], -v[213:214], v[217:218], v[219:220]
	v_div_fmas_f64 v[213:214], v[213:214], v[215:216], v[217:218]
	v_div_fixup_f64 v[215:216], v[213:214], v[209:210], v[211:212]
	v_fma_f64 v[209:210], v[211:212], v[215:216], v[209:210]
	v_div_scale_f64 v[211:212], null, v[209:210], v[209:210], 1.0
	v_rcp_f64_e32 v[213:214], v[211:212]
	v_fma_f64 v[217:218], -v[211:212], v[213:214], 1.0
	v_fma_f64 v[213:214], v[213:214], v[217:218], v[213:214]
	v_fma_f64 v[217:218], -v[211:212], v[213:214], 1.0
	v_fma_f64 v[213:214], v[213:214], v[217:218], v[213:214]
	v_div_scale_f64 v[217:218], vcc_lo, 1.0, v[209:210], 1.0
	v_mul_f64 v[219:220], v[217:218], v[213:214]
	v_fma_f64 v[211:212], -v[211:212], v[219:220], v[217:218]
	v_div_fmas_f64 v[211:212], v[211:212], v[213:214], v[219:220]
	v_div_fixup_f64 v[213:214], v[211:212], v[209:210], 1.0
	v_mul_f64 v[215:216], v[215:216], -v[213:214]
.LBB103_25:
	s_or_b32 exec_lo, exec_lo, s1
	ds_write2_b64 v255, v[213:214], v[215:216] offset1:1
.LBB103_26:
	s_or_b32 exec_lo, exec_lo, s2
	s_waitcnt lgkmcnt(0)
	s_barrier
	buffer_gl0_inv
	ds_read2_b64 v[203:206], v255 offset1:1
	s_mov_b32 s1, exec_lo
	s_waitcnt lgkmcnt(0)
	buffer_store_dword v203, off, s[16:19], 0 offset:456 ; 4-byte Folded Spill
	buffer_store_dword v204, off, s[16:19], 0 offset:460 ; 4-byte Folded Spill
	;; [unrolled: 1-line block ×4, first 2 shown]
	v_cmpx_lt_u32_e32 2, v0
	s_cbranch_execz .LBB103_28
; %bb.27:
	s_clause 0x3
	buffer_load_dword v203, off, s[16:19], 0 offset:456
	buffer_load_dword v204, off, s[16:19], 0 offset:460
	;; [unrolled: 1-line block ×4, first 2 shown]
	ds_read2_b64 v[211:214], v253 offset0:6 offset1:7
	s_waitcnt vmcnt(0)
	v_mul_f64 v[209:210], v[205:206], v[199:200]
	v_mul_f64 v[199:200], v[203:204], v[199:200]
	v_fma_f64 v[209:210], v[203:204], v[197:198], -v[209:210]
	v_fma_f64 v[199:200], v[205:206], v[197:198], v[199:200]
	s_waitcnt lgkmcnt(0)
	v_mul_f64 v[197:198], v[213:214], v[199:200]
	v_fma_f64 v[197:198], v[211:212], v[209:210], -v[197:198]
	v_mul_f64 v[211:212], v[211:212], v[199:200]
	v_add_f64 v[193:194], v[193:194], -v[197:198]
	v_fma_f64 v[211:212], v[213:214], v[209:210], v[211:212]
	v_add_f64 v[195:196], v[195:196], -v[211:212]
	ds_read2_b64 v[211:214], v253 offset0:8 offset1:9
	s_waitcnt lgkmcnt(0)
	v_mul_f64 v[197:198], v[213:214], v[199:200]
	v_fma_f64 v[197:198], v[211:212], v[209:210], -v[197:198]
	v_mul_f64 v[211:212], v[211:212], v[199:200]
	v_add_f64 v[189:190], v[189:190], -v[197:198]
	v_fma_f64 v[211:212], v[213:214], v[209:210], v[211:212]
	v_add_f64 v[191:192], v[191:192], -v[211:212]
	ds_read2_b64 v[211:214], v253 offset0:10 offset1:11
	;; [unrolled: 8-line block ×48, first 2 shown]
	s_waitcnt lgkmcnt(0)
	v_mul_f64 v[197:198], v[213:214], v[199:200]
	v_fma_f64 v[197:198], v[211:212], v[209:210], -v[197:198]
	v_mul_f64 v[211:212], v[211:212], v[199:200]
	v_add_f64 v[1:2], v[1:2], -v[197:198]
	v_fma_f64 v[211:212], v[213:214], v[209:210], v[211:212]
	v_mov_b32_e32 v197, v209
	v_mov_b32_e32 v198, v210
	v_add_f64 v[3:4], v[3:4], -v[211:212]
.LBB103_28:
	s_or_b32 exec_lo, exec_lo, s1
	s_mov_b32 s2, exec_lo
	s_waitcnt_vscnt null, 0x0
	s_barrier
	buffer_gl0_inv
	v_cmpx_eq_u32_e32 3, v0
	s_cbranch_execz .LBB103_35
; %bb.29:
	ds_write2_b64 v255, v[193:194], v[195:196] offset1:1
	ds_write2_b64 v253, v[189:190], v[191:192] offset0:8 offset1:9
	ds_write2_b64 v253, v[185:186], v[187:188] offset0:10 offset1:11
	;; [unrolled: 1-line block ×48, first 2 shown]
	ds_read2_b64 v[209:212], v255 offset1:1
	s_waitcnt lgkmcnt(0)
	v_cmp_neq_f64_e32 vcc_lo, 0, v[209:210]
	v_cmp_neq_f64_e64 s1, 0, v[211:212]
	s_or_b32 s1, vcc_lo, s1
	s_and_b32 exec_lo, exec_lo, s1
	s_cbranch_execz .LBB103_35
; %bb.30:
	v_cmp_ngt_f64_e64 s1, |v[209:210]|, |v[211:212]|
                                        ; implicit-def: $vgpr213_vgpr214
	s_and_saveexec_b32 s3, s1
	s_xor_b32 s1, exec_lo, s3
                                        ; implicit-def: $vgpr215_vgpr216
	s_cbranch_execz .LBB103_32
; %bb.31:
	v_div_scale_f64 v[213:214], null, v[211:212], v[211:212], v[209:210]
	v_div_scale_f64 v[219:220], vcc_lo, v[209:210], v[211:212], v[209:210]
	v_rcp_f64_e32 v[215:216], v[213:214]
	v_fma_f64 v[217:218], -v[213:214], v[215:216], 1.0
	v_fma_f64 v[215:216], v[215:216], v[217:218], v[215:216]
	v_fma_f64 v[217:218], -v[213:214], v[215:216], 1.0
	v_fma_f64 v[215:216], v[215:216], v[217:218], v[215:216]
	v_mul_f64 v[217:218], v[219:220], v[215:216]
	v_fma_f64 v[213:214], -v[213:214], v[217:218], v[219:220]
	v_div_fmas_f64 v[213:214], v[213:214], v[215:216], v[217:218]
	v_div_fixup_f64 v[213:214], v[213:214], v[211:212], v[209:210]
	v_fma_f64 v[209:210], v[209:210], v[213:214], v[211:212]
	v_div_scale_f64 v[211:212], null, v[209:210], v[209:210], 1.0
	v_rcp_f64_e32 v[215:216], v[211:212]
	v_fma_f64 v[217:218], -v[211:212], v[215:216], 1.0
	v_fma_f64 v[215:216], v[215:216], v[217:218], v[215:216]
	v_fma_f64 v[217:218], -v[211:212], v[215:216], 1.0
	v_fma_f64 v[215:216], v[215:216], v[217:218], v[215:216]
	v_div_scale_f64 v[217:218], vcc_lo, 1.0, v[209:210], 1.0
	v_mul_f64 v[219:220], v[217:218], v[215:216]
	v_fma_f64 v[211:212], -v[211:212], v[219:220], v[217:218]
	v_div_fmas_f64 v[211:212], v[211:212], v[215:216], v[219:220]
	v_div_fixup_f64 v[215:216], v[211:212], v[209:210], 1.0
                                        ; implicit-def: $vgpr209_vgpr210
	v_mul_f64 v[213:214], v[213:214], v[215:216]
	v_xor_b32_e32 v216, 0x80000000, v216
.LBB103_32:
	s_andn2_saveexec_b32 s1, s1
	s_cbranch_execz .LBB103_34
; %bb.33:
	v_div_scale_f64 v[213:214], null, v[209:210], v[209:210], v[211:212]
	v_div_scale_f64 v[219:220], vcc_lo, v[211:212], v[209:210], v[211:212]
	v_rcp_f64_e32 v[215:216], v[213:214]
	v_fma_f64 v[217:218], -v[213:214], v[215:216], 1.0
	v_fma_f64 v[215:216], v[215:216], v[217:218], v[215:216]
	v_fma_f64 v[217:218], -v[213:214], v[215:216], 1.0
	v_fma_f64 v[215:216], v[215:216], v[217:218], v[215:216]
	v_mul_f64 v[217:218], v[219:220], v[215:216]
	v_fma_f64 v[213:214], -v[213:214], v[217:218], v[219:220]
	v_div_fmas_f64 v[213:214], v[213:214], v[215:216], v[217:218]
	v_div_fixup_f64 v[215:216], v[213:214], v[209:210], v[211:212]
	v_fma_f64 v[209:210], v[211:212], v[215:216], v[209:210]
	v_div_scale_f64 v[211:212], null, v[209:210], v[209:210], 1.0
	v_rcp_f64_e32 v[213:214], v[211:212]
	v_fma_f64 v[217:218], -v[211:212], v[213:214], 1.0
	v_fma_f64 v[213:214], v[213:214], v[217:218], v[213:214]
	v_fma_f64 v[217:218], -v[211:212], v[213:214], 1.0
	v_fma_f64 v[213:214], v[213:214], v[217:218], v[213:214]
	v_div_scale_f64 v[217:218], vcc_lo, 1.0, v[209:210], 1.0
	v_mul_f64 v[219:220], v[217:218], v[213:214]
	v_fma_f64 v[211:212], -v[211:212], v[219:220], v[217:218]
	v_div_fmas_f64 v[211:212], v[211:212], v[213:214], v[219:220]
	v_div_fixup_f64 v[213:214], v[211:212], v[209:210], 1.0
	v_mul_f64 v[215:216], v[215:216], -v[213:214]
.LBB103_34:
	s_or_b32 exec_lo, exec_lo, s1
	ds_write2_b64 v255, v[213:214], v[215:216] offset1:1
.LBB103_35:
	s_or_b32 exec_lo, exec_lo, s2
	s_waitcnt lgkmcnt(0)
	s_barrier
	buffer_gl0_inv
	ds_read2_b64 v[203:206], v255 offset1:1
	s_mov_b32 s1, exec_lo
	s_waitcnt lgkmcnt(0)
	buffer_store_dword v203, off, s[16:19], 0 offset:472 ; 4-byte Folded Spill
	buffer_store_dword v204, off, s[16:19], 0 offset:476 ; 4-byte Folded Spill
	;; [unrolled: 1-line block ×4, first 2 shown]
	v_cmpx_lt_u32_e32 3, v0
	s_cbranch_execz .LBB103_37
; %bb.36:
	s_clause 0x3
	buffer_load_dword v203, off, s[16:19], 0 offset:472
	buffer_load_dword v204, off, s[16:19], 0 offset:476
	;; [unrolled: 1-line block ×4, first 2 shown]
	ds_read2_b64 v[211:214], v253 offset0:8 offset1:9
	s_waitcnt vmcnt(0)
	v_mul_f64 v[209:210], v[205:206], v[195:196]
	v_mul_f64 v[195:196], v[203:204], v[195:196]
	v_fma_f64 v[209:210], v[203:204], v[193:194], -v[209:210]
	v_fma_f64 v[195:196], v[205:206], v[193:194], v[195:196]
	s_waitcnt lgkmcnt(0)
	v_mul_f64 v[193:194], v[213:214], v[195:196]
	v_fma_f64 v[193:194], v[211:212], v[209:210], -v[193:194]
	v_mul_f64 v[211:212], v[211:212], v[195:196]
	v_add_f64 v[189:190], v[189:190], -v[193:194]
	v_fma_f64 v[211:212], v[213:214], v[209:210], v[211:212]
	v_add_f64 v[191:192], v[191:192], -v[211:212]
	ds_read2_b64 v[211:214], v253 offset0:10 offset1:11
	s_waitcnt lgkmcnt(0)
	v_mul_f64 v[193:194], v[213:214], v[195:196]
	v_fma_f64 v[193:194], v[211:212], v[209:210], -v[193:194]
	v_mul_f64 v[211:212], v[211:212], v[195:196]
	v_add_f64 v[185:186], v[185:186], -v[193:194]
	v_fma_f64 v[211:212], v[213:214], v[209:210], v[211:212]
	v_add_f64 v[187:188], v[187:188], -v[211:212]
	ds_read2_b64 v[211:214], v253 offset0:12 offset1:13
	s_waitcnt lgkmcnt(0)
	v_mul_f64 v[193:194], v[213:214], v[195:196]
	v_fma_f64 v[193:194], v[211:212], v[209:210], -v[193:194]
	v_mul_f64 v[211:212], v[211:212], v[195:196]
	v_add_f64 v[181:182], v[181:182], -v[193:194]
	v_fma_f64 v[211:212], v[213:214], v[209:210], v[211:212]
	v_add_f64 v[183:184], v[183:184], -v[211:212]
	ds_read2_b64 v[211:214], v253 offset0:14 offset1:15
	s_waitcnt lgkmcnt(0)
	v_mul_f64 v[193:194], v[213:214], v[195:196]
	v_fma_f64 v[193:194], v[211:212], v[209:210], -v[193:194]
	v_mul_f64 v[211:212], v[211:212], v[195:196]
	v_add_f64 v[177:178], v[177:178], -v[193:194]
	v_fma_f64 v[211:212], v[213:214], v[209:210], v[211:212]
	v_add_f64 v[179:180], v[179:180], -v[211:212]
	ds_read2_b64 v[211:214], v253 offset0:16 offset1:17
	s_waitcnt lgkmcnt(0)
	v_mul_f64 v[193:194], v[213:214], v[195:196]
	v_fma_f64 v[193:194], v[211:212], v[209:210], -v[193:194]
	v_mul_f64 v[211:212], v[211:212], v[195:196]
	v_add_f64 v[173:174], v[173:174], -v[193:194]
	v_fma_f64 v[211:212], v[213:214], v[209:210], v[211:212]
	v_add_f64 v[175:176], v[175:176], -v[211:212]
	ds_read2_b64 v[211:214], v253 offset0:18 offset1:19
	s_waitcnt lgkmcnt(0)
	v_mul_f64 v[193:194], v[213:214], v[195:196]
	v_fma_f64 v[193:194], v[211:212], v[209:210], -v[193:194]
	v_mul_f64 v[211:212], v[211:212], v[195:196]
	v_add_f64 v[169:170], v[169:170], -v[193:194]
	v_fma_f64 v[211:212], v[213:214], v[209:210], v[211:212]
	v_add_f64 v[171:172], v[171:172], -v[211:212]
	ds_read2_b64 v[211:214], v253 offset0:20 offset1:21
	s_waitcnt lgkmcnt(0)
	v_mul_f64 v[193:194], v[213:214], v[195:196]
	v_fma_f64 v[193:194], v[211:212], v[209:210], -v[193:194]
	v_mul_f64 v[211:212], v[211:212], v[195:196]
	v_add_f64 v[165:166], v[165:166], -v[193:194]
	v_fma_f64 v[211:212], v[213:214], v[209:210], v[211:212]
	v_add_f64 v[167:168], v[167:168], -v[211:212]
	ds_read2_b64 v[211:214], v253 offset0:22 offset1:23
	s_waitcnt lgkmcnt(0)
	v_mul_f64 v[193:194], v[213:214], v[195:196]
	v_fma_f64 v[193:194], v[211:212], v[209:210], -v[193:194]
	v_mul_f64 v[211:212], v[211:212], v[195:196]
	v_add_f64 v[161:162], v[161:162], -v[193:194]
	v_fma_f64 v[211:212], v[213:214], v[209:210], v[211:212]
	v_add_f64 v[163:164], v[163:164], -v[211:212]
	ds_read2_b64 v[211:214], v253 offset0:24 offset1:25
	s_waitcnt lgkmcnt(0)
	v_mul_f64 v[193:194], v[213:214], v[195:196]
	v_fma_f64 v[193:194], v[211:212], v[209:210], -v[193:194]
	v_mul_f64 v[211:212], v[211:212], v[195:196]
	v_add_f64 v[157:158], v[157:158], -v[193:194]
	v_fma_f64 v[211:212], v[213:214], v[209:210], v[211:212]
	v_add_f64 v[159:160], v[159:160], -v[211:212]
	ds_read2_b64 v[211:214], v253 offset0:26 offset1:27
	s_waitcnt lgkmcnt(0)
	v_mul_f64 v[193:194], v[213:214], v[195:196]
	v_fma_f64 v[193:194], v[211:212], v[209:210], -v[193:194]
	v_mul_f64 v[211:212], v[211:212], v[195:196]
	v_add_f64 v[153:154], v[153:154], -v[193:194]
	v_fma_f64 v[211:212], v[213:214], v[209:210], v[211:212]
	v_add_f64 v[155:156], v[155:156], -v[211:212]
	ds_read2_b64 v[211:214], v253 offset0:28 offset1:29
	s_waitcnt lgkmcnt(0)
	v_mul_f64 v[193:194], v[213:214], v[195:196]
	v_fma_f64 v[193:194], v[211:212], v[209:210], -v[193:194]
	v_mul_f64 v[211:212], v[211:212], v[195:196]
	v_add_f64 v[149:150], v[149:150], -v[193:194]
	v_fma_f64 v[211:212], v[213:214], v[209:210], v[211:212]
	v_add_f64 v[151:152], v[151:152], -v[211:212]
	ds_read2_b64 v[211:214], v253 offset0:30 offset1:31
	s_waitcnt lgkmcnt(0)
	v_mul_f64 v[193:194], v[213:214], v[195:196]
	v_fma_f64 v[193:194], v[211:212], v[209:210], -v[193:194]
	v_mul_f64 v[211:212], v[211:212], v[195:196]
	v_add_f64 v[145:146], v[145:146], -v[193:194]
	v_fma_f64 v[211:212], v[213:214], v[209:210], v[211:212]
	v_add_f64 v[147:148], v[147:148], -v[211:212]
	ds_read2_b64 v[211:214], v253 offset0:32 offset1:33
	s_waitcnt lgkmcnt(0)
	v_mul_f64 v[193:194], v[213:214], v[195:196]
	v_fma_f64 v[193:194], v[211:212], v[209:210], -v[193:194]
	v_mul_f64 v[211:212], v[211:212], v[195:196]
	v_add_f64 v[141:142], v[141:142], -v[193:194]
	v_fma_f64 v[211:212], v[213:214], v[209:210], v[211:212]
	v_add_f64 v[143:144], v[143:144], -v[211:212]
	ds_read2_b64 v[211:214], v253 offset0:34 offset1:35
	s_waitcnt lgkmcnt(0)
	v_mul_f64 v[193:194], v[213:214], v[195:196]
	v_fma_f64 v[193:194], v[211:212], v[209:210], -v[193:194]
	v_mul_f64 v[211:212], v[211:212], v[195:196]
	v_add_f64 v[137:138], v[137:138], -v[193:194]
	v_fma_f64 v[211:212], v[213:214], v[209:210], v[211:212]
	v_add_f64 v[139:140], v[139:140], -v[211:212]
	ds_read2_b64 v[211:214], v253 offset0:36 offset1:37
	s_waitcnt lgkmcnt(0)
	v_mul_f64 v[193:194], v[213:214], v[195:196]
	v_fma_f64 v[193:194], v[211:212], v[209:210], -v[193:194]
	v_mul_f64 v[211:212], v[211:212], v[195:196]
	v_add_f64 v[133:134], v[133:134], -v[193:194]
	v_fma_f64 v[211:212], v[213:214], v[209:210], v[211:212]
	v_add_f64 v[135:136], v[135:136], -v[211:212]
	ds_read2_b64 v[211:214], v253 offset0:38 offset1:39
	s_waitcnt lgkmcnt(0)
	v_mul_f64 v[193:194], v[213:214], v[195:196]
	v_fma_f64 v[193:194], v[211:212], v[209:210], -v[193:194]
	v_mul_f64 v[211:212], v[211:212], v[195:196]
	v_add_f64 v[129:130], v[129:130], -v[193:194]
	v_fma_f64 v[211:212], v[213:214], v[209:210], v[211:212]
	v_add_f64 v[131:132], v[131:132], -v[211:212]
	ds_read2_b64 v[211:214], v253 offset0:40 offset1:41
	s_waitcnt lgkmcnt(0)
	v_mul_f64 v[193:194], v[213:214], v[195:196]
	v_fma_f64 v[193:194], v[211:212], v[209:210], -v[193:194]
	v_mul_f64 v[211:212], v[211:212], v[195:196]
	v_add_f64 v[125:126], v[125:126], -v[193:194]
	v_fma_f64 v[211:212], v[213:214], v[209:210], v[211:212]
	v_add_f64 v[127:128], v[127:128], -v[211:212]
	ds_read2_b64 v[211:214], v253 offset0:42 offset1:43
	s_waitcnt lgkmcnt(0)
	v_mul_f64 v[193:194], v[213:214], v[195:196]
	v_fma_f64 v[193:194], v[211:212], v[209:210], -v[193:194]
	v_mul_f64 v[211:212], v[211:212], v[195:196]
	v_add_f64 v[121:122], v[121:122], -v[193:194]
	v_fma_f64 v[211:212], v[213:214], v[209:210], v[211:212]
	v_add_f64 v[123:124], v[123:124], -v[211:212]
	ds_read2_b64 v[211:214], v253 offset0:44 offset1:45
	s_waitcnt lgkmcnt(0)
	v_mul_f64 v[193:194], v[213:214], v[195:196]
	v_fma_f64 v[193:194], v[211:212], v[209:210], -v[193:194]
	v_mul_f64 v[211:212], v[211:212], v[195:196]
	v_add_f64 v[117:118], v[117:118], -v[193:194]
	v_fma_f64 v[211:212], v[213:214], v[209:210], v[211:212]
	v_add_f64 v[119:120], v[119:120], -v[211:212]
	ds_read2_b64 v[211:214], v253 offset0:46 offset1:47
	s_waitcnt lgkmcnt(0)
	v_mul_f64 v[193:194], v[213:214], v[195:196]
	v_fma_f64 v[193:194], v[211:212], v[209:210], -v[193:194]
	v_mul_f64 v[211:212], v[211:212], v[195:196]
	v_add_f64 v[113:114], v[113:114], -v[193:194]
	v_fma_f64 v[211:212], v[213:214], v[209:210], v[211:212]
	v_add_f64 v[115:116], v[115:116], -v[211:212]
	ds_read2_b64 v[211:214], v253 offset0:48 offset1:49
	s_waitcnt lgkmcnt(0)
	v_mul_f64 v[193:194], v[213:214], v[195:196]
	v_fma_f64 v[193:194], v[211:212], v[209:210], -v[193:194]
	v_mul_f64 v[211:212], v[211:212], v[195:196]
	v_add_f64 v[109:110], v[109:110], -v[193:194]
	v_fma_f64 v[211:212], v[213:214], v[209:210], v[211:212]
	v_add_f64 v[111:112], v[111:112], -v[211:212]
	ds_read2_b64 v[211:214], v253 offset0:50 offset1:51
	s_waitcnt lgkmcnt(0)
	v_mul_f64 v[193:194], v[213:214], v[195:196]
	v_fma_f64 v[193:194], v[211:212], v[209:210], -v[193:194]
	v_mul_f64 v[211:212], v[211:212], v[195:196]
	v_add_f64 v[105:106], v[105:106], -v[193:194]
	v_fma_f64 v[211:212], v[213:214], v[209:210], v[211:212]
	v_add_f64 v[107:108], v[107:108], -v[211:212]
	ds_read2_b64 v[211:214], v253 offset0:52 offset1:53
	s_waitcnt lgkmcnt(0)
	v_mul_f64 v[193:194], v[213:214], v[195:196]
	v_fma_f64 v[193:194], v[211:212], v[209:210], -v[193:194]
	v_mul_f64 v[211:212], v[211:212], v[195:196]
	v_add_f64 v[101:102], v[101:102], -v[193:194]
	v_fma_f64 v[211:212], v[213:214], v[209:210], v[211:212]
	v_add_f64 v[103:104], v[103:104], -v[211:212]
	ds_read2_b64 v[211:214], v253 offset0:54 offset1:55
	s_waitcnt lgkmcnt(0)
	v_mul_f64 v[193:194], v[213:214], v[195:196]
	v_fma_f64 v[193:194], v[211:212], v[209:210], -v[193:194]
	v_mul_f64 v[211:212], v[211:212], v[195:196]
	v_add_f64 v[97:98], v[97:98], -v[193:194]
	v_fma_f64 v[211:212], v[213:214], v[209:210], v[211:212]
	v_add_f64 v[99:100], v[99:100], -v[211:212]
	ds_read2_b64 v[211:214], v253 offset0:56 offset1:57
	s_waitcnt lgkmcnt(0)
	v_mul_f64 v[193:194], v[213:214], v[195:196]
	v_fma_f64 v[193:194], v[211:212], v[209:210], -v[193:194]
	v_mul_f64 v[211:212], v[211:212], v[195:196]
	v_add_f64 v[93:94], v[93:94], -v[193:194]
	v_fma_f64 v[211:212], v[213:214], v[209:210], v[211:212]
	v_add_f64 v[95:96], v[95:96], -v[211:212]
	ds_read2_b64 v[211:214], v253 offset0:58 offset1:59
	s_waitcnt lgkmcnt(0)
	v_mul_f64 v[193:194], v[213:214], v[195:196]
	v_fma_f64 v[193:194], v[211:212], v[209:210], -v[193:194]
	v_mul_f64 v[211:212], v[211:212], v[195:196]
	v_add_f64 v[89:90], v[89:90], -v[193:194]
	v_fma_f64 v[211:212], v[213:214], v[209:210], v[211:212]
	v_add_f64 v[91:92], v[91:92], -v[211:212]
	ds_read2_b64 v[211:214], v253 offset0:60 offset1:61
	s_waitcnt lgkmcnt(0)
	v_mul_f64 v[193:194], v[213:214], v[195:196]
	v_fma_f64 v[193:194], v[211:212], v[209:210], -v[193:194]
	v_mul_f64 v[211:212], v[211:212], v[195:196]
	v_add_f64 v[85:86], v[85:86], -v[193:194]
	v_fma_f64 v[211:212], v[213:214], v[209:210], v[211:212]
	v_add_f64 v[87:88], v[87:88], -v[211:212]
	ds_read2_b64 v[211:214], v253 offset0:62 offset1:63
	s_waitcnt lgkmcnt(0)
	v_mul_f64 v[193:194], v[213:214], v[195:196]
	v_fma_f64 v[193:194], v[211:212], v[209:210], -v[193:194]
	v_mul_f64 v[211:212], v[211:212], v[195:196]
	v_add_f64 v[81:82], v[81:82], -v[193:194]
	v_fma_f64 v[211:212], v[213:214], v[209:210], v[211:212]
	v_add_f64 v[83:84], v[83:84], -v[211:212]
	ds_read2_b64 v[211:214], v253 offset0:64 offset1:65
	s_waitcnt lgkmcnt(0)
	v_mul_f64 v[193:194], v[213:214], v[195:196]
	v_fma_f64 v[193:194], v[211:212], v[209:210], -v[193:194]
	v_mul_f64 v[211:212], v[211:212], v[195:196]
	v_add_f64 v[77:78], v[77:78], -v[193:194]
	v_fma_f64 v[211:212], v[213:214], v[209:210], v[211:212]
	v_add_f64 v[79:80], v[79:80], -v[211:212]
	ds_read2_b64 v[211:214], v253 offset0:66 offset1:67
	s_waitcnt lgkmcnt(0)
	v_mul_f64 v[193:194], v[213:214], v[195:196]
	v_fma_f64 v[193:194], v[211:212], v[209:210], -v[193:194]
	v_mul_f64 v[211:212], v[211:212], v[195:196]
	v_add_f64 v[73:74], v[73:74], -v[193:194]
	v_fma_f64 v[211:212], v[213:214], v[209:210], v[211:212]
	v_add_f64 v[75:76], v[75:76], -v[211:212]
	ds_read2_b64 v[211:214], v253 offset0:68 offset1:69
	s_waitcnt lgkmcnt(0)
	v_mul_f64 v[193:194], v[213:214], v[195:196]
	v_fma_f64 v[193:194], v[211:212], v[209:210], -v[193:194]
	v_mul_f64 v[211:212], v[211:212], v[195:196]
	v_add_f64 v[69:70], v[69:70], -v[193:194]
	v_fma_f64 v[211:212], v[213:214], v[209:210], v[211:212]
	v_add_f64 v[71:72], v[71:72], -v[211:212]
	ds_read2_b64 v[211:214], v253 offset0:70 offset1:71
	s_waitcnt lgkmcnt(0)
	v_mul_f64 v[193:194], v[213:214], v[195:196]
	v_fma_f64 v[193:194], v[211:212], v[209:210], -v[193:194]
	v_mul_f64 v[211:212], v[211:212], v[195:196]
	v_add_f64 v[65:66], v[65:66], -v[193:194]
	v_fma_f64 v[211:212], v[213:214], v[209:210], v[211:212]
	v_add_f64 v[67:68], v[67:68], -v[211:212]
	ds_read2_b64 v[211:214], v253 offset0:72 offset1:73
	s_waitcnt lgkmcnt(0)
	v_mul_f64 v[193:194], v[213:214], v[195:196]
	v_fma_f64 v[193:194], v[211:212], v[209:210], -v[193:194]
	v_mul_f64 v[211:212], v[211:212], v[195:196]
	v_add_f64 v[61:62], v[61:62], -v[193:194]
	v_fma_f64 v[211:212], v[213:214], v[209:210], v[211:212]
	v_add_f64 v[63:64], v[63:64], -v[211:212]
	ds_read2_b64 v[211:214], v253 offset0:74 offset1:75
	s_waitcnt lgkmcnt(0)
	v_mul_f64 v[193:194], v[213:214], v[195:196]
	v_fma_f64 v[193:194], v[211:212], v[209:210], -v[193:194]
	v_mul_f64 v[211:212], v[211:212], v[195:196]
	v_add_f64 v[57:58], v[57:58], -v[193:194]
	v_fma_f64 v[211:212], v[213:214], v[209:210], v[211:212]
	v_add_f64 v[59:60], v[59:60], -v[211:212]
	ds_read2_b64 v[211:214], v253 offset0:76 offset1:77
	s_waitcnt lgkmcnt(0)
	v_mul_f64 v[193:194], v[213:214], v[195:196]
	v_fma_f64 v[193:194], v[211:212], v[209:210], -v[193:194]
	v_mul_f64 v[211:212], v[211:212], v[195:196]
	v_add_f64 v[53:54], v[53:54], -v[193:194]
	v_fma_f64 v[211:212], v[213:214], v[209:210], v[211:212]
	v_add_f64 v[55:56], v[55:56], -v[211:212]
	ds_read2_b64 v[211:214], v253 offset0:78 offset1:79
	s_waitcnt lgkmcnt(0)
	v_mul_f64 v[193:194], v[213:214], v[195:196]
	v_fma_f64 v[193:194], v[211:212], v[209:210], -v[193:194]
	v_mul_f64 v[211:212], v[211:212], v[195:196]
	v_add_f64 v[49:50], v[49:50], -v[193:194]
	v_fma_f64 v[211:212], v[213:214], v[209:210], v[211:212]
	v_add_f64 v[51:52], v[51:52], -v[211:212]
	ds_read2_b64 v[211:214], v253 offset0:80 offset1:81
	s_waitcnt lgkmcnt(0)
	v_mul_f64 v[193:194], v[213:214], v[195:196]
	v_fma_f64 v[193:194], v[211:212], v[209:210], -v[193:194]
	v_mul_f64 v[211:212], v[211:212], v[195:196]
	v_add_f64 v[45:46], v[45:46], -v[193:194]
	v_fma_f64 v[211:212], v[213:214], v[209:210], v[211:212]
	v_add_f64 v[47:48], v[47:48], -v[211:212]
	ds_read2_b64 v[211:214], v253 offset0:82 offset1:83
	s_waitcnt lgkmcnt(0)
	v_mul_f64 v[193:194], v[213:214], v[195:196]
	v_fma_f64 v[193:194], v[211:212], v[209:210], -v[193:194]
	v_mul_f64 v[211:212], v[211:212], v[195:196]
	v_add_f64 v[41:42], v[41:42], -v[193:194]
	v_fma_f64 v[211:212], v[213:214], v[209:210], v[211:212]
	v_add_f64 v[43:44], v[43:44], -v[211:212]
	ds_read2_b64 v[211:214], v253 offset0:84 offset1:85
	s_waitcnt lgkmcnt(0)
	v_mul_f64 v[193:194], v[213:214], v[195:196]
	v_fma_f64 v[193:194], v[211:212], v[209:210], -v[193:194]
	v_mul_f64 v[211:212], v[211:212], v[195:196]
	v_add_f64 v[37:38], v[37:38], -v[193:194]
	v_fma_f64 v[211:212], v[213:214], v[209:210], v[211:212]
	v_add_f64 v[39:40], v[39:40], -v[211:212]
	ds_read2_b64 v[211:214], v253 offset0:86 offset1:87
	s_waitcnt lgkmcnt(0)
	v_mul_f64 v[193:194], v[213:214], v[195:196]
	v_fma_f64 v[193:194], v[211:212], v[209:210], -v[193:194]
	v_mul_f64 v[211:212], v[211:212], v[195:196]
	v_add_f64 v[33:34], v[33:34], -v[193:194]
	v_fma_f64 v[211:212], v[213:214], v[209:210], v[211:212]
	v_add_f64 v[35:36], v[35:36], -v[211:212]
	ds_read2_b64 v[211:214], v253 offset0:88 offset1:89
	s_waitcnt lgkmcnt(0)
	v_mul_f64 v[193:194], v[213:214], v[195:196]
	v_fma_f64 v[193:194], v[211:212], v[209:210], -v[193:194]
	v_mul_f64 v[211:212], v[211:212], v[195:196]
	v_add_f64 v[29:30], v[29:30], -v[193:194]
	v_fma_f64 v[211:212], v[213:214], v[209:210], v[211:212]
	v_add_f64 v[31:32], v[31:32], -v[211:212]
	ds_read2_b64 v[211:214], v253 offset0:90 offset1:91
	s_waitcnt lgkmcnt(0)
	v_mul_f64 v[193:194], v[213:214], v[195:196]
	v_fma_f64 v[193:194], v[211:212], v[209:210], -v[193:194]
	v_mul_f64 v[211:212], v[211:212], v[195:196]
	v_add_f64 v[25:26], v[25:26], -v[193:194]
	v_fma_f64 v[211:212], v[213:214], v[209:210], v[211:212]
	v_add_f64 v[27:28], v[27:28], -v[211:212]
	ds_read2_b64 v[211:214], v253 offset0:92 offset1:93
	s_waitcnt lgkmcnt(0)
	v_mul_f64 v[193:194], v[213:214], v[195:196]
	v_fma_f64 v[193:194], v[211:212], v[209:210], -v[193:194]
	v_mul_f64 v[211:212], v[211:212], v[195:196]
	v_add_f64 v[21:22], v[21:22], -v[193:194]
	v_fma_f64 v[211:212], v[213:214], v[209:210], v[211:212]
	v_add_f64 v[23:24], v[23:24], -v[211:212]
	ds_read2_b64 v[211:214], v253 offset0:94 offset1:95
	s_waitcnt lgkmcnt(0)
	v_mul_f64 v[193:194], v[213:214], v[195:196]
	v_fma_f64 v[193:194], v[211:212], v[209:210], -v[193:194]
	v_mul_f64 v[211:212], v[211:212], v[195:196]
	v_add_f64 v[17:18], v[17:18], -v[193:194]
	v_fma_f64 v[211:212], v[213:214], v[209:210], v[211:212]
	v_add_f64 v[19:20], v[19:20], -v[211:212]
	ds_read2_b64 v[211:214], v253 offset0:96 offset1:97
	s_waitcnt lgkmcnt(0)
	v_mul_f64 v[193:194], v[213:214], v[195:196]
	v_fma_f64 v[193:194], v[211:212], v[209:210], -v[193:194]
	v_mul_f64 v[211:212], v[211:212], v[195:196]
	v_add_f64 v[13:14], v[13:14], -v[193:194]
	v_fma_f64 v[211:212], v[213:214], v[209:210], v[211:212]
	v_add_f64 v[15:16], v[15:16], -v[211:212]
	ds_read2_b64 v[211:214], v253 offset0:98 offset1:99
	s_waitcnt lgkmcnt(0)
	v_mul_f64 v[193:194], v[213:214], v[195:196]
	v_fma_f64 v[193:194], v[211:212], v[209:210], -v[193:194]
	v_mul_f64 v[211:212], v[211:212], v[195:196]
	v_add_f64 v[9:10], v[9:10], -v[193:194]
	v_fma_f64 v[211:212], v[213:214], v[209:210], v[211:212]
	v_add_f64 v[11:12], v[11:12], -v[211:212]
	ds_read2_b64 v[211:214], v253 offset0:100 offset1:101
	s_waitcnt lgkmcnt(0)
	v_mul_f64 v[193:194], v[213:214], v[195:196]
	v_fma_f64 v[193:194], v[211:212], v[209:210], -v[193:194]
	v_mul_f64 v[211:212], v[211:212], v[195:196]
	v_add_f64 v[5:6], v[5:6], -v[193:194]
	v_fma_f64 v[211:212], v[213:214], v[209:210], v[211:212]
	v_add_f64 v[7:8], v[7:8], -v[211:212]
	ds_read2_b64 v[211:214], v253 offset0:102 offset1:103
	s_waitcnt lgkmcnt(0)
	v_mul_f64 v[193:194], v[213:214], v[195:196]
	v_fma_f64 v[193:194], v[211:212], v[209:210], -v[193:194]
	v_mul_f64 v[211:212], v[211:212], v[195:196]
	v_add_f64 v[1:2], v[1:2], -v[193:194]
	v_fma_f64 v[211:212], v[213:214], v[209:210], v[211:212]
	v_mov_b32_e32 v193, v209
	v_mov_b32_e32 v194, v210
	v_add_f64 v[3:4], v[3:4], -v[211:212]
.LBB103_37:
	s_or_b32 exec_lo, exec_lo, s1
	s_mov_b32 s2, exec_lo
	s_waitcnt_vscnt null, 0x0
	s_barrier
	buffer_gl0_inv
	v_cmpx_eq_u32_e32 4, v0
	s_cbranch_execz .LBB103_44
; %bb.38:
	ds_write2_b64 v255, v[189:190], v[191:192] offset1:1
	ds_write2_b64 v253, v[185:186], v[187:188] offset0:10 offset1:11
	ds_write2_b64 v253, v[181:182], v[183:184] offset0:12 offset1:13
	;; [unrolled: 1-line block ×47, first 2 shown]
	ds_read2_b64 v[209:212], v255 offset1:1
	s_waitcnt lgkmcnt(0)
	v_cmp_neq_f64_e32 vcc_lo, 0, v[209:210]
	v_cmp_neq_f64_e64 s1, 0, v[211:212]
	s_or_b32 s1, vcc_lo, s1
	s_and_b32 exec_lo, exec_lo, s1
	s_cbranch_execz .LBB103_44
; %bb.39:
	v_cmp_ngt_f64_e64 s1, |v[209:210]|, |v[211:212]|
                                        ; implicit-def: $vgpr213_vgpr214
	s_and_saveexec_b32 s3, s1
	s_xor_b32 s1, exec_lo, s3
                                        ; implicit-def: $vgpr215_vgpr216
	s_cbranch_execz .LBB103_41
; %bb.40:
	v_div_scale_f64 v[213:214], null, v[211:212], v[211:212], v[209:210]
	v_div_scale_f64 v[219:220], vcc_lo, v[209:210], v[211:212], v[209:210]
	v_rcp_f64_e32 v[215:216], v[213:214]
	v_fma_f64 v[217:218], -v[213:214], v[215:216], 1.0
	v_fma_f64 v[215:216], v[215:216], v[217:218], v[215:216]
	v_fma_f64 v[217:218], -v[213:214], v[215:216], 1.0
	v_fma_f64 v[215:216], v[215:216], v[217:218], v[215:216]
	v_mul_f64 v[217:218], v[219:220], v[215:216]
	v_fma_f64 v[213:214], -v[213:214], v[217:218], v[219:220]
	v_div_fmas_f64 v[213:214], v[213:214], v[215:216], v[217:218]
	v_div_fixup_f64 v[213:214], v[213:214], v[211:212], v[209:210]
	v_fma_f64 v[209:210], v[209:210], v[213:214], v[211:212]
	v_div_scale_f64 v[211:212], null, v[209:210], v[209:210], 1.0
	v_rcp_f64_e32 v[215:216], v[211:212]
	v_fma_f64 v[217:218], -v[211:212], v[215:216], 1.0
	v_fma_f64 v[215:216], v[215:216], v[217:218], v[215:216]
	v_fma_f64 v[217:218], -v[211:212], v[215:216], 1.0
	v_fma_f64 v[215:216], v[215:216], v[217:218], v[215:216]
	v_div_scale_f64 v[217:218], vcc_lo, 1.0, v[209:210], 1.0
	v_mul_f64 v[219:220], v[217:218], v[215:216]
	v_fma_f64 v[211:212], -v[211:212], v[219:220], v[217:218]
	v_div_fmas_f64 v[211:212], v[211:212], v[215:216], v[219:220]
	v_div_fixup_f64 v[215:216], v[211:212], v[209:210], 1.0
                                        ; implicit-def: $vgpr209_vgpr210
	v_mul_f64 v[213:214], v[213:214], v[215:216]
	v_xor_b32_e32 v216, 0x80000000, v216
.LBB103_41:
	s_andn2_saveexec_b32 s1, s1
	s_cbranch_execz .LBB103_43
; %bb.42:
	v_div_scale_f64 v[213:214], null, v[209:210], v[209:210], v[211:212]
	v_div_scale_f64 v[219:220], vcc_lo, v[211:212], v[209:210], v[211:212]
	v_rcp_f64_e32 v[215:216], v[213:214]
	v_fma_f64 v[217:218], -v[213:214], v[215:216], 1.0
	v_fma_f64 v[215:216], v[215:216], v[217:218], v[215:216]
	v_fma_f64 v[217:218], -v[213:214], v[215:216], 1.0
	v_fma_f64 v[215:216], v[215:216], v[217:218], v[215:216]
	v_mul_f64 v[217:218], v[219:220], v[215:216]
	v_fma_f64 v[213:214], -v[213:214], v[217:218], v[219:220]
	v_div_fmas_f64 v[213:214], v[213:214], v[215:216], v[217:218]
	v_div_fixup_f64 v[215:216], v[213:214], v[209:210], v[211:212]
	v_fma_f64 v[209:210], v[211:212], v[215:216], v[209:210]
	v_div_scale_f64 v[211:212], null, v[209:210], v[209:210], 1.0
	v_rcp_f64_e32 v[213:214], v[211:212]
	v_fma_f64 v[217:218], -v[211:212], v[213:214], 1.0
	v_fma_f64 v[213:214], v[213:214], v[217:218], v[213:214]
	v_fma_f64 v[217:218], -v[211:212], v[213:214], 1.0
	v_fma_f64 v[213:214], v[213:214], v[217:218], v[213:214]
	v_div_scale_f64 v[217:218], vcc_lo, 1.0, v[209:210], 1.0
	v_mul_f64 v[219:220], v[217:218], v[213:214]
	v_fma_f64 v[211:212], -v[211:212], v[219:220], v[217:218]
	v_div_fmas_f64 v[211:212], v[211:212], v[213:214], v[219:220]
	v_div_fixup_f64 v[213:214], v[211:212], v[209:210], 1.0
	v_mul_f64 v[215:216], v[215:216], -v[213:214]
.LBB103_43:
	s_or_b32 exec_lo, exec_lo, s1
	ds_write2_b64 v255, v[213:214], v[215:216] offset1:1
.LBB103_44:
	s_or_b32 exec_lo, exec_lo, s2
	s_waitcnt lgkmcnt(0)
	s_barrier
	buffer_gl0_inv
	ds_read2_b64 v[203:206], v255 offset1:1
	s_mov_b32 s1, exec_lo
	s_waitcnt lgkmcnt(0)
	buffer_store_dword v203, off, s[16:19], 0 offset:488 ; 4-byte Folded Spill
	buffer_store_dword v204, off, s[16:19], 0 offset:492 ; 4-byte Folded Spill
	buffer_store_dword v205, off, s[16:19], 0 offset:496 ; 4-byte Folded Spill
	buffer_store_dword v206, off, s[16:19], 0 offset:500 ; 4-byte Folded Spill
	v_cmpx_lt_u32_e32 4, v0
	s_cbranch_execz .LBB103_46
; %bb.45:
	s_clause 0x3
	buffer_load_dword v203, off, s[16:19], 0 offset:488
	buffer_load_dword v204, off, s[16:19], 0 offset:492
	;; [unrolled: 1-line block ×4, first 2 shown]
	ds_read2_b64 v[211:214], v253 offset0:10 offset1:11
	s_waitcnt vmcnt(0)
	v_mul_f64 v[209:210], v[205:206], v[191:192]
	v_mul_f64 v[191:192], v[203:204], v[191:192]
	v_fma_f64 v[209:210], v[203:204], v[189:190], -v[209:210]
	v_fma_f64 v[191:192], v[205:206], v[189:190], v[191:192]
	s_waitcnt lgkmcnt(0)
	v_mul_f64 v[189:190], v[213:214], v[191:192]
	v_fma_f64 v[189:190], v[211:212], v[209:210], -v[189:190]
	v_mul_f64 v[211:212], v[211:212], v[191:192]
	v_add_f64 v[185:186], v[185:186], -v[189:190]
	v_fma_f64 v[211:212], v[213:214], v[209:210], v[211:212]
	v_add_f64 v[187:188], v[187:188], -v[211:212]
	ds_read2_b64 v[211:214], v253 offset0:12 offset1:13
	s_waitcnt lgkmcnt(0)
	v_mul_f64 v[189:190], v[213:214], v[191:192]
	v_fma_f64 v[189:190], v[211:212], v[209:210], -v[189:190]
	v_mul_f64 v[211:212], v[211:212], v[191:192]
	v_add_f64 v[181:182], v[181:182], -v[189:190]
	v_fma_f64 v[211:212], v[213:214], v[209:210], v[211:212]
	v_add_f64 v[183:184], v[183:184], -v[211:212]
	ds_read2_b64 v[211:214], v253 offset0:14 offset1:15
	;; [unrolled: 8-line block ×46, first 2 shown]
	s_waitcnt lgkmcnt(0)
	v_mul_f64 v[189:190], v[213:214], v[191:192]
	v_fma_f64 v[189:190], v[211:212], v[209:210], -v[189:190]
	v_mul_f64 v[211:212], v[211:212], v[191:192]
	v_add_f64 v[1:2], v[1:2], -v[189:190]
	v_fma_f64 v[211:212], v[213:214], v[209:210], v[211:212]
	v_mov_b32_e32 v189, v209
	v_mov_b32_e32 v190, v210
	v_add_f64 v[3:4], v[3:4], -v[211:212]
.LBB103_46:
	s_or_b32 exec_lo, exec_lo, s1
	s_mov_b32 s2, exec_lo
	s_waitcnt_vscnt null, 0x0
	s_barrier
	buffer_gl0_inv
	v_cmpx_eq_u32_e32 5, v0
	s_cbranch_execz .LBB103_53
; %bb.47:
	ds_write2_b64 v255, v[185:186], v[187:188] offset1:1
	ds_write2_b64 v253, v[181:182], v[183:184] offset0:12 offset1:13
	ds_write2_b64 v253, v[177:178], v[179:180] offset0:14 offset1:15
	;; [unrolled: 1-line block ×46, first 2 shown]
	ds_read2_b64 v[209:212], v255 offset1:1
	s_waitcnt lgkmcnt(0)
	v_cmp_neq_f64_e32 vcc_lo, 0, v[209:210]
	v_cmp_neq_f64_e64 s1, 0, v[211:212]
	s_or_b32 s1, vcc_lo, s1
	s_and_b32 exec_lo, exec_lo, s1
	s_cbranch_execz .LBB103_53
; %bb.48:
	v_cmp_ngt_f64_e64 s1, |v[209:210]|, |v[211:212]|
                                        ; implicit-def: $vgpr213_vgpr214
	s_and_saveexec_b32 s3, s1
	s_xor_b32 s1, exec_lo, s3
                                        ; implicit-def: $vgpr215_vgpr216
	s_cbranch_execz .LBB103_50
; %bb.49:
	v_div_scale_f64 v[213:214], null, v[211:212], v[211:212], v[209:210]
	v_div_scale_f64 v[219:220], vcc_lo, v[209:210], v[211:212], v[209:210]
	v_rcp_f64_e32 v[215:216], v[213:214]
	v_fma_f64 v[217:218], -v[213:214], v[215:216], 1.0
	v_fma_f64 v[215:216], v[215:216], v[217:218], v[215:216]
	v_fma_f64 v[217:218], -v[213:214], v[215:216], 1.0
	v_fma_f64 v[215:216], v[215:216], v[217:218], v[215:216]
	v_mul_f64 v[217:218], v[219:220], v[215:216]
	v_fma_f64 v[213:214], -v[213:214], v[217:218], v[219:220]
	v_div_fmas_f64 v[213:214], v[213:214], v[215:216], v[217:218]
	v_div_fixup_f64 v[213:214], v[213:214], v[211:212], v[209:210]
	v_fma_f64 v[209:210], v[209:210], v[213:214], v[211:212]
	v_div_scale_f64 v[211:212], null, v[209:210], v[209:210], 1.0
	v_rcp_f64_e32 v[215:216], v[211:212]
	v_fma_f64 v[217:218], -v[211:212], v[215:216], 1.0
	v_fma_f64 v[215:216], v[215:216], v[217:218], v[215:216]
	v_fma_f64 v[217:218], -v[211:212], v[215:216], 1.0
	v_fma_f64 v[215:216], v[215:216], v[217:218], v[215:216]
	v_div_scale_f64 v[217:218], vcc_lo, 1.0, v[209:210], 1.0
	v_mul_f64 v[219:220], v[217:218], v[215:216]
	v_fma_f64 v[211:212], -v[211:212], v[219:220], v[217:218]
	v_div_fmas_f64 v[211:212], v[211:212], v[215:216], v[219:220]
	v_div_fixup_f64 v[215:216], v[211:212], v[209:210], 1.0
                                        ; implicit-def: $vgpr209_vgpr210
	v_mul_f64 v[213:214], v[213:214], v[215:216]
	v_xor_b32_e32 v216, 0x80000000, v216
.LBB103_50:
	s_andn2_saveexec_b32 s1, s1
	s_cbranch_execz .LBB103_52
; %bb.51:
	v_div_scale_f64 v[213:214], null, v[209:210], v[209:210], v[211:212]
	v_div_scale_f64 v[219:220], vcc_lo, v[211:212], v[209:210], v[211:212]
	v_rcp_f64_e32 v[215:216], v[213:214]
	v_fma_f64 v[217:218], -v[213:214], v[215:216], 1.0
	v_fma_f64 v[215:216], v[215:216], v[217:218], v[215:216]
	v_fma_f64 v[217:218], -v[213:214], v[215:216], 1.0
	v_fma_f64 v[215:216], v[215:216], v[217:218], v[215:216]
	v_mul_f64 v[217:218], v[219:220], v[215:216]
	v_fma_f64 v[213:214], -v[213:214], v[217:218], v[219:220]
	v_div_fmas_f64 v[213:214], v[213:214], v[215:216], v[217:218]
	v_div_fixup_f64 v[215:216], v[213:214], v[209:210], v[211:212]
	v_fma_f64 v[209:210], v[211:212], v[215:216], v[209:210]
	v_div_scale_f64 v[211:212], null, v[209:210], v[209:210], 1.0
	v_rcp_f64_e32 v[213:214], v[211:212]
	v_fma_f64 v[217:218], -v[211:212], v[213:214], 1.0
	v_fma_f64 v[213:214], v[213:214], v[217:218], v[213:214]
	v_fma_f64 v[217:218], -v[211:212], v[213:214], 1.0
	v_fma_f64 v[213:214], v[213:214], v[217:218], v[213:214]
	v_div_scale_f64 v[217:218], vcc_lo, 1.0, v[209:210], 1.0
	v_mul_f64 v[219:220], v[217:218], v[213:214]
	v_fma_f64 v[211:212], -v[211:212], v[219:220], v[217:218]
	v_div_fmas_f64 v[211:212], v[211:212], v[213:214], v[219:220]
	v_div_fixup_f64 v[213:214], v[211:212], v[209:210], 1.0
	v_mul_f64 v[215:216], v[215:216], -v[213:214]
.LBB103_52:
	s_or_b32 exec_lo, exec_lo, s1
	ds_write2_b64 v255, v[213:214], v[215:216] offset1:1
.LBB103_53:
	s_or_b32 exec_lo, exec_lo, s2
	s_waitcnt lgkmcnt(0)
	s_barrier
	buffer_gl0_inv
	ds_read2_b64 v[203:206], v255 offset1:1
	s_mov_b32 s1, exec_lo
	s_waitcnt lgkmcnt(0)
	buffer_store_dword v203, off, s[16:19], 0 offset:504 ; 4-byte Folded Spill
	buffer_store_dword v204, off, s[16:19], 0 offset:508 ; 4-byte Folded Spill
	;; [unrolled: 1-line block ×4, first 2 shown]
	v_cmpx_lt_u32_e32 5, v0
	s_cbranch_execz .LBB103_55
; %bb.54:
	s_clause 0x3
	buffer_load_dword v203, off, s[16:19], 0 offset:504
	buffer_load_dword v204, off, s[16:19], 0 offset:508
	buffer_load_dword v205, off, s[16:19], 0 offset:512
	buffer_load_dword v206, off, s[16:19], 0 offset:516
	ds_read2_b64 v[211:214], v253 offset0:12 offset1:13
	s_waitcnt vmcnt(0)
	v_mul_f64 v[209:210], v[205:206], v[187:188]
	v_mul_f64 v[187:188], v[203:204], v[187:188]
	v_fma_f64 v[209:210], v[203:204], v[185:186], -v[209:210]
	v_fma_f64 v[187:188], v[205:206], v[185:186], v[187:188]
	s_waitcnt lgkmcnt(0)
	v_mul_f64 v[185:186], v[213:214], v[187:188]
	v_fma_f64 v[185:186], v[211:212], v[209:210], -v[185:186]
	v_mul_f64 v[211:212], v[211:212], v[187:188]
	v_add_f64 v[181:182], v[181:182], -v[185:186]
	v_fma_f64 v[211:212], v[213:214], v[209:210], v[211:212]
	v_add_f64 v[183:184], v[183:184], -v[211:212]
	ds_read2_b64 v[211:214], v253 offset0:14 offset1:15
	s_waitcnt lgkmcnt(0)
	v_mul_f64 v[185:186], v[213:214], v[187:188]
	v_fma_f64 v[185:186], v[211:212], v[209:210], -v[185:186]
	v_mul_f64 v[211:212], v[211:212], v[187:188]
	v_add_f64 v[177:178], v[177:178], -v[185:186]
	v_fma_f64 v[211:212], v[213:214], v[209:210], v[211:212]
	v_add_f64 v[179:180], v[179:180], -v[211:212]
	ds_read2_b64 v[211:214], v253 offset0:16 offset1:17
	;; [unrolled: 8-line block ×45, first 2 shown]
	s_waitcnt lgkmcnt(0)
	v_mul_f64 v[185:186], v[213:214], v[187:188]
	v_fma_f64 v[185:186], v[211:212], v[209:210], -v[185:186]
	v_mul_f64 v[211:212], v[211:212], v[187:188]
	v_add_f64 v[1:2], v[1:2], -v[185:186]
	v_fma_f64 v[211:212], v[213:214], v[209:210], v[211:212]
	v_mov_b32_e32 v185, v209
	v_mov_b32_e32 v186, v210
	v_add_f64 v[3:4], v[3:4], -v[211:212]
.LBB103_55:
	s_or_b32 exec_lo, exec_lo, s1
	s_mov_b32 s2, exec_lo
	s_waitcnt_vscnt null, 0x0
	s_barrier
	buffer_gl0_inv
	v_cmpx_eq_u32_e32 6, v0
	s_cbranch_execz .LBB103_62
; %bb.56:
	ds_write2_b64 v255, v[181:182], v[183:184] offset1:1
	ds_write2_b64 v253, v[177:178], v[179:180] offset0:14 offset1:15
	ds_write2_b64 v253, v[173:174], v[175:176] offset0:16 offset1:17
	;; [unrolled: 1-line block ×45, first 2 shown]
	ds_read2_b64 v[209:212], v255 offset1:1
	s_waitcnt lgkmcnt(0)
	v_cmp_neq_f64_e32 vcc_lo, 0, v[209:210]
	v_cmp_neq_f64_e64 s1, 0, v[211:212]
	s_or_b32 s1, vcc_lo, s1
	s_and_b32 exec_lo, exec_lo, s1
	s_cbranch_execz .LBB103_62
; %bb.57:
	v_cmp_ngt_f64_e64 s1, |v[209:210]|, |v[211:212]|
                                        ; implicit-def: $vgpr213_vgpr214
	s_and_saveexec_b32 s3, s1
	s_xor_b32 s1, exec_lo, s3
                                        ; implicit-def: $vgpr215_vgpr216
	s_cbranch_execz .LBB103_59
; %bb.58:
	v_div_scale_f64 v[213:214], null, v[211:212], v[211:212], v[209:210]
	v_div_scale_f64 v[219:220], vcc_lo, v[209:210], v[211:212], v[209:210]
	v_rcp_f64_e32 v[215:216], v[213:214]
	v_fma_f64 v[217:218], -v[213:214], v[215:216], 1.0
	v_fma_f64 v[215:216], v[215:216], v[217:218], v[215:216]
	v_fma_f64 v[217:218], -v[213:214], v[215:216], 1.0
	v_fma_f64 v[215:216], v[215:216], v[217:218], v[215:216]
	v_mul_f64 v[217:218], v[219:220], v[215:216]
	v_fma_f64 v[213:214], -v[213:214], v[217:218], v[219:220]
	v_div_fmas_f64 v[213:214], v[213:214], v[215:216], v[217:218]
	v_div_fixup_f64 v[213:214], v[213:214], v[211:212], v[209:210]
	v_fma_f64 v[209:210], v[209:210], v[213:214], v[211:212]
	v_div_scale_f64 v[211:212], null, v[209:210], v[209:210], 1.0
	v_rcp_f64_e32 v[215:216], v[211:212]
	v_fma_f64 v[217:218], -v[211:212], v[215:216], 1.0
	v_fma_f64 v[215:216], v[215:216], v[217:218], v[215:216]
	v_fma_f64 v[217:218], -v[211:212], v[215:216], 1.0
	v_fma_f64 v[215:216], v[215:216], v[217:218], v[215:216]
	v_div_scale_f64 v[217:218], vcc_lo, 1.0, v[209:210], 1.0
	v_mul_f64 v[219:220], v[217:218], v[215:216]
	v_fma_f64 v[211:212], -v[211:212], v[219:220], v[217:218]
	v_div_fmas_f64 v[211:212], v[211:212], v[215:216], v[219:220]
	v_div_fixup_f64 v[215:216], v[211:212], v[209:210], 1.0
                                        ; implicit-def: $vgpr209_vgpr210
	v_mul_f64 v[213:214], v[213:214], v[215:216]
	v_xor_b32_e32 v216, 0x80000000, v216
.LBB103_59:
	s_andn2_saveexec_b32 s1, s1
	s_cbranch_execz .LBB103_61
; %bb.60:
	v_div_scale_f64 v[213:214], null, v[209:210], v[209:210], v[211:212]
	v_div_scale_f64 v[219:220], vcc_lo, v[211:212], v[209:210], v[211:212]
	v_rcp_f64_e32 v[215:216], v[213:214]
	v_fma_f64 v[217:218], -v[213:214], v[215:216], 1.0
	v_fma_f64 v[215:216], v[215:216], v[217:218], v[215:216]
	v_fma_f64 v[217:218], -v[213:214], v[215:216], 1.0
	v_fma_f64 v[215:216], v[215:216], v[217:218], v[215:216]
	v_mul_f64 v[217:218], v[219:220], v[215:216]
	v_fma_f64 v[213:214], -v[213:214], v[217:218], v[219:220]
	v_div_fmas_f64 v[213:214], v[213:214], v[215:216], v[217:218]
	v_div_fixup_f64 v[215:216], v[213:214], v[209:210], v[211:212]
	v_fma_f64 v[209:210], v[211:212], v[215:216], v[209:210]
	v_div_scale_f64 v[211:212], null, v[209:210], v[209:210], 1.0
	v_rcp_f64_e32 v[213:214], v[211:212]
	v_fma_f64 v[217:218], -v[211:212], v[213:214], 1.0
	v_fma_f64 v[213:214], v[213:214], v[217:218], v[213:214]
	v_fma_f64 v[217:218], -v[211:212], v[213:214], 1.0
	v_fma_f64 v[213:214], v[213:214], v[217:218], v[213:214]
	v_div_scale_f64 v[217:218], vcc_lo, 1.0, v[209:210], 1.0
	v_mul_f64 v[219:220], v[217:218], v[213:214]
	v_fma_f64 v[211:212], -v[211:212], v[219:220], v[217:218]
	v_div_fmas_f64 v[211:212], v[211:212], v[213:214], v[219:220]
	v_div_fixup_f64 v[213:214], v[211:212], v[209:210], 1.0
	v_mul_f64 v[215:216], v[215:216], -v[213:214]
.LBB103_61:
	s_or_b32 exec_lo, exec_lo, s1
	ds_write2_b64 v255, v[213:214], v[215:216] offset1:1
.LBB103_62:
	s_or_b32 exec_lo, exec_lo, s2
	s_waitcnt lgkmcnt(0)
	s_barrier
	buffer_gl0_inv
	ds_read2_b64 v[203:206], v255 offset1:1
	s_mov_b32 s1, exec_lo
	s_waitcnt lgkmcnt(0)
	buffer_store_dword v203, off, s[16:19], 0 offset:520 ; 4-byte Folded Spill
	buffer_store_dword v204, off, s[16:19], 0 offset:524 ; 4-byte Folded Spill
	;; [unrolled: 1-line block ×4, first 2 shown]
	v_cmpx_lt_u32_e32 6, v0
	s_cbranch_execz .LBB103_64
; %bb.63:
	s_clause 0x3
	buffer_load_dword v203, off, s[16:19], 0 offset:520
	buffer_load_dword v204, off, s[16:19], 0 offset:524
	;; [unrolled: 1-line block ×4, first 2 shown]
	ds_read2_b64 v[211:214], v253 offset0:14 offset1:15
	s_waitcnt vmcnt(0)
	v_mul_f64 v[209:210], v[205:206], v[183:184]
	v_mul_f64 v[183:184], v[203:204], v[183:184]
	v_fma_f64 v[209:210], v[203:204], v[181:182], -v[209:210]
	v_fma_f64 v[183:184], v[205:206], v[181:182], v[183:184]
	s_waitcnt lgkmcnt(0)
	v_mul_f64 v[181:182], v[213:214], v[183:184]
	v_fma_f64 v[181:182], v[211:212], v[209:210], -v[181:182]
	v_mul_f64 v[211:212], v[211:212], v[183:184]
	v_add_f64 v[177:178], v[177:178], -v[181:182]
	v_fma_f64 v[211:212], v[213:214], v[209:210], v[211:212]
	v_add_f64 v[179:180], v[179:180], -v[211:212]
	ds_read2_b64 v[211:214], v253 offset0:16 offset1:17
	s_waitcnt lgkmcnt(0)
	v_mul_f64 v[181:182], v[213:214], v[183:184]
	v_fma_f64 v[181:182], v[211:212], v[209:210], -v[181:182]
	v_mul_f64 v[211:212], v[211:212], v[183:184]
	v_add_f64 v[173:174], v[173:174], -v[181:182]
	v_fma_f64 v[211:212], v[213:214], v[209:210], v[211:212]
	v_add_f64 v[175:176], v[175:176], -v[211:212]
	ds_read2_b64 v[211:214], v253 offset0:18 offset1:19
	;; [unrolled: 8-line block ×44, first 2 shown]
	s_waitcnt lgkmcnt(0)
	v_mul_f64 v[181:182], v[213:214], v[183:184]
	v_fma_f64 v[181:182], v[211:212], v[209:210], -v[181:182]
	v_mul_f64 v[211:212], v[211:212], v[183:184]
	v_add_f64 v[1:2], v[1:2], -v[181:182]
	v_fma_f64 v[211:212], v[213:214], v[209:210], v[211:212]
	v_mov_b32_e32 v181, v209
	v_mov_b32_e32 v182, v210
	v_add_f64 v[3:4], v[3:4], -v[211:212]
.LBB103_64:
	s_or_b32 exec_lo, exec_lo, s1
	s_mov_b32 s2, exec_lo
	s_waitcnt_vscnt null, 0x0
	s_barrier
	buffer_gl0_inv
	v_cmpx_eq_u32_e32 7, v0
	s_cbranch_execz .LBB103_71
; %bb.65:
	ds_write2_b64 v255, v[177:178], v[179:180] offset1:1
	ds_write2_b64 v253, v[173:174], v[175:176] offset0:16 offset1:17
	ds_write2_b64 v253, v[169:170], v[171:172] offset0:18 offset1:19
	;; [unrolled: 1-line block ×44, first 2 shown]
	ds_read2_b64 v[209:212], v255 offset1:1
	s_waitcnt lgkmcnt(0)
	v_cmp_neq_f64_e32 vcc_lo, 0, v[209:210]
	v_cmp_neq_f64_e64 s1, 0, v[211:212]
	s_or_b32 s1, vcc_lo, s1
	s_and_b32 exec_lo, exec_lo, s1
	s_cbranch_execz .LBB103_71
; %bb.66:
	v_cmp_ngt_f64_e64 s1, |v[209:210]|, |v[211:212]|
                                        ; implicit-def: $vgpr213_vgpr214
	s_and_saveexec_b32 s3, s1
	s_xor_b32 s1, exec_lo, s3
                                        ; implicit-def: $vgpr215_vgpr216
	s_cbranch_execz .LBB103_68
; %bb.67:
	v_div_scale_f64 v[213:214], null, v[211:212], v[211:212], v[209:210]
	v_div_scale_f64 v[219:220], vcc_lo, v[209:210], v[211:212], v[209:210]
	v_rcp_f64_e32 v[215:216], v[213:214]
	v_fma_f64 v[217:218], -v[213:214], v[215:216], 1.0
	v_fma_f64 v[215:216], v[215:216], v[217:218], v[215:216]
	v_fma_f64 v[217:218], -v[213:214], v[215:216], 1.0
	v_fma_f64 v[215:216], v[215:216], v[217:218], v[215:216]
	v_mul_f64 v[217:218], v[219:220], v[215:216]
	v_fma_f64 v[213:214], -v[213:214], v[217:218], v[219:220]
	v_div_fmas_f64 v[213:214], v[213:214], v[215:216], v[217:218]
	v_div_fixup_f64 v[213:214], v[213:214], v[211:212], v[209:210]
	v_fma_f64 v[209:210], v[209:210], v[213:214], v[211:212]
	v_div_scale_f64 v[211:212], null, v[209:210], v[209:210], 1.0
	v_rcp_f64_e32 v[215:216], v[211:212]
	v_fma_f64 v[217:218], -v[211:212], v[215:216], 1.0
	v_fma_f64 v[215:216], v[215:216], v[217:218], v[215:216]
	v_fma_f64 v[217:218], -v[211:212], v[215:216], 1.0
	v_fma_f64 v[215:216], v[215:216], v[217:218], v[215:216]
	v_div_scale_f64 v[217:218], vcc_lo, 1.0, v[209:210], 1.0
	v_mul_f64 v[219:220], v[217:218], v[215:216]
	v_fma_f64 v[211:212], -v[211:212], v[219:220], v[217:218]
	v_div_fmas_f64 v[211:212], v[211:212], v[215:216], v[219:220]
	v_div_fixup_f64 v[215:216], v[211:212], v[209:210], 1.0
                                        ; implicit-def: $vgpr209_vgpr210
	v_mul_f64 v[213:214], v[213:214], v[215:216]
	v_xor_b32_e32 v216, 0x80000000, v216
.LBB103_68:
	s_andn2_saveexec_b32 s1, s1
	s_cbranch_execz .LBB103_70
; %bb.69:
	v_div_scale_f64 v[213:214], null, v[209:210], v[209:210], v[211:212]
	v_div_scale_f64 v[219:220], vcc_lo, v[211:212], v[209:210], v[211:212]
	v_rcp_f64_e32 v[215:216], v[213:214]
	v_fma_f64 v[217:218], -v[213:214], v[215:216], 1.0
	v_fma_f64 v[215:216], v[215:216], v[217:218], v[215:216]
	v_fma_f64 v[217:218], -v[213:214], v[215:216], 1.0
	v_fma_f64 v[215:216], v[215:216], v[217:218], v[215:216]
	v_mul_f64 v[217:218], v[219:220], v[215:216]
	v_fma_f64 v[213:214], -v[213:214], v[217:218], v[219:220]
	v_div_fmas_f64 v[213:214], v[213:214], v[215:216], v[217:218]
	v_div_fixup_f64 v[215:216], v[213:214], v[209:210], v[211:212]
	v_fma_f64 v[209:210], v[211:212], v[215:216], v[209:210]
	v_div_scale_f64 v[211:212], null, v[209:210], v[209:210], 1.0
	v_rcp_f64_e32 v[213:214], v[211:212]
	v_fma_f64 v[217:218], -v[211:212], v[213:214], 1.0
	v_fma_f64 v[213:214], v[213:214], v[217:218], v[213:214]
	v_fma_f64 v[217:218], -v[211:212], v[213:214], 1.0
	v_fma_f64 v[213:214], v[213:214], v[217:218], v[213:214]
	v_div_scale_f64 v[217:218], vcc_lo, 1.0, v[209:210], 1.0
	v_mul_f64 v[219:220], v[217:218], v[213:214]
	v_fma_f64 v[211:212], -v[211:212], v[219:220], v[217:218]
	v_div_fmas_f64 v[211:212], v[211:212], v[213:214], v[219:220]
	v_div_fixup_f64 v[213:214], v[211:212], v[209:210], 1.0
	v_mul_f64 v[215:216], v[215:216], -v[213:214]
.LBB103_70:
	s_or_b32 exec_lo, exec_lo, s1
	ds_write2_b64 v255, v[213:214], v[215:216] offset1:1
.LBB103_71:
	s_or_b32 exec_lo, exec_lo, s2
	s_waitcnt lgkmcnt(0)
	s_barrier
	buffer_gl0_inv
	ds_read2_b64 v[203:206], v255 offset1:1
	s_mov_b32 s1, exec_lo
	s_waitcnt lgkmcnt(0)
	buffer_store_dword v203, off, s[16:19], 0 offset:536 ; 4-byte Folded Spill
	buffer_store_dword v204, off, s[16:19], 0 offset:540 ; 4-byte Folded Spill
	;; [unrolled: 1-line block ×4, first 2 shown]
	v_cmpx_lt_u32_e32 7, v0
	s_cbranch_execz .LBB103_73
; %bb.72:
	s_clause 0x3
	buffer_load_dword v203, off, s[16:19], 0 offset:536
	buffer_load_dword v204, off, s[16:19], 0 offset:540
	;; [unrolled: 1-line block ×4, first 2 shown]
	ds_read2_b64 v[211:214], v253 offset0:16 offset1:17
	s_waitcnt vmcnt(0)
	v_mul_f64 v[209:210], v[205:206], v[179:180]
	v_mul_f64 v[179:180], v[203:204], v[179:180]
	v_fma_f64 v[209:210], v[203:204], v[177:178], -v[209:210]
	v_fma_f64 v[179:180], v[205:206], v[177:178], v[179:180]
	s_waitcnt lgkmcnt(0)
	v_mul_f64 v[177:178], v[213:214], v[179:180]
	v_fma_f64 v[177:178], v[211:212], v[209:210], -v[177:178]
	v_mul_f64 v[211:212], v[211:212], v[179:180]
	v_add_f64 v[173:174], v[173:174], -v[177:178]
	v_fma_f64 v[211:212], v[213:214], v[209:210], v[211:212]
	v_add_f64 v[175:176], v[175:176], -v[211:212]
	ds_read2_b64 v[211:214], v253 offset0:18 offset1:19
	s_waitcnt lgkmcnt(0)
	v_mul_f64 v[177:178], v[213:214], v[179:180]
	v_fma_f64 v[177:178], v[211:212], v[209:210], -v[177:178]
	v_mul_f64 v[211:212], v[211:212], v[179:180]
	v_add_f64 v[169:170], v[169:170], -v[177:178]
	v_fma_f64 v[211:212], v[213:214], v[209:210], v[211:212]
	v_add_f64 v[171:172], v[171:172], -v[211:212]
	ds_read2_b64 v[211:214], v253 offset0:20 offset1:21
	;; [unrolled: 8-line block ×43, first 2 shown]
	s_waitcnt lgkmcnt(0)
	v_mul_f64 v[177:178], v[213:214], v[179:180]
	v_fma_f64 v[177:178], v[211:212], v[209:210], -v[177:178]
	v_mul_f64 v[211:212], v[211:212], v[179:180]
	v_add_f64 v[1:2], v[1:2], -v[177:178]
	v_fma_f64 v[211:212], v[213:214], v[209:210], v[211:212]
	v_mov_b32_e32 v177, v209
	v_mov_b32_e32 v178, v210
	v_add_f64 v[3:4], v[3:4], -v[211:212]
.LBB103_73:
	s_or_b32 exec_lo, exec_lo, s1
	s_mov_b32 s2, exec_lo
	s_waitcnt_vscnt null, 0x0
	s_barrier
	buffer_gl0_inv
	v_cmpx_eq_u32_e32 8, v0
	s_cbranch_execz .LBB103_80
; %bb.74:
	ds_write2_b64 v255, v[173:174], v[175:176] offset1:1
	ds_write2_b64 v253, v[169:170], v[171:172] offset0:18 offset1:19
	ds_write2_b64 v253, v[165:166], v[167:168] offset0:20 offset1:21
	;; [unrolled: 1-line block ×43, first 2 shown]
	ds_read2_b64 v[209:212], v255 offset1:1
	s_waitcnt lgkmcnt(0)
	v_cmp_neq_f64_e32 vcc_lo, 0, v[209:210]
	v_cmp_neq_f64_e64 s1, 0, v[211:212]
	s_or_b32 s1, vcc_lo, s1
	s_and_b32 exec_lo, exec_lo, s1
	s_cbranch_execz .LBB103_80
; %bb.75:
	v_cmp_ngt_f64_e64 s1, |v[209:210]|, |v[211:212]|
                                        ; implicit-def: $vgpr213_vgpr214
	s_and_saveexec_b32 s3, s1
	s_xor_b32 s1, exec_lo, s3
                                        ; implicit-def: $vgpr215_vgpr216
	s_cbranch_execz .LBB103_77
; %bb.76:
	v_div_scale_f64 v[213:214], null, v[211:212], v[211:212], v[209:210]
	v_div_scale_f64 v[219:220], vcc_lo, v[209:210], v[211:212], v[209:210]
	v_rcp_f64_e32 v[215:216], v[213:214]
	v_fma_f64 v[217:218], -v[213:214], v[215:216], 1.0
	v_fma_f64 v[215:216], v[215:216], v[217:218], v[215:216]
	v_fma_f64 v[217:218], -v[213:214], v[215:216], 1.0
	v_fma_f64 v[215:216], v[215:216], v[217:218], v[215:216]
	v_mul_f64 v[217:218], v[219:220], v[215:216]
	v_fma_f64 v[213:214], -v[213:214], v[217:218], v[219:220]
	v_div_fmas_f64 v[213:214], v[213:214], v[215:216], v[217:218]
	v_div_fixup_f64 v[213:214], v[213:214], v[211:212], v[209:210]
	v_fma_f64 v[209:210], v[209:210], v[213:214], v[211:212]
	v_div_scale_f64 v[211:212], null, v[209:210], v[209:210], 1.0
	v_rcp_f64_e32 v[215:216], v[211:212]
	v_fma_f64 v[217:218], -v[211:212], v[215:216], 1.0
	v_fma_f64 v[215:216], v[215:216], v[217:218], v[215:216]
	v_fma_f64 v[217:218], -v[211:212], v[215:216], 1.0
	v_fma_f64 v[215:216], v[215:216], v[217:218], v[215:216]
	v_div_scale_f64 v[217:218], vcc_lo, 1.0, v[209:210], 1.0
	v_mul_f64 v[219:220], v[217:218], v[215:216]
	v_fma_f64 v[211:212], -v[211:212], v[219:220], v[217:218]
	v_div_fmas_f64 v[211:212], v[211:212], v[215:216], v[219:220]
	v_div_fixup_f64 v[215:216], v[211:212], v[209:210], 1.0
                                        ; implicit-def: $vgpr209_vgpr210
	v_mul_f64 v[213:214], v[213:214], v[215:216]
	v_xor_b32_e32 v216, 0x80000000, v216
.LBB103_77:
	s_andn2_saveexec_b32 s1, s1
	s_cbranch_execz .LBB103_79
; %bb.78:
	v_div_scale_f64 v[213:214], null, v[209:210], v[209:210], v[211:212]
	v_div_scale_f64 v[219:220], vcc_lo, v[211:212], v[209:210], v[211:212]
	v_rcp_f64_e32 v[215:216], v[213:214]
	v_fma_f64 v[217:218], -v[213:214], v[215:216], 1.0
	v_fma_f64 v[215:216], v[215:216], v[217:218], v[215:216]
	v_fma_f64 v[217:218], -v[213:214], v[215:216], 1.0
	v_fma_f64 v[215:216], v[215:216], v[217:218], v[215:216]
	v_mul_f64 v[217:218], v[219:220], v[215:216]
	v_fma_f64 v[213:214], -v[213:214], v[217:218], v[219:220]
	v_div_fmas_f64 v[213:214], v[213:214], v[215:216], v[217:218]
	v_div_fixup_f64 v[215:216], v[213:214], v[209:210], v[211:212]
	v_fma_f64 v[209:210], v[211:212], v[215:216], v[209:210]
	v_div_scale_f64 v[211:212], null, v[209:210], v[209:210], 1.0
	v_rcp_f64_e32 v[213:214], v[211:212]
	v_fma_f64 v[217:218], -v[211:212], v[213:214], 1.0
	v_fma_f64 v[213:214], v[213:214], v[217:218], v[213:214]
	v_fma_f64 v[217:218], -v[211:212], v[213:214], 1.0
	v_fma_f64 v[213:214], v[213:214], v[217:218], v[213:214]
	v_div_scale_f64 v[217:218], vcc_lo, 1.0, v[209:210], 1.0
	v_mul_f64 v[219:220], v[217:218], v[213:214]
	v_fma_f64 v[211:212], -v[211:212], v[219:220], v[217:218]
	v_div_fmas_f64 v[211:212], v[211:212], v[213:214], v[219:220]
	v_div_fixup_f64 v[213:214], v[211:212], v[209:210], 1.0
	v_mul_f64 v[215:216], v[215:216], -v[213:214]
.LBB103_79:
	s_or_b32 exec_lo, exec_lo, s1
	ds_write2_b64 v255, v[213:214], v[215:216] offset1:1
.LBB103_80:
	s_or_b32 exec_lo, exec_lo, s2
	s_waitcnt lgkmcnt(0)
	s_barrier
	buffer_gl0_inv
	ds_read2_b64 v[203:206], v255 offset1:1
	s_mov_b32 s1, exec_lo
	s_waitcnt lgkmcnt(0)
	buffer_store_dword v203, off, s[16:19], 0 offset:552 ; 4-byte Folded Spill
	buffer_store_dword v204, off, s[16:19], 0 offset:556 ; 4-byte Folded Spill
	;; [unrolled: 1-line block ×4, first 2 shown]
	v_cmpx_lt_u32_e32 8, v0
	s_cbranch_execz .LBB103_82
; %bb.81:
	s_clause 0x3
	buffer_load_dword v203, off, s[16:19], 0 offset:552
	buffer_load_dword v204, off, s[16:19], 0 offset:556
	;; [unrolled: 1-line block ×4, first 2 shown]
	ds_read2_b64 v[211:214], v253 offset0:18 offset1:19
	s_waitcnt vmcnt(0)
	v_mul_f64 v[209:210], v[205:206], v[175:176]
	v_mul_f64 v[175:176], v[203:204], v[175:176]
	v_fma_f64 v[209:210], v[203:204], v[173:174], -v[209:210]
	v_fma_f64 v[175:176], v[205:206], v[173:174], v[175:176]
	s_waitcnt lgkmcnt(0)
	v_mul_f64 v[173:174], v[213:214], v[175:176]
	v_fma_f64 v[173:174], v[211:212], v[209:210], -v[173:174]
	v_mul_f64 v[211:212], v[211:212], v[175:176]
	v_add_f64 v[169:170], v[169:170], -v[173:174]
	v_fma_f64 v[211:212], v[213:214], v[209:210], v[211:212]
	v_add_f64 v[171:172], v[171:172], -v[211:212]
	ds_read2_b64 v[211:214], v253 offset0:20 offset1:21
	s_waitcnt lgkmcnt(0)
	v_mul_f64 v[173:174], v[213:214], v[175:176]
	v_fma_f64 v[173:174], v[211:212], v[209:210], -v[173:174]
	v_mul_f64 v[211:212], v[211:212], v[175:176]
	v_add_f64 v[165:166], v[165:166], -v[173:174]
	v_fma_f64 v[211:212], v[213:214], v[209:210], v[211:212]
	v_add_f64 v[167:168], v[167:168], -v[211:212]
	ds_read2_b64 v[211:214], v253 offset0:22 offset1:23
	;; [unrolled: 8-line block ×42, first 2 shown]
	s_waitcnt lgkmcnt(0)
	v_mul_f64 v[173:174], v[213:214], v[175:176]
	v_fma_f64 v[173:174], v[211:212], v[209:210], -v[173:174]
	v_mul_f64 v[211:212], v[211:212], v[175:176]
	v_add_f64 v[1:2], v[1:2], -v[173:174]
	v_fma_f64 v[211:212], v[213:214], v[209:210], v[211:212]
	v_mov_b32_e32 v173, v209
	v_mov_b32_e32 v174, v210
	v_add_f64 v[3:4], v[3:4], -v[211:212]
.LBB103_82:
	s_or_b32 exec_lo, exec_lo, s1
	s_mov_b32 s2, exec_lo
	s_waitcnt_vscnt null, 0x0
	s_barrier
	buffer_gl0_inv
	v_cmpx_eq_u32_e32 9, v0
	s_cbranch_execz .LBB103_89
; %bb.83:
	ds_write2_b64 v255, v[169:170], v[171:172] offset1:1
	ds_write2_b64 v253, v[165:166], v[167:168] offset0:20 offset1:21
	ds_write2_b64 v253, v[161:162], v[163:164] offset0:22 offset1:23
	;; [unrolled: 1-line block ×42, first 2 shown]
	ds_read2_b64 v[209:212], v255 offset1:1
	s_waitcnt lgkmcnt(0)
	v_cmp_neq_f64_e32 vcc_lo, 0, v[209:210]
	v_cmp_neq_f64_e64 s1, 0, v[211:212]
	s_or_b32 s1, vcc_lo, s1
	s_and_b32 exec_lo, exec_lo, s1
	s_cbranch_execz .LBB103_89
; %bb.84:
	v_cmp_ngt_f64_e64 s1, |v[209:210]|, |v[211:212]|
                                        ; implicit-def: $vgpr213_vgpr214
	s_and_saveexec_b32 s3, s1
	s_xor_b32 s1, exec_lo, s3
                                        ; implicit-def: $vgpr215_vgpr216
	s_cbranch_execz .LBB103_86
; %bb.85:
	v_div_scale_f64 v[213:214], null, v[211:212], v[211:212], v[209:210]
	v_div_scale_f64 v[219:220], vcc_lo, v[209:210], v[211:212], v[209:210]
	v_rcp_f64_e32 v[215:216], v[213:214]
	v_fma_f64 v[217:218], -v[213:214], v[215:216], 1.0
	v_fma_f64 v[215:216], v[215:216], v[217:218], v[215:216]
	v_fma_f64 v[217:218], -v[213:214], v[215:216], 1.0
	v_fma_f64 v[215:216], v[215:216], v[217:218], v[215:216]
	v_mul_f64 v[217:218], v[219:220], v[215:216]
	v_fma_f64 v[213:214], -v[213:214], v[217:218], v[219:220]
	v_div_fmas_f64 v[213:214], v[213:214], v[215:216], v[217:218]
	v_div_fixup_f64 v[213:214], v[213:214], v[211:212], v[209:210]
	v_fma_f64 v[209:210], v[209:210], v[213:214], v[211:212]
	v_div_scale_f64 v[211:212], null, v[209:210], v[209:210], 1.0
	v_rcp_f64_e32 v[215:216], v[211:212]
	v_fma_f64 v[217:218], -v[211:212], v[215:216], 1.0
	v_fma_f64 v[215:216], v[215:216], v[217:218], v[215:216]
	v_fma_f64 v[217:218], -v[211:212], v[215:216], 1.0
	v_fma_f64 v[215:216], v[215:216], v[217:218], v[215:216]
	v_div_scale_f64 v[217:218], vcc_lo, 1.0, v[209:210], 1.0
	v_mul_f64 v[219:220], v[217:218], v[215:216]
	v_fma_f64 v[211:212], -v[211:212], v[219:220], v[217:218]
	v_div_fmas_f64 v[211:212], v[211:212], v[215:216], v[219:220]
	v_div_fixup_f64 v[215:216], v[211:212], v[209:210], 1.0
                                        ; implicit-def: $vgpr209_vgpr210
	v_mul_f64 v[213:214], v[213:214], v[215:216]
	v_xor_b32_e32 v216, 0x80000000, v216
.LBB103_86:
	s_andn2_saveexec_b32 s1, s1
	s_cbranch_execz .LBB103_88
; %bb.87:
	v_div_scale_f64 v[213:214], null, v[209:210], v[209:210], v[211:212]
	v_div_scale_f64 v[219:220], vcc_lo, v[211:212], v[209:210], v[211:212]
	v_rcp_f64_e32 v[215:216], v[213:214]
	v_fma_f64 v[217:218], -v[213:214], v[215:216], 1.0
	v_fma_f64 v[215:216], v[215:216], v[217:218], v[215:216]
	v_fma_f64 v[217:218], -v[213:214], v[215:216], 1.0
	v_fma_f64 v[215:216], v[215:216], v[217:218], v[215:216]
	v_mul_f64 v[217:218], v[219:220], v[215:216]
	v_fma_f64 v[213:214], -v[213:214], v[217:218], v[219:220]
	v_div_fmas_f64 v[213:214], v[213:214], v[215:216], v[217:218]
	v_div_fixup_f64 v[215:216], v[213:214], v[209:210], v[211:212]
	v_fma_f64 v[209:210], v[211:212], v[215:216], v[209:210]
	v_div_scale_f64 v[211:212], null, v[209:210], v[209:210], 1.0
	v_rcp_f64_e32 v[213:214], v[211:212]
	v_fma_f64 v[217:218], -v[211:212], v[213:214], 1.0
	v_fma_f64 v[213:214], v[213:214], v[217:218], v[213:214]
	v_fma_f64 v[217:218], -v[211:212], v[213:214], 1.0
	v_fma_f64 v[213:214], v[213:214], v[217:218], v[213:214]
	v_div_scale_f64 v[217:218], vcc_lo, 1.0, v[209:210], 1.0
	v_mul_f64 v[219:220], v[217:218], v[213:214]
	v_fma_f64 v[211:212], -v[211:212], v[219:220], v[217:218]
	v_div_fmas_f64 v[211:212], v[211:212], v[213:214], v[219:220]
	v_div_fixup_f64 v[213:214], v[211:212], v[209:210], 1.0
	v_mul_f64 v[215:216], v[215:216], -v[213:214]
.LBB103_88:
	s_or_b32 exec_lo, exec_lo, s1
	ds_write2_b64 v255, v[213:214], v[215:216] offset1:1
.LBB103_89:
	s_or_b32 exec_lo, exec_lo, s2
	s_waitcnt lgkmcnt(0)
	s_barrier
	buffer_gl0_inv
	ds_read2_b64 v[203:206], v255 offset1:1
	s_mov_b32 s1, exec_lo
	s_waitcnt lgkmcnt(0)
	buffer_store_dword v203, off, s[16:19], 0 offset:568 ; 4-byte Folded Spill
	buffer_store_dword v204, off, s[16:19], 0 offset:572 ; 4-byte Folded Spill
	;; [unrolled: 1-line block ×4, first 2 shown]
	v_cmpx_lt_u32_e32 9, v0
	s_cbranch_execz .LBB103_91
; %bb.90:
	s_clause 0x3
	buffer_load_dword v203, off, s[16:19], 0 offset:568
	buffer_load_dword v204, off, s[16:19], 0 offset:572
	;; [unrolled: 1-line block ×4, first 2 shown]
	ds_read2_b64 v[211:214], v253 offset0:20 offset1:21
	s_waitcnt vmcnt(0)
	v_mul_f64 v[209:210], v[205:206], v[171:172]
	v_mul_f64 v[171:172], v[203:204], v[171:172]
	v_fma_f64 v[209:210], v[203:204], v[169:170], -v[209:210]
	v_fma_f64 v[171:172], v[205:206], v[169:170], v[171:172]
	s_waitcnt lgkmcnt(0)
	v_mul_f64 v[169:170], v[213:214], v[171:172]
	v_fma_f64 v[169:170], v[211:212], v[209:210], -v[169:170]
	v_mul_f64 v[211:212], v[211:212], v[171:172]
	v_add_f64 v[165:166], v[165:166], -v[169:170]
	v_fma_f64 v[211:212], v[213:214], v[209:210], v[211:212]
	v_add_f64 v[167:168], v[167:168], -v[211:212]
	ds_read2_b64 v[211:214], v253 offset0:22 offset1:23
	s_waitcnt lgkmcnt(0)
	v_mul_f64 v[169:170], v[213:214], v[171:172]
	v_fma_f64 v[169:170], v[211:212], v[209:210], -v[169:170]
	v_mul_f64 v[211:212], v[211:212], v[171:172]
	v_add_f64 v[161:162], v[161:162], -v[169:170]
	v_fma_f64 v[211:212], v[213:214], v[209:210], v[211:212]
	v_add_f64 v[163:164], v[163:164], -v[211:212]
	ds_read2_b64 v[211:214], v253 offset0:24 offset1:25
	;; [unrolled: 8-line block ×41, first 2 shown]
	s_waitcnt lgkmcnt(0)
	v_mul_f64 v[169:170], v[213:214], v[171:172]
	v_fma_f64 v[169:170], v[211:212], v[209:210], -v[169:170]
	v_mul_f64 v[211:212], v[211:212], v[171:172]
	v_add_f64 v[1:2], v[1:2], -v[169:170]
	v_fma_f64 v[211:212], v[213:214], v[209:210], v[211:212]
	v_mov_b32_e32 v169, v209
	v_mov_b32_e32 v170, v210
	v_add_f64 v[3:4], v[3:4], -v[211:212]
.LBB103_91:
	s_or_b32 exec_lo, exec_lo, s1
	s_mov_b32 s2, exec_lo
	s_waitcnt_vscnt null, 0x0
	s_barrier
	buffer_gl0_inv
	v_cmpx_eq_u32_e32 10, v0
	s_cbranch_execz .LBB103_98
; %bb.92:
	ds_write2_b64 v255, v[165:166], v[167:168] offset1:1
	ds_write2_b64 v253, v[161:162], v[163:164] offset0:22 offset1:23
	ds_write2_b64 v253, v[157:158], v[159:160] offset0:24 offset1:25
	;; [unrolled: 1-line block ×41, first 2 shown]
	ds_read2_b64 v[209:212], v255 offset1:1
	s_waitcnt lgkmcnt(0)
	v_cmp_neq_f64_e32 vcc_lo, 0, v[209:210]
	v_cmp_neq_f64_e64 s1, 0, v[211:212]
	s_or_b32 s1, vcc_lo, s1
	s_and_b32 exec_lo, exec_lo, s1
	s_cbranch_execz .LBB103_98
; %bb.93:
	v_cmp_ngt_f64_e64 s1, |v[209:210]|, |v[211:212]|
                                        ; implicit-def: $vgpr213_vgpr214
	s_and_saveexec_b32 s3, s1
	s_xor_b32 s1, exec_lo, s3
                                        ; implicit-def: $vgpr215_vgpr216
	s_cbranch_execz .LBB103_95
; %bb.94:
	v_div_scale_f64 v[213:214], null, v[211:212], v[211:212], v[209:210]
	v_div_scale_f64 v[219:220], vcc_lo, v[209:210], v[211:212], v[209:210]
	v_rcp_f64_e32 v[215:216], v[213:214]
	v_fma_f64 v[217:218], -v[213:214], v[215:216], 1.0
	v_fma_f64 v[215:216], v[215:216], v[217:218], v[215:216]
	v_fma_f64 v[217:218], -v[213:214], v[215:216], 1.0
	v_fma_f64 v[215:216], v[215:216], v[217:218], v[215:216]
	v_mul_f64 v[217:218], v[219:220], v[215:216]
	v_fma_f64 v[213:214], -v[213:214], v[217:218], v[219:220]
	v_div_fmas_f64 v[213:214], v[213:214], v[215:216], v[217:218]
	v_div_fixup_f64 v[213:214], v[213:214], v[211:212], v[209:210]
	v_fma_f64 v[209:210], v[209:210], v[213:214], v[211:212]
	v_div_scale_f64 v[211:212], null, v[209:210], v[209:210], 1.0
	v_rcp_f64_e32 v[215:216], v[211:212]
	v_fma_f64 v[217:218], -v[211:212], v[215:216], 1.0
	v_fma_f64 v[215:216], v[215:216], v[217:218], v[215:216]
	v_fma_f64 v[217:218], -v[211:212], v[215:216], 1.0
	v_fma_f64 v[215:216], v[215:216], v[217:218], v[215:216]
	v_div_scale_f64 v[217:218], vcc_lo, 1.0, v[209:210], 1.0
	v_mul_f64 v[219:220], v[217:218], v[215:216]
	v_fma_f64 v[211:212], -v[211:212], v[219:220], v[217:218]
	v_div_fmas_f64 v[211:212], v[211:212], v[215:216], v[219:220]
	v_div_fixup_f64 v[215:216], v[211:212], v[209:210], 1.0
                                        ; implicit-def: $vgpr209_vgpr210
	v_mul_f64 v[213:214], v[213:214], v[215:216]
	v_xor_b32_e32 v216, 0x80000000, v216
.LBB103_95:
	s_andn2_saveexec_b32 s1, s1
	s_cbranch_execz .LBB103_97
; %bb.96:
	v_div_scale_f64 v[213:214], null, v[209:210], v[209:210], v[211:212]
	v_div_scale_f64 v[219:220], vcc_lo, v[211:212], v[209:210], v[211:212]
	v_rcp_f64_e32 v[215:216], v[213:214]
	v_fma_f64 v[217:218], -v[213:214], v[215:216], 1.0
	v_fma_f64 v[215:216], v[215:216], v[217:218], v[215:216]
	v_fma_f64 v[217:218], -v[213:214], v[215:216], 1.0
	v_fma_f64 v[215:216], v[215:216], v[217:218], v[215:216]
	v_mul_f64 v[217:218], v[219:220], v[215:216]
	v_fma_f64 v[213:214], -v[213:214], v[217:218], v[219:220]
	v_div_fmas_f64 v[213:214], v[213:214], v[215:216], v[217:218]
	v_div_fixup_f64 v[215:216], v[213:214], v[209:210], v[211:212]
	v_fma_f64 v[209:210], v[211:212], v[215:216], v[209:210]
	v_div_scale_f64 v[211:212], null, v[209:210], v[209:210], 1.0
	v_rcp_f64_e32 v[213:214], v[211:212]
	v_fma_f64 v[217:218], -v[211:212], v[213:214], 1.0
	v_fma_f64 v[213:214], v[213:214], v[217:218], v[213:214]
	v_fma_f64 v[217:218], -v[211:212], v[213:214], 1.0
	v_fma_f64 v[213:214], v[213:214], v[217:218], v[213:214]
	v_div_scale_f64 v[217:218], vcc_lo, 1.0, v[209:210], 1.0
	v_mul_f64 v[219:220], v[217:218], v[213:214]
	v_fma_f64 v[211:212], -v[211:212], v[219:220], v[217:218]
	v_div_fmas_f64 v[211:212], v[211:212], v[213:214], v[219:220]
	v_div_fixup_f64 v[213:214], v[211:212], v[209:210], 1.0
	v_mul_f64 v[215:216], v[215:216], -v[213:214]
.LBB103_97:
	s_or_b32 exec_lo, exec_lo, s1
	ds_write2_b64 v255, v[213:214], v[215:216] offset1:1
.LBB103_98:
	s_or_b32 exec_lo, exec_lo, s2
	s_waitcnt lgkmcnt(0)
	s_barrier
	buffer_gl0_inv
	ds_read2_b64 v[203:206], v255 offset1:1
	s_mov_b32 s1, exec_lo
	s_waitcnt lgkmcnt(0)
	buffer_store_dword v203, off, s[16:19], 0 offset:584 ; 4-byte Folded Spill
	buffer_store_dword v204, off, s[16:19], 0 offset:588 ; 4-byte Folded Spill
	;; [unrolled: 1-line block ×4, first 2 shown]
	v_cmpx_lt_u32_e32 10, v0
	s_cbranch_execz .LBB103_100
; %bb.99:
	s_clause 0x3
	buffer_load_dword v203, off, s[16:19], 0 offset:584
	buffer_load_dword v204, off, s[16:19], 0 offset:588
	;; [unrolled: 1-line block ×4, first 2 shown]
	ds_read2_b64 v[211:214], v253 offset0:22 offset1:23
	s_waitcnt vmcnt(0)
	v_mul_f64 v[209:210], v[205:206], v[167:168]
	v_mul_f64 v[167:168], v[203:204], v[167:168]
	v_fma_f64 v[209:210], v[203:204], v[165:166], -v[209:210]
	v_fma_f64 v[167:168], v[205:206], v[165:166], v[167:168]
	s_waitcnt lgkmcnt(0)
	v_mul_f64 v[165:166], v[213:214], v[167:168]
	v_fma_f64 v[165:166], v[211:212], v[209:210], -v[165:166]
	v_mul_f64 v[211:212], v[211:212], v[167:168]
	v_add_f64 v[161:162], v[161:162], -v[165:166]
	v_fma_f64 v[211:212], v[213:214], v[209:210], v[211:212]
	v_add_f64 v[163:164], v[163:164], -v[211:212]
	ds_read2_b64 v[211:214], v253 offset0:24 offset1:25
	s_waitcnt lgkmcnt(0)
	v_mul_f64 v[165:166], v[213:214], v[167:168]
	v_fma_f64 v[165:166], v[211:212], v[209:210], -v[165:166]
	v_mul_f64 v[211:212], v[211:212], v[167:168]
	v_add_f64 v[157:158], v[157:158], -v[165:166]
	v_fma_f64 v[211:212], v[213:214], v[209:210], v[211:212]
	v_add_f64 v[159:160], v[159:160], -v[211:212]
	ds_read2_b64 v[211:214], v253 offset0:26 offset1:27
	s_waitcnt lgkmcnt(0)
	v_mul_f64 v[165:166], v[213:214], v[167:168]
	v_fma_f64 v[165:166], v[211:212], v[209:210], -v[165:166]
	v_mul_f64 v[211:212], v[211:212], v[167:168]
	v_add_f64 v[153:154], v[153:154], -v[165:166]
	v_fma_f64 v[211:212], v[213:214], v[209:210], v[211:212]
	v_add_f64 v[155:156], v[155:156], -v[211:212]
	ds_read2_b64 v[211:214], v253 offset0:28 offset1:29
	s_waitcnt lgkmcnt(0)
	v_mul_f64 v[165:166], v[213:214], v[167:168]
	v_fma_f64 v[165:166], v[211:212], v[209:210], -v[165:166]
	v_mul_f64 v[211:212], v[211:212], v[167:168]
	v_add_f64 v[149:150], v[149:150], -v[165:166]
	v_fma_f64 v[211:212], v[213:214], v[209:210], v[211:212]
	v_add_f64 v[151:152], v[151:152], -v[211:212]
	ds_read2_b64 v[211:214], v253 offset0:30 offset1:31
	s_waitcnt lgkmcnt(0)
	v_mul_f64 v[165:166], v[213:214], v[167:168]
	v_fma_f64 v[165:166], v[211:212], v[209:210], -v[165:166]
	v_mul_f64 v[211:212], v[211:212], v[167:168]
	v_add_f64 v[145:146], v[145:146], -v[165:166]
	v_fma_f64 v[211:212], v[213:214], v[209:210], v[211:212]
	v_add_f64 v[147:148], v[147:148], -v[211:212]
	ds_read2_b64 v[211:214], v253 offset0:32 offset1:33
	s_waitcnt lgkmcnt(0)
	v_mul_f64 v[165:166], v[213:214], v[167:168]
	v_fma_f64 v[165:166], v[211:212], v[209:210], -v[165:166]
	v_mul_f64 v[211:212], v[211:212], v[167:168]
	v_add_f64 v[141:142], v[141:142], -v[165:166]
	v_fma_f64 v[211:212], v[213:214], v[209:210], v[211:212]
	v_add_f64 v[143:144], v[143:144], -v[211:212]
	ds_read2_b64 v[211:214], v253 offset0:34 offset1:35
	s_waitcnt lgkmcnt(0)
	v_mul_f64 v[165:166], v[213:214], v[167:168]
	v_fma_f64 v[165:166], v[211:212], v[209:210], -v[165:166]
	v_mul_f64 v[211:212], v[211:212], v[167:168]
	v_add_f64 v[137:138], v[137:138], -v[165:166]
	v_fma_f64 v[211:212], v[213:214], v[209:210], v[211:212]
	v_add_f64 v[139:140], v[139:140], -v[211:212]
	ds_read2_b64 v[211:214], v253 offset0:36 offset1:37
	s_waitcnt lgkmcnt(0)
	v_mul_f64 v[165:166], v[213:214], v[167:168]
	v_fma_f64 v[165:166], v[211:212], v[209:210], -v[165:166]
	v_mul_f64 v[211:212], v[211:212], v[167:168]
	v_add_f64 v[133:134], v[133:134], -v[165:166]
	v_fma_f64 v[211:212], v[213:214], v[209:210], v[211:212]
	v_add_f64 v[135:136], v[135:136], -v[211:212]
	ds_read2_b64 v[211:214], v253 offset0:38 offset1:39
	s_waitcnt lgkmcnt(0)
	v_mul_f64 v[165:166], v[213:214], v[167:168]
	v_fma_f64 v[165:166], v[211:212], v[209:210], -v[165:166]
	v_mul_f64 v[211:212], v[211:212], v[167:168]
	v_add_f64 v[129:130], v[129:130], -v[165:166]
	v_fma_f64 v[211:212], v[213:214], v[209:210], v[211:212]
	v_add_f64 v[131:132], v[131:132], -v[211:212]
	ds_read2_b64 v[211:214], v253 offset0:40 offset1:41
	s_waitcnt lgkmcnt(0)
	v_mul_f64 v[165:166], v[213:214], v[167:168]
	v_fma_f64 v[165:166], v[211:212], v[209:210], -v[165:166]
	v_mul_f64 v[211:212], v[211:212], v[167:168]
	v_add_f64 v[125:126], v[125:126], -v[165:166]
	v_fma_f64 v[211:212], v[213:214], v[209:210], v[211:212]
	v_add_f64 v[127:128], v[127:128], -v[211:212]
	ds_read2_b64 v[211:214], v253 offset0:42 offset1:43
	s_waitcnt lgkmcnt(0)
	v_mul_f64 v[165:166], v[213:214], v[167:168]
	v_fma_f64 v[165:166], v[211:212], v[209:210], -v[165:166]
	v_mul_f64 v[211:212], v[211:212], v[167:168]
	v_add_f64 v[121:122], v[121:122], -v[165:166]
	v_fma_f64 v[211:212], v[213:214], v[209:210], v[211:212]
	v_add_f64 v[123:124], v[123:124], -v[211:212]
	ds_read2_b64 v[211:214], v253 offset0:44 offset1:45
	s_waitcnt lgkmcnt(0)
	v_mul_f64 v[165:166], v[213:214], v[167:168]
	v_fma_f64 v[165:166], v[211:212], v[209:210], -v[165:166]
	v_mul_f64 v[211:212], v[211:212], v[167:168]
	v_add_f64 v[117:118], v[117:118], -v[165:166]
	v_fma_f64 v[211:212], v[213:214], v[209:210], v[211:212]
	v_add_f64 v[119:120], v[119:120], -v[211:212]
	ds_read2_b64 v[211:214], v253 offset0:46 offset1:47
	s_waitcnt lgkmcnt(0)
	v_mul_f64 v[165:166], v[213:214], v[167:168]
	v_fma_f64 v[165:166], v[211:212], v[209:210], -v[165:166]
	v_mul_f64 v[211:212], v[211:212], v[167:168]
	v_add_f64 v[113:114], v[113:114], -v[165:166]
	v_fma_f64 v[211:212], v[213:214], v[209:210], v[211:212]
	v_add_f64 v[115:116], v[115:116], -v[211:212]
	ds_read2_b64 v[211:214], v253 offset0:48 offset1:49
	s_waitcnt lgkmcnt(0)
	v_mul_f64 v[165:166], v[213:214], v[167:168]
	v_fma_f64 v[165:166], v[211:212], v[209:210], -v[165:166]
	v_mul_f64 v[211:212], v[211:212], v[167:168]
	v_add_f64 v[109:110], v[109:110], -v[165:166]
	v_fma_f64 v[211:212], v[213:214], v[209:210], v[211:212]
	v_add_f64 v[111:112], v[111:112], -v[211:212]
	ds_read2_b64 v[211:214], v253 offset0:50 offset1:51
	s_waitcnt lgkmcnt(0)
	v_mul_f64 v[165:166], v[213:214], v[167:168]
	v_fma_f64 v[165:166], v[211:212], v[209:210], -v[165:166]
	v_mul_f64 v[211:212], v[211:212], v[167:168]
	v_add_f64 v[105:106], v[105:106], -v[165:166]
	v_fma_f64 v[211:212], v[213:214], v[209:210], v[211:212]
	v_add_f64 v[107:108], v[107:108], -v[211:212]
	ds_read2_b64 v[211:214], v253 offset0:52 offset1:53
	s_waitcnt lgkmcnt(0)
	v_mul_f64 v[165:166], v[213:214], v[167:168]
	v_fma_f64 v[165:166], v[211:212], v[209:210], -v[165:166]
	v_mul_f64 v[211:212], v[211:212], v[167:168]
	v_add_f64 v[101:102], v[101:102], -v[165:166]
	v_fma_f64 v[211:212], v[213:214], v[209:210], v[211:212]
	v_add_f64 v[103:104], v[103:104], -v[211:212]
	ds_read2_b64 v[211:214], v253 offset0:54 offset1:55
	s_waitcnt lgkmcnt(0)
	v_mul_f64 v[165:166], v[213:214], v[167:168]
	v_fma_f64 v[165:166], v[211:212], v[209:210], -v[165:166]
	v_mul_f64 v[211:212], v[211:212], v[167:168]
	v_add_f64 v[97:98], v[97:98], -v[165:166]
	v_fma_f64 v[211:212], v[213:214], v[209:210], v[211:212]
	v_add_f64 v[99:100], v[99:100], -v[211:212]
	ds_read2_b64 v[211:214], v253 offset0:56 offset1:57
	s_waitcnt lgkmcnt(0)
	v_mul_f64 v[165:166], v[213:214], v[167:168]
	v_fma_f64 v[165:166], v[211:212], v[209:210], -v[165:166]
	v_mul_f64 v[211:212], v[211:212], v[167:168]
	v_add_f64 v[93:94], v[93:94], -v[165:166]
	v_fma_f64 v[211:212], v[213:214], v[209:210], v[211:212]
	v_add_f64 v[95:96], v[95:96], -v[211:212]
	ds_read2_b64 v[211:214], v253 offset0:58 offset1:59
	s_waitcnt lgkmcnt(0)
	v_mul_f64 v[165:166], v[213:214], v[167:168]
	v_fma_f64 v[165:166], v[211:212], v[209:210], -v[165:166]
	v_mul_f64 v[211:212], v[211:212], v[167:168]
	v_add_f64 v[89:90], v[89:90], -v[165:166]
	v_fma_f64 v[211:212], v[213:214], v[209:210], v[211:212]
	v_add_f64 v[91:92], v[91:92], -v[211:212]
	ds_read2_b64 v[211:214], v253 offset0:60 offset1:61
	s_waitcnt lgkmcnt(0)
	v_mul_f64 v[165:166], v[213:214], v[167:168]
	v_fma_f64 v[165:166], v[211:212], v[209:210], -v[165:166]
	v_mul_f64 v[211:212], v[211:212], v[167:168]
	v_add_f64 v[85:86], v[85:86], -v[165:166]
	v_fma_f64 v[211:212], v[213:214], v[209:210], v[211:212]
	v_add_f64 v[87:88], v[87:88], -v[211:212]
	ds_read2_b64 v[211:214], v253 offset0:62 offset1:63
	s_waitcnt lgkmcnt(0)
	v_mul_f64 v[165:166], v[213:214], v[167:168]
	v_fma_f64 v[165:166], v[211:212], v[209:210], -v[165:166]
	v_mul_f64 v[211:212], v[211:212], v[167:168]
	v_add_f64 v[81:82], v[81:82], -v[165:166]
	v_fma_f64 v[211:212], v[213:214], v[209:210], v[211:212]
	v_add_f64 v[83:84], v[83:84], -v[211:212]
	ds_read2_b64 v[211:214], v253 offset0:64 offset1:65
	s_waitcnt lgkmcnt(0)
	v_mul_f64 v[165:166], v[213:214], v[167:168]
	v_fma_f64 v[165:166], v[211:212], v[209:210], -v[165:166]
	v_mul_f64 v[211:212], v[211:212], v[167:168]
	v_add_f64 v[77:78], v[77:78], -v[165:166]
	v_fma_f64 v[211:212], v[213:214], v[209:210], v[211:212]
	v_add_f64 v[79:80], v[79:80], -v[211:212]
	ds_read2_b64 v[211:214], v253 offset0:66 offset1:67
	s_waitcnt lgkmcnt(0)
	v_mul_f64 v[165:166], v[213:214], v[167:168]
	v_fma_f64 v[165:166], v[211:212], v[209:210], -v[165:166]
	v_mul_f64 v[211:212], v[211:212], v[167:168]
	v_add_f64 v[73:74], v[73:74], -v[165:166]
	v_fma_f64 v[211:212], v[213:214], v[209:210], v[211:212]
	v_add_f64 v[75:76], v[75:76], -v[211:212]
	ds_read2_b64 v[211:214], v253 offset0:68 offset1:69
	s_waitcnt lgkmcnt(0)
	v_mul_f64 v[165:166], v[213:214], v[167:168]
	v_fma_f64 v[165:166], v[211:212], v[209:210], -v[165:166]
	v_mul_f64 v[211:212], v[211:212], v[167:168]
	v_add_f64 v[69:70], v[69:70], -v[165:166]
	v_fma_f64 v[211:212], v[213:214], v[209:210], v[211:212]
	v_add_f64 v[71:72], v[71:72], -v[211:212]
	ds_read2_b64 v[211:214], v253 offset0:70 offset1:71
	s_waitcnt lgkmcnt(0)
	v_mul_f64 v[165:166], v[213:214], v[167:168]
	v_fma_f64 v[165:166], v[211:212], v[209:210], -v[165:166]
	v_mul_f64 v[211:212], v[211:212], v[167:168]
	v_add_f64 v[65:66], v[65:66], -v[165:166]
	v_fma_f64 v[211:212], v[213:214], v[209:210], v[211:212]
	v_add_f64 v[67:68], v[67:68], -v[211:212]
	ds_read2_b64 v[211:214], v253 offset0:72 offset1:73
	s_waitcnt lgkmcnt(0)
	v_mul_f64 v[165:166], v[213:214], v[167:168]
	v_fma_f64 v[165:166], v[211:212], v[209:210], -v[165:166]
	v_mul_f64 v[211:212], v[211:212], v[167:168]
	v_add_f64 v[61:62], v[61:62], -v[165:166]
	v_fma_f64 v[211:212], v[213:214], v[209:210], v[211:212]
	v_add_f64 v[63:64], v[63:64], -v[211:212]
	ds_read2_b64 v[211:214], v253 offset0:74 offset1:75
	s_waitcnt lgkmcnt(0)
	v_mul_f64 v[165:166], v[213:214], v[167:168]
	v_fma_f64 v[165:166], v[211:212], v[209:210], -v[165:166]
	v_mul_f64 v[211:212], v[211:212], v[167:168]
	v_add_f64 v[57:58], v[57:58], -v[165:166]
	v_fma_f64 v[211:212], v[213:214], v[209:210], v[211:212]
	v_add_f64 v[59:60], v[59:60], -v[211:212]
	ds_read2_b64 v[211:214], v253 offset0:76 offset1:77
	s_waitcnt lgkmcnt(0)
	v_mul_f64 v[165:166], v[213:214], v[167:168]
	v_fma_f64 v[165:166], v[211:212], v[209:210], -v[165:166]
	v_mul_f64 v[211:212], v[211:212], v[167:168]
	v_add_f64 v[53:54], v[53:54], -v[165:166]
	v_fma_f64 v[211:212], v[213:214], v[209:210], v[211:212]
	v_add_f64 v[55:56], v[55:56], -v[211:212]
	ds_read2_b64 v[211:214], v253 offset0:78 offset1:79
	s_waitcnt lgkmcnt(0)
	v_mul_f64 v[165:166], v[213:214], v[167:168]
	v_fma_f64 v[165:166], v[211:212], v[209:210], -v[165:166]
	v_mul_f64 v[211:212], v[211:212], v[167:168]
	v_add_f64 v[49:50], v[49:50], -v[165:166]
	v_fma_f64 v[211:212], v[213:214], v[209:210], v[211:212]
	v_add_f64 v[51:52], v[51:52], -v[211:212]
	ds_read2_b64 v[211:214], v253 offset0:80 offset1:81
	s_waitcnt lgkmcnt(0)
	v_mul_f64 v[165:166], v[213:214], v[167:168]
	v_fma_f64 v[165:166], v[211:212], v[209:210], -v[165:166]
	v_mul_f64 v[211:212], v[211:212], v[167:168]
	v_add_f64 v[45:46], v[45:46], -v[165:166]
	v_fma_f64 v[211:212], v[213:214], v[209:210], v[211:212]
	v_add_f64 v[47:48], v[47:48], -v[211:212]
	ds_read2_b64 v[211:214], v253 offset0:82 offset1:83
	s_waitcnt lgkmcnt(0)
	v_mul_f64 v[165:166], v[213:214], v[167:168]
	v_fma_f64 v[165:166], v[211:212], v[209:210], -v[165:166]
	v_mul_f64 v[211:212], v[211:212], v[167:168]
	v_add_f64 v[41:42], v[41:42], -v[165:166]
	v_fma_f64 v[211:212], v[213:214], v[209:210], v[211:212]
	v_add_f64 v[43:44], v[43:44], -v[211:212]
	ds_read2_b64 v[211:214], v253 offset0:84 offset1:85
	s_waitcnt lgkmcnt(0)
	v_mul_f64 v[165:166], v[213:214], v[167:168]
	v_fma_f64 v[165:166], v[211:212], v[209:210], -v[165:166]
	v_mul_f64 v[211:212], v[211:212], v[167:168]
	v_add_f64 v[37:38], v[37:38], -v[165:166]
	v_fma_f64 v[211:212], v[213:214], v[209:210], v[211:212]
	v_add_f64 v[39:40], v[39:40], -v[211:212]
	ds_read2_b64 v[211:214], v253 offset0:86 offset1:87
	s_waitcnt lgkmcnt(0)
	v_mul_f64 v[165:166], v[213:214], v[167:168]
	v_fma_f64 v[165:166], v[211:212], v[209:210], -v[165:166]
	v_mul_f64 v[211:212], v[211:212], v[167:168]
	v_add_f64 v[33:34], v[33:34], -v[165:166]
	v_fma_f64 v[211:212], v[213:214], v[209:210], v[211:212]
	v_add_f64 v[35:36], v[35:36], -v[211:212]
	ds_read2_b64 v[211:214], v253 offset0:88 offset1:89
	s_waitcnt lgkmcnt(0)
	v_mul_f64 v[165:166], v[213:214], v[167:168]
	v_fma_f64 v[165:166], v[211:212], v[209:210], -v[165:166]
	v_mul_f64 v[211:212], v[211:212], v[167:168]
	v_add_f64 v[29:30], v[29:30], -v[165:166]
	v_fma_f64 v[211:212], v[213:214], v[209:210], v[211:212]
	v_add_f64 v[31:32], v[31:32], -v[211:212]
	ds_read2_b64 v[211:214], v253 offset0:90 offset1:91
	s_waitcnt lgkmcnt(0)
	v_mul_f64 v[165:166], v[213:214], v[167:168]
	v_fma_f64 v[165:166], v[211:212], v[209:210], -v[165:166]
	v_mul_f64 v[211:212], v[211:212], v[167:168]
	v_add_f64 v[25:26], v[25:26], -v[165:166]
	v_fma_f64 v[211:212], v[213:214], v[209:210], v[211:212]
	v_add_f64 v[27:28], v[27:28], -v[211:212]
	ds_read2_b64 v[211:214], v253 offset0:92 offset1:93
	s_waitcnt lgkmcnt(0)
	v_mul_f64 v[165:166], v[213:214], v[167:168]
	v_fma_f64 v[165:166], v[211:212], v[209:210], -v[165:166]
	v_mul_f64 v[211:212], v[211:212], v[167:168]
	v_add_f64 v[21:22], v[21:22], -v[165:166]
	v_fma_f64 v[211:212], v[213:214], v[209:210], v[211:212]
	v_add_f64 v[23:24], v[23:24], -v[211:212]
	ds_read2_b64 v[211:214], v253 offset0:94 offset1:95
	s_waitcnt lgkmcnt(0)
	v_mul_f64 v[165:166], v[213:214], v[167:168]
	v_fma_f64 v[165:166], v[211:212], v[209:210], -v[165:166]
	v_mul_f64 v[211:212], v[211:212], v[167:168]
	v_add_f64 v[17:18], v[17:18], -v[165:166]
	v_fma_f64 v[211:212], v[213:214], v[209:210], v[211:212]
	v_add_f64 v[19:20], v[19:20], -v[211:212]
	ds_read2_b64 v[211:214], v253 offset0:96 offset1:97
	s_waitcnt lgkmcnt(0)
	v_mul_f64 v[165:166], v[213:214], v[167:168]
	v_fma_f64 v[165:166], v[211:212], v[209:210], -v[165:166]
	v_mul_f64 v[211:212], v[211:212], v[167:168]
	v_add_f64 v[13:14], v[13:14], -v[165:166]
	v_fma_f64 v[211:212], v[213:214], v[209:210], v[211:212]
	v_add_f64 v[15:16], v[15:16], -v[211:212]
	ds_read2_b64 v[211:214], v253 offset0:98 offset1:99
	s_waitcnt lgkmcnt(0)
	v_mul_f64 v[165:166], v[213:214], v[167:168]
	v_fma_f64 v[165:166], v[211:212], v[209:210], -v[165:166]
	v_mul_f64 v[211:212], v[211:212], v[167:168]
	v_add_f64 v[9:10], v[9:10], -v[165:166]
	v_fma_f64 v[211:212], v[213:214], v[209:210], v[211:212]
	v_add_f64 v[11:12], v[11:12], -v[211:212]
	ds_read2_b64 v[211:214], v253 offset0:100 offset1:101
	s_waitcnt lgkmcnt(0)
	v_mul_f64 v[165:166], v[213:214], v[167:168]
	v_fma_f64 v[165:166], v[211:212], v[209:210], -v[165:166]
	v_mul_f64 v[211:212], v[211:212], v[167:168]
	v_add_f64 v[5:6], v[5:6], -v[165:166]
	v_fma_f64 v[211:212], v[213:214], v[209:210], v[211:212]
	v_add_f64 v[7:8], v[7:8], -v[211:212]
	ds_read2_b64 v[211:214], v253 offset0:102 offset1:103
	s_waitcnt lgkmcnt(0)
	v_mul_f64 v[165:166], v[213:214], v[167:168]
	v_fma_f64 v[165:166], v[211:212], v[209:210], -v[165:166]
	v_mul_f64 v[211:212], v[211:212], v[167:168]
	v_add_f64 v[1:2], v[1:2], -v[165:166]
	v_fma_f64 v[211:212], v[213:214], v[209:210], v[211:212]
	v_mov_b32_e32 v165, v209
	v_mov_b32_e32 v166, v210
	v_add_f64 v[3:4], v[3:4], -v[211:212]
.LBB103_100:
	s_or_b32 exec_lo, exec_lo, s1
	s_mov_b32 s2, exec_lo
	s_waitcnt_vscnt null, 0x0
	s_barrier
	buffer_gl0_inv
	v_cmpx_eq_u32_e32 11, v0
	s_cbranch_execz .LBB103_107
; %bb.101:
	ds_write2_b64 v255, v[161:162], v[163:164] offset1:1
	ds_write2_b64 v253, v[157:158], v[159:160] offset0:24 offset1:25
	ds_write2_b64 v253, v[153:154], v[155:156] offset0:26 offset1:27
	;; [unrolled: 1-line block ×40, first 2 shown]
	ds_read2_b64 v[209:212], v255 offset1:1
	s_waitcnt lgkmcnt(0)
	v_cmp_neq_f64_e32 vcc_lo, 0, v[209:210]
	v_cmp_neq_f64_e64 s1, 0, v[211:212]
	s_or_b32 s1, vcc_lo, s1
	s_and_b32 exec_lo, exec_lo, s1
	s_cbranch_execz .LBB103_107
; %bb.102:
	v_cmp_ngt_f64_e64 s1, |v[209:210]|, |v[211:212]|
                                        ; implicit-def: $vgpr213_vgpr214
	s_and_saveexec_b32 s3, s1
	s_xor_b32 s1, exec_lo, s3
                                        ; implicit-def: $vgpr215_vgpr216
	s_cbranch_execz .LBB103_104
; %bb.103:
	v_div_scale_f64 v[213:214], null, v[211:212], v[211:212], v[209:210]
	v_div_scale_f64 v[219:220], vcc_lo, v[209:210], v[211:212], v[209:210]
	v_rcp_f64_e32 v[215:216], v[213:214]
	v_fma_f64 v[217:218], -v[213:214], v[215:216], 1.0
	v_fma_f64 v[215:216], v[215:216], v[217:218], v[215:216]
	v_fma_f64 v[217:218], -v[213:214], v[215:216], 1.0
	v_fma_f64 v[215:216], v[215:216], v[217:218], v[215:216]
	v_mul_f64 v[217:218], v[219:220], v[215:216]
	v_fma_f64 v[213:214], -v[213:214], v[217:218], v[219:220]
	v_div_fmas_f64 v[213:214], v[213:214], v[215:216], v[217:218]
	v_div_fixup_f64 v[213:214], v[213:214], v[211:212], v[209:210]
	v_fma_f64 v[209:210], v[209:210], v[213:214], v[211:212]
	v_div_scale_f64 v[211:212], null, v[209:210], v[209:210], 1.0
	v_rcp_f64_e32 v[215:216], v[211:212]
	v_fma_f64 v[217:218], -v[211:212], v[215:216], 1.0
	v_fma_f64 v[215:216], v[215:216], v[217:218], v[215:216]
	v_fma_f64 v[217:218], -v[211:212], v[215:216], 1.0
	v_fma_f64 v[215:216], v[215:216], v[217:218], v[215:216]
	v_div_scale_f64 v[217:218], vcc_lo, 1.0, v[209:210], 1.0
	v_mul_f64 v[219:220], v[217:218], v[215:216]
	v_fma_f64 v[211:212], -v[211:212], v[219:220], v[217:218]
	v_div_fmas_f64 v[211:212], v[211:212], v[215:216], v[219:220]
	v_div_fixup_f64 v[215:216], v[211:212], v[209:210], 1.0
                                        ; implicit-def: $vgpr209_vgpr210
	v_mul_f64 v[213:214], v[213:214], v[215:216]
	v_xor_b32_e32 v216, 0x80000000, v216
.LBB103_104:
	s_andn2_saveexec_b32 s1, s1
	s_cbranch_execz .LBB103_106
; %bb.105:
	v_div_scale_f64 v[213:214], null, v[209:210], v[209:210], v[211:212]
	v_div_scale_f64 v[219:220], vcc_lo, v[211:212], v[209:210], v[211:212]
	v_rcp_f64_e32 v[215:216], v[213:214]
	v_fma_f64 v[217:218], -v[213:214], v[215:216], 1.0
	v_fma_f64 v[215:216], v[215:216], v[217:218], v[215:216]
	v_fma_f64 v[217:218], -v[213:214], v[215:216], 1.0
	v_fma_f64 v[215:216], v[215:216], v[217:218], v[215:216]
	v_mul_f64 v[217:218], v[219:220], v[215:216]
	v_fma_f64 v[213:214], -v[213:214], v[217:218], v[219:220]
	v_div_fmas_f64 v[213:214], v[213:214], v[215:216], v[217:218]
	v_div_fixup_f64 v[215:216], v[213:214], v[209:210], v[211:212]
	v_fma_f64 v[209:210], v[211:212], v[215:216], v[209:210]
	v_div_scale_f64 v[211:212], null, v[209:210], v[209:210], 1.0
	v_rcp_f64_e32 v[213:214], v[211:212]
	v_fma_f64 v[217:218], -v[211:212], v[213:214], 1.0
	v_fma_f64 v[213:214], v[213:214], v[217:218], v[213:214]
	v_fma_f64 v[217:218], -v[211:212], v[213:214], 1.0
	v_fma_f64 v[213:214], v[213:214], v[217:218], v[213:214]
	v_div_scale_f64 v[217:218], vcc_lo, 1.0, v[209:210], 1.0
	v_mul_f64 v[219:220], v[217:218], v[213:214]
	v_fma_f64 v[211:212], -v[211:212], v[219:220], v[217:218]
	v_div_fmas_f64 v[211:212], v[211:212], v[213:214], v[219:220]
	v_div_fixup_f64 v[213:214], v[211:212], v[209:210], 1.0
	v_mul_f64 v[215:216], v[215:216], -v[213:214]
.LBB103_106:
	s_or_b32 exec_lo, exec_lo, s1
	ds_write2_b64 v255, v[213:214], v[215:216] offset1:1
.LBB103_107:
	s_or_b32 exec_lo, exec_lo, s2
	s_waitcnt lgkmcnt(0)
	s_barrier
	buffer_gl0_inv
	ds_read2_b64 v[203:206], v255 offset1:1
	s_mov_b32 s1, exec_lo
	s_waitcnt lgkmcnt(0)
	buffer_store_dword v203, off, s[16:19], 0 offset:600 ; 4-byte Folded Spill
	buffer_store_dword v204, off, s[16:19], 0 offset:604 ; 4-byte Folded Spill
	;; [unrolled: 1-line block ×4, first 2 shown]
	v_cmpx_lt_u32_e32 11, v0
	s_cbranch_execz .LBB103_109
; %bb.108:
	s_clause 0x3
	buffer_load_dword v203, off, s[16:19], 0 offset:600
	buffer_load_dword v204, off, s[16:19], 0 offset:604
	;; [unrolled: 1-line block ×4, first 2 shown]
	ds_read2_b64 v[211:214], v253 offset0:24 offset1:25
	s_waitcnt vmcnt(0)
	v_mul_f64 v[209:210], v[205:206], v[163:164]
	v_mul_f64 v[163:164], v[203:204], v[163:164]
	v_fma_f64 v[209:210], v[203:204], v[161:162], -v[209:210]
	v_fma_f64 v[163:164], v[205:206], v[161:162], v[163:164]
	s_waitcnt lgkmcnt(0)
	v_mul_f64 v[161:162], v[213:214], v[163:164]
	v_fma_f64 v[161:162], v[211:212], v[209:210], -v[161:162]
	v_mul_f64 v[211:212], v[211:212], v[163:164]
	v_add_f64 v[157:158], v[157:158], -v[161:162]
	v_fma_f64 v[211:212], v[213:214], v[209:210], v[211:212]
	v_add_f64 v[159:160], v[159:160], -v[211:212]
	ds_read2_b64 v[211:214], v253 offset0:26 offset1:27
	s_waitcnt lgkmcnt(0)
	v_mul_f64 v[161:162], v[213:214], v[163:164]
	v_fma_f64 v[161:162], v[211:212], v[209:210], -v[161:162]
	v_mul_f64 v[211:212], v[211:212], v[163:164]
	v_add_f64 v[153:154], v[153:154], -v[161:162]
	v_fma_f64 v[211:212], v[213:214], v[209:210], v[211:212]
	v_add_f64 v[155:156], v[155:156], -v[211:212]
	ds_read2_b64 v[211:214], v253 offset0:28 offset1:29
	;; [unrolled: 8-line block ×39, first 2 shown]
	s_waitcnt lgkmcnt(0)
	v_mul_f64 v[161:162], v[213:214], v[163:164]
	v_fma_f64 v[161:162], v[211:212], v[209:210], -v[161:162]
	v_mul_f64 v[211:212], v[211:212], v[163:164]
	v_add_f64 v[1:2], v[1:2], -v[161:162]
	v_fma_f64 v[211:212], v[213:214], v[209:210], v[211:212]
	v_mov_b32_e32 v161, v209
	v_mov_b32_e32 v162, v210
	v_add_f64 v[3:4], v[3:4], -v[211:212]
.LBB103_109:
	s_or_b32 exec_lo, exec_lo, s1
	s_mov_b32 s2, exec_lo
	s_waitcnt_vscnt null, 0x0
	s_barrier
	buffer_gl0_inv
	v_cmpx_eq_u32_e32 12, v0
	s_cbranch_execz .LBB103_116
; %bb.110:
	ds_write2_b64 v255, v[157:158], v[159:160] offset1:1
	ds_write2_b64 v253, v[153:154], v[155:156] offset0:26 offset1:27
	ds_write2_b64 v253, v[149:150], v[151:152] offset0:28 offset1:29
	;; [unrolled: 1-line block ×39, first 2 shown]
	ds_read2_b64 v[209:212], v255 offset1:1
	s_waitcnt lgkmcnt(0)
	v_cmp_neq_f64_e32 vcc_lo, 0, v[209:210]
	v_cmp_neq_f64_e64 s1, 0, v[211:212]
	s_or_b32 s1, vcc_lo, s1
	s_and_b32 exec_lo, exec_lo, s1
	s_cbranch_execz .LBB103_116
; %bb.111:
	v_cmp_ngt_f64_e64 s1, |v[209:210]|, |v[211:212]|
                                        ; implicit-def: $vgpr213_vgpr214
	s_and_saveexec_b32 s3, s1
	s_xor_b32 s1, exec_lo, s3
                                        ; implicit-def: $vgpr215_vgpr216
	s_cbranch_execz .LBB103_113
; %bb.112:
	v_div_scale_f64 v[213:214], null, v[211:212], v[211:212], v[209:210]
	v_div_scale_f64 v[219:220], vcc_lo, v[209:210], v[211:212], v[209:210]
	v_rcp_f64_e32 v[215:216], v[213:214]
	v_fma_f64 v[217:218], -v[213:214], v[215:216], 1.0
	v_fma_f64 v[215:216], v[215:216], v[217:218], v[215:216]
	v_fma_f64 v[217:218], -v[213:214], v[215:216], 1.0
	v_fma_f64 v[215:216], v[215:216], v[217:218], v[215:216]
	v_mul_f64 v[217:218], v[219:220], v[215:216]
	v_fma_f64 v[213:214], -v[213:214], v[217:218], v[219:220]
	v_div_fmas_f64 v[213:214], v[213:214], v[215:216], v[217:218]
	v_div_fixup_f64 v[213:214], v[213:214], v[211:212], v[209:210]
	v_fma_f64 v[209:210], v[209:210], v[213:214], v[211:212]
	v_div_scale_f64 v[211:212], null, v[209:210], v[209:210], 1.0
	v_rcp_f64_e32 v[215:216], v[211:212]
	v_fma_f64 v[217:218], -v[211:212], v[215:216], 1.0
	v_fma_f64 v[215:216], v[215:216], v[217:218], v[215:216]
	v_fma_f64 v[217:218], -v[211:212], v[215:216], 1.0
	v_fma_f64 v[215:216], v[215:216], v[217:218], v[215:216]
	v_div_scale_f64 v[217:218], vcc_lo, 1.0, v[209:210], 1.0
	v_mul_f64 v[219:220], v[217:218], v[215:216]
	v_fma_f64 v[211:212], -v[211:212], v[219:220], v[217:218]
	v_div_fmas_f64 v[211:212], v[211:212], v[215:216], v[219:220]
	v_div_fixup_f64 v[215:216], v[211:212], v[209:210], 1.0
                                        ; implicit-def: $vgpr209_vgpr210
	v_mul_f64 v[213:214], v[213:214], v[215:216]
	v_xor_b32_e32 v216, 0x80000000, v216
.LBB103_113:
	s_andn2_saveexec_b32 s1, s1
	s_cbranch_execz .LBB103_115
; %bb.114:
	v_div_scale_f64 v[213:214], null, v[209:210], v[209:210], v[211:212]
	v_div_scale_f64 v[219:220], vcc_lo, v[211:212], v[209:210], v[211:212]
	v_rcp_f64_e32 v[215:216], v[213:214]
	v_fma_f64 v[217:218], -v[213:214], v[215:216], 1.0
	v_fma_f64 v[215:216], v[215:216], v[217:218], v[215:216]
	v_fma_f64 v[217:218], -v[213:214], v[215:216], 1.0
	v_fma_f64 v[215:216], v[215:216], v[217:218], v[215:216]
	v_mul_f64 v[217:218], v[219:220], v[215:216]
	v_fma_f64 v[213:214], -v[213:214], v[217:218], v[219:220]
	v_div_fmas_f64 v[213:214], v[213:214], v[215:216], v[217:218]
	v_div_fixup_f64 v[215:216], v[213:214], v[209:210], v[211:212]
	v_fma_f64 v[209:210], v[211:212], v[215:216], v[209:210]
	v_div_scale_f64 v[211:212], null, v[209:210], v[209:210], 1.0
	v_rcp_f64_e32 v[213:214], v[211:212]
	v_fma_f64 v[217:218], -v[211:212], v[213:214], 1.0
	v_fma_f64 v[213:214], v[213:214], v[217:218], v[213:214]
	v_fma_f64 v[217:218], -v[211:212], v[213:214], 1.0
	v_fma_f64 v[213:214], v[213:214], v[217:218], v[213:214]
	v_div_scale_f64 v[217:218], vcc_lo, 1.0, v[209:210], 1.0
	v_mul_f64 v[219:220], v[217:218], v[213:214]
	v_fma_f64 v[211:212], -v[211:212], v[219:220], v[217:218]
	v_div_fmas_f64 v[211:212], v[211:212], v[213:214], v[219:220]
	v_div_fixup_f64 v[213:214], v[211:212], v[209:210], 1.0
	v_mul_f64 v[215:216], v[215:216], -v[213:214]
.LBB103_115:
	s_or_b32 exec_lo, exec_lo, s1
	ds_write2_b64 v255, v[213:214], v[215:216] offset1:1
.LBB103_116:
	s_or_b32 exec_lo, exec_lo, s2
	s_waitcnt lgkmcnt(0)
	s_barrier
	buffer_gl0_inv
	ds_read2_b64 v[203:206], v255 offset1:1
	s_mov_b32 s1, exec_lo
	s_waitcnt lgkmcnt(0)
	buffer_store_dword v203, off, s[16:19], 0 offset:616 ; 4-byte Folded Spill
	buffer_store_dword v204, off, s[16:19], 0 offset:620 ; 4-byte Folded Spill
	;; [unrolled: 1-line block ×4, first 2 shown]
	v_cmpx_lt_u32_e32 12, v0
	s_cbranch_execz .LBB103_118
; %bb.117:
	s_clause 0x3
	buffer_load_dword v203, off, s[16:19], 0 offset:616
	buffer_load_dword v204, off, s[16:19], 0 offset:620
	;; [unrolled: 1-line block ×4, first 2 shown]
	ds_read2_b64 v[211:214], v253 offset0:26 offset1:27
	s_waitcnt vmcnt(0)
	v_mul_f64 v[209:210], v[205:206], v[159:160]
	v_mul_f64 v[159:160], v[203:204], v[159:160]
	v_fma_f64 v[209:210], v[203:204], v[157:158], -v[209:210]
	v_fma_f64 v[159:160], v[205:206], v[157:158], v[159:160]
	s_waitcnt lgkmcnt(0)
	v_mul_f64 v[157:158], v[213:214], v[159:160]
	v_fma_f64 v[157:158], v[211:212], v[209:210], -v[157:158]
	v_mul_f64 v[211:212], v[211:212], v[159:160]
	v_add_f64 v[153:154], v[153:154], -v[157:158]
	v_fma_f64 v[211:212], v[213:214], v[209:210], v[211:212]
	v_add_f64 v[155:156], v[155:156], -v[211:212]
	ds_read2_b64 v[211:214], v253 offset0:28 offset1:29
	s_waitcnt lgkmcnt(0)
	v_mul_f64 v[157:158], v[213:214], v[159:160]
	v_fma_f64 v[157:158], v[211:212], v[209:210], -v[157:158]
	v_mul_f64 v[211:212], v[211:212], v[159:160]
	v_add_f64 v[149:150], v[149:150], -v[157:158]
	v_fma_f64 v[211:212], v[213:214], v[209:210], v[211:212]
	v_add_f64 v[151:152], v[151:152], -v[211:212]
	ds_read2_b64 v[211:214], v253 offset0:30 offset1:31
	;; [unrolled: 8-line block ×38, first 2 shown]
	s_waitcnt lgkmcnt(0)
	v_mul_f64 v[157:158], v[213:214], v[159:160]
	v_fma_f64 v[157:158], v[211:212], v[209:210], -v[157:158]
	v_mul_f64 v[211:212], v[211:212], v[159:160]
	v_add_f64 v[1:2], v[1:2], -v[157:158]
	v_fma_f64 v[211:212], v[213:214], v[209:210], v[211:212]
	v_mov_b32_e32 v157, v209
	v_mov_b32_e32 v158, v210
	v_add_f64 v[3:4], v[3:4], -v[211:212]
.LBB103_118:
	s_or_b32 exec_lo, exec_lo, s1
	s_mov_b32 s2, exec_lo
	s_waitcnt_vscnt null, 0x0
	s_barrier
	buffer_gl0_inv
	v_cmpx_eq_u32_e32 13, v0
	s_cbranch_execz .LBB103_125
; %bb.119:
	ds_write2_b64 v255, v[153:154], v[155:156] offset1:1
	ds_write2_b64 v253, v[149:150], v[151:152] offset0:28 offset1:29
	ds_write2_b64 v253, v[145:146], v[147:148] offset0:30 offset1:31
	;; [unrolled: 1-line block ×38, first 2 shown]
	ds_read2_b64 v[209:212], v255 offset1:1
	s_waitcnt lgkmcnt(0)
	v_cmp_neq_f64_e32 vcc_lo, 0, v[209:210]
	v_cmp_neq_f64_e64 s1, 0, v[211:212]
	s_or_b32 s1, vcc_lo, s1
	s_and_b32 exec_lo, exec_lo, s1
	s_cbranch_execz .LBB103_125
; %bb.120:
	v_cmp_ngt_f64_e64 s1, |v[209:210]|, |v[211:212]|
                                        ; implicit-def: $vgpr213_vgpr214
	s_and_saveexec_b32 s3, s1
	s_xor_b32 s1, exec_lo, s3
                                        ; implicit-def: $vgpr215_vgpr216
	s_cbranch_execz .LBB103_122
; %bb.121:
	v_div_scale_f64 v[213:214], null, v[211:212], v[211:212], v[209:210]
	v_div_scale_f64 v[219:220], vcc_lo, v[209:210], v[211:212], v[209:210]
	v_rcp_f64_e32 v[215:216], v[213:214]
	v_fma_f64 v[217:218], -v[213:214], v[215:216], 1.0
	v_fma_f64 v[215:216], v[215:216], v[217:218], v[215:216]
	v_fma_f64 v[217:218], -v[213:214], v[215:216], 1.0
	v_fma_f64 v[215:216], v[215:216], v[217:218], v[215:216]
	v_mul_f64 v[217:218], v[219:220], v[215:216]
	v_fma_f64 v[213:214], -v[213:214], v[217:218], v[219:220]
	v_div_fmas_f64 v[213:214], v[213:214], v[215:216], v[217:218]
	v_div_fixup_f64 v[213:214], v[213:214], v[211:212], v[209:210]
	v_fma_f64 v[209:210], v[209:210], v[213:214], v[211:212]
	v_div_scale_f64 v[211:212], null, v[209:210], v[209:210], 1.0
	v_rcp_f64_e32 v[215:216], v[211:212]
	v_fma_f64 v[217:218], -v[211:212], v[215:216], 1.0
	v_fma_f64 v[215:216], v[215:216], v[217:218], v[215:216]
	v_fma_f64 v[217:218], -v[211:212], v[215:216], 1.0
	v_fma_f64 v[215:216], v[215:216], v[217:218], v[215:216]
	v_div_scale_f64 v[217:218], vcc_lo, 1.0, v[209:210], 1.0
	v_mul_f64 v[219:220], v[217:218], v[215:216]
	v_fma_f64 v[211:212], -v[211:212], v[219:220], v[217:218]
	v_div_fmas_f64 v[211:212], v[211:212], v[215:216], v[219:220]
	v_div_fixup_f64 v[215:216], v[211:212], v[209:210], 1.0
                                        ; implicit-def: $vgpr209_vgpr210
	v_mul_f64 v[213:214], v[213:214], v[215:216]
	v_xor_b32_e32 v216, 0x80000000, v216
.LBB103_122:
	s_andn2_saveexec_b32 s1, s1
	s_cbranch_execz .LBB103_124
; %bb.123:
	v_div_scale_f64 v[213:214], null, v[209:210], v[209:210], v[211:212]
	v_div_scale_f64 v[219:220], vcc_lo, v[211:212], v[209:210], v[211:212]
	v_rcp_f64_e32 v[215:216], v[213:214]
	v_fma_f64 v[217:218], -v[213:214], v[215:216], 1.0
	v_fma_f64 v[215:216], v[215:216], v[217:218], v[215:216]
	v_fma_f64 v[217:218], -v[213:214], v[215:216], 1.0
	v_fma_f64 v[215:216], v[215:216], v[217:218], v[215:216]
	v_mul_f64 v[217:218], v[219:220], v[215:216]
	v_fma_f64 v[213:214], -v[213:214], v[217:218], v[219:220]
	v_div_fmas_f64 v[213:214], v[213:214], v[215:216], v[217:218]
	v_div_fixup_f64 v[215:216], v[213:214], v[209:210], v[211:212]
	v_fma_f64 v[209:210], v[211:212], v[215:216], v[209:210]
	v_div_scale_f64 v[211:212], null, v[209:210], v[209:210], 1.0
	v_rcp_f64_e32 v[213:214], v[211:212]
	v_fma_f64 v[217:218], -v[211:212], v[213:214], 1.0
	v_fma_f64 v[213:214], v[213:214], v[217:218], v[213:214]
	v_fma_f64 v[217:218], -v[211:212], v[213:214], 1.0
	v_fma_f64 v[213:214], v[213:214], v[217:218], v[213:214]
	v_div_scale_f64 v[217:218], vcc_lo, 1.0, v[209:210], 1.0
	v_mul_f64 v[219:220], v[217:218], v[213:214]
	v_fma_f64 v[211:212], -v[211:212], v[219:220], v[217:218]
	v_div_fmas_f64 v[211:212], v[211:212], v[213:214], v[219:220]
	v_div_fixup_f64 v[213:214], v[211:212], v[209:210], 1.0
	v_mul_f64 v[215:216], v[215:216], -v[213:214]
.LBB103_124:
	s_or_b32 exec_lo, exec_lo, s1
	ds_write2_b64 v255, v[213:214], v[215:216] offset1:1
.LBB103_125:
	s_or_b32 exec_lo, exec_lo, s2
	s_waitcnt lgkmcnt(0)
	s_barrier
	buffer_gl0_inv
	ds_read2_b64 v[203:206], v255 offset1:1
	s_mov_b32 s1, exec_lo
	s_waitcnt lgkmcnt(0)
	buffer_store_dword v203, off, s[16:19], 0 offset:632 ; 4-byte Folded Spill
	buffer_store_dword v204, off, s[16:19], 0 offset:636 ; 4-byte Folded Spill
	buffer_store_dword v205, off, s[16:19], 0 offset:640 ; 4-byte Folded Spill
	buffer_store_dword v206, off, s[16:19], 0 offset:644 ; 4-byte Folded Spill
	v_cmpx_lt_u32_e32 13, v0
	s_cbranch_execz .LBB103_127
; %bb.126:
	s_clause 0x3
	buffer_load_dword v203, off, s[16:19], 0 offset:632
	buffer_load_dword v204, off, s[16:19], 0 offset:636
	;; [unrolled: 1-line block ×4, first 2 shown]
	ds_read2_b64 v[211:214], v253 offset0:28 offset1:29
	s_waitcnt vmcnt(0)
	v_mul_f64 v[209:210], v[205:206], v[155:156]
	v_mul_f64 v[155:156], v[203:204], v[155:156]
	v_fma_f64 v[209:210], v[203:204], v[153:154], -v[209:210]
	v_fma_f64 v[155:156], v[205:206], v[153:154], v[155:156]
	s_waitcnt lgkmcnt(0)
	v_mul_f64 v[153:154], v[213:214], v[155:156]
	v_fma_f64 v[153:154], v[211:212], v[209:210], -v[153:154]
	v_mul_f64 v[211:212], v[211:212], v[155:156]
	v_add_f64 v[149:150], v[149:150], -v[153:154]
	v_fma_f64 v[211:212], v[213:214], v[209:210], v[211:212]
	v_add_f64 v[151:152], v[151:152], -v[211:212]
	ds_read2_b64 v[211:214], v253 offset0:30 offset1:31
	s_waitcnt lgkmcnt(0)
	v_mul_f64 v[153:154], v[213:214], v[155:156]
	v_fma_f64 v[153:154], v[211:212], v[209:210], -v[153:154]
	v_mul_f64 v[211:212], v[211:212], v[155:156]
	v_add_f64 v[145:146], v[145:146], -v[153:154]
	v_fma_f64 v[211:212], v[213:214], v[209:210], v[211:212]
	v_add_f64 v[147:148], v[147:148], -v[211:212]
	ds_read2_b64 v[211:214], v253 offset0:32 offset1:33
	;; [unrolled: 8-line block ×37, first 2 shown]
	s_waitcnt lgkmcnt(0)
	v_mul_f64 v[153:154], v[213:214], v[155:156]
	v_fma_f64 v[153:154], v[211:212], v[209:210], -v[153:154]
	v_mul_f64 v[211:212], v[211:212], v[155:156]
	v_add_f64 v[1:2], v[1:2], -v[153:154]
	v_fma_f64 v[211:212], v[213:214], v[209:210], v[211:212]
	v_mov_b32_e32 v153, v209
	v_mov_b32_e32 v154, v210
	v_add_f64 v[3:4], v[3:4], -v[211:212]
.LBB103_127:
	s_or_b32 exec_lo, exec_lo, s1
	s_mov_b32 s2, exec_lo
	s_waitcnt_vscnt null, 0x0
	s_barrier
	buffer_gl0_inv
	v_cmpx_eq_u32_e32 14, v0
	s_cbranch_execz .LBB103_134
; %bb.128:
	ds_write2_b64 v255, v[149:150], v[151:152] offset1:1
	ds_write2_b64 v253, v[145:146], v[147:148] offset0:30 offset1:31
	ds_write2_b64 v253, v[141:142], v[143:144] offset0:32 offset1:33
	;; [unrolled: 1-line block ×37, first 2 shown]
	ds_read2_b64 v[209:212], v255 offset1:1
	s_waitcnt lgkmcnt(0)
	v_cmp_neq_f64_e32 vcc_lo, 0, v[209:210]
	v_cmp_neq_f64_e64 s1, 0, v[211:212]
	s_or_b32 s1, vcc_lo, s1
	s_and_b32 exec_lo, exec_lo, s1
	s_cbranch_execz .LBB103_134
; %bb.129:
	v_cmp_ngt_f64_e64 s1, |v[209:210]|, |v[211:212]|
                                        ; implicit-def: $vgpr213_vgpr214
	s_and_saveexec_b32 s3, s1
	s_xor_b32 s1, exec_lo, s3
                                        ; implicit-def: $vgpr215_vgpr216
	s_cbranch_execz .LBB103_131
; %bb.130:
	v_div_scale_f64 v[213:214], null, v[211:212], v[211:212], v[209:210]
	v_div_scale_f64 v[219:220], vcc_lo, v[209:210], v[211:212], v[209:210]
	v_rcp_f64_e32 v[215:216], v[213:214]
	v_fma_f64 v[217:218], -v[213:214], v[215:216], 1.0
	v_fma_f64 v[215:216], v[215:216], v[217:218], v[215:216]
	v_fma_f64 v[217:218], -v[213:214], v[215:216], 1.0
	v_fma_f64 v[215:216], v[215:216], v[217:218], v[215:216]
	v_mul_f64 v[217:218], v[219:220], v[215:216]
	v_fma_f64 v[213:214], -v[213:214], v[217:218], v[219:220]
	v_div_fmas_f64 v[213:214], v[213:214], v[215:216], v[217:218]
	v_div_fixup_f64 v[213:214], v[213:214], v[211:212], v[209:210]
	v_fma_f64 v[209:210], v[209:210], v[213:214], v[211:212]
	v_div_scale_f64 v[211:212], null, v[209:210], v[209:210], 1.0
	v_rcp_f64_e32 v[215:216], v[211:212]
	v_fma_f64 v[217:218], -v[211:212], v[215:216], 1.0
	v_fma_f64 v[215:216], v[215:216], v[217:218], v[215:216]
	v_fma_f64 v[217:218], -v[211:212], v[215:216], 1.0
	v_fma_f64 v[215:216], v[215:216], v[217:218], v[215:216]
	v_div_scale_f64 v[217:218], vcc_lo, 1.0, v[209:210], 1.0
	v_mul_f64 v[219:220], v[217:218], v[215:216]
	v_fma_f64 v[211:212], -v[211:212], v[219:220], v[217:218]
	v_div_fmas_f64 v[211:212], v[211:212], v[215:216], v[219:220]
	v_div_fixup_f64 v[215:216], v[211:212], v[209:210], 1.0
                                        ; implicit-def: $vgpr209_vgpr210
	v_mul_f64 v[213:214], v[213:214], v[215:216]
	v_xor_b32_e32 v216, 0x80000000, v216
.LBB103_131:
	s_andn2_saveexec_b32 s1, s1
	s_cbranch_execz .LBB103_133
; %bb.132:
	v_div_scale_f64 v[213:214], null, v[209:210], v[209:210], v[211:212]
	v_div_scale_f64 v[219:220], vcc_lo, v[211:212], v[209:210], v[211:212]
	v_rcp_f64_e32 v[215:216], v[213:214]
	v_fma_f64 v[217:218], -v[213:214], v[215:216], 1.0
	v_fma_f64 v[215:216], v[215:216], v[217:218], v[215:216]
	v_fma_f64 v[217:218], -v[213:214], v[215:216], 1.0
	v_fma_f64 v[215:216], v[215:216], v[217:218], v[215:216]
	v_mul_f64 v[217:218], v[219:220], v[215:216]
	v_fma_f64 v[213:214], -v[213:214], v[217:218], v[219:220]
	v_div_fmas_f64 v[213:214], v[213:214], v[215:216], v[217:218]
	v_div_fixup_f64 v[215:216], v[213:214], v[209:210], v[211:212]
	v_fma_f64 v[209:210], v[211:212], v[215:216], v[209:210]
	v_div_scale_f64 v[211:212], null, v[209:210], v[209:210], 1.0
	v_rcp_f64_e32 v[213:214], v[211:212]
	v_fma_f64 v[217:218], -v[211:212], v[213:214], 1.0
	v_fma_f64 v[213:214], v[213:214], v[217:218], v[213:214]
	v_fma_f64 v[217:218], -v[211:212], v[213:214], 1.0
	v_fma_f64 v[213:214], v[213:214], v[217:218], v[213:214]
	v_div_scale_f64 v[217:218], vcc_lo, 1.0, v[209:210], 1.0
	v_mul_f64 v[219:220], v[217:218], v[213:214]
	v_fma_f64 v[211:212], -v[211:212], v[219:220], v[217:218]
	v_div_fmas_f64 v[211:212], v[211:212], v[213:214], v[219:220]
	v_div_fixup_f64 v[213:214], v[211:212], v[209:210], 1.0
	v_mul_f64 v[215:216], v[215:216], -v[213:214]
.LBB103_133:
	s_or_b32 exec_lo, exec_lo, s1
	ds_write2_b64 v255, v[213:214], v[215:216] offset1:1
.LBB103_134:
	s_or_b32 exec_lo, exec_lo, s2
	s_waitcnt lgkmcnt(0)
	s_barrier
	buffer_gl0_inv
	ds_read2_b64 v[203:206], v255 offset1:1
	s_mov_b32 s1, exec_lo
	s_waitcnt lgkmcnt(0)
	buffer_store_dword v203, off, s[16:19], 0 offset:648 ; 4-byte Folded Spill
	buffer_store_dword v204, off, s[16:19], 0 offset:652 ; 4-byte Folded Spill
	;; [unrolled: 1-line block ×4, first 2 shown]
	v_cmpx_lt_u32_e32 14, v0
	s_cbranch_execz .LBB103_136
; %bb.135:
	s_clause 0x3
	buffer_load_dword v203, off, s[16:19], 0 offset:648
	buffer_load_dword v204, off, s[16:19], 0 offset:652
	;; [unrolled: 1-line block ×4, first 2 shown]
	ds_read2_b64 v[211:214], v253 offset0:30 offset1:31
	s_waitcnt vmcnt(0)
	v_mul_f64 v[209:210], v[205:206], v[151:152]
	v_mul_f64 v[151:152], v[203:204], v[151:152]
	v_fma_f64 v[209:210], v[203:204], v[149:150], -v[209:210]
	v_fma_f64 v[151:152], v[205:206], v[149:150], v[151:152]
	s_waitcnt lgkmcnt(0)
	v_mul_f64 v[149:150], v[213:214], v[151:152]
	v_fma_f64 v[149:150], v[211:212], v[209:210], -v[149:150]
	v_mul_f64 v[211:212], v[211:212], v[151:152]
	v_add_f64 v[145:146], v[145:146], -v[149:150]
	v_fma_f64 v[211:212], v[213:214], v[209:210], v[211:212]
	v_add_f64 v[147:148], v[147:148], -v[211:212]
	ds_read2_b64 v[211:214], v253 offset0:32 offset1:33
	s_waitcnt lgkmcnt(0)
	v_mul_f64 v[149:150], v[213:214], v[151:152]
	v_fma_f64 v[149:150], v[211:212], v[209:210], -v[149:150]
	v_mul_f64 v[211:212], v[211:212], v[151:152]
	v_add_f64 v[141:142], v[141:142], -v[149:150]
	v_fma_f64 v[211:212], v[213:214], v[209:210], v[211:212]
	v_add_f64 v[143:144], v[143:144], -v[211:212]
	ds_read2_b64 v[211:214], v253 offset0:34 offset1:35
	;; [unrolled: 8-line block ×36, first 2 shown]
	s_waitcnt lgkmcnt(0)
	v_mul_f64 v[149:150], v[213:214], v[151:152]
	v_fma_f64 v[149:150], v[211:212], v[209:210], -v[149:150]
	v_mul_f64 v[211:212], v[211:212], v[151:152]
	v_add_f64 v[1:2], v[1:2], -v[149:150]
	v_fma_f64 v[211:212], v[213:214], v[209:210], v[211:212]
	v_mov_b32_e32 v149, v209
	v_mov_b32_e32 v150, v210
	v_add_f64 v[3:4], v[3:4], -v[211:212]
.LBB103_136:
	s_or_b32 exec_lo, exec_lo, s1
	s_mov_b32 s2, exec_lo
	s_waitcnt_vscnt null, 0x0
	s_barrier
	buffer_gl0_inv
	v_cmpx_eq_u32_e32 15, v0
	s_cbranch_execz .LBB103_143
; %bb.137:
	ds_write2_b64 v255, v[145:146], v[147:148] offset1:1
	ds_write2_b64 v253, v[141:142], v[143:144] offset0:32 offset1:33
	ds_write2_b64 v253, v[137:138], v[139:140] offset0:34 offset1:35
	;; [unrolled: 1-line block ×36, first 2 shown]
	ds_read2_b64 v[209:212], v255 offset1:1
	s_waitcnt lgkmcnt(0)
	v_cmp_neq_f64_e32 vcc_lo, 0, v[209:210]
	v_cmp_neq_f64_e64 s1, 0, v[211:212]
	s_or_b32 s1, vcc_lo, s1
	s_and_b32 exec_lo, exec_lo, s1
	s_cbranch_execz .LBB103_143
; %bb.138:
	v_cmp_ngt_f64_e64 s1, |v[209:210]|, |v[211:212]|
                                        ; implicit-def: $vgpr213_vgpr214
	s_and_saveexec_b32 s3, s1
	s_xor_b32 s1, exec_lo, s3
                                        ; implicit-def: $vgpr215_vgpr216
	s_cbranch_execz .LBB103_140
; %bb.139:
	v_div_scale_f64 v[213:214], null, v[211:212], v[211:212], v[209:210]
	v_div_scale_f64 v[219:220], vcc_lo, v[209:210], v[211:212], v[209:210]
	v_rcp_f64_e32 v[215:216], v[213:214]
	v_fma_f64 v[217:218], -v[213:214], v[215:216], 1.0
	v_fma_f64 v[215:216], v[215:216], v[217:218], v[215:216]
	v_fma_f64 v[217:218], -v[213:214], v[215:216], 1.0
	v_fma_f64 v[215:216], v[215:216], v[217:218], v[215:216]
	v_mul_f64 v[217:218], v[219:220], v[215:216]
	v_fma_f64 v[213:214], -v[213:214], v[217:218], v[219:220]
	v_div_fmas_f64 v[213:214], v[213:214], v[215:216], v[217:218]
	v_div_fixup_f64 v[213:214], v[213:214], v[211:212], v[209:210]
	v_fma_f64 v[209:210], v[209:210], v[213:214], v[211:212]
	v_div_scale_f64 v[211:212], null, v[209:210], v[209:210], 1.0
	v_rcp_f64_e32 v[215:216], v[211:212]
	v_fma_f64 v[217:218], -v[211:212], v[215:216], 1.0
	v_fma_f64 v[215:216], v[215:216], v[217:218], v[215:216]
	v_fma_f64 v[217:218], -v[211:212], v[215:216], 1.0
	v_fma_f64 v[215:216], v[215:216], v[217:218], v[215:216]
	v_div_scale_f64 v[217:218], vcc_lo, 1.0, v[209:210], 1.0
	v_mul_f64 v[219:220], v[217:218], v[215:216]
	v_fma_f64 v[211:212], -v[211:212], v[219:220], v[217:218]
	v_div_fmas_f64 v[211:212], v[211:212], v[215:216], v[219:220]
	v_div_fixup_f64 v[215:216], v[211:212], v[209:210], 1.0
                                        ; implicit-def: $vgpr209_vgpr210
	v_mul_f64 v[213:214], v[213:214], v[215:216]
	v_xor_b32_e32 v216, 0x80000000, v216
.LBB103_140:
	s_andn2_saveexec_b32 s1, s1
	s_cbranch_execz .LBB103_142
; %bb.141:
	v_div_scale_f64 v[213:214], null, v[209:210], v[209:210], v[211:212]
	v_div_scale_f64 v[219:220], vcc_lo, v[211:212], v[209:210], v[211:212]
	v_rcp_f64_e32 v[215:216], v[213:214]
	v_fma_f64 v[217:218], -v[213:214], v[215:216], 1.0
	v_fma_f64 v[215:216], v[215:216], v[217:218], v[215:216]
	v_fma_f64 v[217:218], -v[213:214], v[215:216], 1.0
	v_fma_f64 v[215:216], v[215:216], v[217:218], v[215:216]
	v_mul_f64 v[217:218], v[219:220], v[215:216]
	v_fma_f64 v[213:214], -v[213:214], v[217:218], v[219:220]
	v_div_fmas_f64 v[213:214], v[213:214], v[215:216], v[217:218]
	v_div_fixup_f64 v[215:216], v[213:214], v[209:210], v[211:212]
	v_fma_f64 v[209:210], v[211:212], v[215:216], v[209:210]
	v_div_scale_f64 v[211:212], null, v[209:210], v[209:210], 1.0
	v_rcp_f64_e32 v[213:214], v[211:212]
	v_fma_f64 v[217:218], -v[211:212], v[213:214], 1.0
	v_fma_f64 v[213:214], v[213:214], v[217:218], v[213:214]
	v_fma_f64 v[217:218], -v[211:212], v[213:214], 1.0
	v_fma_f64 v[213:214], v[213:214], v[217:218], v[213:214]
	v_div_scale_f64 v[217:218], vcc_lo, 1.0, v[209:210], 1.0
	v_mul_f64 v[219:220], v[217:218], v[213:214]
	v_fma_f64 v[211:212], -v[211:212], v[219:220], v[217:218]
	v_div_fmas_f64 v[211:212], v[211:212], v[213:214], v[219:220]
	v_div_fixup_f64 v[213:214], v[211:212], v[209:210], 1.0
	v_mul_f64 v[215:216], v[215:216], -v[213:214]
.LBB103_142:
	s_or_b32 exec_lo, exec_lo, s1
	ds_write2_b64 v255, v[213:214], v[215:216] offset1:1
.LBB103_143:
	s_or_b32 exec_lo, exec_lo, s2
	s_waitcnt lgkmcnt(0)
	s_barrier
	buffer_gl0_inv
	ds_read2_b64 v[203:206], v255 offset1:1
	s_mov_b32 s1, exec_lo
	s_waitcnt lgkmcnt(0)
	buffer_store_dword v203, off, s[16:19], 0 offset:664 ; 4-byte Folded Spill
	buffer_store_dword v204, off, s[16:19], 0 offset:668 ; 4-byte Folded Spill
	;; [unrolled: 1-line block ×4, first 2 shown]
	v_cmpx_lt_u32_e32 15, v0
	s_cbranch_execz .LBB103_145
; %bb.144:
	s_clause 0x3
	buffer_load_dword v203, off, s[16:19], 0 offset:664
	buffer_load_dword v204, off, s[16:19], 0 offset:668
	;; [unrolled: 1-line block ×4, first 2 shown]
	ds_read2_b64 v[211:214], v253 offset0:32 offset1:33
	s_waitcnt vmcnt(0)
	v_mul_f64 v[209:210], v[205:206], v[147:148]
	v_mul_f64 v[147:148], v[203:204], v[147:148]
	v_fma_f64 v[209:210], v[203:204], v[145:146], -v[209:210]
	v_fma_f64 v[147:148], v[205:206], v[145:146], v[147:148]
	s_waitcnt lgkmcnt(0)
	v_mul_f64 v[145:146], v[213:214], v[147:148]
	v_fma_f64 v[145:146], v[211:212], v[209:210], -v[145:146]
	v_mul_f64 v[211:212], v[211:212], v[147:148]
	v_add_f64 v[141:142], v[141:142], -v[145:146]
	v_fma_f64 v[211:212], v[213:214], v[209:210], v[211:212]
	v_add_f64 v[143:144], v[143:144], -v[211:212]
	ds_read2_b64 v[211:214], v253 offset0:34 offset1:35
	s_waitcnt lgkmcnt(0)
	v_mul_f64 v[145:146], v[213:214], v[147:148]
	v_fma_f64 v[145:146], v[211:212], v[209:210], -v[145:146]
	v_mul_f64 v[211:212], v[211:212], v[147:148]
	v_add_f64 v[137:138], v[137:138], -v[145:146]
	v_fma_f64 v[211:212], v[213:214], v[209:210], v[211:212]
	v_add_f64 v[139:140], v[139:140], -v[211:212]
	ds_read2_b64 v[211:214], v253 offset0:36 offset1:37
	;; [unrolled: 8-line block ×35, first 2 shown]
	s_waitcnt lgkmcnt(0)
	v_mul_f64 v[145:146], v[213:214], v[147:148]
	v_fma_f64 v[145:146], v[211:212], v[209:210], -v[145:146]
	v_mul_f64 v[211:212], v[211:212], v[147:148]
	v_add_f64 v[1:2], v[1:2], -v[145:146]
	v_fma_f64 v[211:212], v[213:214], v[209:210], v[211:212]
	v_mov_b32_e32 v145, v209
	v_mov_b32_e32 v146, v210
	v_add_f64 v[3:4], v[3:4], -v[211:212]
.LBB103_145:
	s_or_b32 exec_lo, exec_lo, s1
	s_mov_b32 s2, exec_lo
	s_waitcnt_vscnt null, 0x0
	s_barrier
	buffer_gl0_inv
	v_cmpx_eq_u32_e32 16, v0
	s_cbranch_execz .LBB103_152
; %bb.146:
	ds_write2_b64 v255, v[141:142], v[143:144] offset1:1
	ds_write2_b64 v253, v[137:138], v[139:140] offset0:34 offset1:35
	ds_write2_b64 v253, v[133:134], v[135:136] offset0:36 offset1:37
	;; [unrolled: 1-line block ×35, first 2 shown]
	ds_read2_b64 v[209:212], v255 offset1:1
	s_waitcnt lgkmcnt(0)
	v_cmp_neq_f64_e32 vcc_lo, 0, v[209:210]
	v_cmp_neq_f64_e64 s1, 0, v[211:212]
	s_or_b32 s1, vcc_lo, s1
	s_and_b32 exec_lo, exec_lo, s1
	s_cbranch_execz .LBB103_152
; %bb.147:
	v_cmp_ngt_f64_e64 s1, |v[209:210]|, |v[211:212]|
                                        ; implicit-def: $vgpr213_vgpr214
	s_and_saveexec_b32 s3, s1
	s_xor_b32 s1, exec_lo, s3
                                        ; implicit-def: $vgpr215_vgpr216
	s_cbranch_execz .LBB103_149
; %bb.148:
	v_div_scale_f64 v[213:214], null, v[211:212], v[211:212], v[209:210]
	v_div_scale_f64 v[219:220], vcc_lo, v[209:210], v[211:212], v[209:210]
	v_rcp_f64_e32 v[215:216], v[213:214]
	v_fma_f64 v[217:218], -v[213:214], v[215:216], 1.0
	v_fma_f64 v[215:216], v[215:216], v[217:218], v[215:216]
	v_fma_f64 v[217:218], -v[213:214], v[215:216], 1.0
	v_fma_f64 v[215:216], v[215:216], v[217:218], v[215:216]
	v_mul_f64 v[217:218], v[219:220], v[215:216]
	v_fma_f64 v[213:214], -v[213:214], v[217:218], v[219:220]
	v_div_fmas_f64 v[213:214], v[213:214], v[215:216], v[217:218]
	v_div_fixup_f64 v[213:214], v[213:214], v[211:212], v[209:210]
	v_fma_f64 v[209:210], v[209:210], v[213:214], v[211:212]
	v_div_scale_f64 v[211:212], null, v[209:210], v[209:210], 1.0
	v_rcp_f64_e32 v[215:216], v[211:212]
	v_fma_f64 v[217:218], -v[211:212], v[215:216], 1.0
	v_fma_f64 v[215:216], v[215:216], v[217:218], v[215:216]
	v_fma_f64 v[217:218], -v[211:212], v[215:216], 1.0
	v_fma_f64 v[215:216], v[215:216], v[217:218], v[215:216]
	v_div_scale_f64 v[217:218], vcc_lo, 1.0, v[209:210], 1.0
	v_mul_f64 v[219:220], v[217:218], v[215:216]
	v_fma_f64 v[211:212], -v[211:212], v[219:220], v[217:218]
	v_div_fmas_f64 v[211:212], v[211:212], v[215:216], v[219:220]
	v_div_fixup_f64 v[215:216], v[211:212], v[209:210], 1.0
                                        ; implicit-def: $vgpr209_vgpr210
	v_mul_f64 v[213:214], v[213:214], v[215:216]
	v_xor_b32_e32 v216, 0x80000000, v216
.LBB103_149:
	s_andn2_saveexec_b32 s1, s1
	s_cbranch_execz .LBB103_151
; %bb.150:
	v_div_scale_f64 v[213:214], null, v[209:210], v[209:210], v[211:212]
	v_div_scale_f64 v[219:220], vcc_lo, v[211:212], v[209:210], v[211:212]
	v_rcp_f64_e32 v[215:216], v[213:214]
	v_fma_f64 v[217:218], -v[213:214], v[215:216], 1.0
	v_fma_f64 v[215:216], v[215:216], v[217:218], v[215:216]
	v_fma_f64 v[217:218], -v[213:214], v[215:216], 1.0
	v_fma_f64 v[215:216], v[215:216], v[217:218], v[215:216]
	v_mul_f64 v[217:218], v[219:220], v[215:216]
	v_fma_f64 v[213:214], -v[213:214], v[217:218], v[219:220]
	v_div_fmas_f64 v[213:214], v[213:214], v[215:216], v[217:218]
	v_div_fixup_f64 v[215:216], v[213:214], v[209:210], v[211:212]
	v_fma_f64 v[209:210], v[211:212], v[215:216], v[209:210]
	v_div_scale_f64 v[211:212], null, v[209:210], v[209:210], 1.0
	v_rcp_f64_e32 v[213:214], v[211:212]
	v_fma_f64 v[217:218], -v[211:212], v[213:214], 1.0
	v_fma_f64 v[213:214], v[213:214], v[217:218], v[213:214]
	v_fma_f64 v[217:218], -v[211:212], v[213:214], 1.0
	v_fma_f64 v[213:214], v[213:214], v[217:218], v[213:214]
	v_div_scale_f64 v[217:218], vcc_lo, 1.0, v[209:210], 1.0
	v_mul_f64 v[219:220], v[217:218], v[213:214]
	v_fma_f64 v[211:212], -v[211:212], v[219:220], v[217:218]
	v_div_fmas_f64 v[211:212], v[211:212], v[213:214], v[219:220]
	v_div_fixup_f64 v[213:214], v[211:212], v[209:210], 1.0
	v_mul_f64 v[215:216], v[215:216], -v[213:214]
.LBB103_151:
	s_or_b32 exec_lo, exec_lo, s1
	ds_write2_b64 v255, v[213:214], v[215:216] offset1:1
.LBB103_152:
	s_or_b32 exec_lo, exec_lo, s2
	s_waitcnt lgkmcnt(0)
	s_barrier
	buffer_gl0_inv
	ds_read2_b64 v[203:206], v255 offset1:1
	s_mov_b32 s1, exec_lo
	s_waitcnt lgkmcnt(0)
	buffer_store_dword v203, off, s[16:19], 0 offset:680 ; 4-byte Folded Spill
	buffer_store_dword v204, off, s[16:19], 0 offset:684 ; 4-byte Folded Spill
	;; [unrolled: 1-line block ×4, first 2 shown]
	v_cmpx_lt_u32_e32 16, v0
	s_cbranch_execz .LBB103_154
; %bb.153:
	s_clause 0x3
	buffer_load_dword v203, off, s[16:19], 0 offset:680
	buffer_load_dword v204, off, s[16:19], 0 offset:684
	;; [unrolled: 1-line block ×4, first 2 shown]
	ds_read2_b64 v[211:214], v253 offset0:34 offset1:35
	s_waitcnt vmcnt(0)
	v_mul_f64 v[209:210], v[205:206], v[143:144]
	v_mul_f64 v[143:144], v[203:204], v[143:144]
	v_fma_f64 v[209:210], v[203:204], v[141:142], -v[209:210]
	v_fma_f64 v[143:144], v[205:206], v[141:142], v[143:144]
	s_waitcnt lgkmcnt(0)
	v_mul_f64 v[141:142], v[213:214], v[143:144]
	v_fma_f64 v[141:142], v[211:212], v[209:210], -v[141:142]
	v_mul_f64 v[211:212], v[211:212], v[143:144]
	v_add_f64 v[137:138], v[137:138], -v[141:142]
	v_fma_f64 v[211:212], v[213:214], v[209:210], v[211:212]
	v_add_f64 v[139:140], v[139:140], -v[211:212]
	ds_read2_b64 v[211:214], v253 offset0:36 offset1:37
	s_waitcnt lgkmcnt(0)
	v_mul_f64 v[141:142], v[213:214], v[143:144]
	v_fma_f64 v[141:142], v[211:212], v[209:210], -v[141:142]
	v_mul_f64 v[211:212], v[211:212], v[143:144]
	v_add_f64 v[133:134], v[133:134], -v[141:142]
	v_fma_f64 v[211:212], v[213:214], v[209:210], v[211:212]
	v_add_f64 v[135:136], v[135:136], -v[211:212]
	ds_read2_b64 v[211:214], v253 offset0:38 offset1:39
	s_waitcnt lgkmcnt(0)
	v_mul_f64 v[141:142], v[213:214], v[143:144]
	v_fma_f64 v[141:142], v[211:212], v[209:210], -v[141:142]
	v_mul_f64 v[211:212], v[211:212], v[143:144]
	v_add_f64 v[129:130], v[129:130], -v[141:142]
	v_fma_f64 v[211:212], v[213:214], v[209:210], v[211:212]
	v_add_f64 v[131:132], v[131:132], -v[211:212]
	ds_read2_b64 v[211:214], v253 offset0:40 offset1:41
	s_waitcnt lgkmcnt(0)
	v_mul_f64 v[141:142], v[213:214], v[143:144]
	v_fma_f64 v[141:142], v[211:212], v[209:210], -v[141:142]
	v_mul_f64 v[211:212], v[211:212], v[143:144]
	v_add_f64 v[125:126], v[125:126], -v[141:142]
	v_fma_f64 v[211:212], v[213:214], v[209:210], v[211:212]
	v_add_f64 v[127:128], v[127:128], -v[211:212]
	ds_read2_b64 v[211:214], v253 offset0:42 offset1:43
	s_waitcnt lgkmcnt(0)
	v_mul_f64 v[141:142], v[213:214], v[143:144]
	v_fma_f64 v[141:142], v[211:212], v[209:210], -v[141:142]
	v_mul_f64 v[211:212], v[211:212], v[143:144]
	v_add_f64 v[121:122], v[121:122], -v[141:142]
	v_fma_f64 v[211:212], v[213:214], v[209:210], v[211:212]
	v_add_f64 v[123:124], v[123:124], -v[211:212]
	ds_read2_b64 v[211:214], v253 offset0:44 offset1:45
	s_waitcnt lgkmcnt(0)
	v_mul_f64 v[141:142], v[213:214], v[143:144]
	v_fma_f64 v[141:142], v[211:212], v[209:210], -v[141:142]
	v_mul_f64 v[211:212], v[211:212], v[143:144]
	v_add_f64 v[117:118], v[117:118], -v[141:142]
	v_fma_f64 v[211:212], v[213:214], v[209:210], v[211:212]
	v_add_f64 v[119:120], v[119:120], -v[211:212]
	ds_read2_b64 v[211:214], v253 offset0:46 offset1:47
	s_waitcnt lgkmcnt(0)
	v_mul_f64 v[141:142], v[213:214], v[143:144]
	v_fma_f64 v[141:142], v[211:212], v[209:210], -v[141:142]
	v_mul_f64 v[211:212], v[211:212], v[143:144]
	v_add_f64 v[113:114], v[113:114], -v[141:142]
	v_fma_f64 v[211:212], v[213:214], v[209:210], v[211:212]
	v_add_f64 v[115:116], v[115:116], -v[211:212]
	ds_read2_b64 v[211:214], v253 offset0:48 offset1:49
	s_waitcnt lgkmcnt(0)
	v_mul_f64 v[141:142], v[213:214], v[143:144]
	v_fma_f64 v[141:142], v[211:212], v[209:210], -v[141:142]
	v_mul_f64 v[211:212], v[211:212], v[143:144]
	v_add_f64 v[109:110], v[109:110], -v[141:142]
	v_fma_f64 v[211:212], v[213:214], v[209:210], v[211:212]
	v_add_f64 v[111:112], v[111:112], -v[211:212]
	ds_read2_b64 v[211:214], v253 offset0:50 offset1:51
	s_waitcnt lgkmcnt(0)
	v_mul_f64 v[141:142], v[213:214], v[143:144]
	v_fma_f64 v[141:142], v[211:212], v[209:210], -v[141:142]
	v_mul_f64 v[211:212], v[211:212], v[143:144]
	v_add_f64 v[105:106], v[105:106], -v[141:142]
	v_fma_f64 v[211:212], v[213:214], v[209:210], v[211:212]
	v_add_f64 v[107:108], v[107:108], -v[211:212]
	ds_read2_b64 v[211:214], v253 offset0:52 offset1:53
	s_waitcnt lgkmcnt(0)
	v_mul_f64 v[141:142], v[213:214], v[143:144]
	v_fma_f64 v[141:142], v[211:212], v[209:210], -v[141:142]
	v_mul_f64 v[211:212], v[211:212], v[143:144]
	v_add_f64 v[101:102], v[101:102], -v[141:142]
	v_fma_f64 v[211:212], v[213:214], v[209:210], v[211:212]
	v_add_f64 v[103:104], v[103:104], -v[211:212]
	ds_read2_b64 v[211:214], v253 offset0:54 offset1:55
	s_waitcnt lgkmcnt(0)
	v_mul_f64 v[141:142], v[213:214], v[143:144]
	v_fma_f64 v[141:142], v[211:212], v[209:210], -v[141:142]
	v_mul_f64 v[211:212], v[211:212], v[143:144]
	v_add_f64 v[97:98], v[97:98], -v[141:142]
	v_fma_f64 v[211:212], v[213:214], v[209:210], v[211:212]
	v_add_f64 v[99:100], v[99:100], -v[211:212]
	ds_read2_b64 v[211:214], v253 offset0:56 offset1:57
	s_waitcnt lgkmcnt(0)
	v_mul_f64 v[141:142], v[213:214], v[143:144]
	v_fma_f64 v[141:142], v[211:212], v[209:210], -v[141:142]
	v_mul_f64 v[211:212], v[211:212], v[143:144]
	v_add_f64 v[93:94], v[93:94], -v[141:142]
	v_fma_f64 v[211:212], v[213:214], v[209:210], v[211:212]
	v_add_f64 v[95:96], v[95:96], -v[211:212]
	ds_read2_b64 v[211:214], v253 offset0:58 offset1:59
	s_waitcnt lgkmcnt(0)
	v_mul_f64 v[141:142], v[213:214], v[143:144]
	v_fma_f64 v[141:142], v[211:212], v[209:210], -v[141:142]
	v_mul_f64 v[211:212], v[211:212], v[143:144]
	v_add_f64 v[89:90], v[89:90], -v[141:142]
	v_fma_f64 v[211:212], v[213:214], v[209:210], v[211:212]
	v_add_f64 v[91:92], v[91:92], -v[211:212]
	ds_read2_b64 v[211:214], v253 offset0:60 offset1:61
	s_waitcnt lgkmcnt(0)
	v_mul_f64 v[141:142], v[213:214], v[143:144]
	v_fma_f64 v[141:142], v[211:212], v[209:210], -v[141:142]
	v_mul_f64 v[211:212], v[211:212], v[143:144]
	v_add_f64 v[85:86], v[85:86], -v[141:142]
	v_fma_f64 v[211:212], v[213:214], v[209:210], v[211:212]
	v_add_f64 v[87:88], v[87:88], -v[211:212]
	ds_read2_b64 v[211:214], v253 offset0:62 offset1:63
	s_waitcnt lgkmcnt(0)
	v_mul_f64 v[141:142], v[213:214], v[143:144]
	v_fma_f64 v[141:142], v[211:212], v[209:210], -v[141:142]
	v_mul_f64 v[211:212], v[211:212], v[143:144]
	v_add_f64 v[81:82], v[81:82], -v[141:142]
	v_fma_f64 v[211:212], v[213:214], v[209:210], v[211:212]
	v_add_f64 v[83:84], v[83:84], -v[211:212]
	ds_read2_b64 v[211:214], v253 offset0:64 offset1:65
	s_waitcnt lgkmcnt(0)
	v_mul_f64 v[141:142], v[213:214], v[143:144]
	v_fma_f64 v[141:142], v[211:212], v[209:210], -v[141:142]
	v_mul_f64 v[211:212], v[211:212], v[143:144]
	v_add_f64 v[77:78], v[77:78], -v[141:142]
	v_fma_f64 v[211:212], v[213:214], v[209:210], v[211:212]
	v_add_f64 v[79:80], v[79:80], -v[211:212]
	ds_read2_b64 v[211:214], v253 offset0:66 offset1:67
	s_waitcnt lgkmcnt(0)
	v_mul_f64 v[141:142], v[213:214], v[143:144]
	v_fma_f64 v[141:142], v[211:212], v[209:210], -v[141:142]
	v_mul_f64 v[211:212], v[211:212], v[143:144]
	v_add_f64 v[73:74], v[73:74], -v[141:142]
	v_fma_f64 v[211:212], v[213:214], v[209:210], v[211:212]
	v_add_f64 v[75:76], v[75:76], -v[211:212]
	ds_read2_b64 v[211:214], v253 offset0:68 offset1:69
	s_waitcnt lgkmcnt(0)
	v_mul_f64 v[141:142], v[213:214], v[143:144]
	v_fma_f64 v[141:142], v[211:212], v[209:210], -v[141:142]
	v_mul_f64 v[211:212], v[211:212], v[143:144]
	v_add_f64 v[69:70], v[69:70], -v[141:142]
	v_fma_f64 v[211:212], v[213:214], v[209:210], v[211:212]
	v_add_f64 v[71:72], v[71:72], -v[211:212]
	ds_read2_b64 v[211:214], v253 offset0:70 offset1:71
	s_waitcnt lgkmcnt(0)
	v_mul_f64 v[141:142], v[213:214], v[143:144]
	v_fma_f64 v[141:142], v[211:212], v[209:210], -v[141:142]
	v_mul_f64 v[211:212], v[211:212], v[143:144]
	v_add_f64 v[65:66], v[65:66], -v[141:142]
	v_fma_f64 v[211:212], v[213:214], v[209:210], v[211:212]
	v_add_f64 v[67:68], v[67:68], -v[211:212]
	ds_read2_b64 v[211:214], v253 offset0:72 offset1:73
	s_waitcnt lgkmcnt(0)
	v_mul_f64 v[141:142], v[213:214], v[143:144]
	v_fma_f64 v[141:142], v[211:212], v[209:210], -v[141:142]
	v_mul_f64 v[211:212], v[211:212], v[143:144]
	v_add_f64 v[61:62], v[61:62], -v[141:142]
	v_fma_f64 v[211:212], v[213:214], v[209:210], v[211:212]
	v_add_f64 v[63:64], v[63:64], -v[211:212]
	ds_read2_b64 v[211:214], v253 offset0:74 offset1:75
	s_waitcnt lgkmcnt(0)
	v_mul_f64 v[141:142], v[213:214], v[143:144]
	v_fma_f64 v[141:142], v[211:212], v[209:210], -v[141:142]
	v_mul_f64 v[211:212], v[211:212], v[143:144]
	v_add_f64 v[57:58], v[57:58], -v[141:142]
	v_fma_f64 v[211:212], v[213:214], v[209:210], v[211:212]
	v_add_f64 v[59:60], v[59:60], -v[211:212]
	ds_read2_b64 v[211:214], v253 offset0:76 offset1:77
	s_waitcnt lgkmcnt(0)
	v_mul_f64 v[141:142], v[213:214], v[143:144]
	v_fma_f64 v[141:142], v[211:212], v[209:210], -v[141:142]
	v_mul_f64 v[211:212], v[211:212], v[143:144]
	v_add_f64 v[53:54], v[53:54], -v[141:142]
	v_fma_f64 v[211:212], v[213:214], v[209:210], v[211:212]
	v_add_f64 v[55:56], v[55:56], -v[211:212]
	ds_read2_b64 v[211:214], v253 offset0:78 offset1:79
	s_waitcnt lgkmcnt(0)
	v_mul_f64 v[141:142], v[213:214], v[143:144]
	v_fma_f64 v[141:142], v[211:212], v[209:210], -v[141:142]
	v_mul_f64 v[211:212], v[211:212], v[143:144]
	v_add_f64 v[49:50], v[49:50], -v[141:142]
	v_fma_f64 v[211:212], v[213:214], v[209:210], v[211:212]
	v_add_f64 v[51:52], v[51:52], -v[211:212]
	ds_read2_b64 v[211:214], v253 offset0:80 offset1:81
	s_waitcnt lgkmcnt(0)
	v_mul_f64 v[141:142], v[213:214], v[143:144]
	v_fma_f64 v[141:142], v[211:212], v[209:210], -v[141:142]
	v_mul_f64 v[211:212], v[211:212], v[143:144]
	v_add_f64 v[45:46], v[45:46], -v[141:142]
	v_fma_f64 v[211:212], v[213:214], v[209:210], v[211:212]
	v_add_f64 v[47:48], v[47:48], -v[211:212]
	ds_read2_b64 v[211:214], v253 offset0:82 offset1:83
	s_waitcnt lgkmcnt(0)
	v_mul_f64 v[141:142], v[213:214], v[143:144]
	v_fma_f64 v[141:142], v[211:212], v[209:210], -v[141:142]
	v_mul_f64 v[211:212], v[211:212], v[143:144]
	v_add_f64 v[41:42], v[41:42], -v[141:142]
	v_fma_f64 v[211:212], v[213:214], v[209:210], v[211:212]
	v_add_f64 v[43:44], v[43:44], -v[211:212]
	ds_read2_b64 v[211:214], v253 offset0:84 offset1:85
	s_waitcnt lgkmcnt(0)
	v_mul_f64 v[141:142], v[213:214], v[143:144]
	v_fma_f64 v[141:142], v[211:212], v[209:210], -v[141:142]
	v_mul_f64 v[211:212], v[211:212], v[143:144]
	v_add_f64 v[37:38], v[37:38], -v[141:142]
	v_fma_f64 v[211:212], v[213:214], v[209:210], v[211:212]
	v_add_f64 v[39:40], v[39:40], -v[211:212]
	ds_read2_b64 v[211:214], v253 offset0:86 offset1:87
	s_waitcnt lgkmcnt(0)
	v_mul_f64 v[141:142], v[213:214], v[143:144]
	v_fma_f64 v[141:142], v[211:212], v[209:210], -v[141:142]
	v_mul_f64 v[211:212], v[211:212], v[143:144]
	v_add_f64 v[33:34], v[33:34], -v[141:142]
	v_fma_f64 v[211:212], v[213:214], v[209:210], v[211:212]
	v_add_f64 v[35:36], v[35:36], -v[211:212]
	ds_read2_b64 v[211:214], v253 offset0:88 offset1:89
	s_waitcnt lgkmcnt(0)
	v_mul_f64 v[141:142], v[213:214], v[143:144]
	v_fma_f64 v[141:142], v[211:212], v[209:210], -v[141:142]
	v_mul_f64 v[211:212], v[211:212], v[143:144]
	v_add_f64 v[29:30], v[29:30], -v[141:142]
	v_fma_f64 v[211:212], v[213:214], v[209:210], v[211:212]
	v_add_f64 v[31:32], v[31:32], -v[211:212]
	ds_read2_b64 v[211:214], v253 offset0:90 offset1:91
	s_waitcnt lgkmcnt(0)
	v_mul_f64 v[141:142], v[213:214], v[143:144]
	v_fma_f64 v[141:142], v[211:212], v[209:210], -v[141:142]
	v_mul_f64 v[211:212], v[211:212], v[143:144]
	v_add_f64 v[25:26], v[25:26], -v[141:142]
	v_fma_f64 v[211:212], v[213:214], v[209:210], v[211:212]
	v_add_f64 v[27:28], v[27:28], -v[211:212]
	ds_read2_b64 v[211:214], v253 offset0:92 offset1:93
	s_waitcnt lgkmcnt(0)
	v_mul_f64 v[141:142], v[213:214], v[143:144]
	v_fma_f64 v[141:142], v[211:212], v[209:210], -v[141:142]
	v_mul_f64 v[211:212], v[211:212], v[143:144]
	v_add_f64 v[21:22], v[21:22], -v[141:142]
	v_fma_f64 v[211:212], v[213:214], v[209:210], v[211:212]
	v_add_f64 v[23:24], v[23:24], -v[211:212]
	ds_read2_b64 v[211:214], v253 offset0:94 offset1:95
	s_waitcnt lgkmcnt(0)
	v_mul_f64 v[141:142], v[213:214], v[143:144]
	v_fma_f64 v[141:142], v[211:212], v[209:210], -v[141:142]
	v_mul_f64 v[211:212], v[211:212], v[143:144]
	v_add_f64 v[17:18], v[17:18], -v[141:142]
	v_fma_f64 v[211:212], v[213:214], v[209:210], v[211:212]
	v_add_f64 v[19:20], v[19:20], -v[211:212]
	ds_read2_b64 v[211:214], v253 offset0:96 offset1:97
	s_waitcnt lgkmcnt(0)
	v_mul_f64 v[141:142], v[213:214], v[143:144]
	v_fma_f64 v[141:142], v[211:212], v[209:210], -v[141:142]
	v_mul_f64 v[211:212], v[211:212], v[143:144]
	v_add_f64 v[13:14], v[13:14], -v[141:142]
	v_fma_f64 v[211:212], v[213:214], v[209:210], v[211:212]
	v_add_f64 v[15:16], v[15:16], -v[211:212]
	ds_read2_b64 v[211:214], v253 offset0:98 offset1:99
	s_waitcnt lgkmcnt(0)
	v_mul_f64 v[141:142], v[213:214], v[143:144]
	v_fma_f64 v[141:142], v[211:212], v[209:210], -v[141:142]
	v_mul_f64 v[211:212], v[211:212], v[143:144]
	v_add_f64 v[9:10], v[9:10], -v[141:142]
	v_fma_f64 v[211:212], v[213:214], v[209:210], v[211:212]
	v_add_f64 v[11:12], v[11:12], -v[211:212]
	ds_read2_b64 v[211:214], v253 offset0:100 offset1:101
	s_waitcnt lgkmcnt(0)
	v_mul_f64 v[141:142], v[213:214], v[143:144]
	v_fma_f64 v[141:142], v[211:212], v[209:210], -v[141:142]
	v_mul_f64 v[211:212], v[211:212], v[143:144]
	v_add_f64 v[5:6], v[5:6], -v[141:142]
	v_fma_f64 v[211:212], v[213:214], v[209:210], v[211:212]
	v_add_f64 v[7:8], v[7:8], -v[211:212]
	ds_read2_b64 v[211:214], v253 offset0:102 offset1:103
	s_waitcnt lgkmcnt(0)
	v_mul_f64 v[141:142], v[213:214], v[143:144]
	v_fma_f64 v[141:142], v[211:212], v[209:210], -v[141:142]
	v_mul_f64 v[211:212], v[211:212], v[143:144]
	v_add_f64 v[1:2], v[1:2], -v[141:142]
	v_fma_f64 v[211:212], v[213:214], v[209:210], v[211:212]
	v_mov_b32_e32 v141, v209
	v_mov_b32_e32 v142, v210
	v_add_f64 v[3:4], v[3:4], -v[211:212]
.LBB103_154:
	s_or_b32 exec_lo, exec_lo, s1
	s_mov_b32 s2, exec_lo
	s_waitcnt_vscnt null, 0x0
	s_barrier
	buffer_gl0_inv
	v_cmpx_eq_u32_e32 17, v0
	s_cbranch_execz .LBB103_161
; %bb.155:
	ds_write2_b64 v255, v[137:138], v[139:140] offset1:1
	ds_write2_b64 v253, v[133:134], v[135:136] offset0:36 offset1:37
	ds_write2_b64 v253, v[129:130], v[131:132] offset0:38 offset1:39
	;; [unrolled: 1-line block ×34, first 2 shown]
	ds_read2_b64 v[209:212], v255 offset1:1
	s_waitcnt lgkmcnt(0)
	v_cmp_neq_f64_e32 vcc_lo, 0, v[209:210]
	v_cmp_neq_f64_e64 s1, 0, v[211:212]
	s_or_b32 s1, vcc_lo, s1
	s_and_b32 exec_lo, exec_lo, s1
	s_cbranch_execz .LBB103_161
; %bb.156:
	v_cmp_ngt_f64_e64 s1, |v[209:210]|, |v[211:212]|
                                        ; implicit-def: $vgpr213_vgpr214
	s_and_saveexec_b32 s3, s1
	s_xor_b32 s1, exec_lo, s3
                                        ; implicit-def: $vgpr215_vgpr216
	s_cbranch_execz .LBB103_158
; %bb.157:
	v_div_scale_f64 v[213:214], null, v[211:212], v[211:212], v[209:210]
	v_div_scale_f64 v[219:220], vcc_lo, v[209:210], v[211:212], v[209:210]
	v_rcp_f64_e32 v[215:216], v[213:214]
	v_fma_f64 v[217:218], -v[213:214], v[215:216], 1.0
	v_fma_f64 v[215:216], v[215:216], v[217:218], v[215:216]
	v_fma_f64 v[217:218], -v[213:214], v[215:216], 1.0
	v_fma_f64 v[215:216], v[215:216], v[217:218], v[215:216]
	v_mul_f64 v[217:218], v[219:220], v[215:216]
	v_fma_f64 v[213:214], -v[213:214], v[217:218], v[219:220]
	v_div_fmas_f64 v[213:214], v[213:214], v[215:216], v[217:218]
	v_div_fixup_f64 v[213:214], v[213:214], v[211:212], v[209:210]
	v_fma_f64 v[209:210], v[209:210], v[213:214], v[211:212]
	v_div_scale_f64 v[211:212], null, v[209:210], v[209:210], 1.0
	v_rcp_f64_e32 v[215:216], v[211:212]
	v_fma_f64 v[217:218], -v[211:212], v[215:216], 1.0
	v_fma_f64 v[215:216], v[215:216], v[217:218], v[215:216]
	v_fma_f64 v[217:218], -v[211:212], v[215:216], 1.0
	v_fma_f64 v[215:216], v[215:216], v[217:218], v[215:216]
	v_div_scale_f64 v[217:218], vcc_lo, 1.0, v[209:210], 1.0
	v_mul_f64 v[219:220], v[217:218], v[215:216]
	v_fma_f64 v[211:212], -v[211:212], v[219:220], v[217:218]
	v_div_fmas_f64 v[211:212], v[211:212], v[215:216], v[219:220]
	v_div_fixup_f64 v[215:216], v[211:212], v[209:210], 1.0
                                        ; implicit-def: $vgpr209_vgpr210
	v_mul_f64 v[213:214], v[213:214], v[215:216]
	v_xor_b32_e32 v216, 0x80000000, v216
.LBB103_158:
	s_andn2_saveexec_b32 s1, s1
	s_cbranch_execz .LBB103_160
; %bb.159:
	v_div_scale_f64 v[213:214], null, v[209:210], v[209:210], v[211:212]
	v_div_scale_f64 v[219:220], vcc_lo, v[211:212], v[209:210], v[211:212]
	v_rcp_f64_e32 v[215:216], v[213:214]
	v_fma_f64 v[217:218], -v[213:214], v[215:216], 1.0
	v_fma_f64 v[215:216], v[215:216], v[217:218], v[215:216]
	v_fma_f64 v[217:218], -v[213:214], v[215:216], 1.0
	v_fma_f64 v[215:216], v[215:216], v[217:218], v[215:216]
	v_mul_f64 v[217:218], v[219:220], v[215:216]
	v_fma_f64 v[213:214], -v[213:214], v[217:218], v[219:220]
	v_div_fmas_f64 v[213:214], v[213:214], v[215:216], v[217:218]
	v_div_fixup_f64 v[215:216], v[213:214], v[209:210], v[211:212]
	v_fma_f64 v[209:210], v[211:212], v[215:216], v[209:210]
	v_div_scale_f64 v[211:212], null, v[209:210], v[209:210], 1.0
	v_rcp_f64_e32 v[213:214], v[211:212]
	v_fma_f64 v[217:218], -v[211:212], v[213:214], 1.0
	v_fma_f64 v[213:214], v[213:214], v[217:218], v[213:214]
	v_fma_f64 v[217:218], -v[211:212], v[213:214], 1.0
	v_fma_f64 v[213:214], v[213:214], v[217:218], v[213:214]
	v_div_scale_f64 v[217:218], vcc_lo, 1.0, v[209:210], 1.0
	v_mul_f64 v[219:220], v[217:218], v[213:214]
	v_fma_f64 v[211:212], -v[211:212], v[219:220], v[217:218]
	v_div_fmas_f64 v[211:212], v[211:212], v[213:214], v[219:220]
	v_div_fixup_f64 v[213:214], v[211:212], v[209:210], 1.0
	v_mul_f64 v[215:216], v[215:216], -v[213:214]
.LBB103_160:
	s_or_b32 exec_lo, exec_lo, s1
	ds_write2_b64 v255, v[213:214], v[215:216] offset1:1
.LBB103_161:
	s_or_b32 exec_lo, exec_lo, s2
	s_waitcnt lgkmcnt(0)
	s_barrier
	buffer_gl0_inv
	ds_read2_b64 v[203:206], v255 offset1:1
	s_mov_b32 s1, exec_lo
	s_waitcnt lgkmcnt(0)
	buffer_store_dword v203, off, s[16:19], 0 offset:696 ; 4-byte Folded Spill
	buffer_store_dword v204, off, s[16:19], 0 offset:700 ; 4-byte Folded Spill
	;; [unrolled: 1-line block ×4, first 2 shown]
	v_cmpx_lt_u32_e32 17, v0
	s_cbranch_execz .LBB103_163
; %bb.162:
	s_clause 0x3
	buffer_load_dword v203, off, s[16:19], 0 offset:696
	buffer_load_dword v204, off, s[16:19], 0 offset:700
	;; [unrolled: 1-line block ×4, first 2 shown]
	ds_read2_b64 v[211:214], v253 offset0:36 offset1:37
	s_waitcnt vmcnt(0)
	v_mul_f64 v[209:210], v[205:206], v[139:140]
	v_mul_f64 v[139:140], v[203:204], v[139:140]
	v_fma_f64 v[209:210], v[203:204], v[137:138], -v[209:210]
	v_fma_f64 v[139:140], v[205:206], v[137:138], v[139:140]
	s_waitcnt lgkmcnt(0)
	v_mul_f64 v[137:138], v[213:214], v[139:140]
	v_fma_f64 v[137:138], v[211:212], v[209:210], -v[137:138]
	v_mul_f64 v[211:212], v[211:212], v[139:140]
	v_add_f64 v[133:134], v[133:134], -v[137:138]
	v_fma_f64 v[211:212], v[213:214], v[209:210], v[211:212]
	v_add_f64 v[135:136], v[135:136], -v[211:212]
	ds_read2_b64 v[211:214], v253 offset0:38 offset1:39
	s_waitcnt lgkmcnt(0)
	v_mul_f64 v[137:138], v[213:214], v[139:140]
	v_fma_f64 v[137:138], v[211:212], v[209:210], -v[137:138]
	v_mul_f64 v[211:212], v[211:212], v[139:140]
	v_add_f64 v[129:130], v[129:130], -v[137:138]
	v_fma_f64 v[211:212], v[213:214], v[209:210], v[211:212]
	v_add_f64 v[131:132], v[131:132], -v[211:212]
	ds_read2_b64 v[211:214], v253 offset0:40 offset1:41
	;; [unrolled: 8-line block ×33, first 2 shown]
	s_waitcnt lgkmcnt(0)
	v_mul_f64 v[137:138], v[213:214], v[139:140]
	v_fma_f64 v[137:138], v[211:212], v[209:210], -v[137:138]
	v_mul_f64 v[211:212], v[211:212], v[139:140]
	v_add_f64 v[1:2], v[1:2], -v[137:138]
	v_fma_f64 v[211:212], v[213:214], v[209:210], v[211:212]
	v_mov_b32_e32 v137, v209
	v_mov_b32_e32 v138, v210
	v_add_f64 v[3:4], v[3:4], -v[211:212]
.LBB103_163:
	s_or_b32 exec_lo, exec_lo, s1
	s_mov_b32 s2, exec_lo
	s_waitcnt_vscnt null, 0x0
	s_barrier
	buffer_gl0_inv
	v_cmpx_eq_u32_e32 18, v0
	s_cbranch_execz .LBB103_170
; %bb.164:
	ds_write2_b64 v255, v[133:134], v[135:136] offset1:1
	ds_write2_b64 v253, v[129:130], v[131:132] offset0:38 offset1:39
	ds_write2_b64 v253, v[125:126], v[127:128] offset0:40 offset1:41
	;; [unrolled: 1-line block ×33, first 2 shown]
	ds_read2_b64 v[209:212], v255 offset1:1
	s_waitcnt lgkmcnt(0)
	v_cmp_neq_f64_e32 vcc_lo, 0, v[209:210]
	v_cmp_neq_f64_e64 s1, 0, v[211:212]
	s_or_b32 s1, vcc_lo, s1
	s_and_b32 exec_lo, exec_lo, s1
	s_cbranch_execz .LBB103_170
; %bb.165:
	v_cmp_ngt_f64_e64 s1, |v[209:210]|, |v[211:212]|
                                        ; implicit-def: $vgpr213_vgpr214
	s_and_saveexec_b32 s3, s1
	s_xor_b32 s1, exec_lo, s3
                                        ; implicit-def: $vgpr215_vgpr216
	s_cbranch_execz .LBB103_167
; %bb.166:
	v_div_scale_f64 v[213:214], null, v[211:212], v[211:212], v[209:210]
	v_div_scale_f64 v[219:220], vcc_lo, v[209:210], v[211:212], v[209:210]
	v_rcp_f64_e32 v[215:216], v[213:214]
	v_fma_f64 v[217:218], -v[213:214], v[215:216], 1.0
	v_fma_f64 v[215:216], v[215:216], v[217:218], v[215:216]
	v_fma_f64 v[217:218], -v[213:214], v[215:216], 1.0
	v_fma_f64 v[215:216], v[215:216], v[217:218], v[215:216]
	v_mul_f64 v[217:218], v[219:220], v[215:216]
	v_fma_f64 v[213:214], -v[213:214], v[217:218], v[219:220]
	v_div_fmas_f64 v[213:214], v[213:214], v[215:216], v[217:218]
	v_div_fixup_f64 v[213:214], v[213:214], v[211:212], v[209:210]
	v_fma_f64 v[209:210], v[209:210], v[213:214], v[211:212]
	v_div_scale_f64 v[211:212], null, v[209:210], v[209:210], 1.0
	v_rcp_f64_e32 v[215:216], v[211:212]
	v_fma_f64 v[217:218], -v[211:212], v[215:216], 1.0
	v_fma_f64 v[215:216], v[215:216], v[217:218], v[215:216]
	v_fma_f64 v[217:218], -v[211:212], v[215:216], 1.0
	v_fma_f64 v[215:216], v[215:216], v[217:218], v[215:216]
	v_div_scale_f64 v[217:218], vcc_lo, 1.0, v[209:210], 1.0
	v_mul_f64 v[219:220], v[217:218], v[215:216]
	v_fma_f64 v[211:212], -v[211:212], v[219:220], v[217:218]
	v_div_fmas_f64 v[211:212], v[211:212], v[215:216], v[219:220]
	v_div_fixup_f64 v[215:216], v[211:212], v[209:210], 1.0
                                        ; implicit-def: $vgpr209_vgpr210
	v_mul_f64 v[213:214], v[213:214], v[215:216]
	v_xor_b32_e32 v216, 0x80000000, v216
.LBB103_167:
	s_andn2_saveexec_b32 s1, s1
	s_cbranch_execz .LBB103_169
; %bb.168:
	v_div_scale_f64 v[213:214], null, v[209:210], v[209:210], v[211:212]
	v_div_scale_f64 v[219:220], vcc_lo, v[211:212], v[209:210], v[211:212]
	v_rcp_f64_e32 v[215:216], v[213:214]
	v_fma_f64 v[217:218], -v[213:214], v[215:216], 1.0
	v_fma_f64 v[215:216], v[215:216], v[217:218], v[215:216]
	v_fma_f64 v[217:218], -v[213:214], v[215:216], 1.0
	v_fma_f64 v[215:216], v[215:216], v[217:218], v[215:216]
	v_mul_f64 v[217:218], v[219:220], v[215:216]
	v_fma_f64 v[213:214], -v[213:214], v[217:218], v[219:220]
	v_div_fmas_f64 v[213:214], v[213:214], v[215:216], v[217:218]
	v_div_fixup_f64 v[215:216], v[213:214], v[209:210], v[211:212]
	v_fma_f64 v[209:210], v[211:212], v[215:216], v[209:210]
	v_div_scale_f64 v[211:212], null, v[209:210], v[209:210], 1.0
	v_rcp_f64_e32 v[213:214], v[211:212]
	v_fma_f64 v[217:218], -v[211:212], v[213:214], 1.0
	v_fma_f64 v[213:214], v[213:214], v[217:218], v[213:214]
	v_fma_f64 v[217:218], -v[211:212], v[213:214], 1.0
	v_fma_f64 v[213:214], v[213:214], v[217:218], v[213:214]
	v_div_scale_f64 v[217:218], vcc_lo, 1.0, v[209:210], 1.0
	v_mul_f64 v[219:220], v[217:218], v[213:214]
	v_fma_f64 v[211:212], -v[211:212], v[219:220], v[217:218]
	v_div_fmas_f64 v[211:212], v[211:212], v[213:214], v[219:220]
	v_div_fixup_f64 v[213:214], v[211:212], v[209:210], 1.0
	v_mul_f64 v[215:216], v[215:216], -v[213:214]
.LBB103_169:
	s_or_b32 exec_lo, exec_lo, s1
	ds_write2_b64 v255, v[213:214], v[215:216] offset1:1
.LBB103_170:
	s_or_b32 exec_lo, exec_lo, s2
	s_waitcnt lgkmcnt(0)
	s_barrier
	buffer_gl0_inv
	ds_read2_b64 v[203:206], v255 offset1:1
	s_mov_b32 s1, exec_lo
	s_waitcnt lgkmcnt(0)
	buffer_store_dword v203, off, s[16:19], 0 offset:712 ; 4-byte Folded Spill
	buffer_store_dword v204, off, s[16:19], 0 offset:716 ; 4-byte Folded Spill
	;; [unrolled: 1-line block ×4, first 2 shown]
	v_cmpx_lt_u32_e32 18, v0
	s_cbranch_execz .LBB103_172
; %bb.171:
	s_clause 0x3
	buffer_load_dword v203, off, s[16:19], 0 offset:712
	buffer_load_dword v204, off, s[16:19], 0 offset:716
	;; [unrolled: 1-line block ×4, first 2 shown]
	ds_read2_b64 v[211:214], v253 offset0:38 offset1:39
	s_waitcnt vmcnt(0)
	v_mul_f64 v[209:210], v[205:206], v[135:136]
	v_mul_f64 v[135:136], v[203:204], v[135:136]
	v_fma_f64 v[209:210], v[203:204], v[133:134], -v[209:210]
	v_fma_f64 v[135:136], v[205:206], v[133:134], v[135:136]
	s_waitcnt lgkmcnt(0)
	v_mul_f64 v[133:134], v[213:214], v[135:136]
	v_fma_f64 v[133:134], v[211:212], v[209:210], -v[133:134]
	v_mul_f64 v[211:212], v[211:212], v[135:136]
	v_add_f64 v[129:130], v[129:130], -v[133:134]
	v_fma_f64 v[211:212], v[213:214], v[209:210], v[211:212]
	v_add_f64 v[131:132], v[131:132], -v[211:212]
	ds_read2_b64 v[211:214], v253 offset0:40 offset1:41
	s_waitcnt lgkmcnt(0)
	v_mul_f64 v[133:134], v[213:214], v[135:136]
	v_fma_f64 v[133:134], v[211:212], v[209:210], -v[133:134]
	v_mul_f64 v[211:212], v[211:212], v[135:136]
	v_add_f64 v[125:126], v[125:126], -v[133:134]
	v_fma_f64 v[211:212], v[213:214], v[209:210], v[211:212]
	v_add_f64 v[127:128], v[127:128], -v[211:212]
	ds_read2_b64 v[211:214], v253 offset0:42 offset1:43
	;; [unrolled: 8-line block ×32, first 2 shown]
	s_waitcnt lgkmcnt(0)
	v_mul_f64 v[133:134], v[213:214], v[135:136]
	v_fma_f64 v[133:134], v[211:212], v[209:210], -v[133:134]
	v_mul_f64 v[211:212], v[211:212], v[135:136]
	v_add_f64 v[1:2], v[1:2], -v[133:134]
	v_fma_f64 v[211:212], v[213:214], v[209:210], v[211:212]
	v_mov_b32_e32 v133, v209
	v_mov_b32_e32 v134, v210
	v_add_f64 v[3:4], v[3:4], -v[211:212]
.LBB103_172:
	s_or_b32 exec_lo, exec_lo, s1
	s_mov_b32 s2, exec_lo
	s_waitcnt_vscnt null, 0x0
	s_barrier
	buffer_gl0_inv
	v_cmpx_eq_u32_e32 19, v0
	s_cbranch_execz .LBB103_179
; %bb.173:
	ds_write2_b64 v255, v[129:130], v[131:132] offset1:1
	ds_write2_b64 v253, v[125:126], v[127:128] offset0:40 offset1:41
	ds_write2_b64 v253, v[121:122], v[123:124] offset0:42 offset1:43
	;; [unrolled: 1-line block ×32, first 2 shown]
	ds_read2_b64 v[209:212], v255 offset1:1
	s_waitcnt lgkmcnt(0)
	v_cmp_neq_f64_e32 vcc_lo, 0, v[209:210]
	v_cmp_neq_f64_e64 s1, 0, v[211:212]
	s_or_b32 s1, vcc_lo, s1
	s_and_b32 exec_lo, exec_lo, s1
	s_cbranch_execz .LBB103_179
; %bb.174:
	v_cmp_ngt_f64_e64 s1, |v[209:210]|, |v[211:212]|
                                        ; implicit-def: $vgpr213_vgpr214
	s_and_saveexec_b32 s3, s1
	s_xor_b32 s1, exec_lo, s3
                                        ; implicit-def: $vgpr215_vgpr216
	s_cbranch_execz .LBB103_176
; %bb.175:
	v_div_scale_f64 v[213:214], null, v[211:212], v[211:212], v[209:210]
	v_div_scale_f64 v[219:220], vcc_lo, v[209:210], v[211:212], v[209:210]
	v_rcp_f64_e32 v[215:216], v[213:214]
	v_fma_f64 v[217:218], -v[213:214], v[215:216], 1.0
	v_fma_f64 v[215:216], v[215:216], v[217:218], v[215:216]
	v_fma_f64 v[217:218], -v[213:214], v[215:216], 1.0
	v_fma_f64 v[215:216], v[215:216], v[217:218], v[215:216]
	v_mul_f64 v[217:218], v[219:220], v[215:216]
	v_fma_f64 v[213:214], -v[213:214], v[217:218], v[219:220]
	v_div_fmas_f64 v[213:214], v[213:214], v[215:216], v[217:218]
	v_div_fixup_f64 v[213:214], v[213:214], v[211:212], v[209:210]
	v_fma_f64 v[209:210], v[209:210], v[213:214], v[211:212]
	v_div_scale_f64 v[211:212], null, v[209:210], v[209:210], 1.0
	v_rcp_f64_e32 v[215:216], v[211:212]
	v_fma_f64 v[217:218], -v[211:212], v[215:216], 1.0
	v_fma_f64 v[215:216], v[215:216], v[217:218], v[215:216]
	v_fma_f64 v[217:218], -v[211:212], v[215:216], 1.0
	v_fma_f64 v[215:216], v[215:216], v[217:218], v[215:216]
	v_div_scale_f64 v[217:218], vcc_lo, 1.0, v[209:210], 1.0
	v_mul_f64 v[219:220], v[217:218], v[215:216]
	v_fma_f64 v[211:212], -v[211:212], v[219:220], v[217:218]
	v_div_fmas_f64 v[211:212], v[211:212], v[215:216], v[219:220]
	v_div_fixup_f64 v[215:216], v[211:212], v[209:210], 1.0
                                        ; implicit-def: $vgpr209_vgpr210
	v_mul_f64 v[213:214], v[213:214], v[215:216]
	v_xor_b32_e32 v216, 0x80000000, v216
.LBB103_176:
	s_andn2_saveexec_b32 s1, s1
	s_cbranch_execz .LBB103_178
; %bb.177:
	v_div_scale_f64 v[213:214], null, v[209:210], v[209:210], v[211:212]
	v_div_scale_f64 v[219:220], vcc_lo, v[211:212], v[209:210], v[211:212]
	v_rcp_f64_e32 v[215:216], v[213:214]
	v_fma_f64 v[217:218], -v[213:214], v[215:216], 1.0
	v_fma_f64 v[215:216], v[215:216], v[217:218], v[215:216]
	v_fma_f64 v[217:218], -v[213:214], v[215:216], 1.0
	v_fma_f64 v[215:216], v[215:216], v[217:218], v[215:216]
	v_mul_f64 v[217:218], v[219:220], v[215:216]
	v_fma_f64 v[213:214], -v[213:214], v[217:218], v[219:220]
	v_div_fmas_f64 v[213:214], v[213:214], v[215:216], v[217:218]
	v_div_fixup_f64 v[215:216], v[213:214], v[209:210], v[211:212]
	v_fma_f64 v[209:210], v[211:212], v[215:216], v[209:210]
	v_div_scale_f64 v[211:212], null, v[209:210], v[209:210], 1.0
	v_rcp_f64_e32 v[213:214], v[211:212]
	v_fma_f64 v[217:218], -v[211:212], v[213:214], 1.0
	v_fma_f64 v[213:214], v[213:214], v[217:218], v[213:214]
	v_fma_f64 v[217:218], -v[211:212], v[213:214], 1.0
	v_fma_f64 v[213:214], v[213:214], v[217:218], v[213:214]
	v_div_scale_f64 v[217:218], vcc_lo, 1.0, v[209:210], 1.0
	v_mul_f64 v[219:220], v[217:218], v[213:214]
	v_fma_f64 v[211:212], -v[211:212], v[219:220], v[217:218]
	v_div_fmas_f64 v[211:212], v[211:212], v[213:214], v[219:220]
	v_div_fixup_f64 v[213:214], v[211:212], v[209:210], 1.0
	v_mul_f64 v[215:216], v[215:216], -v[213:214]
.LBB103_178:
	s_or_b32 exec_lo, exec_lo, s1
	ds_write2_b64 v255, v[213:214], v[215:216] offset1:1
.LBB103_179:
	s_or_b32 exec_lo, exec_lo, s2
	s_waitcnt lgkmcnt(0)
	s_barrier
	buffer_gl0_inv
	ds_read2_b64 v[203:206], v255 offset1:1
	s_mov_b32 s1, exec_lo
	s_waitcnt lgkmcnt(0)
	buffer_store_dword v203, off, s[16:19], 0 offset:728 ; 4-byte Folded Spill
	buffer_store_dword v204, off, s[16:19], 0 offset:732 ; 4-byte Folded Spill
	buffer_store_dword v205, off, s[16:19], 0 offset:736 ; 4-byte Folded Spill
	buffer_store_dword v206, off, s[16:19], 0 offset:740 ; 4-byte Folded Spill
	v_cmpx_lt_u32_e32 19, v0
	s_cbranch_execz .LBB103_181
; %bb.180:
	s_clause 0x3
	buffer_load_dword v203, off, s[16:19], 0 offset:728
	buffer_load_dword v204, off, s[16:19], 0 offset:732
	;; [unrolled: 1-line block ×4, first 2 shown]
	ds_read2_b64 v[211:214], v253 offset0:40 offset1:41
	s_waitcnt vmcnt(0)
	v_mul_f64 v[209:210], v[205:206], v[131:132]
	v_mul_f64 v[131:132], v[203:204], v[131:132]
	v_fma_f64 v[209:210], v[203:204], v[129:130], -v[209:210]
	v_fma_f64 v[131:132], v[205:206], v[129:130], v[131:132]
	s_waitcnt lgkmcnt(0)
	v_mul_f64 v[129:130], v[213:214], v[131:132]
	v_fma_f64 v[129:130], v[211:212], v[209:210], -v[129:130]
	v_mul_f64 v[211:212], v[211:212], v[131:132]
	v_add_f64 v[125:126], v[125:126], -v[129:130]
	v_fma_f64 v[211:212], v[213:214], v[209:210], v[211:212]
	v_add_f64 v[127:128], v[127:128], -v[211:212]
	ds_read2_b64 v[211:214], v253 offset0:42 offset1:43
	s_waitcnt lgkmcnt(0)
	v_mul_f64 v[129:130], v[213:214], v[131:132]
	v_fma_f64 v[129:130], v[211:212], v[209:210], -v[129:130]
	v_mul_f64 v[211:212], v[211:212], v[131:132]
	v_add_f64 v[121:122], v[121:122], -v[129:130]
	v_fma_f64 v[211:212], v[213:214], v[209:210], v[211:212]
	v_add_f64 v[123:124], v[123:124], -v[211:212]
	ds_read2_b64 v[211:214], v253 offset0:44 offset1:45
	;; [unrolled: 8-line block ×31, first 2 shown]
	s_waitcnt lgkmcnt(0)
	v_mul_f64 v[129:130], v[213:214], v[131:132]
	v_fma_f64 v[129:130], v[211:212], v[209:210], -v[129:130]
	v_mul_f64 v[211:212], v[211:212], v[131:132]
	v_add_f64 v[1:2], v[1:2], -v[129:130]
	v_fma_f64 v[211:212], v[213:214], v[209:210], v[211:212]
	v_mov_b32_e32 v129, v209
	v_mov_b32_e32 v130, v210
	v_add_f64 v[3:4], v[3:4], -v[211:212]
.LBB103_181:
	s_or_b32 exec_lo, exec_lo, s1
	s_mov_b32 s2, exec_lo
	s_waitcnt_vscnt null, 0x0
	s_barrier
	buffer_gl0_inv
	v_cmpx_eq_u32_e32 20, v0
	s_cbranch_execz .LBB103_188
; %bb.182:
	ds_write2_b64 v255, v[125:126], v[127:128] offset1:1
	ds_write2_b64 v253, v[121:122], v[123:124] offset0:42 offset1:43
	ds_write2_b64 v253, v[117:118], v[119:120] offset0:44 offset1:45
	;; [unrolled: 1-line block ×31, first 2 shown]
	ds_read2_b64 v[209:212], v255 offset1:1
	s_waitcnt lgkmcnt(0)
	v_cmp_neq_f64_e32 vcc_lo, 0, v[209:210]
	v_cmp_neq_f64_e64 s1, 0, v[211:212]
	s_or_b32 s1, vcc_lo, s1
	s_and_b32 exec_lo, exec_lo, s1
	s_cbranch_execz .LBB103_188
; %bb.183:
	v_cmp_ngt_f64_e64 s1, |v[209:210]|, |v[211:212]|
                                        ; implicit-def: $vgpr213_vgpr214
	s_and_saveexec_b32 s3, s1
	s_xor_b32 s1, exec_lo, s3
                                        ; implicit-def: $vgpr215_vgpr216
	s_cbranch_execz .LBB103_185
; %bb.184:
	v_div_scale_f64 v[213:214], null, v[211:212], v[211:212], v[209:210]
	v_div_scale_f64 v[219:220], vcc_lo, v[209:210], v[211:212], v[209:210]
	v_rcp_f64_e32 v[215:216], v[213:214]
	v_fma_f64 v[217:218], -v[213:214], v[215:216], 1.0
	v_fma_f64 v[215:216], v[215:216], v[217:218], v[215:216]
	v_fma_f64 v[217:218], -v[213:214], v[215:216], 1.0
	v_fma_f64 v[215:216], v[215:216], v[217:218], v[215:216]
	v_mul_f64 v[217:218], v[219:220], v[215:216]
	v_fma_f64 v[213:214], -v[213:214], v[217:218], v[219:220]
	v_div_fmas_f64 v[213:214], v[213:214], v[215:216], v[217:218]
	v_div_fixup_f64 v[213:214], v[213:214], v[211:212], v[209:210]
	v_fma_f64 v[209:210], v[209:210], v[213:214], v[211:212]
	v_div_scale_f64 v[211:212], null, v[209:210], v[209:210], 1.0
	v_rcp_f64_e32 v[215:216], v[211:212]
	v_fma_f64 v[217:218], -v[211:212], v[215:216], 1.0
	v_fma_f64 v[215:216], v[215:216], v[217:218], v[215:216]
	v_fma_f64 v[217:218], -v[211:212], v[215:216], 1.0
	v_fma_f64 v[215:216], v[215:216], v[217:218], v[215:216]
	v_div_scale_f64 v[217:218], vcc_lo, 1.0, v[209:210], 1.0
	v_mul_f64 v[219:220], v[217:218], v[215:216]
	v_fma_f64 v[211:212], -v[211:212], v[219:220], v[217:218]
	v_div_fmas_f64 v[211:212], v[211:212], v[215:216], v[219:220]
	v_div_fixup_f64 v[215:216], v[211:212], v[209:210], 1.0
                                        ; implicit-def: $vgpr209_vgpr210
	v_mul_f64 v[213:214], v[213:214], v[215:216]
	v_xor_b32_e32 v216, 0x80000000, v216
.LBB103_185:
	s_andn2_saveexec_b32 s1, s1
	s_cbranch_execz .LBB103_187
; %bb.186:
	v_div_scale_f64 v[213:214], null, v[209:210], v[209:210], v[211:212]
	v_div_scale_f64 v[219:220], vcc_lo, v[211:212], v[209:210], v[211:212]
	v_rcp_f64_e32 v[215:216], v[213:214]
	v_fma_f64 v[217:218], -v[213:214], v[215:216], 1.0
	v_fma_f64 v[215:216], v[215:216], v[217:218], v[215:216]
	v_fma_f64 v[217:218], -v[213:214], v[215:216], 1.0
	v_fma_f64 v[215:216], v[215:216], v[217:218], v[215:216]
	v_mul_f64 v[217:218], v[219:220], v[215:216]
	v_fma_f64 v[213:214], -v[213:214], v[217:218], v[219:220]
	v_div_fmas_f64 v[213:214], v[213:214], v[215:216], v[217:218]
	v_div_fixup_f64 v[215:216], v[213:214], v[209:210], v[211:212]
	v_fma_f64 v[209:210], v[211:212], v[215:216], v[209:210]
	v_div_scale_f64 v[211:212], null, v[209:210], v[209:210], 1.0
	v_rcp_f64_e32 v[213:214], v[211:212]
	v_fma_f64 v[217:218], -v[211:212], v[213:214], 1.0
	v_fma_f64 v[213:214], v[213:214], v[217:218], v[213:214]
	v_fma_f64 v[217:218], -v[211:212], v[213:214], 1.0
	v_fma_f64 v[213:214], v[213:214], v[217:218], v[213:214]
	v_div_scale_f64 v[217:218], vcc_lo, 1.0, v[209:210], 1.0
	v_mul_f64 v[219:220], v[217:218], v[213:214]
	v_fma_f64 v[211:212], -v[211:212], v[219:220], v[217:218]
	v_div_fmas_f64 v[211:212], v[211:212], v[213:214], v[219:220]
	v_div_fixup_f64 v[213:214], v[211:212], v[209:210], 1.0
	v_mul_f64 v[215:216], v[215:216], -v[213:214]
.LBB103_187:
	s_or_b32 exec_lo, exec_lo, s1
	ds_write2_b64 v255, v[213:214], v[215:216] offset1:1
.LBB103_188:
	s_or_b32 exec_lo, exec_lo, s2
	s_waitcnt lgkmcnt(0)
	s_barrier
	buffer_gl0_inv
	ds_read2_b64 v[203:206], v255 offset1:1
	s_mov_b32 s1, exec_lo
	s_waitcnt lgkmcnt(0)
	buffer_store_dword v203, off, s[16:19], 0 offset:744 ; 4-byte Folded Spill
	buffer_store_dword v204, off, s[16:19], 0 offset:748 ; 4-byte Folded Spill
	;; [unrolled: 1-line block ×4, first 2 shown]
	v_cmpx_lt_u32_e32 20, v0
	s_cbranch_execz .LBB103_190
; %bb.189:
	s_clause 0x3
	buffer_load_dword v203, off, s[16:19], 0 offset:744
	buffer_load_dword v204, off, s[16:19], 0 offset:748
	;; [unrolled: 1-line block ×4, first 2 shown]
	ds_read2_b64 v[211:214], v253 offset0:42 offset1:43
	s_waitcnt vmcnt(0)
	v_mul_f64 v[209:210], v[205:206], v[127:128]
	v_mul_f64 v[127:128], v[203:204], v[127:128]
	v_fma_f64 v[209:210], v[203:204], v[125:126], -v[209:210]
	v_fma_f64 v[127:128], v[205:206], v[125:126], v[127:128]
	s_waitcnt lgkmcnt(0)
	v_mul_f64 v[125:126], v[213:214], v[127:128]
	v_fma_f64 v[125:126], v[211:212], v[209:210], -v[125:126]
	v_mul_f64 v[211:212], v[211:212], v[127:128]
	v_add_f64 v[121:122], v[121:122], -v[125:126]
	v_fma_f64 v[211:212], v[213:214], v[209:210], v[211:212]
	v_add_f64 v[123:124], v[123:124], -v[211:212]
	ds_read2_b64 v[211:214], v253 offset0:44 offset1:45
	s_waitcnt lgkmcnt(0)
	v_mul_f64 v[125:126], v[213:214], v[127:128]
	v_fma_f64 v[125:126], v[211:212], v[209:210], -v[125:126]
	v_mul_f64 v[211:212], v[211:212], v[127:128]
	v_add_f64 v[117:118], v[117:118], -v[125:126]
	v_fma_f64 v[211:212], v[213:214], v[209:210], v[211:212]
	v_add_f64 v[119:120], v[119:120], -v[211:212]
	ds_read2_b64 v[211:214], v253 offset0:46 offset1:47
	;; [unrolled: 8-line block ×30, first 2 shown]
	s_waitcnt lgkmcnt(0)
	v_mul_f64 v[125:126], v[213:214], v[127:128]
	v_fma_f64 v[125:126], v[211:212], v[209:210], -v[125:126]
	v_mul_f64 v[211:212], v[211:212], v[127:128]
	v_add_f64 v[1:2], v[1:2], -v[125:126]
	v_fma_f64 v[211:212], v[213:214], v[209:210], v[211:212]
	v_mov_b32_e32 v125, v209
	v_mov_b32_e32 v126, v210
	v_add_f64 v[3:4], v[3:4], -v[211:212]
.LBB103_190:
	s_or_b32 exec_lo, exec_lo, s1
	s_mov_b32 s2, exec_lo
	s_waitcnt_vscnt null, 0x0
	s_barrier
	buffer_gl0_inv
	v_cmpx_eq_u32_e32 21, v0
	s_cbranch_execz .LBB103_197
; %bb.191:
	ds_write2_b64 v255, v[121:122], v[123:124] offset1:1
	ds_write2_b64 v253, v[117:118], v[119:120] offset0:44 offset1:45
	ds_write2_b64 v253, v[113:114], v[115:116] offset0:46 offset1:47
	;; [unrolled: 1-line block ×30, first 2 shown]
	ds_read2_b64 v[209:212], v255 offset1:1
	s_waitcnt lgkmcnt(0)
	v_cmp_neq_f64_e32 vcc_lo, 0, v[209:210]
	v_cmp_neq_f64_e64 s1, 0, v[211:212]
	s_or_b32 s1, vcc_lo, s1
	s_and_b32 exec_lo, exec_lo, s1
	s_cbranch_execz .LBB103_197
; %bb.192:
	v_cmp_ngt_f64_e64 s1, |v[209:210]|, |v[211:212]|
                                        ; implicit-def: $vgpr213_vgpr214
	s_and_saveexec_b32 s3, s1
	s_xor_b32 s1, exec_lo, s3
                                        ; implicit-def: $vgpr215_vgpr216
	s_cbranch_execz .LBB103_194
; %bb.193:
	v_div_scale_f64 v[213:214], null, v[211:212], v[211:212], v[209:210]
	v_div_scale_f64 v[219:220], vcc_lo, v[209:210], v[211:212], v[209:210]
	v_rcp_f64_e32 v[215:216], v[213:214]
	v_fma_f64 v[217:218], -v[213:214], v[215:216], 1.0
	v_fma_f64 v[215:216], v[215:216], v[217:218], v[215:216]
	v_fma_f64 v[217:218], -v[213:214], v[215:216], 1.0
	v_fma_f64 v[215:216], v[215:216], v[217:218], v[215:216]
	v_mul_f64 v[217:218], v[219:220], v[215:216]
	v_fma_f64 v[213:214], -v[213:214], v[217:218], v[219:220]
	v_div_fmas_f64 v[213:214], v[213:214], v[215:216], v[217:218]
	v_div_fixup_f64 v[213:214], v[213:214], v[211:212], v[209:210]
	v_fma_f64 v[209:210], v[209:210], v[213:214], v[211:212]
	v_div_scale_f64 v[211:212], null, v[209:210], v[209:210], 1.0
	v_rcp_f64_e32 v[215:216], v[211:212]
	v_fma_f64 v[217:218], -v[211:212], v[215:216], 1.0
	v_fma_f64 v[215:216], v[215:216], v[217:218], v[215:216]
	v_fma_f64 v[217:218], -v[211:212], v[215:216], 1.0
	v_fma_f64 v[215:216], v[215:216], v[217:218], v[215:216]
	v_div_scale_f64 v[217:218], vcc_lo, 1.0, v[209:210], 1.0
	v_mul_f64 v[219:220], v[217:218], v[215:216]
	v_fma_f64 v[211:212], -v[211:212], v[219:220], v[217:218]
	v_div_fmas_f64 v[211:212], v[211:212], v[215:216], v[219:220]
	v_div_fixup_f64 v[215:216], v[211:212], v[209:210], 1.0
                                        ; implicit-def: $vgpr209_vgpr210
	v_mul_f64 v[213:214], v[213:214], v[215:216]
	v_xor_b32_e32 v216, 0x80000000, v216
.LBB103_194:
	s_andn2_saveexec_b32 s1, s1
	s_cbranch_execz .LBB103_196
; %bb.195:
	v_div_scale_f64 v[213:214], null, v[209:210], v[209:210], v[211:212]
	v_div_scale_f64 v[219:220], vcc_lo, v[211:212], v[209:210], v[211:212]
	v_rcp_f64_e32 v[215:216], v[213:214]
	v_fma_f64 v[217:218], -v[213:214], v[215:216], 1.0
	v_fma_f64 v[215:216], v[215:216], v[217:218], v[215:216]
	v_fma_f64 v[217:218], -v[213:214], v[215:216], 1.0
	v_fma_f64 v[215:216], v[215:216], v[217:218], v[215:216]
	v_mul_f64 v[217:218], v[219:220], v[215:216]
	v_fma_f64 v[213:214], -v[213:214], v[217:218], v[219:220]
	v_div_fmas_f64 v[213:214], v[213:214], v[215:216], v[217:218]
	v_div_fixup_f64 v[215:216], v[213:214], v[209:210], v[211:212]
	v_fma_f64 v[209:210], v[211:212], v[215:216], v[209:210]
	v_div_scale_f64 v[211:212], null, v[209:210], v[209:210], 1.0
	v_rcp_f64_e32 v[213:214], v[211:212]
	v_fma_f64 v[217:218], -v[211:212], v[213:214], 1.0
	v_fma_f64 v[213:214], v[213:214], v[217:218], v[213:214]
	v_fma_f64 v[217:218], -v[211:212], v[213:214], 1.0
	v_fma_f64 v[213:214], v[213:214], v[217:218], v[213:214]
	v_div_scale_f64 v[217:218], vcc_lo, 1.0, v[209:210], 1.0
	v_mul_f64 v[219:220], v[217:218], v[213:214]
	v_fma_f64 v[211:212], -v[211:212], v[219:220], v[217:218]
	v_div_fmas_f64 v[211:212], v[211:212], v[213:214], v[219:220]
	v_div_fixup_f64 v[213:214], v[211:212], v[209:210], 1.0
	v_mul_f64 v[215:216], v[215:216], -v[213:214]
.LBB103_196:
	s_or_b32 exec_lo, exec_lo, s1
	ds_write2_b64 v255, v[213:214], v[215:216] offset1:1
.LBB103_197:
	s_or_b32 exec_lo, exec_lo, s2
	s_waitcnt lgkmcnt(0)
	s_barrier
	buffer_gl0_inv
	ds_read2_b64 v[203:206], v255 offset1:1
	s_mov_b32 s1, exec_lo
	s_waitcnt lgkmcnt(0)
	buffer_store_dword v203, off, s[16:19], 0 offset:760 ; 4-byte Folded Spill
	buffer_store_dword v204, off, s[16:19], 0 offset:764 ; 4-byte Folded Spill
	;; [unrolled: 1-line block ×4, first 2 shown]
	v_cmpx_lt_u32_e32 21, v0
	s_cbranch_execz .LBB103_199
; %bb.198:
	s_clause 0x3
	buffer_load_dword v203, off, s[16:19], 0 offset:760
	buffer_load_dword v204, off, s[16:19], 0 offset:764
	;; [unrolled: 1-line block ×4, first 2 shown]
	ds_read2_b64 v[211:214], v253 offset0:44 offset1:45
	s_waitcnt vmcnt(0)
	v_mul_f64 v[209:210], v[205:206], v[123:124]
	v_mul_f64 v[123:124], v[203:204], v[123:124]
	v_fma_f64 v[209:210], v[203:204], v[121:122], -v[209:210]
	v_fma_f64 v[123:124], v[205:206], v[121:122], v[123:124]
	s_waitcnt lgkmcnt(0)
	v_mul_f64 v[121:122], v[213:214], v[123:124]
	v_fma_f64 v[121:122], v[211:212], v[209:210], -v[121:122]
	v_mul_f64 v[211:212], v[211:212], v[123:124]
	v_add_f64 v[117:118], v[117:118], -v[121:122]
	v_fma_f64 v[211:212], v[213:214], v[209:210], v[211:212]
	v_add_f64 v[119:120], v[119:120], -v[211:212]
	ds_read2_b64 v[211:214], v253 offset0:46 offset1:47
	s_waitcnt lgkmcnt(0)
	v_mul_f64 v[121:122], v[213:214], v[123:124]
	v_fma_f64 v[121:122], v[211:212], v[209:210], -v[121:122]
	v_mul_f64 v[211:212], v[211:212], v[123:124]
	v_add_f64 v[113:114], v[113:114], -v[121:122]
	v_fma_f64 v[211:212], v[213:214], v[209:210], v[211:212]
	v_add_f64 v[115:116], v[115:116], -v[211:212]
	ds_read2_b64 v[211:214], v253 offset0:48 offset1:49
	s_waitcnt lgkmcnt(0)
	v_mul_f64 v[121:122], v[213:214], v[123:124]
	v_fma_f64 v[121:122], v[211:212], v[209:210], -v[121:122]
	v_mul_f64 v[211:212], v[211:212], v[123:124]
	v_add_f64 v[109:110], v[109:110], -v[121:122]
	v_fma_f64 v[211:212], v[213:214], v[209:210], v[211:212]
	v_add_f64 v[111:112], v[111:112], -v[211:212]
	ds_read2_b64 v[211:214], v253 offset0:50 offset1:51
	s_waitcnt lgkmcnt(0)
	v_mul_f64 v[121:122], v[213:214], v[123:124]
	v_fma_f64 v[121:122], v[211:212], v[209:210], -v[121:122]
	v_mul_f64 v[211:212], v[211:212], v[123:124]
	v_add_f64 v[105:106], v[105:106], -v[121:122]
	v_fma_f64 v[211:212], v[213:214], v[209:210], v[211:212]
	v_add_f64 v[107:108], v[107:108], -v[211:212]
	ds_read2_b64 v[211:214], v253 offset0:52 offset1:53
	s_waitcnt lgkmcnt(0)
	v_mul_f64 v[121:122], v[213:214], v[123:124]
	v_fma_f64 v[121:122], v[211:212], v[209:210], -v[121:122]
	v_mul_f64 v[211:212], v[211:212], v[123:124]
	v_add_f64 v[101:102], v[101:102], -v[121:122]
	v_fma_f64 v[211:212], v[213:214], v[209:210], v[211:212]
	v_add_f64 v[103:104], v[103:104], -v[211:212]
	ds_read2_b64 v[211:214], v253 offset0:54 offset1:55
	s_waitcnt lgkmcnt(0)
	v_mul_f64 v[121:122], v[213:214], v[123:124]
	v_fma_f64 v[121:122], v[211:212], v[209:210], -v[121:122]
	v_mul_f64 v[211:212], v[211:212], v[123:124]
	v_add_f64 v[97:98], v[97:98], -v[121:122]
	v_fma_f64 v[211:212], v[213:214], v[209:210], v[211:212]
	v_add_f64 v[99:100], v[99:100], -v[211:212]
	ds_read2_b64 v[211:214], v253 offset0:56 offset1:57
	s_waitcnt lgkmcnt(0)
	v_mul_f64 v[121:122], v[213:214], v[123:124]
	v_fma_f64 v[121:122], v[211:212], v[209:210], -v[121:122]
	v_mul_f64 v[211:212], v[211:212], v[123:124]
	v_add_f64 v[93:94], v[93:94], -v[121:122]
	v_fma_f64 v[211:212], v[213:214], v[209:210], v[211:212]
	v_add_f64 v[95:96], v[95:96], -v[211:212]
	ds_read2_b64 v[211:214], v253 offset0:58 offset1:59
	s_waitcnt lgkmcnt(0)
	v_mul_f64 v[121:122], v[213:214], v[123:124]
	v_fma_f64 v[121:122], v[211:212], v[209:210], -v[121:122]
	v_mul_f64 v[211:212], v[211:212], v[123:124]
	v_add_f64 v[89:90], v[89:90], -v[121:122]
	v_fma_f64 v[211:212], v[213:214], v[209:210], v[211:212]
	v_add_f64 v[91:92], v[91:92], -v[211:212]
	ds_read2_b64 v[211:214], v253 offset0:60 offset1:61
	s_waitcnt lgkmcnt(0)
	v_mul_f64 v[121:122], v[213:214], v[123:124]
	v_fma_f64 v[121:122], v[211:212], v[209:210], -v[121:122]
	v_mul_f64 v[211:212], v[211:212], v[123:124]
	v_add_f64 v[85:86], v[85:86], -v[121:122]
	v_fma_f64 v[211:212], v[213:214], v[209:210], v[211:212]
	v_add_f64 v[87:88], v[87:88], -v[211:212]
	ds_read2_b64 v[211:214], v253 offset0:62 offset1:63
	s_waitcnt lgkmcnt(0)
	v_mul_f64 v[121:122], v[213:214], v[123:124]
	v_fma_f64 v[121:122], v[211:212], v[209:210], -v[121:122]
	v_mul_f64 v[211:212], v[211:212], v[123:124]
	v_add_f64 v[81:82], v[81:82], -v[121:122]
	v_fma_f64 v[211:212], v[213:214], v[209:210], v[211:212]
	v_add_f64 v[83:84], v[83:84], -v[211:212]
	ds_read2_b64 v[211:214], v253 offset0:64 offset1:65
	s_waitcnt lgkmcnt(0)
	v_mul_f64 v[121:122], v[213:214], v[123:124]
	v_fma_f64 v[121:122], v[211:212], v[209:210], -v[121:122]
	v_mul_f64 v[211:212], v[211:212], v[123:124]
	v_add_f64 v[77:78], v[77:78], -v[121:122]
	v_fma_f64 v[211:212], v[213:214], v[209:210], v[211:212]
	v_add_f64 v[79:80], v[79:80], -v[211:212]
	ds_read2_b64 v[211:214], v253 offset0:66 offset1:67
	s_waitcnt lgkmcnt(0)
	v_mul_f64 v[121:122], v[213:214], v[123:124]
	v_fma_f64 v[121:122], v[211:212], v[209:210], -v[121:122]
	v_mul_f64 v[211:212], v[211:212], v[123:124]
	v_add_f64 v[73:74], v[73:74], -v[121:122]
	v_fma_f64 v[211:212], v[213:214], v[209:210], v[211:212]
	v_add_f64 v[75:76], v[75:76], -v[211:212]
	ds_read2_b64 v[211:214], v253 offset0:68 offset1:69
	s_waitcnt lgkmcnt(0)
	v_mul_f64 v[121:122], v[213:214], v[123:124]
	v_fma_f64 v[121:122], v[211:212], v[209:210], -v[121:122]
	v_mul_f64 v[211:212], v[211:212], v[123:124]
	v_add_f64 v[69:70], v[69:70], -v[121:122]
	v_fma_f64 v[211:212], v[213:214], v[209:210], v[211:212]
	v_add_f64 v[71:72], v[71:72], -v[211:212]
	ds_read2_b64 v[211:214], v253 offset0:70 offset1:71
	s_waitcnt lgkmcnt(0)
	v_mul_f64 v[121:122], v[213:214], v[123:124]
	v_fma_f64 v[121:122], v[211:212], v[209:210], -v[121:122]
	v_mul_f64 v[211:212], v[211:212], v[123:124]
	v_add_f64 v[65:66], v[65:66], -v[121:122]
	v_fma_f64 v[211:212], v[213:214], v[209:210], v[211:212]
	v_add_f64 v[67:68], v[67:68], -v[211:212]
	ds_read2_b64 v[211:214], v253 offset0:72 offset1:73
	s_waitcnt lgkmcnt(0)
	v_mul_f64 v[121:122], v[213:214], v[123:124]
	v_fma_f64 v[121:122], v[211:212], v[209:210], -v[121:122]
	v_mul_f64 v[211:212], v[211:212], v[123:124]
	v_add_f64 v[61:62], v[61:62], -v[121:122]
	v_fma_f64 v[211:212], v[213:214], v[209:210], v[211:212]
	v_add_f64 v[63:64], v[63:64], -v[211:212]
	ds_read2_b64 v[211:214], v253 offset0:74 offset1:75
	s_waitcnt lgkmcnt(0)
	v_mul_f64 v[121:122], v[213:214], v[123:124]
	v_fma_f64 v[121:122], v[211:212], v[209:210], -v[121:122]
	v_mul_f64 v[211:212], v[211:212], v[123:124]
	v_add_f64 v[57:58], v[57:58], -v[121:122]
	v_fma_f64 v[211:212], v[213:214], v[209:210], v[211:212]
	v_add_f64 v[59:60], v[59:60], -v[211:212]
	ds_read2_b64 v[211:214], v253 offset0:76 offset1:77
	s_waitcnt lgkmcnt(0)
	v_mul_f64 v[121:122], v[213:214], v[123:124]
	v_fma_f64 v[121:122], v[211:212], v[209:210], -v[121:122]
	v_mul_f64 v[211:212], v[211:212], v[123:124]
	v_add_f64 v[53:54], v[53:54], -v[121:122]
	v_fma_f64 v[211:212], v[213:214], v[209:210], v[211:212]
	v_add_f64 v[55:56], v[55:56], -v[211:212]
	ds_read2_b64 v[211:214], v253 offset0:78 offset1:79
	s_waitcnt lgkmcnt(0)
	v_mul_f64 v[121:122], v[213:214], v[123:124]
	v_fma_f64 v[121:122], v[211:212], v[209:210], -v[121:122]
	v_mul_f64 v[211:212], v[211:212], v[123:124]
	v_add_f64 v[49:50], v[49:50], -v[121:122]
	v_fma_f64 v[211:212], v[213:214], v[209:210], v[211:212]
	v_add_f64 v[51:52], v[51:52], -v[211:212]
	ds_read2_b64 v[211:214], v253 offset0:80 offset1:81
	s_waitcnt lgkmcnt(0)
	v_mul_f64 v[121:122], v[213:214], v[123:124]
	v_fma_f64 v[121:122], v[211:212], v[209:210], -v[121:122]
	v_mul_f64 v[211:212], v[211:212], v[123:124]
	v_add_f64 v[45:46], v[45:46], -v[121:122]
	v_fma_f64 v[211:212], v[213:214], v[209:210], v[211:212]
	v_add_f64 v[47:48], v[47:48], -v[211:212]
	ds_read2_b64 v[211:214], v253 offset0:82 offset1:83
	s_waitcnt lgkmcnt(0)
	v_mul_f64 v[121:122], v[213:214], v[123:124]
	v_fma_f64 v[121:122], v[211:212], v[209:210], -v[121:122]
	v_mul_f64 v[211:212], v[211:212], v[123:124]
	v_add_f64 v[41:42], v[41:42], -v[121:122]
	v_fma_f64 v[211:212], v[213:214], v[209:210], v[211:212]
	v_add_f64 v[43:44], v[43:44], -v[211:212]
	ds_read2_b64 v[211:214], v253 offset0:84 offset1:85
	s_waitcnt lgkmcnt(0)
	v_mul_f64 v[121:122], v[213:214], v[123:124]
	v_fma_f64 v[121:122], v[211:212], v[209:210], -v[121:122]
	v_mul_f64 v[211:212], v[211:212], v[123:124]
	v_add_f64 v[37:38], v[37:38], -v[121:122]
	v_fma_f64 v[211:212], v[213:214], v[209:210], v[211:212]
	v_add_f64 v[39:40], v[39:40], -v[211:212]
	ds_read2_b64 v[211:214], v253 offset0:86 offset1:87
	s_waitcnt lgkmcnt(0)
	v_mul_f64 v[121:122], v[213:214], v[123:124]
	v_fma_f64 v[121:122], v[211:212], v[209:210], -v[121:122]
	v_mul_f64 v[211:212], v[211:212], v[123:124]
	v_add_f64 v[33:34], v[33:34], -v[121:122]
	v_fma_f64 v[211:212], v[213:214], v[209:210], v[211:212]
	v_add_f64 v[35:36], v[35:36], -v[211:212]
	ds_read2_b64 v[211:214], v253 offset0:88 offset1:89
	s_waitcnt lgkmcnt(0)
	v_mul_f64 v[121:122], v[213:214], v[123:124]
	v_fma_f64 v[121:122], v[211:212], v[209:210], -v[121:122]
	v_mul_f64 v[211:212], v[211:212], v[123:124]
	v_add_f64 v[29:30], v[29:30], -v[121:122]
	v_fma_f64 v[211:212], v[213:214], v[209:210], v[211:212]
	v_add_f64 v[31:32], v[31:32], -v[211:212]
	ds_read2_b64 v[211:214], v253 offset0:90 offset1:91
	s_waitcnt lgkmcnt(0)
	v_mul_f64 v[121:122], v[213:214], v[123:124]
	v_fma_f64 v[121:122], v[211:212], v[209:210], -v[121:122]
	v_mul_f64 v[211:212], v[211:212], v[123:124]
	v_add_f64 v[25:26], v[25:26], -v[121:122]
	v_fma_f64 v[211:212], v[213:214], v[209:210], v[211:212]
	v_add_f64 v[27:28], v[27:28], -v[211:212]
	ds_read2_b64 v[211:214], v253 offset0:92 offset1:93
	s_waitcnt lgkmcnt(0)
	v_mul_f64 v[121:122], v[213:214], v[123:124]
	v_fma_f64 v[121:122], v[211:212], v[209:210], -v[121:122]
	v_mul_f64 v[211:212], v[211:212], v[123:124]
	v_add_f64 v[21:22], v[21:22], -v[121:122]
	v_fma_f64 v[211:212], v[213:214], v[209:210], v[211:212]
	v_add_f64 v[23:24], v[23:24], -v[211:212]
	ds_read2_b64 v[211:214], v253 offset0:94 offset1:95
	s_waitcnt lgkmcnt(0)
	v_mul_f64 v[121:122], v[213:214], v[123:124]
	v_fma_f64 v[121:122], v[211:212], v[209:210], -v[121:122]
	v_mul_f64 v[211:212], v[211:212], v[123:124]
	v_add_f64 v[17:18], v[17:18], -v[121:122]
	v_fma_f64 v[211:212], v[213:214], v[209:210], v[211:212]
	v_add_f64 v[19:20], v[19:20], -v[211:212]
	ds_read2_b64 v[211:214], v253 offset0:96 offset1:97
	s_waitcnt lgkmcnt(0)
	v_mul_f64 v[121:122], v[213:214], v[123:124]
	v_fma_f64 v[121:122], v[211:212], v[209:210], -v[121:122]
	v_mul_f64 v[211:212], v[211:212], v[123:124]
	v_add_f64 v[13:14], v[13:14], -v[121:122]
	v_fma_f64 v[211:212], v[213:214], v[209:210], v[211:212]
	v_add_f64 v[15:16], v[15:16], -v[211:212]
	ds_read2_b64 v[211:214], v253 offset0:98 offset1:99
	s_waitcnt lgkmcnt(0)
	v_mul_f64 v[121:122], v[213:214], v[123:124]
	v_fma_f64 v[121:122], v[211:212], v[209:210], -v[121:122]
	v_mul_f64 v[211:212], v[211:212], v[123:124]
	v_add_f64 v[9:10], v[9:10], -v[121:122]
	v_fma_f64 v[211:212], v[213:214], v[209:210], v[211:212]
	v_add_f64 v[11:12], v[11:12], -v[211:212]
	ds_read2_b64 v[211:214], v253 offset0:100 offset1:101
	s_waitcnt lgkmcnt(0)
	v_mul_f64 v[121:122], v[213:214], v[123:124]
	v_fma_f64 v[121:122], v[211:212], v[209:210], -v[121:122]
	v_mul_f64 v[211:212], v[211:212], v[123:124]
	v_add_f64 v[5:6], v[5:6], -v[121:122]
	v_fma_f64 v[211:212], v[213:214], v[209:210], v[211:212]
	v_add_f64 v[7:8], v[7:8], -v[211:212]
	ds_read2_b64 v[211:214], v253 offset0:102 offset1:103
	s_waitcnt lgkmcnt(0)
	v_mul_f64 v[121:122], v[213:214], v[123:124]
	v_fma_f64 v[121:122], v[211:212], v[209:210], -v[121:122]
	v_mul_f64 v[211:212], v[211:212], v[123:124]
	v_add_f64 v[1:2], v[1:2], -v[121:122]
	v_fma_f64 v[211:212], v[213:214], v[209:210], v[211:212]
	v_mov_b32_e32 v121, v209
	v_mov_b32_e32 v122, v210
	v_add_f64 v[3:4], v[3:4], -v[211:212]
.LBB103_199:
	s_or_b32 exec_lo, exec_lo, s1
	s_mov_b32 s2, exec_lo
	s_waitcnt_vscnt null, 0x0
	s_barrier
	buffer_gl0_inv
	v_cmpx_eq_u32_e32 22, v0
	s_cbranch_execz .LBB103_206
; %bb.200:
	ds_write2_b64 v255, v[117:118], v[119:120] offset1:1
	ds_write2_b64 v253, v[113:114], v[115:116] offset0:46 offset1:47
	ds_write2_b64 v253, v[109:110], v[111:112] offset0:48 offset1:49
	ds_write2_b64 v253, v[105:106], v[107:108] offset0:50 offset1:51
	ds_write2_b64 v253, v[101:102], v[103:104] offset0:52 offset1:53
	ds_write2_b64 v253, v[97:98], v[99:100] offset0:54 offset1:55
	ds_write2_b64 v253, v[93:94], v[95:96] offset0:56 offset1:57
	ds_write2_b64 v253, v[89:90], v[91:92] offset0:58 offset1:59
	ds_write2_b64 v253, v[85:86], v[87:88] offset0:60 offset1:61
	ds_write2_b64 v253, v[81:82], v[83:84] offset0:62 offset1:63
	ds_write2_b64 v253, v[77:78], v[79:80] offset0:64 offset1:65
	ds_write2_b64 v253, v[73:74], v[75:76] offset0:66 offset1:67
	ds_write2_b64 v253, v[69:70], v[71:72] offset0:68 offset1:69
	ds_write2_b64 v253, v[65:66], v[67:68] offset0:70 offset1:71
	ds_write2_b64 v253, v[61:62], v[63:64] offset0:72 offset1:73
	ds_write2_b64 v253, v[57:58], v[59:60] offset0:74 offset1:75
	ds_write2_b64 v253, v[53:54], v[55:56] offset0:76 offset1:77
	ds_write2_b64 v253, v[49:50], v[51:52] offset0:78 offset1:79
	ds_write2_b64 v253, v[45:46], v[47:48] offset0:80 offset1:81
	ds_write2_b64 v253, v[41:42], v[43:44] offset0:82 offset1:83
	ds_write2_b64 v253, v[37:38], v[39:40] offset0:84 offset1:85
	ds_write2_b64 v253, v[33:34], v[35:36] offset0:86 offset1:87
	ds_write2_b64 v253, v[29:30], v[31:32] offset0:88 offset1:89
	ds_write2_b64 v253, v[25:26], v[27:28] offset0:90 offset1:91
	ds_write2_b64 v253, v[21:22], v[23:24] offset0:92 offset1:93
	ds_write2_b64 v253, v[17:18], v[19:20] offset0:94 offset1:95
	ds_write2_b64 v253, v[13:14], v[15:16] offset0:96 offset1:97
	ds_write2_b64 v253, v[9:10], v[11:12] offset0:98 offset1:99
	ds_write2_b64 v253, v[5:6], v[7:8] offset0:100 offset1:101
	ds_write2_b64 v253, v[1:2], v[3:4] offset0:102 offset1:103
	ds_read2_b64 v[209:212], v255 offset1:1
	s_waitcnt lgkmcnt(0)
	v_cmp_neq_f64_e32 vcc_lo, 0, v[209:210]
	v_cmp_neq_f64_e64 s1, 0, v[211:212]
	s_or_b32 s1, vcc_lo, s1
	s_and_b32 exec_lo, exec_lo, s1
	s_cbranch_execz .LBB103_206
; %bb.201:
	v_cmp_ngt_f64_e64 s1, |v[209:210]|, |v[211:212]|
                                        ; implicit-def: $vgpr213_vgpr214
	s_and_saveexec_b32 s3, s1
	s_xor_b32 s1, exec_lo, s3
                                        ; implicit-def: $vgpr215_vgpr216
	s_cbranch_execz .LBB103_203
; %bb.202:
	v_div_scale_f64 v[213:214], null, v[211:212], v[211:212], v[209:210]
	v_div_scale_f64 v[219:220], vcc_lo, v[209:210], v[211:212], v[209:210]
	v_rcp_f64_e32 v[215:216], v[213:214]
	v_fma_f64 v[217:218], -v[213:214], v[215:216], 1.0
	v_fma_f64 v[215:216], v[215:216], v[217:218], v[215:216]
	v_fma_f64 v[217:218], -v[213:214], v[215:216], 1.0
	v_fma_f64 v[215:216], v[215:216], v[217:218], v[215:216]
	v_mul_f64 v[217:218], v[219:220], v[215:216]
	v_fma_f64 v[213:214], -v[213:214], v[217:218], v[219:220]
	v_div_fmas_f64 v[213:214], v[213:214], v[215:216], v[217:218]
	v_div_fixup_f64 v[213:214], v[213:214], v[211:212], v[209:210]
	v_fma_f64 v[209:210], v[209:210], v[213:214], v[211:212]
	v_div_scale_f64 v[211:212], null, v[209:210], v[209:210], 1.0
	v_rcp_f64_e32 v[215:216], v[211:212]
	v_fma_f64 v[217:218], -v[211:212], v[215:216], 1.0
	v_fma_f64 v[215:216], v[215:216], v[217:218], v[215:216]
	v_fma_f64 v[217:218], -v[211:212], v[215:216], 1.0
	v_fma_f64 v[215:216], v[215:216], v[217:218], v[215:216]
	v_div_scale_f64 v[217:218], vcc_lo, 1.0, v[209:210], 1.0
	v_mul_f64 v[219:220], v[217:218], v[215:216]
	v_fma_f64 v[211:212], -v[211:212], v[219:220], v[217:218]
	v_div_fmas_f64 v[211:212], v[211:212], v[215:216], v[219:220]
	v_div_fixup_f64 v[215:216], v[211:212], v[209:210], 1.0
                                        ; implicit-def: $vgpr209_vgpr210
	v_mul_f64 v[213:214], v[213:214], v[215:216]
	v_xor_b32_e32 v216, 0x80000000, v216
.LBB103_203:
	s_andn2_saveexec_b32 s1, s1
	s_cbranch_execz .LBB103_205
; %bb.204:
	v_div_scale_f64 v[213:214], null, v[209:210], v[209:210], v[211:212]
	v_div_scale_f64 v[219:220], vcc_lo, v[211:212], v[209:210], v[211:212]
	v_rcp_f64_e32 v[215:216], v[213:214]
	v_fma_f64 v[217:218], -v[213:214], v[215:216], 1.0
	v_fma_f64 v[215:216], v[215:216], v[217:218], v[215:216]
	v_fma_f64 v[217:218], -v[213:214], v[215:216], 1.0
	v_fma_f64 v[215:216], v[215:216], v[217:218], v[215:216]
	v_mul_f64 v[217:218], v[219:220], v[215:216]
	v_fma_f64 v[213:214], -v[213:214], v[217:218], v[219:220]
	v_div_fmas_f64 v[213:214], v[213:214], v[215:216], v[217:218]
	v_div_fixup_f64 v[215:216], v[213:214], v[209:210], v[211:212]
	v_fma_f64 v[209:210], v[211:212], v[215:216], v[209:210]
	v_div_scale_f64 v[211:212], null, v[209:210], v[209:210], 1.0
	v_rcp_f64_e32 v[213:214], v[211:212]
	v_fma_f64 v[217:218], -v[211:212], v[213:214], 1.0
	v_fma_f64 v[213:214], v[213:214], v[217:218], v[213:214]
	v_fma_f64 v[217:218], -v[211:212], v[213:214], 1.0
	v_fma_f64 v[213:214], v[213:214], v[217:218], v[213:214]
	v_div_scale_f64 v[217:218], vcc_lo, 1.0, v[209:210], 1.0
	v_mul_f64 v[219:220], v[217:218], v[213:214]
	v_fma_f64 v[211:212], -v[211:212], v[219:220], v[217:218]
	v_div_fmas_f64 v[211:212], v[211:212], v[213:214], v[219:220]
	v_div_fixup_f64 v[213:214], v[211:212], v[209:210], 1.0
	v_mul_f64 v[215:216], v[215:216], -v[213:214]
.LBB103_205:
	s_or_b32 exec_lo, exec_lo, s1
	ds_write2_b64 v255, v[213:214], v[215:216] offset1:1
.LBB103_206:
	s_or_b32 exec_lo, exec_lo, s2
	s_waitcnt lgkmcnt(0)
	s_barrier
	buffer_gl0_inv
	ds_read2_b64 v[203:206], v255 offset1:1
	s_mov_b32 s1, exec_lo
	s_waitcnt lgkmcnt(0)
	buffer_store_dword v203, off, s[16:19], 0 offset:776 ; 4-byte Folded Spill
	buffer_store_dword v204, off, s[16:19], 0 offset:780 ; 4-byte Folded Spill
	;; [unrolled: 1-line block ×4, first 2 shown]
	v_cmpx_lt_u32_e32 22, v0
	s_cbranch_execz .LBB103_208
; %bb.207:
	s_clause 0x3
	buffer_load_dword v203, off, s[16:19], 0 offset:776
	buffer_load_dword v204, off, s[16:19], 0 offset:780
	;; [unrolled: 1-line block ×4, first 2 shown]
	ds_read2_b64 v[211:214], v253 offset0:46 offset1:47
	s_waitcnt vmcnt(0)
	v_mul_f64 v[209:210], v[205:206], v[119:120]
	v_mul_f64 v[119:120], v[203:204], v[119:120]
	v_fma_f64 v[209:210], v[203:204], v[117:118], -v[209:210]
	v_fma_f64 v[119:120], v[205:206], v[117:118], v[119:120]
	s_waitcnt lgkmcnt(0)
	v_mul_f64 v[117:118], v[213:214], v[119:120]
	v_fma_f64 v[117:118], v[211:212], v[209:210], -v[117:118]
	v_mul_f64 v[211:212], v[211:212], v[119:120]
	v_add_f64 v[113:114], v[113:114], -v[117:118]
	v_fma_f64 v[211:212], v[213:214], v[209:210], v[211:212]
	v_add_f64 v[115:116], v[115:116], -v[211:212]
	ds_read2_b64 v[211:214], v253 offset0:48 offset1:49
	s_waitcnt lgkmcnt(0)
	v_mul_f64 v[117:118], v[213:214], v[119:120]
	v_fma_f64 v[117:118], v[211:212], v[209:210], -v[117:118]
	v_mul_f64 v[211:212], v[211:212], v[119:120]
	v_add_f64 v[109:110], v[109:110], -v[117:118]
	v_fma_f64 v[211:212], v[213:214], v[209:210], v[211:212]
	v_add_f64 v[111:112], v[111:112], -v[211:212]
	ds_read2_b64 v[211:214], v253 offset0:50 offset1:51
	;; [unrolled: 8-line block ×28, first 2 shown]
	s_waitcnt lgkmcnt(0)
	v_mul_f64 v[117:118], v[213:214], v[119:120]
	v_fma_f64 v[117:118], v[211:212], v[209:210], -v[117:118]
	v_mul_f64 v[211:212], v[211:212], v[119:120]
	v_add_f64 v[1:2], v[1:2], -v[117:118]
	v_fma_f64 v[211:212], v[213:214], v[209:210], v[211:212]
	v_mov_b32_e32 v117, v209
	v_mov_b32_e32 v118, v210
	v_add_f64 v[3:4], v[3:4], -v[211:212]
.LBB103_208:
	s_or_b32 exec_lo, exec_lo, s1
	s_mov_b32 s2, exec_lo
	s_waitcnt_vscnt null, 0x0
	s_barrier
	buffer_gl0_inv
	v_cmpx_eq_u32_e32 23, v0
	s_cbranch_execz .LBB103_215
; %bb.209:
	ds_write2_b64 v255, v[113:114], v[115:116] offset1:1
	ds_write2_b64 v253, v[109:110], v[111:112] offset0:48 offset1:49
	ds_write2_b64 v253, v[105:106], v[107:108] offset0:50 offset1:51
	ds_write2_b64 v253, v[101:102], v[103:104] offset0:52 offset1:53
	ds_write2_b64 v253, v[97:98], v[99:100] offset0:54 offset1:55
	ds_write2_b64 v253, v[93:94], v[95:96] offset0:56 offset1:57
	ds_write2_b64 v253, v[89:90], v[91:92] offset0:58 offset1:59
	ds_write2_b64 v253, v[85:86], v[87:88] offset0:60 offset1:61
	ds_write2_b64 v253, v[81:82], v[83:84] offset0:62 offset1:63
	ds_write2_b64 v253, v[77:78], v[79:80] offset0:64 offset1:65
	ds_write2_b64 v253, v[73:74], v[75:76] offset0:66 offset1:67
	ds_write2_b64 v253, v[69:70], v[71:72] offset0:68 offset1:69
	ds_write2_b64 v253, v[65:66], v[67:68] offset0:70 offset1:71
	ds_write2_b64 v253, v[61:62], v[63:64] offset0:72 offset1:73
	ds_write2_b64 v253, v[57:58], v[59:60] offset0:74 offset1:75
	ds_write2_b64 v253, v[53:54], v[55:56] offset0:76 offset1:77
	ds_write2_b64 v253, v[49:50], v[51:52] offset0:78 offset1:79
	ds_write2_b64 v253, v[45:46], v[47:48] offset0:80 offset1:81
	ds_write2_b64 v253, v[41:42], v[43:44] offset0:82 offset1:83
	ds_write2_b64 v253, v[37:38], v[39:40] offset0:84 offset1:85
	ds_write2_b64 v253, v[33:34], v[35:36] offset0:86 offset1:87
	ds_write2_b64 v253, v[29:30], v[31:32] offset0:88 offset1:89
	ds_write2_b64 v253, v[25:26], v[27:28] offset0:90 offset1:91
	ds_write2_b64 v253, v[21:22], v[23:24] offset0:92 offset1:93
	ds_write2_b64 v253, v[17:18], v[19:20] offset0:94 offset1:95
	ds_write2_b64 v253, v[13:14], v[15:16] offset0:96 offset1:97
	ds_write2_b64 v253, v[9:10], v[11:12] offset0:98 offset1:99
	ds_write2_b64 v253, v[5:6], v[7:8] offset0:100 offset1:101
	ds_write2_b64 v253, v[1:2], v[3:4] offset0:102 offset1:103
	ds_read2_b64 v[209:212], v255 offset1:1
	s_waitcnt lgkmcnt(0)
	v_cmp_neq_f64_e32 vcc_lo, 0, v[209:210]
	v_cmp_neq_f64_e64 s1, 0, v[211:212]
	s_or_b32 s1, vcc_lo, s1
	s_and_b32 exec_lo, exec_lo, s1
	s_cbranch_execz .LBB103_215
; %bb.210:
	v_cmp_ngt_f64_e64 s1, |v[209:210]|, |v[211:212]|
                                        ; implicit-def: $vgpr213_vgpr214
	s_and_saveexec_b32 s3, s1
	s_xor_b32 s1, exec_lo, s3
                                        ; implicit-def: $vgpr215_vgpr216
	s_cbranch_execz .LBB103_212
; %bb.211:
	v_div_scale_f64 v[213:214], null, v[211:212], v[211:212], v[209:210]
	v_div_scale_f64 v[219:220], vcc_lo, v[209:210], v[211:212], v[209:210]
	v_rcp_f64_e32 v[215:216], v[213:214]
	v_fma_f64 v[217:218], -v[213:214], v[215:216], 1.0
	v_fma_f64 v[215:216], v[215:216], v[217:218], v[215:216]
	v_fma_f64 v[217:218], -v[213:214], v[215:216], 1.0
	v_fma_f64 v[215:216], v[215:216], v[217:218], v[215:216]
	v_mul_f64 v[217:218], v[219:220], v[215:216]
	v_fma_f64 v[213:214], -v[213:214], v[217:218], v[219:220]
	v_div_fmas_f64 v[213:214], v[213:214], v[215:216], v[217:218]
	v_div_fixup_f64 v[213:214], v[213:214], v[211:212], v[209:210]
	v_fma_f64 v[209:210], v[209:210], v[213:214], v[211:212]
	v_div_scale_f64 v[211:212], null, v[209:210], v[209:210], 1.0
	v_rcp_f64_e32 v[215:216], v[211:212]
	v_fma_f64 v[217:218], -v[211:212], v[215:216], 1.0
	v_fma_f64 v[215:216], v[215:216], v[217:218], v[215:216]
	v_fma_f64 v[217:218], -v[211:212], v[215:216], 1.0
	v_fma_f64 v[215:216], v[215:216], v[217:218], v[215:216]
	v_div_scale_f64 v[217:218], vcc_lo, 1.0, v[209:210], 1.0
	v_mul_f64 v[219:220], v[217:218], v[215:216]
	v_fma_f64 v[211:212], -v[211:212], v[219:220], v[217:218]
	v_div_fmas_f64 v[211:212], v[211:212], v[215:216], v[219:220]
	v_div_fixup_f64 v[215:216], v[211:212], v[209:210], 1.0
                                        ; implicit-def: $vgpr209_vgpr210
	v_mul_f64 v[213:214], v[213:214], v[215:216]
	v_xor_b32_e32 v216, 0x80000000, v216
.LBB103_212:
	s_andn2_saveexec_b32 s1, s1
	s_cbranch_execz .LBB103_214
; %bb.213:
	v_div_scale_f64 v[213:214], null, v[209:210], v[209:210], v[211:212]
	v_div_scale_f64 v[219:220], vcc_lo, v[211:212], v[209:210], v[211:212]
	v_rcp_f64_e32 v[215:216], v[213:214]
	v_fma_f64 v[217:218], -v[213:214], v[215:216], 1.0
	v_fma_f64 v[215:216], v[215:216], v[217:218], v[215:216]
	v_fma_f64 v[217:218], -v[213:214], v[215:216], 1.0
	v_fma_f64 v[215:216], v[215:216], v[217:218], v[215:216]
	v_mul_f64 v[217:218], v[219:220], v[215:216]
	v_fma_f64 v[213:214], -v[213:214], v[217:218], v[219:220]
	v_div_fmas_f64 v[213:214], v[213:214], v[215:216], v[217:218]
	v_div_fixup_f64 v[215:216], v[213:214], v[209:210], v[211:212]
	v_fma_f64 v[209:210], v[211:212], v[215:216], v[209:210]
	v_div_scale_f64 v[211:212], null, v[209:210], v[209:210], 1.0
	v_rcp_f64_e32 v[213:214], v[211:212]
	v_fma_f64 v[217:218], -v[211:212], v[213:214], 1.0
	v_fma_f64 v[213:214], v[213:214], v[217:218], v[213:214]
	v_fma_f64 v[217:218], -v[211:212], v[213:214], 1.0
	v_fma_f64 v[213:214], v[213:214], v[217:218], v[213:214]
	v_div_scale_f64 v[217:218], vcc_lo, 1.0, v[209:210], 1.0
	v_mul_f64 v[219:220], v[217:218], v[213:214]
	v_fma_f64 v[211:212], -v[211:212], v[219:220], v[217:218]
	v_div_fmas_f64 v[211:212], v[211:212], v[213:214], v[219:220]
	v_div_fixup_f64 v[213:214], v[211:212], v[209:210], 1.0
	v_mul_f64 v[215:216], v[215:216], -v[213:214]
.LBB103_214:
	s_or_b32 exec_lo, exec_lo, s1
	ds_write2_b64 v255, v[213:214], v[215:216] offset1:1
.LBB103_215:
	s_or_b32 exec_lo, exec_lo, s2
	s_waitcnt lgkmcnt(0)
	s_barrier
	buffer_gl0_inv
	ds_read2_b64 v[203:206], v255 offset1:1
	s_mov_b32 s1, exec_lo
	s_waitcnt lgkmcnt(0)
	buffer_store_dword v203, off, s[16:19], 0 offset:792 ; 4-byte Folded Spill
	buffer_store_dword v204, off, s[16:19], 0 offset:796 ; 4-byte Folded Spill
	;; [unrolled: 1-line block ×4, first 2 shown]
	v_cmpx_lt_u32_e32 23, v0
	s_cbranch_execz .LBB103_217
; %bb.216:
	s_clause 0x3
	buffer_load_dword v203, off, s[16:19], 0 offset:792
	buffer_load_dword v204, off, s[16:19], 0 offset:796
	;; [unrolled: 1-line block ×4, first 2 shown]
	ds_read2_b64 v[211:214], v253 offset0:48 offset1:49
	s_waitcnt vmcnt(0)
	v_mul_f64 v[209:210], v[205:206], v[115:116]
	v_mul_f64 v[115:116], v[203:204], v[115:116]
	v_fma_f64 v[209:210], v[203:204], v[113:114], -v[209:210]
	v_fma_f64 v[115:116], v[205:206], v[113:114], v[115:116]
	s_waitcnt lgkmcnt(0)
	v_mul_f64 v[113:114], v[213:214], v[115:116]
	v_fma_f64 v[113:114], v[211:212], v[209:210], -v[113:114]
	v_mul_f64 v[211:212], v[211:212], v[115:116]
	v_add_f64 v[109:110], v[109:110], -v[113:114]
	v_fma_f64 v[211:212], v[213:214], v[209:210], v[211:212]
	v_add_f64 v[111:112], v[111:112], -v[211:212]
	ds_read2_b64 v[211:214], v253 offset0:50 offset1:51
	s_waitcnt lgkmcnt(0)
	v_mul_f64 v[113:114], v[213:214], v[115:116]
	v_fma_f64 v[113:114], v[211:212], v[209:210], -v[113:114]
	v_mul_f64 v[211:212], v[211:212], v[115:116]
	v_add_f64 v[105:106], v[105:106], -v[113:114]
	v_fma_f64 v[211:212], v[213:214], v[209:210], v[211:212]
	v_add_f64 v[107:108], v[107:108], -v[211:212]
	ds_read2_b64 v[211:214], v253 offset0:52 offset1:53
	;; [unrolled: 8-line block ×27, first 2 shown]
	s_waitcnt lgkmcnt(0)
	v_mul_f64 v[113:114], v[213:214], v[115:116]
	v_fma_f64 v[113:114], v[211:212], v[209:210], -v[113:114]
	v_mul_f64 v[211:212], v[211:212], v[115:116]
	v_add_f64 v[1:2], v[1:2], -v[113:114]
	v_fma_f64 v[211:212], v[213:214], v[209:210], v[211:212]
	v_mov_b32_e32 v113, v209
	v_mov_b32_e32 v114, v210
	v_add_f64 v[3:4], v[3:4], -v[211:212]
.LBB103_217:
	s_or_b32 exec_lo, exec_lo, s1
	s_mov_b32 s2, exec_lo
	s_waitcnt_vscnt null, 0x0
	s_barrier
	buffer_gl0_inv
	v_cmpx_eq_u32_e32 24, v0
	s_cbranch_execz .LBB103_224
; %bb.218:
	ds_write2_b64 v255, v[109:110], v[111:112] offset1:1
	ds_write2_b64 v253, v[105:106], v[107:108] offset0:50 offset1:51
	ds_write2_b64 v253, v[101:102], v[103:104] offset0:52 offset1:53
	;; [unrolled: 1-line block ×27, first 2 shown]
	ds_read2_b64 v[209:212], v255 offset1:1
	s_waitcnt lgkmcnt(0)
	v_cmp_neq_f64_e32 vcc_lo, 0, v[209:210]
	v_cmp_neq_f64_e64 s1, 0, v[211:212]
	s_or_b32 s1, vcc_lo, s1
	s_and_b32 exec_lo, exec_lo, s1
	s_cbranch_execz .LBB103_224
; %bb.219:
	v_cmp_ngt_f64_e64 s1, |v[209:210]|, |v[211:212]|
                                        ; implicit-def: $vgpr213_vgpr214
	s_and_saveexec_b32 s3, s1
	s_xor_b32 s1, exec_lo, s3
                                        ; implicit-def: $vgpr215_vgpr216
	s_cbranch_execz .LBB103_221
; %bb.220:
	v_div_scale_f64 v[213:214], null, v[211:212], v[211:212], v[209:210]
	v_div_scale_f64 v[219:220], vcc_lo, v[209:210], v[211:212], v[209:210]
	v_rcp_f64_e32 v[215:216], v[213:214]
	v_fma_f64 v[217:218], -v[213:214], v[215:216], 1.0
	v_fma_f64 v[215:216], v[215:216], v[217:218], v[215:216]
	v_fma_f64 v[217:218], -v[213:214], v[215:216], 1.0
	v_fma_f64 v[215:216], v[215:216], v[217:218], v[215:216]
	v_mul_f64 v[217:218], v[219:220], v[215:216]
	v_fma_f64 v[213:214], -v[213:214], v[217:218], v[219:220]
	v_div_fmas_f64 v[213:214], v[213:214], v[215:216], v[217:218]
	v_div_fixup_f64 v[213:214], v[213:214], v[211:212], v[209:210]
	v_fma_f64 v[209:210], v[209:210], v[213:214], v[211:212]
	v_div_scale_f64 v[211:212], null, v[209:210], v[209:210], 1.0
	v_rcp_f64_e32 v[215:216], v[211:212]
	v_fma_f64 v[217:218], -v[211:212], v[215:216], 1.0
	v_fma_f64 v[215:216], v[215:216], v[217:218], v[215:216]
	v_fma_f64 v[217:218], -v[211:212], v[215:216], 1.0
	v_fma_f64 v[215:216], v[215:216], v[217:218], v[215:216]
	v_div_scale_f64 v[217:218], vcc_lo, 1.0, v[209:210], 1.0
	v_mul_f64 v[219:220], v[217:218], v[215:216]
	v_fma_f64 v[211:212], -v[211:212], v[219:220], v[217:218]
	v_div_fmas_f64 v[211:212], v[211:212], v[215:216], v[219:220]
	v_div_fixup_f64 v[215:216], v[211:212], v[209:210], 1.0
                                        ; implicit-def: $vgpr209_vgpr210
	v_mul_f64 v[213:214], v[213:214], v[215:216]
	v_xor_b32_e32 v216, 0x80000000, v216
.LBB103_221:
	s_andn2_saveexec_b32 s1, s1
	s_cbranch_execz .LBB103_223
; %bb.222:
	v_div_scale_f64 v[213:214], null, v[209:210], v[209:210], v[211:212]
	v_div_scale_f64 v[219:220], vcc_lo, v[211:212], v[209:210], v[211:212]
	v_rcp_f64_e32 v[215:216], v[213:214]
	v_fma_f64 v[217:218], -v[213:214], v[215:216], 1.0
	v_fma_f64 v[215:216], v[215:216], v[217:218], v[215:216]
	v_fma_f64 v[217:218], -v[213:214], v[215:216], 1.0
	v_fma_f64 v[215:216], v[215:216], v[217:218], v[215:216]
	v_mul_f64 v[217:218], v[219:220], v[215:216]
	v_fma_f64 v[213:214], -v[213:214], v[217:218], v[219:220]
	v_div_fmas_f64 v[213:214], v[213:214], v[215:216], v[217:218]
	v_div_fixup_f64 v[215:216], v[213:214], v[209:210], v[211:212]
	v_fma_f64 v[209:210], v[211:212], v[215:216], v[209:210]
	v_div_scale_f64 v[211:212], null, v[209:210], v[209:210], 1.0
	v_rcp_f64_e32 v[213:214], v[211:212]
	v_fma_f64 v[217:218], -v[211:212], v[213:214], 1.0
	v_fma_f64 v[213:214], v[213:214], v[217:218], v[213:214]
	v_fma_f64 v[217:218], -v[211:212], v[213:214], 1.0
	v_fma_f64 v[213:214], v[213:214], v[217:218], v[213:214]
	v_div_scale_f64 v[217:218], vcc_lo, 1.0, v[209:210], 1.0
	v_mul_f64 v[219:220], v[217:218], v[213:214]
	v_fma_f64 v[211:212], -v[211:212], v[219:220], v[217:218]
	v_div_fmas_f64 v[211:212], v[211:212], v[213:214], v[219:220]
	v_div_fixup_f64 v[213:214], v[211:212], v[209:210], 1.0
	v_mul_f64 v[215:216], v[215:216], -v[213:214]
.LBB103_223:
	s_or_b32 exec_lo, exec_lo, s1
	ds_write2_b64 v255, v[213:214], v[215:216] offset1:1
.LBB103_224:
	s_or_b32 exec_lo, exec_lo, s2
	s_waitcnt lgkmcnt(0)
	s_barrier
	buffer_gl0_inv
	ds_read2_b64 v[203:206], v255 offset1:1
	s_mov_b32 s1, exec_lo
	s_waitcnt lgkmcnt(0)
	buffer_store_dword v203, off, s[16:19], 0 offset:808 ; 4-byte Folded Spill
	buffer_store_dword v204, off, s[16:19], 0 offset:812 ; 4-byte Folded Spill
	;; [unrolled: 1-line block ×4, first 2 shown]
	v_cmpx_lt_u32_e32 24, v0
	s_cbranch_execz .LBB103_226
; %bb.225:
	s_clause 0x3
	buffer_load_dword v203, off, s[16:19], 0 offset:808
	buffer_load_dword v204, off, s[16:19], 0 offset:812
	;; [unrolled: 1-line block ×4, first 2 shown]
	ds_read2_b64 v[211:214], v253 offset0:50 offset1:51
	s_waitcnt vmcnt(0)
	v_mul_f64 v[209:210], v[205:206], v[111:112]
	v_mul_f64 v[111:112], v[203:204], v[111:112]
	v_fma_f64 v[209:210], v[203:204], v[109:110], -v[209:210]
	v_fma_f64 v[111:112], v[205:206], v[109:110], v[111:112]
	s_waitcnt lgkmcnt(0)
	v_mul_f64 v[109:110], v[213:214], v[111:112]
	v_fma_f64 v[109:110], v[211:212], v[209:210], -v[109:110]
	v_mul_f64 v[211:212], v[211:212], v[111:112]
	v_add_f64 v[105:106], v[105:106], -v[109:110]
	v_fma_f64 v[211:212], v[213:214], v[209:210], v[211:212]
	v_add_f64 v[107:108], v[107:108], -v[211:212]
	ds_read2_b64 v[211:214], v253 offset0:52 offset1:53
	s_waitcnt lgkmcnt(0)
	v_mul_f64 v[109:110], v[213:214], v[111:112]
	v_fma_f64 v[109:110], v[211:212], v[209:210], -v[109:110]
	v_mul_f64 v[211:212], v[211:212], v[111:112]
	v_add_f64 v[101:102], v[101:102], -v[109:110]
	v_fma_f64 v[211:212], v[213:214], v[209:210], v[211:212]
	v_add_f64 v[103:104], v[103:104], -v[211:212]
	ds_read2_b64 v[211:214], v253 offset0:54 offset1:55
	;; [unrolled: 8-line block ×26, first 2 shown]
	s_waitcnt lgkmcnt(0)
	v_mul_f64 v[109:110], v[213:214], v[111:112]
	v_fma_f64 v[109:110], v[211:212], v[209:210], -v[109:110]
	v_mul_f64 v[211:212], v[211:212], v[111:112]
	v_add_f64 v[1:2], v[1:2], -v[109:110]
	v_fma_f64 v[211:212], v[213:214], v[209:210], v[211:212]
	v_mov_b32_e32 v109, v209
	v_mov_b32_e32 v110, v210
	v_add_f64 v[3:4], v[3:4], -v[211:212]
.LBB103_226:
	s_or_b32 exec_lo, exec_lo, s1
	s_mov_b32 s2, exec_lo
	s_waitcnt_vscnt null, 0x0
	s_barrier
	buffer_gl0_inv
	v_cmpx_eq_u32_e32 25, v0
	s_cbranch_execz .LBB103_233
; %bb.227:
	ds_write2_b64 v255, v[105:106], v[107:108] offset1:1
	ds_write2_b64 v253, v[101:102], v[103:104] offset0:52 offset1:53
	ds_write2_b64 v253, v[97:98], v[99:100] offset0:54 offset1:55
	;; [unrolled: 1-line block ×26, first 2 shown]
	ds_read2_b64 v[209:212], v255 offset1:1
	s_waitcnt lgkmcnt(0)
	v_cmp_neq_f64_e32 vcc_lo, 0, v[209:210]
	v_cmp_neq_f64_e64 s1, 0, v[211:212]
	s_or_b32 s1, vcc_lo, s1
	s_and_b32 exec_lo, exec_lo, s1
	s_cbranch_execz .LBB103_233
; %bb.228:
	v_cmp_ngt_f64_e64 s1, |v[209:210]|, |v[211:212]|
                                        ; implicit-def: $vgpr213_vgpr214
	s_and_saveexec_b32 s3, s1
	s_xor_b32 s1, exec_lo, s3
                                        ; implicit-def: $vgpr215_vgpr216
	s_cbranch_execz .LBB103_230
; %bb.229:
	v_div_scale_f64 v[213:214], null, v[211:212], v[211:212], v[209:210]
	v_div_scale_f64 v[219:220], vcc_lo, v[209:210], v[211:212], v[209:210]
	v_rcp_f64_e32 v[215:216], v[213:214]
	v_fma_f64 v[217:218], -v[213:214], v[215:216], 1.0
	v_fma_f64 v[215:216], v[215:216], v[217:218], v[215:216]
	v_fma_f64 v[217:218], -v[213:214], v[215:216], 1.0
	v_fma_f64 v[215:216], v[215:216], v[217:218], v[215:216]
	v_mul_f64 v[217:218], v[219:220], v[215:216]
	v_fma_f64 v[213:214], -v[213:214], v[217:218], v[219:220]
	v_div_fmas_f64 v[213:214], v[213:214], v[215:216], v[217:218]
	v_div_fixup_f64 v[213:214], v[213:214], v[211:212], v[209:210]
	v_fma_f64 v[209:210], v[209:210], v[213:214], v[211:212]
	v_div_scale_f64 v[211:212], null, v[209:210], v[209:210], 1.0
	v_rcp_f64_e32 v[215:216], v[211:212]
	v_fma_f64 v[217:218], -v[211:212], v[215:216], 1.0
	v_fma_f64 v[215:216], v[215:216], v[217:218], v[215:216]
	v_fma_f64 v[217:218], -v[211:212], v[215:216], 1.0
	v_fma_f64 v[215:216], v[215:216], v[217:218], v[215:216]
	v_div_scale_f64 v[217:218], vcc_lo, 1.0, v[209:210], 1.0
	v_mul_f64 v[219:220], v[217:218], v[215:216]
	v_fma_f64 v[211:212], -v[211:212], v[219:220], v[217:218]
	v_div_fmas_f64 v[211:212], v[211:212], v[215:216], v[219:220]
	v_div_fixup_f64 v[215:216], v[211:212], v[209:210], 1.0
                                        ; implicit-def: $vgpr209_vgpr210
	v_mul_f64 v[213:214], v[213:214], v[215:216]
	v_xor_b32_e32 v216, 0x80000000, v216
.LBB103_230:
	s_andn2_saveexec_b32 s1, s1
	s_cbranch_execz .LBB103_232
; %bb.231:
	v_div_scale_f64 v[213:214], null, v[209:210], v[209:210], v[211:212]
	v_div_scale_f64 v[219:220], vcc_lo, v[211:212], v[209:210], v[211:212]
	v_rcp_f64_e32 v[215:216], v[213:214]
	v_fma_f64 v[217:218], -v[213:214], v[215:216], 1.0
	v_fma_f64 v[215:216], v[215:216], v[217:218], v[215:216]
	v_fma_f64 v[217:218], -v[213:214], v[215:216], 1.0
	v_fma_f64 v[215:216], v[215:216], v[217:218], v[215:216]
	v_mul_f64 v[217:218], v[219:220], v[215:216]
	v_fma_f64 v[213:214], -v[213:214], v[217:218], v[219:220]
	v_div_fmas_f64 v[213:214], v[213:214], v[215:216], v[217:218]
	v_div_fixup_f64 v[215:216], v[213:214], v[209:210], v[211:212]
	v_fma_f64 v[209:210], v[211:212], v[215:216], v[209:210]
	v_div_scale_f64 v[211:212], null, v[209:210], v[209:210], 1.0
	v_rcp_f64_e32 v[213:214], v[211:212]
	v_fma_f64 v[217:218], -v[211:212], v[213:214], 1.0
	v_fma_f64 v[213:214], v[213:214], v[217:218], v[213:214]
	v_fma_f64 v[217:218], -v[211:212], v[213:214], 1.0
	v_fma_f64 v[213:214], v[213:214], v[217:218], v[213:214]
	v_div_scale_f64 v[217:218], vcc_lo, 1.0, v[209:210], 1.0
	v_mul_f64 v[219:220], v[217:218], v[213:214]
	v_fma_f64 v[211:212], -v[211:212], v[219:220], v[217:218]
	v_div_fmas_f64 v[211:212], v[211:212], v[213:214], v[219:220]
	v_div_fixup_f64 v[213:214], v[211:212], v[209:210], 1.0
	v_mul_f64 v[215:216], v[215:216], -v[213:214]
.LBB103_232:
	s_or_b32 exec_lo, exec_lo, s1
	ds_write2_b64 v255, v[213:214], v[215:216] offset1:1
.LBB103_233:
	s_or_b32 exec_lo, exec_lo, s2
	s_waitcnt lgkmcnt(0)
	s_barrier
	buffer_gl0_inv
	ds_read2_b64 v[241:244], v255 offset1:1
	s_mov_b32 s1, exec_lo
	v_cmpx_lt_u32_e32 25, v0
	s_cbranch_execz .LBB103_235
; %bb.234:
	s_waitcnt lgkmcnt(0)
	v_mul_f64 v[209:210], v[243:244], v[107:108]
	v_mul_f64 v[107:108], v[241:242], v[107:108]
	ds_read2_b64 v[211:214], v253 offset0:52 offset1:53
	v_fma_f64 v[209:210], v[241:242], v[105:106], -v[209:210]
	v_fma_f64 v[107:108], v[243:244], v[105:106], v[107:108]
	s_waitcnt lgkmcnt(0)
	v_mul_f64 v[105:106], v[213:214], v[107:108]
	v_fma_f64 v[105:106], v[211:212], v[209:210], -v[105:106]
	v_mul_f64 v[211:212], v[211:212], v[107:108]
	v_add_f64 v[101:102], v[101:102], -v[105:106]
	v_fma_f64 v[211:212], v[213:214], v[209:210], v[211:212]
	v_add_f64 v[103:104], v[103:104], -v[211:212]
	ds_read2_b64 v[211:214], v253 offset0:54 offset1:55
	s_waitcnt lgkmcnt(0)
	v_mul_f64 v[105:106], v[213:214], v[107:108]
	v_fma_f64 v[105:106], v[211:212], v[209:210], -v[105:106]
	v_mul_f64 v[211:212], v[211:212], v[107:108]
	v_add_f64 v[97:98], v[97:98], -v[105:106]
	v_fma_f64 v[211:212], v[213:214], v[209:210], v[211:212]
	v_add_f64 v[99:100], v[99:100], -v[211:212]
	ds_read2_b64 v[211:214], v253 offset0:56 offset1:57
	;; [unrolled: 8-line block ×25, first 2 shown]
	s_waitcnt lgkmcnt(0)
	v_mul_f64 v[105:106], v[213:214], v[107:108]
	v_fma_f64 v[105:106], v[211:212], v[209:210], -v[105:106]
	v_mul_f64 v[211:212], v[211:212], v[107:108]
	v_add_f64 v[1:2], v[1:2], -v[105:106]
	v_fma_f64 v[211:212], v[213:214], v[209:210], v[211:212]
	v_mov_b32_e32 v105, v209
	v_mov_b32_e32 v106, v210
	v_add_f64 v[3:4], v[3:4], -v[211:212]
.LBB103_235:
	s_or_b32 exec_lo, exec_lo, s1
	s_mov_b32 s2, exec_lo
	s_waitcnt lgkmcnt(0)
	s_barrier
	buffer_gl0_inv
	v_cmpx_eq_u32_e32 26, v0
	s_cbranch_execz .LBB103_242
; %bb.236:
	ds_write2_b64 v255, v[101:102], v[103:104] offset1:1
	ds_write2_b64 v253, v[97:98], v[99:100] offset0:54 offset1:55
	ds_write2_b64 v253, v[93:94], v[95:96] offset0:56 offset1:57
	ds_write2_b64 v253, v[89:90], v[91:92] offset0:58 offset1:59
	ds_write2_b64 v253, v[85:86], v[87:88] offset0:60 offset1:61
	ds_write2_b64 v253, v[81:82], v[83:84] offset0:62 offset1:63
	ds_write2_b64 v253, v[77:78], v[79:80] offset0:64 offset1:65
	ds_write2_b64 v253, v[73:74], v[75:76] offset0:66 offset1:67
	ds_write2_b64 v253, v[69:70], v[71:72] offset0:68 offset1:69
	ds_write2_b64 v253, v[65:66], v[67:68] offset0:70 offset1:71
	ds_write2_b64 v253, v[61:62], v[63:64] offset0:72 offset1:73
	ds_write2_b64 v253, v[57:58], v[59:60] offset0:74 offset1:75
	ds_write2_b64 v253, v[53:54], v[55:56] offset0:76 offset1:77
	ds_write2_b64 v253, v[49:50], v[51:52] offset0:78 offset1:79
	ds_write2_b64 v253, v[45:46], v[47:48] offset0:80 offset1:81
	ds_write2_b64 v253, v[41:42], v[43:44] offset0:82 offset1:83
	ds_write2_b64 v253, v[37:38], v[39:40] offset0:84 offset1:85
	ds_write2_b64 v253, v[33:34], v[35:36] offset0:86 offset1:87
	ds_write2_b64 v253, v[29:30], v[31:32] offset0:88 offset1:89
	ds_write2_b64 v253, v[25:26], v[27:28] offset0:90 offset1:91
	ds_write2_b64 v253, v[21:22], v[23:24] offset0:92 offset1:93
	ds_write2_b64 v253, v[17:18], v[19:20] offset0:94 offset1:95
	ds_write2_b64 v253, v[13:14], v[15:16] offset0:96 offset1:97
	ds_write2_b64 v253, v[9:10], v[11:12] offset0:98 offset1:99
	ds_write2_b64 v253, v[5:6], v[7:8] offset0:100 offset1:101
	ds_write2_b64 v253, v[1:2], v[3:4] offset0:102 offset1:103
	ds_read2_b64 v[209:212], v255 offset1:1
	s_waitcnt lgkmcnt(0)
	v_cmp_neq_f64_e32 vcc_lo, 0, v[209:210]
	v_cmp_neq_f64_e64 s1, 0, v[211:212]
	s_or_b32 s1, vcc_lo, s1
	s_and_b32 exec_lo, exec_lo, s1
	s_cbranch_execz .LBB103_242
; %bb.237:
	v_cmp_ngt_f64_e64 s1, |v[209:210]|, |v[211:212]|
                                        ; implicit-def: $vgpr213_vgpr214
	s_and_saveexec_b32 s3, s1
	s_xor_b32 s1, exec_lo, s3
                                        ; implicit-def: $vgpr215_vgpr216
	s_cbranch_execz .LBB103_239
; %bb.238:
	v_div_scale_f64 v[213:214], null, v[211:212], v[211:212], v[209:210]
	v_div_scale_f64 v[219:220], vcc_lo, v[209:210], v[211:212], v[209:210]
	v_rcp_f64_e32 v[215:216], v[213:214]
	v_fma_f64 v[217:218], -v[213:214], v[215:216], 1.0
	v_fma_f64 v[215:216], v[215:216], v[217:218], v[215:216]
	v_fma_f64 v[217:218], -v[213:214], v[215:216], 1.0
	v_fma_f64 v[215:216], v[215:216], v[217:218], v[215:216]
	v_mul_f64 v[217:218], v[219:220], v[215:216]
	v_fma_f64 v[213:214], -v[213:214], v[217:218], v[219:220]
	v_div_fmas_f64 v[213:214], v[213:214], v[215:216], v[217:218]
	v_div_fixup_f64 v[213:214], v[213:214], v[211:212], v[209:210]
	v_fma_f64 v[209:210], v[209:210], v[213:214], v[211:212]
	v_div_scale_f64 v[211:212], null, v[209:210], v[209:210], 1.0
	v_rcp_f64_e32 v[215:216], v[211:212]
	v_fma_f64 v[217:218], -v[211:212], v[215:216], 1.0
	v_fma_f64 v[215:216], v[215:216], v[217:218], v[215:216]
	v_fma_f64 v[217:218], -v[211:212], v[215:216], 1.0
	v_fma_f64 v[215:216], v[215:216], v[217:218], v[215:216]
	v_div_scale_f64 v[217:218], vcc_lo, 1.0, v[209:210], 1.0
	v_mul_f64 v[219:220], v[217:218], v[215:216]
	v_fma_f64 v[211:212], -v[211:212], v[219:220], v[217:218]
	v_div_fmas_f64 v[211:212], v[211:212], v[215:216], v[219:220]
	v_div_fixup_f64 v[215:216], v[211:212], v[209:210], 1.0
                                        ; implicit-def: $vgpr209_vgpr210
	v_mul_f64 v[213:214], v[213:214], v[215:216]
	v_xor_b32_e32 v216, 0x80000000, v216
.LBB103_239:
	s_andn2_saveexec_b32 s1, s1
	s_cbranch_execz .LBB103_241
; %bb.240:
	v_div_scale_f64 v[213:214], null, v[209:210], v[209:210], v[211:212]
	v_div_scale_f64 v[219:220], vcc_lo, v[211:212], v[209:210], v[211:212]
	v_rcp_f64_e32 v[215:216], v[213:214]
	v_fma_f64 v[217:218], -v[213:214], v[215:216], 1.0
	v_fma_f64 v[215:216], v[215:216], v[217:218], v[215:216]
	v_fma_f64 v[217:218], -v[213:214], v[215:216], 1.0
	v_fma_f64 v[215:216], v[215:216], v[217:218], v[215:216]
	v_mul_f64 v[217:218], v[219:220], v[215:216]
	v_fma_f64 v[213:214], -v[213:214], v[217:218], v[219:220]
	v_div_fmas_f64 v[213:214], v[213:214], v[215:216], v[217:218]
	v_div_fixup_f64 v[215:216], v[213:214], v[209:210], v[211:212]
	v_fma_f64 v[209:210], v[211:212], v[215:216], v[209:210]
	v_div_scale_f64 v[211:212], null, v[209:210], v[209:210], 1.0
	v_rcp_f64_e32 v[213:214], v[211:212]
	v_fma_f64 v[217:218], -v[211:212], v[213:214], 1.0
	v_fma_f64 v[213:214], v[213:214], v[217:218], v[213:214]
	v_fma_f64 v[217:218], -v[211:212], v[213:214], 1.0
	v_fma_f64 v[213:214], v[213:214], v[217:218], v[213:214]
	v_div_scale_f64 v[217:218], vcc_lo, 1.0, v[209:210], 1.0
	v_mul_f64 v[219:220], v[217:218], v[213:214]
	v_fma_f64 v[211:212], -v[211:212], v[219:220], v[217:218]
	v_div_fmas_f64 v[211:212], v[211:212], v[213:214], v[219:220]
	v_div_fixup_f64 v[213:214], v[211:212], v[209:210], 1.0
	v_mul_f64 v[215:216], v[215:216], -v[213:214]
.LBB103_241:
	s_or_b32 exec_lo, exec_lo, s1
	ds_write2_b64 v255, v[213:214], v[215:216] offset1:1
.LBB103_242:
	s_or_b32 exec_lo, exec_lo, s2
	s_waitcnt lgkmcnt(0)
	s_barrier
	buffer_gl0_inv
	ds_read2_b64 v[201:204], v255 offset1:1
	s_mov_b32 s1, exec_lo
	v_cmpx_lt_u32_e32 26, v0
	s_cbranch_execz .LBB103_244
; %bb.243:
	s_waitcnt lgkmcnt(0)
	v_mul_f64 v[209:210], v[203:204], v[103:104]
	v_mul_f64 v[103:104], v[201:202], v[103:104]
	ds_read2_b64 v[211:214], v253 offset0:54 offset1:55
	v_fma_f64 v[209:210], v[201:202], v[101:102], -v[209:210]
	v_fma_f64 v[103:104], v[203:204], v[101:102], v[103:104]
	s_waitcnt lgkmcnt(0)
	v_mul_f64 v[101:102], v[213:214], v[103:104]
	v_fma_f64 v[101:102], v[211:212], v[209:210], -v[101:102]
	v_mul_f64 v[211:212], v[211:212], v[103:104]
	v_add_f64 v[97:98], v[97:98], -v[101:102]
	v_fma_f64 v[211:212], v[213:214], v[209:210], v[211:212]
	v_add_f64 v[99:100], v[99:100], -v[211:212]
	ds_read2_b64 v[211:214], v253 offset0:56 offset1:57
	s_waitcnt lgkmcnt(0)
	v_mul_f64 v[101:102], v[213:214], v[103:104]
	v_fma_f64 v[101:102], v[211:212], v[209:210], -v[101:102]
	v_mul_f64 v[211:212], v[211:212], v[103:104]
	v_add_f64 v[93:94], v[93:94], -v[101:102]
	v_fma_f64 v[211:212], v[213:214], v[209:210], v[211:212]
	v_add_f64 v[95:96], v[95:96], -v[211:212]
	ds_read2_b64 v[211:214], v253 offset0:58 offset1:59
	;; [unrolled: 8-line block ×24, first 2 shown]
	s_waitcnt lgkmcnt(0)
	v_mul_f64 v[101:102], v[213:214], v[103:104]
	v_fma_f64 v[101:102], v[211:212], v[209:210], -v[101:102]
	v_mul_f64 v[211:212], v[211:212], v[103:104]
	v_add_f64 v[1:2], v[1:2], -v[101:102]
	v_fma_f64 v[211:212], v[213:214], v[209:210], v[211:212]
	v_mov_b32_e32 v101, v209
	v_mov_b32_e32 v102, v210
	v_add_f64 v[3:4], v[3:4], -v[211:212]
.LBB103_244:
	s_or_b32 exec_lo, exec_lo, s1
	s_mov_b32 s2, exec_lo
	s_waitcnt lgkmcnt(0)
	s_barrier
	buffer_gl0_inv
	v_cmpx_eq_u32_e32 27, v0
	s_cbranch_execz .LBB103_251
; %bb.245:
	ds_write2_b64 v255, v[97:98], v[99:100] offset1:1
	ds_write2_b64 v253, v[93:94], v[95:96] offset0:56 offset1:57
	ds_write2_b64 v253, v[89:90], v[91:92] offset0:58 offset1:59
	;; [unrolled: 1-line block ×24, first 2 shown]
	ds_read2_b64 v[209:212], v255 offset1:1
	s_waitcnt lgkmcnt(0)
	v_cmp_neq_f64_e32 vcc_lo, 0, v[209:210]
	v_cmp_neq_f64_e64 s1, 0, v[211:212]
	s_or_b32 s1, vcc_lo, s1
	s_and_b32 exec_lo, exec_lo, s1
	s_cbranch_execz .LBB103_251
; %bb.246:
	v_cmp_ngt_f64_e64 s1, |v[209:210]|, |v[211:212]|
                                        ; implicit-def: $vgpr213_vgpr214
	s_and_saveexec_b32 s3, s1
	s_xor_b32 s1, exec_lo, s3
                                        ; implicit-def: $vgpr215_vgpr216
	s_cbranch_execz .LBB103_248
; %bb.247:
	v_div_scale_f64 v[213:214], null, v[211:212], v[211:212], v[209:210]
	v_div_scale_f64 v[219:220], vcc_lo, v[209:210], v[211:212], v[209:210]
	v_rcp_f64_e32 v[215:216], v[213:214]
	v_fma_f64 v[217:218], -v[213:214], v[215:216], 1.0
	v_fma_f64 v[215:216], v[215:216], v[217:218], v[215:216]
	v_fma_f64 v[217:218], -v[213:214], v[215:216], 1.0
	v_fma_f64 v[215:216], v[215:216], v[217:218], v[215:216]
	v_mul_f64 v[217:218], v[219:220], v[215:216]
	v_fma_f64 v[213:214], -v[213:214], v[217:218], v[219:220]
	v_div_fmas_f64 v[213:214], v[213:214], v[215:216], v[217:218]
	v_div_fixup_f64 v[213:214], v[213:214], v[211:212], v[209:210]
	v_fma_f64 v[209:210], v[209:210], v[213:214], v[211:212]
	v_div_scale_f64 v[211:212], null, v[209:210], v[209:210], 1.0
	v_rcp_f64_e32 v[215:216], v[211:212]
	v_fma_f64 v[217:218], -v[211:212], v[215:216], 1.0
	v_fma_f64 v[215:216], v[215:216], v[217:218], v[215:216]
	v_fma_f64 v[217:218], -v[211:212], v[215:216], 1.0
	v_fma_f64 v[215:216], v[215:216], v[217:218], v[215:216]
	v_div_scale_f64 v[217:218], vcc_lo, 1.0, v[209:210], 1.0
	v_mul_f64 v[219:220], v[217:218], v[215:216]
	v_fma_f64 v[211:212], -v[211:212], v[219:220], v[217:218]
	v_div_fmas_f64 v[211:212], v[211:212], v[215:216], v[219:220]
	v_div_fixup_f64 v[215:216], v[211:212], v[209:210], 1.0
                                        ; implicit-def: $vgpr209_vgpr210
	v_mul_f64 v[213:214], v[213:214], v[215:216]
	v_xor_b32_e32 v216, 0x80000000, v216
.LBB103_248:
	s_andn2_saveexec_b32 s1, s1
	s_cbranch_execz .LBB103_250
; %bb.249:
	v_div_scale_f64 v[213:214], null, v[209:210], v[209:210], v[211:212]
	v_div_scale_f64 v[219:220], vcc_lo, v[211:212], v[209:210], v[211:212]
	v_rcp_f64_e32 v[215:216], v[213:214]
	v_fma_f64 v[217:218], -v[213:214], v[215:216], 1.0
	v_fma_f64 v[215:216], v[215:216], v[217:218], v[215:216]
	v_fma_f64 v[217:218], -v[213:214], v[215:216], 1.0
	v_fma_f64 v[215:216], v[215:216], v[217:218], v[215:216]
	v_mul_f64 v[217:218], v[219:220], v[215:216]
	v_fma_f64 v[213:214], -v[213:214], v[217:218], v[219:220]
	v_div_fmas_f64 v[213:214], v[213:214], v[215:216], v[217:218]
	v_div_fixup_f64 v[215:216], v[213:214], v[209:210], v[211:212]
	v_fma_f64 v[209:210], v[211:212], v[215:216], v[209:210]
	v_div_scale_f64 v[211:212], null, v[209:210], v[209:210], 1.0
	v_rcp_f64_e32 v[213:214], v[211:212]
	v_fma_f64 v[217:218], -v[211:212], v[213:214], 1.0
	v_fma_f64 v[213:214], v[213:214], v[217:218], v[213:214]
	v_fma_f64 v[217:218], -v[211:212], v[213:214], 1.0
	v_fma_f64 v[213:214], v[213:214], v[217:218], v[213:214]
	v_div_scale_f64 v[217:218], vcc_lo, 1.0, v[209:210], 1.0
	v_mul_f64 v[219:220], v[217:218], v[213:214]
	v_fma_f64 v[211:212], -v[211:212], v[219:220], v[217:218]
	v_div_fmas_f64 v[211:212], v[211:212], v[213:214], v[219:220]
	v_div_fixup_f64 v[213:214], v[211:212], v[209:210], 1.0
	v_mul_f64 v[215:216], v[215:216], -v[213:214]
.LBB103_250:
	s_or_b32 exec_lo, exec_lo, s1
	ds_write2_b64 v255, v[213:214], v[215:216] offset1:1
.LBB103_251:
	s_or_b32 exec_lo, exec_lo, s2
	s_waitcnt lgkmcnt(0)
	s_barrier
	buffer_gl0_inv
	ds_read2_b64 v[245:248], v255 offset1:1
	s_mov_b32 s1, exec_lo
	v_cmpx_lt_u32_e32 27, v0
	s_cbranch_execz .LBB103_253
; %bb.252:
	s_waitcnt lgkmcnt(0)
	v_mul_f64 v[209:210], v[247:248], v[99:100]
	v_mul_f64 v[99:100], v[245:246], v[99:100]
	ds_read2_b64 v[211:214], v253 offset0:56 offset1:57
	v_fma_f64 v[209:210], v[245:246], v[97:98], -v[209:210]
	v_fma_f64 v[99:100], v[247:248], v[97:98], v[99:100]
	s_waitcnt lgkmcnt(0)
	v_mul_f64 v[97:98], v[213:214], v[99:100]
	v_fma_f64 v[97:98], v[211:212], v[209:210], -v[97:98]
	v_mul_f64 v[211:212], v[211:212], v[99:100]
	v_add_f64 v[93:94], v[93:94], -v[97:98]
	v_fma_f64 v[211:212], v[213:214], v[209:210], v[211:212]
	v_add_f64 v[95:96], v[95:96], -v[211:212]
	ds_read2_b64 v[211:214], v253 offset0:58 offset1:59
	s_waitcnt lgkmcnt(0)
	v_mul_f64 v[97:98], v[213:214], v[99:100]
	v_fma_f64 v[97:98], v[211:212], v[209:210], -v[97:98]
	v_mul_f64 v[211:212], v[211:212], v[99:100]
	v_add_f64 v[89:90], v[89:90], -v[97:98]
	v_fma_f64 v[211:212], v[213:214], v[209:210], v[211:212]
	v_add_f64 v[91:92], v[91:92], -v[211:212]
	ds_read2_b64 v[211:214], v253 offset0:60 offset1:61
	;; [unrolled: 8-line block ×23, first 2 shown]
	s_waitcnt lgkmcnt(0)
	v_mul_f64 v[97:98], v[213:214], v[99:100]
	v_fma_f64 v[97:98], v[211:212], v[209:210], -v[97:98]
	v_mul_f64 v[211:212], v[211:212], v[99:100]
	v_add_f64 v[1:2], v[1:2], -v[97:98]
	v_fma_f64 v[211:212], v[213:214], v[209:210], v[211:212]
	v_mov_b32_e32 v97, v209
	v_mov_b32_e32 v98, v210
	v_add_f64 v[3:4], v[3:4], -v[211:212]
.LBB103_253:
	s_or_b32 exec_lo, exec_lo, s1
	s_mov_b32 s2, exec_lo
	s_waitcnt lgkmcnt(0)
	s_barrier
	buffer_gl0_inv
	v_cmpx_eq_u32_e32 28, v0
	s_cbranch_execz .LBB103_260
; %bb.254:
	ds_write2_b64 v255, v[93:94], v[95:96] offset1:1
	ds_write2_b64 v253, v[89:90], v[91:92] offset0:58 offset1:59
	ds_write2_b64 v253, v[85:86], v[87:88] offset0:60 offset1:61
	;; [unrolled: 1-line block ×23, first 2 shown]
	ds_read2_b64 v[209:212], v255 offset1:1
	s_waitcnt lgkmcnt(0)
	v_cmp_neq_f64_e32 vcc_lo, 0, v[209:210]
	v_cmp_neq_f64_e64 s1, 0, v[211:212]
	s_or_b32 s1, vcc_lo, s1
	s_and_b32 exec_lo, exec_lo, s1
	s_cbranch_execz .LBB103_260
; %bb.255:
	v_cmp_ngt_f64_e64 s1, |v[209:210]|, |v[211:212]|
                                        ; implicit-def: $vgpr213_vgpr214
	s_and_saveexec_b32 s3, s1
	s_xor_b32 s1, exec_lo, s3
                                        ; implicit-def: $vgpr215_vgpr216
	s_cbranch_execz .LBB103_257
; %bb.256:
	v_div_scale_f64 v[213:214], null, v[211:212], v[211:212], v[209:210]
	v_div_scale_f64 v[219:220], vcc_lo, v[209:210], v[211:212], v[209:210]
	v_rcp_f64_e32 v[215:216], v[213:214]
	v_fma_f64 v[217:218], -v[213:214], v[215:216], 1.0
	v_fma_f64 v[215:216], v[215:216], v[217:218], v[215:216]
	v_fma_f64 v[217:218], -v[213:214], v[215:216], 1.0
	v_fma_f64 v[215:216], v[215:216], v[217:218], v[215:216]
	v_mul_f64 v[217:218], v[219:220], v[215:216]
	v_fma_f64 v[213:214], -v[213:214], v[217:218], v[219:220]
	v_div_fmas_f64 v[213:214], v[213:214], v[215:216], v[217:218]
	v_div_fixup_f64 v[213:214], v[213:214], v[211:212], v[209:210]
	v_fma_f64 v[209:210], v[209:210], v[213:214], v[211:212]
	v_div_scale_f64 v[211:212], null, v[209:210], v[209:210], 1.0
	v_rcp_f64_e32 v[215:216], v[211:212]
	v_fma_f64 v[217:218], -v[211:212], v[215:216], 1.0
	v_fma_f64 v[215:216], v[215:216], v[217:218], v[215:216]
	v_fma_f64 v[217:218], -v[211:212], v[215:216], 1.0
	v_fma_f64 v[215:216], v[215:216], v[217:218], v[215:216]
	v_div_scale_f64 v[217:218], vcc_lo, 1.0, v[209:210], 1.0
	v_mul_f64 v[219:220], v[217:218], v[215:216]
	v_fma_f64 v[211:212], -v[211:212], v[219:220], v[217:218]
	v_div_fmas_f64 v[211:212], v[211:212], v[215:216], v[219:220]
	v_div_fixup_f64 v[215:216], v[211:212], v[209:210], 1.0
                                        ; implicit-def: $vgpr209_vgpr210
	v_mul_f64 v[213:214], v[213:214], v[215:216]
	v_xor_b32_e32 v216, 0x80000000, v216
.LBB103_257:
	s_andn2_saveexec_b32 s1, s1
	s_cbranch_execz .LBB103_259
; %bb.258:
	v_div_scale_f64 v[213:214], null, v[209:210], v[209:210], v[211:212]
	v_div_scale_f64 v[219:220], vcc_lo, v[211:212], v[209:210], v[211:212]
	v_rcp_f64_e32 v[215:216], v[213:214]
	v_fma_f64 v[217:218], -v[213:214], v[215:216], 1.0
	v_fma_f64 v[215:216], v[215:216], v[217:218], v[215:216]
	v_fma_f64 v[217:218], -v[213:214], v[215:216], 1.0
	v_fma_f64 v[215:216], v[215:216], v[217:218], v[215:216]
	v_mul_f64 v[217:218], v[219:220], v[215:216]
	v_fma_f64 v[213:214], -v[213:214], v[217:218], v[219:220]
	v_div_fmas_f64 v[213:214], v[213:214], v[215:216], v[217:218]
	v_div_fixup_f64 v[215:216], v[213:214], v[209:210], v[211:212]
	v_fma_f64 v[209:210], v[211:212], v[215:216], v[209:210]
	v_div_scale_f64 v[211:212], null, v[209:210], v[209:210], 1.0
	v_rcp_f64_e32 v[213:214], v[211:212]
	v_fma_f64 v[217:218], -v[211:212], v[213:214], 1.0
	v_fma_f64 v[213:214], v[213:214], v[217:218], v[213:214]
	v_fma_f64 v[217:218], -v[211:212], v[213:214], 1.0
	v_fma_f64 v[213:214], v[213:214], v[217:218], v[213:214]
	v_div_scale_f64 v[217:218], vcc_lo, 1.0, v[209:210], 1.0
	v_mul_f64 v[219:220], v[217:218], v[213:214]
	v_fma_f64 v[211:212], -v[211:212], v[219:220], v[217:218]
	v_div_fmas_f64 v[211:212], v[211:212], v[213:214], v[219:220]
	v_div_fixup_f64 v[213:214], v[211:212], v[209:210], 1.0
	v_mul_f64 v[215:216], v[215:216], -v[213:214]
.LBB103_259:
	s_or_b32 exec_lo, exec_lo, s1
	ds_write2_b64 v255, v[213:214], v[215:216] offset1:1
.LBB103_260:
	s_or_b32 exec_lo, exec_lo, s2
	s_waitcnt lgkmcnt(0)
	s_barrier
	buffer_gl0_inv
	ds_read2_b64 v[249:252], v255 offset1:1
	s_mov_b32 s1, exec_lo
	v_cmpx_lt_u32_e32 28, v0
	s_cbranch_execz .LBB103_262
; %bb.261:
	s_waitcnt lgkmcnt(0)
	v_mul_f64 v[209:210], v[251:252], v[95:96]
	v_mul_f64 v[95:96], v[249:250], v[95:96]
	ds_read2_b64 v[211:214], v253 offset0:58 offset1:59
	v_fma_f64 v[209:210], v[249:250], v[93:94], -v[209:210]
	v_fma_f64 v[95:96], v[251:252], v[93:94], v[95:96]
	s_waitcnt lgkmcnt(0)
	v_mul_f64 v[93:94], v[213:214], v[95:96]
	v_fma_f64 v[93:94], v[211:212], v[209:210], -v[93:94]
	v_mul_f64 v[211:212], v[211:212], v[95:96]
	v_add_f64 v[89:90], v[89:90], -v[93:94]
	v_fma_f64 v[211:212], v[213:214], v[209:210], v[211:212]
	v_add_f64 v[91:92], v[91:92], -v[211:212]
	ds_read2_b64 v[211:214], v253 offset0:60 offset1:61
	s_waitcnt lgkmcnt(0)
	v_mul_f64 v[93:94], v[213:214], v[95:96]
	v_fma_f64 v[93:94], v[211:212], v[209:210], -v[93:94]
	v_mul_f64 v[211:212], v[211:212], v[95:96]
	v_add_f64 v[85:86], v[85:86], -v[93:94]
	v_fma_f64 v[211:212], v[213:214], v[209:210], v[211:212]
	v_add_f64 v[87:88], v[87:88], -v[211:212]
	ds_read2_b64 v[211:214], v253 offset0:62 offset1:63
	;; [unrolled: 8-line block ×22, first 2 shown]
	s_waitcnt lgkmcnt(0)
	v_mul_f64 v[93:94], v[213:214], v[95:96]
	v_fma_f64 v[93:94], v[211:212], v[209:210], -v[93:94]
	v_mul_f64 v[211:212], v[211:212], v[95:96]
	v_add_f64 v[1:2], v[1:2], -v[93:94]
	v_fma_f64 v[211:212], v[213:214], v[209:210], v[211:212]
	v_mov_b32_e32 v93, v209
	v_mov_b32_e32 v94, v210
	v_add_f64 v[3:4], v[3:4], -v[211:212]
.LBB103_262:
	s_or_b32 exec_lo, exec_lo, s1
	s_mov_b32 s2, exec_lo
	s_waitcnt lgkmcnt(0)
	s_barrier
	buffer_gl0_inv
	v_cmpx_eq_u32_e32 29, v0
	s_cbranch_execz .LBB103_269
; %bb.263:
	ds_write2_b64 v255, v[89:90], v[91:92] offset1:1
	ds_write2_b64 v253, v[85:86], v[87:88] offset0:60 offset1:61
	ds_write2_b64 v253, v[81:82], v[83:84] offset0:62 offset1:63
	;; [unrolled: 1-line block ×22, first 2 shown]
	ds_read2_b64 v[209:212], v255 offset1:1
	s_waitcnt lgkmcnt(0)
	v_cmp_neq_f64_e32 vcc_lo, 0, v[209:210]
	v_cmp_neq_f64_e64 s1, 0, v[211:212]
	s_or_b32 s1, vcc_lo, s1
	s_and_b32 exec_lo, exec_lo, s1
	s_cbranch_execz .LBB103_269
; %bb.264:
	v_cmp_ngt_f64_e64 s1, |v[209:210]|, |v[211:212]|
                                        ; implicit-def: $vgpr213_vgpr214
	s_and_saveexec_b32 s3, s1
	s_xor_b32 s1, exec_lo, s3
                                        ; implicit-def: $vgpr215_vgpr216
	s_cbranch_execz .LBB103_266
; %bb.265:
	v_div_scale_f64 v[213:214], null, v[211:212], v[211:212], v[209:210]
	v_div_scale_f64 v[219:220], vcc_lo, v[209:210], v[211:212], v[209:210]
	v_rcp_f64_e32 v[215:216], v[213:214]
	v_fma_f64 v[217:218], -v[213:214], v[215:216], 1.0
	v_fma_f64 v[215:216], v[215:216], v[217:218], v[215:216]
	v_fma_f64 v[217:218], -v[213:214], v[215:216], 1.0
	v_fma_f64 v[215:216], v[215:216], v[217:218], v[215:216]
	v_mul_f64 v[217:218], v[219:220], v[215:216]
	v_fma_f64 v[213:214], -v[213:214], v[217:218], v[219:220]
	v_div_fmas_f64 v[213:214], v[213:214], v[215:216], v[217:218]
	v_div_fixup_f64 v[213:214], v[213:214], v[211:212], v[209:210]
	v_fma_f64 v[209:210], v[209:210], v[213:214], v[211:212]
	v_div_scale_f64 v[211:212], null, v[209:210], v[209:210], 1.0
	v_rcp_f64_e32 v[215:216], v[211:212]
	v_fma_f64 v[217:218], -v[211:212], v[215:216], 1.0
	v_fma_f64 v[215:216], v[215:216], v[217:218], v[215:216]
	v_fma_f64 v[217:218], -v[211:212], v[215:216], 1.0
	v_fma_f64 v[215:216], v[215:216], v[217:218], v[215:216]
	v_div_scale_f64 v[217:218], vcc_lo, 1.0, v[209:210], 1.0
	v_mul_f64 v[219:220], v[217:218], v[215:216]
	v_fma_f64 v[211:212], -v[211:212], v[219:220], v[217:218]
	v_div_fmas_f64 v[211:212], v[211:212], v[215:216], v[219:220]
	v_div_fixup_f64 v[215:216], v[211:212], v[209:210], 1.0
                                        ; implicit-def: $vgpr209_vgpr210
	v_mul_f64 v[213:214], v[213:214], v[215:216]
	v_xor_b32_e32 v216, 0x80000000, v216
.LBB103_266:
	s_andn2_saveexec_b32 s1, s1
	s_cbranch_execz .LBB103_268
; %bb.267:
	v_div_scale_f64 v[213:214], null, v[209:210], v[209:210], v[211:212]
	v_div_scale_f64 v[219:220], vcc_lo, v[211:212], v[209:210], v[211:212]
	v_rcp_f64_e32 v[215:216], v[213:214]
	v_fma_f64 v[217:218], -v[213:214], v[215:216], 1.0
	v_fma_f64 v[215:216], v[215:216], v[217:218], v[215:216]
	v_fma_f64 v[217:218], -v[213:214], v[215:216], 1.0
	v_fma_f64 v[215:216], v[215:216], v[217:218], v[215:216]
	v_mul_f64 v[217:218], v[219:220], v[215:216]
	v_fma_f64 v[213:214], -v[213:214], v[217:218], v[219:220]
	v_div_fmas_f64 v[213:214], v[213:214], v[215:216], v[217:218]
	v_div_fixup_f64 v[215:216], v[213:214], v[209:210], v[211:212]
	v_fma_f64 v[209:210], v[211:212], v[215:216], v[209:210]
	v_div_scale_f64 v[211:212], null, v[209:210], v[209:210], 1.0
	v_rcp_f64_e32 v[213:214], v[211:212]
	v_fma_f64 v[217:218], -v[211:212], v[213:214], 1.0
	v_fma_f64 v[213:214], v[213:214], v[217:218], v[213:214]
	v_fma_f64 v[217:218], -v[211:212], v[213:214], 1.0
	v_fma_f64 v[213:214], v[213:214], v[217:218], v[213:214]
	v_div_scale_f64 v[217:218], vcc_lo, 1.0, v[209:210], 1.0
	v_mul_f64 v[219:220], v[217:218], v[213:214]
	v_fma_f64 v[211:212], -v[211:212], v[219:220], v[217:218]
	v_div_fmas_f64 v[211:212], v[211:212], v[213:214], v[219:220]
	v_div_fixup_f64 v[213:214], v[211:212], v[209:210], 1.0
	v_mul_f64 v[215:216], v[215:216], -v[213:214]
.LBB103_268:
	s_or_b32 exec_lo, exec_lo, s1
	ds_write2_b64 v255, v[213:214], v[215:216] offset1:1
.LBB103_269:
	s_or_b32 exec_lo, exec_lo, s2
	s_waitcnt lgkmcnt(0)
	s_barrier
	buffer_gl0_inv
	ds_read2_b64 v[205:208], v255 offset1:1
	s_mov_b32 s1, exec_lo
	s_waitcnt lgkmcnt(0)
	buffer_store_dword v205, off, s[16:19], 0 offset:848 ; 4-byte Folded Spill
	buffer_store_dword v206, off, s[16:19], 0 offset:852 ; 4-byte Folded Spill
	;; [unrolled: 1-line block ×4, first 2 shown]
	v_cmpx_lt_u32_e32 29, v0
	s_cbranch_execz .LBB103_271
; %bb.270:
	s_clause 0x3
	buffer_load_dword v205, off, s[16:19], 0 offset:848
	buffer_load_dword v206, off, s[16:19], 0 offset:852
	buffer_load_dword v207, off, s[16:19], 0 offset:856
	buffer_load_dword v208, off, s[16:19], 0 offset:860
	ds_read2_b64 v[211:214], v253 offset0:60 offset1:61
	s_waitcnt vmcnt(0)
	v_mul_f64 v[209:210], v[207:208], v[91:92]
	v_mul_f64 v[91:92], v[205:206], v[91:92]
	v_fma_f64 v[209:210], v[205:206], v[89:90], -v[209:210]
	v_fma_f64 v[91:92], v[207:208], v[89:90], v[91:92]
	s_waitcnt lgkmcnt(0)
	v_mul_f64 v[89:90], v[213:214], v[91:92]
	v_fma_f64 v[89:90], v[211:212], v[209:210], -v[89:90]
	v_mul_f64 v[211:212], v[211:212], v[91:92]
	v_add_f64 v[85:86], v[85:86], -v[89:90]
	v_fma_f64 v[211:212], v[213:214], v[209:210], v[211:212]
	v_add_f64 v[87:88], v[87:88], -v[211:212]
	ds_read2_b64 v[211:214], v253 offset0:62 offset1:63
	s_waitcnt lgkmcnt(0)
	v_mul_f64 v[89:90], v[213:214], v[91:92]
	v_fma_f64 v[89:90], v[211:212], v[209:210], -v[89:90]
	v_mul_f64 v[211:212], v[211:212], v[91:92]
	v_add_f64 v[81:82], v[81:82], -v[89:90]
	v_fma_f64 v[211:212], v[213:214], v[209:210], v[211:212]
	v_add_f64 v[83:84], v[83:84], -v[211:212]
	ds_read2_b64 v[211:214], v253 offset0:64 offset1:65
	;; [unrolled: 8-line block ×21, first 2 shown]
	s_waitcnt lgkmcnt(0)
	v_mul_f64 v[89:90], v[213:214], v[91:92]
	v_fma_f64 v[89:90], v[211:212], v[209:210], -v[89:90]
	v_mul_f64 v[211:212], v[211:212], v[91:92]
	v_add_f64 v[1:2], v[1:2], -v[89:90]
	v_fma_f64 v[211:212], v[213:214], v[209:210], v[211:212]
	v_mov_b32_e32 v89, v209
	v_mov_b32_e32 v90, v210
	v_add_f64 v[3:4], v[3:4], -v[211:212]
.LBB103_271:
	s_or_b32 exec_lo, exec_lo, s1
	s_mov_b32 s2, exec_lo
	s_waitcnt_vscnt null, 0x0
	s_barrier
	buffer_gl0_inv
	v_cmpx_eq_u32_e32 30, v0
	s_cbranch_execz .LBB103_278
; %bb.272:
	ds_write2_b64 v255, v[85:86], v[87:88] offset1:1
	ds_write2_b64 v253, v[81:82], v[83:84] offset0:62 offset1:63
	ds_write2_b64 v253, v[77:78], v[79:80] offset0:64 offset1:65
	;; [unrolled: 1-line block ×21, first 2 shown]
	ds_read2_b64 v[209:212], v255 offset1:1
	s_waitcnt lgkmcnt(0)
	v_cmp_neq_f64_e32 vcc_lo, 0, v[209:210]
	v_cmp_neq_f64_e64 s1, 0, v[211:212]
	s_or_b32 s1, vcc_lo, s1
	s_and_b32 exec_lo, exec_lo, s1
	s_cbranch_execz .LBB103_278
; %bb.273:
	v_cmp_ngt_f64_e64 s1, |v[209:210]|, |v[211:212]|
                                        ; implicit-def: $vgpr213_vgpr214
	s_and_saveexec_b32 s3, s1
	s_xor_b32 s1, exec_lo, s3
                                        ; implicit-def: $vgpr215_vgpr216
	s_cbranch_execz .LBB103_275
; %bb.274:
	v_div_scale_f64 v[213:214], null, v[211:212], v[211:212], v[209:210]
	v_div_scale_f64 v[219:220], vcc_lo, v[209:210], v[211:212], v[209:210]
	v_rcp_f64_e32 v[215:216], v[213:214]
	v_fma_f64 v[217:218], -v[213:214], v[215:216], 1.0
	v_fma_f64 v[215:216], v[215:216], v[217:218], v[215:216]
	v_fma_f64 v[217:218], -v[213:214], v[215:216], 1.0
	v_fma_f64 v[215:216], v[215:216], v[217:218], v[215:216]
	v_mul_f64 v[217:218], v[219:220], v[215:216]
	v_fma_f64 v[213:214], -v[213:214], v[217:218], v[219:220]
	v_div_fmas_f64 v[213:214], v[213:214], v[215:216], v[217:218]
	v_div_fixup_f64 v[213:214], v[213:214], v[211:212], v[209:210]
	v_fma_f64 v[209:210], v[209:210], v[213:214], v[211:212]
	v_div_scale_f64 v[211:212], null, v[209:210], v[209:210], 1.0
	v_rcp_f64_e32 v[215:216], v[211:212]
	v_fma_f64 v[217:218], -v[211:212], v[215:216], 1.0
	v_fma_f64 v[215:216], v[215:216], v[217:218], v[215:216]
	v_fma_f64 v[217:218], -v[211:212], v[215:216], 1.0
	v_fma_f64 v[215:216], v[215:216], v[217:218], v[215:216]
	v_div_scale_f64 v[217:218], vcc_lo, 1.0, v[209:210], 1.0
	v_mul_f64 v[219:220], v[217:218], v[215:216]
	v_fma_f64 v[211:212], -v[211:212], v[219:220], v[217:218]
	v_div_fmas_f64 v[211:212], v[211:212], v[215:216], v[219:220]
	v_div_fixup_f64 v[215:216], v[211:212], v[209:210], 1.0
                                        ; implicit-def: $vgpr209_vgpr210
	v_mul_f64 v[213:214], v[213:214], v[215:216]
	v_xor_b32_e32 v216, 0x80000000, v216
.LBB103_275:
	s_andn2_saveexec_b32 s1, s1
	s_cbranch_execz .LBB103_277
; %bb.276:
	v_div_scale_f64 v[213:214], null, v[209:210], v[209:210], v[211:212]
	v_div_scale_f64 v[219:220], vcc_lo, v[211:212], v[209:210], v[211:212]
	v_rcp_f64_e32 v[215:216], v[213:214]
	v_fma_f64 v[217:218], -v[213:214], v[215:216], 1.0
	v_fma_f64 v[215:216], v[215:216], v[217:218], v[215:216]
	v_fma_f64 v[217:218], -v[213:214], v[215:216], 1.0
	v_fma_f64 v[215:216], v[215:216], v[217:218], v[215:216]
	v_mul_f64 v[217:218], v[219:220], v[215:216]
	v_fma_f64 v[213:214], -v[213:214], v[217:218], v[219:220]
	v_div_fmas_f64 v[213:214], v[213:214], v[215:216], v[217:218]
	v_div_fixup_f64 v[215:216], v[213:214], v[209:210], v[211:212]
	v_fma_f64 v[209:210], v[211:212], v[215:216], v[209:210]
	v_div_scale_f64 v[211:212], null, v[209:210], v[209:210], 1.0
	v_rcp_f64_e32 v[213:214], v[211:212]
	v_fma_f64 v[217:218], -v[211:212], v[213:214], 1.0
	v_fma_f64 v[213:214], v[213:214], v[217:218], v[213:214]
	v_fma_f64 v[217:218], -v[211:212], v[213:214], 1.0
	v_fma_f64 v[213:214], v[213:214], v[217:218], v[213:214]
	v_div_scale_f64 v[217:218], vcc_lo, 1.0, v[209:210], 1.0
	v_mul_f64 v[219:220], v[217:218], v[213:214]
	v_fma_f64 v[211:212], -v[211:212], v[219:220], v[217:218]
	v_div_fmas_f64 v[211:212], v[211:212], v[213:214], v[219:220]
	v_div_fixup_f64 v[213:214], v[211:212], v[209:210], 1.0
	v_mul_f64 v[215:216], v[215:216], -v[213:214]
.LBB103_277:
	s_or_b32 exec_lo, exec_lo, s1
	ds_write2_b64 v255, v[213:214], v[215:216] offset1:1
.LBB103_278:
	s_or_b32 exec_lo, exec_lo, s2
	s_waitcnt lgkmcnt(0)
	s_barrier
	buffer_gl0_inv
	ds_read2_b64 v[205:208], v255 offset1:1
	s_mov_b32 s1, exec_lo
	s_waitcnt lgkmcnt(0)
	buffer_store_dword v205, off, s[16:19], 0 offset:864 ; 4-byte Folded Spill
	buffer_store_dword v206, off, s[16:19], 0 offset:868 ; 4-byte Folded Spill
	;; [unrolled: 1-line block ×4, first 2 shown]
	v_cmpx_lt_u32_e32 30, v0
	s_cbranch_execz .LBB103_280
; %bb.279:
	s_clause 0x3
	buffer_load_dword v205, off, s[16:19], 0 offset:864
	buffer_load_dword v206, off, s[16:19], 0 offset:868
	;; [unrolled: 1-line block ×4, first 2 shown]
	ds_read2_b64 v[211:214], v253 offset0:62 offset1:63
	s_waitcnt vmcnt(0)
	v_mul_f64 v[209:210], v[207:208], v[87:88]
	v_mul_f64 v[87:88], v[205:206], v[87:88]
	v_fma_f64 v[209:210], v[205:206], v[85:86], -v[209:210]
	v_fma_f64 v[87:88], v[207:208], v[85:86], v[87:88]
	s_waitcnt lgkmcnt(0)
	v_mul_f64 v[85:86], v[213:214], v[87:88]
	v_fma_f64 v[85:86], v[211:212], v[209:210], -v[85:86]
	v_mul_f64 v[211:212], v[211:212], v[87:88]
	v_add_f64 v[81:82], v[81:82], -v[85:86]
	v_fma_f64 v[211:212], v[213:214], v[209:210], v[211:212]
	v_add_f64 v[83:84], v[83:84], -v[211:212]
	ds_read2_b64 v[211:214], v253 offset0:64 offset1:65
	s_waitcnt lgkmcnt(0)
	v_mul_f64 v[85:86], v[213:214], v[87:88]
	v_fma_f64 v[85:86], v[211:212], v[209:210], -v[85:86]
	v_mul_f64 v[211:212], v[211:212], v[87:88]
	v_add_f64 v[77:78], v[77:78], -v[85:86]
	v_fma_f64 v[211:212], v[213:214], v[209:210], v[211:212]
	v_add_f64 v[79:80], v[79:80], -v[211:212]
	ds_read2_b64 v[211:214], v253 offset0:66 offset1:67
	;; [unrolled: 8-line block ×20, first 2 shown]
	s_waitcnt lgkmcnt(0)
	v_mul_f64 v[85:86], v[213:214], v[87:88]
	v_fma_f64 v[85:86], v[211:212], v[209:210], -v[85:86]
	v_mul_f64 v[211:212], v[211:212], v[87:88]
	v_add_f64 v[1:2], v[1:2], -v[85:86]
	v_fma_f64 v[211:212], v[213:214], v[209:210], v[211:212]
	v_mov_b32_e32 v85, v209
	v_mov_b32_e32 v86, v210
	v_add_f64 v[3:4], v[3:4], -v[211:212]
.LBB103_280:
	s_or_b32 exec_lo, exec_lo, s1
	s_mov_b32 s2, exec_lo
	s_waitcnt_vscnt null, 0x0
	s_barrier
	buffer_gl0_inv
	v_cmpx_eq_u32_e32 31, v0
	s_cbranch_execz .LBB103_287
; %bb.281:
	ds_write2_b64 v255, v[81:82], v[83:84] offset1:1
	ds_write2_b64 v253, v[77:78], v[79:80] offset0:64 offset1:65
	ds_write2_b64 v253, v[73:74], v[75:76] offset0:66 offset1:67
	;; [unrolled: 1-line block ×20, first 2 shown]
	ds_read2_b64 v[209:212], v255 offset1:1
	s_waitcnt lgkmcnt(0)
	v_cmp_neq_f64_e32 vcc_lo, 0, v[209:210]
	v_cmp_neq_f64_e64 s1, 0, v[211:212]
	s_or_b32 s1, vcc_lo, s1
	s_and_b32 exec_lo, exec_lo, s1
	s_cbranch_execz .LBB103_287
; %bb.282:
	v_cmp_ngt_f64_e64 s1, |v[209:210]|, |v[211:212]|
                                        ; implicit-def: $vgpr213_vgpr214
	s_and_saveexec_b32 s3, s1
	s_xor_b32 s1, exec_lo, s3
                                        ; implicit-def: $vgpr215_vgpr216
	s_cbranch_execz .LBB103_284
; %bb.283:
	v_div_scale_f64 v[213:214], null, v[211:212], v[211:212], v[209:210]
	v_div_scale_f64 v[219:220], vcc_lo, v[209:210], v[211:212], v[209:210]
	v_rcp_f64_e32 v[215:216], v[213:214]
	v_fma_f64 v[217:218], -v[213:214], v[215:216], 1.0
	v_fma_f64 v[215:216], v[215:216], v[217:218], v[215:216]
	v_fma_f64 v[217:218], -v[213:214], v[215:216], 1.0
	v_fma_f64 v[215:216], v[215:216], v[217:218], v[215:216]
	v_mul_f64 v[217:218], v[219:220], v[215:216]
	v_fma_f64 v[213:214], -v[213:214], v[217:218], v[219:220]
	v_div_fmas_f64 v[213:214], v[213:214], v[215:216], v[217:218]
	v_div_fixup_f64 v[213:214], v[213:214], v[211:212], v[209:210]
	v_fma_f64 v[209:210], v[209:210], v[213:214], v[211:212]
	v_div_scale_f64 v[211:212], null, v[209:210], v[209:210], 1.0
	v_rcp_f64_e32 v[215:216], v[211:212]
	v_fma_f64 v[217:218], -v[211:212], v[215:216], 1.0
	v_fma_f64 v[215:216], v[215:216], v[217:218], v[215:216]
	v_fma_f64 v[217:218], -v[211:212], v[215:216], 1.0
	v_fma_f64 v[215:216], v[215:216], v[217:218], v[215:216]
	v_div_scale_f64 v[217:218], vcc_lo, 1.0, v[209:210], 1.0
	v_mul_f64 v[219:220], v[217:218], v[215:216]
	v_fma_f64 v[211:212], -v[211:212], v[219:220], v[217:218]
	v_div_fmas_f64 v[211:212], v[211:212], v[215:216], v[219:220]
	v_div_fixup_f64 v[215:216], v[211:212], v[209:210], 1.0
                                        ; implicit-def: $vgpr209_vgpr210
	v_mul_f64 v[213:214], v[213:214], v[215:216]
	v_xor_b32_e32 v216, 0x80000000, v216
.LBB103_284:
	s_andn2_saveexec_b32 s1, s1
	s_cbranch_execz .LBB103_286
; %bb.285:
	v_div_scale_f64 v[213:214], null, v[209:210], v[209:210], v[211:212]
	v_div_scale_f64 v[219:220], vcc_lo, v[211:212], v[209:210], v[211:212]
	v_rcp_f64_e32 v[215:216], v[213:214]
	v_fma_f64 v[217:218], -v[213:214], v[215:216], 1.0
	v_fma_f64 v[215:216], v[215:216], v[217:218], v[215:216]
	v_fma_f64 v[217:218], -v[213:214], v[215:216], 1.0
	v_fma_f64 v[215:216], v[215:216], v[217:218], v[215:216]
	v_mul_f64 v[217:218], v[219:220], v[215:216]
	v_fma_f64 v[213:214], -v[213:214], v[217:218], v[219:220]
	v_div_fmas_f64 v[213:214], v[213:214], v[215:216], v[217:218]
	v_div_fixup_f64 v[215:216], v[213:214], v[209:210], v[211:212]
	v_fma_f64 v[209:210], v[211:212], v[215:216], v[209:210]
	v_div_scale_f64 v[211:212], null, v[209:210], v[209:210], 1.0
	v_rcp_f64_e32 v[213:214], v[211:212]
	v_fma_f64 v[217:218], -v[211:212], v[213:214], 1.0
	v_fma_f64 v[213:214], v[213:214], v[217:218], v[213:214]
	v_fma_f64 v[217:218], -v[211:212], v[213:214], 1.0
	v_fma_f64 v[213:214], v[213:214], v[217:218], v[213:214]
	v_div_scale_f64 v[217:218], vcc_lo, 1.0, v[209:210], 1.0
	v_mul_f64 v[219:220], v[217:218], v[213:214]
	v_fma_f64 v[211:212], -v[211:212], v[219:220], v[217:218]
	v_div_fmas_f64 v[211:212], v[211:212], v[213:214], v[219:220]
	v_div_fixup_f64 v[213:214], v[211:212], v[209:210], 1.0
	v_mul_f64 v[215:216], v[215:216], -v[213:214]
.LBB103_286:
	s_or_b32 exec_lo, exec_lo, s1
	ds_write2_b64 v255, v[213:214], v[215:216] offset1:1
.LBB103_287:
	s_or_b32 exec_lo, exec_lo, s2
	s_waitcnt lgkmcnt(0)
	s_barrier
	buffer_gl0_inv
	ds_read2_b64 v[205:208], v255 offset1:1
	s_mov_b32 s1, exec_lo
	s_waitcnt lgkmcnt(0)
	buffer_store_dword v205, off, s[16:19], 0 offset:880 ; 4-byte Folded Spill
	buffer_store_dword v206, off, s[16:19], 0 offset:884 ; 4-byte Folded Spill
	;; [unrolled: 1-line block ×4, first 2 shown]
	v_cmpx_lt_u32_e32 31, v0
	s_cbranch_execz .LBB103_289
; %bb.288:
	s_clause 0x3
	buffer_load_dword v205, off, s[16:19], 0 offset:880
	buffer_load_dword v206, off, s[16:19], 0 offset:884
	;; [unrolled: 1-line block ×4, first 2 shown]
	ds_read2_b64 v[211:214], v253 offset0:64 offset1:65
	s_waitcnt vmcnt(0)
	v_mul_f64 v[209:210], v[207:208], v[83:84]
	v_mul_f64 v[83:84], v[205:206], v[83:84]
	v_fma_f64 v[209:210], v[205:206], v[81:82], -v[209:210]
	v_fma_f64 v[83:84], v[207:208], v[81:82], v[83:84]
	s_waitcnt lgkmcnt(0)
	v_mul_f64 v[81:82], v[213:214], v[83:84]
	v_fma_f64 v[81:82], v[211:212], v[209:210], -v[81:82]
	v_mul_f64 v[211:212], v[211:212], v[83:84]
	v_add_f64 v[77:78], v[77:78], -v[81:82]
	v_fma_f64 v[211:212], v[213:214], v[209:210], v[211:212]
	v_add_f64 v[79:80], v[79:80], -v[211:212]
	ds_read2_b64 v[211:214], v253 offset0:66 offset1:67
	s_waitcnt lgkmcnt(0)
	v_mul_f64 v[81:82], v[213:214], v[83:84]
	v_fma_f64 v[81:82], v[211:212], v[209:210], -v[81:82]
	v_mul_f64 v[211:212], v[211:212], v[83:84]
	v_add_f64 v[73:74], v[73:74], -v[81:82]
	v_fma_f64 v[211:212], v[213:214], v[209:210], v[211:212]
	v_add_f64 v[75:76], v[75:76], -v[211:212]
	ds_read2_b64 v[211:214], v253 offset0:68 offset1:69
	;; [unrolled: 8-line block ×19, first 2 shown]
	s_waitcnt lgkmcnt(0)
	v_mul_f64 v[81:82], v[213:214], v[83:84]
	v_fma_f64 v[81:82], v[211:212], v[209:210], -v[81:82]
	v_mul_f64 v[211:212], v[211:212], v[83:84]
	v_add_f64 v[1:2], v[1:2], -v[81:82]
	v_fma_f64 v[211:212], v[213:214], v[209:210], v[211:212]
	v_mov_b32_e32 v81, v209
	v_mov_b32_e32 v82, v210
	v_add_f64 v[3:4], v[3:4], -v[211:212]
.LBB103_289:
	s_or_b32 exec_lo, exec_lo, s1
	s_mov_b32 s2, exec_lo
	s_waitcnt_vscnt null, 0x0
	s_barrier
	buffer_gl0_inv
	v_cmpx_eq_u32_e32 32, v0
	s_cbranch_execz .LBB103_296
; %bb.290:
	ds_write2_b64 v255, v[77:78], v[79:80] offset1:1
	ds_write2_b64 v253, v[73:74], v[75:76] offset0:66 offset1:67
	ds_write2_b64 v253, v[69:70], v[71:72] offset0:68 offset1:69
	;; [unrolled: 1-line block ×19, first 2 shown]
	ds_read2_b64 v[209:212], v255 offset1:1
	s_waitcnt lgkmcnt(0)
	v_cmp_neq_f64_e32 vcc_lo, 0, v[209:210]
	v_cmp_neq_f64_e64 s1, 0, v[211:212]
	s_or_b32 s1, vcc_lo, s1
	s_and_b32 exec_lo, exec_lo, s1
	s_cbranch_execz .LBB103_296
; %bb.291:
	v_cmp_ngt_f64_e64 s1, |v[209:210]|, |v[211:212]|
                                        ; implicit-def: $vgpr213_vgpr214
	s_and_saveexec_b32 s3, s1
	s_xor_b32 s1, exec_lo, s3
                                        ; implicit-def: $vgpr215_vgpr216
	s_cbranch_execz .LBB103_293
; %bb.292:
	v_div_scale_f64 v[213:214], null, v[211:212], v[211:212], v[209:210]
	v_div_scale_f64 v[219:220], vcc_lo, v[209:210], v[211:212], v[209:210]
	v_rcp_f64_e32 v[215:216], v[213:214]
	v_fma_f64 v[217:218], -v[213:214], v[215:216], 1.0
	v_fma_f64 v[215:216], v[215:216], v[217:218], v[215:216]
	v_fma_f64 v[217:218], -v[213:214], v[215:216], 1.0
	v_fma_f64 v[215:216], v[215:216], v[217:218], v[215:216]
	v_mul_f64 v[217:218], v[219:220], v[215:216]
	v_fma_f64 v[213:214], -v[213:214], v[217:218], v[219:220]
	v_div_fmas_f64 v[213:214], v[213:214], v[215:216], v[217:218]
	v_div_fixup_f64 v[213:214], v[213:214], v[211:212], v[209:210]
	v_fma_f64 v[209:210], v[209:210], v[213:214], v[211:212]
	v_div_scale_f64 v[211:212], null, v[209:210], v[209:210], 1.0
	v_rcp_f64_e32 v[215:216], v[211:212]
	v_fma_f64 v[217:218], -v[211:212], v[215:216], 1.0
	v_fma_f64 v[215:216], v[215:216], v[217:218], v[215:216]
	v_fma_f64 v[217:218], -v[211:212], v[215:216], 1.0
	v_fma_f64 v[215:216], v[215:216], v[217:218], v[215:216]
	v_div_scale_f64 v[217:218], vcc_lo, 1.0, v[209:210], 1.0
	v_mul_f64 v[219:220], v[217:218], v[215:216]
	v_fma_f64 v[211:212], -v[211:212], v[219:220], v[217:218]
	v_div_fmas_f64 v[211:212], v[211:212], v[215:216], v[219:220]
	v_div_fixup_f64 v[215:216], v[211:212], v[209:210], 1.0
                                        ; implicit-def: $vgpr209_vgpr210
	v_mul_f64 v[213:214], v[213:214], v[215:216]
	v_xor_b32_e32 v216, 0x80000000, v216
.LBB103_293:
	s_andn2_saveexec_b32 s1, s1
	s_cbranch_execz .LBB103_295
; %bb.294:
	v_div_scale_f64 v[213:214], null, v[209:210], v[209:210], v[211:212]
	v_div_scale_f64 v[219:220], vcc_lo, v[211:212], v[209:210], v[211:212]
	v_rcp_f64_e32 v[215:216], v[213:214]
	v_fma_f64 v[217:218], -v[213:214], v[215:216], 1.0
	v_fma_f64 v[215:216], v[215:216], v[217:218], v[215:216]
	v_fma_f64 v[217:218], -v[213:214], v[215:216], 1.0
	v_fma_f64 v[215:216], v[215:216], v[217:218], v[215:216]
	v_mul_f64 v[217:218], v[219:220], v[215:216]
	v_fma_f64 v[213:214], -v[213:214], v[217:218], v[219:220]
	v_div_fmas_f64 v[213:214], v[213:214], v[215:216], v[217:218]
	v_div_fixup_f64 v[215:216], v[213:214], v[209:210], v[211:212]
	v_fma_f64 v[209:210], v[211:212], v[215:216], v[209:210]
	v_div_scale_f64 v[211:212], null, v[209:210], v[209:210], 1.0
	v_rcp_f64_e32 v[213:214], v[211:212]
	v_fma_f64 v[217:218], -v[211:212], v[213:214], 1.0
	v_fma_f64 v[213:214], v[213:214], v[217:218], v[213:214]
	v_fma_f64 v[217:218], -v[211:212], v[213:214], 1.0
	v_fma_f64 v[213:214], v[213:214], v[217:218], v[213:214]
	v_div_scale_f64 v[217:218], vcc_lo, 1.0, v[209:210], 1.0
	v_mul_f64 v[219:220], v[217:218], v[213:214]
	v_fma_f64 v[211:212], -v[211:212], v[219:220], v[217:218]
	v_div_fmas_f64 v[211:212], v[211:212], v[213:214], v[219:220]
	v_div_fixup_f64 v[213:214], v[211:212], v[209:210], 1.0
	v_mul_f64 v[215:216], v[215:216], -v[213:214]
.LBB103_295:
	s_or_b32 exec_lo, exec_lo, s1
	ds_write2_b64 v255, v[213:214], v[215:216] offset1:1
.LBB103_296:
	s_or_b32 exec_lo, exec_lo, s2
	s_waitcnt lgkmcnt(0)
	s_barrier
	buffer_gl0_inv
	ds_read2_b64 v[205:208], v255 offset1:1
	s_mov_b32 s1, exec_lo
	s_waitcnt lgkmcnt(0)
	buffer_store_dword v205, off, s[16:19], 0 offset:896 ; 4-byte Folded Spill
	buffer_store_dword v206, off, s[16:19], 0 offset:900 ; 4-byte Folded Spill
	;; [unrolled: 1-line block ×4, first 2 shown]
	v_cmpx_lt_u32_e32 32, v0
	s_cbranch_execz .LBB103_298
; %bb.297:
	s_clause 0x3
	buffer_load_dword v205, off, s[16:19], 0 offset:896
	buffer_load_dword v206, off, s[16:19], 0 offset:900
	;; [unrolled: 1-line block ×4, first 2 shown]
	ds_read2_b64 v[211:214], v253 offset0:66 offset1:67
	s_waitcnt vmcnt(0)
	v_mul_f64 v[209:210], v[207:208], v[79:80]
	v_mul_f64 v[79:80], v[205:206], v[79:80]
	v_fma_f64 v[209:210], v[205:206], v[77:78], -v[209:210]
	v_fma_f64 v[79:80], v[207:208], v[77:78], v[79:80]
	s_waitcnt lgkmcnt(0)
	v_mul_f64 v[77:78], v[213:214], v[79:80]
	v_fma_f64 v[77:78], v[211:212], v[209:210], -v[77:78]
	v_mul_f64 v[211:212], v[211:212], v[79:80]
	v_add_f64 v[73:74], v[73:74], -v[77:78]
	v_fma_f64 v[211:212], v[213:214], v[209:210], v[211:212]
	v_add_f64 v[75:76], v[75:76], -v[211:212]
	ds_read2_b64 v[211:214], v253 offset0:68 offset1:69
	s_waitcnt lgkmcnt(0)
	v_mul_f64 v[77:78], v[213:214], v[79:80]
	v_fma_f64 v[77:78], v[211:212], v[209:210], -v[77:78]
	v_mul_f64 v[211:212], v[211:212], v[79:80]
	v_add_f64 v[69:70], v[69:70], -v[77:78]
	v_fma_f64 v[211:212], v[213:214], v[209:210], v[211:212]
	v_add_f64 v[71:72], v[71:72], -v[211:212]
	ds_read2_b64 v[211:214], v253 offset0:70 offset1:71
	;; [unrolled: 8-line block ×18, first 2 shown]
	s_waitcnt lgkmcnt(0)
	v_mul_f64 v[77:78], v[213:214], v[79:80]
	v_fma_f64 v[77:78], v[211:212], v[209:210], -v[77:78]
	v_mul_f64 v[211:212], v[211:212], v[79:80]
	v_add_f64 v[1:2], v[1:2], -v[77:78]
	v_fma_f64 v[211:212], v[213:214], v[209:210], v[211:212]
	v_mov_b32_e32 v77, v209
	v_mov_b32_e32 v78, v210
	v_add_f64 v[3:4], v[3:4], -v[211:212]
.LBB103_298:
	s_or_b32 exec_lo, exec_lo, s1
	s_mov_b32 s2, exec_lo
	s_waitcnt_vscnt null, 0x0
	s_barrier
	buffer_gl0_inv
	v_cmpx_eq_u32_e32 33, v0
	s_cbranch_execz .LBB103_305
; %bb.299:
	ds_write2_b64 v255, v[73:74], v[75:76] offset1:1
	ds_write2_b64 v253, v[69:70], v[71:72] offset0:68 offset1:69
	ds_write2_b64 v253, v[65:66], v[67:68] offset0:70 offset1:71
	;; [unrolled: 1-line block ×18, first 2 shown]
	ds_read2_b64 v[209:212], v255 offset1:1
	s_waitcnt lgkmcnt(0)
	v_cmp_neq_f64_e32 vcc_lo, 0, v[209:210]
	v_cmp_neq_f64_e64 s1, 0, v[211:212]
	s_or_b32 s1, vcc_lo, s1
	s_and_b32 exec_lo, exec_lo, s1
	s_cbranch_execz .LBB103_305
; %bb.300:
	v_cmp_ngt_f64_e64 s1, |v[209:210]|, |v[211:212]|
                                        ; implicit-def: $vgpr213_vgpr214
	s_and_saveexec_b32 s3, s1
	s_xor_b32 s1, exec_lo, s3
                                        ; implicit-def: $vgpr215_vgpr216
	s_cbranch_execz .LBB103_302
; %bb.301:
	v_div_scale_f64 v[213:214], null, v[211:212], v[211:212], v[209:210]
	v_div_scale_f64 v[219:220], vcc_lo, v[209:210], v[211:212], v[209:210]
	v_rcp_f64_e32 v[215:216], v[213:214]
	v_fma_f64 v[217:218], -v[213:214], v[215:216], 1.0
	v_fma_f64 v[215:216], v[215:216], v[217:218], v[215:216]
	v_fma_f64 v[217:218], -v[213:214], v[215:216], 1.0
	v_fma_f64 v[215:216], v[215:216], v[217:218], v[215:216]
	v_mul_f64 v[217:218], v[219:220], v[215:216]
	v_fma_f64 v[213:214], -v[213:214], v[217:218], v[219:220]
	v_div_fmas_f64 v[213:214], v[213:214], v[215:216], v[217:218]
	v_div_fixup_f64 v[213:214], v[213:214], v[211:212], v[209:210]
	v_fma_f64 v[209:210], v[209:210], v[213:214], v[211:212]
	v_div_scale_f64 v[211:212], null, v[209:210], v[209:210], 1.0
	v_rcp_f64_e32 v[215:216], v[211:212]
	v_fma_f64 v[217:218], -v[211:212], v[215:216], 1.0
	v_fma_f64 v[215:216], v[215:216], v[217:218], v[215:216]
	v_fma_f64 v[217:218], -v[211:212], v[215:216], 1.0
	v_fma_f64 v[215:216], v[215:216], v[217:218], v[215:216]
	v_div_scale_f64 v[217:218], vcc_lo, 1.0, v[209:210], 1.0
	v_mul_f64 v[219:220], v[217:218], v[215:216]
	v_fma_f64 v[211:212], -v[211:212], v[219:220], v[217:218]
	v_div_fmas_f64 v[211:212], v[211:212], v[215:216], v[219:220]
	v_div_fixup_f64 v[215:216], v[211:212], v[209:210], 1.0
                                        ; implicit-def: $vgpr209_vgpr210
	v_mul_f64 v[213:214], v[213:214], v[215:216]
	v_xor_b32_e32 v216, 0x80000000, v216
.LBB103_302:
	s_andn2_saveexec_b32 s1, s1
	s_cbranch_execz .LBB103_304
; %bb.303:
	v_div_scale_f64 v[213:214], null, v[209:210], v[209:210], v[211:212]
	v_div_scale_f64 v[219:220], vcc_lo, v[211:212], v[209:210], v[211:212]
	v_rcp_f64_e32 v[215:216], v[213:214]
	v_fma_f64 v[217:218], -v[213:214], v[215:216], 1.0
	v_fma_f64 v[215:216], v[215:216], v[217:218], v[215:216]
	v_fma_f64 v[217:218], -v[213:214], v[215:216], 1.0
	v_fma_f64 v[215:216], v[215:216], v[217:218], v[215:216]
	v_mul_f64 v[217:218], v[219:220], v[215:216]
	v_fma_f64 v[213:214], -v[213:214], v[217:218], v[219:220]
	v_div_fmas_f64 v[213:214], v[213:214], v[215:216], v[217:218]
	v_div_fixup_f64 v[215:216], v[213:214], v[209:210], v[211:212]
	v_fma_f64 v[209:210], v[211:212], v[215:216], v[209:210]
	v_div_scale_f64 v[211:212], null, v[209:210], v[209:210], 1.0
	v_rcp_f64_e32 v[213:214], v[211:212]
	v_fma_f64 v[217:218], -v[211:212], v[213:214], 1.0
	v_fma_f64 v[213:214], v[213:214], v[217:218], v[213:214]
	v_fma_f64 v[217:218], -v[211:212], v[213:214], 1.0
	v_fma_f64 v[213:214], v[213:214], v[217:218], v[213:214]
	v_div_scale_f64 v[217:218], vcc_lo, 1.0, v[209:210], 1.0
	v_mul_f64 v[219:220], v[217:218], v[213:214]
	v_fma_f64 v[211:212], -v[211:212], v[219:220], v[217:218]
	v_div_fmas_f64 v[211:212], v[211:212], v[213:214], v[219:220]
	v_div_fixup_f64 v[213:214], v[211:212], v[209:210], 1.0
	v_mul_f64 v[215:216], v[215:216], -v[213:214]
.LBB103_304:
	s_or_b32 exec_lo, exec_lo, s1
	ds_write2_b64 v255, v[213:214], v[215:216] offset1:1
.LBB103_305:
	s_or_b32 exec_lo, exec_lo, s2
	s_waitcnt lgkmcnt(0)
	s_barrier
	buffer_gl0_inv
	ds_read2_b64 v[205:208], v255 offset1:1
	s_mov_b32 s1, exec_lo
	s_waitcnt lgkmcnt(0)
	buffer_store_dword v205, off, s[16:19], 0 offset:912 ; 4-byte Folded Spill
	buffer_store_dword v206, off, s[16:19], 0 offset:916 ; 4-byte Folded Spill
	;; [unrolled: 1-line block ×4, first 2 shown]
	v_cmpx_lt_u32_e32 33, v0
	s_cbranch_execz .LBB103_307
; %bb.306:
	s_clause 0x3
	buffer_load_dword v205, off, s[16:19], 0 offset:912
	buffer_load_dword v206, off, s[16:19], 0 offset:916
	;; [unrolled: 1-line block ×4, first 2 shown]
	ds_read2_b64 v[211:214], v253 offset0:68 offset1:69
	s_waitcnt vmcnt(0)
	v_mul_f64 v[209:210], v[207:208], v[75:76]
	v_mul_f64 v[75:76], v[205:206], v[75:76]
	v_fma_f64 v[209:210], v[205:206], v[73:74], -v[209:210]
	v_fma_f64 v[75:76], v[207:208], v[73:74], v[75:76]
	s_waitcnt lgkmcnt(0)
	v_mul_f64 v[73:74], v[213:214], v[75:76]
	v_fma_f64 v[73:74], v[211:212], v[209:210], -v[73:74]
	v_mul_f64 v[211:212], v[211:212], v[75:76]
	v_add_f64 v[69:70], v[69:70], -v[73:74]
	v_fma_f64 v[211:212], v[213:214], v[209:210], v[211:212]
	v_add_f64 v[71:72], v[71:72], -v[211:212]
	ds_read2_b64 v[211:214], v253 offset0:70 offset1:71
	s_waitcnt lgkmcnt(0)
	v_mul_f64 v[73:74], v[213:214], v[75:76]
	v_fma_f64 v[73:74], v[211:212], v[209:210], -v[73:74]
	v_mul_f64 v[211:212], v[211:212], v[75:76]
	v_add_f64 v[65:66], v[65:66], -v[73:74]
	v_fma_f64 v[211:212], v[213:214], v[209:210], v[211:212]
	v_add_f64 v[67:68], v[67:68], -v[211:212]
	ds_read2_b64 v[211:214], v253 offset0:72 offset1:73
	;; [unrolled: 8-line block ×17, first 2 shown]
	s_waitcnt lgkmcnt(0)
	v_mul_f64 v[73:74], v[213:214], v[75:76]
	v_fma_f64 v[73:74], v[211:212], v[209:210], -v[73:74]
	v_mul_f64 v[211:212], v[211:212], v[75:76]
	v_add_f64 v[1:2], v[1:2], -v[73:74]
	v_fma_f64 v[211:212], v[213:214], v[209:210], v[211:212]
	v_mov_b32_e32 v73, v209
	v_mov_b32_e32 v74, v210
	v_add_f64 v[3:4], v[3:4], -v[211:212]
.LBB103_307:
	s_or_b32 exec_lo, exec_lo, s1
	s_mov_b32 s2, exec_lo
	s_waitcnt_vscnt null, 0x0
	s_barrier
	buffer_gl0_inv
	v_cmpx_eq_u32_e32 34, v0
	s_cbranch_execz .LBB103_314
; %bb.308:
	ds_write2_b64 v255, v[69:70], v[71:72] offset1:1
	ds_write2_b64 v253, v[65:66], v[67:68] offset0:70 offset1:71
	ds_write2_b64 v253, v[61:62], v[63:64] offset0:72 offset1:73
	;; [unrolled: 1-line block ×17, first 2 shown]
	ds_read2_b64 v[209:212], v255 offset1:1
	s_waitcnt lgkmcnt(0)
	v_cmp_neq_f64_e32 vcc_lo, 0, v[209:210]
	v_cmp_neq_f64_e64 s1, 0, v[211:212]
	s_or_b32 s1, vcc_lo, s1
	s_and_b32 exec_lo, exec_lo, s1
	s_cbranch_execz .LBB103_314
; %bb.309:
	v_cmp_ngt_f64_e64 s1, |v[209:210]|, |v[211:212]|
                                        ; implicit-def: $vgpr213_vgpr214
	s_and_saveexec_b32 s3, s1
	s_xor_b32 s1, exec_lo, s3
                                        ; implicit-def: $vgpr215_vgpr216
	s_cbranch_execz .LBB103_311
; %bb.310:
	v_div_scale_f64 v[213:214], null, v[211:212], v[211:212], v[209:210]
	v_div_scale_f64 v[219:220], vcc_lo, v[209:210], v[211:212], v[209:210]
	v_rcp_f64_e32 v[215:216], v[213:214]
	v_fma_f64 v[217:218], -v[213:214], v[215:216], 1.0
	v_fma_f64 v[215:216], v[215:216], v[217:218], v[215:216]
	v_fma_f64 v[217:218], -v[213:214], v[215:216], 1.0
	v_fma_f64 v[215:216], v[215:216], v[217:218], v[215:216]
	v_mul_f64 v[217:218], v[219:220], v[215:216]
	v_fma_f64 v[213:214], -v[213:214], v[217:218], v[219:220]
	v_div_fmas_f64 v[213:214], v[213:214], v[215:216], v[217:218]
	v_div_fixup_f64 v[213:214], v[213:214], v[211:212], v[209:210]
	v_fma_f64 v[209:210], v[209:210], v[213:214], v[211:212]
	v_div_scale_f64 v[211:212], null, v[209:210], v[209:210], 1.0
	v_rcp_f64_e32 v[215:216], v[211:212]
	v_fma_f64 v[217:218], -v[211:212], v[215:216], 1.0
	v_fma_f64 v[215:216], v[215:216], v[217:218], v[215:216]
	v_fma_f64 v[217:218], -v[211:212], v[215:216], 1.0
	v_fma_f64 v[215:216], v[215:216], v[217:218], v[215:216]
	v_div_scale_f64 v[217:218], vcc_lo, 1.0, v[209:210], 1.0
	v_mul_f64 v[219:220], v[217:218], v[215:216]
	v_fma_f64 v[211:212], -v[211:212], v[219:220], v[217:218]
	v_div_fmas_f64 v[211:212], v[211:212], v[215:216], v[219:220]
	v_div_fixup_f64 v[215:216], v[211:212], v[209:210], 1.0
                                        ; implicit-def: $vgpr209_vgpr210
	v_mul_f64 v[213:214], v[213:214], v[215:216]
	v_xor_b32_e32 v216, 0x80000000, v216
.LBB103_311:
	s_andn2_saveexec_b32 s1, s1
	s_cbranch_execz .LBB103_313
; %bb.312:
	v_div_scale_f64 v[213:214], null, v[209:210], v[209:210], v[211:212]
	v_div_scale_f64 v[219:220], vcc_lo, v[211:212], v[209:210], v[211:212]
	v_rcp_f64_e32 v[215:216], v[213:214]
	v_fma_f64 v[217:218], -v[213:214], v[215:216], 1.0
	v_fma_f64 v[215:216], v[215:216], v[217:218], v[215:216]
	v_fma_f64 v[217:218], -v[213:214], v[215:216], 1.0
	v_fma_f64 v[215:216], v[215:216], v[217:218], v[215:216]
	v_mul_f64 v[217:218], v[219:220], v[215:216]
	v_fma_f64 v[213:214], -v[213:214], v[217:218], v[219:220]
	v_div_fmas_f64 v[213:214], v[213:214], v[215:216], v[217:218]
	v_div_fixup_f64 v[215:216], v[213:214], v[209:210], v[211:212]
	v_fma_f64 v[209:210], v[211:212], v[215:216], v[209:210]
	v_div_scale_f64 v[211:212], null, v[209:210], v[209:210], 1.0
	v_rcp_f64_e32 v[213:214], v[211:212]
	v_fma_f64 v[217:218], -v[211:212], v[213:214], 1.0
	v_fma_f64 v[213:214], v[213:214], v[217:218], v[213:214]
	v_fma_f64 v[217:218], -v[211:212], v[213:214], 1.0
	v_fma_f64 v[213:214], v[213:214], v[217:218], v[213:214]
	v_div_scale_f64 v[217:218], vcc_lo, 1.0, v[209:210], 1.0
	v_mul_f64 v[219:220], v[217:218], v[213:214]
	v_fma_f64 v[211:212], -v[211:212], v[219:220], v[217:218]
	v_div_fmas_f64 v[211:212], v[211:212], v[213:214], v[219:220]
	v_div_fixup_f64 v[213:214], v[211:212], v[209:210], 1.0
	v_mul_f64 v[215:216], v[215:216], -v[213:214]
.LBB103_313:
	s_or_b32 exec_lo, exec_lo, s1
	ds_write2_b64 v255, v[213:214], v[215:216] offset1:1
.LBB103_314:
	s_or_b32 exec_lo, exec_lo, s2
	s_waitcnt lgkmcnt(0)
	s_barrier
	buffer_gl0_inv
	ds_read2_b64 v[205:208], v255 offset1:1
	s_mov_b32 s1, exec_lo
	s_waitcnt lgkmcnt(0)
	buffer_store_dword v205, off, s[16:19], 0 offset:928 ; 4-byte Folded Spill
	buffer_store_dword v206, off, s[16:19], 0 offset:932 ; 4-byte Folded Spill
	;; [unrolled: 1-line block ×4, first 2 shown]
	v_cmpx_lt_u32_e32 34, v0
	s_cbranch_execz .LBB103_316
; %bb.315:
	s_clause 0x3
	buffer_load_dword v205, off, s[16:19], 0 offset:928
	buffer_load_dword v206, off, s[16:19], 0 offset:932
	;; [unrolled: 1-line block ×4, first 2 shown]
	ds_read2_b64 v[211:214], v253 offset0:70 offset1:71
	s_waitcnt vmcnt(0)
	v_mul_f64 v[209:210], v[207:208], v[71:72]
	v_mul_f64 v[71:72], v[205:206], v[71:72]
	v_fma_f64 v[209:210], v[205:206], v[69:70], -v[209:210]
	v_fma_f64 v[71:72], v[207:208], v[69:70], v[71:72]
	s_waitcnt lgkmcnt(0)
	v_mul_f64 v[69:70], v[213:214], v[71:72]
	v_fma_f64 v[69:70], v[211:212], v[209:210], -v[69:70]
	v_mul_f64 v[211:212], v[211:212], v[71:72]
	v_add_f64 v[65:66], v[65:66], -v[69:70]
	v_fma_f64 v[211:212], v[213:214], v[209:210], v[211:212]
	v_add_f64 v[67:68], v[67:68], -v[211:212]
	ds_read2_b64 v[211:214], v253 offset0:72 offset1:73
	s_waitcnt lgkmcnt(0)
	v_mul_f64 v[69:70], v[213:214], v[71:72]
	v_fma_f64 v[69:70], v[211:212], v[209:210], -v[69:70]
	v_mul_f64 v[211:212], v[211:212], v[71:72]
	v_add_f64 v[61:62], v[61:62], -v[69:70]
	v_fma_f64 v[211:212], v[213:214], v[209:210], v[211:212]
	v_add_f64 v[63:64], v[63:64], -v[211:212]
	ds_read2_b64 v[211:214], v253 offset0:74 offset1:75
	;; [unrolled: 8-line block ×16, first 2 shown]
	s_waitcnt lgkmcnt(0)
	v_mul_f64 v[69:70], v[213:214], v[71:72]
	v_fma_f64 v[69:70], v[211:212], v[209:210], -v[69:70]
	v_mul_f64 v[211:212], v[211:212], v[71:72]
	v_add_f64 v[1:2], v[1:2], -v[69:70]
	v_fma_f64 v[211:212], v[213:214], v[209:210], v[211:212]
	v_mov_b32_e32 v69, v209
	v_mov_b32_e32 v70, v210
	v_add_f64 v[3:4], v[3:4], -v[211:212]
.LBB103_316:
	s_or_b32 exec_lo, exec_lo, s1
	s_mov_b32 s2, exec_lo
	s_waitcnt_vscnt null, 0x0
	s_barrier
	buffer_gl0_inv
	v_cmpx_eq_u32_e32 35, v0
	s_cbranch_execz .LBB103_323
; %bb.317:
	ds_write2_b64 v255, v[65:66], v[67:68] offset1:1
	ds_write2_b64 v253, v[61:62], v[63:64] offset0:72 offset1:73
	ds_write2_b64 v253, v[57:58], v[59:60] offset0:74 offset1:75
	;; [unrolled: 1-line block ×16, first 2 shown]
	ds_read2_b64 v[209:212], v255 offset1:1
	s_waitcnt lgkmcnt(0)
	v_cmp_neq_f64_e32 vcc_lo, 0, v[209:210]
	v_cmp_neq_f64_e64 s1, 0, v[211:212]
	s_or_b32 s1, vcc_lo, s1
	s_and_b32 exec_lo, exec_lo, s1
	s_cbranch_execz .LBB103_323
; %bb.318:
	v_cmp_ngt_f64_e64 s1, |v[209:210]|, |v[211:212]|
                                        ; implicit-def: $vgpr213_vgpr214
	s_and_saveexec_b32 s3, s1
	s_xor_b32 s1, exec_lo, s3
                                        ; implicit-def: $vgpr215_vgpr216
	s_cbranch_execz .LBB103_320
; %bb.319:
	v_div_scale_f64 v[213:214], null, v[211:212], v[211:212], v[209:210]
	v_div_scale_f64 v[219:220], vcc_lo, v[209:210], v[211:212], v[209:210]
	v_rcp_f64_e32 v[215:216], v[213:214]
	v_fma_f64 v[217:218], -v[213:214], v[215:216], 1.0
	v_fma_f64 v[215:216], v[215:216], v[217:218], v[215:216]
	v_fma_f64 v[217:218], -v[213:214], v[215:216], 1.0
	v_fma_f64 v[215:216], v[215:216], v[217:218], v[215:216]
	v_mul_f64 v[217:218], v[219:220], v[215:216]
	v_fma_f64 v[213:214], -v[213:214], v[217:218], v[219:220]
	v_div_fmas_f64 v[213:214], v[213:214], v[215:216], v[217:218]
	v_div_fixup_f64 v[213:214], v[213:214], v[211:212], v[209:210]
	v_fma_f64 v[209:210], v[209:210], v[213:214], v[211:212]
	v_div_scale_f64 v[211:212], null, v[209:210], v[209:210], 1.0
	v_rcp_f64_e32 v[215:216], v[211:212]
	v_fma_f64 v[217:218], -v[211:212], v[215:216], 1.0
	v_fma_f64 v[215:216], v[215:216], v[217:218], v[215:216]
	v_fma_f64 v[217:218], -v[211:212], v[215:216], 1.0
	v_fma_f64 v[215:216], v[215:216], v[217:218], v[215:216]
	v_div_scale_f64 v[217:218], vcc_lo, 1.0, v[209:210], 1.0
	v_mul_f64 v[219:220], v[217:218], v[215:216]
	v_fma_f64 v[211:212], -v[211:212], v[219:220], v[217:218]
	v_div_fmas_f64 v[211:212], v[211:212], v[215:216], v[219:220]
	v_div_fixup_f64 v[215:216], v[211:212], v[209:210], 1.0
                                        ; implicit-def: $vgpr209_vgpr210
	v_mul_f64 v[213:214], v[213:214], v[215:216]
	v_xor_b32_e32 v216, 0x80000000, v216
.LBB103_320:
	s_andn2_saveexec_b32 s1, s1
	s_cbranch_execz .LBB103_322
; %bb.321:
	v_div_scale_f64 v[213:214], null, v[209:210], v[209:210], v[211:212]
	v_div_scale_f64 v[219:220], vcc_lo, v[211:212], v[209:210], v[211:212]
	v_rcp_f64_e32 v[215:216], v[213:214]
	v_fma_f64 v[217:218], -v[213:214], v[215:216], 1.0
	v_fma_f64 v[215:216], v[215:216], v[217:218], v[215:216]
	v_fma_f64 v[217:218], -v[213:214], v[215:216], 1.0
	v_fma_f64 v[215:216], v[215:216], v[217:218], v[215:216]
	v_mul_f64 v[217:218], v[219:220], v[215:216]
	v_fma_f64 v[213:214], -v[213:214], v[217:218], v[219:220]
	v_div_fmas_f64 v[213:214], v[213:214], v[215:216], v[217:218]
	v_div_fixup_f64 v[215:216], v[213:214], v[209:210], v[211:212]
	v_fma_f64 v[209:210], v[211:212], v[215:216], v[209:210]
	v_div_scale_f64 v[211:212], null, v[209:210], v[209:210], 1.0
	v_rcp_f64_e32 v[213:214], v[211:212]
	v_fma_f64 v[217:218], -v[211:212], v[213:214], 1.0
	v_fma_f64 v[213:214], v[213:214], v[217:218], v[213:214]
	v_fma_f64 v[217:218], -v[211:212], v[213:214], 1.0
	v_fma_f64 v[213:214], v[213:214], v[217:218], v[213:214]
	v_div_scale_f64 v[217:218], vcc_lo, 1.0, v[209:210], 1.0
	v_mul_f64 v[219:220], v[217:218], v[213:214]
	v_fma_f64 v[211:212], -v[211:212], v[219:220], v[217:218]
	v_div_fmas_f64 v[211:212], v[211:212], v[213:214], v[219:220]
	v_div_fixup_f64 v[213:214], v[211:212], v[209:210], 1.0
	v_mul_f64 v[215:216], v[215:216], -v[213:214]
.LBB103_322:
	s_or_b32 exec_lo, exec_lo, s1
	ds_write2_b64 v255, v[213:214], v[215:216] offset1:1
.LBB103_323:
	s_or_b32 exec_lo, exec_lo, s2
	s_waitcnt lgkmcnt(0)
	s_barrier
	buffer_gl0_inv
	ds_read2_b64 v[205:208], v255 offset1:1
	s_mov_b32 s1, exec_lo
	s_waitcnt lgkmcnt(0)
	buffer_store_dword v205, off, s[16:19], 0 offset:944 ; 4-byte Folded Spill
	buffer_store_dword v206, off, s[16:19], 0 offset:948 ; 4-byte Folded Spill
	;; [unrolled: 1-line block ×4, first 2 shown]
	v_cmpx_lt_u32_e32 35, v0
	s_cbranch_execz .LBB103_325
; %bb.324:
	s_clause 0x3
	buffer_load_dword v205, off, s[16:19], 0 offset:944
	buffer_load_dword v206, off, s[16:19], 0 offset:948
	buffer_load_dword v207, off, s[16:19], 0 offset:952
	buffer_load_dword v208, off, s[16:19], 0 offset:956
	ds_read2_b64 v[211:214], v253 offset0:72 offset1:73
	s_waitcnt vmcnt(2)
	v_mul_f64 v[209:210], v[205:206], v[67:68]
	s_waitcnt vmcnt(0)
	v_mul_f64 v[67:68], v[207:208], v[67:68]
	v_fma_f64 v[209:210], v[207:208], v[65:66], v[209:210]
	v_fma_f64 v[65:66], v[205:206], v[65:66], -v[67:68]
	s_waitcnt lgkmcnt(0)
	v_mul_f64 v[67:68], v[213:214], v[209:210]
	v_fma_f64 v[67:68], v[211:212], v[65:66], -v[67:68]
	v_mul_f64 v[211:212], v[211:212], v[209:210]
	v_add_f64 v[61:62], v[61:62], -v[67:68]
	v_fma_f64 v[211:212], v[213:214], v[65:66], v[211:212]
	v_add_f64 v[63:64], v[63:64], -v[211:212]
	ds_read2_b64 v[211:214], v253 offset0:74 offset1:75
	s_waitcnt lgkmcnt(0)
	v_mul_f64 v[67:68], v[213:214], v[209:210]
	v_fma_f64 v[67:68], v[211:212], v[65:66], -v[67:68]
	v_mul_f64 v[211:212], v[211:212], v[209:210]
	v_add_f64 v[57:58], v[57:58], -v[67:68]
	v_fma_f64 v[211:212], v[213:214], v[65:66], v[211:212]
	v_add_f64 v[59:60], v[59:60], -v[211:212]
	ds_read2_b64 v[211:214], v253 offset0:76 offset1:77
	;; [unrolled: 8-line block ×15, first 2 shown]
	s_waitcnt lgkmcnt(0)
	v_mul_f64 v[67:68], v[213:214], v[209:210]
	v_fma_f64 v[67:68], v[211:212], v[65:66], -v[67:68]
	v_mul_f64 v[211:212], v[211:212], v[209:210]
	v_add_f64 v[1:2], v[1:2], -v[67:68]
	v_fma_f64 v[211:212], v[213:214], v[65:66], v[211:212]
	v_mov_b32_e32 v67, v209
	v_mov_b32_e32 v68, v210
	v_add_f64 v[3:4], v[3:4], -v[211:212]
.LBB103_325:
	s_or_b32 exec_lo, exec_lo, s1
	s_mov_b32 s2, exec_lo
	s_waitcnt_vscnt null, 0x0
	s_barrier
	buffer_gl0_inv
	v_cmpx_eq_u32_e32 36, v0
	s_cbranch_execz .LBB103_332
; %bb.326:
	ds_write2_b64 v255, v[61:62], v[63:64] offset1:1
	ds_write2_b64 v253, v[57:58], v[59:60] offset0:74 offset1:75
	ds_write2_b64 v253, v[53:54], v[55:56] offset0:76 offset1:77
	;; [unrolled: 1-line block ×15, first 2 shown]
	ds_read2_b64 v[209:212], v255 offset1:1
	s_waitcnt lgkmcnt(0)
	v_cmp_neq_f64_e32 vcc_lo, 0, v[209:210]
	v_cmp_neq_f64_e64 s1, 0, v[211:212]
	s_or_b32 s1, vcc_lo, s1
	s_and_b32 exec_lo, exec_lo, s1
	s_cbranch_execz .LBB103_332
; %bb.327:
	v_cmp_ngt_f64_e64 s1, |v[209:210]|, |v[211:212]|
                                        ; implicit-def: $vgpr213_vgpr214
	s_and_saveexec_b32 s3, s1
	s_xor_b32 s1, exec_lo, s3
                                        ; implicit-def: $vgpr215_vgpr216
	s_cbranch_execz .LBB103_329
; %bb.328:
	v_div_scale_f64 v[213:214], null, v[211:212], v[211:212], v[209:210]
	v_div_scale_f64 v[219:220], vcc_lo, v[209:210], v[211:212], v[209:210]
	v_rcp_f64_e32 v[215:216], v[213:214]
	v_fma_f64 v[217:218], -v[213:214], v[215:216], 1.0
	v_fma_f64 v[215:216], v[215:216], v[217:218], v[215:216]
	v_fma_f64 v[217:218], -v[213:214], v[215:216], 1.0
	v_fma_f64 v[215:216], v[215:216], v[217:218], v[215:216]
	v_mul_f64 v[217:218], v[219:220], v[215:216]
	v_fma_f64 v[213:214], -v[213:214], v[217:218], v[219:220]
	v_div_fmas_f64 v[213:214], v[213:214], v[215:216], v[217:218]
	v_div_fixup_f64 v[213:214], v[213:214], v[211:212], v[209:210]
	v_fma_f64 v[209:210], v[209:210], v[213:214], v[211:212]
	v_div_scale_f64 v[211:212], null, v[209:210], v[209:210], 1.0
	v_rcp_f64_e32 v[215:216], v[211:212]
	v_fma_f64 v[217:218], -v[211:212], v[215:216], 1.0
	v_fma_f64 v[215:216], v[215:216], v[217:218], v[215:216]
	v_fma_f64 v[217:218], -v[211:212], v[215:216], 1.0
	v_fma_f64 v[215:216], v[215:216], v[217:218], v[215:216]
	v_div_scale_f64 v[217:218], vcc_lo, 1.0, v[209:210], 1.0
	v_mul_f64 v[219:220], v[217:218], v[215:216]
	v_fma_f64 v[211:212], -v[211:212], v[219:220], v[217:218]
	v_div_fmas_f64 v[211:212], v[211:212], v[215:216], v[219:220]
	v_div_fixup_f64 v[215:216], v[211:212], v[209:210], 1.0
                                        ; implicit-def: $vgpr209_vgpr210
	v_mul_f64 v[213:214], v[213:214], v[215:216]
	v_xor_b32_e32 v216, 0x80000000, v216
.LBB103_329:
	s_andn2_saveexec_b32 s1, s1
	s_cbranch_execz .LBB103_331
; %bb.330:
	v_div_scale_f64 v[213:214], null, v[209:210], v[209:210], v[211:212]
	v_div_scale_f64 v[219:220], vcc_lo, v[211:212], v[209:210], v[211:212]
	v_rcp_f64_e32 v[215:216], v[213:214]
	v_fma_f64 v[217:218], -v[213:214], v[215:216], 1.0
	v_fma_f64 v[215:216], v[215:216], v[217:218], v[215:216]
	v_fma_f64 v[217:218], -v[213:214], v[215:216], 1.0
	v_fma_f64 v[215:216], v[215:216], v[217:218], v[215:216]
	v_mul_f64 v[217:218], v[219:220], v[215:216]
	v_fma_f64 v[213:214], -v[213:214], v[217:218], v[219:220]
	v_div_fmas_f64 v[213:214], v[213:214], v[215:216], v[217:218]
	v_div_fixup_f64 v[215:216], v[213:214], v[209:210], v[211:212]
	v_fma_f64 v[209:210], v[211:212], v[215:216], v[209:210]
	v_div_scale_f64 v[211:212], null, v[209:210], v[209:210], 1.0
	v_rcp_f64_e32 v[213:214], v[211:212]
	v_fma_f64 v[217:218], -v[211:212], v[213:214], 1.0
	v_fma_f64 v[213:214], v[213:214], v[217:218], v[213:214]
	v_fma_f64 v[217:218], -v[211:212], v[213:214], 1.0
	v_fma_f64 v[213:214], v[213:214], v[217:218], v[213:214]
	v_div_scale_f64 v[217:218], vcc_lo, 1.0, v[209:210], 1.0
	v_mul_f64 v[219:220], v[217:218], v[213:214]
	v_fma_f64 v[211:212], -v[211:212], v[219:220], v[217:218]
	v_div_fmas_f64 v[211:212], v[211:212], v[213:214], v[219:220]
	v_div_fixup_f64 v[213:214], v[211:212], v[209:210], 1.0
	v_mul_f64 v[215:216], v[215:216], -v[213:214]
.LBB103_331:
	s_or_b32 exec_lo, exec_lo, s1
	ds_write2_b64 v255, v[213:214], v[215:216] offset1:1
.LBB103_332:
	s_or_b32 exec_lo, exec_lo, s2
	s_waitcnt lgkmcnt(0)
	s_barrier
	buffer_gl0_inv
	ds_read2_b64 v[205:208], v255 offset1:1
	s_mov_b32 s1, exec_lo
	s_waitcnt lgkmcnt(0)
	buffer_store_dword v205, off, s[16:19], 0 offset:960 ; 4-byte Folded Spill
	buffer_store_dword v206, off, s[16:19], 0 offset:964 ; 4-byte Folded Spill
	;; [unrolled: 1-line block ×4, first 2 shown]
	v_cmpx_lt_u32_e32 36, v0
	s_cbranch_execz .LBB103_334
; %bb.333:
	s_clause 0x3
	buffer_load_dword v205, off, s[16:19], 0 offset:960
	buffer_load_dword v206, off, s[16:19], 0 offset:964
	;; [unrolled: 1-line block ×4, first 2 shown]
	ds_read2_b64 v[211:214], v253 offset0:74 offset1:75
	s_waitcnt vmcnt(2)
	v_mul_f64 v[209:210], v[205:206], v[63:64]
	s_waitcnt vmcnt(0)
	v_mul_f64 v[63:64], v[207:208], v[63:64]
	v_fma_f64 v[209:210], v[207:208], v[61:62], v[209:210]
	v_fma_f64 v[61:62], v[205:206], v[61:62], -v[63:64]
	s_waitcnt lgkmcnt(0)
	v_mul_f64 v[63:64], v[213:214], v[209:210]
	v_fma_f64 v[63:64], v[211:212], v[61:62], -v[63:64]
	v_mul_f64 v[211:212], v[211:212], v[209:210]
	v_add_f64 v[57:58], v[57:58], -v[63:64]
	v_fma_f64 v[211:212], v[213:214], v[61:62], v[211:212]
	v_add_f64 v[59:60], v[59:60], -v[211:212]
	ds_read2_b64 v[211:214], v253 offset0:76 offset1:77
	s_waitcnt lgkmcnt(0)
	v_mul_f64 v[63:64], v[213:214], v[209:210]
	v_fma_f64 v[63:64], v[211:212], v[61:62], -v[63:64]
	v_mul_f64 v[211:212], v[211:212], v[209:210]
	v_add_f64 v[53:54], v[53:54], -v[63:64]
	v_fma_f64 v[211:212], v[213:214], v[61:62], v[211:212]
	v_add_f64 v[55:56], v[55:56], -v[211:212]
	ds_read2_b64 v[211:214], v253 offset0:78 offset1:79
	;; [unrolled: 8-line block ×14, first 2 shown]
	s_waitcnt lgkmcnt(0)
	v_mul_f64 v[63:64], v[213:214], v[209:210]
	v_fma_f64 v[63:64], v[211:212], v[61:62], -v[63:64]
	v_mul_f64 v[211:212], v[211:212], v[209:210]
	v_add_f64 v[1:2], v[1:2], -v[63:64]
	v_fma_f64 v[211:212], v[213:214], v[61:62], v[211:212]
	v_mov_b32_e32 v63, v209
	v_mov_b32_e32 v64, v210
	v_add_f64 v[3:4], v[3:4], -v[211:212]
.LBB103_334:
	s_or_b32 exec_lo, exec_lo, s1
	s_mov_b32 s2, exec_lo
	s_waitcnt_vscnt null, 0x0
	s_barrier
	buffer_gl0_inv
	v_cmpx_eq_u32_e32 37, v0
	s_cbranch_execz .LBB103_341
; %bb.335:
	ds_write2_b64 v255, v[57:58], v[59:60] offset1:1
	ds_write2_b64 v253, v[53:54], v[55:56] offset0:76 offset1:77
	ds_write2_b64 v253, v[49:50], v[51:52] offset0:78 offset1:79
	;; [unrolled: 1-line block ×14, first 2 shown]
	ds_read2_b64 v[209:212], v255 offset1:1
	s_waitcnt lgkmcnt(0)
	v_cmp_neq_f64_e32 vcc_lo, 0, v[209:210]
	v_cmp_neq_f64_e64 s1, 0, v[211:212]
	s_or_b32 s1, vcc_lo, s1
	s_and_b32 exec_lo, exec_lo, s1
	s_cbranch_execz .LBB103_341
; %bb.336:
	v_cmp_ngt_f64_e64 s1, |v[209:210]|, |v[211:212]|
                                        ; implicit-def: $vgpr213_vgpr214
	s_and_saveexec_b32 s3, s1
	s_xor_b32 s1, exec_lo, s3
                                        ; implicit-def: $vgpr215_vgpr216
	s_cbranch_execz .LBB103_338
; %bb.337:
	v_div_scale_f64 v[213:214], null, v[211:212], v[211:212], v[209:210]
	v_div_scale_f64 v[219:220], vcc_lo, v[209:210], v[211:212], v[209:210]
	v_rcp_f64_e32 v[215:216], v[213:214]
	v_fma_f64 v[217:218], -v[213:214], v[215:216], 1.0
	v_fma_f64 v[215:216], v[215:216], v[217:218], v[215:216]
	v_fma_f64 v[217:218], -v[213:214], v[215:216], 1.0
	v_fma_f64 v[215:216], v[215:216], v[217:218], v[215:216]
	v_mul_f64 v[217:218], v[219:220], v[215:216]
	v_fma_f64 v[213:214], -v[213:214], v[217:218], v[219:220]
	v_div_fmas_f64 v[213:214], v[213:214], v[215:216], v[217:218]
	v_div_fixup_f64 v[213:214], v[213:214], v[211:212], v[209:210]
	v_fma_f64 v[209:210], v[209:210], v[213:214], v[211:212]
	v_div_scale_f64 v[211:212], null, v[209:210], v[209:210], 1.0
	v_rcp_f64_e32 v[215:216], v[211:212]
	v_fma_f64 v[217:218], -v[211:212], v[215:216], 1.0
	v_fma_f64 v[215:216], v[215:216], v[217:218], v[215:216]
	v_fma_f64 v[217:218], -v[211:212], v[215:216], 1.0
	v_fma_f64 v[215:216], v[215:216], v[217:218], v[215:216]
	v_div_scale_f64 v[217:218], vcc_lo, 1.0, v[209:210], 1.0
	v_mul_f64 v[219:220], v[217:218], v[215:216]
	v_fma_f64 v[211:212], -v[211:212], v[219:220], v[217:218]
	v_div_fmas_f64 v[211:212], v[211:212], v[215:216], v[219:220]
	v_div_fixup_f64 v[215:216], v[211:212], v[209:210], 1.0
                                        ; implicit-def: $vgpr209_vgpr210
	v_mul_f64 v[213:214], v[213:214], v[215:216]
	v_xor_b32_e32 v216, 0x80000000, v216
.LBB103_338:
	s_andn2_saveexec_b32 s1, s1
	s_cbranch_execz .LBB103_340
; %bb.339:
	v_div_scale_f64 v[213:214], null, v[209:210], v[209:210], v[211:212]
	v_div_scale_f64 v[219:220], vcc_lo, v[211:212], v[209:210], v[211:212]
	v_rcp_f64_e32 v[215:216], v[213:214]
	v_fma_f64 v[217:218], -v[213:214], v[215:216], 1.0
	v_fma_f64 v[215:216], v[215:216], v[217:218], v[215:216]
	v_fma_f64 v[217:218], -v[213:214], v[215:216], 1.0
	v_fma_f64 v[215:216], v[215:216], v[217:218], v[215:216]
	v_mul_f64 v[217:218], v[219:220], v[215:216]
	v_fma_f64 v[213:214], -v[213:214], v[217:218], v[219:220]
	v_div_fmas_f64 v[213:214], v[213:214], v[215:216], v[217:218]
	v_div_fixup_f64 v[215:216], v[213:214], v[209:210], v[211:212]
	v_fma_f64 v[209:210], v[211:212], v[215:216], v[209:210]
	v_div_scale_f64 v[211:212], null, v[209:210], v[209:210], 1.0
	v_rcp_f64_e32 v[213:214], v[211:212]
	v_fma_f64 v[217:218], -v[211:212], v[213:214], 1.0
	v_fma_f64 v[213:214], v[213:214], v[217:218], v[213:214]
	v_fma_f64 v[217:218], -v[211:212], v[213:214], 1.0
	v_fma_f64 v[213:214], v[213:214], v[217:218], v[213:214]
	v_div_scale_f64 v[217:218], vcc_lo, 1.0, v[209:210], 1.0
	v_mul_f64 v[219:220], v[217:218], v[213:214]
	v_fma_f64 v[211:212], -v[211:212], v[219:220], v[217:218]
	v_div_fmas_f64 v[211:212], v[211:212], v[213:214], v[219:220]
	v_div_fixup_f64 v[213:214], v[211:212], v[209:210], 1.0
	v_mul_f64 v[215:216], v[215:216], -v[213:214]
.LBB103_340:
	s_or_b32 exec_lo, exec_lo, s1
	ds_write2_b64 v255, v[213:214], v[215:216] offset1:1
.LBB103_341:
	s_or_b32 exec_lo, exec_lo, s2
	s_waitcnt lgkmcnt(0)
	s_barrier
	buffer_gl0_inv
	ds_read2_b64 v[205:208], v255 offset1:1
	s_mov_b32 s1, exec_lo
	s_waitcnt lgkmcnt(0)
	buffer_store_dword v205, off, s[16:19], 0 offset:976 ; 4-byte Folded Spill
	buffer_store_dword v206, off, s[16:19], 0 offset:980 ; 4-byte Folded Spill
	;; [unrolled: 1-line block ×4, first 2 shown]
	v_cmpx_lt_u32_e32 37, v0
	s_cbranch_execz .LBB103_343
; %bb.342:
	s_clause 0x3
	buffer_load_dword v205, off, s[16:19], 0 offset:976
	buffer_load_dword v206, off, s[16:19], 0 offset:980
	;; [unrolled: 1-line block ×4, first 2 shown]
	ds_read2_b64 v[211:214], v253 offset0:76 offset1:77
	s_waitcnt vmcnt(2)
	v_mul_f64 v[209:210], v[205:206], v[59:60]
	s_waitcnt vmcnt(0)
	v_mul_f64 v[59:60], v[207:208], v[59:60]
	v_fma_f64 v[209:210], v[207:208], v[57:58], v[209:210]
	v_fma_f64 v[57:58], v[205:206], v[57:58], -v[59:60]
	s_waitcnt lgkmcnt(0)
	v_mul_f64 v[59:60], v[213:214], v[209:210]
	v_fma_f64 v[59:60], v[211:212], v[57:58], -v[59:60]
	v_mul_f64 v[211:212], v[211:212], v[209:210]
	v_add_f64 v[53:54], v[53:54], -v[59:60]
	v_fma_f64 v[211:212], v[213:214], v[57:58], v[211:212]
	v_add_f64 v[55:56], v[55:56], -v[211:212]
	ds_read2_b64 v[211:214], v253 offset0:78 offset1:79
	s_waitcnt lgkmcnt(0)
	v_mul_f64 v[59:60], v[213:214], v[209:210]
	v_fma_f64 v[59:60], v[211:212], v[57:58], -v[59:60]
	v_mul_f64 v[211:212], v[211:212], v[209:210]
	v_add_f64 v[49:50], v[49:50], -v[59:60]
	v_fma_f64 v[211:212], v[213:214], v[57:58], v[211:212]
	v_add_f64 v[51:52], v[51:52], -v[211:212]
	ds_read2_b64 v[211:214], v253 offset0:80 offset1:81
	;; [unrolled: 8-line block ×13, first 2 shown]
	s_waitcnt lgkmcnt(0)
	v_mul_f64 v[59:60], v[213:214], v[209:210]
	v_fma_f64 v[59:60], v[211:212], v[57:58], -v[59:60]
	v_mul_f64 v[211:212], v[211:212], v[209:210]
	v_add_f64 v[1:2], v[1:2], -v[59:60]
	v_fma_f64 v[211:212], v[213:214], v[57:58], v[211:212]
	v_mov_b32_e32 v59, v209
	v_mov_b32_e32 v60, v210
	v_add_f64 v[3:4], v[3:4], -v[211:212]
.LBB103_343:
	s_or_b32 exec_lo, exec_lo, s1
	s_mov_b32 s2, exec_lo
	s_waitcnt_vscnt null, 0x0
	s_barrier
	buffer_gl0_inv
	v_cmpx_eq_u32_e32 38, v0
	s_cbranch_execz .LBB103_350
; %bb.344:
	ds_write2_b64 v255, v[53:54], v[55:56] offset1:1
	ds_write2_b64 v253, v[49:50], v[51:52] offset0:78 offset1:79
	ds_write2_b64 v253, v[45:46], v[47:48] offset0:80 offset1:81
	ds_write2_b64 v253, v[41:42], v[43:44] offset0:82 offset1:83
	ds_write2_b64 v253, v[37:38], v[39:40] offset0:84 offset1:85
	ds_write2_b64 v253, v[33:34], v[35:36] offset0:86 offset1:87
	ds_write2_b64 v253, v[29:30], v[31:32] offset0:88 offset1:89
	ds_write2_b64 v253, v[25:26], v[27:28] offset0:90 offset1:91
	ds_write2_b64 v253, v[21:22], v[23:24] offset0:92 offset1:93
	ds_write2_b64 v253, v[17:18], v[19:20] offset0:94 offset1:95
	ds_write2_b64 v253, v[13:14], v[15:16] offset0:96 offset1:97
	ds_write2_b64 v253, v[9:10], v[11:12] offset0:98 offset1:99
	ds_write2_b64 v253, v[5:6], v[7:8] offset0:100 offset1:101
	ds_write2_b64 v253, v[1:2], v[3:4] offset0:102 offset1:103
	ds_read2_b64 v[209:212], v255 offset1:1
	s_waitcnt lgkmcnt(0)
	v_cmp_neq_f64_e32 vcc_lo, 0, v[209:210]
	v_cmp_neq_f64_e64 s1, 0, v[211:212]
	s_or_b32 s1, vcc_lo, s1
	s_and_b32 exec_lo, exec_lo, s1
	s_cbranch_execz .LBB103_350
; %bb.345:
	v_cmp_ngt_f64_e64 s1, |v[209:210]|, |v[211:212]|
                                        ; implicit-def: $vgpr213_vgpr214
	s_and_saveexec_b32 s3, s1
	s_xor_b32 s1, exec_lo, s3
                                        ; implicit-def: $vgpr215_vgpr216
	s_cbranch_execz .LBB103_347
; %bb.346:
	v_div_scale_f64 v[213:214], null, v[211:212], v[211:212], v[209:210]
	v_div_scale_f64 v[219:220], vcc_lo, v[209:210], v[211:212], v[209:210]
	v_rcp_f64_e32 v[215:216], v[213:214]
	v_fma_f64 v[217:218], -v[213:214], v[215:216], 1.0
	v_fma_f64 v[215:216], v[215:216], v[217:218], v[215:216]
	v_fma_f64 v[217:218], -v[213:214], v[215:216], 1.0
	v_fma_f64 v[215:216], v[215:216], v[217:218], v[215:216]
	v_mul_f64 v[217:218], v[219:220], v[215:216]
	v_fma_f64 v[213:214], -v[213:214], v[217:218], v[219:220]
	v_div_fmas_f64 v[213:214], v[213:214], v[215:216], v[217:218]
	v_div_fixup_f64 v[213:214], v[213:214], v[211:212], v[209:210]
	v_fma_f64 v[209:210], v[209:210], v[213:214], v[211:212]
	v_div_scale_f64 v[211:212], null, v[209:210], v[209:210], 1.0
	v_rcp_f64_e32 v[215:216], v[211:212]
	v_fma_f64 v[217:218], -v[211:212], v[215:216], 1.0
	v_fma_f64 v[215:216], v[215:216], v[217:218], v[215:216]
	v_fma_f64 v[217:218], -v[211:212], v[215:216], 1.0
	v_fma_f64 v[215:216], v[215:216], v[217:218], v[215:216]
	v_div_scale_f64 v[217:218], vcc_lo, 1.0, v[209:210], 1.0
	v_mul_f64 v[219:220], v[217:218], v[215:216]
	v_fma_f64 v[211:212], -v[211:212], v[219:220], v[217:218]
	v_div_fmas_f64 v[211:212], v[211:212], v[215:216], v[219:220]
	v_div_fixup_f64 v[215:216], v[211:212], v[209:210], 1.0
                                        ; implicit-def: $vgpr209_vgpr210
	v_mul_f64 v[213:214], v[213:214], v[215:216]
	v_xor_b32_e32 v216, 0x80000000, v216
.LBB103_347:
	s_andn2_saveexec_b32 s1, s1
	s_cbranch_execz .LBB103_349
; %bb.348:
	v_div_scale_f64 v[213:214], null, v[209:210], v[209:210], v[211:212]
	v_div_scale_f64 v[219:220], vcc_lo, v[211:212], v[209:210], v[211:212]
	v_rcp_f64_e32 v[215:216], v[213:214]
	v_fma_f64 v[217:218], -v[213:214], v[215:216], 1.0
	v_fma_f64 v[215:216], v[215:216], v[217:218], v[215:216]
	v_fma_f64 v[217:218], -v[213:214], v[215:216], 1.0
	v_fma_f64 v[215:216], v[215:216], v[217:218], v[215:216]
	v_mul_f64 v[217:218], v[219:220], v[215:216]
	v_fma_f64 v[213:214], -v[213:214], v[217:218], v[219:220]
	v_div_fmas_f64 v[213:214], v[213:214], v[215:216], v[217:218]
	v_div_fixup_f64 v[215:216], v[213:214], v[209:210], v[211:212]
	v_fma_f64 v[209:210], v[211:212], v[215:216], v[209:210]
	v_div_scale_f64 v[211:212], null, v[209:210], v[209:210], 1.0
	v_rcp_f64_e32 v[213:214], v[211:212]
	v_fma_f64 v[217:218], -v[211:212], v[213:214], 1.0
	v_fma_f64 v[213:214], v[213:214], v[217:218], v[213:214]
	v_fma_f64 v[217:218], -v[211:212], v[213:214], 1.0
	v_fma_f64 v[213:214], v[213:214], v[217:218], v[213:214]
	v_div_scale_f64 v[217:218], vcc_lo, 1.0, v[209:210], 1.0
	v_mul_f64 v[219:220], v[217:218], v[213:214]
	v_fma_f64 v[211:212], -v[211:212], v[219:220], v[217:218]
	v_div_fmas_f64 v[211:212], v[211:212], v[213:214], v[219:220]
	v_div_fixup_f64 v[213:214], v[211:212], v[209:210], 1.0
	v_mul_f64 v[215:216], v[215:216], -v[213:214]
.LBB103_349:
	s_or_b32 exec_lo, exec_lo, s1
	ds_write2_b64 v255, v[213:214], v[215:216] offset1:1
.LBB103_350:
	s_or_b32 exec_lo, exec_lo, s2
	s_waitcnt lgkmcnt(0)
	s_barrier
	buffer_gl0_inv
	ds_read2_b64 v[205:208], v255 offset1:1
	s_mov_b32 s1, exec_lo
	s_waitcnt lgkmcnt(0)
	buffer_store_dword v205, off, s[16:19], 0 offset:992 ; 4-byte Folded Spill
	buffer_store_dword v206, off, s[16:19], 0 offset:996 ; 4-byte Folded Spill
	;; [unrolled: 1-line block ×4, first 2 shown]
	v_cmpx_lt_u32_e32 38, v0
	s_cbranch_execz .LBB103_352
; %bb.351:
	s_clause 0x3
	buffer_load_dword v205, off, s[16:19], 0 offset:992
	buffer_load_dword v206, off, s[16:19], 0 offset:996
	;; [unrolled: 1-line block ×4, first 2 shown]
	ds_read2_b64 v[211:214], v253 offset0:78 offset1:79
	s_waitcnt vmcnt(2)
	v_mul_f64 v[209:210], v[205:206], v[55:56]
	s_waitcnt vmcnt(0)
	v_mul_f64 v[55:56], v[207:208], v[55:56]
	v_fma_f64 v[209:210], v[207:208], v[53:54], v[209:210]
	v_fma_f64 v[53:54], v[205:206], v[53:54], -v[55:56]
	s_waitcnt lgkmcnt(0)
	v_mul_f64 v[55:56], v[213:214], v[209:210]
	v_fma_f64 v[55:56], v[211:212], v[53:54], -v[55:56]
	v_mul_f64 v[211:212], v[211:212], v[209:210]
	v_add_f64 v[49:50], v[49:50], -v[55:56]
	v_fma_f64 v[211:212], v[213:214], v[53:54], v[211:212]
	v_add_f64 v[51:52], v[51:52], -v[211:212]
	ds_read2_b64 v[211:214], v253 offset0:80 offset1:81
	s_waitcnt lgkmcnt(0)
	v_mul_f64 v[55:56], v[213:214], v[209:210]
	v_fma_f64 v[55:56], v[211:212], v[53:54], -v[55:56]
	v_mul_f64 v[211:212], v[211:212], v[209:210]
	v_add_f64 v[45:46], v[45:46], -v[55:56]
	v_fma_f64 v[211:212], v[213:214], v[53:54], v[211:212]
	v_add_f64 v[47:48], v[47:48], -v[211:212]
	ds_read2_b64 v[211:214], v253 offset0:82 offset1:83
	;; [unrolled: 8-line block ×12, first 2 shown]
	s_waitcnt lgkmcnt(0)
	v_mul_f64 v[55:56], v[213:214], v[209:210]
	v_fma_f64 v[55:56], v[211:212], v[53:54], -v[55:56]
	v_mul_f64 v[211:212], v[211:212], v[209:210]
	v_add_f64 v[1:2], v[1:2], -v[55:56]
	v_fma_f64 v[211:212], v[213:214], v[53:54], v[211:212]
	v_mov_b32_e32 v55, v209
	v_mov_b32_e32 v56, v210
	v_add_f64 v[3:4], v[3:4], -v[211:212]
.LBB103_352:
	s_or_b32 exec_lo, exec_lo, s1
	s_mov_b32 s2, exec_lo
	s_waitcnt_vscnt null, 0x0
	s_barrier
	buffer_gl0_inv
	v_cmpx_eq_u32_e32 39, v0
	s_cbranch_execz .LBB103_359
; %bb.353:
	ds_write2_b64 v255, v[49:50], v[51:52] offset1:1
	ds_write2_b64 v253, v[45:46], v[47:48] offset0:80 offset1:81
	ds_write2_b64 v253, v[41:42], v[43:44] offset0:82 offset1:83
	;; [unrolled: 1-line block ×12, first 2 shown]
	ds_read2_b64 v[209:212], v255 offset1:1
	s_waitcnt lgkmcnt(0)
	v_cmp_neq_f64_e32 vcc_lo, 0, v[209:210]
	v_cmp_neq_f64_e64 s1, 0, v[211:212]
	s_or_b32 s1, vcc_lo, s1
	s_and_b32 exec_lo, exec_lo, s1
	s_cbranch_execz .LBB103_359
; %bb.354:
	v_cmp_ngt_f64_e64 s1, |v[209:210]|, |v[211:212]|
                                        ; implicit-def: $vgpr213_vgpr214
	s_and_saveexec_b32 s3, s1
	s_xor_b32 s1, exec_lo, s3
                                        ; implicit-def: $vgpr215_vgpr216
	s_cbranch_execz .LBB103_356
; %bb.355:
	v_div_scale_f64 v[213:214], null, v[211:212], v[211:212], v[209:210]
	v_div_scale_f64 v[219:220], vcc_lo, v[209:210], v[211:212], v[209:210]
	v_rcp_f64_e32 v[215:216], v[213:214]
	v_fma_f64 v[217:218], -v[213:214], v[215:216], 1.0
	v_fma_f64 v[215:216], v[215:216], v[217:218], v[215:216]
	v_fma_f64 v[217:218], -v[213:214], v[215:216], 1.0
	v_fma_f64 v[215:216], v[215:216], v[217:218], v[215:216]
	v_mul_f64 v[217:218], v[219:220], v[215:216]
	v_fma_f64 v[213:214], -v[213:214], v[217:218], v[219:220]
	v_div_fmas_f64 v[213:214], v[213:214], v[215:216], v[217:218]
	v_div_fixup_f64 v[213:214], v[213:214], v[211:212], v[209:210]
	v_fma_f64 v[209:210], v[209:210], v[213:214], v[211:212]
	v_div_scale_f64 v[211:212], null, v[209:210], v[209:210], 1.0
	v_rcp_f64_e32 v[215:216], v[211:212]
	v_fma_f64 v[217:218], -v[211:212], v[215:216], 1.0
	v_fma_f64 v[215:216], v[215:216], v[217:218], v[215:216]
	v_fma_f64 v[217:218], -v[211:212], v[215:216], 1.0
	v_fma_f64 v[215:216], v[215:216], v[217:218], v[215:216]
	v_div_scale_f64 v[217:218], vcc_lo, 1.0, v[209:210], 1.0
	v_mul_f64 v[219:220], v[217:218], v[215:216]
	v_fma_f64 v[211:212], -v[211:212], v[219:220], v[217:218]
	v_div_fmas_f64 v[211:212], v[211:212], v[215:216], v[219:220]
	v_div_fixup_f64 v[215:216], v[211:212], v[209:210], 1.0
                                        ; implicit-def: $vgpr209_vgpr210
	v_mul_f64 v[213:214], v[213:214], v[215:216]
	v_xor_b32_e32 v216, 0x80000000, v216
.LBB103_356:
	s_andn2_saveexec_b32 s1, s1
	s_cbranch_execz .LBB103_358
; %bb.357:
	v_div_scale_f64 v[213:214], null, v[209:210], v[209:210], v[211:212]
	v_div_scale_f64 v[219:220], vcc_lo, v[211:212], v[209:210], v[211:212]
	v_rcp_f64_e32 v[215:216], v[213:214]
	v_fma_f64 v[217:218], -v[213:214], v[215:216], 1.0
	v_fma_f64 v[215:216], v[215:216], v[217:218], v[215:216]
	v_fma_f64 v[217:218], -v[213:214], v[215:216], 1.0
	v_fma_f64 v[215:216], v[215:216], v[217:218], v[215:216]
	v_mul_f64 v[217:218], v[219:220], v[215:216]
	v_fma_f64 v[213:214], -v[213:214], v[217:218], v[219:220]
	v_div_fmas_f64 v[213:214], v[213:214], v[215:216], v[217:218]
	v_div_fixup_f64 v[215:216], v[213:214], v[209:210], v[211:212]
	v_fma_f64 v[209:210], v[211:212], v[215:216], v[209:210]
	v_div_scale_f64 v[211:212], null, v[209:210], v[209:210], 1.0
	v_rcp_f64_e32 v[213:214], v[211:212]
	v_fma_f64 v[217:218], -v[211:212], v[213:214], 1.0
	v_fma_f64 v[213:214], v[213:214], v[217:218], v[213:214]
	v_fma_f64 v[217:218], -v[211:212], v[213:214], 1.0
	v_fma_f64 v[213:214], v[213:214], v[217:218], v[213:214]
	v_div_scale_f64 v[217:218], vcc_lo, 1.0, v[209:210], 1.0
	v_mul_f64 v[219:220], v[217:218], v[213:214]
	v_fma_f64 v[211:212], -v[211:212], v[219:220], v[217:218]
	v_div_fmas_f64 v[211:212], v[211:212], v[213:214], v[219:220]
	v_div_fixup_f64 v[213:214], v[211:212], v[209:210], 1.0
	v_mul_f64 v[215:216], v[215:216], -v[213:214]
.LBB103_358:
	s_or_b32 exec_lo, exec_lo, s1
	ds_write2_b64 v255, v[213:214], v[215:216] offset1:1
.LBB103_359:
	s_or_b32 exec_lo, exec_lo, s2
	s_waitcnt lgkmcnt(0)
	s_barrier
	buffer_gl0_inv
	ds_read2_b64 v[205:208], v255 offset1:1
	s_mov_b32 s1, exec_lo
	s_waitcnt lgkmcnt(0)
	buffer_store_dword v205, off, s[16:19], 0 offset:1008 ; 4-byte Folded Spill
	buffer_store_dword v206, off, s[16:19], 0 offset:1012 ; 4-byte Folded Spill
	;; [unrolled: 1-line block ×4, first 2 shown]
	v_cmpx_lt_u32_e32 39, v0
	s_cbranch_execz .LBB103_361
; %bb.360:
	s_clause 0x3
	buffer_load_dword v205, off, s[16:19], 0 offset:1008
	buffer_load_dword v206, off, s[16:19], 0 offset:1012
	;; [unrolled: 1-line block ×4, first 2 shown]
	ds_read2_b64 v[211:214], v253 offset0:80 offset1:81
	s_waitcnt vmcnt(2)
	v_mul_f64 v[209:210], v[205:206], v[51:52]
	s_waitcnt vmcnt(0)
	v_mul_f64 v[51:52], v[207:208], v[51:52]
	v_fma_f64 v[209:210], v[207:208], v[49:50], v[209:210]
	v_fma_f64 v[49:50], v[205:206], v[49:50], -v[51:52]
	s_waitcnt lgkmcnt(0)
	v_mul_f64 v[51:52], v[213:214], v[209:210]
	v_fma_f64 v[51:52], v[211:212], v[49:50], -v[51:52]
	v_mul_f64 v[211:212], v[211:212], v[209:210]
	v_add_f64 v[45:46], v[45:46], -v[51:52]
	v_fma_f64 v[211:212], v[213:214], v[49:50], v[211:212]
	v_add_f64 v[47:48], v[47:48], -v[211:212]
	ds_read2_b64 v[211:214], v253 offset0:82 offset1:83
	s_waitcnt lgkmcnt(0)
	v_mul_f64 v[51:52], v[213:214], v[209:210]
	v_fma_f64 v[51:52], v[211:212], v[49:50], -v[51:52]
	v_mul_f64 v[211:212], v[211:212], v[209:210]
	v_add_f64 v[41:42], v[41:42], -v[51:52]
	v_fma_f64 v[211:212], v[213:214], v[49:50], v[211:212]
	v_add_f64 v[43:44], v[43:44], -v[211:212]
	ds_read2_b64 v[211:214], v253 offset0:84 offset1:85
	;; [unrolled: 8-line block ×11, first 2 shown]
	s_waitcnt lgkmcnt(0)
	v_mul_f64 v[51:52], v[213:214], v[209:210]
	v_fma_f64 v[51:52], v[211:212], v[49:50], -v[51:52]
	v_mul_f64 v[211:212], v[211:212], v[209:210]
	v_add_f64 v[1:2], v[1:2], -v[51:52]
	v_fma_f64 v[211:212], v[213:214], v[49:50], v[211:212]
	v_mov_b32_e32 v51, v209
	v_mov_b32_e32 v52, v210
	v_add_f64 v[3:4], v[3:4], -v[211:212]
.LBB103_361:
	s_or_b32 exec_lo, exec_lo, s1
	s_mov_b32 s2, exec_lo
	s_waitcnt_vscnt null, 0x0
	s_barrier
	buffer_gl0_inv
	v_cmpx_eq_u32_e32 40, v0
	s_cbranch_execz .LBB103_368
; %bb.362:
	ds_write2_b64 v255, v[45:46], v[47:48] offset1:1
	ds_write2_b64 v253, v[41:42], v[43:44] offset0:82 offset1:83
	ds_write2_b64 v253, v[37:38], v[39:40] offset0:84 offset1:85
	;; [unrolled: 1-line block ×11, first 2 shown]
	ds_read2_b64 v[209:212], v255 offset1:1
	s_waitcnt lgkmcnt(0)
	v_cmp_neq_f64_e32 vcc_lo, 0, v[209:210]
	v_cmp_neq_f64_e64 s1, 0, v[211:212]
	s_or_b32 s1, vcc_lo, s1
	s_and_b32 exec_lo, exec_lo, s1
	s_cbranch_execz .LBB103_368
; %bb.363:
	v_cmp_ngt_f64_e64 s1, |v[209:210]|, |v[211:212]|
                                        ; implicit-def: $vgpr213_vgpr214
	s_and_saveexec_b32 s3, s1
	s_xor_b32 s1, exec_lo, s3
                                        ; implicit-def: $vgpr215_vgpr216
	s_cbranch_execz .LBB103_365
; %bb.364:
	v_div_scale_f64 v[213:214], null, v[211:212], v[211:212], v[209:210]
	v_div_scale_f64 v[219:220], vcc_lo, v[209:210], v[211:212], v[209:210]
	v_rcp_f64_e32 v[215:216], v[213:214]
	v_fma_f64 v[217:218], -v[213:214], v[215:216], 1.0
	v_fma_f64 v[215:216], v[215:216], v[217:218], v[215:216]
	v_fma_f64 v[217:218], -v[213:214], v[215:216], 1.0
	v_fma_f64 v[215:216], v[215:216], v[217:218], v[215:216]
	v_mul_f64 v[217:218], v[219:220], v[215:216]
	v_fma_f64 v[213:214], -v[213:214], v[217:218], v[219:220]
	v_div_fmas_f64 v[213:214], v[213:214], v[215:216], v[217:218]
	v_div_fixup_f64 v[213:214], v[213:214], v[211:212], v[209:210]
	v_fma_f64 v[209:210], v[209:210], v[213:214], v[211:212]
	v_div_scale_f64 v[211:212], null, v[209:210], v[209:210], 1.0
	v_rcp_f64_e32 v[215:216], v[211:212]
	v_fma_f64 v[217:218], -v[211:212], v[215:216], 1.0
	v_fma_f64 v[215:216], v[215:216], v[217:218], v[215:216]
	v_fma_f64 v[217:218], -v[211:212], v[215:216], 1.0
	v_fma_f64 v[215:216], v[215:216], v[217:218], v[215:216]
	v_div_scale_f64 v[217:218], vcc_lo, 1.0, v[209:210], 1.0
	v_mul_f64 v[219:220], v[217:218], v[215:216]
	v_fma_f64 v[211:212], -v[211:212], v[219:220], v[217:218]
	v_div_fmas_f64 v[211:212], v[211:212], v[215:216], v[219:220]
	v_div_fixup_f64 v[215:216], v[211:212], v[209:210], 1.0
                                        ; implicit-def: $vgpr209_vgpr210
	v_mul_f64 v[213:214], v[213:214], v[215:216]
	v_xor_b32_e32 v216, 0x80000000, v216
.LBB103_365:
	s_andn2_saveexec_b32 s1, s1
	s_cbranch_execz .LBB103_367
; %bb.366:
	v_div_scale_f64 v[213:214], null, v[209:210], v[209:210], v[211:212]
	v_div_scale_f64 v[219:220], vcc_lo, v[211:212], v[209:210], v[211:212]
	v_rcp_f64_e32 v[215:216], v[213:214]
	v_fma_f64 v[217:218], -v[213:214], v[215:216], 1.0
	v_fma_f64 v[215:216], v[215:216], v[217:218], v[215:216]
	v_fma_f64 v[217:218], -v[213:214], v[215:216], 1.0
	v_fma_f64 v[215:216], v[215:216], v[217:218], v[215:216]
	v_mul_f64 v[217:218], v[219:220], v[215:216]
	v_fma_f64 v[213:214], -v[213:214], v[217:218], v[219:220]
	v_div_fmas_f64 v[213:214], v[213:214], v[215:216], v[217:218]
	v_div_fixup_f64 v[215:216], v[213:214], v[209:210], v[211:212]
	v_fma_f64 v[209:210], v[211:212], v[215:216], v[209:210]
	v_div_scale_f64 v[211:212], null, v[209:210], v[209:210], 1.0
	v_rcp_f64_e32 v[213:214], v[211:212]
	v_fma_f64 v[217:218], -v[211:212], v[213:214], 1.0
	v_fma_f64 v[213:214], v[213:214], v[217:218], v[213:214]
	v_fma_f64 v[217:218], -v[211:212], v[213:214], 1.0
	v_fma_f64 v[213:214], v[213:214], v[217:218], v[213:214]
	v_div_scale_f64 v[217:218], vcc_lo, 1.0, v[209:210], 1.0
	v_mul_f64 v[219:220], v[217:218], v[213:214]
	v_fma_f64 v[211:212], -v[211:212], v[219:220], v[217:218]
	v_div_fmas_f64 v[211:212], v[211:212], v[213:214], v[219:220]
	v_div_fixup_f64 v[213:214], v[211:212], v[209:210], 1.0
	v_mul_f64 v[215:216], v[215:216], -v[213:214]
.LBB103_367:
	s_or_b32 exec_lo, exec_lo, s1
	ds_write2_b64 v255, v[213:214], v[215:216] offset1:1
.LBB103_368:
	s_or_b32 exec_lo, exec_lo, s2
	s_waitcnt lgkmcnt(0)
	s_barrier
	buffer_gl0_inv
	ds_read2_b64 v[205:208], v255 offset1:1
	s_mov_b32 s1, exec_lo
	s_waitcnt lgkmcnt(0)
	buffer_store_dword v205, off, s[16:19], 0 offset:1024 ; 4-byte Folded Spill
	buffer_store_dword v206, off, s[16:19], 0 offset:1028 ; 4-byte Folded Spill
	;; [unrolled: 1-line block ×4, first 2 shown]
	v_cmpx_lt_u32_e32 40, v0
	s_cbranch_execz .LBB103_370
; %bb.369:
	s_clause 0x3
	buffer_load_dword v205, off, s[16:19], 0 offset:1024
	buffer_load_dword v206, off, s[16:19], 0 offset:1028
	;; [unrolled: 1-line block ×4, first 2 shown]
	ds_read2_b64 v[211:214], v253 offset0:82 offset1:83
	s_waitcnt vmcnt(2)
	v_mul_f64 v[209:210], v[205:206], v[47:48]
	s_waitcnt vmcnt(0)
	v_mul_f64 v[47:48], v[207:208], v[47:48]
	v_fma_f64 v[209:210], v[207:208], v[45:46], v[209:210]
	v_fma_f64 v[45:46], v[205:206], v[45:46], -v[47:48]
	s_waitcnt lgkmcnt(0)
	v_mul_f64 v[47:48], v[213:214], v[209:210]
	v_fma_f64 v[47:48], v[211:212], v[45:46], -v[47:48]
	v_mul_f64 v[211:212], v[211:212], v[209:210]
	v_add_f64 v[41:42], v[41:42], -v[47:48]
	v_fma_f64 v[211:212], v[213:214], v[45:46], v[211:212]
	v_add_f64 v[43:44], v[43:44], -v[211:212]
	ds_read2_b64 v[211:214], v253 offset0:84 offset1:85
	s_waitcnt lgkmcnt(0)
	v_mul_f64 v[47:48], v[213:214], v[209:210]
	v_fma_f64 v[47:48], v[211:212], v[45:46], -v[47:48]
	v_mul_f64 v[211:212], v[211:212], v[209:210]
	v_add_f64 v[37:38], v[37:38], -v[47:48]
	v_fma_f64 v[211:212], v[213:214], v[45:46], v[211:212]
	v_add_f64 v[39:40], v[39:40], -v[211:212]
	ds_read2_b64 v[211:214], v253 offset0:86 offset1:87
	;; [unrolled: 8-line block ×10, first 2 shown]
	s_waitcnt lgkmcnt(0)
	v_mul_f64 v[47:48], v[213:214], v[209:210]
	v_fma_f64 v[47:48], v[211:212], v[45:46], -v[47:48]
	v_mul_f64 v[211:212], v[211:212], v[209:210]
	v_add_f64 v[1:2], v[1:2], -v[47:48]
	v_fma_f64 v[211:212], v[213:214], v[45:46], v[211:212]
	v_mov_b32_e32 v47, v209
	v_mov_b32_e32 v48, v210
	v_add_f64 v[3:4], v[3:4], -v[211:212]
.LBB103_370:
	s_or_b32 exec_lo, exec_lo, s1
	s_mov_b32 s2, exec_lo
	s_waitcnt_vscnt null, 0x0
	s_barrier
	buffer_gl0_inv
	v_cmpx_eq_u32_e32 41, v0
	s_cbranch_execz .LBB103_377
; %bb.371:
	ds_write2_b64 v255, v[41:42], v[43:44] offset1:1
	ds_write2_b64 v253, v[37:38], v[39:40] offset0:84 offset1:85
	ds_write2_b64 v253, v[33:34], v[35:36] offset0:86 offset1:87
	ds_write2_b64 v253, v[29:30], v[31:32] offset0:88 offset1:89
	ds_write2_b64 v253, v[25:26], v[27:28] offset0:90 offset1:91
	ds_write2_b64 v253, v[21:22], v[23:24] offset0:92 offset1:93
	ds_write2_b64 v253, v[17:18], v[19:20] offset0:94 offset1:95
	ds_write2_b64 v253, v[13:14], v[15:16] offset0:96 offset1:97
	ds_write2_b64 v253, v[9:10], v[11:12] offset0:98 offset1:99
	ds_write2_b64 v253, v[5:6], v[7:8] offset0:100 offset1:101
	ds_write2_b64 v253, v[1:2], v[3:4] offset0:102 offset1:103
	ds_read2_b64 v[209:212], v255 offset1:1
	s_waitcnt lgkmcnt(0)
	v_cmp_neq_f64_e32 vcc_lo, 0, v[209:210]
	v_cmp_neq_f64_e64 s1, 0, v[211:212]
	s_or_b32 s1, vcc_lo, s1
	s_and_b32 exec_lo, exec_lo, s1
	s_cbranch_execz .LBB103_377
; %bb.372:
	v_cmp_ngt_f64_e64 s1, |v[209:210]|, |v[211:212]|
                                        ; implicit-def: $vgpr213_vgpr214
	s_and_saveexec_b32 s3, s1
	s_xor_b32 s1, exec_lo, s3
                                        ; implicit-def: $vgpr215_vgpr216
	s_cbranch_execz .LBB103_374
; %bb.373:
	v_div_scale_f64 v[213:214], null, v[211:212], v[211:212], v[209:210]
	v_div_scale_f64 v[219:220], vcc_lo, v[209:210], v[211:212], v[209:210]
	v_rcp_f64_e32 v[215:216], v[213:214]
	v_fma_f64 v[217:218], -v[213:214], v[215:216], 1.0
	v_fma_f64 v[215:216], v[215:216], v[217:218], v[215:216]
	v_fma_f64 v[217:218], -v[213:214], v[215:216], 1.0
	v_fma_f64 v[215:216], v[215:216], v[217:218], v[215:216]
	v_mul_f64 v[217:218], v[219:220], v[215:216]
	v_fma_f64 v[213:214], -v[213:214], v[217:218], v[219:220]
	v_div_fmas_f64 v[213:214], v[213:214], v[215:216], v[217:218]
	v_div_fixup_f64 v[213:214], v[213:214], v[211:212], v[209:210]
	v_fma_f64 v[209:210], v[209:210], v[213:214], v[211:212]
	v_div_scale_f64 v[211:212], null, v[209:210], v[209:210], 1.0
	v_rcp_f64_e32 v[215:216], v[211:212]
	v_fma_f64 v[217:218], -v[211:212], v[215:216], 1.0
	v_fma_f64 v[215:216], v[215:216], v[217:218], v[215:216]
	v_fma_f64 v[217:218], -v[211:212], v[215:216], 1.0
	v_fma_f64 v[215:216], v[215:216], v[217:218], v[215:216]
	v_div_scale_f64 v[217:218], vcc_lo, 1.0, v[209:210], 1.0
	v_mul_f64 v[219:220], v[217:218], v[215:216]
	v_fma_f64 v[211:212], -v[211:212], v[219:220], v[217:218]
	v_div_fmas_f64 v[211:212], v[211:212], v[215:216], v[219:220]
	v_div_fixup_f64 v[215:216], v[211:212], v[209:210], 1.0
                                        ; implicit-def: $vgpr209_vgpr210
	v_mul_f64 v[213:214], v[213:214], v[215:216]
	v_xor_b32_e32 v216, 0x80000000, v216
.LBB103_374:
	s_andn2_saveexec_b32 s1, s1
	s_cbranch_execz .LBB103_376
; %bb.375:
	v_div_scale_f64 v[213:214], null, v[209:210], v[209:210], v[211:212]
	v_div_scale_f64 v[219:220], vcc_lo, v[211:212], v[209:210], v[211:212]
	v_rcp_f64_e32 v[215:216], v[213:214]
	v_fma_f64 v[217:218], -v[213:214], v[215:216], 1.0
	v_fma_f64 v[215:216], v[215:216], v[217:218], v[215:216]
	v_fma_f64 v[217:218], -v[213:214], v[215:216], 1.0
	v_fma_f64 v[215:216], v[215:216], v[217:218], v[215:216]
	v_mul_f64 v[217:218], v[219:220], v[215:216]
	v_fma_f64 v[213:214], -v[213:214], v[217:218], v[219:220]
	v_div_fmas_f64 v[213:214], v[213:214], v[215:216], v[217:218]
	v_div_fixup_f64 v[215:216], v[213:214], v[209:210], v[211:212]
	v_fma_f64 v[209:210], v[211:212], v[215:216], v[209:210]
	v_div_scale_f64 v[211:212], null, v[209:210], v[209:210], 1.0
	v_rcp_f64_e32 v[213:214], v[211:212]
	v_fma_f64 v[217:218], -v[211:212], v[213:214], 1.0
	v_fma_f64 v[213:214], v[213:214], v[217:218], v[213:214]
	v_fma_f64 v[217:218], -v[211:212], v[213:214], 1.0
	v_fma_f64 v[213:214], v[213:214], v[217:218], v[213:214]
	v_div_scale_f64 v[217:218], vcc_lo, 1.0, v[209:210], 1.0
	v_mul_f64 v[219:220], v[217:218], v[213:214]
	v_fma_f64 v[211:212], -v[211:212], v[219:220], v[217:218]
	v_div_fmas_f64 v[211:212], v[211:212], v[213:214], v[219:220]
	v_div_fixup_f64 v[213:214], v[211:212], v[209:210], 1.0
	v_mul_f64 v[215:216], v[215:216], -v[213:214]
.LBB103_376:
	s_or_b32 exec_lo, exec_lo, s1
	ds_write2_b64 v255, v[213:214], v[215:216] offset1:1
.LBB103_377:
	s_or_b32 exec_lo, exec_lo, s2
	s_waitcnt lgkmcnt(0)
	s_barrier
	buffer_gl0_inv
	ds_read2_b64 v[205:208], v255 offset1:1
	s_mov_b32 s1, exec_lo
	s_waitcnt lgkmcnt(0)
	buffer_store_dword v205, off, s[16:19], 0 offset:1040 ; 4-byte Folded Spill
	buffer_store_dword v206, off, s[16:19], 0 offset:1044 ; 4-byte Folded Spill
	buffer_store_dword v207, off, s[16:19], 0 offset:1048 ; 4-byte Folded Spill
	buffer_store_dword v208, off, s[16:19], 0 offset:1052 ; 4-byte Folded Spill
	v_cmpx_lt_u32_e32 41, v0
	s_cbranch_execz .LBB103_379
; %bb.378:
	s_clause 0x3
	buffer_load_dword v205, off, s[16:19], 0 offset:1040
	buffer_load_dword v206, off, s[16:19], 0 offset:1044
	;; [unrolled: 1-line block ×4, first 2 shown]
	s_waitcnt vmcnt(2)
	v_mul_f64 v[209:210], v[205:206], v[43:44]
	s_waitcnt vmcnt(0)
	v_mul_f64 v[43:44], v[207:208], v[43:44]
	v_fma_f64 v[213:214], v[207:208], v[41:42], v[209:210]
	ds_read2_b64 v[209:212], v253 offset0:84 offset1:85
	v_fma_f64 v[41:42], v[205:206], v[41:42], -v[43:44]
	s_waitcnt lgkmcnt(0)
	v_mul_f64 v[43:44], v[211:212], v[213:214]
	v_fma_f64 v[43:44], v[209:210], v[41:42], -v[43:44]
	v_mul_f64 v[209:210], v[209:210], v[213:214]
	v_add_f64 v[37:38], v[37:38], -v[43:44]
	v_fma_f64 v[209:210], v[211:212], v[41:42], v[209:210]
	v_add_f64 v[39:40], v[39:40], -v[209:210]
	ds_read2_b64 v[209:212], v253 offset0:86 offset1:87
	s_waitcnt lgkmcnt(0)
	v_mul_f64 v[43:44], v[211:212], v[213:214]
	v_fma_f64 v[43:44], v[209:210], v[41:42], -v[43:44]
	v_mul_f64 v[209:210], v[209:210], v[213:214]
	v_add_f64 v[33:34], v[33:34], -v[43:44]
	v_fma_f64 v[209:210], v[211:212], v[41:42], v[209:210]
	v_add_f64 v[35:36], v[35:36], -v[209:210]
	ds_read2_b64 v[209:212], v253 offset0:88 offset1:89
	;; [unrolled: 8-line block ×9, first 2 shown]
	s_waitcnt lgkmcnt(0)
	v_mul_f64 v[43:44], v[211:212], v[213:214]
	v_fma_f64 v[43:44], v[209:210], v[41:42], -v[43:44]
	v_mul_f64 v[209:210], v[209:210], v[213:214]
	v_add_f64 v[1:2], v[1:2], -v[43:44]
	v_fma_f64 v[209:210], v[211:212], v[41:42], v[209:210]
	v_mov_b32_e32 v43, v213
	v_mov_b32_e32 v44, v214
	v_add_f64 v[3:4], v[3:4], -v[209:210]
.LBB103_379:
	s_or_b32 exec_lo, exec_lo, s1
	s_mov_b32 s2, exec_lo
	s_waitcnt_vscnt null, 0x0
	s_barrier
	buffer_gl0_inv
	v_cmpx_eq_u32_e32 42, v0
	s_cbranch_execz .LBB103_386
; %bb.380:
	ds_write2_b64 v255, v[37:38], v[39:40] offset1:1
	ds_write2_b64 v253, v[33:34], v[35:36] offset0:86 offset1:87
	ds_write2_b64 v253, v[29:30], v[31:32] offset0:88 offset1:89
	ds_write2_b64 v253, v[25:26], v[27:28] offset0:90 offset1:91
	ds_write2_b64 v253, v[21:22], v[23:24] offset0:92 offset1:93
	ds_write2_b64 v253, v[17:18], v[19:20] offset0:94 offset1:95
	ds_write2_b64 v253, v[13:14], v[15:16] offset0:96 offset1:97
	ds_write2_b64 v253, v[9:10], v[11:12] offset0:98 offset1:99
	ds_write2_b64 v253, v[5:6], v[7:8] offset0:100 offset1:101
	ds_write2_b64 v253, v[1:2], v[3:4] offset0:102 offset1:103
	ds_read2_b64 v[209:212], v255 offset1:1
	s_waitcnt lgkmcnt(0)
	v_cmp_neq_f64_e32 vcc_lo, 0, v[209:210]
	v_cmp_neq_f64_e64 s1, 0, v[211:212]
	s_or_b32 s1, vcc_lo, s1
	s_and_b32 exec_lo, exec_lo, s1
	s_cbranch_execz .LBB103_386
; %bb.381:
	v_cmp_ngt_f64_e64 s1, |v[209:210]|, |v[211:212]|
                                        ; implicit-def: $vgpr213_vgpr214
	s_and_saveexec_b32 s3, s1
	s_xor_b32 s1, exec_lo, s3
                                        ; implicit-def: $vgpr215_vgpr216
	s_cbranch_execz .LBB103_383
; %bb.382:
	v_div_scale_f64 v[213:214], null, v[211:212], v[211:212], v[209:210]
	v_div_scale_f64 v[219:220], vcc_lo, v[209:210], v[211:212], v[209:210]
	v_rcp_f64_e32 v[215:216], v[213:214]
	v_fma_f64 v[217:218], -v[213:214], v[215:216], 1.0
	v_fma_f64 v[215:216], v[215:216], v[217:218], v[215:216]
	v_fma_f64 v[217:218], -v[213:214], v[215:216], 1.0
	v_fma_f64 v[215:216], v[215:216], v[217:218], v[215:216]
	v_mul_f64 v[217:218], v[219:220], v[215:216]
	v_fma_f64 v[213:214], -v[213:214], v[217:218], v[219:220]
	v_div_fmas_f64 v[213:214], v[213:214], v[215:216], v[217:218]
	v_div_fixup_f64 v[213:214], v[213:214], v[211:212], v[209:210]
	v_fma_f64 v[209:210], v[209:210], v[213:214], v[211:212]
	v_div_scale_f64 v[211:212], null, v[209:210], v[209:210], 1.0
	v_rcp_f64_e32 v[215:216], v[211:212]
	v_fma_f64 v[217:218], -v[211:212], v[215:216], 1.0
	v_fma_f64 v[215:216], v[215:216], v[217:218], v[215:216]
	v_fma_f64 v[217:218], -v[211:212], v[215:216], 1.0
	v_fma_f64 v[215:216], v[215:216], v[217:218], v[215:216]
	v_div_scale_f64 v[217:218], vcc_lo, 1.0, v[209:210], 1.0
	v_mul_f64 v[219:220], v[217:218], v[215:216]
	v_fma_f64 v[211:212], -v[211:212], v[219:220], v[217:218]
	v_div_fmas_f64 v[211:212], v[211:212], v[215:216], v[219:220]
	v_div_fixup_f64 v[215:216], v[211:212], v[209:210], 1.0
                                        ; implicit-def: $vgpr209_vgpr210
	v_mul_f64 v[213:214], v[213:214], v[215:216]
	v_xor_b32_e32 v216, 0x80000000, v216
.LBB103_383:
	s_andn2_saveexec_b32 s1, s1
	s_cbranch_execz .LBB103_385
; %bb.384:
	v_div_scale_f64 v[213:214], null, v[209:210], v[209:210], v[211:212]
	v_div_scale_f64 v[219:220], vcc_lo, v[211:212], v[209:210], v[211:212]
	v_rcp_f64_e32 v[215:216], v[213:214]
	v_fma_f64 v[217:218], -v[213:214], v[215:216], 1.0
	v_fma_f64 v[215:216], v[215:216], v[217:218], v[215:216]
	v_fma_f64 v[217:218], -v[213:214], v[215:216], 1.0
	v_fma_f64 v[215:216], v[215:216], v[217:218], v[215:216]
	v_mul_f64 v[217:218], v[219:220], v[215:216]
	v_fma_f64 v[213:214], -v[213:214], v[217:218], v[219:220]
	v_div_fmas_f64 v[213:214], v[213:214], v[215:216], v[217:218]
	v_div_fixup_f64 v[215:216], v[213:214], v[209:210], v[211:212]
	v_fma_f64 v[209:210], v[211:212], v[215:216], v[209:210]
	v_div_scale_f64 v[211:212], null, v[209:210], v[209:210], 1.0
	v_rcp_f64_e32 v[213:214], v[211:212]
	v_fma_f64 v[217:218], -v[211:212], v[213:214], 1.0
	v_fma_f64 v[213:214], v[213:214], v[217:218], v[213:214]
	v_fma_f64 v[217:218], -v[211:212], v[213:214], 1.0
	v_fma_f64 v[213:214], v[213:214], v[217:218], v[213:214]
	v_div_scale_f64 v[217:218], vcc_lo, 1.0, v[209:210], 1.0
	v_mul_f64 v[219:220], v[217:218], v[213:214]
	v_fma_f64 v[211:212], -v[211:212], v[219:220], v[217:218]
	v_div_fmas_f64 v[211:212], v[211:212], v[213:214], v[219:220]
	v_div_fixup_f64 v[213:214], v[211:212], v[209:210], 1.0
	v_mul_f64 v[215:216], v[215:216], -v[213:214]
.LBB103_385:
	s_or_b32 exec_lo, exec_lo, s1
	ds_write2_b64 v255, v[213:214], v[215:216] offset1:1
.LBB103_386:
	s_or_b32 exec_lo, exec_lo, s2
	s_waitcnt lgkmcnt(0)
	s_barrier
	buffer_gl0_inv
	ds_read2_b64 v[205:208], v255 offset1:1
	s_mov_b32 s1, exec_lo
	s_waitcnt lgkmcnt(0)
	buffer_store_dword v205, off, s[16:19], 0 offset:1056 ; 4-byte Folded Spill
	buffer_store_dword v206, off, s[16:19], 0 offset:1060 ; 4-byte Folded Spill
	;; [unrolled: 1-line block ×4, first 2 shown]
	v_cmpx_lt_u32_e32 42, v0
	s_cbranch_execz .LBB103_388
; %bb.387:
	s_clause 0x3
	buffer_load_dword v205, off, s[16:19], 0 offset:1056
	buffer_load_dword v206, off, s[16:19], 0 offset:1060
	;; [unrolled: 1-line block ×4, first 2 shown]
	s_waitcnt vmcnt(2)
	v_mul_f64 v[209:210], v[205:206], v[39:40]
	s_waitcnt vmcnt(0)
	v_mul_f64 v[39:40], v[207:208], v[39:40]
	v_fma_f64 v[213:214], v[207:208], v[37:38], v[209:210]
	ds_read2_b64 v[209:212], v253 offset0:86 offset1:87
	v_fma_f64 v[37:38], v[205:206], v[37:38], -v[39:40]
	s_waitcnt lgkmcnt(0)
	v_mul_f64 v[39:40], v[211:212], v[213:214]
	v_fma_f64 v[39:40], v[209:210], v[37:38], -v[39:40]
	v_mul_f64 v[209:210], v[209:210], v[213:214]
	v_add_f64 v[33:34], v[33:34], -v[39:40]
	v_fma_f64 v[209:210], v[211:212], v[37:38], v[209:210]
	v_add_f64 v[35:36], v[35:36], -v[209:210]
	ds_read2_b64 v[209:212], v253 offset0:88 offset1:89
	s_waitcnt lgkmcnt(0)
	v_mul_f64 v[39:40], v[211:212], v[213:214]
	v_fma_f64 v[39:40], v[209:210], v[37:38], -v[39:40]
	v_mul_f64 v[209:210], v[209:210], v[213:214]
	v_add_f64 v[29:30], v[29:30], -v[39:40]
	v_fma_f64 v[209:210], v[211:212], v[37:38], v[209:210]
	v_add_f64 v[31:32], v[31:32], -v[209:210]
	ds_read2_b64 v[209:212], v253 offset0:90 offset1:91
	;; [unrolled: 8-line block ×8, first 2 shown]
	s_waitcnt lgkmcnt(0)
	v_mul_f64 v[39:40], v[211:212], v[213:214]
	v_fma_f64 v[39:40], v[209:210], v[37:38], -v[39:40]
	v_mul_f64 v[209:210], v[209:210], v[213:214]
	v_add_f64 v[1:2], v[1:2], -v[39:40]
	v_fma_f64 v[209:210], v[211:212], v[37:38], v[209:210]
	v_mov_b32_e32 v39, v213
	v_mov_b32_e32 v40, v214
	v_add_f64 v[3:4], v[3:4], -v[209:210]
.LBB103_388:
	s_or_b32 exec_lo, exec_lo, s1
	s_mov_b32 s2, exec_lo
	s_waitcnt_vscnt null, 0x0
	s_barrier
	buffer_gl0_inv
	v_cmpx_eq_u32_e32 43, v0
	s_cbranch_execz .LBB103_395
; %bb.389:
	ds_write2_b64 v255, v[33:34], v[35:36] offset1:1
	ds_write2_b64 v253, v[29:30], v[31:32] offset0:88 offset1:89
	ds_write2_b64 v253, v[25:26], v[27:28] offset0:90 offset1:91
	;; [unrolled: 1-line block ×8, first 2 shown]
	ds_read2_b64 v[209:212], v255 offset1:1
	s_waitcnt lgkmcnt(0)
	v_cmp_neq_f64_e32 vcc_lo, 0, v[209:210]
	v_cmp_neq_f64_e64 s1, 0, v[211:212]
	s_or_b32 s1, vcc_lo, s1
	s_and_b32 exec_lo, exec_lo, s1
	s_cbranch_execz .LBB103_395
; %bb.390:
	v_cmp_ngt_f64_e64 s1, |v[209:210]|, |v[211:212]|
                                        ; implicit-def: $vgpr213_vgpr214
	s_and_saveexec_b32 s3, s1
	s_xor_b32 s1, exec_lo, s3
                                        ; implicit-def: $vgpr215_vgpr216
	s_cbranch_execz .LBB103_392
; %bb.391:
	v_div_scale_f64 v[213:214], null, v[211:212], v[211:212], v[209:210]
	v_div_scale_f64 v[219:220], vcc_lo, v[209:210], v[211:212], v[209:210]
	v_rcp_f64_e32 v[215:216], v[213:214]
	v_fma_f64 v[217:218], -v[213:214], v[215:216], 1.0
	v_fma_f64 v[215:216], v[215:216], v[217:218], v[215:216]
	v_fma_f64 v[217:218], -v[213:214], v[215:216], 1.0
	v_fma_f64 v[215:216], v[215:216], v[217:218], v[215:216]
	v_mul_f64 v[217:218], v[219:220], v[215:216]
	v_fma_f64 v[213:214], -v[213:214], v[217:218], v[219:220]
	v_div_fmas_f64 v[213:214], v[213:214], v[215:216], v[217:218]
	v_div_fixup_f64 v[213:214], v[213:214], v[211:212], v[209:210]
	v_fma_f64 v[209:210], v[209:210], v[213:214], v[211:212]
	v_div_scale_f64 v[211:212], null, v[209:210], v[209:210], 1.0
	v_rcp_f64_e32 v[215:216], v[211:212]
	v_fma_f64 v[217:218], -v[211:212], v[215:216], 1.0
	v_fma_f64 v[215:216], v[215:216], v[217:218], v[215:216]
	v_fma_f64 v[217:218], -v[211:212], v[215:216], 1.0
	v_fma_f64 v[215:216], v[215:216], v[217:218], v[215:216]
	v_div_scale_f64 v[217:218], vcc_lo, 1.0, v[209:210], 1.0
	v_mul_f64 v[219:220], v[217:218], v[215:216]
	v_fma_f64 v[211:212], -v[211:212], v[219:220], v[217:218]
	v_div_fmas_f64 v[211:212], v[211:212], v[215:216], v[219:220]
	v_div_fixup_f64 v[215:216], v[211:212], v[209:210], 1.0
                                        ; implicit-def: $vgpr209_vgpr210
	v_mul_f64 v[213:214], v[213:214], v[215:216]
	v_xor_b32_e32 v216, 0x80000000, v216
.LBB103_392:
	s_andn2_saveexec_b32 s1, s1
	s_cbranch_execz .LBB103_394
; %bb.393:
	v_div_scale_f64 v[213:214], null, v[209:210], v[209:210], v[211:212]
	v_div_scale_f64 v[219:220], vcc_lo, v[211:212], v[209:210], v[211:212]
	v_rcp_f64_e32 v[215:216], v[213:214]
	v_fma_f64 v[217:218], -v[213:214], v[215:216], 1.0
	v_fma_f64 v[215:216], v[215:216], v[217:218], v[215:216]
	v_fma_f64 v[217:218], -v[213:214], v[215:216], 1.0
	v_fma_f64 v[215:216], v[215:216], v[217:218], v[215:216]
	v_mul_f64 v[217:218], v[219:220], v[215:216]
	v_fma_f64 v[213:214], -v[213:214], v[217:218], v[219:220]
	v_div_fmas_f64 v[213:214], v[213:214], v[215:216], v[217:218]
	v_div_fixup_f64 v[215:216], v[213:214], v[209:210], v[211:212]
	v_fma_f64 v[209:210], v[211:212], v[215:216], v[209:210]
	v_div_scale_f64 v[211:212], null, v[209:210], v[209:210], 1.0
	v_rcp_f64_e32 v[213:214], v[211:212]
	v_fma_f64 v[217:218], -v[211:212], v[213:214], 1.0
	v_fma_f64 v[213:214], v[213:214], v[217:218], v[213:214]
	v_fma_f64 v[217:218], -v[211:212], v[213:214], 1.0
	v_fma_f64 v[213:214], v[213:214], v[217:218], v[213:214]
	v_div_scale_f64 v[217:218], vcc_lo, 1.0, v[209:210], 1.0
	v_mul_f64 v[219:220], v[217:218], v[213:214]
	v_fma_f64 v[211:212], -v[211:212], v[219:220], v[217:218]
	v_div_fmas_f64 v[211:212], v[211:212], v[213:214], v[219:220]
	v_div_fixup_f64 v[213:214], v[211:212], v[209:210], 1.0
	v_mul_f64 v[215:216], v[215:216], -v[213:214]
.LBB103_394:
	s_or_b32 exec_lo, exec_lo, s1
	ds_write2_b64 v255, v[213:214], v[215:216] offset1:1
.LBB103_395:
	s_or_b32 exec_lo, exec_lo, s2
	s_waitcnt lgkmcnt(0)
	s_barrier
	buffer_gl0_inv
	ds_read2_b64 v[205:208], v255 offset1:1
	s_mov_b32 s1, exec_lo
	s_waitcnt lgkmcnt(0)
	buffer_store_dword v205, off, s[16:19], 0 offset:1072 ; 4-byte Folded Spill
	buffer_store_dword v206, off, s[16:19], 0 offset:1076 ; 4-byte Folded Spill
	;; [unrolled: 1-line block ×4, first 2 shown]
	v_cmpx_lt_u32_e32 43, v0
	s_cbranch_execz .LBB103_397
; %bb.396:
	s_clause 0x3
	buffer_load_dword v205, off, s[16:19], 0 offset:1072
	buffer_load_dword v206, off, s[16:19], 0 offset:1076
	;; [unrolled: 1-line block ×4, first 2 shown]
	s_waitcnt vmcnt(2)
	v_mul_f64 v[209:210], v[205:206], v[35:36]
	s_waitcnt vmcnt(0)
	v_mul_f64 v[35:36], v[207:208], v[35:36]
	v_fma_f64 v[213:214], v[207:208], v[33:34], v[209:210]
	ds_read2_b64 v[209:212], v253 offset0:88 offset1:89
	v_fma_f64 v[33:34], v[205:206], v[33:34], -v[35:36]
	s_waitcnt lgkmcnt(0)
	v_mul_f64 v[35:36], v[211:212], v[213:214]
	v_fma_f64 v[35:36], v[209:210], v[33:34], -v[35:36]
	v_mul_f64 v[209:210], v[209:210], v[213:214]
	v_add_f64 v[29:30], v[29:30], -v[35:36]
	v_fma_f64 v[209:210], v[211:212], v[33:34], v[209:210]
	v_add_f64 v[31:32], v[31:32], -v[209:210]
	ds_read2_b64 v[209:212], v253 offset0:90 offset1:91
	s_waitcnt lgkmcnt(0)
	v_mul_f64 v[35:36], v[211:212], v[213:214]
	v_fma_f64 v[35:36], v[209:210], v[33:34], -v[35:36]
	v_mul_f64 v[209:210], v[209:210], v[213:214]
	v_add_f64 v[25:26], v[25:26], -v[35:36]
	v_fma_f64 v[209:210], v[211:212], v[33:34], v[209:210]
	v_add_f64 v[27:28], v[27:28], -v[209:210]
	ds_read2_b64 v[209:212], v253 offset0:92 offset1:93
	;; [unrolled: 8-line block ×7, first 2 shown]
	s_waitcnt lgkmcnt(0)
	v_mul_f64 v[35:36], v[211:212], v[213:214]
	v_fma_f64 v[35:36], v[209:210], v[33:34], -v[35:36]
	v_mul_f64 v[209:210], v[209:210], v[213:214]
	v_add_f64 v[1:2], v[1:2], -v[35:36]
	v_fma_f64 v[209:210], v[211:212], v[33:34], v[209:210]
	v_mov_b32_e32 v35, v213
	v_mov_b32_e32 v36, v214
	v_add_f64 v[3:4], v[3:4], -v[209:210]
.LBB103_397:
	s_or_b32 exec_lo, exec_lo, s1
	s_mov_b32 s2, exec_lo
	s_waitcnt_vscnt null, 0x0
	s_barrier
	buffer_gl0_inv
	v_cmpx_eq_u32_e32 44, v0
	s_cbranch_execz .LBB103_404
; %bb.398:
	ds_write2_b64 v255, v[29:30], v[31:32] offset1:1
	ds_write2_b64 v253, v[25:26], v[27:28] offset0:90 offset1:91
	ds_write2_b64 v253, v[21:22], v[23:24] offset0:92 offset1:93
	;; [unrolled: 1-line block ×7, first 2 shown]
	ds_read2_b64 v[209:212], v255 offset1:1
	s_waitcnt lgkmcnt(0)
	v_cmp_neq_f64_e32 vcc_lo, 0, v[209:210]
	v_cmp_neq_f64_e64 s1, 0, v[211:212]
	s_or_b32 s1, vcc_lo, s1
	s_and_b32 exec_lo, exec_lo, s1
	s_cbranch_execz .LBB103_404
; %bb.399:
	v_cmp_ngt_f64_e64 s1, |v[209:210]|, |v[211:212]|
                                        ; implicit-def: $vgpr213_vgpr214
	s_and_saveexec_b32 s3, s1
	s_xor_b32 s1, exec_lo, s3
                                        ; implicit-def: $vgpr215_vgpr216
	s_cbranch_execz .LBB103_401
; %bb.400:
	v_div_scale_f64 v[213:214], null, v[211:212], v[211:212], v[209:210]
	v_div_scale_f64 v[219:220], vcc_lo, v[209:210], v[211:212], v[209:210]
	v_rcp_f64_e32 v[215:216], v[213:214]
	v_fma_f64 v[217:218], -v[213:214], v[215:216], 1.0
	v_fma_f64 v[215:216], v[215:216], v[217:218], v[215:216]
	v_fma_f64 v[217:218], -v[213:214], v[215:216], 1.0
	v_fma_f64 v[215:216], v[215:216], v[217:218], v[215:216]
	v_mul_f64 v[217:218], v[219:220], v[215:216]
	v_fma_f64 v[213:214], -v[213:214], v[217:218], v[219:220]
	v_div_fmas_f64 v[213:214], v[213:214], v[215:216], v[217:218]
	v_div_fixup_f64 v[213:214], v[213:214], v[211:212], v[209:210]
	v_fma_f64 v[209:210], v[209:210], v[213:214], v[211:212]
	v_div_scale_f64 v[211:212], null, v[209:210], v[209:210], 1.0
	v_rcp_f64_e32 v[215:216], v[211:212]
	v_fma_f64 v[217:218], -v[211:212], v[215:216], 1.0
	v_fma_f64 v[215:216], v[215:216], v[217:218], v[215:216]
	v_fma_f64 v[217:218], -v[211:212], v[215:216], 1.0
	v_fma_f64 v[215:216], v[215:216], v[217:218], v[215:216]
	v_div_scale_f64 v[217:218], vcc_lo, 1.0, v[209:210], 1.0
	v_mul_f64 v[219:220], v[217:218], v[215:216]
	v_fma_f64 v[211:212], -v[211:212], v[219:220], v[217:218]
	v_div_fmas_f64 v[211:212], v[211:212], v[215:216], v[219:220]
	v_div_fixup_f64 v[215:216], v[211:212], v[209:210], 1.0
                                        ; implicit-def: $vgpr209_vgpr210
	v_mul_f64 v[213:214], v[213:214], v[215:216]
	v_xor_b32_e32 v216, 0x80000000, v216
.LBB103_401:
	s_andn2_saveexec_b32 s1, s1
	s_cbranch_execz .LBB103_403
; %bb.402:
	v_div_scale_f64 v[213:214], null, v[209:210], v[209:210], v[211:212]
	v_div_scale_f64 v[219:220], vcc_lo, v[211:212], v[209:210], v[211:212]
	v_rcp_f64_e32 v[215:216], v[213:214]
	v_fma_f64 v[217:218], -v[213:214], v[215:216], 1.0
	v_fma_f64 v[215:216], v[215:216], v[217:218], v[215:216]
	v_fma_f64 v[217:218], -v[213:214], v[215:216], 1.0
	v_fma_f64 v[215:216], v[215:216], v[217:218], v[215:216]
	v_mul_f64 v[217:218], v[219:220], v[215:216]
	v_fma_f64 v[213:214], -v[213:214], v[217:218], v[219:220]
	v_div_fmas_f64 v[213:214], v[213:214], v[215:216], v[217:218]
	v_div_fixup_f64 v[215:216], v[213:214], v[209:210], v[211:212]
	v_fma_f64 v[209:210], v[211:212], v[215:216], v[209:210]
	v_div_scale_f64 v[211:212], null, v[209:210], v[209:210], 1.0
	v_rcp_f64_e32 v[213:214], v[211:212]
	v_fma_f64 v[217:218], -v[211:212], v[213:214], 1.0
	v_fma_f64 v[213:214], v[213:214], v[217:218], v[213:214]
	v_fma_f64 v[217:218], -v[211:212], v[213:214], 1.0
	v_fma_f64 v[213:214], v[213:214], v[217:218], v[213:214]
	v_div_scale_f64 v[217:218], vcc_lo, 1.0, v[209:210], 1.0
	v_mul_f64 v[219:220], v[217:218], v[213:214]
	v_fma_f64 v[211:212], -v[211:212], v[219:220], v[217:218]
	v_div_fmas_f64 v[211:212], v[211:212], v[213:214], v[219:220]
	v_div_fixup_f64 v[213:214], v[211:212], v[209:210], 1.0
	v_mul_f64 v[215:216], v[215:216], -v[213:214]
.LBB103_403:
	s_or_b32 exec_lo, exec_lo, s1
	ds_write2_b64 v255, v[213:214], v[215:216] offset1:1
.LBB103_404:
	s_or_b32 exec_lo, exec_lo, s2
	s_waitcnt lgkmcnt(0)
	s_barrier
	buffer_gl0_inv
	ds_read2_b64 v[209:212], v255 offset1:1
	s_mov_b32 s1, exec_lo
	v_cmpx_lt_u32_e32 44, v0
	s_cbranch_execz .LBB103_406
; %bb.405:
	s_waitcnt lgkmcnt(0)
	v_mul_f64 v[213:214], v[209:210], v[31:32]
	v_mul_f64 v[31:32], v[211:212], v[31:32]
	v_fma_f64 v[217:218], v[211:212], v[29:30], v[213:214]
	ds_read2_b64 v[213:216], v253 offset0:90 offset1:91
	v_fma_f64 v[29:30], v[209:210], v[29:30], -v[31:32]
	s_waitcnt lgkmcnt(0)
	v_mul_f64 v[31:32], v[215:216], v[217:218]
	v_fma_f64 v[31:32], v[213:214], v[29:30], -v[31:32]
	v_mul_f64 v[213:214], v[213:214], v[217:218]
	v_add_f64 v[25:26], v[25:26], -v[31:32]
	v_fma_f64 v[213:214], v[215:216], v[29:30], v[213:214]
	v_add_f64 v[27:28], v[27:28], -v[213:214]
	ds_read2_b64 v[213:216], v253 offset0:92 offset1:93
	s_waitcnt lgkmcnt(0)
	v_mul_f64 v[31:32], v[215:216], v[217:218]
	v_fma_f64 v[31:32], v[213:214], v[29:30], -v[31:32]
	v_mul_f64 v[213:214], v[213:214], v[217:218]
	v_add_f64 v[21:22], v[21:22], -v[31:32]
	v_fma_f64 v[213:214], v[215:216], v[29:30], v[213:214]
	v_add_f64 v[23:24], v[23:24], -v[213:214]
	ds_read2_b64 v[213:216], v253 offset0:94 offset1:95
	;; [unrolled: 8-line block ×6, first 2 shown]
	s_waitcnt lgkmcnt(0)
	v_mul_f64 v[31:32], v[215:216], v[217:218]
	v_fma_f64 v[31:32], v[213:214], v[29:30], -v[31:32]
	v_mul_f64 v[213:214], v[213:214], v[217:218]
	v_add_f64 v[1:2], v[1:2], -v[31:32]
	v_fma_f64 v[213:214], v[215:216], v[29:30], v[213:214]
	v_mov_b32_e32 v31, v217
	v_mov_b32_e32 v32, v218
	v_add_f64 v[3:4], v[3:4], -v[213:214]
.LBB103_406:
	s_or_b32 exec_lo, exec_lo, s1
	s_mov_b32 s2, exec_lo
	s_waitcnt lgkmcnt(0)
	s_barrier
	buffer_gl0_inv
	v_cmpx_eq_u32_e32 45, v0
	s_cbranch_execz .LBB103_413
; %bb.407:
	ds_write2_b64 v255, v[25:26], v[27:28] offset1:1
	ds_write2_b64 v253, v[21:22], v[23:24] offset0:92 offset1:93
	ds_write2_b64 v253, v[17:18], v[19:20] offset0:94 offset1:95
	;; [unrolled: 1-line block ×6, first 2 shown]
	ds_read2_b64 v[213:216], v255 offset1:1
	s_waitcnt lgkmcnt(0)
	v_cmp_neq_f64_e32 vcc_lo, 0, v[213:214]
	v_cmp_neq_f64_e64 s1, 0, v[215:216]
	s_or_b32 s1, vcc_lo, s1
	s_and_b32 exec_lo, exec_lo, s1
	s_cbranch_execz .LBB103_413
; %bb.408:
	v_cmp_ngt_f64_e64 s1, |v[213:214]|, |v[215:216]|
                                        ; implicit-def: $vgpr217_vgpr218
	s_and_saveexec_b32 s3, s1
	s_xor_b32 s1, exec_lo, s3
                                        ; implicit-def: $vgpr219_vgpr220
	s_cbranch_execz .LBB103_410
; %bb.409:
	v_div_scale_f64 v[217:218], null, v[215:216], v[215:216], v[213:214]
	v_div_scale_f64 v[223:224], vcc_lo, v[213:214], v[215:216], v[213:214]
	v_rcp_f64_e32 v[219:220], v[217:218]
	v_fma_f64 v[221:222], -v[217:218], v[219:220], 1.0
	v_fma_f64 v[219:220], v[219:220], v[221:222], v[219:220]
	v_fma_f64 v[221:222], -v[217:218], v[219:220], 1.0
	v_fma_f64 v[219:220], v[219:220], v[221:222], v[219:220]
	v_mul_f64 v[221:222], v[223:224], v[219:220]
	v_fma_f64 v[217:218], -v[217:218], v[221:222], v[223:224]
	v_div_fmas_f64 v[217:218], v[217:218], v[219:220], v[221:222]
	v_div_fixup_f64 v[217:218], v[217:218], v[215:216], v[213:214]
	v_fma_f64 v[213:214], v[213:214], v[217:218], v[215:216]
	v_div_scale_f64 v[215:216], null, v[213:214], v[213:214], 1.0
	v_rcp_f64_e32 v[219:220], v[215:216]
	v_fma_f64 v[221:222], -v[215:216], v[219:220], 1.0
	v_fma_f64 v[219:220], v[219:220], v[221:222], v[219:220]
	v_fma_f64 v[221:222], -v[215:216], v[219:220], 1.0
	v_fma_f64 v[219:220], v[219:220], v[221:222], v[219:220]
	v_div_scale_f64 v[221:222], vcc_lo, 1.0, v[213:214], 1.0
	v_mul_f64 v[223:224], v[221:222], v[219:220]
	v_fma_f64 v[215:216], -v[215:216], v[223:224], v[221:222]
	v_div_fmas_f64 v[215:216], v[215:216], v[219:220], v[223:224]
	v_div_fixup_f64 v[219:220], v[215:216], v[213:214], 1.0
                                        ; implicit-def: $vgpr213_vgpr214
	v_mul_f64 v[217:218], v[217:218], v[219:220]
	v_xor_b32_e32 v220, 0x80000000, v220
.LBB103_410:
	s_andn2_saveexec_b32 s1, s1
	s_cbranch_execz .LBB103_412
; %bb.411:
	v_div_scale_f64 v[217:218], null, v[213:214], v[213:214], v[215:216]
	v_div_scale_f64 v[223:224], vcc_lo, v[215:216], v[213:214], v[215:216]
	v_rcp_f64_e32 v[219:220], v[217:218]
	v_fma_f64 v[221:222], -v[217:218], v[219:220], 1.0
	v_fma_f64 v[219:220], v[219:220], v[221:222], v[219:220]
	v_fma_f64 v[221:222], -v[217:218], v[219:220], 1.0
	v_fma_f64 v[219:220], v[219:220], v[221:222], v[219:220]
	v_mul_f64 v[221:222], v[223:224], v[219:220]
	v_fma_f64 v[217:218], -v[217:218], v[221:222], v[223:224]
	v_div_fmas_f64 v[217:218], v[217:218], v[219:220], v[221:222]
	v_div_fixup_f64 v[219:220], v[217:218], v[213:214], v[215:216]
	v_fma_f64 v[213:214], v[215:216], v[219:220], v[213:214]
	v_div_scale_f64 v[215:216], null, v[213:214], v[213:214], 1.0
	v_rcp_f64_e32 v[217:218], v[215:216]
	v_fma_f64 v[221:222], -v[215:216], v[217:218], 1.0
	v_fma_f64 v[217:218], v[217:218], v[221:222], v[217:218]
	v_fma_f64 v[221:222], -v[215:216], v[217:218], 1.0
	v_fma_f64 v[217:218], v[217:218], v[221:222], v[217:218]
	v_div_scale_f64 v[221:222], vcc_lo, 1.0, v[213:214], 1.0
	v_mul_f64 v[223:224], v[221:222], v[217:218]
	v_fma_f64 v[215:216], -v[215:216], v[223:224], v[221:222]
	v_div_fmas_f64 v[215:216], v[215:216], v[217:218], v[223:224]
	v_div_fixup_f64 v[217:218], v[215:216], v[213:214], 1.0
	v_mul_f64 v[219:220], v[219:220], -v[217:218]
.LBB103_412:
	s_or_b32 exec_lo, exec_lo, s1
	ds_write2_b64 v255, v[217:218], v[219:220] offset1:1
.LBB103_413:
	s_or_b32 exec_lo, exec_lo, s2
	s_waitcnt lgkmcnt(0)
	s_barrier
	buffer_gl0_inv
	ds_read2_b64 v[213:216], v255 offset1:1
	s_mov_b32 s1, exec_lo
	v_cmpx_lt_u32_e32 45, v0
	s_cbranch_execz .LBB103_415
; %bb.414:
	s_waitcnt lgkmcnt(0)
	v_mul_f64 v[217:218], v[213:214], v[27:28]
	v_mul_f64 v[27:28], v[215:216], v[27:28]
	v_fma_f64 v[221:222], v[215:216], v[25:26], v[217:218]
	ds_read2_b64 v[217:220], v253 offset0:92 offset1:93
	v_fma_f64 v[25:26], v[213:214], v[25:26], -v[27:28]
	s_waitcnt lgkmcnt(0)
	v_mul_f64 v[27:28], v[219:220], v[221:222]
	v_fma_f64 v[27:28], v[217:218], v[25:26], -v[27:28]
	v_mul_f64 v[217:218], v[217:218], v[221:222]
	v_add_f64 v[21:22], v[21:22], -v[27:28]
	v_fma_f64 v[217:218], v[219:220], v[25:26], v[217:218]
	v_add_f64 v[23:24], v[23:24], -v[217:218]
	ds_read2_b64 v[217:220], v253 offset0:94 offset1:95
	s_waitcnt lgkmcnt(0)
	v_mul_f64 v[27:28], v[219:220], v[221:222]
	v_fma_f64 v[27:28], v[217:218], v[25:26], -v[27:28]
	v_mul_f64 v[217:218], v[217:218], v[221:222]
	v_add_f64 v[17:18], v[17:18], -v[27:28]
	v_fma_f64 v[217:218], v[219:220], v[25:26], v[217:218]
	v_add_f64 v[19:20], v[19:20], -v[217:218]
	ds_read2_b64 v[217:220], v253 offset0:96 offset1:97
	;; [unrolled: 8-line block ×5, first 2 shown]
	s_waitcnt lgkmcnt(0)
	v_mul_f64 v[27:28], v[219:220], v[221:222]
	v_fma_f64 v[27:28], v[217:218], v[25:26], -v[27:28]
	v_mul_f64 v[217:218], v[217:218], v[221:222]
	v_add_f64 v[1:2], v[1:2], -v[27:28]
	v_fma_f64 v[217:218], v[219:220], v[25:26], v[217:218]
	v_mov_b32_e32 v27, v221
	v_mov_b32_e32 v28, v222
	v_add_f64 v[3:4], v[3:4], -v[217:218]
.LBB103_415:
	s_or_b32 exec_lo, exec_lo, s1
	s_mov_b32 s2, exec_lo
	s_waitcnt lgkmcnt(0)
	s_barrier
	buffer_gl0_inv
	v_cmpx_eq_u32_e32 46, v0
	s_cbranch_execz .LBB103_422
; %bb.416:
	ds_write2_b64 v255, v[21:22], v[23:24] offset1:1
	ds_write2_b64 v253, v[17:18], v[19:20] offset0:94 offset1:95
	ds_write2_b64 v253, v[13:14], v[15:16] offset0:96 offset1:97
	;; [unrolled: 1-line block ×5, first 2 shown]
	ds_read2_b64 v[217:220], v255 offset1:1
	s_waitcnt lgkmcnt(0)
	v_cmp_neq_f64_e32 vcc_lo, 0, v[217:218]
	v_cmp_neq_f64_e64 s1, 0, v[219:220]
	s_or_b32 s1, vcc_lo, s1
	s_and_b32 exec_lo, exec_lo, s1
	s_cbranch_execz .LBB103_422
; %bb.417:
	v_cmp_ngt_f64_e64 s1, |v[217:218]|, |v[219:220]|
                                        ; implicit-def: $vgpr221_vgpr222
	s_and_saveexec_b32 s3, s1
	s_xor_b32 s1, exec_lo, s3
                                        ; implicit-def: $vgpr223_vgpr224
	s_cbranch_execz .LBB103_419
; %bb.418:
	v_div_scale_f64 v[221:222], null, v[219:220], v[219:220], v[217:218]
	v_div_scale_f64 v[227:228], vcc_lo, v[217:218], v[219:220], v[217:218]
	v_rcp_f64_e32 v[223:224], v[221:222]
	v_fma_f64 v[225:226], -v[221:222], v[223:224], 1.0
	v_fma_f64 v[223:224], v[223:224], v[225:226], v[223:224]
	v_fma_f64 v[225:226], -v[221:222], v[223:224], 1.0
	v_fma_f64 v[223:224], v[223:224], v[225:226], v[223:224]
	v_mul_f64 v[225:226], v[227:228], v[223:224]
	v_fma_f64 v[221:222], -v[221:222], v[225:226], v[227:228]
	v_div_fmas_f64 v[221:222], v[221:222], v[223:224], v[225:226]
	v_div_fixup_f64 v[221:222], v[221:222], v[219:220], v[217:218]
	v_fma_f64 v[217:218], v[217:218], v[221:222], v[219:220]
	v_div_scale_f64 v[219:220], null, v[217:218], v[217:218], 1.0
	v_rcp_f64_e32 v[223:224], v[219:220]
	v_fma_f64 v[225:226], -v[219:220], v[223:224], 1.0
	v_fma_f64 v[223:224], v[223:224], v[225:226], v[223:224]
	v_fma_f64 v[225:226], -v[219:220], v[223:224], 1.0
	v_fma_f64 v[223:224], v[223:224], v[225:226], v[223:224]
	v_div_scale_f64 v[225:226], vcc_lo, 1.0, v[217:218], 1.0
	v_mul_f64 v[227:228], v[225:226], v[223:224]
	v_fma_f64 v[219:220], -v[219:220], v[227:228], v[225:226]
	v_div_fmas_f64 v[219:220], v[219:220], v[223:224], v[227:228]
	v_div_fixup_f64 v[223:224], v[219:220], v[217:218], 1.0
                                        ; implicit-def: $vgpr217_vgpr218
	v_mul_f64 v[221:222], v[221:222], v[223:224]
	v_xor_b32_e32 v224, 0x80000000, v224
.LBB103_419:
	s_andn2_saveexec_b32 s1, s1
	s_cbranch_execz .LBB103_421
; %bb.420:
	v_div_scale_f64 v[221:222], null, v[217:218], v[217:218], v[219:220]
	v_div_scale_f64 v[227:228], vcc_lo, v[219:220], v[217:218], v[219:220]
	v_rcp_f64_e32 v[223:224], v[221:222]
	v_fma_f64 v[225:226], -v[221:222], v[223:224], 1.0
	v_fma_f64 v[223:224], v[223:224], v[225:226], v[223:224]
	v_fma_f64 v[225:226], -v[221:222], v[223:224], 1.0
	v_fma_f64 v[223:224], v[223:224], v[225:226], v[223:224]
	v_mul_f64 v[225:226], v[227:228], v[223:224]
	v_fma_f64 v[221:222], -v[221:222], v[225:226], v[227:228]
	v_div_fmas_f64 v[221:222], v[221:222], v[223:224], v[225:226]
	v_div_fixup_f64 v[223:224], v[221:222], v[217:218], v[219:220]
	v_fma_f64 v[217:218], v[219:220], v[223:224], v[217:218]
	v_div_scale_f64 v[219:220], null, v[217:218], v[217:218], 1.0
	v_rcp_f64_e32 v[221:222], v[219:220]
	v_fma_f64 v[225:226], -v[219:220], v[221:222], 1.0
	v_fma_f64 v[221:222], v[221:222], v[225:226], v[221:222]
	v_fma_f64 v[225:226], -v[219:220], v[221:222], 1.0
	v_fma_f64 v[221:222], v[221:222], v[225:226], v[221:222]
	v_div_scale_f64 v[225:226], vcc_lo, 1.0, v[217:218], 1.0
	v_mul_f64 v[227:228], v[225:226], v[221:222]
	v_fma_f64 v[219:220], -v[219:220], v[227:228], v[225:226]
	v_div_fmas_f64 v[219:220], v[219:220], v[221:222], v[227:228]
	v_div_fixup_f64 v[221:222], v[219:220], v[217:218], 1.0
	v_mul_f64 v[223:224], v[223:224], -v[221:222]
.LBB103_421:
	s_or_b32 exec_lo, exec_lo, s1
	ds_write2_b64 v255, v[221:222], v[223:224] offset1:1
.LBB103_422:
	s_or_b32 exec_lo, exec_lo, s2
	s_waitcnt lgkmcnt(0)
	s_barrier
	buffer_gl0_inv
	ds_read2_b64 v[217:220], v255 offset1:1
	s_mov_b32 s1, exec_lo
	v_cmpx_lt_u32_e32 46, v0
	s_cbranch_execz .LBB103_424
; %bb.423:
	s_waitcnt lgkmcnt(0)
	v_mul_f64 v[221:222], v[217:218], v[23:24]
	v_mul_f64 v[23:24], v[219:220], v[23:24]
	v_fma_f64 v[225:226], v[219:220], v[21:22], v[221:222]
	ds_read2_b64 v[221:224], v253 offset0:94 offset1:95
	v_fma_f64 v[21:22], v[217:218], v[21:22], -v[23:24]
	s_waitcnt lgkmcnt(0)
	v_mul_f64 v[23:24], v[223:224], v[225:226]
	v_fma_f64 v[23:24], v[221:222], v[21:22], -v[23:24]
	v_mul_f64 v[221:222], v[221:222], v[225:226]
	v_add_f64 v[17:18], v[17:18], -v[23:24]
	v_fma_f64 v[221:222], v[223:224], v[21:22], v[221:222]
	v_add_f64 v[19:20], v[19:20], -v[221:222]
	ds_read2_b64 v[221:224], v253 offset0:96 offset1:97
	s_waitcnt lgkmcnt(0)
	v_mul_f64 v[23:24], v[223:224], v[225:226]
	v_fma_f64 v[23:24], v[221:222], v[21:22], -v[23:24]
	v_mul_f64 v[221:222], v[221:222], v[225:226]
	v_add_f64 v[13:14], v[13:14], -v[23:24]
	v_fma_f64 v[221:222], v[223:224], v[21:22], v[221:222]
	v_add_f64 v[15:16], v[15:16], -v[221:222]
	ds_read2_b64 v[221:224], v253 offset0:98 offset1:99
	;; [unrolled: 8-line block ×4, first 2 shown]
	s_waitcnt lgkmcnt(0)
	v_mul_f64 v[23:24], v[223:224], v[225:226]
	v_fma_f64 v[23:24], v[221:222], v[21:22], -v[23:24]
	v_mul_f64 v[221:222], v[221:222], v[225:226]
	v_add_f64 v[1:2], v[1:2], -v[23:24]
	v_fma_f64 v[221:222], v[223:224], v[21:22], v[221:222]
	v_mov_b32_e32 v23, v225
	v_mov_b32_e32 v24, v226
	v_add_f64 v[3:4], v[3:4], -v[221:222]
.LBB103_424:
	s_or_b32 exec_lo, exec_lo, s1
	s_mov_b32 s2, exec_lo
	s_waitcnt lgkmcnt(0)
	s_barrier
	buffer_gl0_inv
	v_cmpx_eq_u32_e32 47, v0
	s_cbranch_execz .LBB103_431
; %bb.425:
	ds_write2_b64 v255, v[17:18], v[19:20] offset1:1
	ds_write2_b64 v253, v[13:14], v[15:16] offset0:96 offset1:97
	ds_write2_b64 v253, v[9:10], v[11:12] offset0:98 offset1:99
	;; [unrolled: 1-line block ×4, first 2 shown]
	ds_read2_b64 v[221:224], v255 offset1:1
	s_waitcnt lgkmcnt(0)
	v_cmp_neq_f64_e32 vcc_lo, 0, v[221:222]
	v_cmp_neq_f64_e64 s1, 0, v[223:224]
	s_or_b32 s1, vcc_lo, s1
	s_and_b32 exec_lo, exec_lo, s1
	s_cbranch_execz .LBB103_431
; %bb.426:
	v_cmp_ngt_f64_e64 s1, |v[221:222]|, |v[223:224]|
                                        ; implicit-def: $vgpr225_vgpr226
	s_and_saveexec_b32 s3, s1
	s_xor_b32 s1, exec_lo, s3
                                        ; implicit-def: $vgpr227_vgpr228
	s_cbranch_execz .LBB103_428
; %bb.427:
	v_div_scale_f64 v[225:226], null, v[223:224], v[223:224], v[221:222]
	v_div_scale_f64 v[231:232], vcc_lo, v[221:222], v[223:224], v[221:222]
	v_rcp_f64_e32 v[227:228], v[225:226]
	v_fma_f64 v[229:230], -v[225:226], v[227:228], 1.0
	v_fma_f64 v[227:228], v[227:228], v[229:230], v[227:228]
	v_fma_f64 v[229:230], -v[225:226], v[227:228], 1.0
	v_fma_f64 v[227:228], v[227:228], v[229:230], v[227:228]
	v_mul_f64 v[229:230], v[231:232], v[227:228]
	v_fma_f64 v[225:226], -v[225:226], v[229:230], v[231:232]
	v_div_fmas_f64 v[225:226], v[225:226], v[227:228], v[229:230]
	v_div_fixup_f64 v[225:226], v[225:226], v[223:224], v[221:222]
	v_fma_f64 v[221:222], v[221:222], v[225:226], v[223:224]
	v_div_scale_f64 v[223:224], null, v[221:222], v[221:222], 1.0
	v_rcp_f64_e32 v[227:228], v[223:224]
	v_fma_f64 v[229:230], -v[223:224], v[227:228], 1.0
	v_fma_f64 v[227:228], v[227:228], v[229:230], v[227:228]
	v_fma_f64 v[229:230], -v[223:224], v[227:228], 1.0
	v_fma_f64 v[227:228], v[227:228], v[229:230], v[227:228]
	v_div_scale_f64 v[229:230], vcc_lo, 1.0, v[221:222], 1.0
	v_mul_f64 v[231:232], v[229:230], v[227:228]
	v_fma_f64 v[223:224], -v[223:224], v[231:232], v[229:230]
	v_div_fmas_f64 v[223:224], v[223:224], v[227:228], v[231:232]
	v_div_fixup_f64 v[227:228], v[223:224], v[221:222], 1.0
                                        ; implicit-def: $vgpr221_vgpr222
	v_mul_f64 v[225:226], v[225:226], v[227:228]
	v_xor_b32_e32 v228, 0x80000000, v228
.LBB103_428:
	s_andn2_saveexec_b32 s1, s1
	s_cbranch_execz .LBB103_430
; %bb.429:
	v_div_scale_f64 v[225:226], null, v[221:222], v[221:222], v[223:224]
	v_div_scale_f64 v[231:232], vcc_lo, v[223:224], v[221:222], v[223:224]
	v_rcp_f64_e32 v[227:228], v[225:226]
	v_fma_f64 v[229:230], -v[225:226], v[227:228], 1.0
	v_fma_f64 v[227:228], v[227:228], v[229:230], v[227:228]
	v_fma_f64 v[229:230], -v[225:226], v[227:228], 1.0
	v_fma_f64 v[227:228], v[227:228], v[229:230], v[227:228]
	v_mul_f64 v[229:230], v[231:232], v[227:228]
	v_fma_f64 v[225:226], -v[225:226], v[229:230], v[231:232]
	v_div_fmas_f64 v[225:226], v[225:226], v[227:228], v[229:230]
	v_div_fixup_f64 v[227:228], v[225:226], v[221:222], v[223:224]
	v_fma_f64 v[221:222], v[223:224], v[227:228], v[221:222]
	v_div_scale_f64 v[223:224], null, v[221:222], v[221:222], 1.0
	v_rcp_f64_e32 v[225:226], v[223:224]
	v_fma_f64 v[229:230], -v[223:224], v[225:226], 1.0
	v_fma_f64 v[225:226], v[225:226], v[229:230], v[225:226]
	v_fma_f64 v[229:230], -v[223:224], v[225:226], 1.0
	v_fma_f64 v[225:226], v[225:226], v[229:230], v[225:226]
	v_div_scale_f64 v[229:230], vcc_lo, 1.0, v[221:222], 1.0
	v_mul_f64 v[231:232], v[229:230], v[225:226]
	v_fma_f64 v[223:224], -v[223:224], v[231:232], v[229:230]
	v_div_fmas_f64 v[223:224], v[223:224], v[225:226], v[231:232]
	v_div_fixup_f64 v[225:226], v[223:224], v[221:222], 1.0
	v_mul_f64 v[227:228], v[227:228], -v[225:226]
.LBB103_430:
	s_or_b32 exec_lo, exec_lo, s1
	ds_write2_b64 v255, v[225:226], v[227:228] offset1:1
.LBB103_431:
	s_or_b32 exec_lo, exec_lo, s2
	s_waitcnt lgkmcnt(0)
	s_barrier
	buffer_gl0_inv
	ds_read2_b64 v[221:224], v255 offset1:1
	s_mov_b32 s1, exec_lo
	v_cmpx_lt_u32_e32 47, v0
	s_cbranch_execz .LBB103_433
; %bb.432:
	s_waitcnt lgkmcnt(0)
	v_mul_f64 v[225:226], v[221:222], v[19:20]
	v_mul_f64 v[19:20], v[223:224], v[19:20]
	v_fma_f64 v[229:230], v[223:224], v[17:18], v[225:226]
	ds_read2_b64 v[225:228], v253 offset0:96 offset1:97
	v_fma_f64 v[17:18], v[221:222], v[17:18], -v[19:20]
	s_waitcnt lgkmcnt(0)
	v_mul_f64 v[19:20], v[227:228], v[229:230]
	v_fma_f64 v[19:20], v[225:226], v[17:18], -v[19:20]
	v_mul_f64 v[225:226], v[225:226], v[229:230]
	v_add_f64 v[13:14], v[13:14], -v[19:20]
	v_fma_f64 v[225:226], v[227:228], v[17:18], v[225:226]
	v_add_f64 v[15:16], v[15:16], -v[225:226]
	ds_read2_b64 v[225:228], v253 offset0:98 offset1:99
	s_waitcnt lgkmcnt(0)
	v_mul_f64 v[19:20], v[227:228], v[229:230]
	v_fma_f64 v[19:20], v[225:226], v[17:18], -v[19:20]
	v_mul_f64 v[225:226], v[225:226], v[229:230]
	v_add_f64 v[9:10], v[9:10], -v[19:20]
	v_fma_f64 v[225:226], v[227:228], v[17:18], v[225:226]
	v_add_f64 v[11:12], v[11:12], -v[225:226]
	ds_read2_b64 v[225:228], v253 offset0:100 offset1:101
	s_waitcnt lgkmcnt(0)
	v_mul_f64 v[19:20], v[227:228], v[229:230]
	v_fma_f64 v[19:20], v[225:226], v[17:18], -v[19:20]
	v_mul_f64 v[225:226], v[225:226], v[229:230]
	v_add_f64 v[5:6], v[5:6], -v[19:20]
	v_fma_f64 v[225:226], v[227:228], v[17:18], v[225:226]
	v_add_f64 v[7:8], v[7:8], -v[225:226]
	ds_read2_b64 v[225:228], v253 offset0:102 offset1:103
	s_waitcnt lgkmcnt(0)
	v_mul_f64 v[19:20], v[227:228], v[229:230]
	v_fma_f64 v[19:20], v[225:226], v[17:18], -v[19:20]
	v_mul_f64 v[225:226], v[225:226], v[229:230]
	v_add_f64 v[1:2], v[1:2], -v[19:20]
	v_fma_f64 v[225:226], v[227:228], v[17:18], v[225:226]
	v_mov_b32_e32 v19, v229
	v_mov_b32_e32 v20, v230
	v_add_f64 v[3:4], v[3:4], -v[225:226]
.LBB103_433:
	s_or_b32 exec_lo, exec_lo, s1
	s_mov_b32 s2, exec_lo
	s_waitcnt lgkmcnt(0)
	s_barrier
	buffer_gl0_inv
	v_cmpx_eq_u32_e32 48, v0
	s_cbranch_execz .LBB103_440
; %bb.434:
	ds_write2_b64 v255, v[13:14], v[15:16] offset1:1
	ds_write2_b64 v253, v[9:10], v[11:12] offset0:98 offset1:99
	ds_write2_b64 v253, v[5:6], v[7:8] offset0:100 offset1:101
	;; [unrolled: 1-line block ×3, first 2 shown]
	ds_read2_b64 v[225:228], v255 offset1:1
	s_waitcnt lgkmcnt(0)
	v_cmp_neq_f64_e32 vcc_lo, 0, v[225:226]
	v_cmp_neq_f64_e64 s1, 0, v[227:228]
	s_or_b32 s1, vcc_lo, s1
	s_and_b32 exec_lo, exec_lo, s1
	s_cbranch_execz .LBB103_440
; %bb.435:
	v_cmp_ngt_f64_e64 s1, |v[225:226]|, |v[227:228]|
                                        ; implicit-def: $vgpr229_vgpr230
	s_and_saveexec_b32 s3, s1
	s_xor_b32 s1, exec_lo, s3
                                        ; implicit-def: $vgpr231_vgpr232
	s_cbranch_execz .LBB103_437
; %bb.436:
	v_div_scale_f64 v[229:230], null, v[227:228], v[227:228], v[225:226]
	v_div_scale_f64 v[235:236], vcc_lo, v[225:226], v[227:228], v[225:226]
	v_rcp_f64_e32 v[231:232], v[229:230]
	v_fma_f64 v[233:234], -v[229:230], v[231:232], 1.0
	v_fma_f64 v[231:232], v[231:232], v[233:234], v[231:232]
	v_fma_f64 v[233:234], -v[229:230], v[231:232], 1.0
	v_fma_f64 v[231:232], v[231:232], v[233:234], v[231:232]
	v_mul_f64 v[233:234], v[235:236], v[231:232]
	v_fma_f64 v[229:230], -v[229:230], v[233:234], v[235:236]
	v_div_fmas_f64 v[229:230], v[229:230], v[231:232], v[233:234]
	v_div_fixup_f64 v[229:230], v[229:230], v[227:228], v[225:226]
	v_fma_f64 v[225:226], v[225:226], v[229:230], v[227:228]
	v_div_scale_f64 v[227:228], null, v[225:226], v[225:226], 1.0
	v_rcp_f64_e32 v[231:232], v[227:228]
	v_fma_f64 v[233:234], -v[227:228], v[231:232], 1.0
	v_fma_f64 v[231:232], v[231:232], v[233:234], v[231:232]
	v_fma_f64 v[233:234], -v[227:228], v[231:232], 1.0
	v_fma_f64 v[231:232], v[231:232], v[233:234], v[231:232]
	v_div_scale_f64 v[233:234], vcc_lo, 1.0, v[225:226], 1.0
	v_mul_f64 v[235:236], v[233:234], v[231:232]
	v_fma_f64 v[227:228], -v[227:228], v[235:236], v[233:234]
	v_div_fmas_f64 v[227:228], v[227:228], v[231:232], v[235:236]
	v_div_fixup_f64 v[231:232], v[227:228], v[225:226], 1.0
                                        ; implicit-def: $vgpr225_vgpr226
	v_mul_f64 v[229:230], v[229:230], v[231:232]
	v_xor_b32_e32 v232, 0x80000000, v232
.LBB103_437:
	s_andn2_saveexec_b32 s1, s1
	s_cbranch_execz .LBB103_439
; %bb.438:
	v_div_scale_f64 v[229:230], null, v[225:226], v[225:226], v[227:228]
	v_div_scale_f64 v[235:236], vcc_lo, v[227:228], v[225:226], v[227:228]
	v_rcp_f64_e32 v[231:232], v[229:230]
	v_fma_f64 v[233:234], -v[229:230], v[231:232], 1.0
	v_fma_f64 v[231:232], v[231:232], v[233:234], v[231:232]
	v_fma_f64 v[233:234], -v[229:230], v[231:232], 1.0
	v_fma_f64 v[231:232], v[231:232], v[233:234], v[231:232]
	v_mul_f64 v[233:234], v[235:236], v[231:232]
	v_fma_f64 v[229:230], -v[229:230], v[233:234], v[235:236]
	v_div_fmas_f64 v[229:230], v[229:230], v[231:232], v[233:234]
	v_div_fixup_f64 v[231:232], v[229:230], v[225:226], v[227:228]
	v_fma_f64 v[225:226], v[227:228], v[231:232], v[225:226]
	v_div_scale_f64 v[227:228], null, v[225:226], v[225:226], 1.0
	v_rcp_f64_e32 v[229:230], v[227:228]
	v_fma_f64 v[233:234], -v[227:228], v[229:230], 1.0
	v_fma_f64 v[229:230], v[229:230], v[233:234], v[229:230]
	v_fma_f64 v[233:234], -v[227:228], v[229:230], 1.0
	v_fma_f64 v[229:230], v[229:230], v[233:234], v[229:230]
	v_div_scale_f64 v[233:234], vcc_lo, 1.0, v[225:226], 1.0
	v_mul_f64 v[235:236], v[233:234], v[229:230]
	v_fma_f64 v[227:228], -v[227:228], v[235:236], v[233:234]
	v_div_fmas_f64 v[227:228], v[227:228], v[229:230], v[235:236]
	v_div_fixup_f64 v[229:230], v[227:228], v[225:226], 1.0
	v_mul_f64 v[231:232], v[231:232], -v[229:230]
.LBB103_439:
	s_or_b32 exec_lo, exec_lo, s1
	ds_write2_b64 v255, v[229:230], v[231:232] offset1:1
.LBB103_440:
	s_or_b32 exec_lo, exec_lo, s2
	s_waitcnt lgkmcnt(0)
	s_barrier
	buffer_gl0_inv
	ds_read2_b64 v[225:228], v255 offset1:1
	s_mov_b32 s1, exec_lo
	v_cmpx_lt_u32_e32 48, v0
	s_cbranch_execz .LBB103_442
; %bb.441:
	s_waitcnt lgkmcnt(0)
	v_mul_f64 v[229:230], v[225:226], v[15:16]
	v_mul_f64 v[15:16], v[227:228], v[15:16]
	v_fma_f64 v[233:234], v[227:228], v[13:14], v[229:230]
	ds_read2_b64 v[229:232], v253 offset0:98 offset1:99
	v_fma_f64 v[13:14], v[225:226], v[13:14], -v[15:16]
	s_waitcnt lgkmcnt(0)
	v_mul_f64 v[15:16], v[231:232], v[233:234]
	v_fma_f64 v[15:16], v[229:230], v[13:14], -v[15:16]
	v_mul_f64 v[229:230], v[229:230], v[233:234]
	v_add_f64 v[9:10], v[9:10], -v[15:16]
	v_fma_f64 v[229:230], v[231:232], v[13:14], v[229:230]
	v_add_f64 v[11:12], v[11:12], -v[229:230]
	ds_read2_b64 v[229:232], v253 offset0:100 offset1:101
	s_waitcnt lgkmcnt(0)
	v_mul_f64 v[15:16], v[231:232], v[233:234]
	v_fma_f64 v[15:16], v[229:230], v[13:14], -v[15:16]
	v_mul_f64 v[229:230], v[229:230], v[233:234]
	v_add_f64 v[5:6], v[5:6], -v[15:16]
	v_fma_f64 v[229:230], v[231:232], v[13:14], v[229:230]
	v_add_f64 v[7:8], v[7:8], -v[229:230]
	ds_read2_b64 v[229:232], v253 offset0:102 offset1:103
	s_waitcnt lgkmcnt(0)
	v_mul_f64 v[15:16], v[231:232], v[233:234]
	v_fma_f64 v[15:16], v[229:230], v[13:14], -v[15:16]
	v_mul_f64 v[229:230], v[229:230], v[233:234]
	v_add_f64 v[1:2], v[1:2], -v[15:16]
	v_fma_f64 v[229:230], v[231:232], v[13:14], v[229:230]
	v_mov_b32_e32 v15, v233
	v_mov_b32_e32 v16, v234
	v_add_f64 v[3:4], v[3:4], -v[229:230]
.LBB103_442:
	s_or_b32 exec_lo, exec_lo, s1
	s_mov_b32 s2, exec_lo
	s_waitcnt lgkmcnt(0)
	s_barrier
	buffer_gl0_inv
	v_cmpx_eq_u32_e32 49, v0
	s_cbranch_execz .LBB103_449
; %bb.443:
	ds_write2_b64 v255, v[9:10], v[11:12] offset1:1
	ds_write2_b64 v253, v[5:6], v[7:8] offset0:100 offset1:101
	ds_write2_b64 v253, v[1:2], v[3:4] offset0:102 offset1:103
	ds_read2_b64 v[229:232], v255 offset1:1
	s_waitcnt lgkmcnt(0)
	v_cmp_neq_f64_e32 vcc_lo, 0, v[229:230]
	v_cmp_neq_f64_e64 s1, 0, v[231:232]
	s_or_b32 s1, vcc_lo, s1
	s_and_b32 exec_lo, exec_lo, s1
	s_cbranch_execz .LBB103_449
; %bb.444:
	v_cmp_ngt_f64_e64 s1, |v[229:230]|, |v[231:232]|
                                        ; implicit-def: $vgpr233_vgpr234
	s_and_saveexec_b32 s3, s1
	s_xor_b32 s1, exec_lo, s3
                                        ; implicit-def: $vgpr235_vgpr236
	s_cbranch_execz .LBB103_446
; %bb.445:
	v_div_scale_f64 v[233:234], null, v[231:232], v[231:232], v[229:230]
	v_div_scale_f64 v[239:240], vcc_lo, v[229:230], v[231:232], v[229:230]
	v_rcp_f64_e32 v[235:236], v[233:234]
	v_fma_f64 v[237:238], -v[233:234], v[235:236], 1.0
	v_fma_f64 v[235:236], v[235:236], v[237:238], v[235:236]
	v_fma_f64 v[237:238], -v[233:234], v[235:236], 1.0
	v_fma_f64 v[235:236], v[235:236], v[237:238], v[235:236]
	v_mul_f64 v[237:238], v[239:240], v[235:236]
	v_fma_f64 v[233:234], -v[233:234], v[237:238], v[239:240]
	v_div_fmas_f64 v[233:234], v[233:234], v[235:236], v[237:238]
	v_div_fixup_f64 v[233:234], v[233:234], v[231:232], v[229:230]
	v_fma_f64 v[229:230], v[229:230], v[233:234], v[231:232]
	v_div_scale_f64 v[231:232], null, v[229:230], v[229:230], 1.0
	v_rcp_f64_e32 v[235:236], v[231:232]
	v_fma_f64 v[237:238], -v[231:232], v[235:236], 1.0
	v_fma_f64 v[235:236], v[235:236], v[237:238], v[235:236]
	v_fma_f64 v[237:238], -v[231:232], v[235:236], 1.0
	v_fma_f64 v[235:236], v[235:236], v[237:238], v[235:236]
	v_div_scale_f64 v[237:238], vcc_lo, 1.0, v[229:230], 1.0
	v_mul_f64 v[239:240], v[237:238], v[235:236]
	v_fma_f64 v[231:232], -v[231:232], v[239:240], v[237:238]
	v_div_fmas_f64 v[231:232], v[231:232], v[235:236], v[239:240]
	v_div_fixup_f64 v[235:236], v[231:232], v[229:230], 1.0
                                        ; implicit-def: $vgpr229_vgpr230
	v_mul_f64 v[233:234], v[233:234], v[235:236]
	v_xor_b32_e32 v236, 0x80000000, v236
.LBB103_446:
	s_andn2_saveexec_b32 s1, s1
	s_cbranch_execz .LBB103_448
; %bb.447:
	v_div_scale_f64 v[233:234], null, v[229:230], v[229:230], v[231:232]
	v_div_scale_f64 v[239:240], vcc_lo, v[231:232], v[229:230], v[231:232]
	v_rcp_f64_e32 v[235:236], v[233:234]
	v_fma_f64 v[237:238], -v[233:234], v[235:236], 1.0
	v_fma_f64 v[235:236], v[235:236], v[237:238], v[235:236]
	v_fma_f64 v[237:238], -v[233:234], v[235:236], 1.0
	v_fma_f64 v[235:236], v[235:236], v[237:238], v[235:236]
	v_mul_f64 v[237:238], v[239:240], v[235:236]
	v_fma_f64 v[233:234], -v[233:234], v[237:238], v[239:240]
	v_div_fmas_f64 v[233:234], v[233:234], v[235:236], v[237:238]
	v_div_fixup_f64 v[235:236], v[233:234], v[229:230], v[231:232]
	v_fma_f64 v[229:230], v[231:232], v[235:236], v[229:230]
	v_div_scale_f64 v[231:232], null, v[229:230], v[229:230], 1.0
	v_rcp_f64_e32 v[233:234], v[231:232]
	v_fma_f64 v[237:238], -v[231:232], v[233:234], 1.0
	v_fma_f64 v[233:234], v[233:234], v[237:238], v[233:234]
	v_fma_f64 v[237:238], -v[231:232], v[233:234], 1.0
	v_fma_f64 v[233:234], v[233:234], v[237:238], v[233:234]
	v_div_scale_f64 v[237:238], vcc_lo, 1.0, v[229:230], 1.0
	v_mul_f64 v[239:240], v[237:238], v[233:234]
	v_fma_f64 v[231:232], -v[231:232], v[239:240], v[237:238]
	v_div_fmas_f64 v[231:232], v[231:232], v[233:234], v[239:240]
	v_div_fixup_f64 v[233:234], v[231:232], v[229:230], 1.0
	v_mul_f64 v[235:236], v[235:236], -v[233:234]
.LBB103_448:
	s_or_b32 exec_lo, exec_lo, s1
	ds_write2_b64 v255, v[233:234], v[235:236] offset1:1
.LBB103_449:
	s_or_b32 exec_lo, exec_lo, s2
	s_waitcnt lgkmcnt(0)
	s_barrier
	buffer_gl0_inv
	ds_read2_b64 v[229:232], v255 offset1:1
	s_mov_b32 s1, exec_lo
	v_cmpx_lt_u32_e32 49, v0
	s_cbranch_execz .LBB103_451
; %bb.450:
	s_waitcnt lgkmcnt(0)
	v_mul_f64 v[233:234], v[229:230], v[11:12]
	v_mul_f64 v[11:12], v[231:232], v[11:12]
	v_fma_f64 v[237:238], v[231:232], v[9:10], v[233:234]
	ds_read2_b64 v[233:236], v253 offset0:100 offset1:101
	v_fma_f64 v[9:10], v[229:230], v[9:10], -v[11:12]
	s_waitcnt lgkmcnt(0)
	v_mul_f64 v[11:12], v[235:236], v[237:238]
	v_fma_f64 v[11:12], v[233:234], v[9:10], -v[11:12]
	v_mul_f64 v[233:234], v[233:234], v[237:238]
	v_add_f64 v[5:6], v[5:6], -v[11:12]
	v_fma_f64 v[233:234], v[235:236], v[9:10], v[233:234]
	v_add_f64 v[7:8], v[7:8], -v[233:234]
	ds_read2_b64 v[233:236], v253 offset0:102 offset1:103
	s_waitcnt lgkmcnt(0)
	v_mul_f64 v[11:12], v[235:236], v[237:238]
	v_fma_f64 v[11:12], v[233:234], v[9:10], -v[11:12]
	v_mul_f64 v[233:234], v[233:234], v[237:238]
	v_add_f64 v[1:2], v[1:2], -v[11:12]
	v_fma_f64 v[233:234], v[235:236], v[9:10], v[233:234]
	v_mov_b32_e32 v11, v237
	v_mov_b32_e32 v12, v238
	v_add_f64 v[3:4], v[3:4], -v[233:234]
.LBB103_451:
	s_or_b32 exec_lo, exec_lo, s1
	s_mov_b32 s2, exec_lo
	s_waitcnt lgkmcnt(0)
	s_barrier
	buffer_gl0_inv
	v_cmpx_eq_u32_e32 50, v0
	s_cbranch_execz .LBB103_458
; %bb.452:
	ds_write2_b64 v255, v[5:6], v[7:8] offset1:1
	ds_write2_b64 v253, v[1:2], v[3:4] offset0:102 offset1:103
	ds_read2_b64 v[233:236], v255 offset1:1
	s_waitcnt lgkmcnt(0)
	v_cmp_neq_f64_e32 vcc_lo, 0, v[233:234]
	v_cmp_neq_f64_e64 s1, 0, v[235:236]
	s_or_b32 s1, vcc_lo, s1
	s_and_b32 exec_lo, exec_lo, s1
	s_cbranch_execz .LBB103_458
; %bb.453:
	v_cmp_ngt_f64_e64 s1, |v[233:234]|, |v[235:236]|
                                        ; implicit-def: $vgpr237_vgpr238
	s_and_saveexec_b32 s3, s1
	s_xor_b32 s1, exec_lo, s3
                                        ; implicit-def: $vgpr239_vgpr240
	s_cbranch_execz .LBB103_455
; %bb.454:
	v_div_scale_f64 v[237:238], null, v[235:236], v[235:236], v[233:234]
	v_rcp_f64_e32 v[239:240], v[237:238]
	v_fma_f64 v[205:206], -v[237:238], v[239:240], 1.0
	v_fma_f64 v[205:206], v[239:240], v[205:206], v[239:240]
	v_div_scale_f64 v[239:240], vcc_lo, v[233:234], v[235:236], v[233:234]
	v_fma_f64 v[207:208], -v[237:238], v[205:206], 1.0
	v_fma_f64 v[205:206], v[205:206], v[207:208], v[205:206]
	v_mul_f64 v[207:208], v[239:240], v[205:206]
	v_fma_f64 v[237:238], -v[237:238], v[207:208], v[239:240]
	v_div_fmas_f64 v[205:206], v[237:238], v[205:206], v[207:208]
	v_div_fixup_f64 v[205:206], v[205:206], v[235:236], v[233:234]
	v_fma_f64 v[207:208], v[233:234], v[205:206], v[235:236]
	v_div_scale_f64 v[233:234], null, v[207:208], v[207:208], 1.0
	v_rcp_f64_e32 v[235:236], v[233:234]
	v_fma_f64 v[237:238], -v[233:234], v[235:236], 1.0
	v_fma_f64 v[235:236], v[235:236], v[237:238], v[235:236]
	v_fma_f64 v[237:238], -v[233:234], v[235:236], 1.0
	v_fma_f64 v[235:236], v[235:236], v[237:238], v[235:236]
	v_div_scale_f64 v[237:238], vcc_lo, 1.0, v[207:208], 1.0
	v_mul_f64 v[239:240], v[237:238], v[235:236]
	v_fma_f64 v[233:234], -v[233:234], v[239:240], v[237:238]
	v_div_fmas_f64 v[233:234], v[233:234], v[235:236], v[239:240]
	v_div_fixup_f64 v[239:240], v[233:234], v[207:208], 1.0
                                        ; implicit-def: $vgpr233_vgpr234
	v_mul_f64 v[237:238], v[205:206], v[239:240]
	v_xor_b32_e32 v240, 0x80000000, v240
.LBB103_455:
	s_andn2_saveexec_b32 s1, s1
	s_cbranch_execz .LBB103_457
; %bb.456:
	v_div_scale_f64 v[205:206], null, v[233:234], v[233:234], v[235:236]
	v_div_scale_f64 v[239:240], vcc_lo, v[235:236], v[233:234], v[235:236]
	v_rcp_f64_e32 v[207:208], v[205:206]
	v_fma_f64 v[237:238], -v[205:206], v[207:208], 1.0
	v_fma_f64 v[207:208], v[207:208], v[237:238], v[207:208]
	v_fma_f64 v[237:238], -v[205:206], v[207:208], 1.0
	v_fma_f64 v[207:208], v[207:208], v[237:238], v[207:208]
	v_mul_f64 v[237:238], v[239:240], v[207:208]
	v_fma_f64 v[205:206], -v[205:206], v[237:238], v[239:240]
	v_div_fmas_f64 v[205:206], v[205:206], v[207:208], v[237:238]
	v_div_fixup_f64 v[205:206], v[205:206], v[233:234], v[235:236]
	v_fma_f64 v[207:208], v[235:236], v[205:206], v[233:234]
	v_div_scale_f64 v[233:234], null, v[207:208], v[207:208], 1.0
	v_rcp_f64_e32 v[235:236], v[233:234]
	v_fma_f64 v[237:238], -v[233:234], v[235:236], 1.0
	v_fma_f64 v[235:236], v[235:236], v[237:238], v[235:236]
	v_fma_f64 v[237:238], -v[233:234], v[235:236], 1.0
	v_fma_f64 v[235:236], v[235:236], v[237:238], v[235:236]
	v_div_scale_f64 v[237:238], vcc_lo, 1.0, v[207:208], 1.0
	v_mul_f64 v[239:240], v[237:238], v[235:236]
	v_fma_f64 v[233:234], -v[233:234], v[239:240], v[237:238]
	v_div_fmas_f64 v[233:234], v[233:234], v[235:236], v[239:240]
	v_div_fixup_f64 v[237:238], v[233:234], v[207:208], 1.0
	v_mul_f64 v[239:240], v[205:206], -v[237:238]
.LBB103_457:
	s_or_b32 exec_lo, exec_lo, s1
	ds_write2_b64 v255, v[237:238], v[239:240] offset1:1
.LBB103_458:
	s_or_b32 exec_lo, exec_lo, s2
	s_waitcnt lgkmcnt(0)
	s_barrier
	buffer_gl0_inv
	ds_read2_b64 v[233:236], v255 offset1:1
	s_mov_b32 s1, exec_lo
	v_cmpx_lt_u32_e32 50, v0
	s_cbranch_execz .LBB103_460
; %bb.459:
	s_waitcnt lgkmcnt(0)
	v_mul_f64 v[205:206], v[233:234], v[7:8]
	v_mul_f64 v[7:8], v[235:236], v[7:8]
	ds_read2_b64 v[237:240], v253 offset0:102 offset1:103
	v_fma_f64 v[205:206], v[235:236], v[5:6], v[205:206]
	v_fma_f64 v[5:6], v[233:234], v[5:6], -v[7:8]
	s_waitcnt lgkmcnt(0)
	v_mul_f64 v[7:8], v[239:240], v[205:206]
	v_mul_f64 v[207:208], v[237:238], v[205:206]
	v_fma_f64 v[7:8], v[237:238], v[5:6], -v[7:8]
	v_fma_f64 v[207:208], v[239:240], v[5:6], v[207:208]
	v_add_f64 v[1:2], v[1:2], -v[7:8]
	v_add_f64 v[3:4], v[3:4], -v[207:208]
	v_mov_b32_e32 v7, v205
	v_mov_b32_e32 v8, v206
.LBB103_460:
	s_or_b32 exec_lo, exec_lo, s1
	s_mov_b32 s2, exec_lo
	s_waitcnt lgkmcnt(0)
	s_barrier
	buffer_gl0_inv
	v_cmpx_eq_u32_e32 51, v0
	s_cbranch_execz .LBB103_467
; %bb.461:
	v_cmp_neq_f64_e32 vcc_lo, 0, v[1:2]
	v_cmp_neq_f64_e64 s1, 0, v[3:4]
	ds_write2_b64 v255, v[1:2], v[3:4] offset1:1
	s_or_b32 s1, vcc_lo, s1
	s_and_b32 exec_lo, exec_lo, s1
	s_cbranch_execz .LBB103_467
; %bb.462:
	v_cmp_ngt_f64_e64 s1, |v[1:2]|, |v[3:4]|
                                        ; implicit-def: $vgpr237_vgpr238
	s_mov_b32 s3, exec_lo
	s_and_b32 s4, s3, s1
                                        ; implicit-def: $vgpr239_vgpr240
	buffer_store_dword v225, off, s[16:19], 0 offset:1112 ; 4-byte Folded Spill
	buffer_store_dword v226, off, s[16:19], 0 offset:1116 ; 4-byte Folded Spill
	;; [unrolled: 1-line block ×4, first 2 shown]
	s_xor_b32 s1, s4, s3
	s_mov_b32 exec_lo, s4
	s_cbranch_execz .LBB103_464
; %bb.463:
	v_div_scale_f64 v[205:206], null, v[3:4], v[3:4], v[1:2]
	v_div_scale_f64 v[239:240], vcc_lo, v[1:2], v[3:4], v[1:2]
	v_mov_b32_e32 v228, v224
	v_mov_b32_e32 v227, v223
	;; [unrolled: 1-line block ×8, first 2 shown]
	v_rcp_f64_e32 v[207:208], v[205:206]
	v_fma_f64 v[237:238], -v[205:206], v[207:208], 1.0
	v_fma_f64 v[207:208], v[207:208], v[237:238], v[207:208]
	v_fma_f64 v[237:238], -v[205:206], v[207:208], 1.0
	v_fma_f64 v[207:208], v[207:208], v[237:238], v[207:208]
	v_mul_f64 v[237:238], v[239:240], v[207:208]
	v_fma_f64 v[205:206], -v[205:206], v[237:238], v[239:240]
	v_div_fmas_f64 v[205:206], v[205:206], v[207:208], v[237:238]
	v_div_fixup_f64 v[205:206], v[205:206], v[3:4], v[1:2]
	v_fma_f64 v[207:208], v[1:2], v[205:206], v[3:4]
	v_mov_b32_e32 v1, v217
	v_mov_b32_e32 v2, v218
	;; [unrolled: 1-line block ×21, first 2 shown]
	v_div_scale_f64 v[237:238], null, v[207:208], v[207:208], 1.0
	v_mov_b32_e32 v18, v22
	v_mov_b32_e32 v19, v23
	;; [unrolled: 1-line block ×20, first 2 shown]
	v_rcp_f64_e32 v[239:240], v[237:238]
	v_mov_b32_e32 v38, v42
	v_mov_b32_e32 v39, v43
	;; [unrolled: 1-line block ×23, first 2 shown]
	v_fma_f64 v[253:254], -v[237:238], v[239:240], 1.0
	v_mov_b32_e32 v61, v65
	v_mov_b32_e32 v62, v66
	;; [unrolled: 1-line block ×21, first 2 shown]
	v_fma_f64 v[239:240], v[239:240], v[253:254], v[239:240]
	v_mov_b32_e32 v78, v82
	v_mov_b32_e32 v79, v83
	;; [unrolled: 1-line block ×21, first 2 shown]
	v_fma_f64 v[253:254], -v[237:238], v[239:240], 1.0
	v_mov_b32_e32 v99, v103
	v_mov_b32_e32 v100, v104
	;; [unrolled: 1-line block ×27, first 2 shown]
	v_fma_f64 v[239:240], v[239:240], v[253:254], v[239:240]
	v_div_scale_f64 v[253:254], vcc_lo, 1.0, v[207:208], 1.0
	v_mov_b32_e32 v122, v126
	v_mov_b32_e32 v123, v127
	;; [unrolled: 1-line block ×91, first 2 shown]
	v_mul_f64 v[241:242], v[253:254], v[239:240]
	v_fma_f64 v[237:238], -v[237:238], v[241:242], v[253:254]
	v_div_fmas_f64 v[237:238], v[237:238], v[239:240], v[241:242]
	v_mov_b32_e32 v244, v200
	v_mov_b32_e32 v243, v199
	;; [unrolled: 1-line block ×232, first 2 shown]
	s_clause 0x3
	buffer_load_dword v225, off, s[16:19], 0 offset:1112
	buffer_load_dword v226, off, s[16:19], 0 offset:1116
	;; [unrolled: 1-line block ×4, first 2 shown]
	v_div_fixup_f64 v[239:240], v[237:238], v[207:208], 1.0
	v_mul_f64 v[237:238], v[205:206], v[239:240]
	v_xor_b32_e32 v240, 0x80000000, v240
.LBB103_464:
	s_andn2_saveexec_b32 s1, s1
	s_cbranch_execz .LBB103_466
; %bb.465:
	v_div_scale_f64 v[205:206], null, v[1:2], v[1:2], v[3:4]
	v_div_scale_f64 v[239:240], vcc_lo, v[3:4], v[1:2], v[3:4]
	s_waitcnt vmcnt(0)
	v_mov_b32_e32 v228, v224
	v_mov_b32_e32 v227, v223
	;; [unrolled: 1-line block ×8, first 2 shown]
	v_rcp_f64_e32 v[207:208], v[205:206]
	v_fma_f64 v[237:238], -v[205:206], v[207:208], 1.0
	v_fma_f64 v[207:208], v[207:208], v[237:238], v[207:208]
	v_fma_f64 v[237:238], -v[205:206], v[207:208], 1.0
	v_fma_f64 v[207:208], v[207:208], v[237:238], v[207:208]
	v_mul_f64 v[237:238], v[239:240], v[207:208]
	v_fma_f64 v[205:206], -v[205:206], v[237:238], v[239:240]
	v_div_fmas_f64 v[205:206], v[205:206], v[207:208], v[237:238]
	v_div_fixup_f64 v[205:206], v[205:206], v[1:2], v[3:4]
	v_fma_f64 v[207:208], v[3:4], v[205:206], v[1:2]
	v_mov_b32_e32 v1, v217
	v_mov_b32_e32 v2, v218
	;; [unrolled: 1-line block ×37, first 2 shown]
	v_div_scale_f64 v[237:238], null, v[207:208], v[207:208], 1.0
	v_mov_b32_e32 v34, v38
	v_mov_b32_e32 v35, v39
	;; [unrolled: 1-line block ×88, first 2 shown]
	v_rcp_f64_e32 v[239:240], v[237:238]
	v_mov_b32_e32 v211, v119
	v_mov_b32_e32 v210, v118
	;; [unrolled: 1-line block ×99, first 2 shown]
	v_fma_f64 v[241:242], -v[237:238], v[239:240], 1.0
	v_fma_f64 v[239:240], v[239:240], v[241:242], v[239:240]
	v_fma_f64 v[241:242], -v[237:238], v[239:240], 1.0
	v_fma_f64 v[239:240], v[239:240], v[241:242], v[239:240]
	v_div_scale_f64 v[241:242], vcc_lo, 1.0, v[207:208], 1.0
	v_mul_f64 v[243:244], v[241:242], v[239:240]
	v_fma_f64 v[237:238], -v[237:238], v[243:244], v[241:242]
	v_div_fmas_f64 v[237:238], v[237:238], v[239:240], v[243:244]
	v_mov_b32_e32 v244, v200
	v_mov_b32_e32 v243, v199
	;; [unrolled: 1-line block ×232, first 2 shown]
	s_clause 0x3
	buffer_load_dword v225, off, s[16:19], 0 offset:1112
	buffer_load_dword v226, off, s[16:19], 0 offset:1116
	;; [unrolled: 1-line block ×4, first 2 shown]
	v_div_fixup_f64 v[237:238], v[237:238], v[207:208], 1.0
	v_mul_f64 v[239:240], v[205:206], -v[237:238]
.LBB103_466:
	s_or_b32 exec_lo, exec_lo, s1
	ds_write2_b64 v255, v[237:238], v[239:240] offset1:1
.LBB103_467:
	s_or_b32 exec_lo, exec_lo, s2
	s_waitcnt vmcnt(0) lgkmcnt(0)
	s_waitcnt_vscnt null, 0x0
	s_barrier
	buffer_gl0_inv
	ds_read2_b64 v[237:240], v255 offset1:1
	s_mov_b32 s1, exec_lo
	v_cmpx_lt_u32_e32 51, v0
	s_cbranch_execz .LBB103_469
; %bb.468:
	s_waitcnt lgkmcnt(0)
	v_mul_f64 v[205:206], v[239:240], v[3:4]
	v_mul_f64 v[3:4], v[237:238], v[3:4]
	v_fma_f64 v[205:206], v[237:238], v[1:2], -v[205:206]
	v_fma_f64 v[3:4], v[239:240], v[1:2], v[3:4]
	v_mov_b32_e32 v1, v205
	v_mov_b32_e32 v2, v206
.LBB103_469:
	s_or_b32 exec_lo, exec_lo, s1
	s_waitcnt lgkmcnt(0)
	s_barrier
	buffer_gl0_inv
	s_and_saveexec_b32 s8, s0
	s_cbranch_execz .LBB103_472
; %bb.470:
	buffer_store_dword v121, off, s[16:19], 0 offset:1096 ; 4-byte Folded Spill
	buffer_store_dword v122, off, s[16:19], 0 offset:1100 ; 4-byte Folded Spill
	;; [unrolled: 1-line block ×4, first 2 shown]
	v_mov_b32_e32 v121, v125
	v_mov_b32_e32 v122, v126
	;; [unrolled: 1-line block ×84, first 2 shown]
	s_clause 0x3
	buffer_load_dword v203, off, s[16:19], 0 offset:424
	buffer_load_dword v204, off, s[16:19], 0 offset:428
	;; [unrolled: 1-line block ×4, first 2 shown]
	s_waitcnt vmcnt(2)
	v_cmp_eq_f64_e32 vcc_lo, 0, v[203:204]
	s_waitcnt vmcnt(0)
	v_cmp_eq_f64_e64 s0, 0, v[205:206]
	s_clause 0x3
	buffer_load_dword v203, off, s[16:19], 0 offset:440
	buffer_load_dword v204, off, s[16:19], 0 offset:444
	buffer_load_dword v205, off, s[16:19], 0 offset:448
	buffer_load_dword v206, off, s[16:19], 0 offset:452
	s_and_b32 s0, vcc_lo, s0
	v_cndmask_b32_e64 v0, 0, 1, s0
	s_waitcnt vmcnt(2)
	v_cmp_neq_f64_e64 s1, 0, v[203:204]
	s_waitcnt vmcnt(0)
	v_cmp_neq_f64_e64 s2, 0, v[205:206]
	s_clause 0x3
	buffer_load_dword v203, off, s[16:19], 0 offset:456
	buffer_load_dword v204, off, s[16:19], 0 offset:460
	;; [unrolled: 1-line block ×4, first 2 shown]
	s_or_b32 s1, s1, s2
	s_or_b32 s0, s1, s0
	v_cndmask_b32_e64 v0, 2, v0, s0
	v_cmp_eq_u32_e64 s0, 0, v0
	s_waitcnt vmcnt(2)
	v_cmp_eq_f64_e64 s3, 0, v[203:204]
	s_waitcnt vmcnt(0)
	v_cmp_eq_f64_e64 s4, 0, v[205:206]
	s_clause 0x3
	buffer_load_dword v203, off, s[16:19], 0 offset:472
	buffer_load_dword v204, off, s[16:19], 0 offset:476
	;; [unrolled: 1-line block ×4, first 2 shown]
	s_and_b32 s3, s3, s4
	s_and_b32 s0, s3, s0
	v_cndmask_b32_e64 v0, v0, 3, s0
	v_cmp_eq_u32_e64 s0, 0, v0
	s_waitcnt vmcnt(2)
	v_cmp_eq_f64_e64 s5, 0, v[203:204]
	s_waitcnt vmcnt(0)
	v_cmp_eq_f64_e32 vcc_lo, 0, v[205:206]
	s_clause 0x3
	buffer_load_dword v203, off, s[16:19], 0 offset:488
	buffer_load_dword v204, off, s[16:19], 0 offset:492
	;; [unrolled: 1-line block ×4, first 2 shown]
	s_and_b32 s5, s5, vcc_lo
	s_and_b32 s0, s5, s0
	v_cndmask_b32_e64 v0, v0, 4, s0
	v_cmp_eq_u32_e32 vcc_lo, 0, v0
	s_waitcnt vmcnt(2)
	v_cmp_eq_f64_e64 s1, 0, v[203:204]
	s_waitcnt vmcnt(0)
	v_cmp_eq_f64_e64 s2, 0, v[205:206]
	s_clause 0x3
	buffer_load_dword v203, off, s[16:19], 0 offset:504
	buffer_load_dword v204, off, s[16:19], 0 offset:508
	buffer_load_dword v205, off, s[16:19], 0 offset:512
	buffer_load_dword v206, off, s[16:19], 0 offset:516
	s_and_b32 s1, s1, s2
	s_and_b32 s1, s1, vcc_lo
	v_cndmask_b32_e64 v0, v0, 5, s1
	v_cmp_eq_u32_e32 vcc_lo, 0, v0
	s_waitcnt vmcnt(2)
	v_cmp_eq_f64_e64 s3, 0, v[203:204]
	s_waitcnt vmcnt(0)
	v_cmp_eq_f64_e64 s4, 0, v[205:206]
	s_clause 0x3
	buffer_load_dword v203, off, s[16:19], 0 offset:520
	buffer_load_dword v204, off, s[16:19], 0 offset:524
	buffer_load_dword v205, off, s[16:19], 0 offset:528
	buffer_load_dword v206, off, s[16:19], 0 offset:532
	s_and_b32 s3, s3, s4
	s_and_b32 s3, s3, vcc_lo
	;; [unrolled: 13-line block ×18, first 2 shown]
	v_cndmask_b32_e64 v0, v0, 22, s0
	v_cmp_eq_u32_e64 s3, 0, v0
	s_waitcnt vmcnt(2)
	v_cmp_eq_f64_e64 s6, 0, v[203:204]
	s_waitcnt vmcnt(0)
	v_cmp_eq_f64_e64 s7, 0, v[205:206]
	s_clause 0x3
	buffer_load_dword v203, off, s[16:19], 0 offset:792
	buffer_load_dword v204, off, s[16:19], 0 offset:796
	;; [unrolled: 1-line block ×4, first 2 shown]
	s_and_b32 s5, s6, s7
	s_and_b32 s3, s5, s3
	v_cndmask_b32_e64 v0, v0, 23, s3
	v_cmp_eq_u32_e64 s3, 0, v0
	s_waitcnt vmcnt(2)
	v_cmp_eq_f64_e64 s1, 0, v[203:204]
	s_clause 0x1
	buffer_load_dword v203, off, s[16:19], 0 offset:1088
	buffer_load_dword v204, off, s[16:19], 0 offset:1092
	s_waitcnt vmcnt(2)
	v_cmp_eq_f64_e64 s2, 0, v[205:206]
	s_and_b32 s1, s1, s2
	v_cmp_eq_f64_e64 s2, 0, v[193:194]
	s_and_b32 s1, s1, s3
	v_cmp_eq_f64_e64 s3, 0, v[195:196]
	v_cndmask_b32_e64 v0, v0, 24, s1
	v_mov_b32_e32 v196, v192
	v_mov_b32_e32 v195, v191
	;; [unrolled: 1-line block ×4, first 2 shown]
	v_cmp_eq_u32_e64 s1, 0, v0
	v_mov_b32_e32 v192, v188
	v_mov_b32_e32 v191, v187
	;; [unrolled: 1-line block ×12, first 2 shown]
	s_and_b32 s2, s2, s3
	s_waitcnt vmcnt(0)
	v_lshlrev_b64 v[205:206], 2, v[203:204]
	v_mov_b32_e32 v204, v200
	v_mov_b32_e32 v203, v199
	;; [unrolled: 1-line block ×8, first 2 shown]
	s_clause 0x3
	buffer_load_dword v241, off, s[16:19], 0 offset:808
	buffer_load_dword v242, off, s[16:19], 0 offset:812
	;; [unrolled: 1-line block ×4, first 2 shown]
	v_add_co_u32 v253, s4, s10, v205
	v_add_co_ci_u32_e64 v254, null, s11, v206, s4
	v_cmp_eq_f64_e64 s4, 0, v[197:198]
	v_cmp_eq_f64_e64 s5, 0, v[199:200]
	v_mov_b32_e32 v197, v201
	global_load_dword v205, v[253:254], off
	v_mov_b32_e32 v198, v202
	v_mov_b32_e32 v199, v203
	;; [unrolled: 1-line block ×3, first 2 shown]
	s_and_b32 s4, s4, s5
	v_cmp_eq_f64_e64 s5, 0, v[151:152]
	s_waitcnt vmcnt(3)
	v_cmp_eq_f64_e32 vcc_lo, 0, v[241:242]
	s_waitcnt vmcnt(1)
	v_cmp_eq_f64_e64 s0, 0, v[243:244]
	s_and_b32 s0, vcc_lo, s0
	s_and_b32 s0, s0, s1
	v_cmp_eq_f64_e64 s1, 0, v[179:180]
	v_cndmask_b32_e64 v0, v0, 25, s0
	v_cmp_eq_f64_e64 s0, 0, v[177:178]
	v_mov_b32_e32 v180, v176
	v_mov_b32_e32 v179, v175
	;; [unrolled: 1-line block ×3, first 2 shown]
	v_cmp_eq_u32_e32 vcc_lo, 0, v0
	v_mov_b32_e32 v177, v173
	v_mov_b32_e32 v176, v172
	;; [unrolled: 1-line block ×4, first 2 shown]
	s_and_b32 s4, s4, vcc_lo
	v_mov_b32_e32 v173, v169
	v_cndmask_b32_e64 v0, v0, 26, s4
	v_cmp_eq_f64_e64 s4, 0, v[149:150]
	v_mov_b32_e32 v152, v148
	v_mov_b32_e32 v151, v147
	;; [unrolled: 1-line block ×28, first 2 shown]
	s_clause 0x7
	buffer_load_dword v121, off, s[16:19], 0 offset:1096
	buffer_load_dword v122, off, s[16:19], 0 offset:1100
	;; [unrolled: 1-line block ×8, first 2 shown]
	v_cmp_eq_u32_e32 vcc_lo, 0, v0
	s_and_b32 s0, s0, s1
	s_and_b32 s4, s4, s5
	v_mov_b32_e32 v172, v168
	v_mov_b32_e32 v171, v167
	s_and_b32 s2, s2, vcc_lo
	v_mov_b32_e32 v170, v166
	v_cndmask_b32_e64 v0, v0, 27, s2
	v_mov_b32_e32 v169, v165
	v_mov_b32_e32 v168, v164
	v_mov_b32_e32 v167, v163
	v_mov_b32_e32 v166, v162
	v_cmp_eq_u32_e32 vcc_lo, 0, v0
	v_mov_b32_e32 v165, v161
	v_mov_b32_e32 v164, v160
	;; [unrolled: 1-line block ×4, first 2 shown]
	s_and_b32 s0, s0, vcc_lo
	v_mov_b32_e32 v161, v157
	v_cndmask_b32_e64 v0, v0, 28, s0
	v_mov_b32_e32 v160, v156
	v_mov_b32_e32 v159, v155
	;; [unrolled: 1-line block ×4, first 2 shown]
	v_cmp_eq_u32_e32 vcc_lo, 0, v0
	v_mov_b32_e32 v153, v249
	v_mov_b32_e32 v154, v250
	;; [unrolled: 1-line block ×4, first 2 shown]
	s_and_b32 s4, s4, vcc_lo
	v_cndmask_b32_e64 v0, v0, 29, s4
	v_cmp_eq_u32_e32 vcc_lo, 0, v0
	s_waitcnt vmcnt(2)
	v_cmp_eq_f64_e64 s2, 0, v[201:202]
	s_waitcnt vmcnt(0)
	v_cmp_eq_f64_e64 s3, 0, v[203:204]
	s_clause 0x3
	buffer_load_dword v201, off, s[16:19], 0 offset:864
	buffer_load_dword v202, off, s[16:19], 0 offset:868
	buffer_load_dword v203, off, s[16:19], 0 offset:872
	buffer_load_dword v204, off, s[16:19], 0 offset:876
	s_and_b32 s2, s2, s3
	s_and_b32 s2, s2, vcc_lo
	v_cndmask_b32_e64 v0, v0, 30, s2
	v_cmp_eq_u32_e32 vcc_lo, 0, v0
	s_waitcnt vmcnt(2)
	v_cmp_eq_f64_e64 s0, 0, v[201:202]
	s_waitcnt vmcnt(0)
	v_cmp_eq_f64_e64 s1, 0, v[203:204]
	s_clause 0x3
	buffer_load_dword v201, off, s[16:19], 0 offset:880
	buffer_load_dword v202, off, s[16:19], 0 offset:884
	buffer_load_dword v203, off, s[16:19], 0 offset:888
	buffer_load_dword v204, off, s[16:19], 0 offset:892
	s_and_b32 s0, s0, s1
	;; [unrolled: 13-line block ×13, first 2 shown]
	v_cmp_eq_f64_e64 s3, 0, v[211:212]
	s_and_b32 s2, s2, vcc_lo
	v_cndmask_b32_e64 v0, v0, 42, s2
	v_cmp_eq_f64_e64 s2, 0, v[209:210]
	v_cmp_eq_u32_e32 vcc_lo, 0, v0
	s_and_b32 s2, s2, s3
	v_cmp_eq_f64_e64 s3, 0, v[223:224]
	s_waitcnt vmcnt(2)
	v_cmp_eq_f64_e64 s0, 0, v[201:202]
	s_waitcnt vmcnt(0)
	v_cmp_eq_f64_e64 s1, 0, v[203:204]
	s_clause 0x3
	buffer_load_dword v201, off, s[16:19], 0 offset:1072
	buffer_load_dword v202, off, s[16:19], 0 offset:1076
	;; [unrolled: 1-line block ×4, first 2 shown]
	s_and_b32 s0, s0, s1
	v_cmp_eq_f64_e64 s1, 0, v[215:216]
	s_and_b32 s0, s0, vcc_lo
	v_cndmask_b32_e64 v0, v0, 43, s0
	v_cmp_eq_f64_e64 s0, 0, v[213:214]
	v_cmp_eq_u32_e32 vcc_lo, 0, v0
	s_and_b32 s0, s0, s1
	v_cmp_eq_f64_e64 s1, 0, v[227:228]
	s_waitcnt vmcnt(2)
	v_cmp_eq_f64_e64 s4, 0, v[201:202]
	s_waitcnt vmcnt(0)
	v_cmp_eq_f64_e64 s5, 0, v[203:204]
	s_and_b32 s4, s4, s5
	v_cmp_eq_f64_e64 s5, 0, v[219:220]
	s_and_b32 s4, s4, vcc_lo
	v_cndmask_b32_e64 v0, v0, 44, s4
	v_cmp_eq_f64_e64 s4, 0, v[217:218]
	v_cmp_eq_u32_e32 vcc_lo, 0, v0
	s_and_b32 s2, s2, vcc_lo
	v_cndmask_b32_e64 v0, v0, 45, s2
	v_cmp_eq_f64_e64 s2, 0, v[221:222]
	v_cmp_eq_u32_e32 vcc_lo, 0, v0
	s_and_b32 s0, s0, vcc_lo
	s_and_b32 s4, s4, s5
	v_cndmask_b32_e64 v0, v0, 46, s0
	v_cmp_eq_f64_e64 s0, 0, v[225:226]
	v_cmp_eq_f64_e64 s5, 0, v[231:232]
	v_cmp_eq_u32_e32 vcc_lo, 0, v0
	s_and_b32 s4, s4, vcc_lo
	s_and_b32 s2, s2, s3
	v_cndmask_b32_e64 v0, v0, 47, s4
	v_cmp_eq_f64_e64 s4, 0, v[229:230]
	;; [unrolled: 6-line block ×4, first 2 shown]
	v_cmp_eq_u32_e32 vcc_lo, 0, v0
	s_and_b32 s4, s4, vcc_lo
	s_and_b32 s2, s2, s3
	v_cndmask_b32_e64 v0, v0, 50, s4
	v_cmp_eq_u32_e32 vcc_lo, 0, v0
	s_and_b32 s2, s2, vcc_lo
	s_and_b32 s0, s0, s1
	v_cndmask_b32_e64 v0, v0, 51, s2
	v_cmp_eq_u32_e32 vcc_lo, 0, v0
	s_and_b32 s0, s0, vcc_lo
	v_cmp_eq_u32_e32 vcc_lo, 0, v205
	v_cndmask_b32_e64 v0, v0, 52, s0
	v_cmp_ne_u32_e64 s0, 0, v0
	s_and_b32 s0, vcc_lo, s0
	s_and_b32 exec_lo, exec_lo, s0
	s_cbranch_execz .LBB103_472
; %bb.471:
	v_add_nc_u32_e32 v0, s13, v0
	global_store_dword v[253:254], v0, off
.LBB103_472:
	s_or_b32 exec_lo, exec_lo, s8
	s_clause 0x5
	buffer_load_dword v203, off, s[16:19], 0 offset:408
	buffer_load_dword v204, off, s[16:19], 0 offset:412
	;; [unrolled: 1-line block ×6, first 2 shown]
	s_waitcnt vmcnt(0)
	global_store_dwordx4 v[203:204], v[205:208], off
	s_clause 0x5
	buffer_load_dword v203, off, s[16:19], 0 offset:416
	buffer_load_dword v204, off, s[16:19], 0 offset:420
	buffer_load_dword v205, off, s[16:19], 0
	buffer_load_dword v206, off, s[16:19], 0 offset:4
	buffer_load_dword v207, off, s[16:19], 0 offset:8
	buffer_load_dword v208, off, s[16:19], 0 offset:12
	s_waitcnt vmcnt(0)
	global_store_dwordx4 v[203:204], v[205:208], off
	s_clause 0x1
	buffer_load_dword v203, off, s[16:19], 0 offset:32
	buffer_load_dword v204, off, s[16:19], 0 offset:36
	s_waitcnt vmcnt(0)
	global_store_dwordx4 v[203:204], v[197:200], off
	s_clause 0x1
	buffer_load_dword v197, off, s[16:19], 0 offset:832
	buffer_load_dword v198, off, s[16:19], 0 offset:836
	;; [unrolled: 5-line block ×50, first 2 shown]
	s_waitcnt vmcnt(0)
	global_store_dwordx4 v[5:6], v[1:4], off
.LBB103_473:
	s_endpgm
	.section	.rodata,"a",@progbits
	.p2align	6, 0x0
	.amdhsa_kernel _ZN9rocsolver6v33100L23getf2_npvt_small_kernelILi52E19rocblas_complex_numIdEiiPS3_EEvT1_T3_lS5_lPT2_S5_S5_
		.amdhsa_group_segment_fixed_size 0
		.amdhsa_private_segment_fixed_size 1132
		.amdhsa_kernarg_size 312
		.amdhsa_user_sgpr_count 6
		.amdhsa_user_sgpr_private_segment_buffer 1
		.amdhsa_user_sgpr_dispatch_ptr 0
		.amdhsa_user_sgpr_queue_ptr 0
		.amdhsa_user_sgpr_kernarg_segment_ptr 1
		.amdhsa_user_sgpr_dispatch_id 0
		.amdhsa_user_sgpr_flat_scratch_init 0
		.amdhsa_user_sgpr_private_segment_size 0
		.amdhsa_wavefront_size32 1
		.amdhsa_uses_dynamic_stack 0
		.amdhsa_system_sgpr_private_segment_wavefront_offset 1
		.amdhsa_system_sgpr_workgroup_id_x 1
		.amdhsa_system_sgpr_workgroup_id_y 1
		.amdhsa_system_sgpr_workgroup_id_z 0
		.amdhsa_system_sgpr_workgroup_info 0
		.amdhsa_system_vgpr_workitem_id 1
		.amdhsa_next_free_vgpr 256
		.amdhsa_next_free_sgpr 22
		.amdhsa_reserve_vcc 1
		.amdhsa_reserve_flat_scratch 0
		.amdhsa_float_round_mode_32 0
		.amdhsa_float_round_mode_16_64 0
		.amdhsa_float_denorm_mode_32 3
		.amdhsa_float_denorm_mode_16_64 3
		.amdhsa_dx10_clamp 1
		.amdhsa_ieee_mode 1
		.amdhsa_fp16_overflow 0
		.amdhsa_workgroup_processor_mode 1
		.amdhsa_memory_ordered 1
		.amdhsa_forward_progress 1
		.amdhsa_shared_vgpr_count 0
		.amdhsa_exception_fp_ieee_invalid_op 0
		.amdhsa_exception_fp_denorm_src 0
		.amdhsa_exception_fp_ieee_div_zero 0
		.amdhsa_exception_fp_ieee_overflow 0
		.amdhsa_exception_fp_ieee_underflow 0
		.amdhsa_exception_fp_ieee_inexact 0
		.amdhsa_exception_int_div_zero 0
	.end_amdhsa_kernel
	.section	.text._ZN9rocsolver6v33100L23getf2_npvt_small_kernelILi52E19rocblas_complex_numIdEiiPS3_EEvT1_T3_lS5_lPT2_S5_S5_,"axG",@progbits,_ZN9rocsolver6v33100L23getf2_npvt_small_kernelILi52E19rocblas_complex_numIdEiiPS3_EEvT1_T3_lS5_lPT2_S5_S5_,comdat
.Lfunc_end103:
	.size	_ZN9rocsolver6v33100L23getf2_npvt_small_kernelILi52E19rocblas_complex_numIdEiiPS3_EEvT1_T3_lS5_lPT2_S5_S5_, .Lfunc_end103-_ZN9rocsolver6v33100L23getf2_npvt_small_kernelILi52E19rocblas_complex_numIdEiiPS3_EEvT1_T3_lS5_lPT2_S5_S5_
                                        ; -- End function
	.set _ZN9rocsolver6v33100L23getf2_npvt_small_kernelILi52E19rocblas_complex_numIdEiiPS3_EEvT1_T3_lS5_lPT2_S5_S5_.num_vgpr, 256
	.set _ZN9rocsolver6v33100L23getf2_npvt_small_kernelILi52E19rocblas_complex_numIdEiiPS3_EEvT1_T3_lS5_lPT2_S5_S5_.num_agpr, 0
	.set _ZN9rocsolver6v33100L23getf2_npvt_small_kernelILi52E19rocblas_complex_numIdEiiPS3_EEvT1_T3_lS5_lPT2_S5_S5_.numbered_sgpr, 22
	.set _ZN9rocsolver6v33100L23getf2_npvt_small_kernelILi52E19rocblas_complex_numIdEiiPS3_EEvT1_T3_lS5_lPT2_S5_S5_.num_named_barrier, 0
	.set _ZN9rocsolver6v33100L23getf2_npvt_small_kernelILi52E19rocblas_complex_numIdEiiPS3_EEvT1_T3_lS5_lPT2_S5_S5_.private_seg_size, 1132
	.set _ZN9rocsolver6v33100L23getf2_npvt_small_kernelILi52E19rocblas_complex_numIdEiiPS3_EEvT1_T3_lS5_lPT2_S5_S5_.uses_vcc, 1
	.set _ZN9rocsolver6v33100L23getf2_npvt_small_kernelILi52E19rocblas_complex_numIdEiiPS3_EEvT1_T3_lS5_lPT2_S5_S5_.uses_flat_scratch, 0
	.set _ZN9rocsolver6v33100L23getf2_npvt_small_kernelILi52E19rocblas_complex_numIdEiiPS3_EEvT1_T3_lS5_lPT2_S5_S5_.has_dyn_sized_stack, 0
	.set _ZN9rocsolver6v33100L23getf2_npvt_small_kernelILi52E19rocblas_complex_numIdEiiPS3_EEvT1_T3_lS5_lPT2_S5_S5_.has_recursion, 0
	.set _ZN9rocsolver6v33100L23getf2_npvt_small_kernelILi52E19rocblas_complex_numIdEiiPS3_EEvT1_T3_lS5_lPT2_S5_S5_.has_indirect_call, 0
	.section	.AMDGPU.csdata,"",@progbits
; Kernel info:
; codeLenInByte = 136612
; TotalNumSgprs: 24
; NumVgprs: 256
; ScratchSize: 1132
; MemoryBound: 1
; FloatMode: 240
; IeeeMode: 1
; LDSByteSize: 0 bytes/workgroup (compile time only)
; SGPRBlocks: 0
; VGPRBlocks: 31
; NumSGPRsForWavesPerEU: 24
; NumVGPRsForWavesPerEU: 256
; Occupancy: 4
; WaveLimiterHint : 0
; COMPUTE_PGM_RSRC2:SCRATCH_EN: 1
; COMPUTE_PGM_RSRC2:USER_SGPR: 6
; COMPUTE_PGM_RSRC2:TRAP_HANDLER: 0
; COMPUTE_PGM_RSRC2:TGID_X_EN: 1
; COMPUTE_PGM_RSRC2:TGID_Y_EN: 1
; COMPUTE_PGM_RSRC2:TGID_Z_EN: 0
; COMPUTE_PGM_RSRC2:TIDIG_COMP_CNT: 1
	.section	.text._ZN9rocsolver6v33100L18getf2_small_kernelILi53E19rocblas_complex_numIdEiiPS3_EEvT1_T3_lS5_lPS5_llPT2_S5_S5_S7_l,"axG",@progbits,_ZN9rocsolver6v33100L18getf2_small_kernelILi53E19rocblas_complex_numIdEiiPS3_EEvT1_T3_lS5_lPS5_llPT2_S5_S5_S7_l,comdat
	.globl	_ZN9rocsolver6v33100L18getf2_small_kernelILi53E19rocblas_complex_numIdEiiPS3_EEvT1_T3_lS5_lPS5_llPT2_S5_S5_S7_l ; -- Begin function _ZN9rocsolver6v33100L18getf2_small_kernelILi53E19rocblas_complex_numIdEiiPS3_EEvT1_T3_lS5_lPS5_llPT2_S5_S5_S7_l
	.p2align	8
	.type	_ZN9rocsolver6v33100L18getf2_small_kernelILi53E19rocblas_complex_numIdEiiPS3_EEvT1_T3_lS5_lPS5_llPT2_S5_S5_S7_l,@function
_ZN9rocsolver6v33100L18getf2_small_kernelILi53E19rocblas_complex_numIdEiiPS3_EEvT1_T3_lS5_lPS5_llPT2_S5_S5_S7_l: ; @_ZN9rocsolver6v33100L18getf2_small_kernelILi53E19rocblas_complex_numIdEiiPS3_EEvT1_T3_lS5_lPS5_llPT2_S5_S5_S7_l
; %bb.0:
	s_clause 0x1
	s_load_dword s0, s[4:5], 0x6c
	s_load_dwordx2 s[16:17], s[4:5], 0x48
	s_waitcnt lgkmcnt(0)
	s_lshr_b32 s0, s0, 16
	v_mad_u64_u32 v[218:219], null, s7, s0, v[1:2]
	s_mov_b32 s0, exec_lo
	v_cmpx_gt_i32_e64 s16, v218
	s_cbranch_execnz .LBB104_1
; %bb.1117:
	s_getpc_b64 s[18:19]
.Lpost_getpc6:
	s_add_u32 s18, s18, (.LBB104_1116-.Lpost_getpc6)&4294967295
	s_addc_u32 s19, s19, (.LBB104_1116-.Lpost_getpc6)>>32
	s_setpc_b64 s[18:19]
.LBB104_1:
	s_load_dwordx4 s[0:3], s[4:5], 0x50
	v_mov_b32_e32 v220, 0
	v_ashrrev_i32_e32 v219, 31, v218
	v_mov_b32_e32 v221, 0
	s_waitcnt lgkmcnt(0)
	s_cmp_eq_u64 s[0:1], 0
	s_cselect_b32 s16, -1, 0
	s_and_b32 vcc_lo, exec_lo, s16
	s_cbranch_vccnz .LBB104_3
; %bb.2:
	v_mul_lo_u32 v4, s3, v218
	v_mul_lo_u32 v5, s2, v219
	v_mad_u64_u32 v[2:3], null, s2, v218, 0
	v_add3_u32 v3, v3, v5, v4
	v_lshlrev_b64 v[2:3], 2, v[2:3]
	v_add_co_u32 v220, vcc_lo, s0, v2
	v_add_co_ci_u32_e64 v221, null, s1, v3, vcc_lo
.LBB104_3:
	s_clause 0x2
	s_load_dwordx8 s[8:15], s[4:5], 0x20
	s_load_dword s6, s[4:5], 0x18
	s_load_dwordx4 s[0:3], s[4:5], 0x8
	v_lshlrev_b32_e32 v224, 4, v0
	s_waitcnt lgkmcnt(0)
	v_mul_lo_u32 v5, s9, v218
	v_mul_lo_u32 v7, s8, v219
	v_mad_u64_u32 v[2:3], null, s8, v218, 0
	v_add3_u32 v4, s6, s6, v0
	s_lshl_b64 s[2:3], s[2:3], 4
	s_ashr_i32 s7, s6, 31
	s_clause 0x1
	s_load_dword s8, s[4:5], 0x0
	s_load_dwordx2 s[4:5], s[4:5], 0x40
	v_add_nc_u32_e32 v6, s6, v4
	v_add3_u32 v3, v3, v7, v5
	v_ashrrev_i32_e32 v5, 31, v4
	v_add_nc_u32_e32 v8, s6, v6
	v_lshlrev_b64 v[2:3], 4, v[2:3]
	v_ashrrev_i32_e32 v7, 31, v6
	v_lshlrev_b64 v[4:5], 4, v[4:5]
	v_ashrrev_i32_e32 v9, 31, v8
	v_add_nc_u32_e32 v10, s6, v8
	v_add_co_u32 v12, vcc_lo, s0, v2
	v_add_co_ci_u32_e64 v13, null, s1, v3, vcc_lo
	v_lshlrev_b64 v[2:3], 4, v[8:9]
	v_add_nc_u32_e32 v8, s6, v10
	v_add_co_u32 v225, vcc_lo, v12, s2
	v_ashrrev_i32_e32 v11, 31, v10
	v_lshlrev_b64 v[6:7], 4, v[6:7]
	v_add_nc_u32_e32 v12, s6, v8
	v_add_co_ci_u32_e64 v226, null, s3, v13, vcc_lo
	v_ashrrev_i32_e32 v9, 31, v8
	v_lshlrev_b64 v[10:11], 4, v[10:11]
	v_add_nc_u32_e32 v14, s6, v12
	v_add_co_u32 v4, vcc_lo, v225, v4
	v_ashrrev_i32_e32 v13, 31, v12
	v_add_co_ci_u32_e64 v5, null, v226, v5, vcc_lo
	v_add_nc_u32_e32 v16, s6, v14
	v_add_co_u32 v6, vcc_lo, v225, v6
	v_lshlrev_b64 v[8:9], 4, v[8:9]
	v_ashrrev_i32_e32 v15, 31, v14
	v_add_nc_u32_e32 v18, s6, v16
	v_add_co_ci_u32_e64 v7, null, v226, v7, vcc_lo
	v_add_co_u32 v2, vcc_lo, v225, v2
	v_add_nc_u32_e32 v22, s6, v18
	v_ashrrev_i32_e32 v17, 31, v16
	v_add_co_ci_u32_e64 v3, null, v226, v3, vcc_lo
	v_add_co_u32 v10, vcc_lo, v225, v10
	v_add_nc_u32_e32 v24, s6, v22
	v_lshlrev_b64 v[12:13], 4, v[12:13]
	v_ashrrev_i32_e32 v19, 31, v18
	v_add_co_ci_u32_e64 v11, null, v226, v11, vcc_lo
	v_add_nc_u32_e32 v26, s6, v24
	v_add_co_u32 v8, vcc_lo, v225, v8
	v_lshlrev_b64 v[14:15], 4, v[14:15]
	v_ashrrev_i32_e32 v23, 31, v22
	v_add_nc_u32_e32 v28, s6, v26
	v_add_co_ci_u32_e64 v9, null, v226, v9, vcc_lo
	v_add_co_u32 v20, vcc_lo, v225, v224
	v_add_nc_u32_e32 v30, s6, v28
	v_lshlrev_b64 v[16:17], 4, v[16:17]
	v_ashrrev_i32_e32 v25, 31, v24
	v_add_co_ci_u32_e64 v21, null, 0, v226, vcc_lo
	v_add_nc_u32_e32 v32, s6, v30
	v_add_co_u32 v12, vcc_lo, v225, v12
	v_lshlrev_b64 v[18:19], 4, v[18:19]
	v_ashrrev_i32_e32 v27, 31, v26
	v_add_nc_u32_e32 v34, s6, v32
	;; [unrolled: 11-line block ×7, first 2 shown]
	v_add_co_ci_u32_e64 v35, null, v226, v35, vcc_lo
	v_add_co_u32 v36, vcc_lo, v225, v36
	v_lshlrev_b64 v[42:43], 4, v[42:43]
	v_ashrrev_i32_e32 v49, 31, v48
	v_add_co_ci_u32_e64 v37, null, v226, v37, vcc_lo
	v_add_co_u32 v38, vcc_lo, v225, v38
	v_lshlrev_b64 v[44:45], 4, v[44:45]
	v_ashrrev_i32_e32 v51, 31, v50
	v_add_nc_u32_e32 v66, s6, v64
	v_add_co_ci_u32_e64 v39, null, v226, v39, vcc_lo
	v_add_co_u32 v40, vcc_lo, v225, v40
	v_lshlrev_b64 v[46:47], 4, v[46:47]
	v_ashrrev_i32_e32 v53, 31, v52
	v_add_co_ci_u32_e64 v41, null, v226, v41, vcc_lo
	v_add_co_u32 v42, vcc_lo, v225, v42
	v_lshlrev_b64 v[48:49], 4, v[48:49]
	v_ashrrev_i32_e32 v55, 31, v54
	v_add_co_ci_u32_e64 v43, null, v226, v43, vcc_lo
	v_add_co_u32 v44, vcc_lo, v225, v44
	v_lshlrev_b64 v[50:51], 4, v[50:51]
	v_add_nc_u32_e32 v68, s6, v66
	v_ashrrev_i32_e32 v57, 31, v56
	v_add_co_ci_u32_e64 v45, null, v226, v45, vcc_lo
	v_add_co_u32 v46, vcc_lo, v225, v46
	v_lshlrev_b64 v[52:53], 4, v[52:53]
	v_ashrrev_i32_e32 v59, 31, v58
	v_add_co_ci_u32_e64 v47, null, v226, v47, vcc_lo
	v_add_co_u32 v48, vcc_lo, v225, v48
	v_lshlrev_b64 v[54:55], 4, v[54:55]
	v_ashrrev_i32_e32 v61, 31, v60
	v_add_nc_u32_e32 v70, s6, v68
	v_add_co_ci_u32_e64 v49, null, v226, v49, vcc_lo
	v_add_co_u32 v50, vcc_lo, v225, v50
	v_lshlrev_b64 v[56:57], 4, v[56:57]
	v_ashrrev_i32_e32 v63, 31, v62
	v_add_co_ci_u32_e64 v51, null, v226, v51, vcc_lo
	v_add_co_u32 v52, vcc_lo, v225, v52
	v_lshlrev_b64 v[58:59], 4, v[58:59]
	v_ashrrev_i32_e32 v65, 31, v64
	v_add_co_ci_u32_e64 v53, null, v226, v53, vcc_lo
	v_add_co_u32 v54, vcc_lo, v225, v54
	v_lshlrev_b64 v[60:61], 4, v[60:61]
	v_add_nc_u32_e32 v72, s6, v70
	v_ashrrev_i32_e32 v67, 31, v66
	v_add_co_ci_u32_e64 v55, null, v226, v55, vcc_lo
	v_add_co_u32 v56, vcc_lo, v225, v56
	v_lshlrev_b64 v[62:63], 4, v[62:63]
	v_ashrrev_i32_e32 v69, 31, v68
	v_add_co_ci_u32_e64 v57, null, v226, v57, vcc_lo
	v_add_co_u32 v58, vcc_lo, v225, v58
	v_lshlrev_b64 v[64:65], 4, v[64:65]
	v_ashrrev_i32_e32 v71, 31, v70
	v_add_nc_u32_e32 v74, s6, v72
	v_add_co_ci_u32_e64 v59, null, v226, v59, vcc_lo
	v_add_co_u32 v60, vcc_lo, v225, v60
	v_lshlrev_b64 v[66:67], 4, v[66:67]
	v_ashrrev_i32_e32 v73, 31, v72
	v_add_co_ci_u32_e64 v61, null, v226, v61, vcc_lo
	v_add_co_u32 v62, vcc_lo, v225, v62
	v_lshlrev_b64 v[68:69], 4, v[68:69]
	v_add_co_ci_u32_e64 v63, null, v226, v63, vcc_lo
	v_add_co_u32 v64, vcc_lo, v225, v64
	v_lshlrev_b64 v[70:71], 4, v[70:71]
	v_add_nc_u32_e32 v76, s6, v74
	v_add_co_ci_u32_e64 v65, null, v226, v65, vcc_lo
	v_add_co_u32 v66, vcc_lo, v225, v66
	v_lshlrev_b64 v[72:73], 4, v[72:73]
	v_ashrrev_i32_e32 v75, 31, v74
	v_add_co_ci_u32_e64 v67, null, v226, v67, vcc_lo
	v_add_co_u32 v68, vcc_lo, v225, v68
	v_ashrrev_i32_e32 v77, 31, v76
	v_add_nc_u32_e32 v78, s6, v76
	v_add_co_ci_u32_e64 v69, null, v226, v69, vcc_lo
	v_add_co_u32 v70, vcc_lo, v225, v70
	v_lshlrev_b64 v[74:75], 4, v[74:75]
	v_add_co_ci_u32_e64 v71, null, v226, v71, vcc_lo
	v_add_co_u32 v214, vcc_lo, v225, v72
	v_add_co_ci_u32_e64 v215, null, v226, v73, vcc_lo
	v_lshlrev_b64 v[72:73], 4, v[76:77]
	v_ashrrev_i32_e32 v79, 31, v78
	v_add_nc_u32_e32 v76, s6, v78
	v_add_co_u32 v216, vcc_lo, v225, v74
	v_add_co_ci_u32_e64 v217, null, v226, v75, vcc_lo
	v_lshlrev_b64 v[74:75], 4, v[78:79]
	v_ashrrev_i32_e32 v77, 31, v76
	v_add_nc_u32_e32 v78, s6, v76
	;; [unrolled: 5-line block ×10, first 2 shown]
	v_add_co_u32 v241, vcc_lo, v225, v72
	v_add_co_ci_u32_e64 v242, null, v226, v73, vcc_lo
	v_lshlrev_b64 v[72:73], 4, v[76:77]
	v_add_nc_u32_e32 v76, s6, v78
	v_ashrrev_i32_e32 v79, 31, v78
	v_add_co_u32 v243, vcc_lo, v225, v74
	v_add_co_ci_u32_e64 v244, null, v226, v75, vcc_lo
	v_lshlrev_b64 v[74:75], 4, v[78:79]
	v_add_nc_u32_e32 v78, s6, v76
	v_ashrrev_i32_e32 v77, 31, v76
	v_add_co_u32 v245, vcc_lo, v225, v72
	v_add_co_ci_u32_e64 v246, null, v226, v73, vcc_lo
	v_ashrrev_i32_e32 v79, 31, v78
	v_add_co_u32 v247, vcc_lo, v225, v74
	v_add_nc_u32_e32 v74, s6, v78
	v_lshlrev_b64 v[72:73], 4, v[76:77]
	v_lshlrev_b64 v[76:77], 4, v[78:79]
	v_add_co_ci_u32_e64 v248, null, v226, v75, vcc_lo
	v_ashrrev_i32_e32 v75, 31, v74
	s_lshl_b64 s[2:3], s[6:7], 4
	v_add_co_u32 v249, vcc_lo, v225, v72
	v_add_co_ci_u32_e64 v250, null, v226, v73, vcc_lo
	v_add_co_u32 v251, vcc_lo, v225, v76
	v_lshlrev_b64 v[72:73], 4, v[74:75]
	v_add_co_ci_u32_e64 v252, null, v226, v77, vcc_lo
	v_add_co_u32 v74, vcc_lo, v20, s2
	v_add_co_ci_u32_e64 v75, null, s3, v21, vcc_lo
	v_add_co_u32 v253, vcc_lo, v225, v72
	v_add_co_ci_u32_e64 v254, null, v226, v73, vcc_lo
	s_clause 0x34
	global_load_dwordx4 v[210:213], v[20:21], off
	global_load_dwordx4 v[202:205], v[74:75], off
	global_load_dwordx4 v[206:209], v[4:5], off
	global_load_dwordx4 v[198:201], v[6:7], off
	global_load_dwordx4 v[194:197], v[2:3], off
	global_load_dwordx4 v[190:193], v[10:11], off
	global_load_dwordx4 v[186:189], v[8:9], off
	global_load_dwordx4 v[182:185], v[12:13], off
	global_load_dwordx4 v[178:181], v[14:15], off
	global_load_dwordx4 v[174:177], v[16:17], off
	global_load_dwordx4 v[170:173], v[18:19], off
	global_load_dwordx4 v[166:169], v[22:23], off
	global_load_dwordx4 v[162:165], v[24:25], off
	global_load_dwordx4 v[158:161], v[26:27], off
	global_load_dwordx4 v[154:157], v[28:29], off
	global_load_dwordx4 v[150:153], v[30:31], off
	global_load_dwordx4 v[146:149], v[32:33], off
	global_load_dwordx4 v[142:145], v[34:35], off
	global_load_dwordx4 v[138:141], v[36:37], off
	global_load_dwordx4 v[134:137], v[38:39], off
	global_load_dwordx4 v[130:133], v[40:41], off
	global_load_dwordx4 v[126:129], v[42:43], off
	global_load_dwordx4 v[122:125], v[44:45], off
	global_load_dwordx4 v[118:121], v[46:47], off
	global_load_dwordx4 v[114:117], v[48:49], off
	global_load_dwordx4 v[110:113], v[50:51], off
	global_load_dwordx4 v[106:109], v[52:53], off
	global_load_dwordx4 v[102:105], v[54:55], off
	global_load_dwordx4 v[98:101], v[56:57], off
	global_load_dwordx4 v[94:97], v[58:59], off
	global_load_dwordx4 v[90:93], v[60:61], off
	global_load_dwordx4 v[86:89], v[62:63], off
	global_load_dwordx4 v[82:85], v[64:65], off
	global_load_dwordx4 v[78:81], v[66:67], off
	global_load_dwordx4 v[74:77], v[68:69], off
	global_load_dwordx4 v[70:73], v[70:71], off
	global_load_dwordx4 v[66:69], v[214:215], off
	global_load_dwordx4 v[62:65], v[216:217], off
	global_load_dwordx4 v[58:61], v[222:223], off
	global_load_dwordx4 v[54:57], v[227:228], off
	global_load_dwordx4 v[50:53], v[229:230], off
	global_load_dwordx4 v[46:49], v[231:232], off
	global_load_dwordx4 v[42:45], v[233:234], off
	global_load_dwordx4 v[38:41], v[235:236], off
	global_load_dwordx4 v[34:37], v[237:238], off
	global_load_dwordx4 v[30:33], v[239:240], off
	global_load_dwordx4 v[26:29], v[241:242], off
	global_load_dwordx4 v[22:25], v[243:244], off
	global_load_dwordx4 v[18:21], v[245:246], off
	global_load_dwordx4 v[14:17], v[247:248], off
	global_load_dwordx4 v[10:13], v[249:250], off
	global_load_dwordx4 v[6:9], v[251:252], off
	global_load_dwordx4 v[2:5], v[253:254], off
	s_waitcnt lgkmcnt(0)
	s_max_i32 s0, s8, 53
	s_cmp_lt_i32 s8, 2
	v_mul_lo_u32 v222, s0, v1
	v_lshl_add_u32 v1, v222, 4, 0
	v_add_nc_u32_e32 v214, v1, v224
	v_lshlrev_b32_e32 v224, 4, v222
	v_mov_b32_e32 v222, 0
	s_waitcnt vmcnt(52)
	ds_write2_b64 v214, v[210:211], v[212:213] offset1:1
	s_waitcnt vmcnt(0) lgkmcnt(0)
	s_barrier
	buffer_gl0_inv
	ds_read2_b64 v[214:217], v1 offset1:1
	s_cbranch_scc1 .LBB104_6
; %bb.4:
	v_add3_u32 v223, v224, 0, 16
	v_mov_b32_e32 v222, 0
	s_mov_b32 s1, 1
	s_inst_prefetch 0x1
	.p2align	6
.LBB104_5:                              ; =>This Inner Loop Header: Depth=1
	s_waitcnt lgkmcnt(0)
	v_cmp_gt_f64_e32 vcc_lo, 0, v[216:217]
	v_cmp_gt_f64_e64 s0, 0, v[214:215]
	ds_read2_b64 v[227:230], v223 offset1:1
	v_xor_b32_e32 v232, 0x80000000, v215
	v_xor_b32_e32 v234, 0x80000000, v217
	v_mov_b32_e32 v231, v214
	v_mov_b32_e32 v233, v216
	v_add_nc_u32_e32 v223, 16, v223
	s_waitcnt lgkmcnt(0)
	v_xor_b32_e32 v236, 0x80000000, v230
	v_cndmask_b32_e64 v232, v215, v232, s0
	v_cndmask_b32_e32 v234, v217, v234, vcc_lo
	v_cmp_gt_f64_e32 vcc_lo, 0, v[229:230]
	v_cmp_gt_f64_e64 s0, 0, v[227:228]
	v_mov_b32_e32 v235, v229
	v_add_f64 v[231:232], v[231:232], v[233:234]
	v_xor_b32_e32 v234, 0x80000000, v228
	v_mov_b32_e32 v233, v227
	v_cndmask_b32_e32 v236, v230, v236, vcc_lo
	v_cndmask_b32_e64 v234, v228, v234, s0
	v_add_f64 v[233:234], v[233:234], v[235:236]
	v_cmp_lt_f64_e32 vcc_lo, v[231:232], v[233:234]
	v_cndmask_b32_e32 v215, v215, v228, vcc_lo
	v_cndmask_b32_e32 v214, v214, v227, vcc_lo
	;; [unrolled: 1-line block ×4, first 2 shown]
	v_cndmask_b32_e64 v222, v222, s1, vcc_lo
	s_add_i32 s1, s1, 1
	s_cmp_eq_u32 s8, s1
	s_cbranch_scc0 .LBB104_5
.LBB104_6:
	s_inst_prefetch 0x2
	s_waitcnt lgkmcnt(0)
	v_cmp_neq_f64_e32 vcc_lo, 0, v[214:215]
	v_cmp_neq_f64_e64 s0, 0, v[216:217]
	v_mov_b32_e32 v227, 1
	v_mov_b32_e32 v229, 1
	s_or_b32 s1, vcc_lo, s0
	s_and_saveexec_b32 s0, s1
	s_cbranch_execz .LBB104_12
; %bb.7:
	v_cmp_ngt_f64_e64 s1, |v[214:215]|, |v[216:217]|
	s_and_saveexec_b32 s7, s1
	s_xor_b32 s1, exec_lo, s7
	s_cbranch_execz .LBB104_9
; %bb.8:
	v_div_scale_f64 v[227:228], null, v[216:217], v[216:217], v[214:215]
	v_div_scale_f64 v[233:234], vcc_lo, v[214:215], v[216:217], v[214:215]
	v_rcp_f64_e32 v[229:230], v[227:228]
	v_fma_f64 v[231:232], -v[227:228], v[229:230], 1.0
	v_fma_f64 v[229:230], v[229:230], v[231:232], v[229:230]
	v_fma_f64 v[231:232], -v[227:228], v[229:230], 1.0
	v_fma_f64 v[229:230], v[229:230], v[231:232], v[229:230]
	v_mul_f64 v[231:232], v[233:234], v[229:230]
	v_fma_f64 v[227:228], -v[227:228], v[231:232], v[233:234]
	v_div_fmas_f64 v[227:228], v[227:228], v[229:230], v[231:232]
	v_div_fixup_f64 v[227:228], v[227:228], v[216:217], v[214:215]
	v_fma_f64 v[214:215], v[214:215], v[227:228], v[216:217]
	v_div_scale_f64 v[216:217], null, v[214:215], v[214:215], 1.0
	v_rcp_f64_e32 v[229:230], v[216:217]
	v_fma_f64 v[231:232], -v[216:217], v[229:230], 1.0
	v_fma_f64 v[229:230], v[229:230], v[231:232], v[229:230]
	v_fma_f64 v[231:232], -v[216:217], v[229:230], 1.0
	v_fma_f64 v[229:230], v[229:230], v[231:232], v[229:230]
	v_div_scale_f64 v[231:232], vcc_lo, 1.0, v[214:215], 1.0
	v_mul_f64 v[233:234], v[231:232], v[229:230]
	v_fma_f64 v[216:217], -v[216:217], v[233:234], v[231:232]
	v_div_fmas_f64 v[216:217], v[216:217], v[229:230], v[233:234]
	v_div_fixup_f64 v[216:217], v[216:217], v[214:215], 1.0
	v_mul_f64 v[214:215], v[227:228], v[216:217]
	v_xor_b32_e32 v217, 0x80000000, v217
.LBB104_9:
	s_andn2_saveexec_b32 s1, s1
	s_cbranch_execz .LBB104_11
; %bb.10:
	v_div_scale_f64 v[227:228], null, v[214:215], v[214:215], v[216:217]
	v_div_scale_f64 v[233:234], vcc_lo, v[216:217], v[214:215], v[216:217]
	v_rcp_f64_e32 v[229:230], v[227:228]
	v_fma_f64 v[231:232], -v[227:228], v[229:230], 1.0
	v_fma_f64 v[229:230], v[229:230], v[231:232], v[229:230]
	v_fma_f64 v[231:232], -v[227:228], v[229:230], 1.0
	v_fma_f64 v[229:230], v[229:230], v[231:232], v[229:230]
	v_mul_f64 v[231:232], v[233:234], v[229:230]
	v_fma_f64 v[227:228], -v[227:228], v[231:232], v[233:234]
	v_div_fmas_f64 v[227:228], v[227:228], v[229:230], v[231:232]
	v_div_fixup_f64 v[227:228], v[227:228], v[214:215], v[216:217]
	v_fma_f64 v[214:215], v[216:217], v[227:228], v[214:215]
	v_div_scale_f64 v[216:217], null, v[214:215], v[214:215], 1.0
	v_rcp_f64_e32 v[229:230], v[216:217]
	v_fma_f64 v[231:232], -v[216:217], v[229:230], 1.0
	v_fma_f64 v[229:230], v[229:230], v[231:232], v[229:230]
	v_fma_f64 v[231:232], -v[216:217], v[229:230], 1.0
	v_fma_f64 v[229:230], v[229:230], v[231:232], v[229:230]
	v_div_scale_f64 v[231:232], vcc_lo, 1.0, v[214:215], 1.0
	v_mul_f64 v[233:234], v[231:232], v[229:230]
	v_fma_f64 v[216:217], -v[216:217], v[233:234], v[231:232]
	v_div_fmas_f64 v[216:217], v[216:217], v[229:230], v[233:234]
	v_div_fixup_f64 v[214:215], v[216:217], v[214:215], 1.0
	v_mul_f64 v[216:217], v[227:228], -v[214:215]
.LBB104_11:
	s_or_b32 exec_lo, exec_lo, s1
	v_mov_b32_e32 v229, 0
	v_mov_b32_e32 v227, 2
.LBB104_12:
	s_or_b32 exec_lo, exec_lo, s0
	s_mov_b32 s0, exec_lo
	v_cmpx_ne_u32_e64 v0, v222
	s_xor_b32 s0, exec_lo, s0
	s_cbranch_execz .LBB104_18
; %bb.13:
	s_mov_b32 s1, exec_lo
	v_cmpx_eq_u32_e32 0, v0
	s_cbranch_execz .LBB104_17
; %bb.14:
	v_cmp_ne_u32_e32 vcc_lo, 0, v222
	s_xor_b32 s7, s16, -1
	s_and_b32 s9, s7, vcc_lo
	s_and_saveexec_b32 s7, s9
	s_cbranch_execz .LBB104_16
; %bb.15:
	v_ashrrev_i32_e32 v223, 31, v222
	v_lshlrev_b64 v[230:231], 2, v[222:223]
	v_add_co_u32 v230, vcc_lo, v220, v230
	v_add_co_ci_u32_e64 v231, null, v221, v231, vcc_lo
	s_clause 0x1
	global_load_dword v0, v[230:231], off
	global_load_dword v223, v[220:221], off
	s_waitcnt vmcnt(1)
	global_store_dword v[220:221], v0, off
	s_waitcnt vmcnt(0)
	global_store_dword v[230:231], v223, off
.LBB104_16:
	s_or_b32 exec_lo, exec_lo, s7
	v_mov_b32_e32 v0, v222
.LBB104_17:
	s_or_b32 exec_lo, exec_lo, s1
.LBB104_18:
	s_or_saveexec_b32 s0, s0
	v_mov_b32_e32 v228, v0
	s_xor_b32 exec_lo, exec_lo, s0
	s_cbranch_execz .LBB104_20
; %bb.19:
	v_mov_b32_e32 v228, 0
	ds_write2_b64 v1, v[202:203], v[204:205] offset0:2 offset1:3
	ds_write2_b64 v1, v[206:207], v[208:209] offset0:4 offset1:5
	;; [unrolled: 1-line block ×52, first 2 shown]
.LBB104_20:
	s_or_b32 exec_lo, exec_lo, s0
	s_mov_b32 s0, exec_lo
	s_waitcnt lgkmcnt(0)
	s_waitcnt_vscnt null, 0x0
	s_barrier
	buffer_gl0_inv
	v_cmpx_lt_i32_e32 0, v228
	s_cbranch_execz .LBB104_22
; %bb.21:
	v_mul_f64 v[222:223], v[216:217], v[212:213]
	v_mul_f64 v[212:213], v[214:215], v[212:213]
	v_fma_f64 v[222:223], v[214:215], v[210:211], -v[222:223]
	v_fma_f64 v[212:213], v[216:217], v[210:211], v[212:213]
	ds_read2_b64 v[214:217], v1 offset0:2 offset1:3
	s_waitcnt lgkmcnt(0)
	v_mul_f64 v[210:211], v[216:217], v[212:213]
	v_fma_f64 v[210:211], v[214:215], v[222:223], -v[210:211]
	v_mul_f64 v[214:215], v[214:215], v[212:213]
	v_add_f64 v[202:203], v[202:203], -v[210:211]
	v_fma_f64 v[214:215], v[216:217], v[222:223], v[214:215]
	v_add_f64 v[204:205], v[204:205], -v[214:215]
	ds_read2_b64 v[214:217], v1 offset0:4 offset1:5
	s_waitcnt lgkmcnt(0)
	v_mul_f64 v[210:211], v[216:217], v[212:213]
	v_fma_f64 v[210:211], v[214:215], v[222:223], -v[210:211]
	v_mul_f64 v[214:215], v[214:215], v[212:213]
	v_add_f64 v[206:207], v[206:207], -v[210:211]
	v_fma_f64 v[214:215], v[216:217], v[222:223], v[214:215]
	v_add_f64 v[208:209], v[208:209], -v[214:215]
	;; [unrolled: 8-line block ×51, first 2 shown]
	ds_read2_b64 v[214:217], v1 offset0:104 offset1:105
	s_waitcnt lgkmcnt(0)
	v_mul_f64 v[210:211], v[216:217], v[212:213]
	v_fma_f64 v[210:211], v[214:215], v[222:223], -v[210:211]
	v_mul_f64 v[214:215], v[214:215], v[212:213]
	v_add_f64 v[2:3], v[2:3], -v[210:211]
	v_fma_f64 v[214:215], v[216:217], v[222:223], v[214:215]
	v_mov_b32_e32 v210, v222
	v_mov_b32_e32 v211, v223
	v_add_f64 v[4:5], v[4:5], -v[214:215]
.LBB104_22:
	s_or_b32 exec_lo, exec_lo, s0
	v_lshl_add_u32 v214, v228, 4, v1
	s_barrier
	buffer_gl0_inv
	v_mov_b32_e32 v222, 1
	ds_write2_b64 v214, v[202:203], v[204:205] offset1:1
	s_waitcnt lgkmcnt(0)
	s_barrier
	buffer_gl0_inv
	ds_read2_b64 v[214:217], v1 offset0:2 offset1:3
	s_cmp_lt_i32 s8, 3
	s_cbranch_scc1 .LBB104_25
; %bb.23:
	v_add3_u32 v223, v224, 0, 32
	v_mov_b32_e32 v222, 1
	s_mov_b32 s1, 2
	s_inst_prefetch 0x1
	.p2align	6
.LBB104_24:                             ; =>This Inner Loop Header: Depth=1
	s_waitcnt lgkmcnt(0)
	v_cmp_gt_f64_e32 vcc_lo, 0, v[216:217]
	v_cmp_gt_f64_e64 s0, 0, v[214:215]
	ds_read2_b64 v[230:233], v223 offset1:1
	v_xor_b32_e32 v235, 0x80000000, v215
	v_xor_b32_e32 v237, 0x80000000, v217
	v_mov_b32_e32 v234, v214
	v_mov_b32_e32 v236, v216
	v_add_nc_u32_e32 v223, 16, v223
	s_waitcnt lgkmcnt(0)
	v_xor_b32_e32 v239, 0x80000000, v233
	v_cndmask_b32_e64 v235, v215, v235, s0
	v_cndmask_b32_e32 v237, v217, v237, vcc_lo
	v_cmp_gt_f64_e32 vcc_lo, 0, v[232:233]
	v_cmp_gt_f64_e64 s0, 0, v[230:231]
	v_mov_b32_e32 v238, v232
	v_add_f64 v[234:235], v[234:235], v[236:237]
	v_xor_b32_e32 v237, 0x80000000, v231
	v_mov_b32_e32 v236, v230
	v_cndmask_b32_e32 v239, v233, v239, vcc_lo
	v_cndmask_b32_e64 v237, v231, v237, s0
	v_add_f64 v[236:237], v[236:237], v[238:239]
	v_cmp_lt_f64_e32 vcc_lo, v[234:235], v[236:237]
	v_cndmask_b32_e32 v215, v215, v231, vcc_lo
	v_cndmask_b32_e32 v214, v214, v230, vcc_lo
	;; [unrolled: 1-line block ×4, first 2 shown]
	v_cndmask_b32_e64 v222, v222, s1, vcc_lo
	s_add_i32 s1, s1, 1
	s_cmp_lg_u32 s8, s1
	s_cbranch_scc1 .LBB104_24
.LBB104_25:
	s_inst_prefetch 0x2
	s_waitcnt lgkmcnt(0)
	v_cmp_neq_f64_e32 vcc_lo, 0, v[214:215]
	v_cmp_neq_f64_e64 s0, 0, v[216:217]
	s_or_b32 s1, vcc_lo, s0
	s_and_saveexec_b32 s0, s1
	s_cbranch_execz .LBB104_31
; %bb.26:
	v_cmp_ngt_f64_e64 s1, |v[214:215]|, |v[216:217]|
	s_and_saveexec_b32 s7, s1
	s_xor_b32 s1, exec_lo, s7
	s_cbranch_execz .LBB104_28
; %bb.27:
	v_div_scale_f64 v[230:231], null, v[216:217], v[216:217], v[214:215]
	v_div_scale_f64 v[236:237], vcc_lo, v[214:215], v[216:217], v[214:215]
	v_rcp_f64_e32 v[232:233], v[230:231]
	v_fma_f64 v[234:235], -v[230:231], v[232:233], 1.0
	v_fma_f64 v[232:233], v[232:233], v[234:235], v[232:233]
	v_fma_f64 v[234:235], -v[230:231], v[232:233], 1.0
	v_fma_f64 v[232:233], v[232:233], v[234:235], v[232:233]
	v_mul_f64 v[234:235], v[236:237], v[232:233]
	v_fma_f64 v[230:231], -v[230:231], v[234:235], v[236:237]
	v_div_fmas_f64 v[230:231], v[230:231], v[232:233], v[234:235]
	v_div_fixup_f64 v[230:231], v[230:231], v[216:217], v[214:215]
	v_fma_f64 v[214:215], v[214:215], v[230:231], v[216:217]
	v_div_scale_f64 v[216:217], null, v[214:215], v[214:215], 1.0
	v_rcp_f64_e32 v[232:233], v[216:217]
	v_fma_f64 v[234:235], -v[216:217], v[232:233], 1.0
	v_fma_f64 v[232:233], v[232:233], v[234:235], v[232:233]
	v_fma_f64 v[234:235], -v[216:217], v[232:233], 1.0
	v_fma_f64 v[232:233], v[232:233], v[234:235], v[232:233]
	v_div_scale_f64 v[234:235], vcc_lo, 1.0, v[214:215], 1.0
	v_mul_f64 v[236:237], v[234:235], v[232:233]
	v_fma_f64 v[216:217], -v[216:217], v[236:237], v[234:235]
	v_div_fmas_f64 v[216:217], v[216:217], v[232:233], v[236:237]
	v_div_fixup_f64 v[216:217], v[216:217], v[214:215], 1.0
	v_mul_f64 v[214:215], v[230:231], v[216:217]
	v_xor_b32_e32 v217, 0x80000000, v217
.LBB104_28:
	s_andn2_saveexec_b32 s1, s1
	s_cbranch_execz .LBB104_30
; %bb.29:
	v_div_scale_f64 v[230:231], null, v[214:215], v[214:215], v[216:217]
	v_div_scale_f64 v[236:237], vcc_lo, v[216:217], v[214:215], v[216:217]
	v_rcp_f64_e32 v[232:233], v[230:231]
	v_fma_f64 v[234:235], -v[230:231], v[232:233], 1.0
	v_fma_f64 v[232:233], v[232:233], v[234:235], v[232:233]
	v_fma_f64 v[234:235], -v[230:231], v[232:233], 1.0
	v_fma_f64 v[232:233], v[232:233], v[234:235], v[232:233]
	v_mul_f64 v[234:235], v[236:237], v[232:233]
	v_fma_f64 v[230:231], -v[230:231], v[234:235], v[236:237]
	v_div_fmas_f64 v[230:231], v[230:231], v[232:233], v[234:235]
	v_div_fixup_f64 v[230:231], v[230:231], v[214:215], v[216:217]
	v_fma_f64 v[214:215], v[216:217], v[230:231], v[214:215]
	v_div_scale_f64 v[216:217], null, v[214:215], v[214:215], 1.0
	v_rcp_f64_e32 v[232:233], v[216:217]
	v_fma_f64 v[234:235], -v[216:217], v[232:233], 1.0
	v_fma_f64 v[232:233], v[232:233], v[234:235], v[232:233]
	v_fma_f64 v[234:235], -v[216:217], v[232:233], 1.0
	v_fma_f64 v[232:233], v[232:233], v[234:235], v[232:233]
	v_div_scale_f64 v[234:235], vcc_lo, 1.0, v[214:215], 1.0
	v_mul_f64 v[236:237], v[234:235], v[232:233]
	v_fma_f64 v[216:217], -v[216:217], v[236:237], v[234:235]
	v_div_fmas_f64 v[216:217], v[216:217], v[232:233], v[236:237]
	v_div_fixup_f64 v[214:215], v[216:217], v[214:215], 1.0
	v_mul_f64 v[216:217], v[230:231], -v[214:215]
.LBB104_30:
	s_or_b32 exec_lo, exec_lo, s1
	v_mov_b32_e32 v227, v229
.LBB104_31:
	s_or_b32 exec_lo, exec_lo, s0
	s_mov_b32 s0, exec_lo
	v_cmpx_ne_u32_e64 v228, v222
	s_xor_b32 s0, exec_lo, s0
	s_cbranch_execz .LBB104_37
; %bb.32:
	s_mov_b32 s1, exec_lo
	v_cmpx_eq_u32_e32 1, v228
	s_cbranch_execz .LBB104_36
; %bb.33:
	v_cmp_ne_u32_e32 vcc_lo, 1, v222
	s_xor_b32 s7, s16, -1
	s_and_b32 s9, s7, vcc_lo
	s_and_saveexec_b32 s7, s9
	s_cbranch_execz .LBB104_35
; %bb.34:
	v_ashrrev_i32_e32 v223, 31, v222
	v_lshlrev_b64 v[228:229], 2, v[222:223]
	v_add_co_u32 v228, vcc_lo, v220, v228
	v_add_co_ci_u32_e64 v229, null, v221, v229, vcc_lo
	s_clause 0x1
	global_load_dword v0, v[228:229], off
	global_load_dword v223, v[220:221], off offset:4
	s_waitcnt vmcnt(1)
	global_store_dword v[220:221], v0, off offset:4
	s_waitcnt vmcnt(0)
	global_store_dword v[228:229], v223, off
.LBB104_35:
	s_or_b32 exec_lo, exec_lo, s7
	v_mov_b32_e32 v228, v222
	v_mov_b32_e32 v0, v222
.LBB104_36:
	s_or_b32 exec_lo, exec_lo, s1
.LBB104_37:
	s_andn2_saveexec_b32 s0, s0
	s_cbranch_execz .LBB104_39
; %bb.38:
	v_mov_b32_e32 v228, 1
	ds_write2_b64 v1, v[206:207], v[208:209] offset0:4 offset1:5
	ds_write2_b64 v1, v[198:199], v[200:201] offset0:6 offset1:7
	;; [unrolled: 1-line block ×51, first 2 shown]
.LBB104_39:
	s_or_b32 exec_lo, exec_lo, s0
	s_mov_b32 s0, exec_lo
	s_waitcnt lgkmcnt(0)
	s_waitcnt_vscnt null, 0x0
	s_barrier
	buffer_gl0_inv
	v_cmpx_lt_i32_e32 1, v228
	s_cbranch_execz .LBB104_41
; %bb.40:
	v_mul_f64 v[222:223], v[216:217], v[204:205]
	v_mul_f64 v[204:205], v[214:215], v[204:205]
	v_fma_f64 v[222:223], v[214:215], v[202:203], -v[222:223]
	v_fma_f64 v[204:205], v[216:217], v[202:203], v[204:205]
	ds_read2_b64 v[214:217], v1 offset0:4 offset1:5
	s_waitcnt lgkmcnt(0)
	v_mul_f64 v[202:203], v[216:217], v[204:205]
	v_fma_f64 v[202:203], v[214:215], v[222:223], -v[202:203]
	v_mul_f64 v[214:215], v[214:215], v[204:205]
	v_add_f64 v[206:207], v[206:207], -v[202:203]
	v_fma_f64 v[214:215], v[216:217], v[222:223], v[214:215]
	v_add_f64 v[208:209], v[208:209], -v[214:215]
	ds_read2_b64 v[214:217], v1 offset0:6 offset1:7
	s_waitcnt lgkmcnt(0)
	v_mul_f64 v[202:203], v[216:217], v[204:205]
	v_fma_f64 v[202:203], v[214:215], v[222:223], -v[202:203]
	v_mul_f64 v[214:215], v[214:215], v[204:205]
	v_add_f64 v[198:199], v[198:199], -v[202:203]
	v_fma_f64 v[214:215], v[216:217], v[222:223], v[214:215]
	v_add_f64 v[200:201], v[200:201], -v[214:215]
	;; [unrolled: 8-line block ×50, first 2 shown]
	ds_read2_b64 v[214:217], v1 offset0:104 offset1:105
	s_waitcnt lgkmcnt(0)
	v_mul_f64 v[202:203], v[216:217], v[204:205]
	v_fma_f64 v[202:203], v[214:215], v[222:223], -v[202:203]
	v_mul_f64 v[214:215], v[214:215], v[204:205]
	v_add_f64 v[2:3], v[2:3], -v[202:203]
	v_fma_f64 v[214:215], v[216:217], v[222:223], v[214:215]
	v_mov_b32_e32 v202, v222
	v_mov_b32_e32 v203, v223
	v_add_f64 v[4:5], v[4:5], -v[214:215]
.LBB104_41:
	s_or_b32 exec_lo, exec_lo, s0
	v_lshl_add_u32 v214, v228, 4, v1
	s_barrier
	buffer_gl0_inv
	v_mov_b32_e32 v222, 2
	ds_write2_b64 v214, v[206:207], v[208:209] offset1:1
	s_waitcnt lgkmcnt(0)
	s_barrier
	buffer_gl0_inv
	ds_read2_b64 v[214:217], v1 offset0:4 offset1:5
	s_cmp_lt_i32 s8, 4
	s_cbranch_scc1 .LBB104_44
; %bb.42:
	v_add3_u32 v223, v224, 0, 48
	v_mov_b32_e32 v222, 2
	s_mov_b32 s1, 3
	s_inst_prefetch 0x1
	.p2align	6
.LBB104_43:                             ; =>This Inner Loop Header: Depth=1
	s_waitcnt lgkmcnt(0)
	v_cmp_gt_f64_e32 vcc_lo, 0, v[216:217]
	v_cmp_gt_f64_e64 s0, 0, v[214:215]
	ds_read2_b64 v[229:232], v223 offset1:1
	v_xor_b32_e32 v234, 0x80000000, v215
	v_xor_b32_e32 v236, 0x80000000, v217
	v_mov_b32_e32 v233, v214
	v_mov_b32_e32 v235, v216
	v_add_nc_u32_e32 v223, 16, v223
	s_waitcnt lgkmcnt(0)
	v_xor_b32_e32 v238, 0x80000000, v232
	v_cndmask_b32_e64 v234, v215, v234, s0
	v_cndmask_b32_e32 v236, v217, v236, vcc_lo
	v_cmp_gt_f64_e32 vcc_lo, 0, v[231:232]
	v_cmp_gt_f64_e64 s0, 0, v[229:230]
	v_mov_b32_e32 v237, v231
	v_add_f64 v[233:234], v[233:234], v[235:236]
	v_xor_b32_e32 v236, 0x80000000, v230
	v_mov_b32_e32 v235, v229
	v_cndmask_b32_e32 v238, v232, v238, vcc_lo
	v_cndmask_b32_e64 v236, v230, v236, s0
	v_add_f64 v[235:236], v[235:236], v[237:238]
	v_cmp_lt_f64_e32 vcc_lo, v[233:234], v[235:236]
	v_cndmask_b32_e32 v215, v215, v230, vcc_lo
	v_cndmask_b32_e32 v214, v214, v229, vcc_lo
	;; [unrolled: 1-line block ×4, first 2 shown]
	v_cndmask_b32_e64 v222, v222, s1, vcc_lo
	s_add_i32 s1, s1, 1
	s_cmp_lg_u32 s8, s1
	s_cbranch_scc1 .LBB104_43
.LBB104_44:
	s_inst_prefetch 0x2
	s_waitcnt lgkmcnt(0)
	v_cmp_eq_f64_e32 vcc_lo, 0, v[214:215]
	v_cmp_eq_f64_e64 s0, 0, v[216:217]
	s_and_b32 s0, vcc_lo, s0
	s_and_saveexec_b32 s1, s0
	s_xor_b32 s0, exec_lo, s1
; %bb.45:
	v_cmp_ne_u32_e32 vcc_lo, 0, v227
	v_cndmask_b32_e32 v227, 3, v227, vcc_lo
; %bb.46:
	s_andn2_saveexec_b32 s0, s0
	s_cbranch_execz .LBB104_52
; %bb.47:
	v_cmp_ngt_f64_e64 s1, |v[214:215]|, |v[216:217]|
	s_and_saveexec_b32 s7, s1
	s_xor_b32 s1, exec_lo, s7
	s_cbranch_execz .LBB104_49
; %bb.48:
	v_div_scale_f64 v[229:230], null, v[216:217], v[216:217], v[214:215]
	v_div_scale_f64 v[235:236], vcc_lo, v[214:215], v[216:217], v[214:215]
	v_rcp_f64_e32 v[231:232], v[229:230]
	v_fma_f64 v[233:234], -v[229:230], v[231:232], 1.0
	v_fma_f64 v[231:232], v[231:232], v[233:234], v[231:232]
	v_fma_f64 v[233:234], -v[229:230], v[231:232], 1.0
	v_fma_f64 v[231:232], v[231:232], v[233:234], v[231:232]
	v_mul_f64 v[233:234], v[235:236], v[231:232]
	v_fma_f64 v[229:230], -v[229:230], v[233:234], v[235:236]
	v_div_fmas_f64 v[229:230], v[229:230], v[231:232], v[233:234]
	v_div_fixup_f64 v[229:230], v[229:230], v[216:217], v[214:215]
	v_fma_f64 v[214:215], v[214:215], v[229:230], v[216:217]
	v_div_scale_f64 v[216:217], null, v[214:215], v[214:215], 1.0
	v_rcp_f64_e32 v[231:232], v[216:217]
	v_fma_f64 v[233:234], -v[216:217], v[231:232], 1.0
	v_fma_f64 v[231:232], v[231:232], v[233:234], v[231:232]
	v_fma_f64 v[233:234], -v[216:217], v[231:232], 1.0
	v_fma_f64 v[231:232], v[231:232], v[233:234], v[231:232]
	v_div_scale_f64 v[233:234], vcc_lo, 1.0, v[214:215], 1.0
	v_mul_f64 v[235:236], v[233:234], v[231:232]
	v_fma_f64 v[216:217], -v[216:217], v[235:236], v[233:234]
	v_div_fmas_f64 v[216:217], v[216:217], v[231:232], v[235:236]
	v_div_fixup_f64 v[216:217], v[216:217], v[214:215], 1.0
	v_mul_f64 v[214:215], v[229:230], v[216:217]
	v_xor_b32_e32 v217, 0x80000000, v217
.LBB104_49:
	s_andn2_saveexec_b32 s1, s1
	s_cbranch_execz .LBB104_51
; %bb.50:
	v_div_scale_f64 v[229:230], null, v[214:215], v[214:215], v[216:217]
	v_div_scale_f64 v[235:236], vcc_lo, v[216:217], v[214:215], v[216:217]
	v_rcp_f64_e32 v[231:232], v[229:230]
	v_fma_f64 v[233:234], -v[229:230], v[231:232], 1.0
	v_fma_f64 v[231:232], v[231:232], v[233:234], v[231:232]
	v_fma_f64 v[233:234], -v[229:230], v[231:232], 1.0
	v_fma_f64 v[231:232], v[231:232], v[233:234], v[231:232]
	v_mul_f64 v[233:234], v[235:236], v[231:232]
	v_fma_f64 v[229:230], -v[229:230], v[233:234], v[235:236]
	v_div_fmas_f64 v[229:230], v[229:230], v[231:232], v[233:234]
	v_div_fixup_f64 v[229:230], v[229:230], v[214:215], v[216:217]
	v_fma_f64 v[214:215], v[216:217], v[229:230], v[214:215]
	v_div_scale_f64 v[216:217], null, v[214:215], v[214:215], 1.0
	v_rcp_f64_e32 v[231:232], v[216:217]
	v_fma_f64 v[233:234], -v[216:217], v[231:232], 1.0
	v_fma_f64 v[231:232], v[231:232], v[233:234], v[231:232]
	v_fma_f64 v[233:234], -v[216:217], v[231:232], 1.0
	v_fma_f64 v[231:232], v[231:232], v[233:234], v[231:232]
	v_div_scale_f64 v[233:234], vcc_lo, 1.0, v[214:215], 1.0
	v_mul_f64 v[235:236], v[233:234], v[231:232]
	v_fma_f64 v[216:217], -v[216:217], v[235:236], v[233:234]
	v_div_fmas_f64 v[216:217], v[216:217], v[231:232], v[235:236]
	v_div_fixup_f64 v[214:215], v[216:217], v[214:215], 1.0
	v_mul_f64 v[216:217], v[229:230], -v[214:215]
.LBB104_51:
	s_or_b32 exec_lo, exec_lo, s1
.LBB104_52:
	s_or_b32 exec_lo, exec_lo, s0
	s_mov_b32 s0, exec_lo
	v_cmpx_ne_u32_e64 v228, v222
	s_xor_b32 s0, exec_lo, s0
	s_cbranch_execz .LBB104_58
; %bb.53:
	s_mov_b32 s1, exec_lo
	v_cmpx_eq_u32_e32 2, v228
	s_cbranch_execz .LBB104_57
; %bb.54:
	v_cmp_ne_u32_e32 vcc_lo, 2, v222
	s_xor_b32 s7, s16, -1
	s_and_b32 s9, s7, vcc_lo
	s_and_saveexec_b32 s7, s9
	s_cbranch_execz .LBB104_56
; %bb.55:
	v_ashrrev_i32_e32 v223, 31, v222
	v_lshlrev_b64 v[228:229], 2, v[222:223]
	v_add_co_u32 v228, vcc_lo, v220, v228
	v_add_co_ci_u32_e64 v229, null, v221, v229, vcc_lo
	s_clause 0x1
	global_load_dword v0, v[228:229], off
	global_load_dword v223, v[220:221], off offset:8
	s_waitcnt vmcnt(1)
	global_store_dword v[220:221], v0, off offset:8
	s_waitcnt vmcnt(0)
	global_store_dword v[228:229], v223, off
.LBB104_56:
	s_or_b32 exec_lo, exec_lo, s7
	v_mov_b32_e32 v228, v222
	v_mov_b32_e32 v0, v222
.LBB104_57:
	s_or_b32 exec_lo, exec_lo, s1
.LBB104_58:
	s_andn2_saveexec_b32 s0, s0
	s_cbranch_execz .LBB104_60
; %bb.59:
	v_mov_b32_e32 v228, 2
	ds_write2_b64 v1, v[198:199], v[200:201] offset0:6 offset1:7
	ds_write2_b64 v1, v[194:195], v[196:197] offset0:8 offset1:9
	;; [unrolled: 1-line block ×50, first 2 shown]
.LBB104_60:
	s_or_b32 exec_lo, exec_lo, s0
	s_mov_b32 s0, exec_lo
	s_waitcnt lgkmcnt(0)
	s_waitcnt_vscnt null, 0x0
	s_barrier
	buffer_gl0_inv
	v_cmpx_lt_i32_e32 2, v228
	s_cbranch_execz .LBB104_62
; %bb.61:
	v_mul_f64 v[222:223], v[216:217], v[208:209]
	v_mul_f64 v[208:209], v[214:215], v[208:209]
	v_fma_f64 v[222:223], v[214:215], v[206:207], -v[222:223]
	v_fma_f64 v[208:209], v[216:217], v[206:207], v[208:209]
	ds_read2_b64 v[214:217], v1 offset0:6 offset1:7
	s_waitcnt lgkmcnt(0)
	v_mul_f64 v[206:207], v[216:217], v[208:209]
	v_fma_f64 v[206:207], v[214:215], v[222:223], -v[206:207]
	v_mul_f64 v[214:215], v[214:215], v[208:209]
	v_add_f64 v[198:199], v[198:199], -v[206:207]
	v_fma_f64 v[214:215], v[216:217], v[222:223], v[214:215]
	v_add_f64 v[200:201], v[200:201], -v[214:215]
	ds_read2_b64 v[214:217], v1 offset0:8 offset1:9
	s_waitcnt lgkmcnt(0)
	v_mul_f64 v[206:207], v[216:217], v[208:209]
	v_fma_f64 v[206:207], v[214:215], v[222:223], -v[206:207]
	v_mul_f64 v[214:215], v[214:215], v[208:209]
	v_add_f64 v[194:195], v[194:195], -v[206:207]
	v_fma_f64 v[214:215], v[216:217], v[222:223], v[214:215]
	v_add_f64 v[196:197], v[196:197], -v[214:215]
	;; [unrolled: 8-line block ×49, first 2 shown]
	ds_read2_b64 v[214:217], v1 offset0:104 offset1:105
	s_waitcnt lgkmcnt(0)
	v_mul_f64 v[206:207], v[216:217], v[208:209]
	v_fma_f64 v[206:207], v[214:215], v[222:223], -v[206:207]
	v_mul_f64 v[214:215], v[214:215], v[208:209]
	v_add_f64 v[2:3], v[2:3], -v[206:207]
	v_fma_f64 v[214:215], v[216:217], v[222:223], v[214:215]
	v_mov_b32_e32 v206, v222
	v_mov_b32_e32 v207, v223
	v_add_f64 v[4:5], v[4:5], -v[214:215]
.LBB104_62:
	s_or_b32 exec_lo, exec_lo, s0
	v_lshl_add_u32 v214, v228, 4, v1
	s_barrier
	buffer_gl0_inv
	v_mov_b32_e32 v222, 3
	ds_write2_b64 v214, v[198:199], v[200:201] offset1:1
	s_waitcnt lgkmcnt(0)
	s_barrier
	buffer_gl0_inv
	ds_read2_b64 v[214:217], v1 offset0:6 offset1:7
	s_cmp_lt_i32 s8, 5
	s_mov_b32 s1, 4
	s_cbranch_scc1 .LBB104_65
; %bb.63:
	v_add3_u32 v223, v224, 0, 64
	v_mov_b32_e32 v222, 3
	s_inst_prefetch 0x1
	.p2align	6
.LBB104_64:                             ; =>This Inner Loop Header: Depth=1
	s_waitcnt lgkmcnt(0)
	v_cmp_gt_f64_e32 vcc_lo, 0, v[216:217]
	v_cmp_gt_f64_e64 s0, 0, v[214:215]
	ds_read2_b64 v[229:232], v223 offset1:1
	v_xor_b32_e32 v234, 0x80000000, v215
	v_xor_b32_e32 v236, 0x80000000, v217
	v_mov_b32_e32 v233, v214
	v_mov_b32_e32 v235, v216
	v_add_nc_u32_e32 v223, 16, v223
	s_waitcnt lgkmcnt(0)
	v_xor_b32_e32 v238, 0x80000000, v232
	v_cndmask_b32_e64 v234, v215, v234, s0
	v_cndmask_b32_e32 v236, v217, v236, vcc_lo
	v_cmp_gt_f64_e32 vcc_lo, 0, v[231:232]
	v_cmp_gt_f64_e64 s0, 0, v[229:230]
	v_mov_b32_e32 v237, v231
	v_add_f64 v[233:234], v[233:234], v[235:236]
	v_xor_b32_e32 v236, 0x80000000, v230
	v_mov_b32_e32 v235, v229
	v_cndmask_b32_e32 v238, v232, v238, vcc_lo
	v_cndmask_b32_e64 v236, v230, v236, s0
	v_add_f64 v[235:236], v[235:236], v[237:238]
	v_cmp_lt_f64_e32 vcc_lo, v[233:234], v[235:236]
	v_cndmask_b32_e32 v215, v215, v230, vcc_lo
	v_cndmask_b32_e32 v214, v214, v229, vcc_lo
	;; [unrolled: 1-line block ×4, first 2 shown]
	v_cndmask_b32_e64 v222, v222, s1, vcc_lo
	s_add_i32 s1, s1, 1
	s_cmp_lg_u32 s8, s1
	s_cbranch_scc1 .LBB104_64
.LBB104_65:
	s_inst_prefetch 0x2
	s_waitcnt lgkmcnt(0)
	v_cmp_eq_f64_e32 vcc_lo, 0, v[214:215]
	v_cmp_eq_f64_e64 s0, 0, v[216:217]
	s_and_b32 s0, vcc_lo, s0
	s_and_saveexec_b32 s1, s0
	s_xor_b32 s0, exec_lo, s1
; %bb.66:
	v_cmp_ne_u32_e32 vcc_lo, 0, v227
	v_cndmask_b32_e32 v227, 4, v227, vcc_lo
; %bb.67:
	s_andn2_saveexec_b32 s0, s0
	s_cbranch_execz .LBB104_73
; %bb.68:
	v_cmp_ngt_f64_e64 s1, |v[214:215]|, |v[216:217]|
	s_and_saveexec_b32 s7, s1
	s_xor_b32 s1, exec_lo, s7
	s_cbranch_execz .LBB104_70
; %bb.69:
	v_div_scale_f64 v[229:230], null, v[216:217], v[216:217], v[214:215]
	v_div_scale_f64 v[235:236], vcc_lo, v[214:215], v[216:217], v[214:215]
	v_rcp_f64_e32 v[231:232], v[229:230]
	v_fma_f64 v[233:234], -v[229:230], v[231:232], 1.0
	v_fma_f64 v[231:232], v[231:232], v[233:234], v[231:232]
	v_fma_f64 v[233:234], -v[229:230], v[231:232], 1.0
	v_fma_f64 v[231:232], v[231:232], v[233:234], v[231:232]
	v_mul_f64 v[233:234], v[235:236], v[231:232]
	v_fma_f64 v[229:230], -v[229:230], v[233:234], v[235:236]
	v_div_fmas_f64 v[229:230], v[229:230], v[231:232], v[233:234]
	v_div_fixup_f64 v[229:230], v[229:230], v[216:217], v[214:215]
	v_fma_f64 v[214:215], v[214:215], v[229:230], v[216:217]
	v_div_scale_f64 v[216:217], null, v[214:215], v[214:215], 1.0
	v_rcp_f64_e32 v[231:232], v[216:217]
	v_fma_f64 v[233:234], -v[216:217], v[231:232], 1.0
	v_fma_f64 v[231:232], v[231:232], v[233:234], v[231:232]
	v_fma_f64 v[233:234], -v[216:217], v[231:232], 1.0
	v_fma_f64 v[231:232], v[231:232], v[233:234], v[231:232]
	v_div_scale_f64 v[233:234], vcc_lo, 1.0, v[214:215], 1.0
	v_mul_f64 v[235:236], v[233:234], v[231:232]
	v_fma_f64 v[216:217], -v[216:217], v[235:236], v[233:234]
	v_div_fmas_f64 v[216:217], v[216:217], v[231:232], v[235:236]
	v_div_fixup_f64 v[216:217], v[216:217], v[214:215], 1.0
	v_mul_f64 v[214:215], v[229:230], v[216:217]
	v_xor_b32_e32 v217, 0x80000000, v217
.LBB104_70:
	s_andn2_saveexec_b32 s1, s1
	s_cbranch_execz .LBB104_72
; %bb.71:
	v_div_scale_f64 v[229:230], null, v[214:215], v[214:215], v[216:217]
	v_div_scale_f64 v[235:236], vcc_lo, v[216:217], v[214:215], v[216:217]
	v_rcp_f64_e32 v[231:232], v[229:230]
	v_fma_f64 v[233:234], -v[229:230], v[231:232], 1.0
	v_fma_f64 v[231:232], v[231:232], v[233:234], v[231:232]
	v_fma_f64 v[233:234], -v[229:230], v[231:232], 1.0
	v_fma_f64 v[231:232], v[231:232], v[233:234], v[231:232]
	v_mul_f64 v[233:234], v[235:236], v[231:232]
	v_fma_f64 v[229:230], -v[229:230], v[233:234], v[235:236]
	v_div_fmas_f64 v[229:230], v[229:230], v[231:232], v[233:234]
	v_div_fixup_f64 v[229:230], v[229:230], v[214:215], v[216:217]
	v_fma_f64 v[214:215], v[216:217], v[229:230], v[214:215]
	v_div_scale_f64 v[216:217], null, v[214:215], v[214:215], 1.0
	v_rcp_f64_e32 v[231:232], v[216:217]
	v_fma_f64 v[233:234], -v[216:217], v[231:232], 1.0
	v_fma_f64 v[231:232], v[231:232], v[233:234], v[231:232]
	v_fma_f64 v[233:234], -v[216:217], v[231:232], 1.0
	v_fma_f64 v[231:232], v[231:232], v[233:234], v[231:232]
	v_div_scale_f64 v[233:234], vcc_lo, 1.0, v[214:215], 1.0
	v_mul_f64 v[235:236], v[233:234], v[231:232]
	v_fma_f64 v[216:217], -v[216:217], v[235:236], v[233:234]
	v_div_fmas_f64 v[216:217], v[216:217], v[231:232], v[235:236]
	v_div_fixup_f64 v[214:215], v[216:217], v[214:215], 1.0
	v_mul_f64 v[216:217], v[229:230], -v[214:215]
.LBB104_72:
	s_or_b32 exec_lo, exec_lo, s1
.LBB104_73:
	s_or_b32 exec_lo, exec_lo, s0
	s_mov_b32 s0, exec_lo
	v_cmpx_ne_u32_e64 v228, v222
	s_xor_b32 s0, exec_lo, s0
	s_cbranch_execz .LBB104_79
; %bb.74:
	s_mov_b32 s1, exec_lo
	v_cmpx_eq_u32_e32 3, v228
	s_cbranch_execz .LBB104_78
; %bb.75:
	v_cmp_ne_u32_e32 vcc_lo, 3, v222
	s_xor_b32 s7, s16, -1
	s_and_b32 s9, s7, vcc_lo
	s_and_saveexec_b32 s7, s9
	s_cbranch_execz .LBB104_77
; %bb.76:
	v_ashrrev_i32_e32 v223, 31, v222
	v_lshlrev_b64 v[228:229], 2, v[222:223]
	v_add_co_u32 v228, vcc_lo, v220, v228
	v_add_co_ci_u32_e64 v229, null, v221, v229, vcc_lo
	s_clause 0x1
	global_load_dword v0, v[228:229], off
	global_load_dword v223, v[220:221], off offset:12
	s_waitcnt vmcnt(1)
	global_store_dword v[220:221], v0, off offset:12
	s_waitcnt vmcnt(0)
	global_store_dword v[228:229], v223, off
.LBB104_77:
	s_or_b32 exec_lo, exec_lo, s7
	v_mov_b32_e32 v228, v222
	v_mov_b32_e32 v0, v222
.LBB104_78:
	s_or_b32 exec_lo, exec_lo, s1
.LBB104_79:
	s_andn2_saveexec_b32 s0, s0
	s_cbranch_execz .LBB104_81
; %bb.80:
	v_mov_b32_e32 v228, 3
	ds_write2_b64 v1, v[194:195], v[196:197] offset0:8 offset1:9
	ds_write2_b64 v1, v[190:191], v[192:193] offset0:10 offset1:11
	;; [unrolled: 1-line block ×49, first 2 shown]
.LBB104_81:
	s_or_b32 exec_lo, exec_lo, s0
	s_mov_b32 s0, exec_lo
	s_waitcnt lgkmcnt(0)
	s_waitcnt_vscnt null, 0x0
	s_barrier
	buffer_gl0_inv
	v_cmpx_lt_i32_e32 3, v228
	s_cbranch_execz .LBB104_83
; %bb.82:
	v_mul_f64 v[222:223], v[216:217], v[200:201]
	v_mul_f64 v[200:201], v[214:215], v[200:201]
	v_fma_f64 v[222:223], v[214:215], v[198:199], -v[222:223]
	v_fma_f64 v[200:201], v[216:217], v[198:199], v[200:201]
	ds_read2_b64 v[214:217], v1 offset0:8 offset1:9
	s_waitcnt lgkmcnt(0)
	v_mul_f64 v[198:199], v[216:217], v[200:201]
	v_fma_f64 v[198:199], v[214:215], v[222:223], -v[198:199]
	v_mul_f64 v[214:215], v[214:215], v[200:201]
	v_add_f64 v[194:195], v[194:195], -v[198:199]
	v_fma_f64 v[214:215], v[216:217], v[222:223], v[214:215]
	v_add_f64 v[196:197], v[196:197], -v[214:215]
	ds_read2_b64 v[214:217], v1 offset0:10 offset1:11
	s_waitcnt lgkmcnt(0)
	v_mul_f64 v[198:199], v[216:217], v[200:201]
	v_fma_f64 v[198:199], v[214:215], v[222:223], -v[198:199]
	v_mul_f64 v[214:215], v[214:215], v[200:201]
	v_add_f64 v[190:191], v[190:191], -v[198:199]
	v_fma_f64 v[214:215], v[216:217], v[222:223], v[214:215]
	v_add_f64 v[192:193], v[192:193], -v[214:215]
	ds_read2_b64 v[214:217], v1 offset0:12 offset1:13
	s_waitcnt lgkmcnt(0)
	v_mul_f64 v[198:199], v[216:217], v[200:201]
	v_fma_f64 v[198:199], v[214:215], v[222:223], -v[198:199]
	v_mul_f64 v[214:215], v[214:215], v[200:201]
	v_add_f64 v[186:187], v[186:187], -v[198:199]
	v_fma_f64 v[214:215], v[216:217], v[222:223], v[214:215]
	v_add_f64 v[188:189], v[188:189], -v[214:215]
	ds_read2_b64 v[214:217], v1 offset0:14 offset1:15
	s_waitcnt lgkmcnt(0)
	v_mul_f64 v[198:199], v[216:217], v[200:201]
	v_fma_f64 v[198:199], v[214:215], v[222:223], -v[198:199]
	v_mul_f64 v[214:215], v[214:215], v[200:201]
	v_add_f64 v[182:183], v[182:183], -v[198:199]
	v_fma_f64 v[214:215], v[216:217], v[222:223], v[214:215]
	v_add_f64 v[184:185], v[184:185], -v[214:215]
	ds_read2_b64 v[214:217], v1 offset0:16 offset1:17
	s_waitcnt lgkmcnt(0)
	v_mul_f64 v[198:199], v[216:217], v[200:201]
	v_fma_f64 v[198:199], v[214:215], v[222:223], -v[198:199]
	v_mul_f64 v[214:215], v[214:215], v[200:201]
	v_add_f64 v[178:179], v[178:179], -v[198:199]
	v_fma_f64 v[214:215], v[216:217], v[222:223], v[214:215]
	v_add_f64 v[180:181], v[180:181], -v[214:215]
	ds_read2_b64 v[214:217], v1 offset0:18 offset1:19
	s_waitcnt lgkmcnt(0)
	v_mul_f64 v[198:199], v[216:217], v[200:201]
	v_fma_f64 v[198:199], v[214:215], v[222:223], -v[198:199]
	v_mul_f64 v[214:215], v[214:215], v[200:201]
	v_add_f64 v[174:175], v[174:175], -v[198:199]
	v_fma_f64 v[214:215], v[216:217], v[222:223], v[214:215]
	v_add_f64 v[176:177], v[176:177], -v[214:215]
	ds_read2_b64 v[214:217], v1 offset0:20 offset1:21
	s_waitcnt lgkmcnt(0)
	v_mul_f64 v[198:199], v[216:217], v[200:201]
	v_fma_f64 v[198:199], v[214:215], v[222:223], -v[198:199]
	v_mul_f64 v[214:215], v[214:215], v[200:201]
	v_add_f64 v[170:171], v[170:171], -v[198:199]
	v_fma_f64 v[214:215], v[216:217], v[222:223], v[214:215]
	v_add_f64 v[172:173], v[172:173], -v[214:215]
	ds_read2_b64 v[214:217], v1 offset0:22 offset1:23
	s_waitcnt lgkmcnt(0)
	v_mul_f64 v[198:199], v[216:217], v[200:201]
	v_fma_f64 v[198:199], v[214:215], v[222:223], -v[198:199]
	v_mul_f64 v[214:215], v[214:215], v[200:201]
	v_add_f64 v[166:167], v[166:167], -v[198:199]
	v_fma_f64 v[214:215], v[216:217], v[222:223], v[214:215]
	v_add_f64 v[168:169], v[168:169], -v[214:215]
	ds_read2_b64 v[214:217], v1 offset0:24 offset1:25
	s_waitcnt lgkmcnt(0)
	v_mul_f64 v[198:199], v[216:217], v[200:201]
	v_fma_f64 v[198:199], v[214:215], v[222:223], -v[198:199]
	v_mul_f64 v[214:215], v[214:215], v[200:201]
	v_add_f64 v[162:163], v[162:163], -v[198:199]
	v_fma_f64 v[214:215], v[216:217], v[222:223], v[214:215]
	v_add_f64 v[164:165], v[164:165], -v[214:215]
	ds_read2_b64 v[214:217], v1 offset0:26 offset1:27
	s_waitcnt lgkmcnt(0)
	v_mul_f64 v[198:199], v[216:217], v[200:201]
	v_fma_f64 v[198:199], v[214:215], v[222:223], -v[198:199]
	v_mul_f64 v[214:215], v[214:215], v[200:201]
	v_add_f64 v[158:159], v[158:159], -v[198:199]
	v_fma_f64 v[214:215], v[216:217], v[222:223], v[214:215]
	v_add_f64 v[160:161], v[160:161], -v[214:215]
	ds_read2_b64 v[214:217], v1 offset0:28 offset1:29
	s_waitcnt lgkmcnt(0)
	v_mul_f64 v[198:199], v[216:217], v[200:201]
	v_fma_f64 v[198:199], v[214:215], v[222:223], -v[198:199]
	v_mul_f64 v[214:215], v[214:215], v[200:201]
	v_add_f64 v[154:155], v[154:155], -v[198:199]
	v_fma_f64 v[214:215], v[216:217], v[222:223], v[214:215]
	v_add_f64 v[156:157], v[156:157], -v[214:215]
	ds_read2_b64 v[214:217], v1 offset0:30 offset1:31
	s_waitcnt lgkmcnt(0)
	v_mul_f64 v[198:199], v[216:217], v[200:201]
	v_fma_f64 v[198:199], v[214:215], v[222:223], -v[198:199]
	v_mul_f64 v[214:215], v[214:215], v[200:201]
	v_add_f64 v[150:151], v[150:151], -v[198:199]
	v_fma_f64 v[214:215], v[216:217], v[222:223], v[214:215]
	v_add_f64 v[152:153], v[152:153], -v[214:215]
	ds_read2_b64 v[214:217], v1 offset0:32 offset1:33
	s_waitcnt lgkmcnt(0)
	v_mul_f64 v[198:199], v[216:217], v[200:201]
	v_fma_f64 v[198:199], v[214:215], v[222:223], -v[198:199]
	v_mul_f64 v[214:215], v[214:215], v[200:201]
	v_add_f64 v[146:147], v[146:147], -v[198:199]
	v_fma_f64 v[214:215], v[216:217], v[222:223], v[214:215]
	v_add_f64 v[148:149], v[148:149], -v[214:215]
	ds_read2_b64 v[214:217], v1 offset0:34 offset1:35
	s_waitcnt lgkmcnt(0)
	v_mul_f64 v[198:199], v[216:217], v[200:201]
	v_fma_f64 v[198:199], v[214:215], v[222:223], -v[198:199]
	v_mul_f64 v[214:215], v[214:215], v[200:201]
	v_add_f64 v[142:143], v[142:143], -v[198:199]
	v_fma_f64 v[214:215], v[216:217], v[222:223], v[214:215]
	v_add_f64 v[144:145], v[144:145], -v[214:215]
	ds_read2_b64 v[214:217], v1 offset0:36 offset1:37
	s_waitcnt lgkmcnt(0)
	v_mul_f64 v[198:199], v[216:217], v[200:201]
	v_fma_f64 v[198:199], v[214:215], v[222:223], -v[198:199]
	v_mul_f64 v[214:215], v[214:215], v[200:201]
	v_add_f64 v[138:139], v[138:139], -v[198:199]
	v_fma_f64 v[214:215], v[216:217], v[222:223], v[214:215]
	v_add_f64 v[140:141], v[140:141], -v[214:215]
	ds_read2_b64 v[214:217], v1 offset0:38 offset1:39
	s_waitcnt lgkmcnt(0)
	v_mul_f64 v[198:199], v[216:217], v[200:201]
	v_fma_f64 v[198:199], v[214:215], v[222:223], -v[198:199]
	v_mul_f64 v[214:215], v[214:215], v[200:201]
	v_add_f64 v[134:135], v[134:135], -v[198:199]
	v_fma_f64 v[214:215], v[216:217], v[222:223], v[214:215]
	v_add_f64 v[136:137], v[136:137], -v[214:215]
	ds_read2_b64 v[214:217], v1 offset0:40 offset1:41
	s_waitcnt lgkmcnt(0)
	v_mul_f64 v[198:199], v[216:217], v[200:201]
	v_fma_f64 v[198:199], v[214:215], v[222:223], -v[198:199]
	v_mul_f64 v[214:215], v[214:215], v[200:201]
	v_add_f64 v[130:131], v[130:131], -v[198:199]
	v_fma_f64 v[214:215], v[216:217], v[222:223], v[214:215]
	v_add_f64 v[132:133], v[132:133], -v[214:215]
	ds_read2_b64 v[214:217], v1 offset0:42 offset1:43
	s_waitcnt lgkmcnt(0)
	v_mul_f64 v[198:199], v[216:217], v[200:201]
	v_fma_f64 v[198:199], v[214:215], v[222:223], -v[198:199]
	v_mul_f64 v[214:215], v[214:215], v[200:201]
	v_add_f64 v[126:127], v[126:127], -v[198:199]
	v_fma_f64 v[214:215], v[216:217], v[222:223], v[214:215]
	v_add_f64 v[128:129], v[128:129], -v[214:215]
	ds_read2_b64 v[214:217], v1 offset0:44 offset1:45
	s_waitcnt lgkmcnt(0)
	v_mul_f64 v[198:199], v[216:217], v[200:201]
	v_fma_f64 v[198:199], v[214:215], v[222:223], -v[198:199]
	v_mul_f64 v[214:215], v[214:215], v[200:201]
	v_add_f64 v[122:123], v[122:123], -v[198:199]
	v_fma_f64 v[214:215], v[216:217], v[222:223], v[214:215]
	v_add_f64 v[124:125], v[124:125], -v[214:215]
	ds_read2_b64 v[214:217], v1 offset0:46 offset1:47
	s_waitcnt lgkmcnt(0)
	v_mul_f64 v[198:199], v[216:217], v[200:201]
	v_fma_f64 v[198:199], v[214:215], v[222:223], -v[198:199]
	v_mul_f64 v[214:215], v[214:215], v[200:201]
	v_add_f64 v[118:119], v[118:119], -v[198:199]
	v_fma_f64 v[214:215], v[216:217], v[222:223], v[214:215]
	v_add_f64 v[120:121], v[120:121], -v[214:215]
	ds_read2_b64 v[214:217], v1 offset0:48 offset1:49
	s_waitcnt lgkmcnt(0)
	v_mul_f64 v[198:199], v[216:217], v[200:201]
	v_fma_f64 v[198:199], v[214:215], v[222:223], -v[198:199]
	v_mul_f64 v[214:215], v[214:215], v[200:201]
	v_add_f64 v[114:115], v[114:115], -v[198:199]
	v_fma_f64 v[214:215], v[216:217], v[222:223], v[214:215]
	v_add_f64 v[116:117], v[116:117], -v[214:215]
	ds_read2_b64 v[214:217], v1 offset0:50 offset1:51
	s_waitcnt lgkmcnt(0)
	v_mul_f64 v[198:199], v[216:217], v[200:201]
	v_fma_f64 v[198:199], v[214:215], v[222:223], -v[198:199]
	v_mul_f64 v[214:215], v[214:215], v[200:201]
	v_add_f64 v[110:111], v[110:111], -v[198:199]
	v_fma_f64 v[214:215], v[216:217], v[222:223], v[214:215]
	v_add_f64 v[112:113], v[112:113], -v[214:215]
	ds_read2_b64 v[214:217], v1 offset0:52 offset1:53
	s_waitcnt lgkmcnt(0)
	v_mul_f64 v[198:199], v[216:217], v[200:201]
	v_fma_f64 v[198:199], v[214:215], v[222:223], -v[198:199]
	v_mul_f64 v[214:215], v[214:215], v[200:201]
	v_add_f64 v[106:107], v[106:107], -v[198:199]
	v_fma_f64 v[214:215], v[216:217], v[222:223], v[214:215]
	v_add_f64 v[108:109], v[108:109], -v[214:215]
	ds_read2_b64 v[214:217], v1 offset0:54 offset1:55
	s_waitcnt lgkmcnt(0)
	v_mul_f64 v[198:199], v[216:217], v[200:201]
	v_fma_f64 v[198:199], v[214:215], v[222:223], -v[198:199]
	v_mul_f64 v[214:215], v[214:215], v[200:201]
	v_add_f64 v[102:103], v[102:103], -v[198:199]
	v_fma_f64 v[214:215], v[216:217], v[222:223], v[214:215]
	v_add_f64 v[104:105], v[104:105], -v[214:215]
	ds_read2_b64 v[214:217], v1 offset0:56 offset1:57
	s_waitcnt lgkmcnt(0)
	v_mul_f64 v[198:199], v[216:217], v[200:201]
	v_fma_f64 v[198:199], v[214:215], v[222:223], -v[198:199]
	v_mul_f64 v[214:215], v[214:215], v[200:201]
	v_add_f64 v[98:99], v[98:99], -v[198:199]
	v_fma_f64 v[214:215], v[216:217], v[222:223], v[214:215]
	v_add_f64 v[100:101], v[100:101], -v[214:215]
	ds_read2_b64 v[214:217], v1 offset0:58 offset1:59
	s_waitcnt lgkmcnt(0)
	v_mul_f64 v[198:199], v[216:217], v[200:201]
	v_fma_f64 v[198:199], v[214:215], v[222:223], -v[198:199]
	v_mul_f64 v[214:215], v[214:215], v[200:201]
	v_add_f64 v[94:95], v[94:95], -v[198:199]
	v_fma_f64 v[214:215], v[216:217], v[222:223], v[214:215]
	v_add_f64 v[96:97], v[96:97], -v[214:215]
	ds_read2_b64 v[214:217], v1 offset0:60 offset1:61
	s_waitcnt lgkmcnt(0)
	v_mul_f64 v[198:199], v[216:217], v[200:201]
	v_fma_f64 v[198:199], v[214:215], v[222:223], -v[198:199]
	v_mul_f64 v[214:215], v[214:215], v[200:201]
	v_add_f64 v[90:91], v[90:91], -v[198:199]
	v_fma_f64 v[214:215], v[216:217], v[222:223], v[214:215]
	v_add_f64 v[92:93], v[92:93], -v[214:215]
	ds_read2_b64 v[214:217], v1 offset0:62 offset1:63
	s_waitcnt lgkmcnt(0)
	v_mul_f64 v[198:199], v[216:217], v[200:201]
	v_fma_f64 v[198:199], v[214:215], v[222:223], -v[198:199]
	v_mul_f64 v[214:215], v[214:215], v[200:201]
	v_add_f64 v[86:87], v[86:87], -v[198:199]
	v_fma_f64 v[214:215], v[216:217], v[222:223], v[214:215]
	v_add_f64 v[88:89], v[88:89], -v[214:215]
	ds_read2_b64 v[214:217], v1 offset0:64 offset1:65
	s_waitcnt lgkmcnt(0)
	v_mul_f64 v[198:199], v[216:217], v[200:201]
	v_fma_f64 v[198:199], v[214:215], v[222:223], -v[198:199]
	v_mul_f64 v[214:215], v[214:215], v[200:201]
	v_add_f64 v[82:83], v[82:83], -v[198:199]
	v_fma_f64 v[214:215], v[216:217], v[222:223], v[214:215]
	v_add_f64 v[84:85], v[84:85], -v[214:215]
	ds_read2_b64 v[214:217], v1 offset0:66 offset1:67
	s_waitcnt lgkmcnt(0)
	v_mul_f64 v[198:199], v[216:217], v[200:201]
	v_fma_f64 v[198:199], v[214:215], v[222:223], -v[198:199]
	v_mul_f64 v[214:215], v[214:215], v[200:201]
	v_add_f64 v[78:79], v[78:79], -v[198:199]
	v_fma_f64 v[214:215], v[216:217], v[222:223], v[214:215]
	v_add_f64 v[80:81], v[80:81], -v[214:215]
	ds_read2_b64 v[214:217], v1 offset0:68 offset1:69
	s_waitcnt lgkmcnt(0)
	v_mul_f64 v[198:199], v[216:217], v[200:201]
	v_fma_f64 v[198:199], v[214:215], v[222:223], -v[198:199]
	v_mul_f64 v[214:215], v[214:215], v[200:201]
	v_add_f64 v[74:75], v[74:75], -v[198:199]
	v_fma_f64 v[214:215], v[216:217], v[222:223], v[214:215]
	v_add_f64 v[76:77], v[76:77], -v[214:215]
	ds_read2_b64 v[214:217], v1 offset0:70 offset1:71
	s_waitcnt lgkmcnt(0)
	v_mul_f64 v[198:199], v[216:217], v[200:201]
	v_fma_f64 v[198:199], v[214:215], v[222:223], -v[198:199]
	v_mul_f64 v[214:215], v[214:215], v[200:201]
	v_add_f64 v[70:71], v[70:71], -v[198:199]
	v_fma_f64 v[214:215], v[216:217], v[222:223], v[214:215]
	v_add_f64 v[72:73], v[72:73], -v[214:215]
	ds_read2_b64 v[214:217], v1 offset0:72 offset1:73
	s_waitcnt lgkmcnt(0)
	v_mul_f64 v[198:199], v[216:217], v[200:201]
	v_fma_f64 v[198:199], v[214:215], v[222:223], -v[198:199]
	v_mul_f64 v[214:215], v[214:215], v[200:201]
	v_add_f64 v[66:67], v[66:67], -v[198:199]
	v_fma_f64 v[214:215], v[216:217], v[222:223], v[214:215]
	v_add_f64 v[68:69], v[68:69], -v[214:215]
	ds_read2_b64 v[214:217], v1 offset0:74 offset1:75
	s_waitcnt lgkmcnt(0)
	v_mul_f64 v[198:199], v[216:217], v[200:201]
	v_fma_f64 v[198:199], v[214:215], v[222:223], -v[198:199]
	v_mul_f64 v[214:215], v[214:215], v[200:201]
	v_add_f64 v[62:63], v[62:63], -v[198:199]
	v_fma_f64 v[214:215], v[216:217], v[222:223], v[214:215]
	v_add_f64 v[64:65], v[64:65], -v[214:215]
	ds_read2_b64 v[214:217], v1 offset0:76 offset1:77
	s_waitcnt lgkmcnt(0)
	v_mul_f64 v[198:199], v[216:217], v[200:201]
	v_fma_f64 v[198:199], v[214:215], v[222:223], -v[198:199]
	v_mul_f64 v[214:215], v[214:215], v[200:201]
	v_add_f64 v[58:59], v[58:59], -v[198:199]
	v_fma_f64 v[214:215], v[216:217], v[222:223], v[214:215]
	v_add_f64 v[60:61], v[60:61], -v[214:215]
	ds_read2_b64 v[214:217], v1 offset0:78 offset1:79
	s_waitcnt lgkmcnt(0)
	v_mul_f64 v[198:199], v[216:217], v[200:201]
	v_fma_f64 v[198:199], v[214:215], v[222:223], -v[198:199]
	v_mul_f64 v[214:215], v[214:215], v[200:201]
	v_add_f64 v[54:55], v[54:55], -v[198:199]
	v_fma_f64 v[214:215], v[216:217], v[222:223], v[214:215]
	v_add_f64 v[56:57], v[56:57], -v[214:215]
	ds_read2_b64 v[214:217], v1 offset0:80 offset1:81
	s_waitcnt lgkmcnt(0)
	v_mul_f64 v[198:199], v[216:217], v[200:201]
	v_fma_f64 v[198:199], v[214:215], v[222:223], -v[198:199]
	v_mul_f64 v[214:215], v[214:215], v[200:201]
	v_add_f64 v[50:51], v[50:51], -v[198:199]
	v_fma_f64 v[214:215], v[216:217], v[222:223], v[214:215]
	v_add_f64 v[52:53], v[52:53], -v[214:215]
	ds_read2_b64 v[214:217], v1 offset0:82 offset1:83
	s_waitcnt lgkmcnt(0)
	v_mul_f64 v[198:199], v[216:217], v[200:201]
	v_fma_f64 v[198:199], v[214:215], v[222:223], -v[198:199]
	v_mul_f64 v[214:215], v[214:215], v[200:201]
	v_add_f64 v[46:47], v[46:47], -v[198:199]
	v_fma_f64 v[214:215], v[216:217], v[222:223], v[214:215]
	v_add_f64 v[48:49], v[48:49], -v[214:215]
	ds_read2_b64 v[214:217], v1 offset0:84 offset1:85
	s_waitcnt lgkmcnt(0)
	v_mul_f64 v[198:199], v[216:217], v[200:201]
	v_fma_f64 v[198:199], v[214:215], v[222:223], -v[198:199]
	v_mul_f64 v[214:215], v[214:215], v[200:201]
	v_add_f64 v[42:43], v[42:43], -v[198:199]
	v_fma_f64 v[214:215], v[216:217], v[222:223], v[214:215]
	v_add_f64 v[44:45], v[44:45], -v[214:215]
	ds_read2_b64 v[214:217], v1 offset0:86 offset1:87
	s_waitcnt lgkmcnt(0)
	v_mul_f64 v[198:199], v[216:217], v[200:201]
	v_fma_f64 v[198:199], v[214:215], v[222:223], -v[198:199]
	v_mul_f64 v[214:215], v[214:215], v[200:201]
	v_add_f64 v[38:39], v[38:39], -v[198:199]
	v_fma_f64 v[214:215], v[216:217], v[222:223], v[214:215]
	v_add_f64 v[40:41], v[40:41], -v[214:215]
	ds_read2_b64 v[214:217], v1 offset0:88 offset1:89
	s_waitcnt lgkmcnt(0)
	v_mul_f64 v[198:199], v[216:217], v[200:201]
	v_fma_f64 v[198:199], v[214:215], v[222:223], -v[198:199]
	v_mul_f64 v[214:215], v[214:215], v[200:201]
	v_add_f64 v[34:35], v[34:35], -v[198:199]
	v_fma_f64 v[214:215], v[216:217], v[222:223], v[214:215]
	v_add_f64 v[36:37], v[36:37], -v[214:215]
	ds_read2_b64 v[214:217], v1 offset0:90 offset1:91
	s_waitcnt lgkmcnt(0)
	v_mul_f64 v[198:199], v[216:217], v[200:201]
	v_fma_f64 v[198:199], v[214:215], v[222:223], -v[198:199]
	v_mul_f64 v[214:215], v[214:215], v[200:201]
	v_add_f64 v[30:31], v[30:31], -v[198:199]
	v_fma_f64 v[214:215], v[216:217], v[222:223], v[214:215]
	v_add_f64 v[32:33], v[32:33], -v[214:215]
	ds_read2_b64 v[214:217], v1 offset0:92 offset1:93
	s_waitcnt lgkmcnt(0)
	v_mul_f64 v[198:199], v[216:217], v[200:201]
	v_fma_f64 v[198:199], v[214:215], v[222:223], -v[198:199]
	v_mul_f64 v[214:215], v[214:215], v[200:201]
	v_add_f64 v[26:27], v[26:27], -v[198:199]
	v_fma_f64 v[214:215], v[216:217], v[222:223], v[214:215]
	v_add_f64 v[28:29], v[28:29], -v[214:215]
	ds_read2_b64 v[214:217], v1 offset0:94 offset1:95
	s_waitcnt lgkmcnt(0)
	v_mul_f64 v[198:199], v[216:217], v[200:201]
	v_fma_f64 v[198:199], v[214:215], v[222:223], -v[198:199]
	v_mul_f64 v[214:215], v[214:215], v[200:201]
	v_add_f64 v[22:23], v[22:23], -v[198:199]
	v_fma_f64 v[214:215], v[216:217], v[222:223], v[214:215]
	v_add_f64 v[24:25], v[24:25], -v[214:215]
	ds_read2_b64 v[214:217], v1 offset0:96 offset1:97
	s_waitcnt lgkmcnt(0)
	v_mul_f64 v[198:199], v[216:217], v[200:201]
	v_fma_f64 v[198:199], v[214:215], v[222:223], -v[198:199]
	v_mul_f64 v[214:215], v[214:215], v[200:201]
	v_add_f64 v[18:19], v[18:19], -v[198:199]
	v_fma_f64 v[214:215], v[216:217], v[222:223], v[214:215]
	v_add_f64 v[20:21], v[20:21], -v[214:215]
	ds_read2_b64 v[214:217], v1 offset0:98 offset1:99
	s_waitcnt lgkmcnt(0)
	v_mul_f64 v[198:199], v[216:217], v[200:201]
	v_fma_f64 v[198:199], v[214:215], v[222:223], -v[198:199]
	v_mul_f64 v[214:215], v[214:215], v[200:201]
	v_add_f64 v[14:15], v[14:15], -v[198:199]
	v_fma_f64 v[214:215], v[216:217], v[222:223], v[214:215]
	v_add_f64 v[16:17], v[16:17], -v[214:215]
	ds_read2_b64 v[214:217], v1 offset0:100 offset1:101
	s_waitcnt lgkmcnt(0)
	v_mul_f64 v[198:199], v[216:217], v[200:201]
	v_fma_f64 v[198:199], v[214:215], v[222:223], -v[198:199]
	v_mul_f64 v[214:215], v[214:215], v[200:201]
	v_add_f64 v[10:11], v[10:11], -v[198:199]
	v_fma_f64 v[214:215], v[216:217], v[222:223], v[214:215]
	v_add_f64 v[12:13], v[12:13], -v[214:215]
	ds_read2_b64 v[214:217], v1 offset0:102 offset1:103
	s_waitcnt lgkmcnt(0)
	v_mul_f64 v[198:199], v[216:217], v[200:201]
	v_fma_f64 v[198:199], v[214:215], v[222:223], -v[198:199]
	v_mul_f64 v[214:215], v[214:215], v[200:201]
	v_add_f64 v[6:7], v[6:7], -v[198:199]
	v_fma_f64 v[214:215], v[216:217], v[222:223], v[214:215]
	v_add_f64 v[8:9], v[8:9], -v[214:215]
	ds_read2_b64 v[214:217], v1 offset0:104 offset1:105
	s_waitcnt lgkmcnt(0)
	v_mul_f64 v[198:199], v[216:217], v[200:201]
	v_fma_f64 v[198:199], v[214:215], v[222:223], -v[198:199]
	v_mul_f64 v[214:215], v[214:215], v[200:201]
	v_add_f64 v[2:3], v[2:3], -v[198:199]
	v_fma_f64 v[214:215], v[216:217], v[222:223], v[214:215]
	v_mov_b32_e32 v198, v222
	v_mov_b32_e32 v199, v223
	v_add_f64 v[4:5], v[4:5], -v[214:215]
.LBB104_83:
	s_or_b32 exec_lo, exec_lo, s0
	v_lshl_add_u32 v214, v228, 4, v1
	s_barrier
	buffer_gl0_inv
	v_mov_b32_e32 v222, 4
	ds_write2_b64 v214, v[194:195], v[196:197] offset1:1
	s_waitcnt lgkmcnt(0)
	s_barrier
	buffer_gl0_inv
	ds_read2_b64 v[214:217], v1 offset0:8 offset1:9
	s_cmp_lt_i32 s8, 6
	s_cbranch_scc1 .LBB104_86
; %bb.84:
	v_mov_b32_e32 v222, 4
	v_add3_u32 v223, v224, 0, 0x50
	s_mov_b32 s1, 5
	s_inst_prefetch 0x1
	.p2align	6
.LBB104_85:                             ; =>This Inner Loop Header: Depth=1
	s_waitcnt lgkmcnt(0)
	v_cmp_gt_f64_e32 vcc_lo, 0, v[216:217]
	v_cmp_gt_f64_e64 s0, 0, v[214:215]
	ds_read2_b64 v[229:232], v223 offset1:1
	v_xor_b32_e32 v234, 0x80000000, v215
	v_xor_b32_e32 v236, 0x80000000, v217
	v_mov_b32_e32 v233, v214
	v_mov_b32_e32 v235, v216
	v_add_nc_u32_e32 v223, 16, v223
	s_waitcnt lgkmcnt(0)
	v_xor_b32_e32 v238, 0x80000000, v232
	v_cndmask_b32_e64 v234, v215, v234, s0
	v_cndmask_b32_e32 v236, v217, v236, vcc_lo
	v_cmp_gt_f64_e32 vcc_lo, 0, v[231:232]
	v_cmp_gt_f64_e64 s0, 0, v[229:230]
	v_mov_b32_e32 v237, v231
	v_add_f64 v[233:234], v[233:234], v[235:236]
	v_xor_b32_e32 v236, 0x80000000, v230
	v_mov_b32_e32 v235, v229
	v_cndmask_b32_e32 v238, v232, v238, vcc_lo
	v_cndmask_b32_e64 v236, v230, v236, s0
	v_add_f64 v[235:236], v[235:236], v[237:238]
	v_cmp_lt_f64_e32 vcc_lo, v[233:234], v[235:236]
	v_cndmask_b32_e32 v215, v215, v230, vcc_lo
	v_cndmask_b32_e32 v214, v214, v229, vcc_lo
	v_cndmask_b32_e32 v217, v217, v232, vcc_lo
	v_cndmask_b32_e32 v216, v216, v231, vcc_lo
	v_cndmask_b32_e64 v222, v222, s1, vcc_lo
	s_add_i32 s1, s1, 1
	s_cmp_lg_u32 s8, s1
	s_cbranch_scc1 .LBB104_85
.LBB104_86:
	s_inst_prefetch 0x2
	s_waitcnt lgkmcnt(0)
	v_cmp_eq_f64_e32 vcc_lo, 0, v[214:215]
	v_cmp_eq_f64_e64 s0, 0, v[216:217]
	s_and_b32 s0, vcc_lo, s0
	s_and_saveexec_b32 s1, s0
	s_xor_b32 s0, exec_lo, s1
; %bb.87:
	v_cmp_ne_u32_e32 vcc_lo, 0, v227
	v_cndmask_b32_e32 v227, 5, v227, vcc_lo
; %bb.88:
	s_andn2_saveexec_b32 s0, s0
	s_cbranch_execz .LBB104_94
; %bb.89:
	v_cmp_ngt_f64_e64 s1, |v[214:215]|, |v[216:217]|
	s_and_saveexec_b32 s7, s1
	s_xor_b32 s1, exec_lo, s7
	s_cbranch_execz .LBB104_91
; %bb.90:
	v_div_scale_f64 v[229:230], null, v[216:217], v[216:217], v[214:215]
	v_div_scale_f64 v[235:236], vcc_lo, v[214:215], v[216:217], v[214:215]
	v_rcp_f64_e32 v[231:232], v[229:230]
	v_fma_f64 v[233:234], -v[229:230], v[231:232], 1.0
	v_fma_f64 v[231:232], v[231:232], v[233:234], v[231:232]
	v_fma_f64 v[233:234], -v[229:230], v[231:232], 1.0
	v_fma_f64 v[231:232], v[231:232], v[233:234], v[231:232]
	v_mul_f64 v[233:234], v[235:236], v[231:232]
	v_fma_f64 v[229:230], -v[229:230], v[233:234], v[235:236]
	v_div_fmas_f64 v[229:230], v[229:230], v[231:232], v[233:234]
	v_div_fixup_f64 v[229:230], v[229:230], v[216:217], v[214:215]
	v_fma_f64 v[214:215], v[214:215], v[229:230], v[216:217]
	v_div_scale_f64 v[216:217], null, v[214:215], v[214:215], 1.0
	v_rcp_f64_e32 v[231:232], v[216:217]
	v_fma_f64 v[233:234], -v[216:217], v[231:232], 1.0
	v_fma_f64 v[231:232], v[231:232], v[233:234], v[231:232]
	v_fma_f64 v[233:234], -v[216:217], v[231:232], 1.0
	v_fma_f64 v[231:232], v[231:232], v[233:234], v[231:232]
	v_div_scale_f64 v[233:234], vcc_lo, 1.0, v[214:215], 1.0
	v_mul_f64 v[235:236], v[233:234], v[231:232]
	v_fma_f64 v[216:217], -v[216:217], v[235:236], v[233:234]
	v_div_fmas_f64 v[216:217], v[216:217], v[231:232], v[235:236]
	v_div_fixup_f64 v[216:217], v[216:217], v[214:215], 1.0
	v_mul_f64 v[214:215], v[229:230], v[216:217]
	v_xor_b32_e32 v217, 0x80000000, v217
.LBB104_91:
	s_andn2_saveexec_b32 s1, s1
	s_cbranch_execz .LBB104_93
; %bb.92:
	v_div_scale_f64 v[229:230], null, v[214:215], v[214:215], v[216:217]
	v_div_scale_f64 v[235:236], vcc_lo, v[216:217], v[214:215], v[216:217]
	v_rcp_f64_e32 v[231:232], v[229:230]
	v_fma_f64 v[233:234], -v[229:230], v[231:232], 1.0
	v_fma_f64 v[231:232], v[231:232], v[233:234], v[231:232]
	v_fma_f64 v[233:234], -v[229:230], v[231:232], 1.0
	v_fma_f64 v[231:232], v[231:232], v[233:234], v[231:232]
	v_mul_f64 v[233:234], v[235:236], v[231:232]
	v_fma_f64 v[229:230], -v[229:230], v[233:234], v[235:236]
	v_div_fmas_f64 v[229:230], v[229:230], v[231:232], v[233:234]
	v_div_fixup_f64 v[229:230], v[229:230], v[214:215], v[216:217]
	v_fma_f64 v[214:215], v[216:217], v[229:230], v[214:215]
	v_div_scale_f64 v[216:217], null, v[214:215], v[214:215], 1.0
	v_rcp_f64_e32 v[231:232], v[216:217]
	v_fma_f64 v[233:234], -v[216:217], v[231:232], 1.0
	v_fma_f64 v[231:232], v[231:232], v[233:234], v[231:232]
	v_fma_f64 v[233:234], -v[216:217], v[231:232], 1.0
	v_fma_f64 v[231:232], v[231:232], v[233:234], v[231:232]
	v_div_scale_f64 v[233:234], vcc_lo, 1.0, v[214:215], 1.0
	v_mul_f64 v[235:236], v[233:234], v[231:232]
	v_fma_f64 v[216:217], -v[216:217], v[235:236], v[233:234]
	v_div_fmas_f64 v[216:217], v[216:217], v[231:232], v[235:236]
	v_div_fixup_f64 v[214:215], v[216:217], v[214:215], 1.0
	v_mul_f64 v[216:217], v[229:230], -v[214:215]
.LBB104_93:
	s_or_b32 exec_lo, exec_lo, s1
.LBB104_94:
	s_or_b32 exec_lo, exec_lo, s0
	s_mov_b32 s0, exec_lo
	v_cmpx_ne_u32_e64 v228, v222
	s_xor_b32 s0, exec_lo, s0
	s_cbranch_execz .LBB104_100
; %bb.95:
	s_mov_b32 s1, exec_lo
	v_cmpx_eq_u32_e32 4, v228
	s_cbranch_execz .LBB104_99
; %bb.96:
	v_cmp_ne_u32_e32 vcc_lo, 4, v222
	s_xor_b32 s7, s16, -1
	s_and_b32 s9, s7, vcc_lo
	s_and_saveexec_b32 s7, s9
	s_cbranch_execz .LBB104_98
; %bb.97:
	v_ashrrev_i32_e32 v223, 31, v222
	v_lshlrev_b64 v[228:229], 2, v[222:223]
	v_add_co_u32 v228, vcc_lo, v220, v228
	v_add_co_ci_u32_e64 v229, null, v221, v229, vcc_lo
	s_clause 0x1
	global_load_dword v0, v[228:229], off
	global_load_dword v223, v[220:221], off offset:16
	s_waitcnt vmcnt(1)
	global_store_dword v[220:221], v0, off offset:16
	s_waitcnt vmcnt(0)
	global_store_dword v[228:229], v223, off
.LBB104_98:
	s_or_b32 exec_lo, exec_lo, s7
	v_mov_b32_e32 v228, v222
	v_mov_b32_e32 v0, v222
.LBB104_99:
	s_or_b32 exec_lo, exec_lo, s1
.LBB104_100:
	s_andn2_saveexec_b32 s0, s0
	s_cbranch_execz .LBB104_102
; %bb.101:
	v_mov_b32_e32 v228, 4
	ds_write2_b64 v1, v[190:191], v[192:193] offset0:10 offset1:11
	ds_write2_b64 v1, v[186:187], v[188:189] offset0:12 offset1:13
	;; [unrolled: 1-line block ×48, first 2 shown]
.LBB104_102:
	s_or_b32 exec_lo, exec_lo, s0
	s_mov_b32 s0, exec_lo
	s_waitcnt lgkmcnt(0)
	s_waitcnt_vscnt null, 0x0
	s_barrier
	buffer_gl0_inv
	v_cmpx_lt_i32_e32 4, v228
	s_cbranch_execz .LBB104_104
; %bb.103:
	v_mul_f64 v[222:223], v[216:217], v[196:197]
	v_mul_f64 v[196:197], v[214:215], v[196:197]
	v_fma_f64 v[222:223], v[214:215], v[194:195], -v[222:223]
	v_fma_f64 v[196:197], v[216:217], v[194:195], v[196:197]
	ds_read2_b64 v[214:217], v1 offset0:10 offset1:11
	s_waitcnt lgkmcnt(0)
	v_mul_f64 v[194:195], v[216:217], v[196:197]
	v_fma_f64 v[194:195], v[214:215], v[222:223], -v[194:195]
	v_mul_f64 v[214:215], v[214:215], v[196:197]
	v_add_f64 v[190:191], v[190:191], -v[194:195]
	v_fma_f64 v[214:215], v[216:217], v[222:223], v[214:215]
	v_add_f64 v[192:193], v[192:193], -v[214:215]
	ds_read2_b64 v[214:217], v1 offset0:12 offset1:13
	s_waitcnt lgkmcnt(0)
	v_mul_f64 v[194:195], v[216:217], v[196:197]
	v_fma_f64 v[194:195], v[214:215], v[222:223], -v[194:195]
	v_mul_f64 v[214:215], v[214:215], v[196:197]
	v_add_f64 v[186:187], v[186:187], -v[194:195]
	v_fma_f64 v[214:215], v[216:217], v[222:223], v[214:215]
	v_add_f64 v[188:189], v[188:189], -v[214:215]
	;; [unrolled: 8-line block ×47, first 2 shown]
	ds_read2_b64 v[214:217], v1 offset0:104 offset1:105
	s_waitcnt lgkmcnt(0)
	v_mul_f64 v[194:195], v[216:217], v[196:197]
	v_fma_f64 v[194:195], v[214:215], v[222:223], -v[194:195]
	v_mul_f64 v[214:215], v[214:215], v[196:197]
	v_add_f64 v[2:3], v[2:3], -v[194:195]
	v_fma_f64 v[214:215], v[216:217], v[222:223], v[214:215]
	v_mov_b32_e32 v194, v222
	v_mov_b32_e32 v195, v223
	v_add_f64 v[4:5], v[4:5], -v[214:215]
.LBB104_104:
	s_or_b32 exec_lo, exec_lo, s0
	v_lshl_add_u32 v214, v228, 4, v1
	s_barrier
	buffer_gl0_inv
	v_mov_b32_e32 v222, 5
	ds_write2_b64 v214, v[190:191], v[192:193] offset1:1
	s_waitcnt lgkmcnt(0)
	s_barrier
	buffer_gl0_inv
	ds_read2_b64 v[214:217], v1 offset0:10 offset1:11
	s_cmp_lt_i32 s8, 7
	s_cbranch_scc1 .LBB104_107
; %bb.105:
	v_add3_u32 v223, v224, 0, 0x60
	v_mov_b32_e32 v222, 5
	s_mov_b32 s1, 6
	s_inst_prefetch 0x1
	.p2align	6
.LBB104_106:                            ; =>This Inner Loop Header: Depth=1
	s_waitcnt lgkmcnt(0)
	v_cmp_gt_f64_e32 vcc_lo, 0, v[216:217]
	v_cmp_gt_f64_e64 s0, 0, v[214:215]
	ds_read2_b64 v[229:232], v223 offset1:1
	v_xor_b32_e32 v234, 0x80000000, v215
	v_xor_b32_e32 v236, 0x80000000, v217
	v_mov_b32_e32 v233, v214
	v_mov_b32_e32 v235, v216
	v_add_nc_u32_e32 v223, 16, v223
	s_waitcnt lgkmcnt(0)
	v_xor_b32_e32 v238, 0x80000000, v232
	v_cndmask_b32_e64 v234, v215, v234, s0
	v_cndmask_b32_e32 v236, v217, v236, vcc_lo
	v_cmp_gt_f64_e32 vcc_lo, 0, v[231:232]
	v_cmp_gt_f64_e64 s0, 0, v[229:230]
	v_mov_b32_e32 v237, v231
	v_add_f64 v[233:234], v[233:234], v[235:236]
	v_xor_b32_e32 v236, 0x80000000, v230
	v_mov_b32_e32 v235, v229
	v_cndmask_b32_e32 v238, v232, v238, vcc_lo
	v_cndmask_b32_e64 v236, v230, v236, s0
	v_add_f64 v[235:236], v[235:236], v[237:238]
	v_cmp_lt_f64_e32 vcc_lo, v[233:234], v[235:236]
	v_cndmask_b32_e32 v215, v215, v230, vcc_lo
	v_cndmask_b32_e32 v214, v214, v229, vcc_lo
	;; [unrolled: 1-line block ×4, first 2 shown]
	v_cndmask_b32_e64 v222, v222, s1, vcc_lo
	s_add_i32 s1, s1, 1
	s_cmp_lg_u32 s8, s1
	s_cbranch_scc1 .LBB104_106
.LBB104_107:
	s_inst_prefetch 0x2
	s_waitcnt lgkmcnt(0)
	v_cmp_eq_f64_e32 vcc_lo, 0, v[214:215]
	v_cmp_eq_f64_e64 s0, 0, v[216:217]
	s_and_b32 s0, vcc_lo, s0
	s_and_saveexec_b32 s1, s0
	s_xor_b32 s0, exec_lo, s1
; %bb.108:
	v_cmp_ne_u32_e32 vcc_lo, 0, v227
	v_cndmask_b32_e32 v227, 6, v227, vcc_lo
; %bb.109:
	s_andn2_saveexec_b32 s0, s0
	s_cbranch_execz .LBB104_115
; %bb.110:
	v_cmp_ngt_f64_e64 s1, |v[214:215]|, |v[216:217]|
	s_and_saveexec_b32 s7, s1
	s_xor_b32 s1, exec_lo, s7
	s_cbranch_execz .LBB104_112
; %bb.111:
	v_div_scale_f64 v[229:230], null, v[216:217], v[216:217], v[214:215]
	v_div_scale_f64 v[235:236], vcc_lo, v[214:215], v[216:217], v[214:215]
	v_rcp_f64_e32 v[231:232], v[229:230]
	v_fma_f64 v[233:234], -v[229:230], v[231:232], 1.0
	v_fma_f64 v[231:232], v[231:232], v[233:234], v[231:232]
	v_fma_f64 v[233:234], -v[229:230], v[231:232], 1.0
	v_fma_f64 v[231:232], v[231:232], v[233:234], v[231:232]
	v_mul_f64 v[233:234], v[235:236], v[231:232]
	v_fma_f64 v[229:230], -v[229:230], v[233:234], v[235:236]
	v_div_fmas_f64 v[229:230], v[229:230], v[231:232], v[233:234]
	v_div_fixup_f64 v[229:230], v[229:230], v[216:217], v[214:215]
	v_fma_f64 v[214:215], v[214:215], v[229:230], v[216:217]
	v_div_scale_f64 v[216:217], null, v[214:215], v[214:215], 1.0
	v_rcp_f64_e32 v[231:232], v[216:217]
	v_fma_f64 v[233:234], -v[216:217], v[231:232], 1.0
	v_fma_f64 v[231:232], v[231:232], v[233:234], v[231:232]
	v_fma_f64 v[233:234], -v[216:217], v[231:232], 1.0
	v_fma_f64 v[231:232], v[231:232], v[233:234], v[231:232]
	v_div_scale_f64 v[233:234], vcc_lo, 1.0, v[214:215], 1.0
	v_mul_f64 v[235:236], v[233:234], v[231:232]
	v_fma_f64 v[216:217], -v[216:217], v[235:236], v[233:234]
	v_div_fmas_f64 v[216:217], v[216:217], v[231:232], v[235:236]
	v_div_fixup_f64 v[216:217], v[216:217], v[214:215], 1.0
	v_mul_f64 v[214:215], v[229:230], v[216:217]
	v_xor_b32_e32 v217, 0x80000000, v217
.LBB104_112:
	s_andn2_saveexec_b32 s1, s1
	s_cbranch_execz .LBB104_114
; %bb.113:
	v_div_scale_f64 v[229:230], null, v[214:215], v[214:215], v[216:217]
	v_div_scale_f64 v[235:236], vcc_lo, v[216:217], v[214:215], v[216:217]
	v_rcp_f64_e32 v[231:232], v[229:230]
	v_fma_f64 v[233:234], -v[229:230], v[231:232], 1.0
	v_fma_f64 v[231:232], v[231:232], v[233:234], v[231:232]
	v_fma_f64 v[233:234], -v[229:230], v[231:232], 1.0
	v_fma_f64 v[231:232], v[231:232], v[233:234], v[231:232]
	v_mul_f64 v[233:234], v[235:236], v[231:232]
	v_fma_f64 v[229:230], -v[229:230], v[233:234], v[235:236]
	v_div_fmas_f64 v[229:230], v[229:230], v[231:232], v[233:234]
	v_div_fixup_f64 v[229:230], v[229:230], v[214:215], v[216:217]
	v_fma_f64 v[214:215], v[216:217], v[229:230], v[214:215]
	v_div_scale_f64 v[216:217], null, v[214:215], v[214:215], 1.0
	v_rcp_f64_e32 v[231:232], v[216:217]
	v_fma_f64 v[233:234], -v[216:217], v[231:232], 1.0
	v_fma_f64 v[231:232], v[231:232], v[233:234], v[231:232]
	v_fma_f64 v[233:234], -v[216:217], v[231:232], 1.0
	v_fma_f64 v[231:232], v[231:232], v[233:234], v[231:232]
	v_div_scale_f64 v[233:234], vcc_lo, 1.0, v[214:215], 1.0
	v_mul_f64 v[235:236], v[233:234], v[231:232]
	v_fma_f64 v[216:217], -v[216:217], v[235:236], v[233:234]
	v_div_fmas_f64 v[216:217], v[216:217], v[231:232], v[235:236]
	v_div_fixup_f64 v[214:215], v[216:217], v[214:215], 1.0
	v_mul_f64 v[216:217], v[229:230], -v[214:215]
.LBB104_114:
	s_or_b32 exec_lo, exec_lo, s1
.LBB104_115:
	s_or_b32 exec_lo, exec_lo, s0
	s_mov_b32 s0, exec_lo
	v_cmpx_ne_u32_e64 v228, v222
	s_xor_b32 s0, exec_lo, s0
	s_cbranch_execz .LBB104_121
; %bb.116:
	s_mov_b32 s1, exec_lo
	v_cmpx_eq_u32_e32 5, v228
	s_cbranch_execz .LBB104_120
; %bb.117:
	v_cmp_ne_u32_e32 vcc_lo, 5, v222
	s_xor_b32 s7, s16, -1
	s_and_b32 s9, s7, vcc_lo
	s_and_saveexec_b32 s7, s9
	s_cbranch_execz .LBB104_119
; %bb.118:
	v_ashrrev_i32_e32 v223, 31, v222
	v_lshlrev_b64 v[228:229], 2, v[222:223]
	v_add_co_u32 v228, vcc_lo, v220, v228
	v_add_co_ci_u32_e64 v229, null, v221, v229, vcc_lo
	s_clause 0x1
	global_load_dword v0, v[228:229], off
	global_load_dword v223, v[220:221], off offset:20
	s_waitcnt vmcnt(1)
	global_store_dword v[220:221], v0, off offset:20
	s_waitcnt vmcnt(0)
	global_store_dword v[228:229], v223, off
.LBB104_119:
	s_or_b32 exec_lo, exec_lo, s7
	v_mov_b32_e32 v228, v222
	v_mov_b32_e32 v0, v222
.LBB104_120:
	s_or_b32 exec_lo, exec_lo, s1
.LBB104_121:
	s_andn2_saveexec_b32 s0, s0
	s_cbranch_execz .LBB104_123
; %bb.122:
	v_mov_b32_e32 v228, 5
	ds_write2_b64 v1, v[186:187], v[188:189] offset0:12 offset1:13
	ds_write2_b64 v1, v[182:183], v[184:185] offset0:14 offset1:15
	;; [unrolled: 1-line block ×47, first 2 shown]
.LBB104_123:
	s_or_b32 exec_lo, exec_lo, s0
	s_mov_b32 s0, exec_lo
	s_waitcnt lgkmcnt(0)
	s_waitcnt_vscnt null, 0x0
	s_barrier
	buffer_gl0_inv
	v_cmpx_lt_i32_e32 5, v228
	s_cbranch_execz .LBB104_125
; %bb.124:
	v_mul_f64 v[222:223], v[216:217], v[192:193]
	v_mul_f64 v[192:193], v[214:215], v[192:193]
	v_fma_f64 v[222:223], v[214:215], v[190:191], -v[222:223]
	v_fma_f64 v[192:193], v[216:217], v[190:191], v[192:193]
	ds_read2_b64 v[214:217], v1 offset0:12 offset1:13
	s_waitcnt lgkmcnt(0)
	v_mul_f64 v[190:191], v[216:217], v[192:193]
	v_fma_f64 v[190:191], v[214:215], v[222:223], -v[190:191]
	v_mul_f64 v[214:215], v[214:215], v[192:193]
	v_add_f64 v[186:187], v[186:187], -v[190:191]
	v_fma_f64 v[214:215], v[216:217], v[222:223], v[214:215]
	v_add_f64 v[188:189], v[188:189], -v[214:215]
	ds_read2_b64 v[214:217], v1 offset0:14 offset1:15
	s_waitcnt lgkmcnt(0)
	v_mul_f64 v[190:191], v[216:217], v[192:193]
	v_fma_f64 v[190:191], v[214:215], v[222:223], -v[190:191]
	v_mul_f64 v[214:215], v[214:215], v[192:193]
	v_add_f64 v[182:183], v[182:183], -v[190:191]
	v_fma_f64 v[214:215], v[216:217], v[222:223], v[214:215]
	v_add_f64 v[184:185], v[184:185], -v[214:215]
	;; [unrolled: 8-line block ×46, first 2 shown]
	ds_read2_b64 v[214:217], v1 offset0:104 offset1:105
	s_waitcnt lgkmcnt(0)
	v_mul_f64 v[190:191], v[216:217], v[192:193]
	v_fma_f64 v[190:191], v[214:215], v[222:223], -v[190:191]
	v_mul_f64 v[214:215], v[214:215], v[192:193]
	v_add_f64 v[2:3], v[2:3], -v[190:191]
	v_fma_f64 v[214:215], v[216:217], v[222:223], v[214:215]
	v_mov_b32_e32 v190, v222
	v_mov_b32_e32 v191, v223
	v_add_f64 v[4:5], v[4:5], -v[214:215]
.LBB104_125:
	s_or_b32 exec_lo, exec_lo, s0
	v_lshl_add_u32 v214, v228, 4, v1
	s_barrier
	buffer_gl0_inv
	v_mov_b32_e32 v222, 6
	ds_write2_b64 v214, v[186:187], v[188:189] offset1:1
	s_waitcnt lgkmcnt(0)
	s_barrier
	buffer_gl0_inv
	ds_read2_b64 v[214:217], v1 offset0:12 offset1:13
	s_cmp_lt_i32 s8, 8
	s_cbranch_scc1 .LBB104_128
; %bb.126:
	v_add3_u32 v223, v224, 0, 0x70
	v_mov_b32_e32 v222, 6
	s_mov_b32 s1, 7
	s_inst_prefetch 0x1
	.p2align	6
.LBB104_127:                            ; =>This Inner Loop Header: Depth=1
	s_waitcnt lgkmcnt(0)
	v_cmp_gt_f64_e32 vcc_lo, 0, v[216:217]
	v_cmp_gt_f64_e64 s0, 0, v[214:215]
	ds_read2_b64 v[229:232], v223 offset1:1
	v_xor_b32_e32 v234, 0x80000000, v215
	v_xor_b32_e32 v236, 0x80000000, v217
	v_mov_b32_e32 v233, v214
	v_mov_b32_e32 v235, v216
	v_add_nc_u32_e32 v223, 16, v223
	s_waitcnt lgkmcnt(0)
	v_xor_b32_e32 v238, 0x80000000, v232
	v_cndmask_b32_e64 v234, v215, v234, s0
	v_cndmask_b32_e32 v236, v217, v236, vcc_lo
	v_cmp_gt_f64_e32 vcc_lo, 0, v[231:232]
	v_cmp_gt_f64_e64 s0, 0, v[229:230]
	v_mov_b32_e32 v237, v231
	v_add_f64 v[233:234], v[233:234], v[235:236]
	v_xor_b32_e32 v236, 0x80000000, v230
	v_mov_b32_e32 v235, v229
	v_cndmask_b32_e32 v238, v232, v238, vcc_lo
	v_cndmask_b32_e64 v236, v230, v236, s0
	v_add_f64 v[235:236], v[235:236], v[237:238]
	v_cmp_lt_f64_e32 vcc_lo, v[233:234], v[235:236]
	v_cndmask_b32_e32 v215, v215, v230, vcc_lo
	v_cndmask_b32_e32 v214, v214, v229, vcc_lo
	;; [unrolled: 1-line block ×4, first 2 shown]
	v_cndmask_b32_e64 v222, v222, s1, vcc_lo
	s_add_i32 s1, s1, 1
	s_cmp_lg_u32 s8, s1
	s_cbranch_scc1 .LBB104_127
.LBB104_128:
	s_inst_prefetch 0x2
	s_waitcnt lgkmcnt(0)
	v_cmp_eq_f64_e32 vcc_lo, 0, v[214:215]
	v_cmp_eq_f64_e64 s0, 0, v[216:217]
	s_and_b32 s0, vcc_lo, s0
	s_and_saveexec_b32 s1, s0
	s_xor_b32 s0, exec_lo, s1
; %bb.129:
	v_cmp_ne_u32_e32 vcc_lo, 0, v227
	v_cndmask_b32_e32 v227, 7, v227, vcc_lo
; %bb.130:
	s_andn2_saveexec_b32 s0, s0
	s_cbranch_execz .LBB104_136
; %bb.131:
	v_cmp_ngt_f64_e64 s1, |v[214:215]|, |v[216:217]|
	s_and_saveexec_b32 s7, s1
	s_xor_b32 s1, exec_lo, s7
	s_cbranch_execz .LBB104_133
; %bb.132:
	v_div_scale_f64 v[229:230], null, v[216:217], v[216:217], v[214:215]
	v_div_scale_f64 v[235:236], vcc_lo, v[214:215], v[216:217], v[214:215]
	v_rcp_f64_e32 v[231:232], v[229:230]
	v_fma_f64 v[233:234], -v[229:230], v[231:232], 1.0
	v_fma_f64 v[231:232], v[231:232], v[233:234], v[231:232]
	v_fma_f64 v[233:234], -v[229:230], v[231:232], 1.0
	v_fma_f64 v[231:232], v[231:232], v[233:234], v[231:232]
	v_mul_f64 v[233:234], v[235:236], v[231:232]
	v_fma_f64 v[229:230], -v[229:230], v[233:234], v[235:236]
	v_div_fmas_f64 v[229:230], v[229:230], v[231:232], v[233:234]
	v_div_fixup_f64 v[229:230], v[229:230], v[216:217], v[214:215]
	v_fma_f64 v[214:215], v[214:215], v[229:230], v[216:217]
	v_div_scale_f64 v[216:217], null, v[214:215], v[214:215], 1.0
	v_rcp_f64_e32 v[231:232], v[216:217]
	v_fma_f64 v[233:234], -v[216:217], v[231:232], 1.0
	v_fma_f64 v[231:232], v[231:232], v[233:234], v[231:232]
	v_fma_f64 v[233:234], -v[216:217], v[231:232], 1.0
	v_fma_f64 v[231:232], v[231:232], v[233:234], v[231:232]
	v_div_scale_f64 v[233:234], vcc_lo, 1.0, v[214:215], 1.0
	v_mul_f64 v[235:236], v[233:234], v[231:232]
	v_fma_f64 v[216:217], -v[216:217], v[235:236], v[233:234]
	v_div_fmas_f64 v[216:217], v[216:217], v[231:232], v[235:236]
	v_div_fixup_f64 v[216:217], v[216:217], v[214:215], 1.0
	v_mul_f64 v[214:215], v[229:230], v[216:217]
	v_xor_b32_e32 v217, 0x80000000, v217
.LBB104_133:
	s_andn2_saveexec_b32 s1, s1
	s_cbranch_execz .LBB104_135
; %bb.134:
	v_div_scale_f64 v[229:230], null, v[214:215], v[214:215], v[216:217]
	v_div_scale_f64 v[235:236], vcc_lo, v[216:217], v[214:215], v[216:217]
	v_rcp_f64_e32 v[231:232], v[229:230]
	v_fma_f64 v[233:234], -v[229:230], v[231:232], 1.0
	v_fma_f64 v[231:232], v[231:232], v[233:234], v[231:232]
	v_fma_f64 v[233:234], -v[229:230], v[231:232], 1.0
	v_fma_f64 v[231:232], v[231:232], v[233:234], v[231:232]
	v_mul_f64 v[233:234], v[235:236], v[231:232]
	v_fma_f64 v[229:230], -v[229:230], v[233:234], v[235:236]
	v_div_fmas_f64 v[229:230], v[229:230], v[231:232], v[233:234]
	v_div_fixup_f64 v[229:230], v[229:230], v[214:215], v[216:217]
	v_fma_f64 v[214:215], v[216:217], v[229:230], v[214:215]
	v_div_scale_f64 v[216:217], null, v[214:215], v[214:215], 1.0
	v_rcp_f64_e32 v[231:232], v[216:217]
	v_fma_f64 v[233:234], -v[216:217], v[231:232], 1.0
	v_fma_f64 v[231:232], v[231:232], v[233:234], v[231:232]
	v_fma_f64 v[233:234], -v[216:217], v[231:232], 1.0
	v_fma_f64 v[231:232], v[231:232], v[233:234], v[231:232]
	v_div_scale_f64 v[233:234], vcc_lo, 1.0, v[214:215], 1.0
	v_mul_f64 v[235:236], v[233:234], v[231:232]
	v_fma_f64 v[216:217], -v[216:217], v[235:236], v[233:234]
	v_div_fmas_f64 v[216:217], v[216:217], v[231:232], v[235:236]
	v_div_fixup_f64 v[214:215], v[216:217], v[214:215], 1.0
	v_mul_f64 v[216:217], v[229:230], -v[214:215]
.LBB104_135:
	s_or_b32 exec_lo, exec_lo, s1
.LBB104_136:
	s_or_b32 exec_lo, exec_lo, s0
	s_mov_b32 s0, exec_lo
	v_cmpx_ne_u32_e64 v228, v222
	s_xor_b32 s0, exec_lo, s0
	s_cbranch_execz .LBB104_142
; %bb.137:
	s_mov_b32 s1, exec_lo
	v_cmpx_eq_u32_e32 6, v228
	s_cbranch_execz .LBB104_141
; %bb.138:
	v_cmp_ne_u32_e32 vcc_lo, 6, v222
	s_xor_b32 s7, s16, -1
	s_and_b32 s9, s7, vcc_lo
	s_and_saveexec_b32 s7, s9
	s_cbranch_execz .LBB104_140
; %bb.139:
	v_ashrrev_i32_e32 v223, 31, v222
	v_lshlrev_b64 v[228:229], 2, v[222:223]
	v_add_co_u32 v228, vcc_lo, v220, v228
	v_add_co_ci_u32_e64 v229, null, v221, v229, vcc_lo
	s_clause 0x1
	global_load_dword v0, v[228:229], off
	global_load_dword v223, v[220:221], off offset:24
	s_waitcnt vmcnt(1)
	global_store_dword v[220:221], v0, off offset:24
	s_waitcnt vmcnt(0)
	global_store_dword v[228:229], v223, off
.LBB104_140:
	s_or_b32 exec_lo, exec_lo, s7
	v_mov_b32_e32 v228, v222
	v_mov_b32_e32 v0, v222
.LBB104_141:
	s_or_b32 exec_lo, exec_lo, s1
.LBB104_142:
	s_andn2_saveexec_b32 s0, s0
	s_cbranch_execz .LBB104_144
; %bb.143:
	v_mov_b32_e32 v228, 6
	ds_write2_b64 v1, v[182:183], v[184:185] offset0:14 offset1:15
	ds_write2_b64 v1, v[178:179], v[180:181] offset0:16 offset1:17
	ds_write2_b64 v1, v[174:175], v[176:177] offset0:18 offset1:19
	ds_write2_b64 v1, v[170:171], v[172:173] offset0:20 offset1:21
	ds_write2_b64 v1, v[166:167], v[168:169] offset0:22 offset1:23
	ds_write2_b64 v1, v[162:163], v[164:165] offset0:24 offset1:25
	ds_write2_b64 v1, v[158:159], v[160:161] offset0:26 offset1:27
	ds_write2_b64 v1, v[154:155], v[156:157] offset0:28 offset1:29
	ds_write2_b64 v1, v[150:151], v[152:153] offset0:30 offset1:31
	ds_write2_b64 v1, v[146:147], v[148:149] offset0:32 offset1:33
	ds_write2_b64 v1, v[142:143], v[144:145] offset0:34 offset1:35
	ds_write2_b64 v1, v[138:139], v[140:141] offset0:36 offset1:37
	ds_write2_b64 v1, v[134:135], v[136:137] offset0:38 offset1:39
	ds_write2_b64 v1, v[130:131], v[132:133] offset0:40 offset1:41
	ds_write2_b64 v1, v[126:127], v[128:129] offset0:42 offset1:43
	ds_write2_b64 v1, v[122:123], v[124:125] offset0:44 offset1:45
	ds_write2_b64 v1, v[118:119], v[120:121] offset0:46 offset1:47
	ds_write2_b64 v1, v[114:115], v[116:117] offset0:48 offset1:49
	ds_write2_b64 v1, v[110:111], v[112:113] offset0:50 offset1:51
	ds_write2_b64 v1, v[106:107], v[108:109] offset0:52 offset1:53
	ds_write2_b64 v1, v[102:103], v[104:105] offset0:54 offset1:55
	ds_write2_b64 v1, v[98:99], v[100:101] offset0:56 offset1:57
	ds_write2_b64 v1, v[94:95], v[96:97] offset0:58 offset1:59
	ds_write2_b64 v1, v[90:91], v[92:93] offset0:60 offset1:61
	ds_write2_b64 v1, v[86:87], v[88:89] offset0:62 offset1:63
	ds_write2_b64 v1, v[82:83], v[84:85] offset0:64 offset1:65
	ds_write2_b64 v1, v[78:79], v[80:81] offset0:66 offset1:67
	ds_write2_b64 v1, v[74:75], v[76:77] offset0:68 offset1:69
	ds_write2_b64 v1, v[70:71], v[72:73] offset0:70 offset1:71
	ds_write2_b64 v1, v[66:67], v[68:69] offset0:72 offset1:73
	ds_write2_b64 v1, v[62:63], v[64:65] offset0:74 offset1:75
	ds_write2_b64 v1, v[58:59], v[60:61] offset0:76 offset1:77
	ds_write2_b64 v1, v[54:55], v[56:57] offset0:78 offset1:79
	ds_write2_b64 v1, v[50:51], v[52:53] offset0:80 offset1:81
	ds_write2_b64 v1, v[46:47], v[48:49] offset0:82 offset1:83
	ds_write2_b64 v1, v[42:43], v[44:45] offset0:84 offset1:85
	ds_write2_b64 v1, v[38:39], v[40:41] offset0:86 offset1:87
	ds_write2_b64 v1, v[34:35], v[36:37] offset0:88 offset1:89
	ds_write2_b64 v1, v[30:31], v[32:33] offset0:90 offset1:91
	ds_write2_b64 v1, v[26:27], v[28:29] offset0:92 offset1:93
	ds_write2_b64 v1, v[22:23], v[24:25] offset0:94 offset1:95
	ds_write2_b64 v1, v[18:19], v[20:21] offset0:96 offset1:97
	ds_write2_b64 v1, v[14:15], v[16:17] offset0:98 offset1:99
	ds_write2_b64 v1, v[10:11], v[12:13] offset0:100 offset1:101
	ds_write2_b64 v1, v[6:7], v[8:9] offset0:102 offset1:103
	ds_write2_b64 v1, v[2:3], v[4:5] offset0:104 offset1:105
.LBB104_144:
	s_or_b32 exec_lo, exec_lo, s0
	s_mov_b32 s0, exec_lo
	s_waitcnt lgkmcnt(0)
	s_waitcnt_vscnt null, 0x0
	s_barrier
	buffer_gl0_inv
	v_cmpx_lt_i32_e32 6, v228
	s_cbranch_execz .LBB104_146
; %bb.145:
	v_mul_f64 v[222:223], v[216:217], v[188:189]
	v_mul_f64 v[188:189], v[214:215], v[188:189]
	v_fma_f64 v[222:223], v[214:215], v[186:187], -v[222:223]
	v_fma_f64 v[188:189], v[216:217], v[186:187], v[188:189]
	ds_read2_b64 v[214:217], v1 offset0:14 offset1:15
	s_waitcnt lgkmcnt(0)
	v_mul_f64 v[186:187], v[216:217], v[188:189]
	v_fma_f64 v[186:187], v[214:215], v[222:223], -v[186:187]
	v_mul_f64 v[214:215], v[214:215], v[188:189]
	v_add_f64 v[182:183], v[182:183], -v[186:187]
	v_fma_f64 v[214:215], v[216:217], v[222:223], v[214:215]
	v_add_f64 v[184:185], v[184:185], -v[214:215]
	ds_read2_b64 v[214:217], v1 offset0:16 offset1:17
	s_waitcnt lgkmcnt(0)
	v_mul_f64 v[186:187], v[216:217], v[188:189]
	v_fma_f64 v[186:187], v[214:215], v[222:223], -v[186:187]
	v_mul_f64 v[214:215], v[214:215], v[188:189]
	v_add_f64 v[178:179], v[178:179], -v[186:187]
	v_fma_f64 v[214:215], v[216:217], v[222:223], v[214:215]
	v_add_f64 v[180:181], v[180:181], -v[214:215]
	;; [unrolled: 8-line block ×45, first 2 shown]
	ds_read2_b64 v[214:217], v1 offset0:104 offset1:105
	s_waitcnt lgkmcnt(0)
	v_mul_f64 v[186:187], v[216:217], v[188:189]
	v_fma_f64 v[186:187], v[214:215], v[222:223], -v[186:187]
	v_mul_f64 v[214:215], v[214:215], v[188:189]
	v_add_f64 v[2:3], v[2:3], -v[186:187]
	v_fma_f64 v[214:215], v[216:217], v[222:223], v[214:215]
	v_mov_b32_e32 v186, v222
	v_mov_b32_e32 v187, v223
	v_add_f64 v[4:5], v[4:5], -v[214:215]
.LBB104_146:
	s_or_b32 exec_lo, exec_lo, s0
	v_lshl_add_u32 v214, v228, 4, v1
	s_barrier
	buffer_gl0_inv
	v_mov_b32_e32 v222, 7
	ds_write2_b64 v214, v[182:183], v[184:185] offset1:1
	s_waitcnt lgkmcnt(0)
	s_barrier
	buffer_gl0_inv
	ds_read2_b64 v[214:217], v1 offset0:14 offset1:15
	s_cmp_lt_i32 s8, 9
	s_cbranch_scc1 .LBB104_149
; %bb.147:
	v_add3_u32 v223, v224, 0, 0x80
	v_mov_b32_e32 v222, 7
	s_mov_b32 s1, 8
	s_inst_prefetch 0x1
	.p2align	6
.LBB104_148:                            ; =>This Inner Loop Header: Depth=1
	s_waitcnt lgkmcnt(0)
	v_cmp_gt_f64_e32 vcc_lo, 0, v[216:217]
	v_cmp_gt_f64_e64 s0, 0, v[214:215]
	ds_read2_b64 v[229:232], v223 offset1:1
	v_xor_b32_e32 v234, 0x80000000, v215
	v_xor_b32_e32 v236, 0x80000000, v217
	v_mov_b32_e32 v233, v214
	v_mov_b32_e32 v235, v216
	v_add_nc_u32_e32 v223, 16, v223
	s_waitcnt lgkmcnt(0)
	v_xor_b32_e32 v238, 0x80000000, v232
	v_cndmask_b32_e64 v234, v215, v234, s0
	v_cndmask_b32_e32 v236, v217, v236, vcc_lo
	v_cmp_gt_f64_e32 vcc_lo, 0, v[231:232]
	v_cmp_gt_f64_e64 s0, 0, v[229:230]
	v_mov_b32_e32 v237, v231
	v_add_f64 v[233:234], v[233:234], v[235:236]
	v_xor_b32_e32 v236, 0x80000000, v230
	v_mov_b32_e32 v235, v229
	v_cndmask_b32_e32 v238, v232, v238, vcc_lo
	v_cndmask_b32_e64 v236, v230, v236, s0
	v_add_f64 v[235:236], v[235:236], v[237:238]
	v_cmp_lt_f64_e32 vcc_lo, v[233:234], v[235:236]
	v_cndmask_b32_e32 v215, v215, v230, vcc_lo
	v_cndmask_b32_e32 v214, v214, v229, vcc_lo
	;; [unrolled: 1-line block ×4, first 2 shown]
	v_cndmask_b32_e64 v222, v222, s1, vcc_lo
	s_add_i32 s1, s1, 1
	s_cmp_lg_u32 s8, s1
	s_cbranch_scc1 .LBB104_148
.LBB104_149:
	s_inst_prefetch 0x2
	s_waitcnt lgkmcnt(0)
	v_cmp_eq_f64_e32 vcc_lo, 0, v[214:215]
	v_cmp_eq_f64_e64 s0, 0, v[216:217]
	s_and_b32 s0, vcc_lo, s0
	s_and_saveexec_b32 s1, s0
	s_xor_b32 s0, exec_lo, s1
; %bb.150:
	v_cmp_ne_u32_e32 vcc_lo, 0, v227
	v_cndmask_b32_e32 v227, 8, v227, vcc_lo
; %bb.151:
	s_andn2_saveexec_b32 s0, s0
	s_cbranch_execz .LBB104_157
; %bb.152:
	v_cmp_ngt_f64_e64 s1, |v[214:215]|, |v[216:217]|
	s_and_saveexec_b32 s7, s1
	s_xor_b32 s1, exec_lo, s7
	s_cbranch_execz .LBB104_154
; %bb.153:
	v_div_scale_f64 v[229:230], null, v[216:217], v[216:217], v[214:215]
	v_div_scale_f64 v[235:236], vcc_lo, v[214:215], v[216:217], v[214:215]
	v_rcp_f64_e32 v[231:232], v[229:230]
	v_fma_f64 v[233:234], -v[229:230], v[231:232], 1.0
	v_fma_f64 v[231:232], v[231:232], v[233:234], v[231:232]
	v_fma_f64 v[233:234], -v[229:230], v[231:232], 1.0
	v_fma_f64 v[231:232], v[231:232], v[233:234], v[231:232]
	v_mul_f64 v[233:234], v[235:236], v[231:232]
	v_fma_f64 v[229:230], -v[229:230], v[233:234], v[235:236]
	v_div_fmas_f64 v[229:230], v[229:230], v[231:232], v[233:234]
	v_div_fixup_f64 v[229:230], v[229:230], v[216:217], v[214:215]
	v_fma_f64 v[214:215], v[214:215], v[229:230], v[216:217]
	v_div_scale_f64 v[216:217], null, v[214:215], v[214:215], 1.0
	v_rcp_f64_e32 v[231:232], v[216:217]
	v_fma_f64 v[233:234], -v[216:217], v[231:232], 1.0
	v_fma_f64 v[231:232], v[231:232], v[233:234], v[231:232]
	v_fma_f64 v[233:234], -v[216:217], v[231:232], 1.0
	v_fma_f64 v[231:232], v[231:232], v[233:234], v[231:232]
	v_div_scale_f64 v[233:234], vcc_lo, 1.0, v[214:215], 1.0
	v_mul_f64 v[235:236], v[233:234], v[231:232]
	v_fma_f64 v[216:217], -v[216:217], v[235:236], v[233:234]
	v_div_fmas_f64 v[216:217], v[216:217], v[231:232], v[235:236]
	v_div_fixup_f64 v[216:217], v[216:217], v[214:215], 1.0
	v_mul_f64 v[214:215], v[229:230], v[216:217]
	v_xor_b32_e32 v217, 0x80000000, v217
.LBB104_154:
	s_andn2_saveexec_b32 s1, s1
	s_cbranch_execz .LBB104_156
; %bb.155:
	v_div_scale_f64 v[229:230], null, v[214:215], v[214:215], v[216:217]
	v_div_scale_f64 v[235:236], vcc_lo, v[216:217], v[214:215], v[216:217]
	v_rcp_f64_e32 v[231:232], v[229:230]
	v_fma_f64 v[233:234], -v[229:230], v[231:232], 1.0
	v_fma_f64 v[231:232], v[231:232], v[233:234], v[231:232]
	v_fma_f64 v[233:234], -v[229:230], v[231:232], 1.0
	v_fma_f64 v[231:232], v[231:232], v[233:234], v[231:232]
	v_mul_f64 v[233:234], v[235:236], v[231:232]
	v_fma_f64 v[229:230], -v[229:230], v[233:234], v[235:236]
	v_div_fmas_f64 v[229:230], v[229:230], v[231:232], v[233:234]
	v_div_fixup_f64 v[229:230], v[229:230], v[214:215], v[216:217]
	v_fma_f64 v[214:215], v[216:217], v[229:230], v[214:215]
	v_div_scale_f64 v[216:217], null, v[214:215], v[214:215], 1.0
	v_rcp_f64_e32 v[231:232], v[216:217]
	v_fma_f64 v[233:234], -v[216:217], v[231:232], 1.0
	v_fma_f64 v[231:232], v[231:232], v[233:234], v[231:232]
	v_fma_f64 v[233:234], -v[216:217], v[231:232], 1.0
	v_fma_f64 v[231:232], v[231:232], v[233:234], v[231:232]
	v_div_scale_f64 v[233:234], vcc_lo, 1.0, v[214:215], 1.0
	v_mul_f64 v[235:236], v[233:234], v[231:232]
	v_fma_f64 v[216:217], -v[216:217], v[235:236], v[233:234]
	v_div_fmas_f64 v[216:217], v[216:217], v[231:232], v[235:236]
	v_div_fixup_f64 v[214:215], v[216:217], v[214:215], 1.0
	v_mul_f64 v[216:217], v[229:230], -v[214:215]
.LBB104_156:
	s_or_b32 exec_lo, exec_lo, s1
.LBB104_157:
	s_or_b32 exec_lo, exec_lo, s0
	s_mov_b32 s0, exec_lo
	v_cmpx_ne_u32_e64 v228, v222
	s_xor_b32 s0, exec_lo, s0
	s_cbranch_execz .LBB104_163
; %bb.158:
	s_mov_b32 s1, exec_lo
	v_cmpx_eq_u32_e32 7, v228
	s_cbranch_execz .LBB104_162
; %bb.159:
	v_cmp_ne_u32_e32 vcc_lo, 7, v222
	s_xor_b32 s7, s16, -1
	s_and_b32 s9, s7, vcc_lo
	s_and_saveexec_b32 s7, s9
	s_cbranch_execz .LBB104_161
; %bb.160:
	v_ashrrev_i32_e32 v223, 31, v222
	v_lshlrev_b64 v[228:229], 2, v[222:223]
	v_add_co_u32 v228, vcc_lo, v220, v228
	v_add_co_ci_u32_e64 v229, null, v221, v229, vcc_lo
	s_clause 0x1
	global_load_dword v0, v[228:229], off
	global_load_dword v223, v[220:221], off offset:28
	s_waitcnt vmcnt(1)
	global_store_dword v[220:221], v0, off offset:28
	s_waitcnt vmcnt(0)
	global_store_dword v[228:229], v223, off
.LBB104_161:
	s_or_b32 exec_lo, exec_lo, s7
	v_mov_b32_e32 v228, v222
	v_mov_b32_e32 v0, v222
.LBB104_162:
	s_or_b32 exec_lo, exec_lo, s1
.LBB104_163:
	s_andn2_saveexec_b32 s0, s0
	s_cbranch_execz .LBB104_165
; %bb.164:
	v_mov_b32_e32 v228, 7
	ds_write2_b64 v1, v[178:179], v[180:181] offset0:16 offset1:17
	ds_write2_b64 v1, v[174:175], v[176:177] offset0:18 offset1:19
	;; [unrolled: 1-line block ×45, first 2 shown]
.LBB104_165:
	s_or_b32 exec_lo, exec_lo, s0
	s_mov_b32 s0, exec_lo
	s_waitcnt lgkmcnt(0)
	s_waitcnt_vscnt null, 0x0
	s_barrier
	buffer_gl0_inv
	v_cmpx_lt_i32_e32 7, v228
	s_cbranch_execz .LBB104_167
; %bb.166:
	v_mul_f64 v[222:223], v[216:217], v[184:185]
	v_mul_f64 v[184:185], v[214:215], v[184:185]
	v_fma_f64 v[222:223], v[214:215], v[182:183], -v[222:223]
	v_fma_f64 v[184:185], v[216:217], v[182:183], v[184:185]
	ds_read2_b64 v[214:217], v1 offset0:16 offset1:17
	s_waitcnt lgkmcnt(0)
	v_mul_f64 v[182:183], v[216:217], v[184:185]
	v_fma_f64 v[182:183], v[214:215], v[222:223], -v[182:183]
	v_mul_f64 v[214:215], v[214:215], v[184:185]
	v_add_f64 v[178:179], v[178:179], -v[182:183]
	v_fma_f64 v[214:215], v[216:217], v[222:223], v[214:215]
	v_add_f64 v[180:181], v[180:181], -v[214:215]
	ds_read2_b64 v[214:217], v1 offset0:18 offset1:19
	s_waitcnt lgkmcnt(0)
	v_mul_f64 v[182:183], v[216:217], v[184:185]
	v_fma_f64 v[182:183], v[214:215], v[222:223], -v[182:183]
	v_mul_f64 v[214:215], v[214:215], v[184:185]
	v_add_f64 v[174:175], v[174:175], -v[182:183]
	v_fma_f64 v[214:215], v[216:217], v[222:223], v[214:215]
	v_add_f64 v[176:177], v[176:177], -v[214:215]
	;; [unrolled: 8-line block ×44, first 2 shown]
	ds_read2_b64 v[214:217], v1 offset0:104 offset1:105
	s_waitcnt lgkmcnt(0)
	v_mul_f64 v[182:183], v[216:217], v[184:185]
	v_fma_f64 v[182:183], v[214:215], v[222:223], -v[182:183]
	v_mul_f64 v[214:215], v[214:215], v[184:185]
	v_add_f64 v[2:3], v[2:3], -v[182:183]
	v_fma_f64 v[214:215], v[216:217], v[222:223], v[214:215]
	v_mov_b32_e32 v182, v222
	v_mov_b32_e32 v183, v223
	v_add_f64 v[4:5], v[4:5], -v[214:215]
.LBB104_167:
	s_or_b32 exec_lo, exec_lo, s0
	v_lshl_add_u32 v214, v228, 4, v1
	s_barrier
	buffer_gl0_inv
	v_mov_b32_e32 v222, 8
	ds_write2_b64 v214, v[178:179], v[180:181] offset1:1
	s_waitcnt lgkmcnt(0)
	s_barrier
	buffer_gl0_inv
	ds_read2_b64 v[214:217], v1 offset0:16 offset1:17
	s_cmp_lt_i32 s8, 10
	s_cbranch_scc1 .LBB104_170
; %bb.168:
	v_add3_u32 v223, v224, 0, 0x90
	v_mov_b32_e32 v222, 8
	s_mov_b32 s1, 9
	s_inst_prefetch 0x1
	.p2align	6
.LBB104_169:                            ; =>This Inner Loop Header: Depth=1
	s_waitcnt lgkmcnt(0)
	v_cmp_gt_f64_e32 vcc_lo, 0, v[216:217]
	v_cmp_gt_f64_e64 s0, 0, v[214:215]
	ds_read2_b64 v[229:232], v223 offset1:1
	v_xor_b32_e32 v234, 0x80000000, v215
	v_xor_b32_e32 v236, 0x80000000, v217
	v_mov_b32_e32 v233, v214
	v_mov_b32_e32 v235, v216
	v_add_nc_u32_e32 v223, 16, v223
	s_waitcnt lgkmcnt(0)
	v_xor_b32_e32 v238, 0x80000000, v232
	v_cndmask_b32_e64 v234, v215, v234, s0
	v_cndmask_b32_e32 v236, v217, v236, vcc_lo
	v_cmp_gt_f64_e32 vcc_lo, 0, v[231:232]
	v_cmp_gt_f64_e64 s0, 0, v[229:230]
	v_mov_b32_e32 v237, v231
	v_add_f64 v[233:234], v[233:234], v[235:236]
	v_xor_b32_e32 v236, 0x80000000, v230
	v_mov_b32_e32 v235, v229
	v_cndmask_b32_e32 v238, v232, v238, vcc_lo
	v_cndmask_b32_e64 v236, v230, v236, s0
	v_add_f64 v[235:236], v[235:236], v[237:238]
	v_cmp_lt_f64_e32 vcc_lo, v[233:234], v[235:236]
	v_cndmask_b32_e32 v215, v215, v230, vcc_lo
	v_cndmask_b32_e32 v214, v214, v229, vcc_lo
	;; [unrolled: 1-line block ×4, first 2 shown]
	v_cndmask_b32_e64 v222, v222, s1, vcc_lo
	s_add_i32 s1, s1, 1
	s_cmp_lg_u32 s8, s1
	s_cbranch_scc1 .LBB104_169
.LBB104_170:
	s_inst_prefetch 0x2
	s_waitcnt lgkmcnt(0)
	v_cmp_eq_f64_e32 vcc_lo, 0, v[214:215]
	v_cmp_eq_f64_e64 s0, 0, v[216:217]
	s_and_b32 s0, vcc_lo, s0
	s_and_saveexec_b32 s1, s0
	s_xor_b32 s0, exec_lo, s1
; %bb.171:
	v_cmp_ne_u32_e32 vcc_lo, 0, v227
	v_cndmask_b32_e32 v227, 9, v227, vcc_lo
; %bb.172:
	s_andn2_saveexec_b32 s0, s0
	s_cbranch_execz .LBB104_178
; %bb.173:
	v_cmp_ngt_f64_e64 s1, |v[214:215]|, |v[216:217]|
	s_and_saveexec_b32 s7, s1
	s_xor_b32 s1, exec_lo, s7
	s_cbranch_execz .LBB104_175
; %bb.174:
	v_div_scale_f64 v[229:230], null, v[216:217], v[216:217], v[214:215]
	v_div_scale_f64 v[235:236], vcc_lo, v[214:215], v[216:217], v[214:215]
	v_rcp_f64_e32 v[231:232], v[229:230]
	v_fma_f64 v[233:234], -v[229:230], v[231:232], 1.0
	v_fma_f64 v[231:232], v[231:232], v[233:234], v[231:232]
	v_fma_f64 v[233:234], -v[229:230], v[231:232], 1.0
	v_fma_f64 v[231:232], v[231:232], v[233:234], v[231:232]
	v_mul_f64 v[233:234], v[235:236], v[231:232]
	v_fma_f64 v[229:230], -v[229:230], v[233:234], v[235:236]
	v_div_fmas_f64 v[229:230], v[229:230], v[231:232], v[233:234]
	v_div_fixup_f64 v[229:230], v[229:230], v[216:217], v[214:215]
	v_fma_f64 v[214:215], v[214:215], v[229:230], v[216:217]
	v_div_scale_f64 v[216:217], null, v[214:215], v[214:215], 1.0
	v_rcp_f64_e32 v[231:232], v[216:217]
	v_fma_f64 v[233:234], -v[216:217], v[231:232], 1.0
	v_fma_f64 v[231:232], v[231:232], v[233:234], v[231:232]
	v_fma_f64 v[233:234], -v[216:217], v[231:232], 1.0
	v_fma_f64 v[231:232], v[231:232], v[233:234], v[231:232]
	v_div_scale_f64 v[233:234], vcc_lo, 1.0, v[214:215], 1.0
	v_mul_f64 v[235:236], v[233:234], v[231:232]
	v_fma_f64 v[216:217], -v[216:217], v[235:236], v[233:234]
	v_div_fmas_f64 v[216:217], v[216:217], v[231:232], v[235:236]
	v_div_fixup_f64 v[216:217], v[216:217], v[214:215], 1.0
	v_mul_f64 v[214:215], v[229:230], v[216:217]
	v_xor_b32_e32 v217, 0x80000000, v217
.LBB104_175:
	s_andn2_saveexec_b32 s1, s1
	s_cbranch_execz .LBB104_177
; %bb.176:
	v_div_scale_f64 v[229:230], null, v[214:215], v[214:215], v[216:217]
	v_div_scale_f64 v[235:236], vcc_lo, v[216:217], v[214:215], v[216:217]
	v_rcp_f64_e32 v[231:232], v[229:230]
	v_fma_f64 v[233:234], -v[229:230], v[231:232], 1.0
	v_fma_f64 v[231:232], v[231:232], v[233:234], v[231:232]
	v_fma_f64 v[233:234], -v[229:230], v[231:232], 1.0
	v_fma_f64 v[231:232], v[231:232], v[233:234], v[231:232]
	v_mul_f64 v[233:234], v[235:236], v[231:232]
	v_fma_f64 v[229:230], -v[229:230], v[233:234], v[235:236]
	v_div_fmas_f64 v[229:230], v[229:230], v[231:232], v[233:234]
	v_div_fixup_f64 v[229:230], v[229:230], v[214:215], v[216:217]
	v_fma_f64 v[214:215], v[216:217], v[229:230], v[214:215]
	v_div_scale_f64 v[216:217], null, v[214:215], v[214:215], 1.0
	v_rcp_f64_e32 v[231:232], v[216:217]
	v_fma_f64 v[233:234], -v[216:217], v[231:232], 1.0
	v_fma_f64 v[231:232], v[231:232], v[233:234], v[231:232]
	v_fma_f64 v[233:234], -v[216:217], v[231:232], 1.0
	v_fma_f64 v[231:232], v[231:232], v[233:234], v[231:232]
	v_div_scale_f64 v[233:234], vcc_lo, 1.0, v[214:215], 1.0
	v_mul_f64 v[235:236], v[233:234], v[231:232]
	v_fma_f64 v[216:217], -v[216:217], v[235:236], v[233:234]
	v_div_fmas_f64 v[216:217], v[216:217], v[231:232], v[235:236]
	v_div_fixup_f64 v[214:215], v[216:217], v[214:215], 1.0
	v_mul_f64 v[216:217], v[229:230], -v[214:215]
.LBB104_177:
	s_or_b32 exec_lo, exec_lo, s1
.LBB104_178:
	s_or_b32 exec_lo, exec_lo, s0
	s_mov_b32 s0, exec_lo
	v_cmpx_ne_u32_e64 v228, v222
	s_xor_b32 s0, exec_lo, s0
	s_cbranch_execz .LBB104_184
; %bb.179:
	s_mov_b32 s1, exec_lo
	v_cmpx_eq_u32_e32 8, v228
	s_cbranch_execz .LBB104_183
; %bb.180:
	v_cmp_ne_u32_e32 vcc_lo, 8, v222
	s_xor_b32 s7, s16, -1
	s_and_b32 s9, s7, vcc_lo
	s_and_saveexec_b32 s7, s9
	s_cbranch_execz .LBB104_182
; %bb.181:
	v_ashrrev_i32_e32 v223, 31, v222
	v_lshlrev_b64 v[228:229], 2, v[222:223]
	v_add_co_u32 v228, vcc_lo, v220, v228
	v_add_co_ci_u32_e64 v229, null, v221, v229, vcc_lo
	s_clause 0x1
	global_load_dword v0, v[228:229], off
	global_load_dword v223, v[220:221], off offset:32
	s_waitcnt vmcnt(1)
	global_store_dword v[220:221], v0, off offset:32
	s_waitcnt vmcnt(0)
	global_store_dword v[228:229], v223, off
.LBB104_182:
	s_or_b32 exec_lo, exec_lo, s7
	v_mov_b32_e32 v228, v222
	v_mov_b32_e32 v0, v222
.LBB104_183:
	s_or_b32 exec_lo, exec_lo, s1
.LBB104_184:
	s_andn2_saveexec_b32 s0, s0
	s_cbranch_execz .LBB104_186
; %bb.185:
	v_mov_b32_e32 v228, 8
	ds_write2_b64 v1, v[174:175], v[176:177] offset0:18 offset1:19
	ds_write2_b64 v1, v[170:171], v[172:173] offset0:20 offset1:21
	ds_write2_b64 v1, v[166:167], v[168:169] offset0:22 offset1:23
	ds_write2_b64 v1, v[162:163], v[164:165] offset0:24 offset1:25
	ds_write2_b64 v1, v[158:159], v[160:161] offset0:26 offset1:27
	ds_write2_b64 v1, v[154:155], v[156:157] offset0:28 offset1:29
	ds_write2_b64 v1, v[150:151], v[152:153] offset0:30 offset1:31
	ds_write2_b64 v1, v[146:147], v[148:149] offset0:32 offset1:33
	ds_write2_b64 v1, v[142:143], v[144:145] offset0:34 offset1:35
	ds_write2_b64 v1, v[138:139], v[140:141] offset0:36 offset1:37
	ds_write2_b64 v1, v[134:135], v[136:137] offset0:38 offset1:39
	ds_write2_b64 v1, v[130:131], v[132:133] offset0:40 offset1:41
	ds_write2_b64 v1, v[126:127], v[128:129] offset0:42 offset1:43
	ds_write2_b64 v1, v[122:123], v[124:125] offset0:44 offset1:45
	ds_write2_b64 v1, v[118:119], v[120:121] offset0:46 offset1:47
	ds_write2_b64 v1, v[114:115], v[116:117] offset0:48 offset1:49
	ds_write2_b64 v1, v[110:111], v[112:113] offset0:50 offset1:51
	ds_write2_b64 v1, v[106:107], v[108:109] offset0:52 offset1:53
	ds_write2_b64 v1, v[102:103], v[104:105] offset0:54 offset1:55
	ds_write2_b64 v1, v[98:99], v[100:101] offset0:56 offset1:57
	ds_write2_b64 v1, v[94:95], v[96:97] offset0:58 offset1:59
	ds_write2_b64 v1, v[90:91], v[92:93] offset0:60 offset1:61
	ds_write2_b64 v1, v[86:87], v[88:89] offset0:62 offset1:63
	ds_write2_b64 v1, v[82:83], v[84:85] offset0:64 offset1:65
	ds_write2_b64 v1, v[78:79], v[80:81] offset0:66 offset1:67
	ds_write2_b64 v1, v[74:75], v[76:77] offset0:68 offset1:69
	ds_write2_b64 v1, v[70:71], v[72:73] offset0:70 offset1:71
	ds_write2_b64 v1, v[66:67], v[68:69] offset0:72 offset1:73
	ds_write2_b64 v1, v[62:63], v[64:65] offset0:74 offset1:75
	ds_write2_b64 v1, v[58:59], v[60:61] offset0:76 offset1:77
	ds_write2_b64 v1, v[54:55], v[56:57] offset0:78 offset1:79
	ds_write2_b64 v1, v[50:51], v[52:53] offset0:80 offset1:81
	ds_write2_b64 v1, v[46:47], v[48:49] offset0:82 offset1:83
	ds_write2_b64 v1, v[42:43], v[44:45] offset0:84 offset1:85
	ds_write2_b64 v1, v[38:39], v[40:41] offset0:86 offset1:87
	ds_write2_b64 v1, v[34:35], v[36:37] offset0:88 offset1:89
	ds_write2_b64 v1, v[30:31], v[32:33] offset0:90 offset1:91
	ds_write2_b64 v1, v[26:27], v[28:29] offset0:92 offset1:93
	ds_write2_b64 v1, v[22:23], v[24:25] offset0:94 offset1:95
	ds_write2_b64 v1, v[18:19], v[20:21] offset0:96 offset1:97
	ds_write2_b64 v1, v[14:15], v[16:17] offset0:98 offset1:99
	ds_write2_b64 v1, v[10:11], v[12:13] offset0:100 offset1:101
	ds_write2_b64 v1, v[6:7], v[8:9] offset0:102 offset1:103
	ds_write2_b64 v1, v[2:3], v[4:5] offset0:104 offset1:105
.LBB104_186:
	s_or_b32 exec_lo, exec_lo, s0
	s_mov_b32 s0, exec_lo
	s_waitcnt lgkmcnt(0)
	s_waitcnt_vscnt null, 0x0
	s_barrier
	buffer_gl0_inv
	v_cmpx_lt_i32_e32 8, v228
	s_cbranch_execz .LBB104_188
; %bb.187:
	v_mul_f64 v[222:223], v[216:217], v[180:181]
	v_mul_f64 v[180:181], v[214:215], v[180:181]
	v_fma_f64 v[222:223], v[214:215], v[178:179], -v[222:223]
	v_fma_f64 v[180:181], v[216:217], v[178:179], v[180:181]
	ds_read2_b64 v[214:217], v1 offset0:18 offset1:19
	s_waitcnt lgkmcnt(0)
	v_mul_f64 v[178:179], v[216:217], v[180:181]
	v_fma_f64 v[178:179], v[214:215], v[222:223], -v[178:179]
	v_mul_f64 v[214:215], v[214:215], v[180:181]
	v_add_f64 v[174:175], v[174:175], -v[178:179]
	v_fma_f64 v[214:215], v[216:217], v[222:223], v[214:215]
	v_add_f64 v[176:177], v[176:177], -v[214:215]
	ds_read2_b64 v[214:217], v1 offset0:20 offset1:21
	s_waitcnt lgkmcnt(0)
	v_mul_f64 v[178:179], v[216:217], v[180:181]
	v_fma_f64 v[178:179], v[214:215], v[222:223], -v[178:179]
	v_mul_f64 v[214:215], v[214:215], v[180:181]
	v_add_f64 v[170:171], v[170:171], -v[178:179]
	v_fma_f64 v[214:215], v[216:217], v[222:223], v[214:215]
	v_add_f64 v[172:173], v[172:173], -v[214:215]
	;; [unrolled: 8-line block ×43, first 2 shown]
	ds_read2_b64 v[214:217], v1 offset0:104 offset1:105
	s_waitcnt lgkmcnt(0)
	v_mul_f64 v[178:179], v[216:217], v[180:181]
	v_fma_f64 v[178:179], v[214:215], v[222:223], -v[178:179]
	v_mul_f64 v[214:215], v[214:215], v[180:181]
	v_add_f64 v[2:3], v[2:3], -v[178:179]
	v_fma_f64 v[214:215], v[216:217], v[222:223], v[214:215]
	v_mov_b32_e32 v178, v222
	v_mov_b32_e32 v179, v223
	v_add_f64 v[4:5], v[4:5], -v[214:215]
.LBB104_188:
	s_or_b32 exec_lo, exec_lo, s0
	v_lshl_add_u32 v214, v228, 4, v1
	s_barrier
	buffer_gl0_inv
	v_mov_b32_e32 v222, 9
	ds_write2_b64 v214, v[174:175], v[176:177] offset1:1
	s_waitcnt lgkmcnt(0)
	s_barrier
	buffer_gl0_inv
	ds_read2_b64 v[214:217], v1 offset0:18 offset1:19
	s_cmp_lt_i32 s8, 11
	s_cbranch_scc1 .LBB104_191
; %bb.189:
	v_add3_u32 v223, v224, 0, 0xa0
	v_mov_b32_e32 v222, 9
	s_mov_b32 s1, 10
	s_inst_prefetch 0x1
	.p2align	6
.LBB104_190:                            ; =>This Inner Loop Header: Depth=1
	s_waitcnt lgkmcnt(0)
	v_cmp_gt_f64_e32 vcc_lo, 0, v[216:217]
	v_cmp_gt_f64_e64 s0, 0, v[214:215]
	ds_read2_b64 v[229:232], v223 offset1:1
	v_xor_b32_e32 v234, 0x80000000, v215
	v_xor_b32_e32 v236, 0x80000000, v217
	v_mov_b32_e32 v233, v214
	v_mov_b32_e32 v235, v216
	v_add_nc_u32_e32 v223, 16, v223
	s_waitcnt lgkmcnt(0)
	v_xor_b32_e32 v238, 0x80000000, v232
	v_cndmask_b32_e64 v234, v215, v234, s0
	v_cndmask_b32_e32 v236, v217, v236, vcc_lo
	v_cmp_gt_f64_e32 vcc_lo, 0, v[231:232]
	v_cmp_gt_f64_e64 s0, 0, v[229:230]
	v_mov_b32_e32 v237, v231
	v_add_f64 v[233:234], v[233:234], v[235:236]
	v_xor_b32_e32 v236, 0x80000000, v230
	v_mov_b32_e32 v235, v229
	v_cndmask_b32_e32 v238, v232, v238, vcc_lo
	v_cndmask_b32_e64 v236, v230, v236, s0
	v_add_f64 v[235:236], v[235:236], v[237:238]
	v_cmp_lt_f64_e32 vcc_lo, v[233:234], v[235:236]
	v_cndmask_b32_e32 v215, v215, v230, vcc_lo
	v_cndmask_b32_e32 v214, v214, v229, vcc_lo
	;; [unrolled: 1-line block ×4, first 2 shown]
	v_cndmask_b32_e64 v222, v222, s1, vcc_lo
	s_add_i32 s1, s1, 1
	s_cmp_lg_u32 s8, s1
	s_cbranch_scc1 .LBB104_190
.LBB104_191:
	s_inst_prefetch 0x2
	s_waitcnt lgkmcnt(0)
	v_cmp_eq_f64_e32 vcc_lo, 0, v[214:215]
	v_cmp_eq_f64_e64 s0, 0, v[216:217]
	s_and_b32 s0, vcc_lo, s0
	s_and_saveexec_b32 s1, s0
	s_xor_b32 s0, exec_lo, s1
; %bb.192:
	v_cmp_ne_u32_e32 vcc_lo, 0, v227
	v_cndmask_b32_e32 v227, 10, v227, vcc_lo
; %bb.193:
	s_andn2_saveexec_b32 s0, s0
	s_cbranch_execz .LBB104_199
; %bb.194:
	v_cmp_ngt_f64_e64 s1, |v[214:215]|, |v[216:217]|
	s_and_saveexec_b32 s7, s1
	s_xor_b32 s1, exec_lo, s7
	s_cbranch_execz .LBB104_196
; %bb.195:
	v_div_scale_f64 v[229:230], null, v[216:217], v[216:217], v[214:215]
	v_div_scale_f64 v[235:236], vcc_lo, v[214:215], v[216:217], v[214:215]
	v_rcp_f64_e32 v[231:232], v[229:230]
	v_fma_f64 v[233:234], -v[229:230], v[231:232], 1.0
	v_fma_f64 v[231:232], v[231:232], v[233:234], v[231:232]
	v_fma_f64 v[233:234], -v[229:230], v[231:232], 1.0
	v_fma_f64 v[231:232], v[231:232], v[233:234], v[231:232]
	v_mul_f64 v[233:234], v[235:236], v[231:232]
	v_fma_f64 v[229:230], -v[229:230], v[233:234], v[235:236]
	v_div_fmas_f64 v[229:230], v[229:230], v[231:232], v[233:234]
	v_div_fixup_f64 v[229:230], v[229:230], v[216:217], v[214:215]
	v_fma_f64 v[214:215], v[214:215], v[229:230], v[216:217]
	v_div_scale_f64 v[216:217], null, v[214:215], v[214:215], 1.0
	v_rcp_f64_e32 v[231:232], v[216:217]
	v_fma_f64 v[233:234], -v[216:217], v[231:232], 1.0
	v_fma_f64 v[231:232], v[231:232], v[233:234], v[231:232]
	v_fma_f64 v[233:234], -v[216:217], v[231:232], 1.0
	v_fma_f64 v[231:232], v[231:232], v[233:234], v[231:232]
	v_div_scale_f64 v[233:234], vcc_lo, 1.0, v[214:215], 1.0
	v_mul_f64 v[235:236], v[233:234], v[231:232]
	v_fma_f64 v[216:217], -v[216:217], v[235:236], v[233:234]
	v_div_fmas_f64 v[216:217], v[216:217], v[231:232], v[235:236]
	v_div_fixup_f64 v[216:217], v[216:217], v[214:215], 1.0
	v_mul_f64 v[214:215], v[229:230], v[216:217]
	v_xor_b32_e32 v217, 0x80000000, v217
.LBB104_196:
	s_andn2_saveexec_b32 s1, s1
	s_cbranch_execz .LBB104_198
; %bb.197:
	v_div_scale_f64 v[229:230], null, v[214:215], v[214:215], v[216:217]
	v_div_scale_f64 v[235:236], vcc_lo, v[216:217], v[214:215], v[216:217]
	v_rcp_f64_e32 v[231:232], v[229:230]
	v_fma_f64 v[233:234], -v[229:230], v[231:232], 1.0
	v_fma_f64 v[231:232], v[231:232], v[233:234], v[231:232]
	v_fma_f64 v[233:234], -v[229:230], v[231:232], 1.0
	v_fma_f64 v[231:232], v[231:232], v[233:234], v[231:232]
	v_mul_f64 v[233:234], v[235:236], v[231:232]
	v_fma_f64 v[229:230], -v[229:230], v[233:234], v[235:236]
	v_div_fmas_f64 v[229:230], v[229:230], v[231:232], v[233:234]
	v_div_fixup_f64 v[229:230], v[229:230], v[214:215], v[216:217]
	v_fma_f64 v[214:215], v[216:217], v[229:230], v[214:215]
	v_div_scale_f64 v[216:217], null, v[214:215], v[214:215], 1.0
	v_rcp_f64_e32 v[231:232], v[216:217]
	v_fma_f64 v[233:234], -v[216:217], v[231:232], 1.0
	v_fma_f64 v[231:232], v[231:232], v[233:234], v[231:232]
	v_fma_f64 v[233:234], -v[216:217], v[231:232], 1.0
	v_fma_f64 v[231:232], v[231:232], v[233:234], v[231:232]
	v_div_scale_f64 v[233:234], vcc_lo, 1.0, v[214:215], 1.0
	v_mul_f64 v[235:236], v[233:234], v[231:232]
	v_fma_f64 v[216:217], -v[216:217], v[235:236], v[233:234]
	v_div_fmas_f64 v[216:217], v[216:217], v[231:232], v[235:236]
	v_div_fixup_f64 v[214:215], v[216:217], v[214:215], 1.0
	v_mul_f64 v[216:217], v[229:230], -v[214:215]
.LBB104_198:
	s_or_b32 exec_lo, exec_lo, s1
.LBB104_199:
	s_or_b32 exec_lo, exec_lo, s0
	s_mov_b32 s0, exec_lo
	v_cmpx_ne_u32_e64 v228, v222
	s_xor_b32 s0, exec_lo, s0
	s_cbranch_execz .LBB104_205
; %bb.200:
	s_mov_b32 s1, exec_lo
	v_cmpx_eq_u32_e32 9, v228
	s_cbranch_execz .LBB104_204
; %bb.201:
	v_cmp_ne_u32_e32 vcc_lo, 9, v222
	s_xor_b32 s7, s16, -1
	s_and_b32 s9, s7, vcc_lo
	s_and_saveexec_b32 s7, s9
	s_cbranch_execz .LBB104_203
; %bb.202:
	v_ashrrev_i32_e32 v223, 31, v222
	v_lshlrev_b64 v[228:229], 2, v[222:223]
	v_add_co_u32 v228, vcc_lo, v220, v228
	v_add_co_ci_u32_e64 v229, null, v221, v229, vcc_lo
	s_clause 0x1
	global_load_dword v0, v[228:229], off
	global_load_dword v223, v[220:221], off offset:36
	s_waitcnt vmcnt(1)
	global_store_dword v[220:221], v0, off offset:36
	s_waitcnt vmcnt(0)
	global_store_dword v[228:229], v223, off
.LBB104_203:
	s_or_b32 exec_lo, exec_lo, s7
	v_mov_b32_e32 v228, v222
	v_mov_b32_e32 v0, v222
.LBB104_204:
	s_or_b32 exec_lo, exec_lo, s1
.LBB104_205:
	s_andn2_saveexec_b32 s0, s0
	s_cbranch_execz .LBB104_207
; %bb.206:
	v_mov_b32_e32 v228, 9
	ds_write2_b64 v1, v[170:171], v[172:173] offset0:20 offset1:21
	ds_write2_b64 v1, v[166:167], v[168:169] offset0:22 offset1:23
	;; [unrolled: 1-line block ×43, first 2 shown]
.LBB104_207:
	s_or_b32 exec_lo, exec_lo, s0
	s_mov_b32 s0, exec_lo
	s_waitcnt lgkmcnt(0)
	s_waitcnt_vscnt null, 0x0
	s_barrier
	buffer_gl0_inv
	v_cmpx_lt_i32_e32 9, v228
	s_cbranch_execz .LBB104_209
; %bb.208:
	v_mul_f64 v[222:223], v[216:217], v[176:177]
	v_mul_f64 v[176:177], v[214:215], v[176:177]
	v_fma_f64 v[222:223], v[214:215], v[174:175], -v[222:223]
	v_fma_f64 v[176:177], v[216:217], v[174:175], v[176:177]
	ds_read2_b64 v[214:217], v1 offset0:20 offset1:21
	s_waitcnt lgkmcnt(0)
	v_mul_f64 v[174:175], v[216:217], v[176:177]
	v_fma_f64 v[174:175], v[214:215], v[222:223], -v[174:175]
	v_mul_f64 v[214:215], v[214:215], v[176:177]
	v_add_f64 v[170:171], v[170:171], -v[174:175]
	v_fma_f64 v[214:215], v[216:217], v[222:223], v[214:215]
	v_add_f64 v[172:173], v[172:173], -v[214:215]
	ds_read2_b64 v[214:217], v1 offset0:22 offset1:23
	s_waitcnt lgkmcnt(0)
	v_mul_f64 v[174:175], v[216:217], v[176:177]
	v_fma_f64 v[174:175], v[214:215], v[222:223], -v[174:175]
	v_mul_f64 v[214:215], v[214:215], v[176:177]
	v_add_f64 v[166:167], v[166:167], -v[174:175]
	v_fma_f64 v[214:215], v[216:217], v[222:223], v[214:215]
	v_add_f64 v[168:169], v[168:169], -v[214:215]
	ds_read2_b64 v[214:217], v1 offset0:24 offset1:25
	s_waitcnt lgkmcnt(0)
	v_mul_f64 v[174:175], v[216:217], v[176:177]
	v_fma_f64 v[174:175], v[214:215], v[222:223], -v[174:175]
	v_mul_f64 v[214:215], v[214:215], v[176:177]
	v_add_f64 v[162:163], v[162:163], -v[174:175]
	v_fma_f64 v[214:215], v[216:217], v[222:223], v[214:215]
	v_add_f64 v[164:165], v[164:165], -v[214:215]
	ds_read2_b64 v[214:217], v1 offset0:26 offset1:27
	s_waitcnt lgkmcnt(0)
	v_mul_f64 v[174:175], v[216:217], v[176:177]
	v_fma_f64 v[174:175], v[214:215], v[222:223], -v[174:175]
	v_mul_f64 v[214:215], v[214:215], v[176:177]
	v_add_f64 v[158:159], v[158:159], -v[174:175]
	v_fma_f64 v[214:215], v[216:217], v[222:223], v[214:215]
	v_add_f64 v[160:161], v[160:161], -v[214:215]
	ds_read2_b64 v[214:217], v1 offset0:28 offset1:29
	s_waitcnt lgkmcnt(0)
	v_mul_f64 v[174:175], v[216:217], v[176:177]
	v_fma_f64 v[174:175], v[214:215], v[222:223], -v[174:175]
	v_mul_f64 v[214:215], v[214:215], v[176:177]
	v_add_f64 v[154:155], v[154:155], -v[174:175]
	v_fma_f64 v[214:215], v[216:217], v[222:223], v[214:215]
	v_add_f64 v[156:157], v[156:157], -v[214:215]
	ds_read2_b64 v[214:217], v1 offset0:30 offset1:31
	s_waitcnt lgkmcnt(0)
	v_mul_f64 v[174:175], v[216:217], v[176:177]
	v_fma_f64 v[174:175], v[214:215], v[222:223], -v[174:175]
	v_mul_f64 v[214:215], v[214:215], v[176:177]
	v_add_f64 v[150:151], v[150:151], -v[174:175]
	v_fma_f64 v[214:215], v[216:217], v[222:223], v[214:215]
	v_add_f64 v[152:153], v[152:153], -v[214:215]
	ds_read2_b64 v[214:217], v1 offset0:32 offset1:33
	s_waitcnt lgkmcnt(0)
	v_mul_f64 v[174:175], v[216:217], v[176:177]
	v_fma_f64 v[174:175], v[214:215], v[222:223], -v[174:175]
	v_mul_f64 v[214:215], v[214:215], v[176:177]
	v_add_f64 v[146:147], v[146:147], -v[174:175]
	v_fma_f64 v[214:215], v[216:217], v[222:223], v[214:215]
	v_add_f64 v[148:149], v[148:149], -v[214:215]
	ds_read2_b64 v[214:217], v1 offset0:34 offset1:35
	s_waitcnt lgkmcnt(0)
	v_mul_f64 v[174:175], v[216:217], v[176:177]
	v_fma_f64 v[174:175], v[214:215], v[222:223], -v[174:175]
	v_mul_f64 v[214:215], v[214:215], v[176:177]
	v_add_f64 v[142:143], v[142:143], -v[174:175]
	v_fma_f64 v[214:215], v[216:217], v[222:223], v[214:215]
	v_add_f64 v[144:145], v[144:145], -v[214:215]
	ds_read2_b64 v[214:217], v1 offset0:36 offset1:37
	s_waitcnt lgkmcnt(0)
	v_mul_f64 v[174:175], v[216:217], v[176:177]
	v_fma_f64 v[174:175], v[214:215], v[222:223], -v[174:175]
	v_mul_f64 v[214:215], v[214:215], v[176:177]
	v_add_f64 v[138:139], v[138:139], -v[174:175]
	v_fma_f64 v[214:215], v[216:217], v[222:223], v[214:215]
	v_add_f64 v[140:141], v[140:141], -v[214:215]
	ds_read2_b64 v[214:217], v1 offset0:38 offset1:39
	s_waitcnt lgkmcnt(0)
	v_mul_f64 v[174:175], v[216:217], v[176:177]
	v_fma_f64 v[174:175], v[214:215], v[222:223], -v[174:175]
	v_mul_f64 v[214:215], v[214:215], v[176:177]
	v_add_f64 v[134:135], v[134:135], -v[174:175]
	v_fma_f64 v[214:215], v[216:217], v[222:223], v[214:215]
	v_add_f64 v[136:137], v[136:137], -v[214:215]
	ds_read2_b64 v[214:217], v1 offset0:40 offset1:41
	s_waitcnt lgkmcnt(0)
	v_mul_f64 v[174:175], v[216:217], v[176:177]
	v_fma_f64 v[174:175], v[214:215], v[222:223], -v[174:175]
	v_mul_f64 v[214:215], v[214:215], v[176:177]
	v_add_f64 v[130:131], v[130:131], -v[174:175]
	v_fma_f64 v[214:215], v[216:217], v[222:223], v[214:215]
	v_add_f64 v[132:133], v[132:133], -v[214:215]
	ds_read2_b64 v[214:217], v1 offset0:42 offset1:43
	s_waitcnt lgkmcnt(0)
	v_mul_f64 v[174:175], v[216:217], v[176:177]
	v_fma_f64 v[174:175], v[214:215], v[222:223], -v[174:175]
	v_mul_f64 v[214:215], v[214:215], v[176:177]
	v_add_f64 v[126:127], v[126:127], -v[174:175]
	v_fma_f64 v[214:215], v[216:217], v[222:223], v[214:215]
	v_add_f64 v[128:129], v[128:129], -v[214:215]
	ds_read2_b64 v[214:217], v1 offset0:44 offset1:45
	s_waitcnt lgkmcnt(0)
	v_mul_f64 v[174:175], v[216:217], v[176:177]
	v_fma_f64 v[174:175], v[214:215], v[222:223], -v[174:175]
	v_mul_f64 v[214:215], v[214:215], v[176:177]
	v_add_f64 v[122:123], v[122:123], -v[174:175]
	v_fma_f64 v[214:215], v[216:217], v[222:223], v[214:215]
	v_add_f64 v[124:125], v[124:125], -v[214:215]
	ds_read2_b64 v[214:217], v1 offset0:46 offset1:47
	s_waitcnt lgkmcnt(0)
	v_mul_f64 v[174:175], v[216:217], v[176:177]
	v_fma_f64 v[174:175], v[214:215], v[222:223], -v[174:175]
	v_mul_f64 v[214:215], v[214:215], v[176:177]
	v_add_f64 v[118:119], v[118:119], -v[174:175]
	v_fma_f64 v[214:215], v[216:217], v[222:223], v[214:215]
	v_add_f64 v[120:121], v[120:121], -v[214:215]
	ds_read2_b64 v[214:217], v1 offset0:48 offset1:49
	s_waitcnt lgkmcnt(0)
	v_mul_f64 v[174:175], v[216:217], v[176:177]
	v_fma_f64 v[174:175], v[214:215], v[222:223], -v[174:175]
	v_mul_f64 v[214:215], v[214:215], v[176:177]
	v_add_f64 v[114:115], v[114:115], -v[174:175]
	v_fma_f64 v[214:215], v[216:217], v[222:223], v[214:215]
	v_add_f64 v[116:117], v[116:117], -v[214:215]
	ds_read2_b64 v[214:217], v1 offset0:50 offset1:51
	s_waitcnt lgkmcnt(0)
	v_mul_f64 v[174:175], v[216:217], v[176:177]
	v_fma_f64 v[174:175], v[214:215], v[222:223], -v[174:175]
	v_mul_f64 v[214:215], v[214:215], v[176:177]
	v_add_f64 v[110:111], v[110:111], -v[174:175]
	v_fma_f64 v[214:215], v[216:217], v[222:223], v[214:215]
	v_add_f64 v[112:113], v[112:113], -v[214:215]
	ds_read2_b64 v[214:217], v1 offset0:52 offset1:53
	s_waitcnt lgkmcnt(0)
	v_mul_f64 v[174:175], v[216:217], v[176:177]
	v_fma_f64 v[174:175], v[214:215], v[222:223], -v[174:175]
	v_mul_f64 v[214:215], v[214:215], v[176:177]
	v_add_f64 v[106:107], v[106:107], -v[174:175]
	v_fma_f64 v[214:215], v[216:217], v[222:223], v[214:215]
	v_add_f64 v[108:109], v[108:109], -v[214:215]
	ds_read2_b64 v[214:217], v1 offset0:54 offset1:55
	s_waitcnt lgkmcnt(0)
	v_mul_f64 v[174:175], v[216:217], v[176:177]
	v_fma_f64 v[174:175], v[214:215], v[222:223], -v[174:175]
	v_mul_f64 v[214:215], v[214:215], v[176:177]
	v_add_f64 v[102:103], v[102:103], -v[174:175]
	v_fma_f64 v[214:215], v[216:217], v[222:223], v[214:215]
	v_add_f64 v[104:105], v[104:105], -v[214:215]
	ds_read2_b64 v[214:217], v1 offset0:56 offset1:57
	s_waitcnt lgkmcnt(0)
	v_mul_f64 v[174:175], v[216:217], v[176:177]
	v_fma_f64 v[174:175], v[214:215], v[222:223], -v[174:175]
	v_mul_f64 v[214:215], v[214:215], v[176:177]
	v_add_f64 v[98:99], v[98:99], -v[174:175]
	v_fma_f64 v[214:215], v[216:217], v[222:223], v[214:215]
	v_add_f64 v[100:101], v[100:101], -v[214:215]
	ds_read2_b64 v[214:217], v1 offset0:58 offset1:59
	s_waitcnt lgkmcnt(0)
	v_mul_f64 v[174:175], v[216:217], v[176:177]
	v_fma_f64 v[174:175], v[214:215], v[222:223], -v[174:175]
	v_mul_f64 v[214:215], v[214:215], v[176:177]
	v_add_f64 v[94:95], v[94:95], -v[174:175]
	v_fma_f64 v[214:215], v[216:217], v[222:223], v[214:215]
	v_add_f64 v[96:97], v[96:97], -v[214:215]
	ds_read2_b64 v[214:217], v1 offset0:60 offset1:61
	s_waitcnt lgkmcnt(0)
	v_mul_f64 v[174:175], v[216:217], v[176:177]
	v_fma_f64 v[174:175], v[214:215], v[222:223], -v[174:175]
	v_mul_f64 v[214:215], v[214:215], v[176:177]
	v_add_f64 v[90:91], v[90:91], -v[174:175]
	v_fma_f64 v[214:215], v[216:217], v[222:223], v[214:215]
	v_add_f64 v[92:93], v[92:93], -v[214:215]
	ds_read2_b64 v[214:217], v1 offset0:62 offset1:63
	s_waitcnt lgkmcnt(0)
	v_mul_f64 v[174:175], v[216:217], v[176:177]
	v_fma_f64 v[174:175], v[214:215], v[222:223], -v[174:175]
	v_mul_f64 v[214:215], v[214:215], v[176:177]
	v_add_f64 v[86:87], v[86:87], -v[174:175]
	v_fma_f64 v[214:215], v[216:217], v[222:223], v[214:215]
	v_add_f64 v[88:89], v[88:89], -v[214:215]
	ds_read2_b64 v[214:217], v1 offset0:64 offset1:65
	s_waitcnt lgkmcnt(0)
	v_mul_f64 v[174:175], v[216:217], v[176:177]
	v_fma_f64 v[174:175], v[214:215], v[222:223], -v[174:175]
	v_mul_f64 v[214:215], v[214:215], v[176:177]
	v_add_f64 v[82:83], v[82:83], -v[174:175]
	v_fma_f64 v[214:215], v[216:217], v[222:223], v[214:215]
	v_add_f64 v[84:85], v[84:85], -v[214:215]
	ds_read2_b64 v[214:217], v1 offset0:66 offset1:67
	s_waitcnt lgkmcnt(0)
	v_mul_f64 v[174:175], v[216:217], v[176:177]
	v_fma_f64 v[174:175], v[214:215], v[222:223], -v[174:175]
	v_mul_f64 v[214:215], v[214:215], v[176:177]
	v_add_f64 v[78:79], v[78:79], -v[174:175]
	v_fma_f64 v[214:215], v[216:217], v[222:223], v[214:215]
	v_add_f64 v[80:81], v[80:81], -v[214:215]
	ds_read2_b64 v[214:217], v1 offset0:68 offset1:69
	s_waitcnt lgkmcnt(0)
	v_mul_f64 v[174:175], v[216:217], v[176:177]
	v_fma_f64 v[174:175], v[214:215], v[222:223], -v[174:175]
	v_mul_f64 v[214:215], v[214:215], v[176:177]
	v_add_f64 v[74:75], v[74:75], -v[174:175]
	v_fma_f64 v[214:215], v[216:217], v[222:223], v[214:215]
	v_add_f64 v[76:77], v[76:77], -v[214:215]
	ds_read2_b64 v[214:217], v1 offset0:70 offset1:71
	s_waitcnt lgkmcnt(0)
	v_mul_f64 v[174:175], v[216:217], v[176:177]
	v_fma_f64 v[174:175], v[214:215], v[222:223], -v[174:175]
	v_mul_f64 v[214:215], v[214:215], v[176:177]
	v_add_f64 v[70:71], v[70:71], -v[174:175]
	v_fma_f64 v[214:215], v[216:217], v[222:223], v[214:215]
	v_add_f64 v[72:73], v[72:73], -v[214:215]
	ds_read2_b64 v[214:217], v1 offset0:72 offset1:73
	s_waitcnt lgkmcnt(0)
	v_mul_f64 v[174:175], v[216:217], v[176:177]
	v_fma_f64 v[174:175], v[214:215], v[222:223], -v[174:175]
	v_mul_f64 v[214:215], v[214:215], v[176:177]
	v_add_f64 v[66:67], v[66:67], -v[174:175]
	v_fma_f64 v[214:215], v[216:217], v[222:223], v[214:215]
	v_add_f64 v[68:69], v[68:69], -v[214:215]
	ds_read2_b64 v[214:217], v1 offset0:74 offset1:75
	s_waitcnt lgkmcnt(0)
	v_mul_f64 v[174:175], v[216:217], v[176:177]
	v_fma_f64 v[174:175], v[214:215], v[222:223], -v[174:175]
	v_mul_f64 v[214:215], v[214:215], v[176:177]
	v_add_f64 v[62:63], v[62:63], -v[174:175]
	v_fma_f64 v[214:215], v[216:217], v[222:223], v[214:215]
	v_add_f64 v[64:65], v[64:65], -v[214:215]
	ds_read2_b64 v[214:217], v1 offset0:76 offset1:77
	s_waitcnt lgkmcnt(0)
	v_mul_f64 v[174:175], v[216:217], v[176:177]
	v_fma_f64 v[174:175], v[214:215], v[222:223], -v[174:175]
	v_mul_f64 v[214:215], v[214:215], v[176:177]
	v_add_f64 v[58:59], v[58:59], -v[174:175]
	v_fma_f64 v[214:215], v[216:217], v[222:223], v[214:215]
	v_add_f64 v[60:61], v[60:61], -v[214:215]
	ds_read2_b64 v[214:217], v1 offset0:78 offset1:79
	s_waitcnt lgkmcnt(0)
	v_mul_f64 v[174:175], v[216:217], v[176:177]
	v_fma_f64 v[174:175], v[214:215], v[222:223], -v[174:175]
	v_mul_f64 v[214:215], v[214:215], v[176:177]
	v_add_f64 v[54:55], v[54:55], -v[174:175]
	v_fma_f64 v[214:215], v[216:217], v[222:223], v[214:215]
	v_add_f64 v[56:57], v[56:57], -v[214:215]
	ds_read2_b64 v[214:217], v1 offset0:80 offset1:81
	s_waitcnt lgkmcnt(0)
	v_mul_f64 v[174:175], v[216:217], v[176:177]
	v_fma_f64 v[174:175], v[214:215], v[222:223], -v[174:175]
	v_mul_f64 v[214:215], v[214:215], v[176:177]
	v_add_f64 v[50:51], v[50:51], -v[174:175]
	v_fma_f64 v[214:215], v[216:217], v[222:223], v[214:215]
	v_add_f64 v[52:53], v[52:53], -v[214:215]
	ds_read2_b64 v[214:217], v1 offset0:82 offset1:83
	s_waitcnt lgkmcnt(0)
	v_mul_f64 v[174:175], v[216:217], v[176:177]
	v_fma_f64 v[174:175], v[214:215], v[222:223], -v[174:175]
	v_mul_f64 v[214:215], v[214:215], v[176:177]
	v_add_f64 v[46:47], v[46:47], -v[174:175]
	v_fma_f64 v[214:215], v[216:217], v[222:223], v[214:215]
	v_add_f64 v[48:49], v[48:49], -v[214:215]
	ds_read2_b64 v[214:217], v1 offset0:84 offset1:85
	s_waitcnt lgkmcnt(0)
	v_mul_f64 v[174:175], v[216:217], v[176:177]
	v_fma_f64 v[174:175], v[214:215], v[222:223], -v[174:175]
	v_mul_f64 v[214:215], v[214:215], v[176:177]
	v_add_f64 v[42:43], v[42:43], -v[174:175]
	v_fma_f64 v[214:215], v[216:217], v[222:223], v[214:215]
	v_add_f64 v[44:45], v[44:45], -v[214:215]
	ds_read2_b64 v[214:217], v1 offset0:86 offset1:87
	s_waitcnt lgkmcnt(0)
	v_mul_f64 v[174:175], v[216:217], v[176:177]
	v_fma_f64 v[174:175], v[214:215], v[222:223], -v[174:175]
	v_mul_f64 v[214:215], v[214:215], v[176:177]
	v_add_f64 v[38:39], v[38:39], -v[174:175]
	v_fma_f64 v[214:215], v[216:217], v[222:223], v[214:215]
	v_add_f64 v[40:41], v[40:41], -v[214:215]
	ds_read2_b64 v[214:217], v1 offset0:88 offset1:89
	s_waitcnt lgkmcnt(0)
	v_mul_f64 v[174:175], v[216:217], v[176:177]
	v_fma_f64 v[174:175], v[214:215], v[222:223], -v[174:175]
	v_mul_f64 v[214:215], v[214:215], v[176:177]
	v_add_f64 v[34:35], v[34:35], -v[174:175]
	v_fma_f64 v[214:215], v[216:217], v[222:223], v[214:215]
	v_add_f64 v[36:37], v[36:37], -v[214:215]
	ds_read2_b64 v[214:217], v1 offset0:90 offset1:91
	s_waitcnt lgkmcnt(0)
	v_mul_f64 v[174:175], v[216:217], v[176:177]
	v_fma_f64 v[174:175], v[214:215], v[222:223], -v[174:175]
	v_mul_f64 v[214:215], v[214:215], v[176:177]
	v_add_f64 v[30:31], v[30:31], -v[174:175]
	v_fma_f64 v[214:215], v[216:217], v[222:223], v[214:215]
	v_add_f64 v[32:33], v[32:33], -v[214:215]
	ds_read2_b64 v[214:217], v1 offset0:92 offset1:93
	s_waitcnt lgkmcnt(0)
	v_mul_f64 v[174:175], v[216:217], v[176:177]
	v_fma_f64 v[174:175], v[214:215], v[222:223], -v[174:175]
	v_mul_f64 v[214:215], v[214:215], v[176:177]
	v_add_f64 v[26:27], v[26:27], -v[174:175]
	v_fma_f64 v[214:215], v[216:217], v[222:223], v[214:215]
	v_add_f64 v[28:29], v[28:29], -v[214:215]
	ds_read2_b64 v[214:217], v1 offset0:94 offset1:95
	s_waitcnt lgkmcnt(0)
	v_mul_f64 v[174:175], v[216:217], v[176:177]
	v_fma_f64 v[174:175], v[214:215], v[222:223], -v[174:175]
	v_mul_f64 v[214:215], v[214:215], v[176:177]
	v_add_f64 v[22:23], v[22:23], -v[174:175]
	v_fma_f64 v[214:215], v[216:217], v[222:223], v[214:215]
	v_add_f64 v[24:25], v[24:25], -v[214:215]
	ds_read2_b64 v[214:217], v1 offset0:96 offset1:97
	s_waitcnt lgkmcnt(0)
	v_mul_f64 v[174:175], v[216:217], v[176:177]
	v_fma_f64 v[174:175], v[214:215], v[222:223], -v[174:175]
	v_mul_f64 v[214:215], v[214:215], v[176:177]
	v_add_f64 v[18:19], v[18:19], -v[174:175]
	v_fma_f64 v[214:215], v[216:217], v[222:223], v[214:215]
	v_add_f64 v[20:21], v[20:21], -v[214:215]
	ds_read2_b64 v[214:217], v1 offset0:98 offset1:99
	s_waitcnt lgkmcnt(0)
	v_mul_f64 v[174:175], v[216:217], v[176:177]
	v_fma_f64 v[174:175], v[214:215], v[222:223], -v[174:175]
	v_mul_f64 v[214:215], v[214:215], v[176:177]
	v_add_f64 v[14:15], v[14:15], -v[174:175]
	v_fma_f64 v[214:215], v[216:217], v[222:223], v[214:215]
	v_add_f64 v[16:17], v[16:17], -v[214:215]
	ds_read2_b64 v[214:217], v1 offset0:100 offset1:101
	s_waitcnt lgkmcnt(0)
	v_mul_f64 v[174:175], v[216:217], v[176:177]
	v_fma_f64 v[174:175], v[214:215], v[222:223], -v[174:175]
	v_mul_f64 v[214:215], v[214:215], v[176:177]
	v_add_f64 v[10:11], v[10:11], -v[174:175]
	v_fma_f64 v[214:215], v[216:217], v[222:223], v[214:215]
	v_add_f64 v[12:13], v[12:13], -v[214:215]
	ds_read2_b64 v[214:217], v1 offset0:102 offset1:103
	s_waitcnt lgkmcnt(0)
	v_mul_f64 v[174:175], v[216:217], v[176:177]
	v_fma_f64 v[174:175], v[214:215], v[222:223], -v[174:175]
	v_mul_f64 v[214:215], v[214:215], v[176:177]
	v_add_f64 v[6:7], v[6:7], -v[174:175]
	v_fma_f64 v[214:215], v[216:217], v[222:223], v[214:215]
	v_add_f64 v[8:9], v[8:9], -v[214:215]
	ds_read2_b64 v[214:217], v1 offset0:104 offset1:105
	s_waitcnt lgkmcnt(0)
	v_mul_f64 v[174:175], v[216:217], v[176:177]
	v_fma_f64 v[174:175], v[214:215], v[222:223], -v[174:175]
	v_mul_f64 v[214:215], v[214:215], v[176:177]
	v_add_f64 v[2:3], v[2:3], -v[174:175]
	v_fma_f64 v[214:215], v[216:217], v[222:223], v[214:215]
	v_mov_b32_e32 v174, v222
	v_mov_b32_e32 v175, v223
	v_add_f64 v[4:5], v[4:5], -v[214:215]
.LBB104_209:
	s_or_b32 exec_lo, exec_lo, s0
	v_lshl_add_u32 v214, v228, 4, v1
	s_barrier
	buffer_gl0_inv
	v_mov_b32_e32 v222, 10
	ds_write2_b64 v214, v[170:171], v[172:173] offset1:1
	s_waitcnt lgkmcnt(0)
	s_barrier
	buffer_gl0_inv
	ds_read2_b64 v[214:217], v1 offset0:20 offset1:21
	s_cmp_lt_i32 s8, 12
	s_cbranch_scc1 .LBB104_212
; %bb.210:
	v_add3_u32 v223, v224, 0, 0xb0
	v_mov_b32_e32 v222, 10
	s_mov_b32 s1, 11
	s_inst_prefetch 0x1
	.p2align	6
.LBB104_211:                            ; =>This Inner Loop Header: Depth=1
	s_waitcnt lgkmcnt(0)
	v_cmp_gt_f64_e32 vcc_lo, 0, v[216:217]
	v_cmp_gt_f64_e64 s0, 0, v[214:215]
	ds_read2_b64 v[229:232], v223 offset1:1
	v_xor_b32_e32 v234, 0x80000000, v215
	v_xor_b32_e32 v236, 0x80000000, v217
	v_mov_b32_e32 v233, v214
	v_mov_b32_e32 v235, v216
	v_add_nc_u32_e32 v223, 16, v223
	s_waitcnt lgkmcnt(0)
	v_xor_b32_e32 v238, 0x80000000, v232
	v_cndmask_b32_e64 v234, v215, v234, s0
	v_cndmask_b32_e32 v236, v217, v236, vcc_lo
	v_cmp_gt_f64_e32 vcc_lo, 0, v[231:232]
	v_cmp_gt_f64_e64 s0, 0, v[229:230]
	v_mov_b32_e32 v237, v231
	v_add_f64 v[233:234], v[233:234], v[235:236]
	v_xor_b32_e32 v236, 0x80000000, v230
	v_mov_b32_e32 v235, v229
	v_cndmask_b32_e32 v238, v232, v238, vcc_lo
	v_cndmask_b32_e64 v236, v230, v236, s0
	v_add_f64 v[235:236], v[235:236], v[237:238]
	v_cmp_lt_f64_e32 vcc_lo, v[233:234], v[235:236]
	v_cndmask_b32_e32 v215, v215, v230, vcc_lo
	v_cndmask_b32_e32 v214, v214, v229, vcc_lo
	;; [unrolled: 1-line block ×4, first 2 shown]
	v_cndmask_b32_e64 v222, v222, s1, vcc_lo
	s_add_i32 s1, s1, 1
	s_cmp_lg_u32 s8, s1
	s_cbranch_scc1 .LBB104_211
.LBB104_212:
	s_inst_prefetch 0x2
	s_waitcnt lgkmcnt(0)
	v_cmp_eq_f64_e32 vcc_lo, 0, v[214:215]
	v_cmp_eq_f64_e64 s0, 0, v[216:217]
	s_and_b32 s0, vcc_lo, s0
	s_and_saveexec_b32 s1, s0
	s_xor_b32 s0, exec_lo, s1
; %bb.213:
	v_cmp_ne_u32_e32 vcc_lo, 0, v227
	v_cndmask_b32_e32 v227, 11, v227, vcc_lo
; %bb.214:
	s_andn2_saveexec_b32 s0, s0
	s_cbranch_execz .LBB104_220
; %bb.215:
	v_cmp_ngt_f64_e64 s1, |v[214:215]|, |v[216:217]|
	s_and_saveexec_b32 s7, s1
	s_xor_b32 s1, exec_lo, s7
	s_cbranch_execz .LBB104_217
; %bb.216:
	v_div_scale_f64 v[229:230], null, v[216:217], v[216:217], v[214:215]
	v_div_scale_f64 v[235:236], vcc_lo, v[214:215], v[216:217], v[214:215]
	v_rcp_f64_e32 v[231:232], v[229:230]
	v_fma_f64 v[233:234], -v[229:230], v[231:232], 1.0
	v_fma_f64 v[231:232], v[231:232], v[233:234], v[231:232]
	v_fma_f64 v[233:234], -v[229:230], v[231:232], 1.0
	v_fma_f64 v[231:232], v[231:232], v[233:234], v[231:232]
	v_mul_f64 v[233:234], v[235:236], v[231:232]
	v_fma_f64 v[229:230], -v[229:230], v[233:234], v[235:236]
	v_div_fmas_f64 v[229:230], v[229:230], v[231:232], v[233:234]
	v_div_fixup_f64 v[229:230], v[229:230], v[216:217], v[214:215]
	v_fma_f64 v[214:215], v[214:215], v[229:230], v[216:217]
	v_div_scale_f64 v[216:217], null, v[214:215], v[214:215], 1.0
	v_rcp_f64_e32 v[231:232], v[216:217]
	v_fma_f64 v[233:234], -v[216:217], v[231:232], 1.0
	v_fma_f64 v[231:232], v[231:232], v[233:234], v[231:232]
	v_fma_f64 v[233:234], -v[216:217], v[231:232], 1.0
	v_fma_f64 v[231:232], v[231:232], v[233:234], v[231:232]
	v_div_scale_f64 v[233:234], vcc_lo, 1.0, v[214:215], 1.0
	v_mul_f64 v[235:236], v[233:234], v[231:232]
	v_fma_f64 v[216:217], -v[216:217], v[235:236], v[233:234]
	v_div_fmas_f64 v[216:217], v[216:217], v[231:232], v[235:236]
	v_div_fixup_f64 v[216:217], v[216:217], v[214:215], 1.0
	v_mul_f64 v[214:215], v[229:230], v[216:217]
	v_xor_b32_e32 v217, 0x80000000, v217
.LBB104_217:
	s_andn2_saveexec_b32 s1, s1
	s_cbranch_execz .LBB104_219
; %bb.218:
	v_div_scale_f64 v[229:230], null, v[214:215], v[214:215], v[216:217]
	v_div_scale_f64 v[235:236], vcc_lo, v[216:217], v[214:215], v[216:217]
	v_rcp_f64_e32 v[231:232], v[229:230]
	v_fma_f64 v[233:234], -v[229:230], v[231:232], 1.0
	v_fma_f64 v[231:232], v[231:232], v[233:234], v[231:232]
	v_fma_f64 v[233:234], -v[229:230], v[231:232], 1.0
	v_fma_f64 v[231:232], v[231:232], v[233:234], v[231:232]
	v_mul_f64 v[233:234], v[235:236], v[231:232]
	v_fma_f64 v[229:230], -v[229:230], v[233:234], v[235:236]
	v_div_fmas_f64 v[229:230], v[229:230], v[231:232], v[233:234]
	v_div_fixup_f64 v[229:230], v[229:230], v[214:215], v[216:217]
	v_fma_f64 v[214:215], v[216:217], v[229:230], v[214:215]
	v_div_scale_f64 v[216:217], null, v[214:215], v[214:215], 1.0
	v_rcp_f64_e32 v[231:232], v[216:217]
	v_fma_f64 v[233:234], -v[216:217], v[231:232], 1.0
	v_fma_f64 v[231:232], v[231:232], v[233:234], v[231:232]
	v_fma_f64 v[233:234], -v[216:217], v[231:232], 1.0
	v_fma_f64 v[231:232], v[231:232], v[233:234], v[231:232]
	v_div_scale_f64 v[233:234], vcc_lo, 1.0, v[214:215], 1.0
	v_mul_f64 v[235:236], v[233:234], v[231:232]
	v_fma_f64 v[216:217], -v[216:217], v[235:236], v[233:234]
	v_div_fmas_f64 v[216:217], v[216:217], v[231:232], v[235:236]
	v_div_fixup_f64 v[214:215], v[216:217], v[214:215], 1.0
	v_mul_f64 v[216:217], v[229:230], -v[214:215]
.LBB104_219:
	s_or_b32 exec_lo, exec_lo, s1
.LBB104_220:
	s_or_b32 exec_lo, exec_lo, s0
	s_mov_b32 s0, exec_lo
	v_cmpx_ne_u32_e64 v228, v222
	s_xor_b32 s0, exec_lo, s0
	s_cbranch_execz .LBB104_226
; %bb.221:
	s_mov_b32 s1, exec_lo
	v_cmpx_eq_u32_e32 10, v228
	s_cbranch_execz .LBB104_225
; %bb.222:
	v_cmp_ne_u32_e32 vcc_lo, 10, v222
	s_xor_b32 s7, s16, -1
	s_and_b32 s9, s7, vcc_lo
	s_and_saveexec_b32 s7, s9
	s_cbranch_execz .LBB104_224
; %bb.223:
	v_ashrrev_i32_e32 v223, 31, v222
	v_lshlrev_b64 v[228:229], 2, v[222:223]
	v_add_co_u32 v228, vcc_lo, v220, v228
	v_add_co_ci_u32_e64 v229, null, v221, v229, vcc_lo
	s_clause 0x1
	global_load_dword v0, v[228:229], off
	global_load_dword v223, v[220:221], off offset:40
	s_waitcnt vmcnt(1)
	global_store_dword v[220:221], v0, off offset:40
	s_waitcnt vmcnt(0)
	global_store_dword v[228:229], v223, off
.LBB104_224:
	s_or_b32 exec_lo, exec_lo, s7
	v_mov_b32_e32 v228, v222
	v_mov_b32_e32 v0, v222
.LBB104_225:
	s_or_b32 exec_lo, exec_lo, s1
.LBB104_226:
	s_andn2_saveexec_b32 s0, s0
	s_cbranch_execz .LBB104_228
; %bb.227:
	v_mov_b32_e32 v228, 10
	ds_write2_b64 v1, v[166:167], v[168:169] offset0:22 offset1:23
	ds_write2_b64 v1, v[162:163], v[164:165] offset0:24 offset1:25
	;; [unrolled: 1-line block ×42, first 2 shown]
.LBB104_228:
	s_or_b32 exec_lo, exec_lo, s0
	s_mov_b32 s0, exec_lo
	s_waitcnt lgkmcnt(0)
	s_waitcnt_vscnt null, 0x0
	s_barrier
	buffer_gl0_inv
	v_cmpx_lt_i32_e32 10, v228
	s_cbranch_execz .LBB104_230
; %bb.229:
	v_mul_f64 v[222:223], v[216:217], v[172:173]
	v_mul_f64 v[172:173], v[214:215], v[172:173]
	v_fma_f64 v[222:223], v[214:215], v[170:171], -v[222:223]
	v_fma_f64 v[172:173], v[216:217], v[170:171], v[172:173]
	ds_read2_b64 v[214:217], v1 offset0:22 offset1:23
	s_waitcnt lgkmcnt(0)
	v_mul_f64 v[170:171], v[216:217], v[172:173]
	v_fma_f64 v[170:171], v[214:215], v[222:223], -v[170:171]
	v_mul_f64 v[214:215], v[214:215], v[172:173]
	v_add_f64 v[166:167], v[166:167], -v[170:171]
	v_fma_f64 v[214:215], v[216:217], v[222:223], v[214:215]
	v_add_f64 v[168:169], v[168:169], -v[214:215]
	ds_read2_b64 v[214:217], v1 offset0:24 offset1:25
	s_waitcnt lgkmcnt(0)
	v_mul_f64 v[170:171], v[216:217], v[172:173]
	v_fma_f64 v[170:171], v[214:215], v[222:223], -v[170:171]
	v_mul_f64 v[214:215], v[214:215], v[172:173]
	v_add_f64 v[162:163], v[162:163], -v[170:171]
	v_fma_f64 v[214:215], v[216:217], v[222:223], v[214:215]
	v_add_f64 v[164:165], v[164:165], -v[214:215]
	;; [unrolled: 8-line block ×41, first 2 shown]
	ds_read2_b64 v[214:217], v1 offset0:104 offset1:105
	s_waitcnt lgkmcnt(0)
	v_mul_f64 v[170:171], v[216:217], v[172:173]
	v_fma_f64 v[170:171], v[214:215], v[222:223], -v[170:171]
	v_mul_f64 v[214:215], v[214:215], v[172:173]
	v_add_f64 v[2:3], v[2:3], -v[170:171]
	v_fma_f64 v[214:215], v[216:217], v[222:223], v[214:215]
	v_mov_b32_e32 v170, v222
	v_mov_b32_e32 v171, v223
	v_add_f64 v[4:5], v[4:5], -v[214:215]
.LBB104_230:
	s_or_b32 exec_lo, exec_lo, s0
	v_lshl_add_u32 v214, v228, 4, v1
	s_barrier
	buffer_gl0_inv
	v_mov_b32_e32 v222, 11
	ds_write2_b64 v214, v[166:167], v[168:169] offset1:1
	s_waitcnt lgkmcnt(0)
	s_barrier
	buffer_gl0_inv
	ds_read2_b64 v[214:217], v1 offset0:22 offset1:23
	s_cmp_lt_i32 s8, 13
	s_cbranch_scc1 .LBB104_233
; %bb.231:
	v_add3_u32 v223, v224, 0, 0xc0
	v_mov_b32_e32 v222, 11
	s_mov_b32 s1, 12
	s_inst_prefetch 0x1
	.p2align	6
.LBB104_232:                            ; =>This Inner Loop Header: Depth=1
	s_waitcnt lgkmcnt(0)
	v_cmp_gt_f64_e32 vcc_lo, 0, v[216:217]
	v_cmp_gt_f64_e64 s0, 0, v[214:215]
	ds_read2_b64 v[229:232], v223 offset1:1
	v_xor_b32_e32 v234, 0x80000000, v215
	v_xor_b32_e32 v236, 0x80000000, v217
	v_mov_b32_e32 v233, v214
	v_mov_b32_e32 v235, v216
	v_add_nc_u32_e32 v223, 16, v223
	s_waitcnt lgkmcnt(0)
	v_xor_b32_e32 v238, 0x80000000, v232
	v_cndmask_b32_e64 v234, v215, v234, s0
	v_cndmask_b32_e32 v236, v217, v236, vcc_lo
	v_cmp_gt_f64_e32 vcc_lo, 0, v[231:232]
	v_cmp_gt_f64_e64 s0, 0, v[229:230]
	v_mov_b32_e32 v237, v231
	v_add_f64 v[233:234], v[233:234], v[235:236]
	v_xor_b32_e32 v236, 0x80000000, v230
	v_mov_b32_e32 v235, v229
	v_cndmask_b32_e32 v238, v232, v238, vcc_lo
	v_cndmask_b32_e64 v236, v230, v236, s0
	v_add_f64 v[235:236], v[235:236], v[237:238]
	v_cmp_lt_f64_e32 vcc_lo, v[233:234], v[235:236]
	v_cndmask_b32_e32 v215, v215, v230, vcc_lo
	v_cndmask_b32_e32 v214, v214, v229, vcc_lo
	;; [unrolled: 1-line block ×4, first 2 shown]
	v_cndmask_b32_e64 v222, v222, s1, vcc_lo
	s_add_i32 s1, s1, 1
	s_cmp_lg_u32 s8, s1
	s_cbranch_scc1 .LBB104_232
.LBB104_233:
	s_inst_prefetch 0x2
	s_waitcnt lgkmcnt(0)
	v_cmp_eq_f64_e32 vcc_lo, 0, v[214:215]
	v_cmp_eq_f64_e64 s0, 0, v[216:217]
	s_and_b32 s0, vcc_lo, s0
	s_and_saveexec_b32 s1, s0
	s_xor_b32 s0, exec_lo, s1
; %bb.234:
	v_cmp_ne_u32_e32 vcc_lo, 0, v227
	v_cndmask_b32_e32 v227, 12, v227, vcc_lo
; %bb.235:
	s_andn2_saveexec_b32 s0, s0
	s_cbranch_execz .LBB104_241
; %bb.236:
	v_cmp_ngt_f64_e64 s1, |v[214:215]|, |v[216:217]|
	s_and_saveexec_b32 s7, s1
	s_xor_b32 s1, exec_lo, s7
	s_cbranch_execz .LBB104_238
; %bb.237:
	v_div_scale_f64 v[229:230], null, v[216:217], v[216:217], v[214:215]
	v_div_scale_f64 v[235:236], vcc_lo, v[214:215], v[216:217], v[214:215]
	v_rcp_f64_e32 v[231:232], v[229:230]
	v_fma_f64 v[233:234], -v[229:230], v[231:232], 1.0
	v_fma_f64 v[231:232], v[231:232], v[233:234], v[231:232]
	v_fma_f64 v[233:234], -v[229:230], v[231:232], 1.0
	v_fma_f64 v[231:232], v[231:232], v[233:234], v[231:232]
	v_mul_f64 v[233:234], v[235:236], v[231:232]
	v_fma_f64 v[229:230], -v[229:230], v[233:234], v[235:236]
	v_div_fmas_f64 v[229:230], v[229:230], v[231:232], v[233:234]
	v_div_fixup_f64 v[229:230], v[229:230], v[216:217], v[214:215]
	v_fma_f64 v[214:215], v[214:215], v[229:230], v[216:217]
	v_div_scale_f64 v[216:217], null, v[214:215], v[214:215], 1.0
	v_rcp_f64_e32 v[231:232], v[216:217]
	v_fma_f64 v[233:234], -v[216:217], v[231:232], 1.0
	v_fma_f64 v[231:232], v[231:232], v[233:234], v[231:232]
	v_fma_f64 v[233:234], -v[216:217], v[231:232], 1.0
	v_fma_f64 v[231:232], v[231:232], v[233:234], v[231:232]
	v_div_scale_f64 v[233:234], vcc_lo, 1.0, v[214:215], 1.0
	v_mul_f64 v[235:236], v[233:234], v[231:232]
	v_fma_f64 v[216:217], -v[216:217], v[235:236], v[233:234]
	v_div_fmas_f64 v[216:217], v[216:217], v[231:232], v[235:236]
	v_div_fixup_f64 v[216:217], v[216:217], v[214:215], 1.0
	v_mul_f64 v[214:215], v[229:230], v[216:217]
	v_xor_b32_e32 v217, 0x80000000, v217
.LBB104_238:
	s_andn2_saveexec_b32 s1, s1
	s_cbranch_execz .LBB104_240
; %bb.239:
	v_div_scale_f64 v[229:230], null, v[214:215], v[214:215], v[216:217]
	v_div_scale_f64 v[235:236], vcc_lo, v[216:217], v[214:215], v[216:217]
	v_rcp_f64_e32 v[231:232], v[229:230]
	v_fma_f64 v[233:234], -v[229:230], v[231:232], 1.0
	v_fma_f64 v[231:232], v[231:232], v[233:234], v[231:232]
	v_fma_f64 v[233:234], -v[229:230], v[231:232], 1.0
	v_fma_f64 v[231:232], v[231:232], v[233:234], v[231:232]
	v_mul_f64 v[233:234], v[235:236], v[231:232]
	v_fma_f64 v[229:230], -v[229:230], v[233:234], v[235:236]
	v_div_fmas_f64 v[229:230], v[229:230], v[231:232], v[233:234]
	v_div_fixup_f64 v[229:230], v[229:230], v[214:215], v[216:217]
	v_fma_f64 v[214:215], v[216:217], v[229:230], v[214:215]
	v_div_scale_f64 v[216:217], null, v[214:215], v[214:215], 1.0
	v_rcp_f64_e32 v[231:232], v[216:217]
	v_fma_f64 v[233:234], -v[216:217], v[231:232], 1.0
	v_fma_f64 v[231:232], v[231:232], v[233:234], v[231:232]
	v_fma_f64 v[233:234], -v[216:217], v[231:232], 1.0
	v_fma_f64 v[231:232], v[231:232], v[233:234], v[231:232]
	v_div_scale_f64 v[233:234], vcc_lo, 1.0, v[214:215], 1.0
	v_mul_f64 v[235:236], v[233:234], v[231:232]
	v_fma_f64 v[216:217], -v[216:217], v[235:236], v[233:234]
	v_div_fmas_f64 v[216:217], v[216:217], v[231:232], v[235:236]
	v_div_fixup_f64 v[214:215], v[216:217], v[214:215], 1.0
	v_mul_f64 v[216:217], v[229:230], -v[214:215]
.LBB104_240:
	s_or_b32 exec_lo, exec_lo, s1
.LBB104_241:
	s_or_b32 exec_lo, exec_lo, s0
	s_mov_b32 s0, exec_lo
	v_cmpx_ne_u32_e64 v228, v222
	s_xor_b32 s0, exec_lo, s0
	s_cbranch_execz .LBB104_247
; %bb.242:
	s_mov_b32 s1, exec_lo
	v_cmpx_eq_u32_e32 11, v228
	s_cbranch_execz .LBB104_246
; %bb.243:
	v_cmp_ne_u32_e32 vcc_lo, 11, v222
	s_xor_b32 s7, s16, -1
	s_and_b32 s9, s7, vcc_lo
	s_and_saveexec_b32 s7, s9
	s_cbranch_execz .LBB104_245
; %bb.244:
	v_ashrrev_i32_e32 v223, 31, v222
	v_lshlrev_b64 v[228:229], 2, v[222:223]
	v_add_co_u32 v228, vcc_lo, v220, v228
	v_add_co_ci_u32_e64 v229, null, v221, v229, vcc_lo
	s_clause 0x1
	global_load_dword v0, v[228:229], off
	global_load_dword v223, v[220:221], off offset:44
	s_waitcnt vmcnt(1)
	global_store_dword v[220:221], v0, off offset:44
	s_waitcnt vmcnt(0)
	global_store_dword v[228:229], v223, off
.LBB104_245:
	s_or_b32 exec_lo, exec_lo, s7
	v_mov_b32_e32 v228, v222
	v_mov_b32_e32 v0, v222
.LBB104_246:
	s_or_b32 exec_lo, exec_lo, s1
.LBB104_247:
	s_andn2_saveexec_b32 s0, s0
	s_cbranch_execz .LBB104_249
; %bb.248:
	v_mov_b32_e32 v228, 11
	ds_write2_b64 v1, v[162:163], v[164:165] offset0:24 offset1:25
	ds_write2_b64 v1, v[158:159], v[160:161] offset0:26 offset1:27
	;; [unrolled: 1-line block ×41, first 2 shown]
.LBB104_249:
	s_or_b32 exec_lo, exec_lo, s0
	s_mov_b32 s0, exec_lo
	s_waitcnt lgkmcnt(0)
	s_waitcnt_vscnt null, 0x0
	s_barrier
	buffer_gl0_inv
	v_cmpx_lt_i32_e32 11, v228
	s_cbranch_execz .LBB104_251
; %bb.250:
	v_mul_f64 v[222:223], v[216:217], v[168:169]
	v_mul_f64 v[168:169], v[214:215], v[168:169]
	v_fma_f64 v[222:223], v[214:215], v[166:167], -v[222:223]
	v_fma_f64 v[168:169], v[216:217], v[166:167], v[168:169]
	ds_read2_b64 v[214:217], v1 offset0:24 offset1:25
	s_waitcnt lgkmcnt(0)
	v_mul_f64 v[166:167], v[216:217], v[168:169]
	v_fma_f64 v[166:167], v[214:215], v[222:223], -v[166:167]
	v_mul_f64 v[214:215], v[214:215], v[168:169]
	v_add_f64 v[162:163], v[162:163], -v[166:167]
	v_fma_f64 v[214:215], v[216:217], v[222:223], v[214:215]
	v_add_f64 v[164:165], v[164:165], -v[214:215]
	ds_read2_b64 v[214:217], v1 offset0:26 offset1:27
	s_waitcnt lgkmcnt(0)
	v_mul_f64 v[166:167], v[216:217], v[168:169]
	v_fma_f64 v[166:167], v[214:215], v[222:223], -v[166:167]
	v_mul_f64 v[214:215], v[214:215], v[168:169]
	v_add_f64 v[158:159], v[158:159], -v[166:167]
	v_fma_f64 v[214:215], v[216:217], v[222:223], v[214:215]
	v_add_f64 v[160:161], v[160:161], -v[214:215]
	;; [unrolled: 8-line block ×40, first 2 shown]
	ds_read2_b64 v[214:217], v1 offset0:104 offset1:105
	s_waitcnt lgkmcnt(0)
	v_mul_f64 v[166:167], v[216:217], v[168:169]
	v_fma_f64 v[166:167], v[214:215], v[222:223], -v[166:167]
	v_mul_f64 v[214:215], v[214:215], v[168:169]
	v_add_f64 v[2:3], v[2:3], -v[166:167]
	v_fma_f64 v[214:215], v[216:217], v[222:223], v[214:215]
	v_mov_b32_e32 v166, v222
	v_mov_b32_e32 v167, v223
	v_add_f64 v[4:5], v[4:5], -v[214:215]
.LBB104_251:
	s_or_b32 exec_lo, exec_lo, s0
	v_lshl_add_u32 v214, v228, 4, v1
	s_barrier
	buffer_gl0_inv
	v_mov_b32_e32 v222, 12
	ds_write2_b64 v214, v[162:163], v[164:165] offset1:1
	s_waitcnt lgkmcnt(0)
	s_barrier
	buffer_gl0_inv
	ds_read2_b64 v[214:217], v1 offset0:24 offset1:25
	s_cmp_lt_i32 s8, 14
	s_cbranch_scc1 .LBB104_254
; %bb.252:
	v_add3_u32 v223, v224, 0, 0xd0
	v_mov_b32_e32 v222, 12
	s_mov_b32 s1, 13
	s_inst_prefetch 0x1
	.p2align	6
.LBB104_253:                            ; =>This Inner Loop Header: Depth=1
	s_waitcnt lgkmcnt(0)
	v_cmp_gt_f64_e32 vcc_lo, 0, v[216:217]
	v_cmp_gt_f64_e64 s0, 0, v[214:215]
	ds_read2_b64 v[229:232], v223 offset1:1
	v_xor_b32_e32 v234, 0x80000000, v215
	v_xor_b32_e32 v236, 0x80000000, v217
	v_mov_b32_e32 v233, v214
	v_mov_b32_e32 v235, v216
	v_add_nc_u32_e32 v223, 16, v223
	s_waitcnt lgkmcnt(0)
	v_xor_b32_e32 v238, 0x80000000, v232
	v_cndmask_b32_e64 v234, v215, v234, s0
	v_cndmask_b32_e32 v236, v217, v236, vcc_lo
	v_cmp_gt_f64_e32 vcc_lo, 0, v[231:232]
	v_cmp_gt_f64_e64 s0, 0, v[229:230]
	v_mov_b32_e32 v237, v231
	v_add_f64 v[233:234], v[233:234], v[235:236]
	v_xor_b32_e32 v236, 0x80000000, v230
	v_mov_b32_e32 v235, v229
	v_cndmask_b32_e32 v238, v232, v238, vcc_lo
	v_cndmask_b32_e64 v236, v230, v236, s0
	v_add_f64 v[235:236], v[235:236], v[237:238]
	v_cmp_lt_f64_e32 vcc_lo, v[233:234], v[235:236]
	v_cndmask_b32_e32 v215, v215, v230, vcc_lo
	v_cndmask_b32_e32 v214, v214, v229, vcc_lo
	;; [unrolled: 1-line block ×4, first 2 shown]
	v_cndmask_b32_e64 v222, v222, s1, vcc_lo
	s_add_i32 s1, s1, 1
	s_cmp_lg_u32 s8, s1
	s_cbranch_scc1 .LBB104_253
.LBB104_254:
	s_inst_prefetch 0x2
	s_waitcnt lgkmcnt(0)
	v_cmp_eq_f64_e32 vcc_lo, 0, v[214:215]
	v_cmp_eq_f64_e64 s0, 0, v[216:217]
	s_and_b32 s0, vcc_lo, s0
	s_and_saveexec_b32 s1, s0
	s_xor_b32 s0, exec_lo, s1
; %bb.255:
	v_cmp_ne_u32_e32 vcc_lo, 0, v227
	v_cndmask_b32_e32 v227, 13, v227, vcc_lo
; %bb.256:
	s_andn2_saveexec_b32 s0, s0
	s_cbranch_execz .LBB104_262
; %bb.257:
	v_cmp_ngt_f64_e64 s1, |v[214:215]|, |v[216:217]|
	s_and_saveexec_b32 s7, s1
	s_xor_b32 s1, exec_lo, s7
	s_cbranch_execz .LBB104_259
; %bb.258:
	v_div_scale_f64 v[229:230], null, v[216:217], v[216:217], v[214:215]
	v_div_scale_f64 v[235:236], vcc_lo, v[214:215], v[216:217], v[214:215]
	v_rcp_f64_e32 v[231:232], v[229:230]
	v_fma_f64 v[233:234], -v[229:230], v[231:232], 1.0
	v_fma_f64 v[231:232], v[231:232], v[233:234], v[231:232]
	v_fma_f64 v[233:234], -v[229:230], v[231:232], 1.0
	v_fma_f64 v[231:232], v[231:232], v[233:234], v[231:232]
	v_mul_f64 v[233:234], v[235:236], v[231:232]
	v_fma_f64 v[229:230], -v[229:230], v[233:234], v[235:236]
	v_div_fmas_f64 v[229:230], v[229:230], v[231:232], v[233:234]
	v_div_fixup_f64 v[229:230], v[229:230], v[216:217], v[214:215]
	v_fma_f64 v[214:215], v[214:215], v[229:230], v[216:217]
	v_div_scale_f64 v[216:217], null, v[214:215], v[214:215], 1.0
	v_rcp_f64_e32 v[231:232], v[216:217]
	v_fma_f64 v[233:234], -v[216:217], v[231:232], 1.0
	v_fma_f64 v[231:232], v[231:232], v[233:234], v[231:232]
	v_fma_f64 v[233:234], -v[216:217], v[231:232], 1.0
	v_fma_f64 v[231:232], v[231:232], v[233:234], v[231:232]
	v_div_scale_f64 v[233:234], vcc_lo, 1.0, v[214:215], 1.0
	v_mul_f64 v[235:236], v[233:234], v[231:232]
	v_fma_f64 v[216:217], -v[216:217], v[235:236], v[233:234]
	v_div_fmas_f64 v[216:217], v[216:217], v[231:232], v[235:236]
	v_div_fixup_f64 v[216:217], v[216:217], v[214:215], 1.0
	v_mul_f64 v[214:215], v[229:230], v[216:217]
	v_xor_b32_e32 v217, 0x80000000, v217
.LBB104_259:
	s_andn2_saveexec_b32 s1, s1
	s_cbranch_execz .LBB104_261
; %bb.260:
	v_div_scale_f64 v[229:230], null, v[214:215], v[214:215], v[216:217]
	v_div_scale_f64 v[235:236], vcc_lo, v[216:217], v[214:215], v[216:217]
	v_rcp_f64_e32 v[231:232], v[229:230]
	v_fma_f64 v[233:234], -v[229:230], v[231:232], 1.0
	v_fma_f64 v[231:232], v[231:232], v[233:234], v[231:232]
	v_fma_f64 v[233:234], -v[229:230], v[231:232], 1.0
	v_fma_f64 v[231:232], v[231:232], v[233:234], v[231:232]
	v_mul_f64 v[233:234], v[235:236], v[231:232]
	v_fma_f64 v[229:230], -v[229:230], v[233:234], v[235:236]
	v_div_fmas_f64 v[229:230], v[229:230], v[231:232], v[233:234]
	v_div_fixup_f64 v[229:230], v[229:230], v[214:215], v[216:217]
	v_fma_f64 v[214:215], v[216:217], v[229:230], v[214:215]
	v_div_scale_f64 v[216:217], null, v[214:215], v[214:215], 1.0
	v_rcp_f64_e32 v[231:232], v[216:217]
	v_fma_f64 v[233:234], -v[216:217], v[231:232], 1.0
	v_fma_f64 v[231:232], v[231:232], v[233:234], v[231:232]
	v_fma_f64 v[233:234], -v[216:217], v[231:232], 1.0
	v_fma_f64 v[231:232], v[231:232], v[233:234], v[231:232]
	v_div_scale_f64 v[233:234], vcc_lo, 1.0, v[214:215], 1.0
	v_mul_f64 v[235:236], v[233:234], v[231:232]
	v_fma_f64 v[216:217], -v[216:217], v[235:236], v[233:234]
	v_div_fmas_f64 v[216:217], v[216:217], v[231:232], v[235:236]
	v_div_fixup_f64 v[214:215], v[216:217], v[214:215], 1.0
	v_mul_f64 v[216:217], v[229:230], -v[214:215]
.LBB104_261:
	s_or_b32 exec_lo, exec_lo, s1
.LBB104_262:
	s_or_b32 exec_lo, exec_lo, s0
	s_mov_b32 s0, exec_lo
	v_cmpx_ne_u32_e64 v228, v222
	s_xor_b32 s0, exec_lo, s0
	s_cbranch_execz .LBB104_268
; %bb.263:
	s_mov_b32 s1, exec_lo
	v_cmpx_eq_u32_e32 12, v228
	s_cbranch_execz .LBB104_267
; %bb.264:
	v_cmp_ne_u32_e32 vcc_lo, 12, v222
	s_xor_b32 s7, s16, -1
	s_and_b32 s9, s7, vcc_lo
	s_and_saveexec_b32 s7, s9
	s_cbranch_execz .LBB104_266
; %bb.265:
	v_ashrrev_i32_e32 v223, 31, v222
	v_lshlrev_b64 v[228:229], 2, v[222:223]
	v_add_co_u32 v228, vcc_lo, v220, v228
	v_add_co_ci_u32_e64 v229, null, v221, v229, vcc_lo
	s_clause 0x1
	global_load_dword v0, v[228:229], off
	global_load_dword v223, v[220:221], off offset:48
	s_waitcnt vmcnt(1)
	global_store_dword v[220:221], v0, off offset:48
	s_waitcnt vmcnt(0)
	global_store_dword v[228:229], v223, off
.LBB104_266:
	s_or_b32 exec_lo, exec_lo, s7
	v_mov_b32_e32 v228, v222
	v_mov_b32_e32 v0, v222
.LBB104_267:
	s_or_b32 exec_lo, exec_lo, s1
.LBB104_268:
	s_andn2_saveexec_b32 s0, s0
	s_cbranch_execz .LBB104_270
; %bb.269:
	v_mov_b32_e32 v228, 12
	ds_write2_b64 v1, v[158:159], v[160:161] offset0:26 offset1:27
	ds_write2_b64 v1, v[154:155], v[156:157] offset0:28 offset1:29
	ds_write2_b64 v1, v[150:151], v[152:153] offset0:30 offset1:31
	ds_write2_b64 v1, v[146:147], v[148:149] offset0:32 offset1:33
	ds_write2_b64 v1, v[142:143], v[144:145] offset0:34 offset1:35
	ds_write2_b64 v1, v[138:139], v[140:141] offset0:36 offset1:37
	ds_write2_b64 v1, v[134:135], v[136:137] offset0:38 offset1:39
	ds_write2_b64 v1, v[130:131], v[132:133] offset0:40 offset1:41
	ds_write2_b64 v1, v[126:127], v[128:129] offset0:42 offset1:43
	ds_write2_b64 v1, v[122:123], v[124:125] offset0:44 offset1:45
	ds_write2_b64 v1, v[118:119], v[120:121] offset0:46 offset1:47
	ds_write2_b64 v1, v[114:115], v[116:117] offset0:48 offset1:49
	ds_write2_b64 v1, v[110:111], v[112:113] offset0:50 offset1:51
	ds_write2_b64 v1, v[106:107], v[108:109] offset0:52 offset1:53
	ds_write2_b64 v1, v[102:103], v[104:105] offset0:54 offset1:55
	ds_write2_b64 v1, v[98:99], v[100:101] offset0:56 offset1:57
	ds_write2_b64 v1, v[94:95], v[96:97] offset0:58 offset1:59
	ds_write2_b64 v1, v[90:91], v[92:93] offset0:60 offset1:61
	ds_write2_b64 v1, v[86:87], v[88:89] offset0:62 offset1:63
	ds_write2_b64 v1, v[82:83], v[84:85] offset0:64 offset1:65
	ds_write2_b64 v1, v[78:79], v[80:81] offset0:66 offset1:67
	ds_write2_b64 v1, v[74:75], v[76:77] offset0:68 offset1:69
	ds_write2_b64 v1, v[70:71], v[72:73] offset0:70 offset1:71
	ds_write2_b64 v1, v[66:67], v[68:69] offset0:72 offset1:73
	ds_write2_b64 v1, v[62:63], v[64:65] offset0:74 offset1:75
	ds_write2_b64 v1, v[58:59], v[60:61] offset0:76 offset1:77
	ds_write2_b64 v1, v[54:55], v[56:57] offset0:78 offset1:79
	ds_write2_b64 v1, v[50:51], v[52:53] offset0:80 offset1:81
	ds_write2_b64 v1, v[46:47], v[48:49] offset0:82 offset1:83
	ds_write2_b64 v1, v[42:43], v[44:45] offset0:84 offset1:85
	ds_write2_b64 v1, v[38:39], v[40:41] offset0:86 offset1:87
	ds_write2_b64 v1, v[34:35], v[36:37] offset0:88 offset1:89
	ds_write2_b64 v1, v[30:31], v[32:33] offset0:90 offset1:91
	ds_write2_b64 v1, v[26:27], v[28:29] offset0:92 offset1:93
	ds_write2_b64 v1, v[22:23], v[24:25] offset0:94 offset1:95
	ds_write2_b64 v1, v[18:19], v[20:21] offset0:96 offset1:97
	ds_write2_b64 v1, v[14:15], v[16:17] offset0:98 offset1:99
	ds_write2_b64 v1, v[10:11], v[12:13] offset0:100 offset1:101
	ds_write2_b64 v1, v[6:7], v[8:9] offset0:102 offset1:103
	ds_write2_b64 v1, v[2:3], v[4:5] offset0:104 offset1:105
.LBB104_270:
	s_or_b32 exec_lo, exec_lo, s0
	s_mov_b32 s0, exec_lo
	s_waitcnt lgkmcnt(0)
	s_waitcnt_vscnt null, 0x0
	s_barrier
	buffer_gl0_inv
	v_cmpx_lt_i32_e32 12, v228
	s_cbranch_execz .LBB104_272
; %bb.271:
	v_mul_f64 v[222:223], v[216:217], v[164:165]
	v_mul_f64 v[164:165], v[214:215], v[164:165]
	v_fma_f64 v[222:223], v[214:215], v[162:163], -v[222:223]
	v_fma_f64 v[164:165], v[216:217], v[162:163], v[164:165]
	ds_read2_b64 v[214:217], v1 offset0:26 offset1:27
	s_waitcnt lgkmcnt(0)
	v_mul_f64 v[162:163], v[216:217], v[164:165]
	v_fma_f64 v[162:163], v[214:215], v[222:223], -v[162:163]
	v_mul_f64 v[214:215], v[214:215], v[164:165]
	v_add_f64 v[158:159], v[158:159], -v[162:163]
	v_fma_f64 v[214:215], v[216:217], v[222:223], v[214:215]
	v_add_f64 v[160:161], v[160:161], -v[214:215]
	ds_read2_b64 v[214:217], v1 offset0:28 offset1:29
	s_waitcnt lgkmcnt(0)
	v_mul_f64 v[162:163], v[216:217], v[164:165]
	v_fma_f64 v[162:163], v[214:215], v[222:223], -v[162:163]
	v_mul_f64 v[214:215], v[214:215], v[164:165]
	v_add_f64 v[154:155], v[154:155], -v[162:163]
	v_fma_f64 v[214:215], v[216:217], v[222:223], v[214:215]
	v_add_f64 v[156:157], v[156:157], -v[214:215]
	ds_read2_b64 v[214:217], v1 offset0:30 offset1:31
	s_waitcnt lgkmcnt(0)
	v_mul_f64 v[162:163], v[216:217], v[164:165]
	v_fma_f64 v[162:163], v[214:215], v[222:223], -v[162:163]
	v_mul_f64 v[214:215], v[214:215], v[164:165]
	v_add_f64 v[150:151], v[150:151], -v[162:163]
	v_fma_f64 v[214:215], v[216:217], v[222:223], v[214:215]
	v_add_f64 v[152:153], v[152:153], -v[214:215]
	ds_read2_b64 v[214:217], v1 offset0:32 offset1:33
	s_waitcnt lgkmcnt(0)
	v_mul_f64 v[162:163], v[216:217], v[164:165]
	v_fma_f64 v[162:163], v[214:215], v[222:223], -v[162:163]
	v_mul_f64 v[214:215], v[214:215], v[164:165]
	v_add_f64 v[146:147], v[146:147], -v[162:163]
	v_fma_f64 v[214:215], v[216:217], v[222:223], v[214:215]
	v_add_f64 v[148:149], v[148:149], -v[214:215]
	ds_read2_b64 v[214:217], v1 offset0:34 offset1:35
	s_waitcnt lgkmcnt(0)
	v_mul_f64 v[162:163], v[216:217], v[164:165]
	v_fma_f64 v[162:163], v[214:215], v[222:223], -v[162:163]
	v_mul_f64 v[214:215], v[214:215], v[164:165]
	v_add_f64 v[142:143], v[142:143], -v[162:163]
	v_fma_f64 v[214:215], v[216:217], v[222:223], v[214:215]
	v_add_f64 v[144:145], v[144:145], -v[214:215]
	ds_read2_b64 v[214:217], v1 offset0:36 offset1:37
	s_waitcnt lgkmcnt(0)
	v_mul_f64 v[162:163], v[216:217], v[164:165]
	v_fma_f64 v[162:163], v[214:215], v[222:223], -v[162:163]
	v_mul_f64 v[214:215], v[214:215], v[164:165]
	v_add_f64 v[138:139], v[138:139], -v[162:163]
	v_fma_f64 v[214:215], v[216:217], v[222:223], v[214:215]
	v_add_f64 v[140:141], v[140:141], -v[214:215]
	ds_read2_b64 v[214:217], v1 offset0:38 offset1:39
	s_waitcnt lgkmcnt(0)
	v_mul_f64 v[162:163], v[216:217], v[164:165]
	v_fma_f64 v[162:163], v[214:215], v[222:223], -v[162:163]
	v_mul_f64 v[214:215], v[214:215], v[164:165]
	v_add_f64 v[134:135], v[134:135], -v[162:163]
	v_fma_f64 v[214:215], v[216:217], v[222:223], v[214:215]
	v_add_f64 v[136:137], v[136:137], -v[214:215]
	ds_read2_b64 v[214:217], v1 offset0:40 offset1:41
	s_waitcnt lgkmcnt(0)
	v_mul_f64 v[162:163], v[216:217], v[164:165]
	v_fma_f64 v[162:163], v[214:215], v[222:223], -v[162:163]
	v_mul_f64 v[214:215], v[214:215], v[164:165]
	v_add_f64 v[130:131], v[130:131], -v[162:163]
	v_fma_f64 v[214:215], v[216:217], v[222:223], v[214:215]
	v_add_f64 v[132:133], v[132:133], -v[214:215]
	ds_read2_b64 v[214:217], v1 offset0:42 offset1:43
	s_waitcnt lgkmcnt(0)
	v_mul_f64 v[162:163], v[216:217], v[164:165]
	v_fma_f64 v[162:163], v[214:215], v[222:223], -v[162:163]
	v_mul_f64 v[214:215], v[214:215], v[164:165]
	v_add_f64 v[126:127], v[126:127], -v[162:163]
	v_fma_f64 v[214:215], v[216:217], v[222:223], v[214:215]
	v_add_f64 v[128:129], v[128:129], -v[214:215]
	ds_read2_b64 v[214:217], v1 offset0:44 offset1:45
	s_waitcnt lgkmcnt(0)
	v_mul_f64 v[162:163], v[216:217], v[164:165]
	v_fma_f64 v[162:163], v[214:215], v[222:223], -v[162:163]
	v_mul_f64 v[214:215], v[214:215], v[164:165]
	v_add_f64 v[122:123], v[122:123], -v[162:163]
	v_fma_f64 v[214:215], v[216:217], v[222:223], v[214:215]
	v_add_f64 v[124:125], v[124:125], -v[214:215]
	ds_read2_b64 v[214:217], v1 offset0:46 offset1:47
	s_waitcnt lgkmcnt(0)
	v_mul_f64 v[162:163], v[216:217], v[164:165]
	v_fma_f64 v[162:163], v[214:215], v[222:223], -v[162:163]
	v_mul_f64 v[214:215], v[214:215], v[164:165]
	v_add_f64 v[118:119], v[118:119], -v[162:163]
	v_fma_f64 v[214:215], v[216:217], v[222:223], v[214:215]
	v_add_f64 v[120:121], v[120:121], -v[214:215]
	ds_read2_b64 v[214:217], v1 offset0:48 offset1:49
	s_waitcnt lgkmcnt(0)
	v_mul_f64 v[162:163], v[216:217], v[164:165]
	v_fma_f64 v[162:163], v[214:215], v[222:223], -v[162:163]
	v_mul_f64 v[214:215], v[214:215], v[164:165]
	v_add_f64 v[114:115], v[114:115], -v[162:163]
	v_fma_f64 v[214:215], v[216:217], v[222:223], v[214:215]
	v_add_f64 v[116:117], v[116:117], -v[214:215]
	ds_read2_b64 v[214:217], v1 offset0:50 offset1:51
	s_waitcnt lgkmcnt(0)
	v_mul_f64 v[162:163], v[216:217], v[164:165]
	v_fma_f64 v[162:163], v[214:215], v[222:223], -v[162:163]
	v_mul_f64 v[214:215], v[214:215], v[164:165]
	v_add_f64 v[110:111], v[110:111], -v[162:163]
	v_fma_f64 v[214:215], v[216:217], v[222:223], v[214:215]
	v_add_f64 v[112:113], v[112:113], -v[214:215]
	ds_read2_b64 v[214:217], v1 offset0:52 offset1:53
	s_waitcnt lgkmcnt(0)
	v_mul_f64 v[162:163], v[216:217], v[164:165]
	v_fma_f64 v[162:163], v[214:215], v[222:223], -v[162:163]
	v_mul_f64 v[214:215], v[214:215], v[164:165]
	v_add_f64 v[106:107], v[106:107], -v[162:163]
	v_fma_f64 v[214:215], v[216:217], v[222:223], v[214:215]
	v_add_f64 v[108:109], v[108:109], -v[214:215]
	ds_read2_b64 v[214:217], v1 offset0:54 offset1:55
	s_waitcnt lgkmcnt(0)
	v_mul_f64 v[162:163], v[216:217], v[164:165]
	v_fma_f64 v[162:163], v[214:215], v[222:223], -v[162:163]
	v_mul_f64 v[214:215], v[214:215], v[164:165]
	v_add_f64 v[102:103], v[102:103], -v[162:163]
	v_fma_f64 v[214:215], v[216:217], v[222:223], v[214:215]
	v_add_f64 v[104:105], v[104:105], -v[214:215]
	ds_read2_b64 v[214:217], v1 offset0:56 offset1:57
	s_waitcnt lgkmcnt(0)
	v_mul_f64 v[162:163], v[216:217], v[164:165]
	v_fma_f64 v[162:163], v[214:215], v[222:223], -v[162:163]
	v_mul_f64 v[214:215], v[214:215], v[164:165]
	v_add_f64 v[98:99], v[98:99], -v[162:163]
	v_fma_f64 v[214:215], v[216:217], v[222:223], v[214:215]
	v_add_f64 v[100:101], v[100:101], -v[214:215]
	ds_read2_b64 v[214:217], v1 offset0:58 offset1:59
	s_waitcnt lgkmcnt(0)
	v_mul_f64 v[162:163], v[216:217], v[164:165]
	v_fma_f64 v[162:163], v[214:215], v[222:223], -v[162:163]
	v_mul_f64 v[214:215], v[214:215], v[164:165]
	v_add_f64 v[94:95], v[94:95], -v[162:163]
	v_fma_f64 v[214:215], v[216:217], v[222:223], v[214:215]
	v_add_f64 v[96:97], v[96:97], -v[214:215]
	ds_read2_b64 v[214:217], v1 offset0:60 offset1:61
	s_waitcnt lgkmcnt(0)
	v_mul_f64 v[162:163], v[216:217], v[164:165]
	v_fma_f64 v[162:163], v[214:215], v[222:223], -v[162:163]
	v_mul_f64 v[214:215], v[214:215], v[164:165]
	v_add_f64 v[90:91], v[90:91], -v[162:163]
	v_fma_f64 v[214:215], v[216:217], v[222:223], v[214:215]
	v_add_f64 v[92:93], v[92:93], -v[214:215]
	ds_read2_b64 v[214:217], v1 offset0:62 offset1:63
	s_waitcnt lgkmcnt(0)
	v_mul_f64 v[162:163], v[216:217], v[164:165]
	v_fma_f64 v[162:163], v[214:215], v[222:223], -v[162:163]
	v_mul_f64 v[214:215], v[214:215], v[164:165]
	v_add_f64 v[86:87], v[86:87], -v[162:163]
	v_fma_f64 v[214:215], v[216:217], v[222:223], v[214:215]
	v_add_f64 v[88:89], v[88:89], -v[214:215]
	ds_read2_b64 v[214:217], v1 offset0:64 offset1:65
	s_waitcnt lgkmcnt(0)
	v_mul_f64 v[162:163], v[216:217], v[164:165]
	v_fma_f64 v[162:163], v[214:215], v[222:223], -v[162:163]
	v_mul_f64 v[214:215], v[214:215], v[164:165]
	v_add_f64 v[82:83], v[82:83], -v[162:163]
	v_fma_f64 v[214:215], v[216:217], v[222:223], v[214:215]
	v_add_f64 v[84:85], v[84:85], -v[214:215]
	ds_read2_b64 v[214:217], v1 offset0:66 offset1:67
	s_waitcnt lgkmcnt(0)
	v_mul_f64 v[162:163], v[216:217], v[164:165]
	v_fma_f64 v[162:163], v[214:215], v[222:223], -v[162:163]
	v_mul_f64 v[214:215], v[214:215], v[164:165]
	v_add_f64 v[78:79], v[78:79], -v[162:163]
	v_fma_f64 v[214:215], v[216:217], v[222:223], v[214:215]
	v_add_f64 v[80:81], v[80:81], -v[214:215]
	ds_read2_b64 v[214:217], v1 offset0:68 offset1:69
	s_waitcnt lgkmcnt(0)
	v_mul_f64 v[162:163], v[216:217], v[164:165]
	v_fma_f64 v[162:163], v[214:215], v[222:223], -v[162:163]
	v_mul_f64 v[214:215], v[214:215], v[164:165]
	v_add_f64 v[74:75], v[74:75], -v[162:163]
	v_fma_f64 v[214:215], v[216:217], v[222:223], v[214:215]
	v_add_f64 v[76:77], v[76:77], -v[214:215]
	ds_read2_b64 v[214:217], v1 offset0:70 offset1:71
	s_waitcnt lgkmcnt(0)
	v_mul_f64 v[162:163], v[216:217], v[164:165]
	v_fma_f64 v[162:163], v[214:215], v[222:223], -v[162:163]
	v_mul_f64 v[214:215], v[214:215], v[164:165]
	v_add_f64 v[70:71], v[70:71], -v[162:163]
	v_fma_f64 v[214:215], v[216:217], v[222:223], v[214:215]
	v_add_f64 v[72:73], v[72:73], -v[214:215]
	ds_read2_b64 v[214:217], v1 offset0:72 offset1:73
	s_waitcnt lgkmcnt(0)
	v_mul_f64 v[162:163], v[216:217], v[164:165]
	v_fma_f64 v[162:163], v[214:215], v[222:223], -v[162:163]
	v_mul_f64 v[214:215], v[214:215], v[164:165]
	v_add_f64 v[66:67], v[66:67], -v[162:163]
	v_fma_f64 v[214:215], v[216:217], v[222:223], v[214:215]
	v_add_f64 v[68:69], v[68:69], -v[214:215]
	ds_read2_b64 v[214:217], v1 offset0:74 offset1:75
	s_waitcnt lgkmcnt(0)
	v_mul_f64 v[162:163], v[216:217], v[164:165]
	v_fma_f64 v[162:163], v[214:215], v[222:223], -v[162:163]
	v_mul_f64 v[214:215], v[214:215], v[164:165]
	v_add_f64 v[62:63], v[62:63], -v[162:163]
	v_fma_f64 v[214:215], v[216:217], v[222:223], v[214:215]
	v_add_f64 v[64:65], v[64:65], -v[214:215]
	ds_read2_b64 v[214:217], v1 offset0:76 offset1:77
	s_waitcnt lgkmcnt(0)
	v_mul_f64 v[162:163], v[216:217], v[164:165]
	v_fma_f64 v[162:163], v[214:215], v[222:223], -v[162:163]
	v_mul_f64 v[214:215], v[214:215], v[164:165]
	v_add_f64 v[58:59], v[58:59], -v[162:163]
	v_fma_f64 v[214:215], v[216:217], v[222:223], v[214:215]
	v_add_f64 v[60:61], v[60:61], -v[214:215]
	ds_read2_b64 v[214:217], v1 offset0:78 offset1:79
	s_waitcnt lgkmcnt(0)
	v_mul_f64 v[162:163], v[216:217], v[164:165]
	v_fma_f64 v[162:163], v[214:215], v[222:223], -v[162:163]
	v_mul_f64 v[214:215], v[214:215], v[164:165]
	v_add_f64 v[54:55], v[54:55], -v[162:163]
	v_fma_f64 v[214:215], v[216:217], v[222:223], v[214:215]
	v_add_f64 v[56:57], v[56:57], -v[214:215]
	ds_read2_b64 v[214:217], v1 offset0:80 offset1:81
	s_waitcnt lgkmcnt(0)
	v_mul_f64 v[162:163], v[216:217], v[164:165]
	v_fma_f64 v[162:163], v[214:215], v[222:223], -v[162:163]
	v_mul_f64 v[214:215], v[214:215], v[164:165]
	v_add_f64 v[50:51], v[50:51], -v[162:163]
	v_fma_f64 v[214:215], v[216:217], v[222:223], v[214:215]
	v_add_f64 v[52:53], v[52:53], -v[214:215]
	ds_read2_b64 v[214:217], v1 offset0:82 offset1:83
	s_waitcnt lgkmcnt(0)
	v_mul_f64 v[162:163], v[216:217], v[164:165]
	v_fma_f64 v[162:163], v[214:215], v[222:223], -v[162:163]
	v_mul_f64 v[214:215], v[214:215], v[164:165]
	v_add_f64 v[46:47], v[46:47], -v[162:163]
	v_fma_f64 v[214:215], v[216:217], v[222:223], v[214:215]
	v_add_f64 v[48:49], v[48:49], -v[214:215]
	ds_read2_b64 v[214:217], v1 offset0:84 offset1:85
	s_waitcnt lgkmcnt(0)
	v_mul_f64 v[162:163], v[216:217], v[164:165]
	v_fma_f64 v[162:163], v[214:215], v[222:223], -v[162:163]
	v_mul_f64 v[214:215], v[214:215], v[164:165]
	v_add_f64 v[42:43], v[42:43], -v[162:163]
	v_fma_f64 v[214:215], v[216:217], v[222:223], v[214:215]
	v_add_f64 v[44:45], v[44:45], -v[214:215]
	ds_read2_b64 v[214:217], v1 offset0:86 offset1:87
	s_waitcnt lgkmcnt(0)
	v_mul_f64 v[162:163], v[216:217], v[164:165]
	v_fma_f64 v[162:163], v[214:215], v[222:223], -v[162:163]
	v_mul_f64 v[214:215], v[214:215], v[164:165]
	v_add_f64 v[38:39], v[38:39], -v[162:163]
	v_fma_f64 v[214:215], v[216:217], v[222:223], v[214:215]
	v_add_f64 v[40:41], v[40:41], -v[214:215]
	ds_read2_b64 v[214:217], v1 offset0:88 offset1:89
	s_waitcnt lgkmcnt(0)
	v_mul_f64 v[162:163], v[216:217], v[164:165]
	v_fma_f64 v[162:163], v[214:215], v[222:223], -v[162:163]
	v_mul_f64 v[214:215], v[214:215], v[164:165]
	v_add_f64 v[34:35], v[34:35], -v[162:163]
	v_fma_f64 v[214:215], v[216:217], v[222:223], v[214:215]
	v_add_f64 v[36:37], v[36:37], -v[214:215]
	ds_read2_b64 v[214:217], v1 offset0:90 offset1:91
	s_waitcnt lgkmcnt(0)
	v_mul_f64 v[162:163], v[216:217], v[164:165]
	v_fma_f64 v[162:163], v[214:215], v[222:223], -v[162:163]
	v_mul_f64 v[214:215], v[214:215], v[164:165]
	v_add_f64 v[30:31], v[30:31], -v[162:163]
	v_fma_f64 v[214:215], v[216:217], v[222:223], v[214:215]
	v_add_f64 v[32:33], v[32:33], -v[214:215]
	ds_read2_b64 v[214:217], v1 offset0:92 offset1:93
	s_waitcnt lgkmcnt(0)
	v_mul_f64 v[162:163], v[216:217], v[164:165]
	v_fma_f64 v[162:163], v[214:215], v[222:223], -v[162:163]
	v_mul_f64 v[214:215], v[214:215], v[164:165]
	v_add_f64 v[26:27], v[26:27], -v[162:163]
	v_fma_f64 v[214:215], v[216:217], v[222:223], v[214:215]
	v_add_f64 v[28:29], v[28:29], -v[214:215]
	ds_read2_b64 v[214:217], v1 offset0:94 offset1:95
	s_waitcnt lgkmcnt(0)
	v_mul_f64 v[162:163], v[216:217], v[164:165]
	v_fma_f64 v[162:163], v[214:215], v[222:223], -v[162:163]
	v_mul_f64 v[214:215], v[214:215], v[164:165]
	v_add_f64 v[22:23], v[22:23], -v[162:163]
	v_fma_f64 v[214:215], v[216:217], v[222:223], v[214:215]
	v_add_f64 v[24:25], v[24:25], -v[214:215]
	ds_read2_b64 v[214:217], v1 offset0:96 offset1:97
	s_waitcnt lgkmcnt(0)
	v_mul_f64 v[162:163], v[216:217], v[164:165]
	v_fma_f64 v[162:163], v[214:215], v[222:223], -v[162:163]
	v_mul_f64 v[214:215], v[214:215], v[164:165]
	v_add_f64 v[18:19], v[18:19], -v[162:163]
	v_fma_f64 v[214:215], v[216:217], v[222:223], v[214:215]
	v_add_f64 v[20:21], v[20:21], -v[214:215]
	ds_read2_b64 v[214:217], v1 offset0:98 offset1:99
	s_waitcnt lgkmcnt(0)
	v_mul_f64 v[162:163], v[216:217], v[164:165]
	v_fma_f64 v[162:163], v[214:215], v[222:223], -v[162:163]
	v_mul_f64 v[214:215], v[214:215], v[164:165]
	v_add_f64 v[14:15], v[14:15], -v[162:163]
	v_fma_f64 v[214:215], v[216:217], v[222:223], v[214:215]
	v_add_f64 v[16:17], v[16:17], -v[214:215]
	ds_read2_b64 v[214:217], v1 offset0:100 offset1:101
	s_waitcnt lgkmcnt(0)
	v_mul_f64 v[162:163], v[216:217], v[164:165]
	v_fma_f64 v[162:163], v[214:215], v[222:223], -v[162:163]
	v_mul_f64 v[214:215], v[214:215], v[164:165]
	v_add_f64 v[10:11], v[10:11], -v[162:163]
	v_fma_f64 v[214:215], v[216:217], v[222:223], v[214:215]
	v_add_f64 v[12:13], v[12:13], -v[214:215]
	ds_read2_b64 v[214:217], v1 offset0:102 offset1:103
	s_waitcnt lgkmcnt(0)
	v_mul_f64 v[162:163], v[216:217], v[164:165]
	v_fma_f64 v[162:163], v[214:215], v[222:223], -v[162:163]
	v_mul_f64 v[214:215], v[214:215], v[164:165]
	v_add_f64 v[6:7], v[6:7], -v[162:163]
	v_fma_f64 v[214:215], v[216:217], v[222:223], v[214:215]
	v_add_f64 v[8:9], v[8:9], -v[214:215]
	ds_read2_b64 v[214:217], v1 offset0:104 offset1:105
	s_waitcnt lgkmcnt(0)
	v_mul_f64 v[162:163], v[216:217], v[164:165]
	v_fma_f64 v[162:163], v[214:215], v[222:223], -v[162:163]
	v_mul_f64 v[214:215], v[214:215], v[164:165]
	v_add_f64 v[2:3], v[2:3], -v[162:163]
	v_fma_f64 v[214:215], v[216:217], v[222:223], v[214:215]
	v_mov_b32_e32 v162, v222
	v_mov_b32_e32 v163, v223
	v_add_f64 v[4:5], v[4:5], -v[214:215]
.LBB104_272:
	s_or_b32 exec_lo, exec_lo, s0
	v_lshl_add_u32 v214, v228, 4, v1
	s_barrier
	buffer_gl0_inv
	v_mov_b32_e32 v222, 13
	ds_write2_b64 v214, v[158:159], v[160:161] offset1:1
	s_waitcnt lgkmcnt(0)
	s_barrier
	buffer_gl0_inv
	ds_read2_b64 v[214:217], v1 offset0:26 offset1:27
	s_cmp_lt_i32 s8, 15
	s_cbranch_scc1 .LBB104_275
; %bb.273:
	v_add3_u32 v223, v224, 0, 0xe0
	v_mov_b32_e32 v222, 13
	s_mov_b32 s1, 14
	s_inst_prefetch 0x1
	.p2align	6
.LBB104_274:                            ; =>This Inner Loop Header: Depth=1
	s_waitcnt lgkmcnt(0)
	v_cmp_gt_f64_e32 vcc_lo, 0, v[216:217]
	v_cmp_gt_f64_e64 s0, 0, v[214:215]
	ds_read2_b64 v[229:232], v223 offset1:1
	v_xor_b32_e32 v234, 0x80000000, v215
	v_xor_b32_e32 v236, 0x80000000, v217
	v_mov_b32_e32 v233, v214
	v_mov_b32_e32 v235, v216
	v_add_nc_u32_e32 v223, 16, v223
	s_waitcnt lgkmcnt(0)
	v_xor_b32_e32 v238, 0x80000000, v232
	v_cndmask_b32_e64 v234, v215, v234, s0
	v_cndmask_b32_e32 v236, v217, v236, vcc_lo
	v_cmp_gt_f64_e32 vcc_lo, 0, v[231:232]
	v_cmp_gt_f64_e64 s0, 0, v[229:230]
	v_mov_b32_e32 v237, v231
	v_add_f64 v[233:234], v[233:234], v[235:236]
	v_xor_b32_e32 v236, 0x80000000, v230
	v_mov_b32_e32 v235, v229
	v_cndmask_b32_e32 v238, v232, v238, vcc_lo
	v_cndmask_b32_e64 v236, v230, v236, s0
	v_add_f64 v[235:236], v[235:236], v[237:238]
	v_cmp_lt_f64_e32 vcc_lo, v[233:234], v[235:236]
	v_cndmask_b32_e32 v215, v215, v230, vcc_lo
	v_cndmask_b32_e32 v214, v214, v229, vcc_lo
	;; [unrolled: 1-line block ×4, first 2 shown]
	v_cndmask_b32_e64 v222, v222, s1, vcc_lo
	s_add_i32 s1, s1, 1
	s_cmp_lg_u32 s8, s1
	s_cbranch_scc1 .LBB104_274
.LBB104_275:
	s_inst_prefetch 0x2
	s_waitcnt lgkmcnt(0)
	v_cmp_eq_f64_e32 vcc_lo, 0, v[214:215]
	v_cmp_eq_f64_e64 s0, 0, v[216:217]
	s_and_b32 s0, vcc_lo, s0
	s_and_saveexec_b32 s1, s0
	s_xor_b32 s0, exec_lo, s1
; %bb.276:
	v_cmp_ne_u32_e32 vcc_lo, 0, v227
	v_cndmask_b32_e32 v227, 14, v227, vcc_lo
; %bb.277:
	s_andn2_saveexec_b32 s0, s0
	s_cbranch_execz .LBB104_283
; %bb.278:
	v_cmp_ngt_f64_e64 s1, |v[214:215]|, |v[216:217]|
	s_and_saveexec_b32 s7, s1
	s_xor_b32 s1, exec_lo, s7
	s_cbranch_execz .LBB104_280
; %bb.279:
	v_div_scale_f64 v[229:230], null, v[216:217], v[216:217], v[214:215]
	v_div_scale_f64 v[235:236], vcc_lo, v[214:215], v[216:217], v[214:215]
	v_rcp_f64_e32 v[231:232], v[229:230]
	v_fma_f64 v[233:234], -v[229:230], v[231:232], 1.0
	v_fma_f64 v[231:232], v[231:232], v[233:234], v[231:232]
	v_fma_f64 v[233:234], -v[229:230], v[231:232], 1.0
	v_fma_f64 v[231:232], v[231:232], v[233:234], v[231:232]
	v_mul_f64 v[233:234], v[235:236], v[231:232]
	v_fma_f64 v[229:230], -v[229:230], v[233:234], v[235:236]
	v_div_fmas_f64 v[229:230], v[229:230], v[231:232], v[233:234]
	v_div_fixup_f64 v[229:230], v[229:230], v[216:217], v[214:215]
	v_fma_f64 v[214:215], v[214:215], v[229:230], v[216:217]
	v_div_scale_f64 v[216:217], null, v[214:215], v[214:215], 1.0
	v_rcp_f64_e32 v[231:232], v[216:217]
	v_fma_f64 v[233:234], -v[216:217], v[231:232], 1.0
	v_fma_f64 v[231:232], v[231:232], v[233:234], v[231:232]
	v_fma_f64 v[233:234], -v[216:217], v[231:232], 1.0
	v_fma_f64 v[231:232], v[231:232], v[233:234], v[231:232]
	v_div_scale_f64 v[233:234], vcc_lo, 1.0, v[214:215], 1.0
	v_mul_f64 v[235:236], v[233:234], v[231:232]
	v_fma_f64 v[216:217], -v[216:217], v[235:236], v[233:234]
	v_div_fmas_f64 v[216:217], v[216:217], v[231:232], v[235:236]
	v_div_fixup_f64 v[216:217], v[216:217], v[214:215], 1.0
	v_mul_f64 v[214:215], v[229:230], v[216:217]
	v_xor_b32_e32 v217, 0x80000000, v217
.LBB104_280:
	s_andn2_saveexec_b32 s1, s1
	s_cbranch_execz .LBB104_282
; %bb.281:
	v_div_scale_f64 v[229:230], null, v[214:215], v[214:215], v[216:217]
	v_div_scale_f64 v[235:236], vcc_lo, v[216:217], v[214:215], v[216:217]
	v_rcp_f64_e32 v[231:232], v[229:230]
	v_fma_f64 v[233:234], -v[229:230], v[231:232], 1.0
	v_fma_f64 v[231:232], v[231:232], v[233:234], v[231:232]
	v_fma_f64 v[233:234], -v[229:230], v[231:232], 1.0
	v_fma_f64 v[231:232], v[231:232], v[233:234], v[231:232]
	v_mul_f64 v[233:234], v[235:236], v[231:232]
	v_fma_f64 v[229:230], -v[229:230], v[233:234], v[235:236]
	v_div_fmas_f64 v[229:230], v[229:230], v[231:232], v[233:234]
	v_div_fixup_f64 v[229:230], v[229:230], v[214:215], v[216:217]
	v_fma_f64 v[214:215], v[216:217], v[229:230], v[214:215]
	v_div_scale_f64 v[216:217], null, v[214:215], v[214:215], 1.0
	v_rcp_f64_e32 v[231:232], v[216:217]
	v_fma_f64 v[233:234], -v[216:217], v[231:232], 1.0
	v_fma_f64 v[231:232], v[231:232], v[233:234], v[231:232]
	v_fma_f64 v[233:234], -v[216:217], v[231:232], 1.0
	v_fma_f64 v[231:232], v[231:232], v[233:234], v[231:232]
	v_div_scale_f64 v[233:234], vcc_lo, 1.0, v[214:215], 1.0
	v_mul_f64 v[235:236], v[233:234], v[231:232]
	v_fma_f64 v[216:217], -v[216:217], v[235:236], v[233:234]
	v_div_fmas_f64 v[216:217], v[216:217], v[231:232], v[235:236]
	v_div_fixup_f64 v[214:215], v[216:217], v[214:215], 1.0
	v_mul_f64 v[216:217], v[229:230], -v[214:215]
.LBB104_282:
	s_or_b32 exec_lo, exec_lo, s1
.LBB104_283:
	s_or_b32 exec_lo, exec_lo, s0
	s_mov_b32 s0, exec_lo
	v_cmpx_ne_u32_e64 v228, v222
	s_xor_b32 s0, exec_lo, s0
	s_cbranch_execz .LBB104_289
; %bb.284:
	s_mov_b32 s1, exec_lo
	v_cmpx_eq_u32_e32 13, v228
	s_cbranch_execz .LBB104_288
; %bb.285:
	v_cmp_ne_u32_e32 vcc_lo, 13, v222
	s_xor_b32 s7, s16, -1
	s_and_b32 s9, s7, vcc_lo
	s_and_saveexec_b32 s7, s9
	s_cbranch_execz .LBB104_287
; %bb.286:
	v_ashrrev_i32_e32 v223, 31, v222
	v_lshlrev_b64 v[228:229], 2, v[222:223]
	v_add_co_u32 v228, vcc_lo, v220, v228
	v_add_co_ci_u32_e64 v229, null, v221, v229, vcc_lo
	s_clause 0x1
	global_load_dword v0, v[228:229], off
	global_load_dword v223, v[220:221], off offset:52
	s_waitcnt vmcnt(1)
	global_store_dword v[220:221], v0, off offset:52
	s_waitcnt vmcnt(0)
	global_store_dword v[228:229], v223, off
.LBB104_287:
	s_or_b32 exec_lo, exec_lo, s7
	v_mov_b32_e32 v228, v222
	v_mov_b32_e32 v0, v222
.LBB104_288:
	s_or_b32 exec_lo, exec_lo, s1
.LBB104_289:
	s_andn2_saveexec_b32 s0, s0
	s_cbranch_execz .LBB104_291
; %bb.290:
	v_mov_b32_e32 v228, 13
	ds_write2_b64 v1, v[154:155], v[156:157] offset0:28 offset1:29
	ds_write2_b64 v1, v[150:151], v[152:153] offset0:30 offset1:31
	;; [unrolled: 1-line block ×39, first 2 shown]
.LBB104_291:
	s_or_b32 exec_lo, exec_lo, s0
	s_mov_b32 s0, exec_lo
	s_waitcnt lgkmcnt(0)
	s_waitcnt_vscnt null, 0x0
	s_barrier
	buffer_gl0_inv
	v_cmpx_lt_i32_e32 13, v228
	s_cbranch_execz .LBB104_293
; %bb.292:
	v_mul_f64 v[222:223], v[216:217], v[160:161]
	v_mul_f64 v[160:161], v[214:215], v[160:161]
	v_fma_f64 v[222:223], v[214:215], v[158:159], -v[222:223]
	v_fma_f64 v[160:161], v[216:217], v[158:159], v[160:161]
	ds_read2_b64 v[214:217], v1 offset0:28 offset1:29
	s_waitcnt lgkmcnt(0)
	v_mul_f64 v[158:159], v[216:217], v[160:161]
	v_fma_f64 v[158:159], v[214:215], v[222:223], -v[158:159]
	v_mul_f64 v[214:215], v[214:215], v[160:161]
	v_add_f64 v[154:155], v[154:155], -v[158:159]
	v_fma_f64 v[214:215], v[216:217], v[222:223], v[214:215]
	v_add_f64 v[156:157], v[156:157], -v[214:215]
	ds_read2_b64 v[214:217], v1 offset0:30 offset1:31
	s_waitcnt lgkmcnt(0)
	v_mul_f64 v[158:159], v[216:217], v[160:161]
	v_fma_f64 v[158:159], v[214:215], v[222:223], -v[158:159]
	v_mul_f64 v[214:215], v[214:215], v[160:161]
	v_add_f64 v[150:151], v[150:151], -v[158:159]
	v_fma_f64 v[214:215], v[216:217], v[222:223], v[214:215]
	v_add_f64 v[152:153], v[152:153], -v[214:215]
	;; [unrolled: 8-line block ×38, first 2 shown]
	ds_read2_b64 v[214:217], v1 offset0:104 offset1:105
	s_waitcnt lgkmcnt(0)
	v_mul_f64 v[158:159], v[216:217], v[160:161]
	v_fma_f64 v[158:159], v[214:215], v[222:223], -v[158:159]
	v_mul_f64 v[214:215], v[214:215], v[160:161]
	v_add_f64 v[2:3], v[2:3], -v[158:159]
	v_fma_f64 v[214:215], v[216:217], v[222:223], v[214:215]
	v_mov_b32_e32 v158, v222
	v_mov_b32_e32 v159, v223
	v_add_f64 v[4:5], v[4:5], -v[214:215]
.LBB104_293:
	s_or_b32 exec_lo, exec_lo, s0
	v_lshl_add_u32 v214, v228, 4, v1
	s_barrier
	buffer_gl0_inv
	v_mov_b32_e32 v222, 14
	ds_write2_b64 v214, v[154:155], v[156:157] offset1:1
	s_waitcnt lgkmcnt(0)
	s_barrier
	buffer_gl0_inv
	ds_read2_b64 v[214:217], v1 offset0:28 offset1:29
	s_cmp_lt_i32 s8, 16
	s_cbranch_scc1 .LBB104_296
; %bb.294:
	v_add3_u32 v223, v224, 0, 0xf0
	v_mov_b32_e32 v222, 14
	s_mov_b32 s1, 15
	s_inst_prefetch 0x1
	.p2align	6
.LBB104_295:                            ; =>This Inner Loop Header: Depth=1
	s_waitcnt lgkmcnt(0)
	v_cmp_gt_f64_e32 vcc_lo, 0, v[216:217]
	v_cmp_gt_f64_e64 s0, 0, v[214:215]
	ds_read2_b64 v[229:232], v223 offset1:1
	v_xor_b32_e32 v234, 0x80000000, v215
	v_xor_b32_e32 v236, 0x80000000, v217
	v_mov_b32_e32 v233, v214
	v_mov_b32_e32 v235, v216
	v_add_nc_u32_e32 v223, 16, v223
	s_waitcnt lgkmcnt(0)
	v_xor_b32_e32 v238, 0x80000000, v232
	v_cndmask_b32_e64 v234, v215, v234, s0
	v_cndmask_b32_e32 v236, v217, v236, vcc_lo
	v_cmp_gt_f64_e32 vcc_lo, 0, v[231:232]
	v_cmp_gt_f64_e64 s0, 0, v[229:230]
	v_mov_b32_e32 v237, v231
	v_add_f64 v[233:234], v[233:234], v[235:236]
	v_xor_b32_e32 v236, 0x80000000, v230
	v_mov_b32_e32 v235, v229
	v_cndmask_b32_e32 v238, v232, v238, vcc_lo
	v_cndmask_b32_e64 v236, v230, v236, s0
	v_add_f64 v[235:236], v[235:236], v[237:238]
	v_cmp_lt_f64_e32 vcc_lo, v[233:234], v[235:236]
	v_cndmask_b32_e32 v215, v215, v230, vcc_lo
	v_cndmask_b32_e32 v214, v214, v229, vcc_lo
	;; [unrolled: 1-line block ×4, first 2 shown]
	v_cndmask_b32_e64 v222, v222, s1, vcc_lo
	s_add_i32 s1, s1, 1
	s_cmp_lg_u32 s8, s1
	s_cbranch_scc1 .LBB104_295
.LBB104_296:
	s_inst_prefetch 0x2
	s_waitcnt lgkmcnt(0)
	v_cmp_eq_f64_e32 vcc_lo, 0, v[214:215]
	v_cmp_eq_f64_e64 s0, 0, v[216:217]
	s_and_b32 s0, vcc_lo, s0
	s_and_saveexec_b32 s1, s0
	s_xor_b32 s0, exec_lo, s1
; %bb.297:
	v_cmp_ne_u32_e32 vcc_lo, 0, v227
	v_cndmask_b32_e32 v227, 15, v227, vcc_lo
; %bb.298:
	s_andn2_saveexec_b32 s0, s0
	s_cbranch_execz .LBB104_304
; %bb.299:
	v_cmp_ngt_f64_e64 s1, |v[214:215]|, |v[216:217]|
	s_and_saveexec_b32 s7, s1
	s_xor_b32 s1, exec_lo, s7
	s_cbranch_execz .LBB104_301
; %bb.300:
	v_div_scale_f64 v[229:230], null, v[216:217], v[216:217], v[214:215]
	v_div_scale_f64 v[235:236], vcc_lo, v[214:215], v[216:217], v[214:215]
	v_rcp_f64_e32 v[231:232], v[229:230]
	v_fma_f64 v[233:234], -v[229:230], v[231:232], 1.0
	v_fma_f64 v[231:232], v[231:232], v[233:234], v[231:232]
	v_fma_f64 v[233:234], -v[229:230], v[231:232], 1.0
	v_fma_f64 v[231:232], v[231:232], v[233:234], v[231:232]
	v_mul_f64 v[233:234], v[235:236], v[231:232]
	v_fma_f64 v[229:230], -v[229:230], v[233:234], v[235:236]
	v_div_fmas_f64 v[229:230], v[229:230], v[231:232], v[233:234]
	v_div_fixup_f64 v[229:230], v[229:230], v[216:217], v[214:215]
	v_fma_f64 v[214:215], v[214:215], v[229:230], v[216:217]
	v_div_scale_f64 v[216:217], null, v[214:215], v[214:215], 1.0
	v_rcp_f64_e32 v[231:232], v[216:217]
	v_fma_f64 v[233:234], -v[216:217], v[231:232], 1.0
	v_fma_f64 v[231:232], v[231:232], v[233:234], v[231:232]
	v_fma_f64 v[233:234], -v[216:217], v[231:232], 1.0
	v_fma_f64 v[231:232], v[231:232], v[233:234], v[231:232]
	v_div_scale_f64 v[233:234], vcc_lo, 1.0, v[214:215], 1.0
	v_mul_f64 v[235:236], v[233:234], v[231:232]
	v_fma_f64 v[216:217], -v[216:217], v[235:236], v[233:234]
	v_div_fmas_f64 v[216:217], v[216:217], v[231:232], v[235:236]
	v_div_fixup_f64 v[216:217], v[216:217], v[214:215], 1.0
	v_mul_f64 v[214:215], v[229:230], v[216:217]
	v_xor_b32_e32 v217, 0x80000000, v217
.LBB104_301:
	s_andn2_saveexec_b32 s1, s1
	s_cbranch_execz .LBB104_303
; %bb.302:
	v_div_scale_f64 v[229:230], null, v[214:215], v[214:215], v[216:217]
	v_div_scale_f64 v[235:236], vcc_lo, v[216:217], v[214:215], v[216:217]
	v_rcp_f64_e32 v[231:232], v[229:230]
	v_fma_f64 v[233:234], -v[229:230], v[231:232], 1.0
	v_fma_f64 v[231:232], v[231:232], v[233:234], v[231:232]
	v_fma_f64 v[233:234], -v[229:230], v[231:232], 1.0
	v_fma_f64 v[231:232], v[231:232], v[233:234], v[231:232]
	v_mul_f64 v[233:234], v[235:236], v[231:232]
	v_fma_f64 v[229:230], -v[229:230], v[233:234], v[235:236]
	v_div_fmas_f64 v[229:230], v[229:230], v[231:232], v[233:234]
	v_div_fixup_f64 v[229:230], v[229:230], v[214:215], v[216:217]
	v_fma_f64 v[214:215], v[216:217], v[229:230], v[214:215]
	v_div_scale_f64 v[216:217], null, v[214:215], v[214:215], 1.0
	v_rcp_f64_e32 v[231:232], v[216:217]
	v_fma_f64 v[233:234], -v[216:217], v[231:232], 1.0
	v_fma_f64 v[231:232], v[231:232], v[233:234], v[231:232]
	v_fma_f64 v[233:234], -v[216:217], v[231:232], 1.0
	v_fma_f64 v[231:232], v[231:232], v[233:234], v[231:232]
	v_div_scale_f64 v[233:234], vcc_lo, 1.0, v[214:215], 1.0
	v_mul_f64 v[235:236], v[233:234], v[231:232]
	v_fma_f64 v[216:217], -v[216:217], v[235:236], v[233:234]
	v_div_fmas_f64 v[216:217], v[216:217], v[231:232], v[235:236]
	v_div_fixup_f64 v[214:215], v[216:217], v[214:215], 1.0
	v_mul_f64 v[216:217], v[229:230], -v[214:215]
.LBB104_303:
	s_or_b32 exec_lo, exec_lo, s1
.LBB104_304:
	s_or_b32 exec_lo, exec_lo, s0
	s_mov_b32 s0, exec_lo
	v_cmpx_ne_u32_e64 v228, v222
	s_xor_b32 s0, exec_lo, s0
	s_cbranch_execz .LBB104_310
; %bb.305:
	s_mov_b32 s1, exec_lo
	v_cmpx_eq_u32_e32 14, v228
	s_cbranch_execz .LBB104_309
; %bb.306:
	v_cmp_ne_u32_e32 vcc_lo, 14, v222
	s_xor_b32 s7, s16, -1
	s_and_b32 s9, s7, vcc_lo
	s_and_saveexec_b32 s7, s9
	s_cbranch_execz .LBB104_308
; %bb.307:
	v_ashrrev_i32_e32 v223, 31, v222
	v_lshlrev_b64 v[228:229], 2, v[222:223]
	v_add_co_u32 v228, vcc_lo, v220, v228
	v_add_co_ci_u32_e64 v229, null, v221, v229, vcc_lo
	s_clause 0x1
	global_load_dword v0, v[228:229], off
	global_load_dword v223, v[220:221], off offset:56
	s_waitcnt vmcnt(1)
	global_store_dword v[220:221], v0, off offset:56
	s_waitcnt vmcnt(0)
	global_store_dword v[228:229], v223, off
.LBB104_308:
	s_or_b32 exec_lo, exec_lo, s7
	v_mov_b32_e32 v228, v222
	v_mov_b32_e32 v0, v222
.LBB104_309:
	s_or_b32 exec_lo, exec_lo, s1
.LBB104_310:
	s_andn2_saveexec_b32 s0, s0
	s_cbranch_execz .LBB104_312
; %bb.311:
	v_mov_b32_e32 v228, 14
	ds_write2_b64 v1, v[150:151], v[152:153] offset0:30 offset1:31
	ds_write2_b64 v1, v[146:147], v[148:149] offset0:32 offset1:33
	;; [unrolled: 1-line block ×38, first 2 shown]
.LBB104_312:
	s_or_b32 exec_lo, exec_lo, s0
	s_mov_b32 s0, exec_lo
	s_waitcnt lgkmcnt(0)
	s_waitcnt_vscnt null, 0x0
	s_barrier
	buffer_gl0_inv
	v_cmpx_lt_i32_e32 14, v228
	s_cbranch_execz .LBB104_314
; %bb.313:
	v_mul_f64 v[222:223], v[216:217], v[156:157]
	v_mul_f64 v[156:157], v[214:215], v[156:157]
	v_fma_f64 v[222:223], v[214:215], v[154:155], -v[222:223]
	v_fma_f64 v[156:157], v[216:217], v[154:155], v[156:157]
	ds_read2_b64 v[214:217], v1 offset0:30 offset1:31
	s_waitcnt lgkmcnt(0)
	v_mul_f64 v[154:155], v[216:217], v[156:157]
	v_fma_f64 v[154:155], v[214:215], v[222:223], -v[154:155]
	v_mul_f64 v[214:215], v[214:215], v[156:157]
	v_add_f64 v[150:151], v[150:151], -v[154:155]
	v_fma_f64 v[214:215], v[216:217], v[222:223], v[214:215]
	v_add_f64 v[152:153], v[152:153], -v[214:215]
	ds_read2_b64 v[214:217], v1 offset0:32 offset1:33
	s_waitcnt lgkmcnt(0)
	v_mul_f64 v[154:155], v[216:217], v[156:157]
	v_fma_f64 v[154:155], v[214:215], v[222:223], -v[154:155]
	v_mul_f64 v[214:215], v[214:215], v[156:157]
	v_add_f64 v[146:147], v[146:147], -v[154:155]
	v_fma_f64 v[214:215], v[216:217], v[222:223], v[214:215]
	v_add_f64 v[148:149], v[148:149], -v[214:215]
	;; [unrolled: 8-line block ×37, first 2 shown]
	ds_read2_b64 v[214:217], v1 offset0:104 offset1:105
	s_waitcnt lgkmcnt(0)
	v_mul_f64 v[154:155], v[216:217], v[156:157]
	v_fma_f64 v[154:155], v[214:215], v[222:223], -v[154:155]
	v_mul_f64 v[214:215], v[214:215], v[156:157]
	v_add_f64 v[2:3], v[2:3], -v[154:155]
	v_fma_f64 v[214:215], v[216:217], v[222:223], v[214:215]
	v_mov_b32_e32 v154, v222
	v_mov_b32_e32 v155, v223
	v_add_f64 v[4:5], v[4:5], -v[214:215]
.LBB104_314:
	s_or_b32 exec_lo, exec_lo, s0
	v_lshl_add_u32 v214, v228, 4, v1
	s_barrier
	buffer_gl0_inv
	v_mov_b32_e32 v222, 15
	ds_write2_b64 v214, v[150:151], v[152:153] offset1:1
	s_waitcnt lgkmcnt(0)
	s_barrier
	buffer_gl0_inv
	ds_read2_b64 v[214:217], v1 offset0:30 offset1:31
	s_cmp_lt_i32 s8, 17
	s_cbranch_scc1 .LBB104_317
; %bb.315:
	v_add3_u32 v223, v224, 0, 0x100
	v_mov_b32_e32 v222, 15
	s_mov_b32 s1, 16
	s_inst_prefetch 0x1
	.p2align	6
.LBB104_316:                            ; =>This Inner Loop Header: Depth=1
	s_waitcnt lgkmcnt(0)
	v_cmp_gt_f64_e32 vcc_lo, 0, v[216:217]
	v_cmp_gt_f64_e64 s0, 0, v[214:215]
	ds_read2_b64 v[229:232], v223 offset1:1
	v_xor_b32_e32 v234, 0x80000000, v215
	v_xor_b32_e32 v236, 0x80000000, v217
	v_mov_b32_e32 v233, v214
	v_mov_b32_e32 v235, v216
	v_add_nc_u32_e32 v223, 16, v223
	s_waitcnt lgkmcnt(0)
	v_xor_b32_e32 v238, 0x80000000, v232
	v_cndmask_b32_e64 v234, v215, v234, s0
	v_cndmask_b32_e32 v236, v217, v236, vcc_lo
	v_cmp_gt_f64_e32 vcc_lo, 0, v[231:232]
	v_cmp_gt_f64_e64 s0, 0, v[229:230]
	v_mov_b32_e32 v237, v231
	v_add_f64 v[233:234], v[233:234], v[235:236]
	v_xor_b32_e32 v236, 0x80000000, v230
	v_mov_b32_e32 v235, v229
	v_cndmask_b32_e32 v238, v232, v238, vcc_lo
	v_cndmask_b32_e64 v236, v230, v236, s0
	v_add_f64 v[235:236], v[235:236], v[237:238]
	v_cmp_lt_f64_e32 vcc_lo, v[233:234], v[235:236]
	v_cndmask_b32_e32 v215, v215, v230, vcc_lo
	v_cndmask_b32_e32 v214, v214, v229, vcc_lo
	;; [unrolled: 1-line block ×4, first 2 shown]
	v_cndmask_b32_e64 v222, v222, s1, vcc_lo
	s_add_i32 s1, s1, 1
	s_cmp_lg_u32 s8, s1
	s_cbranch_scc1 .LBB104_316
.LBB104_317:
	s_inst_prefetch 0x2
	s_waitcnt lgkmcnt(0)
	v_cmp_eq_f64_e32 vcc_lo, 0, v[214:215]
	v_cmp_eq_f64_e64 s0, 0, v[216:217]
	s_and_b32 s0, vcc_lo, s0
	s_and_saveexec_b32 s1, s0
	s_xor_b32 s0, exec_lo, s1
; %bb.318:
	v_cmp_ne_u32_e32 vcc_lo, 0, v227
	v_cndmask_b32_e32 v227, 16, v227, vcc_lo
; %bb.319:
	s_andn2_saveexec_b32 s0, s0
	s_cbranch_execz .LBB104_325
; %bb.320:
	v_cmp_ngt_f64_e64 s1, |v[214:215]|, |v[216:217]|
	s_and_saveexec_b32 s7, s1
	s_xor_b32 s1, exec_lo, s7
	s_cbranch_execz .LBB104_322
; %bb.321:
	v_div_scale_f64 v[229:230], null, v[216:217], v[216:217], v[214:215]
	v_div_scale_f64 v[235:236], vcc_lo, v[214:215], v[216:217], v[214:215]
	v_rcp_f64_e32 v[231:232], v[229:230]
	v_fma_f64 v[233:234], -v[229:230], v[231:232], 1.0
	v_fma_f64 v[231:232], v[231:232], v[233:234], v[231:232]
	v_fma_f64 v[233:234], -v[229:230], v[231:232], 1.0
	v_fma_f64 v[231:232], v[231:232], v[233:234], v[231:232]
	v_mul_f64 v[233:234], v[235:236], v[231:232]
	v_fma_f64 v[229:230], -v[229:230], v[233:234], v[235:236]
	v_div_fmas_f64 v[229:230], v[229:230], v[231:232], v[233:234]
	v_div_fixup_f64 v[229:230], v[229:230], v[216:217], v[214:215]
	v_fma_f64 v[214:215], v[214:215], v[229:230], v[216:217]
	v_div_scale_f64 v[216:217], null, v[214:215], v[214:215], 1.0
	v_rcp_f64_e32 v[231:232], v[216:217]
	v_fma_f64 v[233:234], -v[216:217], v[231:232], 1.0
	v_fma_f64 v[231:232], v[231:232], v[233:234], v[231:232]
	v_fma_f64 v[233:234], -v[216:217], v[231:232], 1.0
	v_fma_f64 v[231:232], v[231:232], v[233:234], v[231:232]
	v_div_scale_f64 v[233:234], vcc_lo, 1.0, v[214:215], 1.0
	v_mul_f64 v[235:236], v[233:234], v[231:232]
	v_fma_f64 v[216:217], -v[216:217], v[235:236], v[233:234]
	v_div_fmas_f64 v[216:217], v[216:217], v[231:232], v[235:236]
	v_div_fixup_f64 v[216:217], v[216:217], v[214:215], 1.0
	v_mul_f64 v[214:215], v[229:230], v[216:217]
	v_xor_b32_e32 v217, 0x80000000, v217
.LBB104_322:
	s_andn2_saveexec_b32 s1, s1
	s_cbranch_execz .LBB104_324
; %bb.323:
	v_div_scale_f64 v[229:230], null, v[214:215], v[214:215], v[216:217]
	v_div_scale_f64 v[235:236], vcc_lo, v[216:217], v[214:215], v[216:217]
	v_rcp_f64_e32 v[231:232], v[229:230]
	v_fma_f64 v[233:234], -v[229:230], v[231:232], 1.0
	v_fma_f64 v[231:232], v[231:232], v[233:234], v[231:232]
	v_fma_f64 v[233:234], -v[229:230], v[231:232], 1.0
	v_fma_f64 v[231:232], v[231:232], v[233:234], v[231:232]
	v_mul_f64 v[233:234], v[235:236], v[231:232]
	v_fma_f64 v[229:230], -v[229:230], v[233:234], v[235:236]
	v_div_fmas_f64 v[229:230], v[229:230], v[231:232], v[233:234]
	v_div_fixup_f64 v[229:230], v[229:230], v[214:215], v[216:217]
	v_fma_f64 v[214:215], v[216:217], v[229:230], v[214:215]
	v_div_scale_f64 v[216:217], null, v[214:215], v[214:215], 1.0
	v_rcp_f64_e32 v[231:232], v[216:217]
	v_fma_f64 v[233:234], -v[216:217], v[231:232], 1.0
	v_fma_f64 v[231:232], v[231:232], v[233:234], v[231:232]
	v_fma_f64 v[233:234], -v[216:217], v[231:232], 1.0
	v_fma_f64 v[231:232], v[231:232], v[233:234], v[231:232]
	v_div_scale_f64 v[233:234], vcc_lo, 1.0, v[214:215], 1.0
	v_mul_f64 v[235:236], v[233:234], v[231:232]
	v_fma_f64 v[216:217], -v[216:217], v[235:236], v[233:234]
	v_div_fmas_f64 v[216:217], v[216:217], v[231:232], v[235:236]
	v_div_fixup_f64 v[214:215], v[216:217], v[214:215], 1.0
	v_mul_f64 v[216:217], v[229:230], -v[214:215]
.LBB104_324:
	s_or_b32 exec_lo, exec_lo, s1
.LBB104_325:
	s_or_b32 exec_lo, exec_lo, s0
	s_mov_b32 s0, exec_lo
	v_cmpx_ne_u32_e64 v228, v222
	s_xor_b32 s0, exec_lo, s0
	s_cbranch_execz .LBB104_331
; %bb.326:
	s_mov_b32 s1, exec_lo
	v_cmpx_eq_u32_e32 15, v228
	s_cbranch_execz .LBB104_330
; %bb.327:
	v_cmp_ne_u32_e32 vcc_lo, 15, v222
	s_xor_b32 s7, s16, -1
	s_and_b32 s9, s7, vcc_lo
	s_and_saveexec_b32 s7, s9
	s_cbranch_execz .LBB104_329
; %bb.328:
	v_ashrrev_i32_e32 v223, 31, v222
	v_lshlrev_b64 v[228:229], 2, v[222:223]
	v_add_co_u32 v228, vcc_lo, v220, v228
	v_add_co_ci_u32_e64 v229, null, v221, v229, vcc_lo
	s_clause 0x1
	global_load_dword v0, v[228:229], off
	global_load_dword v223, v[220:221], off offset:60
	s_waitcnt vmcnt(1)
	global_store_dword v[220:221], v0, off offset:60
	s_waitcnt vmcnt(0)
	global_store_dword v[228:229], v223, off
.LBB104_329:
	s_or_b32 exec_lo, exec_lo, s7
	v_mov_b32_e32 v228, v222
	v_mov_b32_e32 v0, v222
.LBB104_330:
	s_or_b32 exec_lo, exec_lo, s1
.LBB104_331:
	s_andn2_saveexec_b32 s0, s0
	s_cbranch_execz .LBB104_333
; %bb.332:
	v_mov_b32_e32 v228, 15
	ds_write2_b64 v1, v[146:147], v[148:149] offset0:32 offset1:33
	ds_write2_b64 v1, v[142:143], v[144:145] offset0:34 offset1:35
	;; [unrolled: 1-line block ×37, first 2 shown]
.LBB104_333:
	s_or_b32 exec_lo, exec_lo, s0
	s_mov_b32 s0, exec_lo
	s_waitcnt lgkmcnt(0)
	s_waitcnt_vscnt null, 0x0
	s_barrier
	buffer_gl0_inv
	v_cmpx_lt_i32_e32 15, v228
	s_cbranch_execz .LBB104_335
; %bb.334:
	v_mul_f64 v[222:223], v[216:217], v[152:153]
	v_mul_f64 v[152:153], v[214:215], v[152:153]
	v_fma_f64 v[222:223], v[214:215], v[150:151], -v[222:223]
	v_fma_f64 v[152:153], v[216:217], v[150:151], v[152:153]
	ds_read2_b64 v[214:217], v1 offset0:32 offset1:33
	s_waitcnt lgkmcnt(0)
	v_mul_f64 v[150:151], v[216:217], v[152:153]
	v_fma_f64 v[150:151], v[214:215], v[222:223], -v[150:151]
	v_mul_f64 v[214:215], v[214:215], v[152:153]
	v_add_f64 v[146:147], v[146:147], -v[150:151]
	v_fma_f64 v[214:215], v[216:217], v[222:223], v[214:215]
	v_add_f64 v[148:149], v[148:149], -v[214:215]
	ds_read2_b64 v[214:217], v1 offset0:34 offset1:35
	s_waitcnt lgkmcnt(0)
	v_mul_f64 v[150:151], v[216:217], v[152:153]
	v_fma_f64 v[150:151], v[214:215], v[222:223], -v[150:151]
	v_mul_f64 v[214:215], v[214:215], v[152:153]
	v_add_f64 v[142:143], v[142:143], -v[150:151]
	v_fma_f64 v[214:215], v[216:217], v[222:223], v[214:215]
	v_add_f64 v[144:145], v[144:145], -v[214:215]
	;; [unrolled: 8-line block ×36, first 2 shown]
	ds_read2_b64 v[214:217], v1 offset0:104 offset1:105
	s_waitcnt lgkmcnt(0)
	v_mul_f64 v[150:151], v[216:217], v[152:153]
	v_fma_f64 v[150:151], v[214:215], v[222:223], -v[150:151]
	v_mul_f64 v[214:215], v[214:215], v[152:153]
	v_add_f64 v[2:3], v[2:3], -v[150:151]
	v_fma_f64 v[214:215], v[216:217], v[222:223], v[214:215]
	v_mov_b32_e32 v150, v222
	v_mov_b32_e32 v151, v223
	v_add_f64 v[4:5], v[4:5], -v[214:215]
.LBB104_335:
	s_or_b32 exec_lo, exec_lo, s0
	v_lshl_add_u32 v214, v228, 4, v1
	s_barrier
	buffer_gl0_inv
	v_mov_b32_e32 v222, 16
	ds_write2_b64 v214, v[146:147], v[148:149] offset1:1
	s_waitcnt lgkmcnt(0)
	s_barrier
	buffer_gl0_inv
	ds_read2_b64 v[214:217], v1 offset0:32 offset1:33
	s_cmp_lt_i32 s8, 18
	s_cbranch_scc1 .LBB104_338
; %bb.336:
	v_add3_u32 v223, v224, 0, 0x110
	v_mov_b32_e32 v222, 16
	s_mov_b32 s1, 17
	s_inst_prefetch 0x1
	.p2align	6
.LBB104_337:                            ; =>This Inner Loop Header: Depth=1
	s_waitcnt lgkmcnt(0)
	v_cmp_gt_f64_e32 vcc_lo, 0, v[216:217]
	v_cmp_gt_f64_e64 s0, 0, v[214:215]
	ds_read2_b64 v[229:232], v223 offset1:1
	v_xor_b32_e32 v234, 0x80000000, v215
	v_xor_b32_e32 v236, 0x80000000, v217
	v_mov_b32_e32 v233, v214
	v_mov_b32_e32 v235, v216
	v_add_nc_u32_e32 v223, 16, v223
	s_waitcnt lgkmcnt(0)
	v_xor_b32_e32 v238, 0x80000000, v232
	v_cndmask_b32_e64 v234, v215, v234, s0
	v_cndmask_b32_e32 v236, v217, v236, vcc_lo
	v_cmp_gt_f64_e32 vcc_lo, 0, v[231:232]
	v_cmp_gt_f64_e64 s0, 0, v[229:230]
	v_mov_b32_e32 v237, v231
	v_add_f64 v[233:234], v[233:234], v[235:236]
	v_xor_b32_e32 v236, 0x80000000, v230
	v_mov_b32_e32 v235, v229
	v_cndmask_b32_e32 v238, v232, v238, vcc_lo
	v_cndmask_b32_e64 v236, v230, v236, s0
	v_add_f64 v[235:236], v[235:236], v[237:238]
	v_cmp_lt_f64_e32 vcc_lo, v[233:234], v[235:236]
	v_cndmask_b32_e32 v215, v215, v230, vcc_lo
	v_cndmask_b32_e32 v214, v214, v229, vcc_lo
	;; [unrolled: 1-line block ×4, first 2 shown]
	v_cndmask_b32_e64 v222, v222, s1, vcc_lo
	s_add_i32 s1, s1, 1
	s_cmp_lg_u32 s8, s1
	s_cbranch_scc1 .LBB104_337
.LBB104_338:
	s_inst_prefetch 0x2
	s_waitcnt lgkmcnt(0)
	v_cmp_eq_f64_e32 vcc_lo, 0, v[214:215]
	v_cmp_eq_f64_e64 s0, 0, v[216:217]
	s_and_b32 s0, vcc_lo, s0
	s_and_saveexec_b32 s1, s0
	s_xor_b32 s0, exec_lo, s1
; %bb.339:
	v_cmp_ne_u32_e32 vcc_lo, 0, v227
	v_cndmask_b32_e32 v227, 17, v227, vcc_lo
; %bb.340:
	s_andn2_saveexec_b32 s0, s0
	s_cbranch_execz .LBB104_346
; %bb.341:
	v_cmp_ngt_f64_e64 s1, |v[214:215]|, |v[216:217]|
	s_and_saveexec_b32 s7, s1
	s_xor_b32 s1, exec_lo, s7
	s_cbranch_execz .LBB104_343
; %bb.342:
	v_div_scale_f64 v[229:230], null, v[216:217], v[216:217], v[214:215]
	v_div_scale_f64 v[235:236], vcc_lo, v[214:215], v[216:217], v[214:215]
	v_rcp_f64_e32 v[231:232], v[229:230]
	v_fma_f64 v[233:234], -v[229:230], v[231:232], 1.0
	v_fma_f64 v[231:232], v[231:232], v[233:234], v[231:232]
	v_fma_f64 v[233:234], -v[229:230], v[231:232], 1.0
	v_fma_f64 v[231:232], v[231:232], v[233:234], v[231:232]
	v_mul_f64 v[233:234], v[235:236], v[231:232]
	v_fma_f64 v[229:230], -v[229:230], v[233:234], v[235:236]
	v_div_fmas_f64 v[229:230], v[229:230], v[231:232], v[233:234]
	v_div_fixup_f64 v[229:230], v[229:230], v[216:217], v[214:215]
	v_fma_f64 v[214:215], v[214:215], v[229:230], v[216:217]
	v_div_scale_f64 v[216:217], null, v[214:215], v[214:215], 1.0
	v_rcp_f64_e32 v[231:232], v[216:217]
	v_fma_f64 v[233:234], -v[216:217], v[231:232], 1.0
	v_fma_f64 v[231:232], v[231:232], v[233:234], v[231:232]
	v_fma_f64 v[233:234], -v[216:217], v[231:232], 1.0
	v_fma_f64 v[231:232], v[231:232], v[233:234], v[231:232]
	v_div_scale_f64 v[233:234], vcc_lo, 1.0, v[214:215], 1.0
	v_mul_f64 v[235:236], v[233:234], v[231:232]
	v_fma_f64 v[216:217], -v[216:217], v[235:236], v[233:234]
	v_div_fmas_f64 v[216:217], v[216:217], v[231:232], v[235:236]
	v_div_fixup_f64 v[216:217], v[216:217], v[214:215], 1.0
	v_mul_f64 v[214:215], v[229:230], v[216:217]
	v_xor_b32_e32 v217, 0x80000000, v217
.LBB104_343:
	s_andn2_saveexec_b32 s1, s1
	s_cbranch_execz .LBB104_345
; %bb.344:
	v_div_scale_f64 v[229:230], null, v[214:215], v[214:215], v[216:217]
	v_div_scale_f64 v[235:236], vcc_lo, v[216:217], v[214:215], v[216:217]
	v_rcp_f64_e32 v[231:232], v[229:230]
	v_fma_f64 v[233:234], -v[229:230], v[231:232], 1.0
	v_fma_f64 v[231:232], v[231:232], v[233:234], v[231:232]
	v_fma_f64 v[233:234], -v[229:230], v[231:232], 1.0
	v_fma_f64 v[231:232], v[231:232], v[233:234], v[231:232]
	v_mul_f64 v[233:234], v[235:236], v[231:232]
	v_fma_f64 v[229:230], -v[229:230], v[233:234], v[235:236]
	v_div_fmas_f64 v[229:230], v[229:230], v[231:232], v[233:234]
	v_div_fixup_f64 v[229:230], v[229:230], v[214:215], v[216:217]
	v_fma_f64 v[214:215], v[216:217], v[229:230], v[214:215]
	v_div_scale_f64 v[216:217], null, v[214:215], v[214:215], 1.0
	v_rcp_f64_e32 v[231:232], v[216:217]
	v_fma_f64 v[233:234], -v[216:217], v[231:232], 1.0
	v_fma_f64 v[231:232], v[231:232], v[233:234], v[231:232]
	v_fma_f64 v[233:234], -v[216:217], v[231:232], 1.0
	v_fma_f64 v[231:232], v[231:232], v[233:234], v[231:232]
	v_div_scale_f64 v[233:234], vcc_lo, 1.0, v[214:215], 1.0
	v_mul_f64 v[235:236], v[233:234], v[231:232]
	v_fma_f64 v[216:217], -v[216:217], v[235:236], v[233:234]
	v_div_fmas_f64 v[216:217], v[216:217], v[231:232], v[235:236]
	v_div_fixup_f64 v[214:215], v[216:217], v[214:215], 1.0
	v_mul_f64 v[216:217], v[229:230], -v[214:215]
.LBB104_345:
	s_or_b32 exec_lo, exec_lo, s1
.LBB104_346:
	s_or_b32 exec_lo, exec_lo, s0
	s_mov_b32 s0, exec_lo
	v_cmpx_ne_u32_e64 v228, v222
	s_xor_b32 s0, exec_lo, s0
	s_cbranch_execz .LBB104_352
; %bb.347:
	s_mov_b32 s1, exec_lo
	v_cmpx_eq_u32_e32 16, v228
	s_cbranch_execz .LBB104_351
; %bb.348:
	v_cmp_ne_u32_e32 vcc_lo, 16, v222
	s_xor_b32 s7, s16, -1
	s_and_b32 s9, s7, vcc_lo
	s_and_saveexec_b32 s7, s9
	s_cbranch_execz .LBB104_350
; %bb.349:
	v_ashrrev_i32_e32 v223, 31, v222
	v_lshlrev_b64 v[228:229], 2, v[222:223]
	v_add_co_u32 v228, vcc_lo, v220, v228
	v_add_co_ci_u32_e64 v229, null, v221, v229, vcc_lo
	s_clause 0x1
	global_load_dword v0, v[228:229], off
	global_load_dword v223, v[220:221], off offset:64
	s_waitcnt vmcnt(1)
	global_store_dword v[220:221], v0, off offset:64
	s_waitcnt vmcnt(0)
	global_store_dword v[228:229], v223, off
.LBB104_350:
	s_or_b32 exec_lo, exec_lo, s7
	v_mov_b32_e32 v228, v222
	v_mov_b32_e32 v0, v222
.LBB104_351:
	s_or_b32 exec_lo, exec_lo, s1
.LBB104_352:
	s_andn2_saveexec_b32 s0, s0
	s_cbranch_execz .LBB104_354
; %bb.353:
	v_mov_b32_e32 v228, 16
	ds_write2_b64 v1, v[142:143], v[144:145] offset0:34 offset1:35
	ds_write2_b64 v1, v[138:139], v[140:141] offset0:36 offset1:37
	;; [unrolled: 1-line block ×36, first 2 shown]
.LBB104_354:
	s_or_b32 exec_lo, exec_lo, s0
	s_mov_b32 s0, exec_lo
	s_waitcnt lgkmcnt(0)
	s_waitcnt_vscnt null, 0x0
	s_barrier
	buffer_gl0_inv
	v_cmpx_lt_i32_e32 16, v228
	s_cbranch_execz .LBB104_356
; %bb.355:
	v_mul_f64 v[222:223], v[216:217], v[148:149]
	v_mul_f64 v[148:149], v[214:215], v[148:149]
	v_fma_f64 v[222:223], v[214:215], v[146:147], -v[222:223]
	v_fma_f64 v[148:149], v[216:217], v[146:147], v[148:149]
	ds_read2_b64 v[214:217], v1 offset0:34 offset1:35
	s_waitcnt lgkmcnt(0)
	v_mul_f64 v[146:147], v[216:217], v[148:149]
	v_fma_f64 v[146:147], v[214:215], v[222:223], -v[146:147]
	v_mul_f64 v[214:215], v[214:215], v[148:149]
	v_add_f64 v[142:143], v[142:143], -v[146:147]
	v_fma_f64 v[214:215], v[216:217], v[222:223], v[214:215]
	v_add_f64 v[144:145], v[144:145], -v[214:215]
	ds_read2_b64 v[214:217], v1 offset0:36 offset1:37
	s_waitcnt lgkmcnt(0)
	v_mul_f64 v[146:147], v[216:217], v[148:149]
	v_fma_f64 v[146:147], v[214:215], v[222:223], -v[146:147]
	v_mul_f64 v[214:215], v[214:215], v[148:149]
	v_add_f64 v[138:139], v[138:139], -v[146:147]
	v_fma_f64 v[214:215], v[216:217], v[222:223], v[214:215]
	v_add_f64 v[140:141], v[140:141], -v[214:215]
	;; [unrolled: 8-line block ×35, first 2 shown]
	ds_read2_b64 v[214:217], v1 offset0:104 offset1:105
	s_waitcnt lgkmcnt(0)
	v_mul_f64 v[146:147], v[216:217], v[148:149]
	v_fma_f64 v[146:147], v[214:215], v[222:223], -v[146:147]
	v_mul_f64 v[214:215], v[214:215], v[148:149]
	v_add_f64 v[2:3], v[2:3], -v[146:147]
	v_fma_f64 v[214:215], v[216:217], v[222:223], v[214:215]
	v_mov_b32_e32 v146, v222
	v_mov_b32_e32 v147, v223
	v_add_f64 v[4:5], v[4:5], -v[214:215]
.LBB104_356:
	s_or_b32 exec_lo, exec_lo, s0
	v_lshl_add_u32 v214, v228, 4, v1
	s_barrier
	buffer_gl0_inv
	v_mov_b32_e32 v222, 17
	ds_write2_b64 v214, v[142:143], v[144:145] offset1:1
	s_waitcnt lgkmcnt(0)
	s_barrier
	buffer_gl0_inv
	ds_read2_b64 v[214:217], v1 offset0:34 offset1:35
	s_cmp_lt_i32 s8, 19
	s_cbranch_scc1 .LBB104_359
; %bb.357:
	v_add3_u32 v223, v224, 0, 0x120
	v_mov_b32_e32 v222, 17
	s_mov_b32 s1, 18
	s_inst_prefetch 0x1
	.p2align	6
.LBB104_358:                            ; =>This Inner Loop Header: Depth=1
	s_waitcnt lgkmcnt(0)
	v_cmp_gt_f64_e32 vcc_lo, 0, v[216:217]
	v_cmp_gt_f64_e64 s0, 0, v[214:215]
	ds_read2_b64 v[229:232], v223 offset1:1
	v_xor_b32_e32 v234, 0x80000000, v215
	v_xor_b32_e32 v236, 0x80000000, v217
	v_mov_b32_e32 v233, v214
	v_mov_b32_e32 v235, v216
	v_add_nc_u32_e32 v223, 16, v223
	s_waitcnt lgkmcnt(0)
	v_xor_b32_e32 v238, 0x80000000, v232
	v_cndmask_b32_e64 v234, v215, v234, s0
	v_cndmask_b32_e32 v236, v217, v236, vcc_lo
	v_cmp_gt_f64_e32 vcc_lo, 0, v[231:232]
	v_cmp_gt_f64_e64 s0, 0, v[229:230]
	v_mov_b32_e32 v237, v231
	v_add_f64 v[233:234], v[233:234], v[235:236]
	v_xor_b32_e32 v236, 0x80000000, v230
	v_mov_b32_e32 v235, v229
	v_cndmask_b32_e32 v238, v232, v238, vcc_lo
	v_cndmask_b32_e64 v236, v230, v236, s0
	v_add_f64 v[235:236], v[235:236], v[237:238]
	v_cmp_lt_f64_e32 vcc_lo, v[233:234], v[235:236]
	v_cndmask_b32_e32 v215, v215, v230, vcc_lo
	v_cndmask_b32_e32 v214, v214, v229, vcc_lo
	;; [unrolled: 1-line block ×4, first 2 shown]
	v_cndmask_b32_e64 v222, v222, s1, vcc_lo
	s_add_i32 s1, s1, 1
	s_cmp_lg_u32 s8, s1
	s_cbranch_scc1 .LBB104_358
.LBB104_359:
	s_inst_prefetch 0x2
	s_waitcnt lgkmcnt(0)
	v_cmp_eq_f64_e32 vcc_lo, 0, v[214:215]
	v_cmp_eq_f64_e64 s0, 0, v[216:217]
	s_and_b32 s0, vcc_lo, s0
	s_and_saveexec_b32 s1, s0
	s_xor_b32 s0, exec_lo, s1
; %bb.360:
	v_cmp_ne_u32_e32 vcc_lo, 0, v227
	v_cndmask_b32_e32 v227, 18, v227, vcc_lo
; %bb.361:
	s_andn2_saveexec_b32 s0, s0
	s_cbranch_execz .LBB104_367
; %bb.362:
	v_cmp_ngt_f64_e64 s1, |v[214:215]|, |v[216:217]|
	s_and_saveexec_b32 s7, s1
	s_xor_b32 s1, exec_lo, s7
	s_cbranch_execz .LBB104_364
; %bb.363:
	v_div_scale_f64 v[229:230], null, v[216:217], v[216:217], v[214:215]
	v_div_scale_f64 v[235:236], vcc_lo, v[214:215], v[216:217], v[214:215]
	v_rcp_f64_e32 v[231:232], v[229:230]
	v_fma_f64 v[233:234], -v[229:230], v[231:232], 1.0
	v_fma_f64 v[231:232], v[231:232], v[233:234], v[231:232]
	v_fma_f64 v[233:234], -v[229:230], v[231:232], 1.0
	v_fma_f64 v[231:232], v[231:232], v[233:234], v[231:232]
	v_mul_f64 v[233:234], v[235:236], v[231:232]
	v_fma_f64 v[229:230], -v[229:230], v[233:234], v[235:236]
	v_div_fmas_f64 v[229:230], v[229:230], v[231:232], v[233:234]
	v_div_fixup_f64 v[229:230], v[229:230], v[216:217], v[214:215]
	v_fma_f64 v[214:215], v[214:215], v[229:230], v[216:217]
	v_div_scale_f64 v[216:217], null, v[214:215], v[214:215], 1.0
	v_rcp_f64_e32 v[231:232], v[216:217]
	v_fma_f64 v[233:234], -v[216:217], v[231:232], 1.0
	v_fma_f64 v[231:232], v[231:232], v[233:234], v[231:232]
	v_fma_f64 v[233:234], -v[216:217], v[231:232], 1.0
	v_fma_f64 v[231:232], v[231:232], v[233:234], v[231:232]
	v_div_scale_f64 v[233:234], vcc_lo, 1.0, v[214:215], 1.0
	v_mul_f64 v[235:236], v[233:234], v[231:232]
	v_fma_f64 v[216:217], -v[216:217], v[235:236], v[233:234]
	v_div_fmas_f64 v[216:217], v[216:217], v[231:232], v[235:236]
	v_div_fixup_f64 v[216:217], v[216:217], v[214:215], 1.0
	v_mul_f64 v[214:215], v[229:230], v[216:217]
	v_xor_b32_e32 v217, 0x80000000, v217
.LBB104_364:
	s_andn2_saveexec_b32 s1, s1
	s_cbranch_execz .LBB104_366
; %bb.365:
	v_div_scale_f64 v[229:230], null, v[214:215], v[214:215], v[216:217]
	v_div_scale_f64 v[235:236], vcc_lo, v[216:217], v[214:215], v[216:217]
	v_rcp_f64_e32 v[231:232], v[229:230]
	v_fma_f64 v[233:234], -v[229:230], v[231:232], 1.0
	v_fma_f64 v[231:232], v[231:232], v[233:234], v[231:232]
	v_fma_f64 v[233:234], -v[229:230], v[231:232], 1.0
	v_fma_f64 v[231:232], v[231:232], v[233:234], v[231:232]
	v_mul_f64 v[233:234], v[235:236], v[231:232]
	v_fma_f64 v[229:230], -v[229:230], v[233:234], v[235:236]
	v_div_fmas_f64 v[229:230], v[229:230], v[231:232], v[233:234]
	v_div_fixup_f64 v[229:230], v[229:230], v[214:215], v[216:217]
	v_fma_f64 v[214:215], v[216:217], v[229:230], v[214:215]
	v_div_scale_f64 v[216:217], null, v[214:215], v[214:215], 1.0
	v_rcp_f64_e32 v[231:232], v[216:217]
	v_fma_f64 v[233:234], -v[216:217], v[231:232], 1.0
	v_fma_f64 v[231:232], v[231:232], v[233:234], v[231:232]
	v_fma_f64 v[233:234], -v[216:217], v[231:232], 1.0
	v_fma_f64 v[231:232], v[231:232], v[233:234], v[231:232]
	v_div_scale_f64 v[233:234], vcc_lo, 1.0, v[214:215], 1.0
	v_mul_f64 v[235:236], v[233:234], v[231:232]
	v_fma_f64 v[216:217], -v[216:217], v[235:236], v[233:234]
	v_div_fmas_f64 v[216:217], v[216:217], v[231:232], v[235:236]
	v_div_fixup_f64 v[214:215], v[216:217], v[214:215], 1.0
	v_mul_f64 v[216:217], v[229:230], -v[214:215]
.LBB104_366:
	s_or_b32 exec_lo, exec_lo, s1
.LBB104_367:
	s_or_b32 exec_lo, exec_lo, s0
	s_mov_b32 s0, exec_lo
	v_cmpx_ne_u32_e64 v228, v222
	s_xor_b32 s0, exec_lo, s0
	s_cbranch_execz .LBB104_373
; %bb.368:
	s_mov_b32 s1, exec_lo
	v_cmpx_eq_u32_e32 17, v228
	s_cbranch_execz .LBB104_372
; %bb.369:
	v_cmp_ne_u32_e32 vcc_lo, 17, v222
	s_xor_b32 s7, s16, -1
	s_and_b32 s9, s7, vcc_lo
	s_and_saveexec_b32 s7, s9
	s_cbranch_execz .LBB104_371
; %bb.370:
	v_ashrrev_i32_e32 v223, 31, v222
	v_lshlrev_b64 v[228:229], 2, v[222:223]
	v_add_co_u32 v228, vcc_lo, v220, v228
	v_add_co_ci_u32_e64 v229, null, v221, v229, vcc_lo
	s_clause 0x1
	global_load_dword v0, v[228:229], off
	global_load_dword v223, v[220:221], off offset:68
	s_waitcnt vmcnt(1)
	global_store_dword v[220:221], v0, off offset:68
	s_waitcnt vmcnt(0)
	global_store_dword v[228:229], v223, off
.LBB104_371:
	s_or_b32 exec_lo, exec_lo, s7
	v_mov_b32_e32 v228, v222
	v_mov_b32_e32 v0, v222
.LBB104_372:
	s_or_b32 exec_lo, exec_lo, s1
.LBB104_373:
	s_andn2_saveexec_b32 s0, s0
	s_cbranch_execz .LBB104_375
; %bb.374:
	v_mov_b32_e32 v228, 17
	ds_write2_b64 v1, v[138:139], v[140:141] offset0:36 offset1:37
	ds_write2_b64 v1, v[134:135], v[136:137] offset0:38 offset1:39
	ds_write2_b64 v1, v[130:131], v[132:133] offset0:40 offset1:41
	ds_write2_b64 v1, v[126:127], v[128:129] offset0:42 offset1:43
	ds_write2_b64 v1, v[122:123], v[124:125] offset0:44 offset1:45
	ds_write2_b64 v1, v[118:119], v[120:121] offset0:46 offset1:47
	ds_write2_b64 v1, v[114:115], v[116:117] offset0:48 offset1:49
	ds_write2_b64 v1, v[110:111], v[112:113] offset0:50 offset1:51
	ds_write2_b64 v1, v[106:107], v[108:109] offset0:52 offset1:53
	ds_write2_b64 v1, v[102:103], v[104:105] offset0:54 offset1:55
	ds_write2_b64 v1, v[98:99], v[100:101] offset0:56 offset1:57
	ds_write2_b64 v1, v[94:95], v[96:97] offset0:58 offset1:59
	ds_write2_b64 v1, v[90:91], v[92:93] offset0:60 offset1:61
	ds_write2_b64 v1, v[86:87], v[88:89] offset0:62 offset1:63
	ds_write2_b64 v1, v[82:83], v[84:85] offset0:64 offset1:65
	ds_write2_b64 v1, v[78:79], v[80:81] offset0:66 offset1:67
	ds_write2_b64 v1, v[74:75], v[76:77] offset0:68 offset1:69
	ds_write2_b64 v1, v[70:71], v[72:73] offset0:70 offset1:71
	ds_write2_b64 v1, v[66:67], v[68:69] offset0:72 offset1:73
	ds_write2_b64 v1, v[62:63], v[64:65] offset0:74 offset1:75
	ds_write2_b64 v1, v[58:59], v[60:61] offset0:76 offset1:77
	ds_write2_b64 v1, v[54:55], v[56:57] offset0:78 offset1:79
	ds_write2_b64 v1, v[50:51], v[52:53] offset0:80 offset1:81
	ds_write2_b64 v1, v[46:47], v[48:49] offset0:82 offset1:83
	ds_write2_b64 v1, v[42:43], v[44:45] offset0:84 offset1:85
	ds_write2_b64 v1, v[38:39], v[40:41] offset0:86 offset1:87
	ds_write2_b64 v1, v[34:35], v[36:37] offset0:88 offset1:89
	ds_write2_b64 v1, v[30:31], v[32:33] offset0:90 offset1:91
	ds_write2_b64 v1, v[26:27], v[28:29] offset0:92 offset1:93
	ds_write2_b64 v1, v[22:23], v[24:25] offset0:94 offset1:95
	ds_write2_b64 v1, v[18:19], v[20:21] offset0:96 offset1:97
	ds_write2_b64 v1, v[14:15], v[16:17] offset0:98 offset1:99
	ds_write2_b64 v1, v[10:11], v[12:13] offset0:100 offset1:101
	ds_write2_b64 v1, v[6:7], v[8:9] offset0:102 offset1:103
	ds_write2_b64 v1, v[2:3], v[4:5] offset0:104 offset1:105
.LBB104_375:
	s_or_b32 exec_lo, exec_lo, s0
	s_mov_b32 s0, exec_lo
	s_waitcnt lgkmcnt(0)
	s_waitcnt_vscnt null, 0x0
	s_barrier
	buffer_gl0_inv
	v_cmpx_lt_i32_e32 17, v228
	s_cbranch_execz .LBB104_377
; %bb.376:
	v_mul_f64 v[222:223], v[216:217], v[144:145]
	v_mul_f64 v[144:145], v[214:215], v[144:145]
	v_fma_f64 v[222:223], v[214:215], v[142:143], -v[222:223]
	v_fma_f64 v[144:145], v[216:217], v[142:143], v[144:145]
	ds_read2_b64 v[214:217], v1 offset0:36 offset1:37
	s_waitcnt lgkmcnt(0)
	v_mul_f64 v[142:143], v[216:217], v[144:145]
	v_fma_f64 v[142:143], v[214:215], v[222:223], -v[142:143]
	v_mul_f64 v[214:215], v[214:215], v[144:145]
	v_add_f64 v[138:139], v[138:139], -v[142:143]
	v_fma_f64 v[214:215], v[216:217], v[222:223], v[214:215]
	v_add_f64 v[140:141], v[140:141], -v[214:215]
	ds_read2_b64 v[214:217], v1 offset0:38 offset1:39
	s_waitcnt lgkmcnt(0)
	v_mul_f64 v[142:143], v[216:217], v[144:145]
	v_fma_f64 v[142:143], v[214:215], v[222:223], -v[142:143]
	v_mul_f64 v[214:215], v[214:215], v[144:145]
	v_add_f64 v[134:135], v[134:135], -v[142:143]
	v_fma_f64 v[214:215], v[216:217], v[222:223], v[214:215]
	v_add_f64 v[136:137], v[136:137], -v[214:215]
	;; [unrolled: 8-line block ×34, first 2 shown]
	ds_read2_b64 v[214:217], v1 offset0:104 offset1:105
	s_waitcnt lgkmcnt(0)
	v_mul_f64 v[142:143], v[216:217], v[144:145]
	v_fma_f64 v[142:143], v[214:215], v[222:223], -v[142:143]
	v_mul_f64 v[214:215], v[214:215], v[144:145]
	v_add_f64 v[2:3], v[2:3], -v[142:143]
	v_fma_f64 v[214:215], v[216:217], v[222:223], v[214:215]
	v_mov_b32_e32 v142, v222
	v_mov_b32_e32 v143, v223
	v_add_f64 v[4:5], v[4:5], -v[214:215]
.LBB104_377:
	s_or_b32 exec_lo, exec_lo, s0
	v_lshl_add_u32 v214, v228, 4, v1
	s_barrier
	buffer_gl0_inv
	v_mov_b32_e32 v222, 18
	ds_write2_b64 v214, v[138:139], v[140:141] offset1:1
	s_waitcnt lgkmcnt(0)
	s_barrier
	buffer_gl0_inv
	ds_read2_b64 v[214:217], v1 offset0:36 offset1:37
	s_cmp_lt_i32 s8, 20
	s_cbranch_scc1 .LBB104_380
; %bb.378:
	v_add3_u32 v223, v224, 0, 0x130
	v_mov_b32_e32 v222, 18
	s_mov_b32 s1, 19
	s_inst_prefetch 0x1
	.p2align	6
.LBB104_379:                            ; =>This Inner Loop Header: Depth=1
	s_waitcnt lgkmcnt(0)
	v_cmp_gt_f64_e32 vcc_lo, 0, v[216:217]
	v_cmp_gt_f64_e64 s0, 0, v[214:215]
	ds_read2_b64 v[229:232], v223 offset1:1
	v_xor_b32_e32 v234, 0x80000000, v215
	v_xor_b32_e32 v236, 0x80000000, v217
	v_mov_b32_e32 v233, v214
	v_mov_b32_e32 v235, v216
	v_add_nc_u32_e32 v223, 16, v223
	s_waitcnt lgkmcnt(0)
	v_xor_b32_e32 v238, 0x80000000, v232
	v_cndmask_b32_e64 v234, v215, v234, s0
	v_cndmask_b32_e32 v236, v217, v236, vcc_lo
	v_cmp_gt_f64_e32 vcc_lo, 0, v[231:232]
	v_cmp_gt_f64_e64 s0, 0, v[229:230]
	v_mov_b32_e32 v237, v231
	v_add_f64 v[233:234], v[233:234], v[235:236]
	v_xor_b32_e32 v236, 0x80000000, v230
	v_mov_b32_e32 v235, v229
	v_cndmask_b32_e32 v238, v232, v238, vcc_lo
	v_cndmask_b32_e64 v236, v230, v236, s0
	v_add_f64 v[235:236], v[235:236], v[237:238]
	v_cmp_lt_f64_e32 vcc_lo, v[233:234], v[235:236]
	v_cndmask_b32_e32 v215, v215, v230, vcc_lo
	v_cndmask_b32_e32 v214, v214, v229, vcc_lo
	;; [unrolled: 1-line block ×4, first 2 shown]
	v_cndmask_b32_e64 v222, v222, s1, vcc_lo
	s_add_i32 s1, s1, 1
	s_cmp_lg_u32 s8, s1
	s_cbranch_scc1 .LBB104_379
.LBB104_380:
	s_inst_prefetch 0x2
	s_waitcnt lgkmcnt(0)
	v_cmp_eq_f64_e32 vcc_lo, 0, v[214:215]
	v_cmp_eq_f64_e64 s0, 0, v[216:217]
	s_and_b32 s0, vcc_lo, s0
	s_and_saveexec_b32 s1, s0
	s_xor_b32 s0, exec_lo, s1
; %bb.381:
	v_cmp_ne_u32_e32 vcc_lo, 0, v227
	v_cndmask_b32_e32 v227, 19, v227, vcc_lo
; %bb.382:
	s_andn2_saveexec_b32 s0, s0
	s_cbranch_execz .LBB104_388
; %bb.383:
	v_cmp_ngt_f64_e64 s1, |v[214:215]|, |v[216:217]|
	s_and_saveexec_b32 s7, s1
	s_xor_b32 s1, exec_lo, s7
	s_cbranch_execz .LBB104_385
; %bb.384:
	v_div_scale_f64 v[229:230], null, v[216:217], v[216:217], v[214:215]
	v_div_scale_f64 v[235:236], vcc_lo, v[214:215], v[216:217], v[214:215]
	v_rcp_f64_e32 v[231:232], v[229:230]
	v_fma_f64 v[233:234], -v[229:230], v[231:232], 1.0
	v_fma_f64 v[231:232], v[231:232], v[233:234], v[231:232]
	v_fma_f64 v[233:234], -v[229:230], v[231:232], 1.0
	v_fma_f64 v[231:232], v[231:232], v[233:234], v[231:232]
	v_mul_f64 v[233:234], v[235:236], v[231:232]
	v_fma_f64 v[229:230], -v[229:230], v[233:234], v[235:236]
	v_div_fmas_f64 v[229:230], v[229:230], v[231:232], v[233:234]
	v_div_fixup_f64 v[229:230], v[229:230], v[216:217], v[214:215]
	v_fma_f64 v[214:215], v[214:215], v[229:230], v[216:217]
	v_div_scale_f64 v[216:217], null, v[214:215], v[214:215], 1.0
	v_rcp_f64_e32 v[231:232], v[216:217]
	v_fma_f64 v[233:234], -v[216:217], v[231:232], 1.0
	v_fma_f64 v[231:232], v[231:232], v[233:234], v[231:232]
	v_fma_f64 v[233:234], -v[216:217], v[231:232], 1.0
	v_fma_f64 v[231:232], v[231:232], v[233:234], v[231:232]
	v_div_scale_f64 v[233:234], vcc_lo, 1.0, v[214:215], 1.0
	v_mul_f64 v[235:236], v[233:234], v[231:232]
	v_fma_f64 v[216:217], -v[216:217], v[235:236], v[233:234]
	v_div_fmas_f64 v[216:217], v[216:217], v[231:232], v[235:236]
	v_div_fixup_f64 v[216:217], v[216:217], v[214:215], 1.0
	v_mul_f64 v[214:215], v[229:230], v[216:217]
	v_xor_b32_e32 v217, 0x80000000, v217
.LBB104_385:
	s_andn2_saveexec_b32 s1, s1
	s_cbranch_execz .LBB104_387
; %bb.386:
	v_div_scale_f64 v[229:230], null, v[214:215], v[214:215], v[216:217]
	v_div_scale_f64 v[235:236], vcc_lo, v[216:217], v[214:215], v[216:217]
	v_rcp_f64_e32 v[231:232], v[229:230]
	v_fma_f64 v[233:234], -v[229:230], v[231:232], 1.0
	v_fma_f64 v[231:232], v[231:232], v[233:234], v[231:232]
	v_fma_f64 v[233:234], -v[229:230], v[231:232], 1.0
	v_fma_f64 v[231:232], v[231:232], v[233:234], v[231:232]
	v_mul_f64 v[233:234], v[235:236], v[231:232]
	v_fma_f64 v[229:230], -v[229:230], v[233:234], v[235:236]
	v_div_fmas_f64 v[229:230], v[229:230], v[231:232], v[233:234]
	v_div_fixup_f64 v[229:230], v[229:230], v[214:215], v[216:217]
	v_fma_f64 v[214:215], v[216:217], v[229:230], v[214:215]
	v_div_scale_f64 v[216:217], null, v[214:215], v[214:215], 1.0
	v_rcp_f64_e32 v[231:232], v[216:217]
	v_fma_f64 v[233:234], -v[216:217], v[231:232], 1.0
	v_fma_f64 v[231:232], v[231:232], v[233:234], v[231:232]
	v_fma_f64 v[233:234], -v[216:217], v[231:232], 1.0
	v_fma_f64 v[231:232], v[231:232], v[233:234], v[231:232]
	v_div_scale_f64 v[233:234], vcc_lo, 1.0, v[214:215], 1.0
	v_mul_f64 v[235:236], v[233:234], v[231:232]
	v_fma_f64 v[216:217], -v[216:217], v[235:236], v[233:234]
	v_div_fmas_f64 v[216:217], v[216:217], v[231:232], v[235:236]
	v_div_fixup_f64 v[214:215], v[216:217], v[214:215], 1.0
	v_mul_f64 v[216:217], v[229:230], -v[214:215]
.LBB104_387:
	s_or_b32 exec_lo, exec_lo, s1
.LBB104_388:
	s_or_b32 exec_lo, exec_lo, s0
	s_mov_b32 s0, exec_lo
	v_cmpx_ne_u32_e64 v228, v222
	s_xor_b32 s0, exec_lo, s0
	s_cbranch_execz .LBB104_394
; %bb.389:
	s_mov_b32 s1, exec_lo
	v_cmpx_eq_u32_e32 18, v228
	s_cbranch_execz .LBB104_393
; %bb.390:
	v_cmp_ne_u32_e32 vcc_lo, 18, v222
	s_xor_b32 s7, s16, -1
	s_and_b32 s9, s7, vcc_lo
	s_and_saveexec_b32 s7, s9
	s_cbranch_execz .LBB104_392
; %bb.391:
	v_ashrrev_i32_e32 v223, 31, v222
	v_lshlrev_b64 v[228:229], 2, v[222:223]
	v_add_co_u32 v228, vcc_lo, v220, v228
	v_add_co_ci_u32_e64 v229, null, v221, v229, vcc_lo
	s_clause 0x1
	global_load_dword v0, v[228:229], off
	global_load_dword v223, v[220:221], off offset:72
	s_waitcnt vmcnt(1)
	global_store_dword v[220:221], v0, off offset:72
	s_waitcnt vmcnt(0)
	global_store_dword v[228:229], v223, off
.LBB104_392:
	s_or_b32 exec_lo, exec_lo, s7
	v_mov_b32_e32 v228, v222
	v_mov_b32_e32 v0, v222
.LBB104_393:
	s_or_b32 exec_lo, exec_lo, s1
.LBB104_394:
	s_andn2_saveexec_b32 s0, s0
	s_cbranch_execz .LBB104_396
; %bb.395:
	v_mov_b32_e32 v228, 18
	ds_write2_b64 v1, v[134:135], v[136:137] offset0:38 offset1:39
	ds_write2_b64 v1, v[130:131], v[132:133] offset0:40 offset1:41
	ds_write2_b64 v1, v[126:127], v[128:129] offset0:42 offset1:43
	ds_write2_b64 v1, v[122:123], v[124:125] offset0:44 offset1:45
	ds_write2_b64 v1, v[118:119], v[120:121] offset0:46 offset1:47
	ds_write2_b64 v1, v[114:115], v[116:117] offset0:48 offset1:49
	ds_write2_b64 v1, v[110:111], v[112:113] offset0:50 offset1:51
	ds_write2_b64 v1, v[106:107], v[108:109] offset0:52 offset1:53
	ds_write2_b64 v1, v[102:103], v[104:105] offset0:54 offset1:55
	ds_write2_b64 v1, v[98:99], v[100:101] offset0:56 offset1:57
	ds_write2_b64 v1, v[94:95], v[96:97] offset0:58 offset1:59
	ds_write2_b64 v1, v[90:91], v[92:93] offset0:60 offset1:61
	ds_write2_b64 v1, v[86:87], v[88:89] offset0:62 offset1:63
	ds_write2_b64 v1, v[82:83], v[84:85] offset0:64 offset1:65
	ds_write2_b64 v1, v[78:79], v[80:81] offset0:66 offset1:67
	ds_write2_b64 v1, v[74:75], v[76:77] offset0:68 offset1:69
	ds_write2_b64 v1, v[70:71], v[72:73] offset0:70 offset1:71
	ds_write2_b64 v1, v[66:67], v[68:69] offset0:72 offset1:73
	ds_write2_b64 v1, v[62:63], v[64:65] offset0:74 offset1:75
	ds_write2_b64 v1, v[58:59], v[60:61] offset0:76 offset1:77
	ds_write2_b64 v1, v[54:55], v[56:57] offset0:78 offset1:79
	ds_write2_b64 v1, v[50:51], v[52:53] offset0:80 offset1:81
	ds_write2_b64 v1, v[46:47], v[48:49] offset0:82 offset1:83
	ds_write2_b64 v1, v[42:43], v[44:45] offset0:84 offset1:85
	ds_write2_b64 v1, v[38:39], v[40:41] offset0:86 offset1:87
	ds_write2_b64 v1, v[34:35], v[36:37] offset0:88 offset1:89
	ds_write2_b64 v1, v[30:31], v[32:33] offset0:90 offset1:91
	ds_write2_b64 v1, v[26:27], v[28:29] offset0:92 offset1:93
	ds_write2_b64 v1, v[22:23], v[24:25] offset0:94 offset1:95
	ds_write2_b64 v1, v[18:19], v[20:21] offset0:96 offset1:97
	ds_write2_b64 v1, v[14:15], v[16:17] offset0:98 offset1:99
	ds_write2_b64 v1, v[10:11], v[12:13] offset0:100 offset1:101
	ds_write2_b64 v1, v[6:7], v[8:9] offset0:102 offset1:103
	ds_write2_b64 v1, v[2:3], v[4:5] offset0:104 offset1:105
.LBB104_396:
	s_or_b32 exec_lo, exec_lo, s0
	s_mov_b32 s0, exec_lo
	s_waitcnt lgkmcnt(0)
	s_waitcnt_vscnt null, 0x0
	s_barrier
	buffer_gl0_inv
	v_cmpx_lt_i32_e32 18, v228
	s_cbranch_execz .LBB104_398
; %bb.397:
	v_mul_f64 v[222:223], v[216:217], v[140:141]
	v_mul_f64 v[140:141], v[214:215], v[140:141]
	v_fma_f64 v[222:223], v[214:215], v[138:139], -v[222:223]
	v_fma_f64 v[140:141], v[216:217], v[138:139], v[140:141]
	ds_read2_b64 v[214:217], v1 offset0:38 offset1:39
	s_waitcnt lgkmcnt(0)
	v_mul_f64 v[138:139], v[216:217], v[140:141]
	v_fma_f64 v[138:139], v[214:215], v[222:223], -v[138:139]
	v_mul_f64 v[214:215], v[214:215], v[140:141]
	v_add_f64 v[134:135], v[134:135], -v[138:139]
	v_fma_f64 v[214:215], v[216:217], v[222:223], v[214:215]
	v_add_f64 v[136:137], v[136:137], -v[214:215]
	ds_read2_b64 v[214:217], v1 offset0:40 offset1:41
	s_waitcnt lgkmcnt(0)
	v_mul_f64 v[138:139], v[216:217], v[140:141]
	v_fma_f64 v[138:139], v[214:215], v[222:223], -v[138:139]
	v_mul_f64 v[214:215], v[214:215], v[140:141]
	v_add_f64 v[130:131], v[130:131], -v[138:139]
	v_fma_f64 v[214:215], v[216:217], v[222:223], v[214:215]
	v_add_f64 v[132:133], v[132:133], -v[214:215]
	;; [unrolled: 8-line block ×33, first 2 shown]
	ds_read2_b64 v[214:217], v1 offset0:104 offset1:105
	s_waitcnt lgkmcnt(0)
	v_mul_f64 v[138:139], v[216:217], v[140:141]
	v_fma_f64 v[138:139], v[214:215], v[222:223], -v[138:139]
	v_mul_f64 v[214:215], v[214:215], v[140:141]
	v_add_f64 v[2:3], v[2:3], -v[138:139]
	v_fma_f64 v[214:215], v[216:217], v[222:223], v[214:215]
	v_mov_b32_e32 v138, v222
	v_mov_b32_e32 v139, v223
	v_add_f64 v[4:5], v[4:5], -v[214:215]
.LBB104_398:
	s_or_b32 exec_lo, exec_lo, s0
	v_lshl_add_u32 v214, v228, 4, v1
	s_barrier
	buffer_gl0_inv
	v_mov_b32_e32 v222, 19
	ds_write2_b64 v214, v[134:135], v[136:137] offset1:1
	s_waitcnt lgkmcnt(0)
	s_barrier
	buffer_gl0_inv
	ds_read2_b64 v[214:217], v1 offset0:38 offset1:39
	s_cmp_lt_i32 s8, 21
	s_cbranch_scc1 .LBB104_401
; %bb.399:
	v_add3_u32 v223, v224, 0, 0x140
	v_mov_b32_e32 v222, 19
	s_mov_b32 s1, 20
	s_inst_prefetch 0x1
	.p2align	6
.LBB104_400:                            ; =>This Inner Loop Header: Depth=1
	s_waitcnt lgkmcnt(0)
	v_cmp_gt_f64_e32 vcc_lo, 0, v[216:217]
	v_cmp_gt_f64_e64 s0, 0, v[214:215]
	ds_read2_b64 v[229:232], v223 offset1:1
	v_xor_b32_e32 v234, 0x80000000, v215
	v_xor_b32_e32 v236, 0x80000000, v217
	v_mov_b32_e32 v233, v214
	v_mov_b32_e32 v235, v216
	v_add_nc_u32_e32 v223, 16, v223
	s_waitcnt lgkmcnt(0)
	v_xor_b32_e32 v238, 0x80000000, v232
	v_cndmask_b32_e64 v234, v215, v234, s0
	v_cndmask_b32_e32 v236, v217, v236, vcc_lo
	v_cmp_gt_f64_e32 vcc_lo, 0, v[231:232]
	v_cmp_gt_f64_e64 s0, 0, v[229:230]
	v_mov_b32_e32 v237, v231
	v_add_f64 v[233:234], v[233:234], v[235:236]
	v_xor_b32_e32 v236, 0x80000000, v230
	v_mov_b32_e32 v235, v229
	v_cndmask_b32_e32 v238, v232, v238, vcc_lo
	v_cndmask_b32_e64 v236, v230, v236, s0
	v_add_f64 v[235:236], v[235:236], v[237:238]
	v_cmp_lt_f64_e32 vcc_lo, v[233:234], v[235:236]
	v_cndmask_b32_e32 v215, v215, v230, vcc_lo
	v_cndmask_b32_e32 v214, v214, v229, vcc_lo
	;; [unrolled: 1-line block ×4, first 2 shown]
	v_cndmask_b32_e64 v222, v222, s1, vcc_lo
	s_add_i32 s1, s1, 1
	s_cmp_lg_u32 s8, s1
	s_cbranch_scc1 .LBB104_400
.LBB104_401:
	s_inst_prefetch 0x2
	s_waitcnt lgkmcnt(0)
	v_cmp_eq_f64_e32 vcc_lo, 0, v[214:215]
	v_cmp_eq_f64_e64 s0, 0, v[216:217]
	s_and_b32 s0, vcc_lo, s0
	s_and_saveexec_b32 s1, s0
	s_xor_b32 s0, exec_lo, s1
; %bb.402:
	v_cmp_ne_u32_e32 vcc_lo, 0, v227
	v_cndmask_b32_e32 v227, 20, v227, vcc_lo
; %bb.403:
	s_andn2_saveexec_b32 s0, s0
	s_cbranch_execz .LBB104_409
; %bb.404:
	v_cmp_ngt_f64_e64 s1, |v[214:215]|, |v[216:217]|
	s_and_saveexec_b32 s7, s1
	s_xor_b32 s1, exec_lo, s7
	s_cbranch_execz .LBB104_406
; %bb.405:
	v_div_scale_f64 v[229:230], null, v[216:217], v[216:217], v[214:215]
	v_div_scale_f64 v[235:236], vcc_lo, v[214:215], v[216:217], v[214:215]
	v_rcp_f64_e32 v[231:232], v[229:230]
	v_fma_f64 v[233:234], -v[229:230], v[231:232], 1.0
	v_fma_f64 v[231:232], v[231:232], v[233:234], v[231:232]
	v_fma_f64 v[233:234], -v[229:230], v[231:232], 1.0
	v_fma_f64 v[231:232], v[231:232], v[233:234], v[231:232]
	v_mul_f64 v[233:234], v[235:236], v[231:232]
	v_fma_f64 v[229:230], -v[229:230], v[233:234], v[235:236]
	v_div_fmas_f64 v[229:230], v[229:230], v[231:232], v[233:234]
	v_div_fixup_f64 v[229:230], v[229:230], v[216:217], v[214:215]
	v_fma_f64 v[214:215], v[214:215], v[229:230], v[216:217]
	v_div_scale_f64 v[216:217], null, v[214:215], v[214:215], 1.0
	v_rcp_f64_e32 v[231:232], v[216:217]
	v_fma_f64 v[233:234], -v[216:217], v[231:232], 1.0
	v_fma_f64 v[231:232], v[231:232], v[233:234], v[231:232]
	v_fma_f64 v[233:234], -v[216:217], v[231:232], 1.0
	v_fma_f64 v[231:232], v[231:232], v[233:234], v[231:232]
	v_div_scale_f64 v[233:234], vcc_lo, 1.0, v[214:215], 1.0
	v_mul_f64 v[235:236], v[233:234], v[231:232]
	v_fma_f64 v[216:217], -v[216:217], v[235:236], v[233:234]
	v_div_fmas_f64 v[216:217], v[216:217], v[231:232], v[235:236]
	v_div_fixup_f64 v[216:217], v[216:217], v[214:215], 1.0
	v_mul_f64 v[214:215], v[229:230], v[216:217]
	v_xor_b32_e32 v217, 0x80000000, v217
.LBB104_406:
	s_andn2_saveexec_b32 s1, s1
	s_cbranch_execz .LBB104_408
; %bb.407:
	v_div_scale_f64 v[229:230], null, v[214:215], v[214:215], v[216:217]
	v_div_scale_f64 v[235:236], vcc_lo, v[216:217], v[214:215], v[216:217]
	v_rcp_f64_e32 v[231:232], v[229:230]
	v_fma_f64 v[233:234], -v[229:230], v[231:232], 1.0
	v_fma_f64 v[231:232], v[231:232], v[233:234], v[231:232]
	v_fma_f64 v[233:234], -v[229:230], v[231:232], 1.0
	v_fma_f64 v[231:232], v[231:232], v[233:234], v[231:232]
	v_mul_f64 v[233:234], v[235:236], v[231:232]
	v_fma_f64 v[229:230], -v[229:230], v[233:234], v[235:236]
	v_div_fmas_f64 v[229:230], v[229:230], v[231:232], v[233:234]
	v_div_fixup_f64 v[229:230], v[229:230], v[214:215], v[216:217]
	v_fma_f64 v[214:215], v[216:217], v[229:230], v[214:215]
	v_div_scale_f64 v[216:217], null, v[214:215], v[214:215], 1.0
	v_rcp_f64_e32 v[231:232], v[216:217]
	v_fma_f64 v[233:234], -v[216:217], v[231:232], 1.0
	v_fma_f64 v[231:232], v[231:232], v[233:234], v[231:232]
	v_fma_f64 v[233:234], -v[216:217], v[231:232], 1.0
	v_fma_f64 v[231:232], v[231:232], v[233:234], v[231:232]
	v_div_scale_f64 v[233:234], vcc_lo, 1.0, v[214:215], 1.0
	v_mul_f64 v[235:236], v[233:234], v[231:232]
	v_fma_f64 v[216:217], -v[216:217], v[235:236], v[233:234]
	v_div_fmas_f64 v[216:217], v[216:217], v[231:232], v[235:236]
	v_div_fixup_f64 v[214:215], v[216:217], v[214:215], 1.0
	v_mul_f64 v[216:217], v[229:230], -v[214:215]
.LBB104_408:
	s_or_b32 exec_lo, exec_lo, s1
.LBB104_409:
	s_or_b32 exec_lo, exec_lo, s0
	s_mov_b32 s0, exec_lo
	v_cmpx_ne_u32_e64 v228, v222
	s_xor_b32 s0, exec_lo, s0
	s_cbranch_execz .LBB104_415
; %bb.410:
	s_mov_b32 s1, exec_lo
	v_cmpx_eq_u32_e32 19, v228
	s_cbranch_execz .LBB104_414
; %bb.411:
	v_cmp_ne_u32_e32 vcc_lo, 19, v222
	s_xor_b32 s7, s16, -1
	s_and_b32 s9, s7, vcc_lo
	s_and_saveexec_b32 s7, s9
	s_cbranch_execz .LBB104_413
; %bb.412:
	v_ashrrev_i32_e32 v223, 31, v222
	v_lshlrev_b64 v[228:229], 2, v[222:223]
	v_add_co_u32 v228, vcc_lo, v220, v228
	v_add_co_ci_u32_e64 v229, null, v221, v229, vcc_lo
	s_clause 0x1
	global_load_dword v0, v[228:229], off
	global_load_dword v223, v[220:221], off offset:76
	s_waitcnt vmcnt(1)
	global_store_dword v[220:221], v0, off offset:76
	s_waitcnt vmcnt(0)
	global_store_dword v[228:229], v223, off
.LBB104_413:
	s_or_b32 exec_lo, exec_lo, s7
	v_mov_b32_e32 v228, v222
	v_mov_b32_e32 v0, v222
.LBB104_414:
	s_or_b32 exec_lo, exec_lo, s1
.LBB104_415:
	s_andn2_saveexec_b32 s0, s0
	s_cbranch_execz .LBB104_417
; %bb.416:
	v_mov_b32_e32 v228, 19
	ds_write2_b64 v1, v[130:131], v[132:133] offset0:40 offset1:41
	ds_write2_b64 v1, v[126:127], v[128:129] offset0:42 offset1:43
	;; [unrolled: 1-line block ×33, first 2 shown]
.LBB104_417:
	s_or_b32 exec_lo, exec_lo, s0
	s_mov_b32 s0, exec_lo
	s_waitcnt lgkmcnt(0)
	s_waitcnt_vscnt null, 0x0
	s_barrier
	buffer_gl0_inv
	v_cmpx_lt_i32_e32 19, v228
	s_cbranch_execz .LBB104_419
; %bb.418:
	v_mul_f64 v[222:223], v[216:217], v[136:137]
	v_mul_f64 v[136:137], v[214:215], v[136:137]
	v_fma_f64 v[222:223], v[214:215], v[134:135], -v[222:223]
	v_fma_f64 v[136:137], v[216:217], v[134:135], v[136:137]
	ds_read2_b64 v[214:217], v1 offset0:40 offset1:41
	s_waitcnt lgkmcnt(0)
	v_mul_f64 v[134:135], v[216:217], v[136:137]
	v_fma_f64 v[134:135], v[214:215], v[222:223], -v[134:135]
	v_mul_f64 v[214:215], v[214:215], v[136:137]
	v_add_f64 v[130:131], v[130:131], -v[134:135]
	v_fma_f64 v[214:215], v[216:217], v[222:223], v[214:215]
	v_add_f64 v[132:133], v[132:133], -v[214:215]
	ds_read2_b64 v[214:217], v1 offset0:42 offset1:43
	s_waitcnt lgkmcnt(0)
	v_mul_f64 v[134:135], v[216:217], v[136:137]
	v_fma_f64 v[134:135], v[214:215], v[222:223], -v[134:135]
	v_mul_f64 v[214:215], v[214:215], v[136:137]
	v_add_f64 v[126:127], v[126:127], -v[134:135]
	v_fma_f64 v[214:215], v[216:217], v[222:223], v[214:215]
	v_add_f64 v[128:129], v[128:129], -v[214:215]
	;; [unrolled: 8-line block ×32, first 2 shown]
	ds_read2_b64 v[214:217], v1 offset0:104 offset1:105
	s_waitcnt lgkmcnt(0)
	v_mul_f64 v[134:135], v[216:217], v[136:137]
	v_fma_f64 v[134:135], v[214:215], v[222:223], -v[134:135]
	v_mul_f64 v[214:215], v[214:215], v[136:137]
	v_add_f64 v[2:3], v[2:3], -v[134:135]
	v_fma_f64 v[214:215], v[216:217], v[222:223], v[214:215]
	v_mov_b32_e32 v134, v222
	v_mov_b32_e32 v135, v223
	v_add_f64 v[4:5], v[4:5], -v[214:215]
.LBB104_419:
	s_or_b32 exec_lo, exec_lo, s0
	v_lshl_add_u32 v214, v228, 4, v1
	s_barrier
	buffer_gl0_inv
	v_mov_b32_e32 v222, 20
	ds_write2_b64 v214, v[130:131], v[132:133] offset1:1
	s_waitcnt lgkmcnt(0)
	s_barrier
	buffer_gl0_inv
	ds_read2_b64 v[214:217], v1 offset0:40 offset1:41
	s_cmp_lt_i32 s8, 22
	s_cbranch_scc1 .LBB104_422
; %bb.420:
	v_add3_u32 v223, v224, 0, 0x150
	v_mov_b32_e32 v222, 20
	s_mov_b32 s1, 21
	s_inst_prefetch 0x1
	.p2align	6
.LBB104_421:                            ; =>This Inner Loop Header: Depth=1
	s_waitcnt lgkmcnt(0)
	v_cmp_gt_f64_e32 vcc_lo, 0, v[216:217]
	v_cmp_gt_f64_e64 s0, 0, v[214:215]
	ds_read2_b64 v[229:232], v223 offset1:1
	v_xor_b32_e32 v234, 0x80000000, v215
	v_xor_b32_e32 v236, 0x80000000, v217
	v_mov_b32_e32 v233, v214
	v_mov_b32_e32 v235, v216
	v_add_nc_u32_e32 v223, 16, v223
	s_waitcnt lgkmcnt(0)
	v_xor_b32_e32 v238, 0x80000000, v232
	v_cndmask_b32_e64 v234, v215, v234, s0
	v_cndmask_b32_e32 v236, v217, v236, vcc_lo
	v_cmp_gt_f64_e32 vcc_lo, 0, v[231:232]
	v_cmp_gt_f64_e64 s0, 0, v[229:230]
	v_mov_b32_e32 v237, v231
	v_add_f64 v[233:234], v[233:234], v[235:236]
	v_xor_b32_e32 v236, 0x80000000, v230
	v_mov_b32_e32 v235, v229
	v_cndmask_b32_e32 v238, v232, v238, vcc_lo
	v_cndmask_b32_e64 v236, v230, v236, s0
	v_add_f64 v[235:236], v[235:236], v[237:238]
	v_cmp_lt_f64_e32 vcc_lo, v[233:234], v[235:236]
	v_cndmask_b32_e32 v215, v215, v230, vcc_lo
	v_cndmask_b32_e32 v214, v214, v229, vcc_lo
	;; [unrolled: 1-line block ×4, first 2 shown]
	v_cndmask_b32_e64 v222, v222, s1, vcc_lo
	s_add_i32 s1, s1, 1
	s_cmp_lg_u32 s8, s1
	s_cbranch_scc1 .LBB104_421
.LBB104_422:
	s_inst_prefetch 0x2
	s_waitcnt lgkmcnt(0)
	v_cmp_eq_f64_e32 vcc_lo, 0, v[214:215]
	v_cmp_eq_f64_e64 s0, 0, v[216:217]
	s_and_b32 s0, vcc_lo, s0
	s_and_saveexec_b32 s1, s0
	s_xor_b32 s0, exec_lo, s1
; %bb.423:
	v_cmp_ne_u32_e32 vcc_lo, 0, v227
	v_cndmask_b32_e32 v227, 21, v227, vcc_lo
; %bb.424:
	s_andn2_saveexec_b32 s0, s0
	s_cbranch_execz .LBB104_430
; %bb.425:
	v_cmp_ngt_f64_e64 s1, |v[214:215]|, |v[216:217]|
	s_and_saveexec_b32 s7, s1
	s_xor_b32 s1, exec_lo, s7
	s_cbranch_execz .LBB104_427
; %bb.426:
	v_div_scale_f64 v[229:230], null, v[216:217], v[216:217], v[214:215]
	v_div_scale_f64 v[235:236], vcc_lo, v[214:215], v[216:217], v[214:215]
	v_rcp_f64_e32 v[231:232], v[229:230]
	v_fma_f64 v[233:234], -v[229:230], v[231:232], 1.0
	v_fma_f64 v[231:232], v[231:232], v[233:234], v[231:232]
	v_fma_f64 v[233:234], -v[229:230], v[231:232], 1.0
	v_fma_f64 v[231:232], v[231:232], v[233:234], v[231:232]
	v_mul_f64 v[233:234], v[235:236], v[231:232]
	v_fma_f64 v[229:230], -v[229:230], v[233:234], v[235:236]
	v_div_fmas_f64 v[229:230], v[229:230], v[231:232], v[233:234]
	v_div_fixup_f64 v[229:230], v[229:230], v[216:217], v[214:215]
	v_fma_f64 v[214:215], v[214:215], v[229:230], v[216:217]
	v_div_scale_f64 v[216:217], null, v[214:215], v[214:215], 1.0
	v_rcp_f64_e32 v[231:232], v[216:217]
	v_fma_f64 v[233:234], -v[216:217], v[231:232], 1.0
	v_fma_f64 v[231:232], v[231:232], v[233:234], v[231:232]
	v_fma_f64 v[233:234], -v[216:217], v[231:232], 1.0
	v_fma_f64 v[231:232], v[231:232], v[233:234], v[231:232]
	v_div_scale_f64 v[233:234], vcc_lo, 1.0, v[214:215], 1.0
	v_mul_f64 v[235:236], v[233:234], v[231:232]
	v_fma_f64 v[216:217], -v[216:217], v[235:236], v[233:234]
	v_div_fmas_f64 v[216:217], v[216:217], v[231:232], v[235:236]
	v_div_fixup_f64 v[216:217], v[216:217], v[214:215], 1.0
	v_mul_f64 v[214:215], v[229:230], v[216:217]
	v_xor_b32_e32 v217, 0x80000000, v217
.LBB104_427:
	s_andn2_saveexec_b32 s1, s1
	s_cbranch_execz .LBB104_429
; %bb.428:
	v_div_scale_f64 v[229:230], null, v[214:215], v[214:215], v[216:217]
	v_div_scale_f64 v[235:236], vcc_lo, v[216:217], v[214:215], v[216:217]
	v_rcp_f64_e32 v[231:232], v[229:230]
	v_fma_f64 v[233:234], -v[229:230], v[231:232], 1.0
	v_fma_f64 v[231:232], v[231:232], v[233:234], v[231:232]
	v_fma_f64 v[233:234], -v[229:230], v[231:232], 1.0
	v_fma_f64 v[231:232], v[231:232], v[233:234], v[231:232]
	v_mul_f64 v[233:234], v[235:236], v[231:232]
	v_fma_f64 v[229:230], -v[229:230], v[233:234], v[235:236]
	v_div_fmas_f64 v[229:230], v[229:230], v[231:232], v[233:234]
	v_div_fixup_f64 v[229:230], v[229:230], v[214:215], v[216:217]
	v_fma_f64 v[214:215], v[216:217], v[229:230], v[214:215]
	v_div_scale_f64 v[216:217], null, v[214:215], v[214:215], 1.0
	v_rcp_f64_e32 v[231:232], v[216:217]
	v_fma_f64 v[233:234], -v[216:217], v[231:232], 1.0
	v_fma_f64 v[231:232], v[231:232], v[233:234], v[231:232]
	v_fma_f64 v[233:234], -v[216:217], v[231:232], 1.0
	v_fma_f64 v[231:232], v[231:232], v[233:234], v[231:232]
	v_div_scale_f64 v[233:234], vcc_lo, 1.0, v[214:215], 1.0
	v_mul_f64 v[235:236], v[233:234], v[231:232]
	v_fma_f64 v[216:217], -v[216:217], v[235:236], v[233:234]
	v_div_fmas_f64 v[216:217], v[216:217], v[231:232], v[235:236]
	v_div_fixup_f64 v[214:215], v[216:217], v[214:215], 1.0
	v_mul_f64 v[216:217], v[229:230], -v[214:215]
.LBB104_429:
	s_or_b32 exec_lo, exec_lo, s1
.LBB104_430:
	s_or_b32 exec_lo, exec_lo, s0
	s_mov_b32 s0, exec_lo
	v_cmpx_ne_u32_e64 v228, v222
	s_xor_b32 s0, exec_lo, s0
	s_cbranch_execz .LBB104_436
; %bb.431:
	s_mov_b32 s1, exec_lo
	v_cmpx_eq_u32_e32 20, v228
	s_cbranch_execz .LBB104_435
; %bb.432:
	v_cmp_ne_u32_e32 vcc_lo, 20, v222
	s_xor_b32 s7, s16, -1
	s_and_b32 s9, s7, vcc_lo
	s_and_saveexec_b32 s7, s9
	s_cbranch_execz .LBB104_434
; %bb.433:
	v_ashrrev_i32_e32 v223, 31, v222
	v_lshlrev_b64 v[228:229], 2, v[222:223]
	v_add_co_u32 v228, vcc_lo, v220, v228
	v_add_co_ci_u32_e64 v229, null, v221, v229, vcc_lo
	s_clause 0x1
	global_load_dword v0, v[228:229], off
	global_load_dword v223, v[220:221], off offset:80
	s_waitcnt vmcnt(1)
	global_store_dword v[220:221], v0, off offset:80
	s_waitcnt vmcnt(0)
	global_store_dword v[228:229], v223, off
.LBB104_434:
	s_or_b32 exec_lo, exec_lo, s7
	v_mov_b32_e32 v228, v222
	v_mov_b32_e32 v0, v222
.LBB104_435:
	s_or_b32 exec_lo, exec_lo, s1
.LBB104_436:
	s_andn2_saveexec_b32 s0, s0
	s_cbranch_execz .LBB104_438
; %bb.437:
	v_mov_b32_e32 v228, 20
	ds_write2_b64 v1, v[126:127], v[128:129] offset0:42 offset1:43
	ds_write2_b64 v1, v[122:123], v[124:125] offset0:44 offset1:45
	;; [unrolled: 1-line block ×32, first 2 shown]
.LBB104_438:
	s_or_b32 exec_lo, exec_lo, s0
	s_mov_b32 s0, exec_lo
	s_waitcnt lgkmcnt(0)
	s_waitcnt_vscnt null, 0x0
	s_barrier
	buffer_gl0_inv
	v_cmpx_lt_i32_e32 20, v228
	s_cbranch_execz .LBB104_440
; %bb.439:
	v_mul_f64 v[222:223], v[216:217], v[132:133]
	v_mul_f64 v[132:133], v[214:215], v[132:133]
	v_fma_f64 v[222:223], v[214:215], v[130:131], -v[222:223]
	v_fma_f64 v[132:133], v[216:217], v[130:131], v[132:133]
	ds_read2_b64 v[214:217], v1 offset0:42 offset1:43
	s_waitcnt lgkmcnt(0)
	v_mul_f64 v[130:131], v[216:217], v[132:133]
	v_fma_f64 v[130:131], v[214:215], v[222:223], -v[130:131]
	v_mul_f64 v[214:215], v[214:215], v[132:133]
	v_add_f64 v[126:127], v[126:127], -v[130:131]
	v_fma_f64 v[214:215], v[216:217], v[222:223], v[214:215]
	v_add_f64 v[128:129], v[128:129], -v[214:215]
	ds_read2_b64 v[214:217], v1 offset0:44 offset1:45
	s_waitcnt lgkmcnt(0)
	v_mul_f64 v[130:131], v[216:217], v[132:133]
	v_fma_f64 v[130:131], v[214:215], v[222:223], -v[130:131]
	v_mul_f64 v[214:215], v[214:215], v[132:133]
	v_add_f64 v[122:123], v[122:123], -v[130:131]
	v_fma_f64 v[214:215], v[216:217], v[222:223], v[214:215]
	v_add_f64 v[124:125], v[124:125], -v[214:215]
	;; [unrolled: 8-line block ×31, first 2 shown]
	ds_read2_b64 v[214:217], v1 offset0:104 offset1:105
	s_waitcnt lgkmcnt(0)
	v_mul_f64 v[130:131], v[216:217], v[132:133]
	v_fma_f64 v[130:131], v[214:215], v[222:223], -v[130:131]
	v_mul_f64 v[214:215], v[214:215], v[132:133]
	v_add_f64 v[2:3], v[2:3], -v[130:131]
	v_fma_f64 v[214:215], v[216:217], v[222:223], v[214:215]
	v_mov_b32_e32 v130, v222
	v_mov_b32_e32 v131, v223
	v_add_f64 v[4:5], v[4:5], -v[214:215]
.LBB104_440:
	s_or_b32 exec_lo, exec_lo, s0
	v_lshl_add_u32 v214, v228, 4, v1
	s_barrier
	buffer_gl0_inv
	v_mov_b32_e32 v222, 21
	ds_write2_b64 v214, v[126:127], v[128:129] offset1:1
	s_waitcnt lgkmcnt(0)
	s_barrier
	buffer_gl0_inv
	ds_read2_b64 v[214:217], v1 offset0:42 offset1:43
	s_cmp_lt_i32 s8, 23
	s_cbranch_scc1 .LBB104_443
; %bb.441:
	v_add3_u32 v223, v224, 0, 0x160
	v_mov_b32_e32 v222, 21
	s_mov_b32 s1, 22
	s_inst_prefetch 0x1
	.p2align	6
.LBB104_442:                            ; =>This Inner Loop Header: Depth=1
	s_waitcnt lgkmcnt(0)
	v_cmp_gt_f64_e32 vcc_lo, 0, v[216:217]
	v_cmp_gt_f64_e64 s0, 0, v[214:215]
	ds_read2_b64 v[229:232], v223 offset1:1
	v_xor_b32_e32 v234, 0x80000000, v215
	v_xor_b32_e32 v236, 0x80000000, v217
	v_mov_b32_e32 v233, v214
	v_mov_b32_e32 v235, v216
	v_add_nc_u32_e32 v223, 16, v223
	s_waitcnt lgkmcnt(0)
	v_xor_b32_e32 v238, 0x80000000, v232
	v_cndmask_b32_e64 v234, v215, v234, s0
	v_cndmask_b32_e32 v236, v217, v236, vcc_lo
	v_cmp_gt_f64_e32 vcc_lo, 0, v[231:232]
	v_cmp_gt_f64_e64 s0, 0, v[229:230]
	v_mov_b32_e32 v237, v231
	v_add_f64 v[233:234], v[233:234], v[235:236]
	v_xor_b32_e32 v236, 0x80000000, v230
	v_mov_b32_e32 v235, v229
	v_cndmask_b32_e32 v238, v232, v238, vcc_lo
	v_cndmask_b32_e64 v236, v230, v236, s0
	v_add_f64 v[235:236], v[235:236], v[237:238]
	v_cmp_lt_f64_e32 vcc_lo, v[233:234], v[235:236]
	v_cndmask_b32_e32 v215, v215, v230, vcc_lo
	v_cndmask_b32_e32 v214, v214, v229, vcc_lo
	;; [unrolled: 1-line block ×4, first 2 shown]
	v_cndmask_b32_e64 v222, v222, s1, vcc_lo
	s_add_i32 s1, s1, 1
	s_cmp_lg_u32 s8, s1
	s_cbranch_scc1 .LBB104_442
.LBB104_443:
	s_inst_prefetch 0x2
	s_waitcnt lgkmcnt(0)
	v_cmp_eq_f64_e32 vcc_lo, 0, v[214:215]
	v_cmp_eq_f64_e64 s0, 0, v[216:217]
	s_and_b32 s0, vcc_lo, s0
	s_and_saveexec_b32 s1, s0
	s_xor_b32 s0, exec_lo, s1
; %bb.444:
	v_cmp_ne_u32_e32 vcc_lo, 0, v227
	v_cndmask_b32_e32 v227, 22, v227, vcc_lo
; %bb.445:
	s_andn2_saveexec_b32 s0, s0
	s_cbranch_execz .LBB104_451
; %bb.446:
	v_cmp_ngt_f64_e64 s1, |v[214:215]|, |v[216:217]|
	s_and_saveexec_b32 s7, s1
	s_xor_b32 s1, exec_lo, s7
	s_cbranch_execz .LBB104_448
; %bb.447:
	v_div_scale_f64 v[229:230], null, v[216:217], v[216:217], v[214:215]
	v_div_scale_f64 v[235:236], vcc_lo, v[214:215], v[216:217], v[214:215]
	v_rcp_f64_e32 v[231:232], v[229:230]
	v_fma_f64 v[233:234], -v[229:230], v[231:232], 1.0
	v_fma_f64 v[231:232], v[231:232], v[233:234], v[231:232]
	v_fma_f64 v[233:234], -v[229:230], v[231:232], 1.0
	v_fma_f64 v[231:232], v[231:232], v[233:234], v[231:232]
	v_mul_f64 v[233:234], v[235:236], v[231:232]
	v_fma_f64 v[229:230], -v[229:230], v[233:234], v[235:236]
	v_div_fmas_f64 v[229:230], v[229:230], v[231:232], v[233:234]
	v_div_fixup_f64 v[229:230], v[229:230], v[216:217], v[214:215]
	v_fma_f64 v[214:215], v[214:215], v[229:230], v[216:217]
	v_div_scale_f64 v[216:217], null, v[214:215], v[214:215], 1.0
	v_rcp_f64_e32 v[231:232], v[216:217]
	v_fma_f64 v[233:234], -v[216:217], v[231:232], 1.0
	v_fma_f64 v[231:232], v[231:232], v[233:234], v[231:232]
	v_fma_f64 v[233:234], -v[216:217], v[231:232], 1.0
	v_fma_f64 v[231:232], v[231:232], v[233:234], v[231:232]
	v_div_scale_f64 v[233:234], vcc_lo, 1.0, v[214:215], 1.0
	v_mul_f64 v[235:236], v[233:234], v[231:232]
	v_fma_f64 v[216:217], -v[216:217], v[235:236], v[233:234]
	v_div_fmas_f64 v[216:217], v[216:217], v[231:232], v[235:236]
	v_div_fixup_f64 v[216:217], v[216:217], v[214:215], 1.0
	v_mul_f64 v[214:215], v[229:230], v[216:217]
	v_xor_b32_e32 v217, 0x80000000, v217
.LBB104_448:
	s_andn2_saveexec_b32 s1, s1
	s_cbranch_execz .LBB104_450
; %bb.449:
	v_div_scale_f64 v[229:230], null, v[214:215], v[214:215], v[216:217]
	v_div_scale_f64 v[235:236], vcc_lo, v[216:217], v[214:215], v[216:217]
	v_rcp_f64_e32 v[231:232], v[229:230]
	v_fma_f64 v[233:234], -v[229:230], v[231:232], 1.0
	v_fma_f64 v[231:232], v[231:232], v[233:234], v[231:232]
	v_fma_f64 v[233:234], -v[229:230], v[231:232], 1.0
	v_fma_f64 v[231:232], v[231:232], v[233:234], v[231:232]
	v_mul_f64 v[233:234], v[235:236], v[231:232]
	v_fma_f64 v[229:230], -v[229:230], v[233:234], v[235:236]
	v_div_fmas_f64 v[229:230], v[229:230], v[231:232], v[233:234]
	v_div_fixup_f64 v[229:230], v[229:230], v[214:215], v[216:217]
	v_fma_f64 v[214:215], v[216:217], v[229:230], v[214:215]
	v_div_scale_f64 v[216:217], null, v[214:215], v[214:215], 1.0
	v_rcp_f64_e32 v[231:232], v[216:217]
	v_fma_f64 v[233:234], -v[216:217], v[231:232], 1.0
	v_fma_f64 v[231:232], v[231:232], v[233:234], v[231:232]
	v_fma_f64 v[233:234], -v[216:217], v[231:232], 1.0
	v_fma_f64 v[231:232], v[231:232], v[233:234], v[231:232]
	v_div_scale_f64 v[233:234], vcc_lo, 1.0, v[214:215], 1.0
	v_mul_f64 v[235:236], v[233:234], v[231:232]
	v_fma_f64 v[216:217], -v[216:217], v[235:236], v[233:234]
	v_div_fmas_f64 v[216:217], v[216:217], v[231:232], v[235:236]
	v_div_fixup_f64 v[214:215], v[216:217], v[214:215], 1.0
	v_mul_f64 v[216:217], v[229:230], -v[214:215]
.LBB104_450:
	s_or_b32 exec_lo, exec_lo, s1
.LBB104_451:
	s_or_b32 exec_lo, exec_lo, s0
	s_mov_b32 s0, exec_lo
	v_cmpx_ne_u32_e64 v228, v222
	s_xor_b32 s0, exec_lo, s0
	s_cbranch_execz .LBB104_457
; %bb.452:
	s_mov_b32 s1, exec_lo
	v_cmpx_eq_u32_e32 21, v228
	s_cbranch_execz .LBB104_456
; %bb.453:
	v_cmp_ne_u32_e32 vcc_lo, 21, v222
	s_xor_b32 s7, s16, -1
	s_and_b32 s9, s7, vcc_lo
	s_and_saveexec_b32 s7, s9
	s_cbranch_execz .LBB104_455
; %bb.454:
	v_ashrrev_i32_e32 v223, 31, v222
	v_lshlrev_b64 v[228:229], 2, v[222:223]
	v_add_co_u32 v228, vcc_lo, v220, v228
	v_add_co_ci_u32_e64 v229, null, v221, v229, vcc_lo
	s_clause 0x1
	global_load_dword v0, v[228:229], off
	global_load_dword v223, v[220:221], off offset:84
	s_waitcnt vmcnt(1)
	global_store_dword v[220:221], v0, off offset:84
	s_waitcnt vmcnt(0)
	global_store_dword v[228:229], v223, off
.LBB104_455:
	s_or_b32 exec_lo, exec_lo, s7
	v_mov_b32_e32 v228, v222
	v_mov_b32_e32 v0, v222
.LBB104_456:
	s_or_b32 exec_lo, exec_lo, s1
.LBB104_457:
	s_andn2_saveexec_b32 s0, s0
	s_cbranch_execz .LBB104_459
; %bb.458:
	v_mov_b32_e32 v228, 21
	ds_write2_b64 v1, v[122:123], v[124:125] offset0:44 offset1:45
	ds_write2_b64 v1, v[118:119], v[120:121] offset0:46 offset1:47
	;; [unrolled: 1-line block ×31, first 2 shown]
.LBB104_459:
	s_or_b32 exec_lo, exec_lo, s0
	s_mov_b32 s0, exec_lo
	s_waitcnt lgkmcnt(0)
	s_waitcnt_vscnt null, 0x0
	s_barrier
	buffer_gl0_inv
	v_cmpx_lt_i32_e32 21, v228
	s_cbranch_execz .LBB104_461
; %bb.460:
	v_mul_f64 v[222:223], v[216:217], v[128:129]
	v_mul_f64 v[128:129], v[214:215], v[128:129]
	v_fma_f64 v[222:223], v[214:215], v[126:127], -v[222:223]
	v_fma_f64 v[128:129], v[216:217], v[126:127], v[128:129]
	ds_read2_b64 v[214:217], v1 offset0:44 offset1:45
	s_waitcnt lgkmcnt(0)
	v_mul_f64 v[126:127], v[216:217], v[128:129]
	v_fma_f64 v[126:127], v[214:215], v[222:223], -v[126:127]
	v_mul_f64 v[214:215], v[214:215], v[128:129]
	v_add_f64 v[122:123], v[122:123], -v[126:127]
	v_fma_f64 v[214:215], v[216:217], v[222:223], v[214:215]
	v_add_f64 v[124:125], v[124:125], -v[214:215]
	ds_read2_b64 v[214:217], v1 offset0:46 offset1:47
	s_waitcnt lgkmcnt(0)
	v_mul_f64 v[126:127], v[216:217], v[128:129]
	v_fma_f64 v[126:127], v[214:215], v[222:223], -v[126:127]
	v_mul_f64 v[214:215], v[214:215], v[128:129]
	v_add_f64 v[118:119], v[118:119], -v[126:127]
	v_fma_f64 v[214:215], v[216:217], v[222:223], v[214:215]
	v_add_f64 v[120:121], v[120:121], -v[214:215]
	;; [unrolled: 8-line block ×30, first 2 shown]
	ds_read2_b64 v[214:217], v1 offset0:104 offset1:105
	s_waitcnt lgkmcnt(0)
	v_mul_f64 v[126:127], v[216:217], v[128:129]
	v_fma_f64 v[126:127], v[214:215], v[222:223], -v[126:127]
	v_mul_f64 v[214:215], v[214:215], v[128:129]
	v_add_f64 v[2:3], v[2:3], -v[126:127]
	v_fma_f64 v[214:215], v[216:217], v[222:223], v[214:215]
	v_mov_b32_e32 v126, v222
	v_mov_b32_e32 v127, v223
	v_add_f64 v[4:5], v[4:5], -v[214:215]
.LBB104_461:
	s_or_b32 exec_lo, exec_lo, s0
	v_lshl_add_u32 v214, v228, 4, v1
	s_barrier
	buffer_gl0_inv
	v_mov_b32_e32 v222, 22
	ds_write2_b64 v214, v[122:123], v[124:125] offset1:1
	s_waitcnt lgkmcnt(0)
	s_barrier
	buffer_gl0_inv
	ds_read2_b64 v[214:217], v1 offset0:44 offset1:45
	s_cmp_lt_i32 s8, 24
	s_cbranch_scc1 .LBB104_464
; %bb.462:
	v_add3_u32 v223, v224, 0, 0x170
	v_mov_b32_e32 v222, 22
	s_mov_b32 s1, 23
	s_inst_prefetch 0x1
	.p2align	6
.LBB104_463:                            ; =>This Inner Loop Header: Depth=1
	s_waitcnt lgkmcnt(0)
	v_cmp_gt_f64_e32 vcc_lo, 0, v[216:217]
	v_cmp_gt_f64_e64 s0, 0, v[214:215]
	ds_read2_b64 v[229:232], v223 offset1:1
	v_xor_b32_e32 v234, 0x80000000, v215
	v_xor_b32_e32 v236, 0x80000000, v217
	v_mov_b32_e32 v233, v214
	v_mov_b32_e32 v235, v216
	v_add_nc_u32_e32 v223, 16, v223
	s_waitcnt lgkmcnt(0)
	v_xor_b32_e32 v238, 0x80000000, v232
	v_cndmask_b32_e64 v234, v215, v234, s0
	v_cndmask_b32_e32 v236, v217, v236, vcc_lo
	v_cmp_gt_f64_e32 vcc_lo, 0, v[231:232]
	v_cmp_gt_f64_e64 s0, 0, v[229:230]
	v_mov_b32_e32 v237, v231
	v_add_f64 v[233:234], v[233:234], v[235:236]
	v_xor_b32_e32 v236, 0x80000000, v230
	v_mov_b32_e32 v235, v229
	v_cndmask_b32_e32 v238, v232, v238, vcc_lo
	v_cndmask_b32_e64 v236, v230, v236, s0
	v_add_f64 v[235:236], v[235:236], v[237:238]
	v_cmp_lt_f64_e32 vcc_lo, v[233:234], v[235:236]
	v_cndmask_b32_e32 v215, v215, v230, vcc_lo
	v_cndmask_b32_e32 v214, v214, v229, vcc_lo
	;; [unrolled: 1-line block ×4, first 2 shown]
	v_cndmask_b32_e64 v222, v222, s1, vcc_lo
	s_add_i32 s1, s1, 1
	s_cmp_lg_u32 s8, s1
	s_cbranch_scc1 .LBB104_463
.LBB104_464:
	s_inst_prefetch 0x2
	s_waitcnt lgkmcnt(0)
	v_cmp_eq_f64_e32 vcc_lo, 0, v[214:215]
	v_cmp_eq_f64_e64 s0, 0, v[216:217]
	s_and_b32 s0, vcc_lo, s0
	s_and_saveexec_b32 s1, s0
	s_xor_b32 s0, exec_lo, s1
; %bb.465:
	v_cmp_ne_u32_e32 vcc_lo, 0, v227
	v_cndmask_b32_e32 v227, 23, v227, vcc_lo
; %bb.466:
	s_andn2_saveexec_b32 s0, s0
	s_cbranch_execz .LBB104_472
; %bb.467:
	v_cmp_ngt_f64_e64 s1, |v[214:215]|, |v[216:217]|
	s_and_saveexec_b32 s7, s1
	s_xor_b32 s1, exec_lo, s7
	s_cbranch_execz .LBB104_469
; %bb.468:
	v_div_scale_f64 v[229:230], null, v[216:217], v[216:217], v[214:215]
	v_div_scale_f64 v[235:236], vcc_lo, v[214:215], v[216:217], v[214:215]
	v_rcp_f64_e32 v[231:232], v[229:230]
	v_fma_f64 v[233:234], -v[229:230], v[231:232], 1.0
	v_fma_f64 v[231:232], v[231:232], v[233:234], v[231:232]
	v_fma_f64 v[233:234], -v[229:230], v[231:232], 1.0
	v_fma_f64 v[231:232], v[231:232], v[233:234], v[231:232]
	v_mul_f64 v[233:234], v[235:236], v[231:232]
	v_fma_f64 v[229:230], -v[229:230], v[233:234], v[235:236]
	v_div_fmas_f64 v[229:230], v[229:230], v[231:232], v[233:234]
	v_div_fixup_f64 v[229:230], v[229:230], v[216:217], v[214:215]
	v_fma_f64 v[214:215], v[214:215], v[229:230], v[216:217]
	v_div_scale_f64 v[216:217], null, v[214:215], v[214:215], 1.0
	v_rcp_f64_e32 v[231:232], v[216:217]
	v_fma_f64 v[233:234], -v[216:217], v[231:232], 1.0
	v_fma_f64 v[231:232], v[231:232], v[233:234], v[231:232]
	v_fma_f64 v[233:234], -v[216:217], v[231:232], 1.0
	v_fma_f64 v[231:232], v[231:232], v[233:234], v[231:232]
	v_div_scale_f64 v[233:234], vcc_lo, 1.0, v[214:215], 1.0
	v_mul_f64 v[235:236], v[233:234], v[231:232]
	v_fma_f64 v[216:217], -v[216:217], v[235:236], v[233:234]
	v_div_fmas_f64 v[216:217], v[216:217], v[231:232], v[235:236]
	v_div_fixup_f64 v[216:217], v[216:217], v[214:215], 1.0
	v_mul_f64 v[214:215], v[229:230], v[216:217]
	v_xor_b32_e32 v217, 0x80000000, v217
.LBB104_469:
	s_andn2_saveexec_b32 s1, s1
	s_cbranch_execz .LBB104_471
; %bb.470:
	v_div_scale_f64 v[229:230], null, v[214:215], v[214:215], v[216:217]
	v_div_scale_f64 v[235:236], vcc_lo, v[216:217], v[214:215], v[216:217]
	v_rcp_f64_e32 v[231:232], v[229:230]
	v_fma_f64 v[233:234], -v[229:230], v[231:232], 1.0
	v_fma_f64 v[231:232], v[231:232], v[233:234], v[231:232]
	v_fma_f64 v[233:234], -v[229:230], v[231:232], 1.0
	v_fma_f64 v[231:232], v[231:232], v[233:234], v[231:232]
	v_mul_f64 v[233:234], v[235:236], v[231:232]
	v_fma_f64 v[229:230], -v[229:230], v[233:234], v[235:236]
	v_div_fmas_f64 v[229:230], v[229:230], v[231:232], v[233:234]
	v_div_fixup_f64 v[229:230], v[229:230], v[214:215], v[216:217]
	v_fma_f64 v[214:215], v[216:217], v[229:230], v[214:215]
	v_div_scale_f64 v[216:217], null, v[214:215], v[214:215], 1.0
	v_rcp_f64_e32 v[231:232], v[216:217]
	v_fma_f64 v[233:234], -v[216:217], v[231:232], 1.0
	v_fma_f64 v[231:232], v[231:232], v[233:234], v[231:232]
	v_fma_f64 v[233:234], -v[216:217], v[231:232], 1.0
	v_fma_f64 v[231:232], v[231:232], v[233:234], v[231:232]
	v_div_scale_f64 v[233:234], vcc_lo, 1.0, v[214:215], 1.0
	v_mul_f64 v[235:236], v[233:234], v[231:232]
	v_fma_f64 v[216:217], -v[216:217], v[235:236], v[233:234]
	v_div_fmas_f64 v[216:217], v[216:217], v[231:232], v[235:236]
	v_div_fixup_f64 v[214:215], v[216:217], v[214:215], 1.0
	v_mul_f64 v[216:217], v[229:230], -v[214:215]
.LBB104_471:
	s_or_b32 exec_lo, exec_lo, s1
.LBB104_472:
	s_or_b32 exec_lo, exec_lo, s0
	s_mov_b32 s0, exec_lo
	v_cmpx_ne_u32_e64 v228, v222
	s_xor_b32 s0, exec_lo, s0
	s_cbranch_execz .LBB104_478
; %bb.473:
	s_mov_b32 s1, exec_lo
	v_cmpx_eq_u32_e32 22, v228
	s_cbranch_execz .LBB104_477
; %bb.474:
	v_cmp_ne_u32_e32 vcc_lo, 22, v222
	s_xor_b32 s7, s16, -1
	s_and_b32 s9, s7, vcc_lo
	s_and_saveexec_b32 s7, s9
	s_cbranch_execz .LBB104_476
; %bb.475:
	v_ashrrev_i32_e32 v223, 31, v222
	v_lshlrev_b64 v[228:229], 2, v[222:223]
	v_add_co_u32 v228, vcc_lo, v220, v228
	v_add_co_ci_u32_e64 v229, null, v221, v229, vcc_lo
	s_clause 0x1
	global_load_dword v0, v[228:229], off
	global_load_dword v223, v[220:221], off offset:88
	s_waitcnt vmcnt(1)
	global_store_dword v[220:221], v0, off offset:88
	s_waitcnt vmcnt(0)
	global_store_dword v[228:229], v223, off
.LBB104_476:
	s_or_b32 exec_lo, exec_lo, s7
	v_mov_b32_e32 v228, v222
	v_mov_b32_e32 v0, v222
.LBB104_477:
	s_or_b32 exec_lo, exec_lo, s1
.LBB104_478:
	s_andn2_saveexec_b32 s0, s0
	s_cbranch_execz .LBB104_480
; %bb.479:
	v_mov_b32_e32 v228, 22
	ds_write2_b64 v1, v[118:119], v[120:121] offset0:46 offset1:47
	ds_write2_b64 v1, v[114:115], v[116:117] offset0:48 offset1:49
	;; [unrolled: 1-line block ×30, first 2 shown]
.LBB104_480:
	s_or_b32 exec_lo, exec_lo, s0
	s_mov_b32 s0, exec_lo
	s_waitcnt lgkmcnt(0)
	s_waitcnt_vscnt null, 0x0
	s_barrier
	buffer_gl0_inv
	v_cmpx_lt_i32_e32 22, v228
	s_cbranch_execz .LBB104_482
; %bb.481:
	v_mul_f64 v[222:223], v[216:217], v[124:125]
	v_mul_f64 v[124:125], v[214:215], v[124:125]
	v_fma_f64 v[222:223], v[214:215], v[122:123], -v[222:223]
	v_fma_f64 v[124:125], v[216:217], v[122:123], v[124:125]
	ds_read2_b64 v[214:217], v1 offset0:46 offset1:47
	s_waitcnt lgkmcnt(0)
	v_mul_f64 v[122:123], v[216:217], v[124:125]
	v_fma_f64 v[122:123], v[214:215], v[222:223], -v[122:123]
	v_mul_f64 v[214:215], v[214:215], v[124:125]
	v_add_f64 v[118:119], v[118:119], -v[122:123]
	v_fma_f64 v[214:215], v[216:217], v[222:223], v[214:215]
	v_add_f64 v[120:121], v[120:121], -v[214:215]
	ds_read2_b64 v[214:217], v1 offset0:48 offset1:49
	s_waitcnt lgkmcnt(0)
	v_mul_f64 v[122:123], v[216:217], v[124:125]
	v_fma_f64 v[122:123], v[214:215], v[222:223], -v[122:123]
	v_mul_f64 v[214:215], v[214:215], v[124:125]
	v_add_f64 v[114:115], v[114:115], -v[122:123]
	v_fma_f64 v[214:215], v[216:217], v[222:223], v[214:215]
	v_add_f64 v[116:117], v[116:117], -v[214:215]
	;; [unrolled: 8-line block ×29, first 2 shown]
	ds_read2_b64 v[214:217], v1 offset0:104 offset1:105
	s_waitcnt lgkmcnt(0)
	v_mul_f64 v[122:123], v[216:217], v[124:125]
	v_fma_f64 v[122:123], v[214:215], v[222:223], -v[122:123]
	v_mul_f64 v[214:215], v[214:215], v[124:125]
	v_add_f64 v[2:3], v[2:3], -v[122:123]
	v_fma_f64 v[214:215], v[216:217], v[222:223], v[214:215]
	v_mov_b32_e32 v122, v222
	v_mov_b32_e32 v123, v223
	v_add_f64 v[4:5], v[4:5], -v[214:215]
.LBB104_482:
	s_or_b32 exec_lo, exec_lo, s0
	v_lshl_add_u32 v214, v228, 4, v1
	s_barrier
	buffer_gl0_inv
	v_mov_b32_e32 v222, 23
	ds_write2_b64 v214, v[118:119], v[120:121] offset1:1
	s_waitcnt lgkmcnt(0)
	s_barrier
	buffer_gl0_inv
	ds_read2_b64 v[214:217], v1 offset0:46 offset1:47
	s_cmp_lt_i32 s8, 25
	s_cbranch_scc1 .LBB104_485
; %bb.483:
	v_add3_u32 v223, v224, 0, 0x180
	v_mov_b32_e32 v222, 23
	s_mov_b32 s1, 24
	s_inst_prefetch 0x1
	.p2align	6
.LBB104_484:                            ; =>This Inner Loop Header: Depth=1
	s_waitcnt lgkmcnt(0)
	v_cmp_gt_f64_e32 vcc_lo, 0, v[216:217]
	v_cmp_gt_f64_e64 s0, 0, v[214:215]
	ds_read2_b64 v[229:232], v223 offset1:1
	v_xor_b32_e32 v234, 0x80000000, v215
	v_xor_b32_e32 v236, 0x80000000, v217
	v_mov_b32_e32 v233, v214
	v_mov_b32_e32 v235, v216
	v_add_nc_u32_e32 v223, 16, v223
	s_waitcnt lgkmcnt(0)
	v_xor_b32_e32 v238, 0x80000000, v232
	v_cndmask_b32_e64 v234, v215, v234, s0
	v_cndmask_b32_e32 v236, v217, v236, vcc_lo
	v_cmp_gt_f64_e32 vcc_lo, 0, v[231:232]
	v_cmp_gt_f64_e64 s0, 0, v[229:230]
	v_mov_b32_e32 v237, v231
	v_add_f64 v[233:234], v[233:234], v[235:236]
	v_xor_b32_e32 v236, 0x80000000, v230
	v_mov_b32_e32 v235, v229
	v_cndmask_b32_e32 v238, v232, v238, vcc_lo
	v_cndmask_b32_e64 v236, v230, v236, s0
	v_add_f64 v[235:236], v[235:236], v[237:238]
	v_cmp_lt_f64_e32 vcc_lo, v[233:234], v[235:236]
	v_cndmask_b32_e32 v215, v215, v230, vcc_lo
	v_cndmask_b32_e32 v214, v214, v229, vcc_lo
	;; [unrolled: 1-line block ×4, first 2 shown]
	v_cndmask_b32_e64 v222, v222, s1, vcc_lo
	s_add_i32 s1, s1, 1
	s_cmp_lg_u32 s8, s1
	s_cbranch_scc1 .LBB104_484
.LBB104_485:
	s_inst_prefetch 0x2
	s_waitcnt lgkmcnt(0)
	v_cmp_eq_f64_e32 vcc_lo, 0, v[214:215]
	v_cmp_eq_f64_e64 s0, 0, v[216:217]
	s_and_b32 s0, vcc_lo, s0
	s_and_saveexec_b32 s1, s0
	s_xor_b32 s0, exec_lo, s1
; %bb.486:
	v_cmp_ne_u32_e32 vcc_lo, 0, v227
	v_cndmask_b32_e32 v227, 24, v227, vcc_lo
; %bb.487:
	s_andn2_saveexec_b32 s0, s0
	s_cbranch_execz .LBB104_493
; %bb.488:
	v_cmp_ngt_f64_e64 s1, |v[214:215]|, |v[216:217]|
	s_and_saveexec_b32 s7, s1
	s_xor_b32 s1, exec_lo, s7
	s_cbranch_execz .LBB104_490
; %bb.489:
	v_div_scale_f64 v[229:230], null, v[216:217], v[216:217], v[214:215]
	v_div_scale_f64 v[235:236], vcc_lo, v[214:215], v[216:217], v[214:215]
	v_rcp_f64_e32 v[231:232], v[229:230]
	v_fma_f64 v[233:234], -v[229:230], v[231:232], 1.0
	v_fma_f64 v[231:232], v[231:232], v[233:234], v[231:232]
	v_fma_f64 v[233:234], -v[229:230], v[231:232], 1.0
	v_fma_f64 v[231:232], v[231:232], v[233:234], v[231:232]
	v_mul_f64 v[233:234], v[235:236], v[231:232]
	v_fma_f64 v[229:230], -v[229:230], v[233:234], v[235:236]
	v_div_fmas_f64 v[229:230], v[229:230], v[231:232], v[233:234]
	v_div_fixup_f64 v[229:230], v[229:230], v[216:217], v[214:215]
	v_fma_f64 v[214:215], v[214:215], v[229:230], v[216:217]
	v_div_scale_f64 v[216:217], null, v[214:215], v[214:215], 1.0
	v_rcp_f64_e32 v[231:232], v[216:217]
	v_fma_f64 v[233:234], -v[216:217], v[231:232], 1.0
	v_fma_f64 v[231:232], v[231:232], v[233:234], v[231:232]
	v_fma_f64 v[233:234], -v[216:217], v[231:232], 1.0
	v_fma_f64 v[231:232], v[231:232], v[233:234], v[231:232]
	v_div_scale_f64 v[233:234], vcc_lo, 1.0, v[214:215], 1.0
	v_mul_f64 v[235:236], v[233:234], v[231:232]
	v_fma_f64 v[216:217], -v[216:217], v[235:236], v[233:234]
	v_div_fmas_f64 v[216:217], v[216:217], v[231:232], v[235:236]
	v_div_fixup_f64 v[216:217], v[216:217], v[214:215], 1.0
	v_mul_f64 v[214:215], v[229:230], v[216:217]
	v_xor_b32_e32 v217, 0x80000000, v217
.LBB104_490:
	s_andn2_saveexec_b32 s1, s1
	s_cbranch_execz .LBB104_492
; %bb.491:
	v_div_scale_f64 v[229:230], null, v[214:215], v[214:215], v[216:217]
	v_div_scale_f64 v[235:236], vcc_lo, v[216:217], v[214:215], v[216:217]
	v_rcp_f64_e32 v[231:232], v[229:230]
	v_fma_f64 v[233:234], -v[229:230], v[231:232], 1.0
	v_fma_f64 v[231:232], v[231:232], v[233:234], v[231:232]
	v_fma_f64 v[233:234], -v[229:230], v[231:232], 1.0
	v_fma_f64 v[231:232], v[231:232], v[233:234], v[231:232]
	v_mul_f64 v[233:234], v[235:236], v[231:232]
	v_fma_f64 v[229:230], -v[229:230], v[233:234], v[235:236]
	v_div_fmas_f64 v[229:230], v[229:230], v[231:232], v[233:234]
	v_div_fixup_f64 v[229:230], v[229:230], v[214:215], v[216:217]
	v_fma_f64 v[214:215], v[216:217], v[229:230], v[214:215]
	v_div_scale_f64 v[216:217], null, v[214:215], v[214:215], 1.0
	v_rcp_f64_e32 v[231:232], v[216:217]
	v_fma_f64 v[233:234], -v[216:217], v[231:232], 1.0
	v_fma_f64 v[231:232], v[231:232], v[233:234], v[231:232]
	v_fma_f64 v[233:234], -v[216:217], v[231:232], 1.0
	v_fma_f64 v[231:232], v[231:232], v[233:234], v[231:232]
	v_div_scale_f64 v[233:234], vcc_lo, 1.0, v[214:215], 1.0
	v_mul_f64 v[235:236], v[233:234], v[231:232]
	v_fma_f64 v[216:217], -v[216:217], v[235:236], v[233:234]
	v_div_fmas_f64 v[216:217], v[216:217], v[231:232], v[235:236]
	v_div_fixup_f64 v[214:215], v[216:217], v[214:215], 1.0
	v_mul_f64 v[216:217], v[229:230], -v[214:215]
.LBB104_492:
	s_or_b32 exec_lo, exec_lo, s1
.LBB104_493:
	s_or_b32 exec_lo, exec_lo, s0
	s_mov_b32 s0, exec_lo
	v_cmpx_ne_u32_e64 v228, v222
	s_xor_b32 s0, exec_lo, s0
	s_cbranch_execz .LBB104_499
; %bb.494:
	s_mov_b32 s1, exec_lo
	v_cmpx_eq_u32_e32 23, v228
	s_cbranch_execz .LBB104_498
; %bb.495:
	v_cmp_ne_u32_e32 vcc_lo, 23, v222
	s_xor_b32 s7, s16, -1
	s_and_b32 s9, s7, vcc_lo
	s_and_saveexec_b32 s7, s9
	s_cbranch_execz .LBB104_497
; %bb.496:
	v_ashrrev_i32_e32 v223, 31, v222
	v_lshlrev_b64 v[228:229], 2, v[222:223]
	v_add_co_u32 v228, vcc_lo, v220, v228
	v_add_co_ci_u32_e64 v229, null, v221, v229, vcc_lo
	s_clause 0x1
	global_load_dword v0, v[228:229], off
	global_load_dword v223, v[220:221], off offset:92
	s_waitcnt vmcnt(1)
	global_store_dword v[220:221], v0, off offset:92
	s_waitcnt vmcnt(0)
	global_store_dword v[228:229], v223, off
.LBB104_497:
	s_or_b32 exec_lo, exec_lo, s7
	v_mov_b32_e32 v228, v222
	v_mov_b32_e32 v0, v222
.LBB104_498:
	s_or_b32 exec_lo, exec_lo, s1
.LBB104_499:
	s_andn2_saveexec_b32 s0, s0
	s_cbranch_execz .LBB104_501
; %bb.500:
	v_mov_b32_e32 v228, 23
	ds_write2_b64 v1, v[114:115], v[116:117] offset0:48 offset1:49
	ds_write2_b64 v1, v[110:111], v[112:113] offset0:50 offset1:51
	;; [unrolled: 1-line block ×29, first 2 shown]
.LBB104_501:
	s_or_b32 exec_lo, exec_lo, s0
	s_mov_b32 s0, exec_lo
	s_waitcnt lgkmcnt(0)
	s_waitcnt_vscnt null, 0x0
	s_barrier
	buffer_gl0_inv
	v_cmpx_lt_i32_e32 23, v228
	s_cbranch_execz .LBB104_503
; %bb.502:
	v_mul_f64 v[222:223], v[216:217], v[120:121]
	v_mul_f64 v[120:121], v[214:215], v[120:121]
	v_fma_f64 v[222:223], v[214:215], v[118:119], -v[222:223]
	v_fma_f64 v[120:121], v[216:217], v[118:119], v[120:121]
	ds_read2_b64 v[214:217], v1 offset0:48 offset1:49
	s_waitcnt lgkmcnt(0)
	v_mul_f64 v[118:119], v[216:217], v[120:121]
	v_fma_f64 v[118:119], v[214:215], v[222:223], -v[118:119]
	v_mul_f64 v[214:215], v[214:215], v[120:121]
	v_add_f64 v[114:115], v[114:115], -v[118:119]
	v_fma_f64 v[214:215], v[216:217], v[222:223], v[214:215]
	v_add_f64 v[116:117], v[116:117], -v[214:215]
	ds_read2_b64 v[214:217], v1 offset0:50 offset1:51
	s_waitcnt lgkmcnt(0)
	v_mul_f64 v[118:119], v[216:217], v[120:121]
	v_fma_f64 v[118:119], v[214:215], v[222:223], -v[118:119]
	v_mul_f64 v[214:215], v[214:215], v[120:121]
	v_add_f64 v[110:111], v[110:111], -v[118:119]
	v_fma_f64 v[214:215], v[216:217], v[222:223], v[214:215]
	v_add_f64 v[112:113], v[112:113], -v[214:215]
	;; [unrolled: 8-line block ×28, first 2 shown]
	ds_read2_b64 v[214:217], v1 offset0:104 offset1:105
	s_waitcnt lgkmcnt(0)
	v_mul_f64 v[118:119], v[216:217], v[120:121]
	v_fma_f64 v[118:119], v[214:215], v[222:223], -v[118:119]
	v_mul_f64 v[214:215], v[214:215], v[120:121]
	v_add_f64 v[2:3], v[2:3], -v[118:119]
	v_fma_f64 v[214:215], v[216:217], v[222:223], v[214:215]
	v_mov_b32_e32 v118, v222
	v_mov_b32_e32 v119, v223
	v_add_f64 v[4:5], v[4:5], -v[214:215]
.LBB104_503:
	s_or_b32 exec_lo, exec_lo, s0
	v_lshl_add_u32 v214, v228, 4, v1
	s_barrier
	buffer_gl0_inv
	v_mov_b32_e32 v222, 24
	ds_write2_b64 v214, v[114:115], v[116:117] offset1:1
	s_waitcnt lgkmcnt(0)
	s_barrier
	buffer_gl0_inv
	ds_read2_b64 v[214:217], v1 offset0:48 offset1:49
	s_cmp_lt_i32 s8, 26
	s_cbranch_scc1 .LBB104_506
; %bb.504:
	v_add3_u32 v223, v224, 0, 0x190
	v_mov_b32_e32 v222, 24
	s_mov_b32 s1, 25
	s_inst_prefetch 0x1
	.p2align	6
.LBB104_505:                            ; =>This Inner Loop Header: Depth=1
	s_waitcnt lgkmcnt(0)
	v_cmp_gt_f64_e32 vcc_lo, 0, v[216:217]
	v_cmp_gt_f64_e64 s0, 0, v[214:215]
	ds_read2_b64 v[229:232], v223 offset1:1
	v_xor_b32_e32 v234, 0x80000000, v215
	v_xor_b32_e32 v236, 0x80000000, v217
	v_mov_b32_e32 v233, v214
	v_mov_b32_e32 v235, v216
	v_add_nc_u32_e32 v223, 16, v223
	s_waitcnt lgkmcnt(0)
	v_xor_b32_e32 v238, 0x80000000, v232
	v_cndmask_b32_e64 v234, v215, v234, s0
	v_cndmask_b32_e32 v236, v217, v236, vcc_lo
	v_cmp_gt_f64_e32 vcc_lo, 0, v[231:232]
	v_cmp_gt_f64_e64 s0, 0, v[229:230]
	v_mov_b32_e32 v237, v231
	v_add_f64 v[233:234], v[233:234], v[235:236]
	v_xor_b32_e32 v236, 0x80000000, v230
	v_mov_b32_e32 v235, v229
	v_cndmask_b32_e32 v238, v232, v238, vcc_lo
	v_cndmask_b32_e64 v236, v230, v236, s0
	v_add_f64 v[235:236], v[235:236], v[237:238]
	v_cmp_lt_f64_e32 vcc_lo, v[233:234], v[235:236]
	v_cndmask_b32_e32 v215, v215, v230, vcc_lo
	v_cndmask_b32_e32 v214, v214, v229, vcc_lo
	;; [unrolled: 1-line block ×4, first 2 shown]
	v_cndmask_b32_e64 v222, v222, s1, vcc_lo
	s_add_i32 s1, s1, 1
	s_cmp_lg_u32 s8, s1
	s_cbranch_scc1 .LBB104_505
.LBB104_506:
	s_inst_prefetch 0x2
	s_waitcnt lgkmcnt(0)
	v_cmp_eq_f64_e32 vcc_lo, 0, v[214:215]
	v_cmp_eq_f64_e64 s0, 0, v[216:217]
	s_and_b32 s0, vcc_lo, s0
	s_and_saveexec_b32 s1, s0
	s_xor_b32 s0, exec_lo, s1
; %bb.507:
	v_cmp_ne_u32_e32 vcc_lo, 0, v227
	v_cndmask_b32_e32 v227, 25, v227, vcc_lo
; %bb.508:
	s_andn2_saveexec_b32 s0, s0
	s_cbranch_execz .LBB104_514
; %bb.509:
	v_cmp_ngt_f64_e64 s1, |v[214:215]|, |v[216:217]|
	s_and_saveexec_b32 s7, s1
	s_xor_b32 s1, exec_lo, s7
	s_cbranch_execz .LBB104_511
; %bb.510:
	v_div_scale_f64 v[229:230], null, v[216:217], v[216:217], v[214:215]
	v_div_scale_f64 v[235:236], vcc_lo, v[214:215], v[216:217], v[214:215]
	v_rcp_f64_e32 v[231:232], v[229:230]
	v_fma_f64 v[233:234], -v[229:230], v[231:232], 1.0
	v_fma_f64 v[231:232], v[231:232], v[233:234], v[231:232]
	v_fma_f64 v[233:234], -v[229:230], v[231:232], 1.0
	v_fma_f64 v[231:232], v[231:232], v[233:234], v[231:232]
	v_mul_f64 v[233:234], v[235:236], v[231:232]
	v_fma_f64 v[229:230], -v[229:230], v[233:234], v[235:236]
	v_div_fmas_f64 v[229:230], v[229:230], v[231:232], v[233:234]
	v_div_fixup_f64 v[229:230], v[229:230], v[216:217], v[214:215]
	v_fma_f64 v[214:215], v[214:215], v[229:230], v[216:217]
	v_div_scale_f64 v[216:217], null, v[214:215], v[214:215], 1.0
	v_rcp_f64_e32 v[231:232], v[216:217]
	v_fma_f64 v[233:234], -v[216:217], v[231:232], 1.0
	v_fma_f64 v[231:232], v[231:232], v[233:234], v[231:232]
	v_fma_f64 v[233:234], -v[216:217], v[231:232], 1.0
	v_fma_f64 v[231:232], v[231:232], v[233:234], v[231:232]
	v_div_scale_f64 v[233:234], vcc_lo, 1.0, v[214:215], 1.0
	v_mul_f64 v[235:236], v[233:234], v[231:232]
	v_fma_f64 v[216:217], -v[216:217], v[235:236], v[233:234]
	v_div_fmas_f64 v[216:217], v[216:217], v[231:232], v[235:236]
	v_div_fixup_f64 v[216:217], v[216:217], v[214:215], 1.0
	v_mul_f64 v[214:215], v[229:230], v[216:217]
	v_xor_b32_e32 v217, 0x80000000, v217
.LBB104_511:
	s_andn2_saveexec_b32 s1, s1
	s_cbranch_execz .LBB104_513
; %bb.512:
	v_div_scale_f64 v[229:230], null, v[214:215], v[214:215], v[216:217]
	v_div_scale_f64 v[235:236], vcc_lo, v[216:217], v[214:215], v[216:217]
	v_rcp_f64_e32 v[231:232], v[229:230]
	v_fma_f64 v[233:234], -v[229:230], v[231:232], 1.0
	v_fma_f64 v[231:232], v[231:232], v[233:234], v[231:232]
	v_fma_f64 v[233:234], -v[229:230], v[231:232], 1.0
	v_fma_f64 v[231:232], v[231:232], v[233:234], v[231:232]
	v_mul_f64 v[233:234], v[235:236], v[231:232]
	v_fma_f64 v[229:230], -v[229:230], v[233:234], v[235:236]
	v_div_fmas_f64 v[229:230], v[229:230], v[231:232], v[233:234]
	v_div_fixup_f64 v[229:230], v[229:230], v[214:215], v[216:217]
	v_fma_f64 v[214:215], v[216:217], v[229:230], v[214:215]
	v_div_scale_f64 v[216:217], null, v[214:215], v[214:215], 1.0
	v_rcp_f64_e32 v[231:232], v[216:217]
	v_fma_f64 v[233:234], -v[216:217], v[231:232], 1.0
	v_fma_f64 v[231:232], v[231:232], v[233:234], v[231:232]
	v_fma_f64 v[233:234], -v[216:217], v[231:232], 1.0
	v_fma_f64 v[231:232], v[231:232], v[233:234], v[231:232]
	v_div_scale_f64 v[233:234], vcc_lo, 1.0, v[214:215], 1.0
	v_mul_f64 v[235:236], v[233:234], v[231:232]
	v_fma_f64 v[216:217], -v[216:217], v[235:236], v[233:234]
	v_div_fmas_f64 v[216:217], v[216:217], v[231:232], v[235:236]
	v_div_fixup_f64 v[214:215], v[216:217], v[214:215], 1.0
	v_mul_f64 v[216:217], v[229:230], -v[214:215]
.LBB104_513:
	s_or_b32 exec_lo, exec_lo, s1
.LBB104_514:
	s_or_b32 exec_lo, exec_lo, s0
	s_mov_b32 s0, exec_lo
	v_cmpx_ne_u32_e64 v228, v222
	s_xor_b32 s0, exec_lo, s0
	s_cbranch_execz .LBB104_520
; %bb.515:
	s_mov_b32 s1, exec_lo
	v_cmpx_eq_u32_e32 24, v228
	s_cbranch_execz .LBB104_519
; %bb.516:
	v_cmp_ne_u32_e32 vcc_lo, 24, v222
	s_xor_b32 s7, s16, -1
	s_and_b32 s9, s7, vcc_lo
	s_and_saveexec_b32 s7, s9
	s_cbranch_execz .LBB104_518
; %bb.517:
	v_ashrrev_i32_e32 v223, 31, v222
	v_lshlrev_b64 v[228:229], 2, v[222:223]
	v_add_co_u32 v228, vcc_lo, v220, v228
	v_add_co_ci_u32_e64 v229, null, v221, v229, vcc_lo
	s_clause 0x1
	global_load_dword v0, v[228:229], off
	global_load_dword v223, v[220:221], off offset:96
	s_waitcnt vmcnt(1)
	global_store_dword v[220:221], v0, off offset:96
	s_waitcnt vmcnt(0)
	global_store_dword v[228:229], v223, off
.LBB104_518:
	s_or_b32 exec_lo, exec_lo, s7
	v_mov_b32_e32 v228, v222
	v_mov_b32_e32 v0, v222
.LBB104_519:
	s_or_b32 exec_lo, exec_lo, s1
.LBB104_520:
	s_andn2_saveexec_b32 s0, s0
	s_cbranch_execz .LBB104_522
; %bb.521:
	v_mov_b32_e32 v228, 24
	ds_write2_b64 v1, v[110:111], v[112:113] offset0:50 offset1:51
	ds_write2_b64 v1, v[106:107], v[108:109] offset0:52 offset1:53
	;; [unrolled: 1-line block ×28, first 2 shown]
.LBB104_522:
	s_or_b32 exec_lo, exec_lo, s0
	s_mov_b32 s0, exec_lo
	s_waitcnt lgkmcnt(0)
	s_waitcnt_vscnt null, 0x0
	s_barrier
	buffer_gl0_inv
	v_cmpx_lt_i32_e32 24, v228
	s_cbranch_execz .LBB104_524
; %bb.523:
	v_mul_f64 v[222:223], v[216:217], v[116:117]
	v_mul_f64 v[116:117], v[214:215], v[116:117]
	v_fma_f64 v[222:223], v[214:215], v[114:115], -v[222:223]
	v_fma_f64 v[116:117], v[216:217], v[114:115], v[116:117]
	ds_read2_b64 v[214:217], v1 offset0:50 offset1:51
	s_waitcnt lgkmcnt(0)
	v_mul_f64 v[114:115], v[216:217], v[116:117]
	v_fma_f64 v[114:115], v[214:215], v[222:223], -v[114:115]
	v_mul_f64 v[214:215], v[214:215], v[116:117]
	v_add_f64 v[110:111], v[110:111], -v[114:115]
	v_fma_f64 v[214:215], v[216:217], v[222:223], v[214:215]
	v_add_f64 v[112:113], v[112:113], -v[214:215]
	ds_read2_b64 v[214:217], v1 offset0:52 offset1:53
	s_waitcnt lgkmcnt(0)
	v_mul_f64 v[114:115], v[216:217], v[116:117]
	v_fma_f64 v[114:115], v[214:215], v[222:223], -v[114:115]
	v_mul_f64 v[214:215], v[214:215], v[116:117]
	v_add_f64 v[106:107], v[106:107], -v[114:115]
	v_fma_f64 v[214:215], v[216:217], v[222:223], v[214:215]
	v_add_f64 v[108:109], v[108:109], -v[214:215]
	;; [unrolled: 8-line block ×27, first 2 shown]
	ds_read2_b64 v[214:217], v1 offset0:104 offset1:105
	s_waitcnt lgkmcnt(0)
	v_mul_f64 v[114:115], v[216:217], v[116:117]
	v_fma_f64 v[114:115], v[214:215], v[222:223], -v[114:115]
	v_mul_f64 v[214:215], v[214:215], v[116:117]
	v_add_f64 v[2:3], v[2:3], -v[114:115]
	v_fma_f64 v[214:215], v[216:217], v[222:223], v[214:215]
	v_mov_b32_e32 v114, v222
	v_mov_b32_e32 v115, v223
	v_add_f64 v[4:5], v[4:5], -v[214:215]
.LBB104_524:
	s_or_b32 exec_lo, exec_lo, s0
	v_lshl_add_u32 v214, v228, 4, v1
	s_barrier
	buffer_gl0_inv
	v_mov_b32_e32 v222, 25
	ds_write2_b64 v214, v[110:111], v[112:113] offset1:1
	s_waitcnt lgkmcnt(0)
	s_barrier
	buffer_gl0_inv
	ds_read2_b64 v[214:217], v1 offset0:50 offset1:51
	s_cmp_lt_i32 s8, 27
	s_cbranch_scc1 .LBB104_527
; %bb.525:
	v_add3_u32 v223, v224, 0, 0x1a0
	v_mov_b32_e32 v222, 25
	s_mov_b32 s1, 26
	s_inst_prefetch 0x1
	.p2align	6
.LBB104_526:                            ; =>This Inner Loop Header: Depth=1
	s_waitcnt lgkmcnt(0)
	v_cmp_gt_f64_e32 vcc_lo, 0, v[216:217]
	v_cmp_gt_f64_e64 s0, 0, v[214:215]
	ds_read2_b64 v[229:232], v223 offset1:1
	v_xor_b32_e32 v234, 0x80000000, v215
	v_xor_b32_e32 v236, 0x80000000, v217
	v_mov_b32_e32 v233, v214
	v_mov_b32_e32 v235, v216
	v_add_nc_u32_e32 v223, 16, v223
	s_waitcnt lgkmcnt(0)
	v_xor_b32_e32 v238, 0x80000000, v232
	v_cndmask_b32_e64 v234, v215, v234, s0
	v_cndmask_b32_e32 v236, v217, v236, vcc_lo
	v_cmp_gt_f64_e32 vcc_lo, 0, v[231:232]
	v_cmp_gt_f64_e64 s0, 0, v[229:230]
	v_mov_b32_e32 v237, v231
	v_add_f64 v[233:234], v[233:234], v[235:236]
	v_xor_b32_e32 v236, 0x80000000, v230
	v_mov_b32_e32 v235, v229
	v_cndmask_b32_e32 v238, v232, v238, vcc_lo
	v_cndmask_b32_e64 v236, v230, v236, s0
	v_add_f64 v[235:236], v[235:236], v[237:238]
	v_cmp_lt_f64_e32 vcc_lo, v[233:234], v[235:236]
	v_cndmask_b32_e32 v215, v215, v230, vcc_lo
	v_cndmask_b32_e32 v214, v214, v229, vcc_lo
	v_cndmask_b32_e32 v217, v217, v232, vcc_lo
	v_cndmask_b32_e32 v216, v216, v231, vcc_lo
	v_cndmask_b32_e64 v222, v222, s1, vcc_lo
	s_add_i32 s1, s1, 1
	s_cmp_lg_u32 s8, s1
	s_cbranch_scc1 .LBB104_526
.LBB104_527:
	s_inst_prefetch 0x2
	s_waitcnt lgkmcnt(0)
	v_cmp_eq_f64_e32 vcc_lo, 0, v[214:215]
	v_cmp_eq_f64_e64 s0, 0, v[216:217]
	s_and_b32 s0, vcc_lo, s0
	s_and_saveexec_b32 s1, s0
	s_xor_b32 s0, exec_lo, s1
; %bb.528:
	v_cmp_ne_u32_e32 vcc_lo, 0, v227
	v_cndmask_b32_e32 v227, 26, v227, vcc_lo
; %bb.529:
	s_andn2_saveexec_b32 s0, s0
	s_cbranch_execz .LBB104_535
; %bb.530:
	v_cmp_ngt_f64_e64 s1, |v[214:215]|, |v[216:217]|
	s_and_saveexec_b32 s7, s1
	s_xor_b32 s1, exec_lo, s7
	s_cbranch_execz .LBB104_532
; %bb.531:
	v_div_scale_f64 v[229:230], null, v[216:217], v[216:217], v[214:215]
	v_div_scale_f64 v[235:236], vcc_lo, v[214:215], v[216:217], v[214:215]
	v_rcp_f64_e32 v[231:232], v[229:230]
	v_fma_f64 v[233:234], -v[229:230], v[231:232], 1.0
	v_fma_f64 v[231:232], v[231:232], v[233:234], v[231:232]
	v_fma_f64 v[233:234], -v[229:230], v[231:232], 1.0
	v_fma_f64 v[231:232], v[231:232], v[233:234], v[231:232]
	v_mul_f64 v[233:234], v[235:236], v[231:232]
	v_fma_f64 v[229:230], -v[229:230], v[233:234], v[235:236]
	v_div_fmas_f64 v[229:230], v[229:230], v[231:232], v[233:234]
	v_div_fixup_f64 v[229:230], v[229:230], v[216:217], v[214:215]
	v_fma_f64 v[214:215], v[214:215], v[229:230], v[216:217]
	v_div_scale_f64 v[216:217], null, v[214:215], v[214:215], 1.0
	v_rcp_f64_e32 v[231:232], v[216:217]
	v_fma_f64 v[233:234], -v[216:217], v[231:232], 1.0
	v_fma_f64 v[231:232], v[231:232], v[233:234], v[231:232]
	v_fma_f64 v[233:234], -v[216:217], v[231:232], 1.0
	v_fma_f64 v[231:232], v[231:232], v[233:234], v[231:232]
	v_div_scale_f64 v[233:234], vcc_lo, 1.0, v[214:215], 1.0
	v_mul_f64 v[235:236], v[233:234], v[231:232]
	v_fma_f64 v[216:217], -v[216:217], v[235:236], v[233:234]
	v_div_fmas_f64 v[216:217], v[216:217], v[231:232], v[235:236]
	v_div_fixup_f64 v[216:217], v[216:217], v[214:215], 1.0
	v_mul_f64 v[214:215], v[229:230], v[216:217]
	v_xor_b32_e32 v217, 0x80000000, v217
.LBB104_532:
	s_andn2_saveexec_b32 s1, s1
	s_cbranch_execz .LBB104_534
; %bb.533:
	v_div_scale_f64 v[229:230], null, v[214:215], v[214:215], v[216:217]
	v_div_scale_f64 v[235:236], vcc_lo, v[216:217], v[214:215], v[216:217]
	v_rcp_f64_e32 v[231:232], v[229:230]
	v_fma_f64 v[233:234], -v[229:230], v[231:232], 1.0
	v_fma_f64 v[231:232], v[231:232], v[233:234], v[231:232]
	v_fma_f64 v[233:234], -v[229:230], v[231:232], 1.0
	v_fma_f64 v[231:232], v[231:232], v[233:234], v[231:232]
	v_mul_f64 v[233:234], v[235:236], v[231:232]
	v_fma_f64 v[229:230], -v[229:230], v[233:234], v[235:236]
	v_div_fmas_f64 v[229:230], v[229:230], v[231:232], v[233:234]
	v_div_fixup_f64 v[229:230], v[229:230], v[214:215], v[216:217]
	v_fma_f64 v[214:215], v[216:217], v[229:230], v[214:215]
	v_div_scale_f64 v[216:217], null, v[214:215], v[214:215], 1.0
	v_rcp_f64_e32 v[231:232], v[216:217]
	v_fma_f64 v[233:234], -v[216:217], v[231:232], 1.0
	v_fma_f64 v[231:232], v[231:232], v[233:234], v[231:232]
	v_fma_f64 v[233:234], -v[216:217], v[231:232], 1.0
	v_fma_f64 v[231:232], v[231:232], v[233:234], v[231:232]
	v_div_scale_f64 v[233:234], vcc_lo, 1.0, v[214:215], 1.0
	v_mul_f64 v[235:236], v[233:234], v[231:232]
	v_fma_f64 v[216:217], -v[216:217], v[235:236], v[233:234]
	v_div_fmas_f64 v[216:217], v[216:217], v[231:232], v[235:236]
	v_div_fixup_f64 v[214:215], v[216:217], v[214:215], 1.0
	v_mul_f64 v[216:217], v[229:230], -v[214:215]
.LBB104_534:
	s_or_b32 exec_lo, exec_lo, s1
.LBB104_535:
	s_or_b32 exec_lo, exec_lo, s0
	s_mov_b32 s0, exec_lo
	v_cmpx_ne_u32_e64 v228, v222
	s_xor_b32 s0, exec_lo, s0
	s_cbranch_execz .LBB104_541
; %bb.536:
	s_mov_b32 s1, exec_lo
	v_cmpx_eq_u32_e32 25, v228
	s_cbranch_execz .LBB104_540
; %bb.537:
	v_cmp_ne_u32_e32 vcc_lo, 25, v222
	s_xor_b32 s7, s16, -1
	s_and_b32 s9, s7, vcc_lo
	s_and_saveexec_b32 s7, s9
	s_cbranch_execz .LBB104_539
; %bb.538:
	v_ashrrev_i32_e32 v223, 31, v222
	v_lshlrev_b64 v[228:229], 2, v[222:223]
	v_add_co_u32 v228, vcc_lo, v220, v228
	v_add_co_ci_u32_e64 v229, null, v221, v229, vcc_lo
	s_clause 0x1
	global_load_dword v0, v[228:229], off
	global_load_dword v223, v[220:221], off offset:100
	s_waitcnt vmcnt(1)
	global_store_dword v[220:221], v0, off offset:100
	s_waitcnt vmcnt(0)
	global_store_dword v[228:229], v223, off
.LBB104_539:
	s_or_b32 exec_lo, exec_lo, s7
	v_mov_b32_e32 v228, v222
	v_mov_b32_e32 v0, v222
.LBB104_540:
	s_or_b32 exec_lo, exec_lo, s1
.LBB104_541:
	s_andn2_saveexec_b32 s0, s0
	s_cbranch_execz .LBB104_543
; %bb.542:
	v_mov_b32_e32 v228, 25
	ds_write2_b64 v1, v[106:107], v[108:109] offset0:52 offset1:53
	ds_write2_b64 v1, v[102:103], v[104:105] offset0:54 offset1:55
	;; [unrolled: 1-line block ×27, first 2 shown]
.LBB104_543:
	s_or_b32 exec_lo, exec_lo, s0
	s_mov_b32 s0, exec_lo
	s_waitcnt lgkmcnt(0)
	s_waitcnt_vscnt null, 0x0
	s_barrier
	buffer_gl0_inv
	v_cmpx_lt_i32_e32 25, v228
	s_cbranch_execz .LBB104_545
; %bb.544:
	v_mul_f64 v[222:223], v[216:217], v[112:113]
	v_mul_f64 v[112:113], v[214:215], v[112:113]
	v_fma_f64 v[222:223], v[214:215], v[110:111], -v[222:223]
	v_fma_f64 v[112:113], v[216:217], v[110:111], v[112:113]
	ds_read2_b64 v[214:217], v1 offset0:52 offset1:53
	s_waitcnt lgkmcnt(0)
	v_mul_f64 v[110:111], v[216:217], v[112:113]
	v_fma_f64 v[110:111], v[214:215], v[222:223], -v[110:111]
	v_mul_f64 v[214:215], v[214:215], v[112:113]
	v_add_f64 v[106:107], v[106:107], -v[110:111]
	v_fma_f64 v[214:215], v[216:217], v[222:223], v[214:215]
	v_add_f64 v[108:109], v[108:109], -v[214:215]
	ds_read2_b64 v[214:217], v1 offset0:54 offset1:55
	s_waitcnt lgkmcnt(0)
	v_mul_f64 v[110:111], v[216:217], v[112:113]
	v_fma_f64 v[110:111], v[214:215], v[222:223], -v[110:111]
	v_mul_f64 v[214:215], v[214:215], v[112:113]
	v_add_f64 v[102:103], v[102:103], -v[110:111]
	v_fma_f64 v[214:215], v[216:217], v[222:223], v[214:215]
	v_add_f64 v[104:105], v[104:105], -v[214:215]
	;; [unrolled: 8-line block ×26, first 2 shown]
	ds_read2_b64 v[214:217], v1 offset0:104 offset1:105
	s_waitcnt lgkmcnt(0)
	v_mul_f64 v[110:111], v[216:217], v[112:113]
	v_fma_f64 v[110:111], v[214:215], v[222:223], -v[110:111]
	v_mul_f64 v[214:215], v[214:215], v[112:113]
	v_add_f64 v[2:3], v[2:3], -v[110:111]
	v_fma_f64 v[214:215], v[216:217], v[222:223], v[214:215]
	v_mov_b32_e32 v110, v222
	v_mov_b32_e32 v111, v223
	v_add_f64 v[4:5], v[4:5], -v[214:215]
.LBB104_545:
	s_or_b32 exec_lo, exec_lo, s0
	v_lshl_add_u32 v214, v228, 4, v1
	s_barrier
	buffer_gl0_inv
	v_mov_b32_e32 v222, 26
	ds_write2_b64 v214, v[106:107], v[108:109] offset1:1
	s_waitcnt lgkmcnt(0)
	s_barrier
	buffer_gl0_inv
	ds_read2_b64 v[214:217], v1 offset0:52 offset1:53
	s_cmp_lt_i32 s8, 28
	s_cbranch_scc1 .LBB104_548
; %bb.546:
	v_add3_u32 v223, v224, 0, 0x1b0
	v_mov_b32_e32 v222, 26
	s_mov_b32 s1, 27
	s_inst_prefetch 0x1
	.p2align	6
.LBB104_547:                            ; =>This Inner Loop Header: Depth=1
	s_waitcnt lgkmcnt(0)
	v_cmp_gt_f64_e32 vcc_lo, 0, v[216:217]
	v_cmp_gt_f64_e64 s0, 0, v[214:215]
	ds_read2_b64 v[229:232], v223 offset1:1
	v_xor_b32_e32 v234, 0x80000000, v215
	v_xor_b32_e32 v236, 0x80000000, v217
	v_mov_b32_e32 v233, v214
	v_mov_b32_e32 v235, v216
	v_add_nc_u32_e32 v223, 16, v223
	s_waitcnt lgkmcnt(0)
	v_xor_b32_e32 v238, 0x80000000, v232
	v_cndmask_b32_e64 v234, v215, v234, s0
	v_cndmask_b32_e32 v236, v217, v236, vcc_lo
	v_cmp_gt_f64_e32 vcc_lo, 0, v[231:232]
	v_cmp_gt_f64_e64 s0, 0, v[229:230]
	v_mov_b32_e32 v237, v231
	v_add_f64 v[233:234], v[233:234], v[235:236]
	v_xor_b32_e32 v236, 0x80000000, v230
	v_mov_b32_e32 v235, v229
	v_cndmask_b32_e32 v238, v232, v238, vcc_lo
	v_cndmask_b32_e64 v236, v230, v236, s0
	v_add_f64 v[235:236], v[235:236], v[237:238]
	v_cmp_lt_f64_e32 vcc_lo, v[233:234], v[235:236]
	v_cndmask_b32_e32 v215, v215, v230, vcc_lo
	v_cndmask_b32_e32 v214, v214, v229, vcc_lo
	;; [unrolled: 1-line block ×4, first 2 shown]
	v_cndmask_b32_e64 v222, v222, s1, vcc_lo
	s_add_i32 s1, s1, 1
	s_cmp_lg_u32 s8, s1
	s_cbranch_scc1 .LBB104_547
.LBB104_548:
	s_inst_prefetch 0x2
	s_waitcnt lgkmcnt(0)
	v_cmp_eq_f64_e32 vcc_lo, 0, v[214:215]
	v_cmp_eq_f64_e64 s0, 0, v[216:217]
	s_and_b32 s0, vcc_lo, s0
	s_and_saveexec_b32 s1, s0
	s_xor_b32 s0, exec_lo, s1
; %bb.549:
	v_cmp_ne_u32_e32 vcc_lo, 0, v227
	v_cndmask_b32_e32 v227, 27, v227, vcc_lo
; %bb.550:
	s_andn2_saveexec_b32 s0, s0
	s_cbranch_execz .LBB104_556
; %bb.551:
	v_cmp_ngt_f64_e64 s1, |v[214:215]|, |v[216:217]|
	s_and_saveexec_b32 s7, s1
	s_xor_b32 s1, exec_lo, s7
	s_cbranch_execz .LBB104_553
; %bb.552:
	v_div_scale_f64 v[229:230], null, v[216:217], v[216:217], v[214:215]
	v_div_scale_f64 v[235:236], vcc_lo, v[214:215], v[216:217], v[214:215]
	v_rcp_f64_e32 v[231:232], v[229:230]
	v_fma_f64 v[233:234], -v[229:230], v[231:232], 1.0
	v_fma_f64 v[231:232], v[231:232], v[233:234], v[231:232]
	v_fma_f64 v[233:234], -v[229:230], v[231:232], 1.0
	v_fma_f64 v[231:232], v[231:232], v[233:234], v[231:232]
	v_mul_f64 v[233:234], v[235:236], v[231:232]
	v_fma_f64 v[229:230], -v[229:230], v[233:234], v[235:236]
	v_div_fmas_f64 v[229:230], v[229:230], v[231:232], v[233:234]
	v_div_fixup_f64 v[229:230], v[229:230], v[216:217], v[214:215]
	v_fma_f64 v[214:215], v[214:215], v[229:230], v[216:217]
	v_div_scale_f64 v[216:217], null, v[214:215], v[214:215], 1.0
	v_rcp_f64_e32 v[231:232], v[216:217]
	v_fma_f64 v[233:234], -v[216:217], v[231:232], 1.0
	v_fma_f64 v[231:232], v[231:232], v[233:234], v[231:232]
	v_fma_f64 v[233:234], -v[216:217], v[231:232], 1.0
	v_fma_f64 v[231:232], v[231:232], v[233:234], v[231:232]
	v_div_scale_f64 v[233:234], vcc_lo, 1.0, v[214:215], 1.0
	v_mul_f64 v[235:236], v[233:234], v[231:232]
	v_fma_f64 v[216:217], -v[216:217], v[235:236], v[233:234]
	v_div_fmas_f64 v[216:217], v[216:217], v[231:232], v[235:236]
	v_div_fixup_f64 v[216:217], v[216:217], v[214:215], 1.0
	v_mul_f64 v[214:215], v[229:230], v[216:217]
	v_xor_b32_e32 v217, 0x80000000, v217
.LBB104_553:
	s_andn2_saveexec_b32 s1, s1
	s_cbranch_execz .LBB104_555
; %bb.554:
	v_div_scale_f64 v[229:230], null, v[214:215], v[214:215], v[216:217]
	v_div_scale_f64 v[235:236], vcc_lo, v[216:217], v[214:215], v[216:217]
	v_rcp_f64_e32 v[231:232], v[229:230]
	v_fma_f64 v[233:234], -v[229:230], v[231:232], 1.0
	v_fma_f64 v[231:232], v[231:232], v[233:234], v[231:232]
	v_fma_f64 v[233:234], -v[229:230], v[231:232], 1.0
	v_fma_f64 v[231:232], v[231:232], v[233:234], v[231:232]
	v_mul_f64 v[233:234], v[235:236], v[231:232]
	v_fma_f64 v[229:230], -v[229:230], v[233:234], v[235:236]
	v_div_fmas_f64 v[229:230], v[229:230], v[231:232], v[233:234]
	v_div_fixup_f64 v[229:230], v[229:230], v[214:215], v[216:217]
	v_fma_f64 v[214:215], v[216:217], v[229:230], v[214:215]
	v_div_scale_f64 v[216:217], null, v[214:215], v[214:215], 1.0
	v_rcp_f64_e32 v[231:232], v[216:217]
	v_fma_f64 v[233:234], -v[216:217], v[231:232], 1.0
	v_fma_f64 v[231:232], v[231:232], v[233:234], v[231:232]
	v_fma_f64 v[233:234], -v[216:217], v[231:232], 1.0
	v_fma_f64 v[231:232], v[231:232], v[233:234], v[231:232]
	v_div_scale_f64 v[233:234], vcc_lo, 1.0, v[214:215], 1.0
	v_mul_f64 v[235:236], v[233:234], v[231:232]
	v_fma_f64 v[216:217], -v[216:217], v[235:236], v[233:234]
	v_div_fmas_f64 v[216:217], v[216:217], v[231:232], v[235:236]
	v_div_fixup_f64 v[214:215], v[216:217], v[214:215], 1.0
	v_mul_f64 v[216:217], v[229:230], -v[214:215]
.LBB104_555:
	s_or_b32 exec_lo, exec_lo, s1
.LBB104_556:
	s_or_b32 exec_lo, exec_lo, s0
	s_mov_b32 s0, exec_lo
	v_cmpx_ne_u32_e64 v228, v222
	s_xor_b32 s0, exec_lo, s0
	s_cbranch_execz .LBB104_562
; %bb.557:
	s_mov_b32 s1, exec_lo
	v_cmpx_eq_u32_e32 26, v228
	s_cbranch_execz .LBB104_561
; %bb.558:
	v_cmp_ne_u32_e32 vcc_lo, 26, v222
	s_xor_b32 s7, s16, -1
	s_and_b32 s9, s7, vcc_lo
	s_and_saveexec_b32 s7, s9
	s_cbranch_execz .LBB104_560
; %bb.559:
	v_ashrrev_i32_e32 v223, 31, v222
	v_lshlrev_b64 v[228:229], 2, v[222:223]
	v_add_co_u32 v228, vcc_lo, v220, v228
	v_add_co_ci_u32_e64 v229, null, v221, v229, vcc_lo
	s_clause 0x1
	global_load_dword v0, v[228:229], off
	global_load_dword v223, v[220:221], off offset:104
	s_waitcnt vmcnt(1)
	global_store_dword v[220:221], v0, off offset:104
	s_waitcnt vmcnt(0)
	global_store_dword v[228:229], v223, off
.LBB104_560:
	s_or_b32 exec_lo, exec_lo, s7
	v_mov_b32_e32 v228, v222
	v_mov_b32_e32 v0, v222
.LBB104_561:
	s_or_b32 exec_lo, exec_lo, s1
.LBB104_562:
	s_andn2_saveexec_b32 s0, s0
	s_cbranch_execz .LBB104_564
; %bb.563:
	v_mov_b32_e32 v228, 26
	ds_write2_b64 v1, v[102:103], v[104:105] offset0:54 offset1:55
	ds_write2_b64 v1, v[98:99], v[100:101] offset0:56 offset1:57
	;; [unrolled: 1-line block ×26, first 2 shown]
.LBB104_564:
	s_or_b32 exec_lo, exec_lo, s0
	s_mov_b32 s0, exec_lo
	s_waitcnt lgkmcnt(0)
	s_waitcnt_vscnt null, 0x0
	s_barrier
	buffer_gl0_inv
	v_cmpx_lt_i32_e32 26, v228
	s_cbranch_execz .LBB104_566
; %bb.565:
	v_mul_f64 v[222:223], v[216:217], v[108:109]
	v_mul_f64 v[108:109], v[214:215], v[108:109]
	v_fma_f64 v[222:223], v[214:215], v[106:107], -v[222:223]
	v_fma_f64 v[108:109], v[216:217], v[106:107], v[108:109]
	ds_read2_b64 v[214:217], v1 offset0:54 offset1:55
	s_waitcnt lgkmcnt(0)
	v_mul_f64 v[106:107], v[216:217], v[108:109]
	v_fma_f64 v[106:107], v[214:215], v[222:223], -v[106:107]
	v_mul_f64 v[214:215], v[214:215], v[108:109]
	v_add_f64 v[102:103], v[102:103], -v[106:107]
	v_fma_f64 v[214:215], v[216:217], v[222:223], v[214:215]
	v_add_f64 v[104:105], v[104:105], -v[214:215]
	ds_read2_b64 v[214:217], v1 offset0:56 offset1:57
	s_waitcnt lgkmcnt(0)
	v_mul_f64 v[106:107], v[216:217], v[108:109]
	v_fma_f64 v[106:107], v[214:215], v[222:223], -v[106:107]
	v_mul_f64 v[214:215], v[214:215], v[108:109]
	v_add_f64 v[98:99], v[98:99], -v[106:107]
	v_fma_f64 v[214:215], v[216:217], v[222:223], v[214:215]
	v_add_f64 v[100:101], v[100:101], -v[214:215]
	;; [unrolled: 8-line block ×25, first 2 shown]
	ds_read2_b64 v[214:217], v1 offset0:104 offset1:105
	s_waitcnt lgkmcnt(0)
	v_mul_f64 v[106:107], v[216:217], v[108:109]
	v_fma_f64 v[106:107], v[214:215], v[222:223], -v[106:107]
	v_mul_f64 v[214:215], v[214:215], v[108:109]
	v_add_f64 v[2:3], v[2:3], -v[106:107]
	v_fma_f64 v[214:215], v[216:217], v[222:223], v[214:215]
	v_mov_b32_e32 v106, v222
	v_mov_b32_e32 v107, v223
	v_add_f64 v[4:5], v[4:5], -v[214:215]
.LBB104_566:
	s_or_b32 exec_lo, exec_lo, s0
	v_lshl_add_u32 v214, v228, 4, v1
	s_barrier
	buffer_gl0_inv
	v_mov_b32_e32 v222, 27
	ds_write2_b64 v214, v[102:103], v[104:105] offset1:1
	s_waitcnt lgkmcnt(0)
	s_barrier
	buffer_gl0_inv
	ds_read2_b64 v[214:217], v1 offset0:54 offset1:55
	s_cmp_lt_i32 s8, 29
	s_cbranch_scc1 .LBB104_569
; %bb.567:
	v_add3_u32 v223, v224, 0, 0x1c0
	v_mov_b32_e32 v222, 27
	s_mov_b32 s1, 28
	s_inst_prefetch 0x1
	.p2align	6
.LBB104_568:                            ; =>This Inner Loop Header: Depth=1
	s_waitcnt lgkmcnt(0)
	v_cmp_gt_f64_e32 vcc_lo, 0, v[216:217]
	v_cmp_gt_f64_e64 s0, 0, v[214:215]
	ds_read2_b64 v[229:232], v223 offset1:1
	v_xor_b32_e32 v234, 0x80000000, v215
	v_xor_b32_e32 v236, 0x80000000, v217
	v_mov_b32_e32 v233, v214
	v_mov_b32_e32 v235, v216
	v_add_nc_u32_e32 v223, 16, v223
	s_waitcnt lgkmcnt(0)
	v_xor_b32_e32 v238, 0x80000000, v232
	v_cndmask_b32_e64 v234, v215, v234, s0
	v_cndmask_b32_e32 v236, v217, v236, vcc_lo
	v_cmp_gt_f64_e32 vcc_lo, 0, v[231:232]
	v_cmp_gt_f64_e64 s0, 0, v[229:230]
	v_mov_b32_e32 v237, v231
	v_add_f64 v[233:234], v[233:234], v[235:236]
	v_xor_b32_e32 v236, 0x80000000, v230
	v_mov_b32_e32 v235, v229
	v_cndmask_b32_e32 v238, v232, v238, vcc_lo
	v_cndmask_b32_e64 v236, v230, v236, s0
	v_add_f64 v[235:236], v[235:236], v[237:238]
	v_cmp_lt_f64_e32 vcc_lo, v[233:234], v[235:236]
	v_cndmask_b32_e32 v215, v215, v230, vcc_lo
	v_cndmask_b32_e32 v214, v214, v229, vcc_lo
	;; [unrolled: 1-line block ×4, first 2 shown]
	v_cndmask_b32_e64 v222, v222, s1, vcc_lo
	s_add_i32 s1, s1, 1
	s_cmp_lg_u32 s8, s1
	s_cbranch_scc1 .LBB104_568
.LBB104_569:
	s_inst_prefetch 0x2
	s_waitcnt lgkmcnt(0)
	v_cmp_eq_f64_e32 vcc_lo, 0, v[214:215]
	v_cmp_eq_f64_e64 s0, 0, v[216:217]
	s_and_b32 s0, vcc_lo, s0
	s_and_saveexec_b32 s1, s0
	s_xor_b32 s0, exec_lo, s1
; %bb.570:
	v_cmp_ne_u32_e32 vcc_lo, 0, v227
	v_cndmask_b32_e32 v227, 28, v227, vcc_lo
; %bb.571:
	s_andn2_saveexec_b32 s0, s0
	s_cbranch_execz .LBB104_577
; %bb.572:
	v_cmp_ngt_f64_e64 s1, |v[214:215]|, |v[216:217]|
	s_and_saveexec_b32 s7, s1
	s_xor_b32 s1, exec_lo, s7
	s_cbranch_execz .LBB104_574
; %bb.573:
	v_div_scale_f64 v[229:230], null, v[216:217], v[216:217], v[214:215]
	v_div_scale_f64 v[235:236], vcc_lo, v[214:215], v[216:217], v[214:215]
	v_rcp_f64_e32 v[231:232], v[229:230]
	v_fma_f64 v[233:234], -v[229:230], v[231:232], 1.0
	v_fma_f64 v[231:232], v[231:232], v[233:234], v[231:232]
	v_fma_f64 v[233:234], -v[229:230], v[231:232], 1.0
	v_fma_f64 v[231:232], v[231:232], v[233:234], v[231:232]
	v_mul_f64 v[233:234], v[235:236], v[231:232]
	v_fma_f64 v[229:230], -v[229:230], v[233:234], v[235:236]
	v_div_fmas_f64 v[229:230], v[229:230], v[231:232], v[233:234]
	v_div_fixup_f64 v[229:230], v[229:230], v[216:217], v[214:215]
	v_fma_f64 v[214:215], v[214:215], v[229:230], v[216:217]
	v_div_scale_f64 v[216:217], null, v[214:215], v[214:215], 1.0
	v_rcp_f64_e32 v[231:232], v[216:217]
	v_fma_f64 v[233:234], -v[216:217], v[231:232], 1.0
	v_fma_f64 v[231:232], v[231:232], v[233:234], v[231:232]
	v_fma_f64 v[233:234], -v[216:217], v[231:232], 1.0
	v_fma_f64 v[231:232], v[231:232], v[233:234], v[231:232]
	v_div_scale_f64 v[233:234], vcc_lo, 1.0, v[214:215], 1.0
	v_mul_f64 v[235:236], v[233:234], v[231:232]
	v_fma_f64 v[216:217], -v[216:217], v[235:236], v[233:234]
	v_div_fmas_f64 v[216:217], v[216:217], v[231:232], v[235:236]
	v_div_fixup_f64 v[216:217], v[216:217], v[214:215], 1.0
	v_mul_f64 v[214:215], v[229:230], v[216:217]
	v_xor_b32_e32 v217, 0x80000000, v217
.LBB104_574:
	s_andn2_saveexec_b32 s1, s1
	s_cbranch_execz .LBB104_576
; %bb.575:
	v_div_scale_f64 v[229:230], null, v[214:215], v[214:215], v[216:217]
	v_div_scale_f64 v[235:236], vcc_lo, v[216:217], v[214:215], v[216:217]
	v_rcp_f64_e32 v[231:232], v[229:230]
	v_fma_f64 v[233:234], -v[229:230], v[231:232], 1.0
	v_fma_f64 v[231:232], v[231:232], v[233:234], v[231:232]
	v_fma_f64 v[233:234], -v[229:230], v[231:232], 1.0
	v_fma_f64 v[231:232], v[231:232], v[233:234], v[231:232]
	v_mul_f64 v[233:234], v[235:236], v[231:232]
	v_fma_f64 v[229:230], -v[229:230], v[233:234], v[235:236]
	v_div_fmas_f64 v[229:230], v[229:230], v[231:232], v[233:234]
	v_div_fixup_f64 v[229:230], v[229:230], v[214:215], v[216:217]
	v_fma_f64 v[214:215], v[216:217], v[229:230], v[214:215]
	v_div_scale_f64 v[216:217], null, v[214:215], v[214:215], 1.0
	v_rcp_f64_e32 v[231:232], v[216:217]
	v_fma_f64 v[233:234], -v[216:217], v[231:232], 1.0
	v_fma_f64 v[231:232], v[231:232], v[233:234], v[231:232]
	v_fma_f64 v[233:234], -v[216:217], v[231:232], 1.0
	v_fma_f64 v[231:232], v[231:232], v[233:234], v[231:232]
	v_div_scale_f64 v[233:234], vcc_lo, 1.0, v[214:215], 1.0
	v_mul_f64 v[235:236], v[233:234], v[231:232]
	v_fma_f64 v[216:217], -v[216:217], v[235:236], v[233:234]
	v_div_fmas_f64 v[216:217], v[216:217], v[231:232], v[235:236]
	v_div_fixup_f64 v[214:215], v[216:217], v[214:215], 1.0
	v_mul_f64 v[216:217], v[229:230], -v[214:215]
.LBB104_576:
	s_or_b32 exec_lo, exec_lo, s1
.LBB104_577:
	s_or_b32 exec_lo, exec_lo, s0
	s_mov_b32 s0, exec_lo
	v_cmpx_ne_u32_e64 v228, v222
	s_xor_b32 s0, exec_lo, s0
	s_cbranch_execz .LBB104_583
; %bb.578:
	s_mov_b32 s1, exec_lo
	v_cmpx_eq_u32_e32 27, v228
	s_cbranch_execz .LBB104_582
; %bb.579:
	v_cmp_ne_u32_e32 vcc_lo, 27, v222
	s_xor_b32 s7, s16, -1
	s_and_b32 s9, s7, vcc_lo
	s_and_saveexec_b32 s7, s9
	s_cbranch_execz .LBB104_581
; %bb.580:
	v_ashrrev_i32_e32 v223, 31, v222
	v_lshlrev_b64 v[228:229], 2, v[222:223]
	v_add_co_u32 v228, vcc_lo, v220, v228
	v_add_co_ci_u32_e64 v229, null, v221, v229, vcc_lo
	s_clause 0x1
	global_load_dword v0, v[228:229], off
	global_load_dword v223, v[220:221], off offset:108
	s_waitcnt vmcnt(1)
	global_store_dword v[220:221], v0, off offset:108
	s_waitcnt vmcnt(0)
	global_store_dword v[228:229], v223, off
.LBB104_581:
	s_or_b32 exec_lo, exec_lo, s7
	v_mov_b32_e32 v228, v222
	v_mov_b32_e32 v0, v222
.LBB104_582:
	s_or_b32 exec_lo, exec_lo, s1
.LBB104_583:
	s_andn2_saveexec_b32 s0, s0
	s_cbranch_execz .LBB104_585
; %bb.584:
	v_mov_b32_e32 v228, 27
	ds_write2_b64 v1, v[98:99], v[100:101] offset0:56 offset1:57
	ds_write2_b64 v1, v[94:95], v[96:97] offset0:58 offset1:59
	;; [unrolled: 1-line block ×25, first 2 shown]
.LBB104_585:
	s_or_b32 exec_lo, exec_lo, s0
	s_mov_b32 s0, exec_lo
	s_waitcnt lgkmcnt(0)
	s_waitcnt_vscnt null, 0x0
	s_barrier
	buffer_gl0_inv
	v_cmpx_lt_i32_e32 27, v228
	s_cbranch_execz .LBB104_587
; %bb.586:
	v_mul_f64 v[222:223], v[216:217], v[104:105]
	v_mul_f64 v[104:105], v[214:215], v[104:105]
	v_fma_f64 v[222:223], v[214:215], v[102:103], -v[222:223]
	v_fma_f64 v[104:105], v[216:217], v[102:103], v[104:105]
	ds_read2_b64 v[214:217], v1 offset0:56 offset1:57
	s_waitcnt lgkmcnt(0)
	v_mul_f64 v[102:103], v[216:217], v[104:105]
	v_fma_f64 v[102:103], v[214:215], v[222:223], -v[102:103]
	v_mul_f64 v[214:215], v[214:215], v[104:105]
	v_add_f64 v[98:99], v[98:99], -v[102:103]
	v_fma_f64 v[214:215], v[216:217], v[222:223], v[214:215]
	v_add_f64 v[100:101], v[100:101], -v[214:215]
	ds_read2_b64 v[214:217], v1 offset0:58 offset1:59
	s_waitcnt lgkmcnt(0)
	v_mul_f64 v[102:103], v[216:217], v[104:105]
	v_fma_f64 v[102:103], v[214:215], v[222:223], -v[102:103]
	v_mul_f64 v[214:215], v[214:215], v[104:105]
	v_add_f64 v[94:95], v[94:95], -v[102:103]
	v_fma_f64 v[214:215], v[216:217], v[222:223], v[214:215]
	v_add_f64 v[96:97], v[96:97], -v[214:215]
	;; [unrolled: 8-line block ×24, first 2 shown]
	ds_read2_b64 v[214:217], v1 offset0:104 offset1:105
	s_waitcnt lgkmcnt(0)
	v_mul_f64 v[102:103], v[216:217], v[104:105]
	v_fma_f64 v[102:103], v[214:215], v[222:223], -v[102:103]
	v_mul_f64 v[214:215], v[214:215], v[104:105]
	v_add_f64 v[2:3], v[2:3], -v[102:103]
	v_fma_f64 v[214:215], v[216:217], v[222:223], v[214:215]
	v_mov_b32_e32 v102, v222
	v_mov_b32_e32 v103, v223
	v_add_f64 v[4:5], v[4:5], -v[214:215]
.LBB104_587:
	s_or_b32 exec_lo, exec_lo, s0
	v_lshl_add_u32 v214, v228, 4, v1
	s_barrier
	buffer_gl0_inv
	v_mov_b32_e32 v222, 28
	ds_write2_b64 v214, v[98:99], v[100:101] offset1:1
	s_waitcnt lgkmcnt(0)
	s_barrier
	buffer_gl0_inv
	ds_read2_b64 v[214:217], v1 offset0:56 offset1:57
	s_cmp_lt_i32 s8, 30
	s_cbranch_scc1 .LBB104_590
; %bb.588:
	v_add3_u32 v223, v224, 0, 0x1d0
	v_mov_b32_e32 v222, 28
	s_mov_b32 s1, 29
	s_inst_prefetch 0x1
	.p2align	6
.LBB104_589:                            ; =>This Inner Loop Header: Depth=1
	s_waitcnt lgkmcnt(0)
	v_cmp_gt_f64_e32 vcc_lo, 0, v[216:217]
	v_cmp_gt_f64_e64 s0, 0, v[214:215]
	ds_read2_b64 v[229:232], v223 offset1:1
	v_xor_b32_e32 v234, 0x80000000, v215
	v_xor_b32_e32 v236, 0x80000000, v217
	v_mov_b32_e32 v233, v214
	v_mov_b32_e32 v235, v216
	v_add_nc_u32_e32 v223, 16, v223
	s_waitcnt lgkmcnt(0)
	v_xor_b32_e32 v238, 0x80000000, v232
	v_cndmask_b32_e64 v234, v215, v234, s0
	v_cndmask_b32_e32 v236, v217, v236, vcc_lo
	v_cmp_gt_f64_e32 vcc_lo, 0, v[231:232]
	v_cmp_gt_f64_e64 s0, 0, v[229:230]
	v_mov_b32_e32 v237, v231
	v_add_f64 v[233:234], v[233:234], v[235:236]
	v_xor_b32_e32 v236, 0x80000000, v230
	v_mov_b32_e32 v235, v229
	v_cndmask_b32_e32 v238, v232, v238, vcc_lo
	v_cndmask_b32_e64 v236, v230, v236, s0
	v_add_f64 v[235:236], v[235:236], v[237:238]
	v_cmp_lt_f64_e32 vcc_lo, v[233:234], v[235:236]
	v_cndmask_b32_e32 v215, v215, v230, vcc_lo
	v_cndmask_b32_e32 v214, v214, v229, vcc_lo
	;; [unrolled: 1-line block ×4, first 2 shown]
	v_cndmask_b32_e64 v222, v222, s1, vcc_lo
	s_add_i32 s1, s1, 1
	s_cmp_lg_u32 s8, s1
	s_cbranch_scc1 .LBB104_589
.LBB104_590:
	s_inst_prefetch 0x2
	s_waitcnt lgkmcnt(0)
	v_cmp_eq_f64_e32 vcc_lo, 0, v[214:215]
	v_cmp_eq_f64_e64 s0, 0, v[216:217]
	s_and_b32 s0, vcc_lo, s0
	s_and_saveexec_b32 s1, s0
	s_xor_b32 s0, exec_lo, s1
; %bb.591:
	v_cmp_ne_u32_e32 vcc_lo, 0, v227
	v_cndmask_b32_e32 v227, 29, v227, vcc_lo
; %bb.592:
	s_andn2_saveexec_b32 s0, s0
	s_cbranch_execz .LBB104_598
; %bb.593:
	v_cmp_ngt_f64_e64 s1, |v[214:215]|, |v[216:217]|
	s_and_saveexec_b32 s7, s1
	s_xor_b32 s1, exec_lo, s7
	s_cbranch_execz .LBB104_595
; %bb.594:
	v_div_scale_f64 v[229:230], null, v[216:217], v[216:217], v[214:215]
	v_div_scale_f64 v[235:236], vcc_lo, v[214:215], v[216:217], v[214:215]
	v_rcp_f64_e32 v[231:232], v[229:230]
	v_fma_f64 v[233:234], -v[229:230], v[231:232], 1.0
	v_fma_f64 v[231:232], v[231:232], v[233:234], v[231:232]
	v_fma_f64 v[233:234], -v[229:230], v[231:232], 1.0
	v_fma_f64 v[231:232], v[231:232], v[233:234], v[231:232]
	v_mul_f64 v[233:234], v[235:236], v[231:232]
	v_fma_f64 v[229:230], -v[229:230], v[233:234], v[235:236]
	v_div_fmas_f64 v[229:230], v[229:230], v[231:232], v[233:234]
	v_div_fixup_f64 v[229:230], v[229:230], v[216:217], v[214:215]
	v_fma_f64 v[214:215], v[214:215], v[229:230], v[216:217]
	v_div_scale_f64 v[216:217], null, v[214:215], v[214:215], 1.0
	v_rcp_f64_e32 v[231:232], v[216:217]
	v_fma_f64 v[233:234], -v[216:217], v[231:232], 1.0
	v_fma_f64 v[231:232], v[231:232], v[233:234], v[231:232]
	v_fma_f64 v[233:234], -v[216:217], v[231:232], 1.0
	v_fma_f64 v[231:232], v[231:232], v[233:234], v[231:232]
	v_div_scale_f64 v[233:234], vcc_lo, 1.0, v[214:215], 1.0
	v_mul_f64 v[235:236], v[233:234], v[231:232]
	v_fma_f64 v[216:217], -v[216:217], v[235:236], v[233:234]
	v_div_fmas_f64 v[216:217], v[216:217], v[231:232], v[235:236]
	v_div_fixup_f64 v[216:217], v[216:217], v[214:215], 1.0
	v_mul_f64 v[214:215], v[229:230], v[216:217]
	v_xor_b32_e32 v217, 0x80000000, v217
.LBB104_595:
	s_andn2_saveexec_b32 s1, s1
	s_cbranch_execz .LBB104_597
; %bb.596:
	v_div_scale_f64 v[229:230], null, v[214:215], v[214:215], v[216:217]
	v_div_scale_f64 v[235:236], vcc_lo, v[216:217], v[214:215], v[216:217]
	v_rcp_f64_e32 v[231:232], v[229:230]
	v_fma_f64 v[233:234], -v[229:230], v[231:232], 1.0
	v_fma_f64 v[231:232], v[231:232], v[233:234], v[231:232]
	v_fma_f64 v[233:234], -v[229:230], v[231:232], 1.0
	v_fma_f64 v[231:232], v[231:232], v[233:234], v[231:232]
	v_mul_f64 v[233:234], v[235:236], v[231:232]
	v_fma_f64 v[229:230], -v[229:230], v[233:234], v[235:236]
	v_div_fmas_f64 v[229:230], v[229:230], v[231:232], v[233:234]
	v_div_fixup_f64 v[229:230], v[229:230], v[214:215], v[216:217]
	v_fma_f64 v[214:215], v[216:217], v[229:230], v[214:215]
	v_div_scale_f64 v[216:217], null, v[214:215], v[214:215], 1.0
	v_rcp_f64_e32 v[231:232], v[216:217]
	v_fma_f64 v[233:234], -v[216:217], v[231:232], 1.0
	v_fma_f64 v[231:232], v[231:232], v[233:234], v[231:232]
	v_fma_f64 v[233:234], -v[216:217], v[231:232], 1.0
	v_fma_f64 v[231:232], v[231:232], v[233:234], v[231:232]
	v_div_scale_f64 v[233:234], vcc_lo, 1.0, v[214:215], 1.0
	v_mul_f64 v[235:236], v[233:234], v[231:232]
	v_fma_f64 v[216:217], -v[216:217], v[235:236], v[233:234]
	v_div_fmas_f64 v[216:217], v[216:217], v[231:232], v[235:236]
	v_div_fixup_f64 v[214:215], v[216:217], v[214:215], 1.0
	v_mul_f64 v[216:217], v[229:230], -v[214:215]
.LBB104_597:
	s_or_b32 exec_lo, exec_lo, s1
.LBB104_598:
	s_or_b32 exec_lo, exec_lo, s0
	s_mov_b32 s0, exec_lo
	v_cmpx_ne_u32_e64 v228, v222
	s_xor_b32 s0, exec_lo, s0
	s_cbranch_execz .LBB104_604
; %bb.599:
	s_mov_b32 s1, exec_lo
	v_cmpx_eq_u32_e32 28, v228
	s_cbranch_execz .LBB104_603
; %bb.600:
	v_cmp_ne_u32_e32 vcc_lo, 28, v222
	s_xor_b32 s7, s16, -1
	s_and_b32 s9, s7, vcc_lo
	s_and_saveexec_b32 s7, s9
	s_cbranch_execz .LBB104_602
; %bb.601:
	v_ashrrev_i32_e32 v223, 31, v222
	v_lshlrev_b64 v[228:229], 2, v[222:223]
	v_add_co_u32 v228, vcc_lo, v220, v228
	v_add_co_ci_u32_e64 v229, null, v221, v229, vcc_lo
	s_clause 0x1
	global_load_dword v0, v[228:229], off
	global_load_dword v223, v[220:221], off offset:112
	s_waitcnt vmcnt(1)
	global_store_dword v[220:221], v0, off offset:112
	s_waitcnt vmcnt(0)
	global_store_dword v[228:229], v223, off
.LBB104_602:
	s_or_b32 exec_lo, exec_lo, s7
	v_mov_b32_e32 v228, v222
	v_mov_b32_e32 v0, v222
.LBB104_603:
	s_or_b32 exec_lo, exec_lo, s1
.LBB104_604:
	s_andn2_saveexec_b32 s0, s0
	s_cbranch_execz .LBB104_606
; %bb.605:
	v_mov_b32_e32 v228, 28
	ds_write2_b64 v1, v[94:95], v[96:97] offset0:58 offset1:59
	ds_write2_b64 v1, v[90:91], v[92:93] offset0:60 offset1:61
	;; [unrolled: 1-line block ×24, first 2 shown]
.LBB104_606:
	s_or_b32 exec_lo, exec_lo, s0
	s_mov_b32 s0, exec_lo
	s_waitcnt lgkmcnt(0)
	s_waitcnt_vscnt null, 0x0
	s_barrier
	buffer_gl0_inv
	v_cmpx_lt_i32_e32 28, v228
	s_cbranch_execz .LBB104_608
; %bb.607:
	v_mul_f64 v[222:223], v[216:217], v[100:101]
	v_mul_f64 v[100:101], v[214:215], v[100:101]
	v_fma_f64 v[222:223], v[214:215], v[98:99], -v[222:223]
	v_fma_f64 v[100:101], v[216:217], v[98:99], v[100:101]
	ds_read2_b64 v[214:217], v1 offset0:58 offset1:59
	s_waitcnt lgkmcnt(0)
	v_mul_f64 v[98:99], v[216:217], v[100:101]
	v_fma_f64 v[98:99], v[214:215], v[222:223], -v[98:99]
	v_mul_f64 v[214:215], v[214:215], v[100:101]
	v_add_f64 v[94:95], v[94:95], -v[98:99]
	v_fma_f64 v[214:215], v[216:217], v[222:223], v[214:215]
	v_add_f64 v[96:97], v[96:97], -v[214:215]
	ds_read2_b64 v[214:217], v1 offset0:60 offset1:61
	s_waitcnt lgkmcnt(0)
	v_mul_f64 v[98:99], v[216:217], v[100:101]
	v_fma_f64 v[98:99], v[214:215], v[222:223], -v[98:99]
	v_mul_f64 v[214:215], v[214:215], v[100:101]
	v_add_f64 v[90:91], v[90:91], -v[98:99]
	v_fma_f64 v[214:215], v[216:217], v[222:223], v[214:215]
	v_add_f64 v[92:93], v[92:93], -v[214:215]
	ds_read2_b64 v[214:217], v1 offset0:62 offset1:63
	s_waitcnt lgkmcnt(0)
	v_mul_f64 v[98:99], v[216:217], v[100:101]
	v_fma_f64 v[98:99], v[214:215], v[222:223], -v[98:99]
	v_mul_f64 v[214:215], v[214:215], v[100:101]
	v_add_f64 v[86:87], v[86:87], -v[98:99]
	v_fma_f64 v[214:215], v[216:217], v[222:223], v[214:215]
	v_add_f64 v[88:89], v[88:89], -v[214:215]
	ds_read2_b64 v[214:217], v1 offset0:64 offset1:65
	s_waitcnt lgkmcnt(0)
	v_mul_f64 v[98:99], v[216:217], v[100:101]
	v_fma_f64 v[98:99], v[214:215], v[222:223], -v[98:99]
	v_mul_f64 v[214:215], v[214:215], v[100:101]
	v_add_f64 v[82:83], v[82:83], -v[98:99]
	v_fma_f64 v[214:215], v[216:217], v[222:223], v[214:215]
	v_add_f64 v[84:85], v[84:85], -v[214:215]
	ds_read2_b64 v[214:217], v1 offset0:66 offset1:67
	s_waitcnt lgkmcnt(0)
	v_mul_f64 v[98:99], v[216:217], v[100:101]
	v_fma_f64 v[98:99], v[214:215], v[222:223], -v[98:99]
	v_mul_f64 v[214:215], v[214:215], v[100:101]
	v_add_f64 v[78:79], v[78:79], -v[98:99]
	v_fma_f64 v[214:215], v[216:217], v[222:223], v[214:215]
	v_add_f64 v[80:81], v[80:81], -v[214:215]
	ds_read2_b64 v[214:217], v1 offset0:68 offset1:69
	s_waitcnt lgkmcnt(0)
	v_mul_f64 v[98:99], v[216:217], v[100:101]
	v_fma_f64 v[98:99], v[214:215], v[222:223], -v[98:99]
	v_mul_f64 v[214:215], v[214:215], v[100:101]
	v_add_f64 v[74:75], v[74:75], -v[98:99]
	v_fma_f64 v[214:215], v[216:217], v[222:223], v[214:215]
	v_add_f64 v[76:77], v[76:77], -v[214:215]
	ds_read2_b64 v[214:217], v1 offset0:70 offset1:71
	s_waitcnt lgkmcnt(0)
	v_mul_f64 v[98:99], v[216:217], v[100:101]
	v_fma_f64 v[98:99], v[214:215], v[222:223], -v[98:99]
	v_mul_f64 v[214:215], v[214:215], v[100:101]
	v_add_f64 v[70:71], v[70:71], -v[98:99]
	v_fma_f64 v[214:215], v[216:217], v[222:223], v[214:215]
	v_add_f64 v[72:73], v[72:73], -v[214:215]
	ds_read2_b64 v[214:217], v1 offset0:72 offset1:73
	s_waitcnt lgkmcnt(0)
	v_mul_f64 v[98:99], v[216:217], v[100:101]
	v_fma_f64 v[98:99], v[214:215], v[222:223], -v[98:99]
	v_mul_f64 v[214:215], v[214:215], v[100:101]
	v_add_f64 v[66:67], v[66:67], -v[98:99]
	v_fma_f64 v[214:215], v[216:217], v[222:223], v[214:215]
	v_add_f64 v[68:69], v[68:69], -v[214:215]
	ds_read2_b64 v[214:217], v1 offset0:74 offset1:75
	s_waitcnt lgkmcnt(0)
	v_mul_f64 v[98:99], v[216:217], v[100:101]
	v_fma_f64 v[98:99], v[214:215], v[222:223], -v[98:99]
	v_mul_f64 v[214:215], v[214:215], v[100:101]
	v_add_f64 v[62:63], v[62:63], -v[98:99]
	v_fma_f64 v[214:215], v[216:217], v[222:223], v[214:215]
	v_add_f64 v[64:65], v[64:65], -v[214:215]
	ds_read2_b64 v[214:217], v1 offset0:76 offset1:77
	s_waitcnt lgkmcnt(0)
	v_mul_f64 v[98:99], v[216:217], v[100:101]
	v_fma_f64 v[98:99], v[214:215], v[222:223], -v[98:99]
	v_mul_f64 v[214:215], v[214:215], v[100:101]
	v_add_f64 v[58:59], v[58:59], -v[98:99]
	v_fma_f64 v[214:215], v[216:217], v[222:223], v[214:215]
	v_add_f64 v[60:61], v[60:61], -v[214:215]
	ds_read2_b64 v[214:217], v1 offset0:78 offset1:79
	s_waitcnt lgkmcnt(0)
	v_mul_f64 v[98:99], v[216:217], v[100:101]
	v_fma_f64 v[98:99], v[214:215], v[222:223], -v[98:99]
	v_mul_f64 v[214:215], v[214:215], v[100:101]
	v_add_f64 v[54:55], v[54:55], -v[98:99]
	v_fma_f64 v[214:215], v[216:217], v[222:223], v[214:215]
	v_add_f64 v[56:57], v[56:57], -v[214:215]
	ds_read2_b64 v[214:217], v1 offset0:80 offset1:81
	s_waitcnt lgkmcnt(0)
	v_mul_f64 v[98:99], v[216:217], v[100:101]
	v_fma_f64 v[98:99], v[214:215], v[222:223], -v[98:99]
	v_mul_f64 v[214:215], v[214:215], v[100:101]
	v_add_f64 v[50:51], v[50:51], -v[98:99]
	v_fma_f64 v[214:215], v[216:217], v[222:223], v[214:215]
	v_add_f64 v[52:53], v[52:53], -v[214:215]
	ds_read2_b64 v[214:217], v1 offset0:82 offset1:83
	s_waitcnt lgkmcnt(0)
	v_mul_f64 v[98:99], v[216:217], v[100:101]
	v_fma_f64 v[98:99], v[214:215], v[222:223], -v[98:99]
	v_mul_f64 v[214:215], v[214:215], v[100:101]
	v_add_f64 v[46:47], v[46:47], -v[98:99]
	v_fma_f64 v[214:215], v[216:217], v[222:223], v[214:215]
	v_add_f64 v[48:49], v[48:49], -v[214:215]
	ds_read2_b64 v[214:217], v1 offset0:84 offset1:85
	s_waitcnt lgkmcnt(0)
	v_mul_f64 v[98:99], v[216:217], v[100:101]
	v_fma_f64 v[98:99], v[214:215], v[222:223], -v[98:99]
	v_mul_f64 v[214:215], v[214:215], v[100:101]
	v_add_f64 v[42:43], v[42:43], -v[98:99]
	v_fma_f64 v[214:215], v[216:217], v[222:223], v[214:215]
	v_add_f64 v[44:45], v[44:45], -v[214:215]
	ds_read2_b64 v[214:217], v1 offset0:86 offset1:87
	s_waitcnt lgkmcnt(0)
	v_mul_f64 v[98:99], v[216:217], v[100:101]
	v_fma_f64 v[98:99], v[214:215], v[222:223], -v[98:99]
	v_mul_f64 v[214:215], v[214:215], v[100:101]
	v_add_f64 v[38:39], v[38:39], -v[98:99]
	v_fma_f64 v[214:215], v[216:217], v[222:223], v[214:215]
	v_add_f64 v[40:41], v[40:41], -v[214:215]
	ds_read2_b64 v[214:217], v1 offset0:88 offset1:89
	s_waitcnt lgkmcnt(0)
	v_mul_f64 v[98:99], v[216:217], v[100:101]
	v_fma_f64 v[98:99], v[214:215], v[222:223], -v[98:99]
	v_mul_f64 v[214:215], v[214:215], v[100:101]
	v_add_f64 v[34:35], v[34:35], -v[98:99]
	v_fma_f64 v[214:215], v[216:217], v[222:223], v[214:215]
	v_add_f64 v[36:37], v[36:37], -v[214:215]
	ds_read2_b64 v[214:217], v1 offset0:90 offset1:91
	s_waitcnt lgkmcnt(0)
	v_mul_f64 v[98:99], v[216:217], v[100:101]
	v_fma_f64 v[98:99], v[214:215], v[222:223], -v[98:99]
	v_mul_f64 v[214:215], v[214:215], v[100:101]
	v_add_f64 v[30:31], v[30:31], -v[98:99]
	v_fma_f64 v[214:215], v[216:217], v[222:223], v[214:215]
	v_add_f64 v[32:33], v[32:33], -v[214:215]
	ds_read2_b64 v[214:217], v1 offset0:92 offset1:93
	s_waitcnt lgkmcnt(0)
	v_mul_f64 v[98:99], v[216:217], v[100:101]
	v_fma_f64 v[98:99], v[214:215], v[222:223], -v[98:99]
	v_mul_f64 v[214:215], v[214:215], v[100:101]
	v_add_f64 v[26:27], v[26:27], -v[98:99]
	v_fma_f64 v[214:215], v[216:217], v[222:223], v[214:215]
	v_add_f64 v[28:29], v[28:29], -v[214:215]
	ds_read2_b64 v[214:217], v1 offset0:94 offset1:95
	s_waitcnt lgkmcnt(0)
	v_mul_f64 v[98:99], v[216:217], v[100:101]
	v_fma_f64 v[98:99], v[214:215], v[222:223], -v[98:99]
	v_mul_f64 v[214:215], v[214:215], v[100:101]
	v_add_f64 v[22:23], v[22:23], -v[98:99]
	v_fma_f64 v[214:215], v[216:217], v[222:223], v[214:215]
	v_add_f64 v[24:25], v[24:25], -v[214:215]
	ds_read2_b64 v[214:217], v1 offset0:96 offset1:97
	s_waitcnt lgkmcnt(0)
	v_mul_f64 v[98:99], v[216:217], v[100:101]
	v_fma_f64 v[98:99], v[214:215], v[222:223], -v[98:99]
	v_mul_f64 v[214:215], v[214:215], v[100:101]
	v_add_f64 v[18:19], v[18:19], -v[98:99]
	v_fma_f64 v[214:215], v[216:217], v[222:223], v[214:215]
	v_add_f64 v[20:21], v[20:21], -v[214:215]
	ds_read2_b64 v[214:217], v1 offset0:98 offset1:99
	s_waitcnt lgkmcnt(0)
	v_mul_f64 v[98:99], v[216:217], v[100:101]
	v_fma_f64 v[98:99], v[214:215], v[222:223], -v[98:99]
	v_mul_f64 v[214:215], v[214:215], v[100:101]
	v_add_f64 v[14:15], v[14:15], -v[98:99]
	v_fma_f64 v[214:215], v[216:217], v[222:223], v[214:215]
	v_add_f64 v[16:17], v[16:17], -v[214:215]
	ds_read2_b64 v[214:217], v1 offset0:100 offset1:101
	s_waitcnt lgkmcnt(0)
	v_mul_f64 v[98:99], v[216:217], v[100:101]
	v_fma_f64 v[98:99], v[214:215], v[222:223], -v[98:99]
	v_mul_f64 v[214:215], v[214:215], v[100:101]
	v_add_f64 v[10:11], v[10:11], -v[98:99]
	v_fma_f64 v[214:215], v[216:217], v[222:223], v[214:215]
	v_add_f64 v[12:13], v[12:13], -v[214:215]
	ds_read2_b64 v[214:217], v1 offset0:102 offset1:103
	s_waitcnt lgkmcnt(0)
	v_mul_f64 v[98:99], v[216:217], v[100:101]
	v_fma_f64 v[98:99], v[214:215], v[222:223], -v[98:99]
	v_mul_f64 v[214:215], v[214:215], v[100:101]
	v_add_f64 v[6:7], v[6:7], -v[98:99]
	v_fma_f64 v[214:215], v[216:217], v[222:223], v[214:215]
	v_add_f64 v[8:9], v[8:9], -v[214:215]
	ds_read2_b64 v[214:217], v1 offset0:104 offset1:105
	s_waitcnt lgkmcnt(0)
	v_mul_f64 v[98:99], v[216:217], v[100:101]
	v_fma_f64 v[98:99], v[214:215], v[222:223], -v[98:99]
	v_mul_f64 v[214:215], v[214:215], v[100:101]
	v_add_f64 v[2:3], v[2:3], -v[98:99]
	v_fma_f64 v[214:215], v[216:217], v[222:223], v[214:215]
	v_mov_b32_e32 v98, v222
	v_mov_b32_e32 v99, v223
	v_add_f64 v[4:5], v[4:5], -v[214:215]
.LBB104_608:
	s_or_b32 exec_lo, exec_lo, s0
	v_lshl_add_u32 v214, v228, 4, v1
	s_barrier
	buffer_gl0_inv
	v_mov_b32_e32 v222, 29
	ds_write2_b64 v214, v[94:95], v[96:97] offset1:1
	s_waitcnt lgkmcnt(0)
	s_barrier
	buffer_gl0_inv
	ds_read2_b64 v[214:217], v1 offset0:58 offset1:59
	s_cmp_lt_i32 s8, 31
	s_cbranch_scc1 .LBB104_611
; %bb.609:
	v_add3_u32 v223, v224, 0, 0x1e0
	v_mov_b32_e32 v222, 29
	s_mov_b32 s1, 30
	s_inst_prefetch 0x1
	.p2align	6
.LBB104_610:                            ; =>This Inner Loop Header: Depth=1
	s_waitcnt lgkmcnt(0)
	v_cmp_gt_f64_e32 vcc_lo, 0, v[216:217]
	v_cmp_gt_f64_e64 s0, 0, v[214:215]
	ds_read2_b64 v[229:232], v223 offset1:1
	v_xor_b32_e32 v234, 0x80000000, v215
	v_xor_b32_e32 v236, 0x80000000, v217
	v_mov_b32_e32 v233, v214
	v_mov_b32_e32 v235, v216
	v_add_nc_u32_e32 v223, 16, v223
	s_waitcnt lgkmcnt(0)
	v_xor_b32_e32 v238, 0x80000000, v232
	v_cndmask_b32_e64 v234, v215, v234, s0
	v_cndmask_b32_e32 v236, v217, v236, vcc_lo
	v_cmp_gt_f64_e32 vcc_lo, 0, v[231:232]
	v_cmp_gt_f64_e64 s0, 0, v[229:230]
	v_mov_b32_e32 v237, v231
	v_add_f64 v[233:234], v[233:234], v[235:236]
	v_xor_b32_e32 v236, 0x80000000, v230
	v_mov_b32_e32 v235, v229
	v_cndmask_b32_e32 v238, v232, v238, vcc_lo
	v_cndmask_b32_e64 v236, v230, v236, s0
	v_add_f64 v[235:236], v[235:236], v[237:238]
	v_cmp_lt_f64_e32 vcc_lo, v[233:234], v[235:236]
	v_cndmask_b32_e32 v215, v215, v230, vcc_lo
	v_cndmask_b32_e32 v214, v214, v229, vcc_lo
	;; [unrolled: 1-line block ×4, first 2 shown]
	v_cndmask_b32_e64 v222, v222, s1, vcc_lo
	s_add_i32 s1, s1, 1
	s_cmp_lg_u32 s8, s1
	s_cbranch_scc1 .LBB104_610
.LBB104_611:
	s_inst_prefetch 0x2
	s_waitcnt lgkmcnt(0)
	v_cmp_eq_f64_e32 vcc_lo, 0, v[214:215]
	v_cmp_eq_f64_e64 s0, 0, v[216:217]
	s_and_b32 s0, vcc_lo, s0
	s_and_saveexec_b32 s1, s0
	s_xor_b32 s0, exec_lo, s1
; %bb.612:
	v_cmp_ne_u32_e32 vcc_lo, 0, v227
	v_cndmask_b32_e32 v227, 30, v227, vcc_lo
; %bb.613:
	s_andn2_saveexec_b32 s0, s0
	s_cbranch_execz .LBB104_619
; %bb.614:
	v_cmp_ngt_f64_e64 s1, |v[214:215]|, |v[216:217]|
	s_and_saveexec_b32 s7, s1
	s_xor_b32 s1, exec_lo, s7
	s_cbranch_execz .LBB104_616
; %bb.615:
	v_div_scale_f64 v[229:230], null, v[216:217], v[216:217], v[214:215]
	v_div_scale_f64 v[235:236], vcc_lo, v[214:215], v[216:217], v[214:215]
	v_rcp_f64_e32 v[231:232], v[229:230]
	v_fma_f64 v[233:234], -v[229:230], v[231:232], 1.0
	v_fma_f64 v[231:232], v[231:232], v[233:234], v[231:232]
	v_fma_f64 v[233:234], -v[229:230], v[231:232], 1.0
	v_fma_f64 v[231:232], v[231:232], v[233:234], v[231:232]
	v_mul_f64 v[233:234], v[235:236], v[231:232]
	v_fma_f64 v[229:230], -v[229:230], v[233:234], v[235:236]
	v_div_fmas_f64 v[229:230], v[229:230], v[231:232], v[233:234]
	v_div_fixup_f64 v[229:230], v[229:230], v[216:217], v[214:215]
	v_fma_f64 v[214:215], v[214:215], v[229:230], v[216:217]
	v_div_scale_f64 v[216:217], null, v[214:215], v[214:215], 1.0
	v_rcp_f64_e32 v[231:232], v[216:217]
	v_fma_f64 v[233:234], -v[216:217], v[231:232], 1.0
	v_fma_f64 v[231:232], v[231:232], v[233:234], v[231:232]
	v_fma_f64 v[233:234], -v[216:217], v[231:232], 1.0
	v_fma_f64 v[231:232], v[231:232], v[233:234], v[231:232]
	v_div_scale_f64 v[233:234], vcc_lo, 1.0, v[214:215], 1.0
	v_mul_f64 v[235:236], v[233:234], v[231:232]
	v_fma_f64 v[216:217], -v[216:217], v[235:236], v[233:234]
	v_div_fmas_f64 v[216:217], v[216:217], v[231:232], v[235:236]
	v_div_fixup_f64 v[216:217], v[216:217], v[214:215], 1.0
	v_mul_f64 v[214:215], v[229:230], v[216:217]
	v_xor_b32_e32 v217, 0x80000000, v217
.LBB104_616:
	s_andn2_saveexec_b32 s1, s1
	s_cbranch_execz .LBB104_618
; %bb.617:
	v_div_scale_f64 v[229:230], null, v[214:215], v[214:215], v[216:217]
	v_div_scale_f64 v[235:236], vcc_lo, v[216:217], v[214:215], v[216:217]
	v_rcp_f64_e32 v[231:232], v[229:230]
	v_fma_f64 v[233:234], -v[229:230], v[231:232], 1.0
	v_fma_f64 v[231:232], v[231:232], v[233:234], v[231:232]
	v_fma_f64 v[233:234], -v[229:230], v[231:232], 1.0
	v_fma_f64 v[231:232], v[231:232], v[233:234], v[231:232]
	v_mul_f64 v[233:234], v[235:236], v[231:232]
	v_fma_f64 v[229:230], -v[229:230], v[233:234], v[235:236]
	v_div_fmas_f64 v[229:230], v[229:230], v[231:232], v[233:234]
	v_div_fixup_f64 v[229:230], v[229:230], v[214:215], v[216:217]
	v_fma_f64 v[214:215], v[216:217], v[229:230], v[214:215]
	v_div_scale_f64 v[216:217], null, v[214:215], v[214:215], 1.0
	v_rcp_f64_e32 v[231:232], v[216:217]
	v_fma_f64 v[233:234], -v[216:217], v[231:232], 1.0
	v_fma_f64 v[231:232], v[231:232], v[233:234], v[231:232]
	v_fma_f64 v[233:234], -v[216:217], v[231:232], 1.0
	v_fma_f64 v[231:232], v[231:232], v[233:234], v[231:232]
	v_div_scale_f64 v[233:234], vcc_lo, 1.0, v[214:215], 1.0
	v_mul_f64 v[235:236], v[233:234], v[231:232]
	v_fma_f64 v[216:217], -v[216:217], v[235:236], v[233:234]
	v_div_fmas_f64 v[216:217], v[216:217], v[231:232], v[235:236]
	v_div_fixup_f64 v[214:215], v[216:217], v[214:215], 1.0
	v_mul_f64 v[216:217], v[229:230], -v[214:215]
.LBB104_618:
	s_or_b32 exec_lo, exec_lo, s1
.LBB104_619:
	s_or_b32 exec_lo, exec_lo, s0
	s_mov_b32 s0, exec_lo
	v_cmpx_ne_u32_e64 v228, v222
	s_xor_b32 s0, exec_lo, s0
	s_cbranch_execz .LBB104_625
; %bb.620:
	s_mov_b32 s1, exec_lo
	v_cmpx_eq_u32_e32 29, v228
	s_cbranch_execz .LBB104_624
; %bb.621:
	v_cmp_ne_u32_e32 vcc_lo, 29, v222
	s_xor_b32 s7, s16, -1
	s_and_b32 s9, s7, vcc_lo
	s_and_saveexec_b32 s7, s9
	s_cbranch_execz .LBB104_623
; %bb.622:
	v_ashrrev_i32_e32 v223, 31, v222
	v_lshlrev_b64 v[228:229], 2, v[222:223]
	v_add_co_u32 v228, vcc_lo, v220, v228
	v_add_co_ci_u32_e64 v229, null, v221, v229, vcc_lo
	s_clause 0x1
	global_load_dword v0, v[228:229], off
	global_load_dword v223, v[220:221], off offset:116
	s_waitcnt vmcnt(1)
	global_store_dword v[220:221], v0, off offset:116
	s_waitcnt vmcnt(0)
	global_store_dword v[228:229], v223, off
.LBB104_623:
	s_or_b32 exec_lo, exec_lo, s7
	v_mov_b32_e32 v228, v222
	v_mov_b32_e32 v0, v222
.LBB104_624:
	s_or_b32 exec_lo, exec_lo, s1
.LBB104_625:
	s_andn2_saveexec_b32 s0, s0
	s_cbranch_execz .LBB104_627
; %bb.626:
	v_mov_b32_e32 v228, 29
	ds_write2_b64 v1, v[90:91], v[92:93] offset0:60 offset1:61
	ds_write2_b64 v1, v[86:87], v[88:89] offset0:62 offset1:63
	ds_write2_b64 v1, v[82:83], v[84:85] offset0:64 offset1:65
	ds_write2_b64 v1, v[78:79], v[80:81] offset0:66 offset1:67
	ds_write2_b64 v1, v[74:75], v[76:77] offset0:68 offset1:69
	ds_write2_b64 v1, v[70:71], v[72:73] offset0:70 offset1:71
	ds_write2_b64 v1, v[66:67], v[68:69] offset0:72 offset1:73
	ds_write2_b64 v1, v[62:63], v[64:65] offset0:74 offset1:75
	ds_write2_b64 v1, v[58:59], v[60:61] offset0:76 offset1:77
	ds_write2_b64 v1, v[54:55], v[56:57] offset0:78 offset1:79
	ds_write2_b64 v1, v[50:51], v[52:53] offset0:80 offset1:81
	ds_write2_b64 v1, v[46:47], v[48:49] offset0:82 offset1:83
	ds_write2_b64 v1, v[42:43], v[44:45] offset0:84 offset1:85
	ds_write2_b64 v1, v[38:39], v[40:41] offset0:86 offset1:87
	ds_write2_b64 v1, v[34:35], v[36:37] offset0:88 offset1:89
	ds_write2_b64 v1, v[30:31], v[32:33] offset0:90 offset1:91
	ds_write2_b64 v1, v[26:27], v[28:29] offset0:92 offset1:93
	ds_write2_b64 v1, v[22:23], v[24:25] offset0:94 offset1:95
	ds_write2_b64 v1, v[18:19], v[20:21] offset0:96 offset1:97
	ds_write2_b64 v1, v[14:15], v[16:17] offset0:98 offset1:99
	ds_write2_b64 v1, v[10:11], v[12:13] offset0:100 offset1:101
	ds_write2_b64 v1, v[6:7], v[8:9] offset0:102 offset1:103
	ds_write2_b64 v1, v[2:3], v[4:5] offset0:104 offset1:105
.LBB104_627:
	s_or_b32 exec_lo, exec_lo, s0
	s_mov_b32 s0, exec_lo
	s_waitcnt lgkmcnt(0)
	s_waitcnt_vscnt null, 0x0
	s_barrier
	buffer_gl0_inv
	v_cmpx_lt_i32_e32 29, v228
	s_cbranch_execz .LBB104_629
; %bb.628:
	v_mul_f64 v[222:223], v[216:217], v[96:97]
	v_mul_f64 v[96:97], v[214:215], v[96:97]
	v_fma_f64 v[222:223], v[214:215], v[94:95], -v[222:223]
	v_fma_f64 v[96:97], v[216:217], v[94:95], v[96:97]
	ds_read2_b64 v[214:217], v1 offset0:60 offset1:61
	s_waitcnt lgkmcnt(0)
	v_mul_f64 v[94:95], v[216:217], v[96:97]
	v_fma_f64 v[94:95], v[214:215], v[222:223], -v[94:95]
	v_mul_f64 v[214:215], v[214:215], v[96:97]
	v_add_f64 v[90:91], v[90:91], -v[94:95]
	v_fma_f64 v[214:215], v[216:217], v[222:223], v[214:215]
	v_add_f64 v[92:93], v[92:93], -v[214:215]
	ds_read2_b64 v[214:217], v1 offset0:62 offset1:63
	s_waitcnt lgkmcnt(0)
	v_mul_f64 v[94:95], v[216:217], v[96:97]
	v_fma_f64 v[94:95], v[214:215], v[222:223], -v[94:95]
	v_mul_f64 v[214:215], v[214:215], v[96:97]
	v_add_f64 v[86:87], v[86:87], -v[94:95]
	v_fma_f64 v[214:215], v[216:217], v[222:223], v[214:215]
	v_add_f64 v[88:89], v[88:89], -v[214:215]
	;; [unrolled: 8-line block ×22, first 2 shown]
	ds_read2_b64 v[214:217], v1 offset0:104 offset1:105
	s_waitcnt lgkmcnt(0)
	v_mul_f64 v[94:95], v[216:217], v[96:97]
	v_fma_f64 v[94:95], v[214:215], v[222:223], -v[94:95]
	v_mul_f64 v[214:215], v[214:215], v[96:97]
	v_add_f64 v[2:3], v[2:3], -v[94:95]
	v_fma_f64 v[214:215], v[216:217], v[222:223], v[214:215]
	v_mov_b32_e32 v94, v222
	v_mov_b32_e32 v95, v223
	v_add_f64 v[4:5], v[4:5], -v[214:215]
.LBB104_629:
	s_or_b32 exec_lo, exec_lo, s0
	v_lshl_add_u32 v214, v228, 4, v1
	s_barrier
	buffer_gl0_inv
	v_mov_b32_e32 v222, 30
	ds_write2_b64 v214, v[90:91], v[92:93] offset1:1
	s_waitcnt lgkmcnt(0)
	s_barrier
	buffer_gl0_inv
	ds_read2_b64 v[214:217], v1 offset0:60 offset1:61
	s_cmp_lt_i32 s8, 32
	s_cbranch_scc1 .LBB104_632
; %bb.630:
	v_add3_u32 v223, v224, 0, 0x1f0
	v_mov_b32_e32 v222, 30
	s_mov_b32 s1, 31
	s_inst_prefetch 0x1
	.p2align	6
.LBB104_631:                            ; =>This Inner Loop Header: Depth=1
	s_waitcnt lgkmcnt(0)
	v_cmp_gt_f64_e32 vcc_lo, 0, v[216:217]
	v_cmp_gt_f64_e64 s0, 0, v[214:215]
	ds_read2_b64 v[229:232], v223 offset1:1
	v_xor_b32_e32 v234, 0x80000000, v215
	v_xor_b32_e32 v236, 0x80000000, v217
	v_mov_b32_e32 v233, v214
	v_mov_b32_e32 v235, v216
	v_add_nc_u32_e32 v223, 16, v223
	s_waitcnt lgkmcnt(0)
	v_xor_b32_e32 v238, 0x80000000, v232
	v_cndmask_b32_e64 v234, v215, v234, s0
	v_cndmask_b32_e32 v236, v217, v236, vcc_lo
	v_cmp_gt_f64_e32 vcc_lo, 0, v[231:232]
	v_cmp_gt_f64_e64 s0, 0, v[229:230]
	v_mov_b32_e32 v237, v231
	v_add_f64 v[233:234], v[233:234], v[235:236]
	v_xor_b32_e32 v236, 0x80000000, v230
	v_mov_b32_e32 v235, v229
	v_cndmask_b32_e32 v238, v232, v238, vcc_lo
	v_cndmask_b32_e64 v236, v230, v236, s0
	v_add_f64 v[235:236], v[235:236], v[237:238]
	v_cmp_lt_f64_e32 vcc_lo, v[233:234], v[235:236]
	v_cndmask_b32_e32 v215, v215, v230, vcc_lo
	v_cndmask_b32_e32 v214, v214, v229, vcc_lo
	;; [unrolled: 1-line block ×4, first 2 shown]
	v_cndmask_b32_e64 v222, v222, s1, vcc_lo
	s_add_i32 s1, s1, 1
	s_cmp_lg_u32 s8, s1
	s_cbranch_scc1 .LBB104_631
.LBB104_632:
	s_inst_prefetch 0x2
	s_waitcnt lgkmcnt(0)
	v_cmp_eq_f64_e32 vcc_lo, 0, v[214:215]
	v_cmp_eq_f64_e64 s0, 0, v[216:217]
	s_and_b32 s0, vcc_lo, s0
	s_and_saveexec_b32 s1, s0
	s_xor_b32 s0, exec_lo, s1
; %bb.633:
	v_cmp_ne_u32_e32 vcc_lo, 0, v227
	v_cndmask_b32_e32 v227, 31, v227, vcc_lo
; %bb.634:
	s_andn2_saveexec_b32 s0, s0
	s_cbranch_execz .LBB104_640
; %bb.635:
	v_cmp_ngt_f64_e64 s1, |v[214:215]|, |v[216:217]|
	s_and_saveexec_b32 s7, s1
	s_xor_b32 s1, exec_lo, s7
	s_cbranch_execz .LBB104_637
; %bb.636:
	v_div_scale_f64 v[229:230], null, v[216:217], v[216:217], v[214:215]
	v_div_scale_f64 v[235:236], vcc_lo, v[214:215], v[216:217], v[214:215]
	v_rcp_f64_e32 v[231:232], v[229:230]
	v_fma_f64 v[233:234], -v[229:230], v[231:232], 1.0
	v_fma_f64 v[231:232], v[231:232], v[233:234], v[231:232]
	v_fma_f64 v[233:234], -v[229:230], v[231:232], 1.0
	v_fma_f64 v[231:232], v[231:232], v[233:234], v[231:232]
	v_mul_f64 v[233:234], v[235:236], v[231:232]
	v_fma_f64 v[229:230], -v[229:230], v[233:234], v[235:236]
	v_div_fmas_f64 v[229:230], v[229:230], v[231:232], v[233:234]
	v_div_fixup_f64 v[229:230], v[229:230], v[216:217], v[214:215]
	v_fma_f64 v[214:215], v[214:215], v[229:230], v[216:217]
	v_div_scale_f64 v[216:217], null, v[214:215], v[214:215], 1.0
	v_rcp_f64_e32 v[231:232], v[216:217]
	v_fma_f64 v[233:234], -v[216:217], v[231:232], 1.0
	v_fma_f64 v[231:232], v[231:232], v[233:234], v[231:232]
	v_fma_f64 v[233:234], -v[216:217], v[231:232], 1.0
	v_fma_f64 v[231:232], v[231:232], v[233:234], v[231:232]
	v_div_scale_f64 v[233:234], vcc_lo, 1.0, v[214:215], 1.0
	v_mul_f64 v[235:236], v[233:234], v[231:232]
	v_fma_f64 v[216:217], -v[216:217], v[235:236], v[233:234]
	v_div_fmas_f64 v[216:217], v[216:217], v[231:232], v[235:236]
	v_div_fixup_f64 v[216:217], v[216:217], v[214:215], 1.0
	v_mul_f64 v[214:215], v[229:230], v[216:217]
	v_xor_b32_e32 v217, 0x80000000, v217
.LBB104_637:
	s_andn2_saveexec_b32 s1, s1
	s_cbranch_execz .LBB104_639
; %bb.638:
	v_div_scale_f64 v[229:230], null, v[214:215], v[214:215], v[216:217]
	v_div_scale_f64 v[235:236], vcc_lo, v[216:217], v[214:215], v[216:217]
	v_rcp_f64_e32 v[231:232], v[229:230]
	v_fma_f64 v[233:234], -v[229:230], v[231:232], 1.0
	v_fma_f64 v[231:232], v[231:232], v[233:234], v[231:232]
	v_fma_f64 v[233:234], -v[229:230], v[231:232], 1.0
	v_fma_f64 v[231:232], v[231:232], v[233:234], v[231:232]
	v_mul_f64 v[233:234], v[235:236], v[231:232]
	v_fma_f64 v[229:230], -v[229:230], v[233:234], v[235:236]
	v_div_fmas_f64 v[229:230], v[229:230], v[231:232], v[233:234]
	v_div_fixup_f64 v[229:230], v[229:230], v[214:215], v[216:217]
	v_fma_f64 v[214:215], v[216:217], v[229:230], v[214:215]
	v_div_scale_f64 v[216:217], null, v[214:215], v[214:215], 1.0
	v_rcp_f64_e32 v[231:232], v[216:217]
	v_fma_f64 v[233:234], -v[216:217], v[231:232], 1.0
	v_fma_f64 v[231:232], v[231:232], v[233:234], v[231:232]
	v_fma_f64 v[233:234], -v[216:217], v[231:232], 1.0
	v_fma_f64 v[231:232], v[231:232], v[233:234], v[231:232]
	v_div_scale_f64 v[233:234], vcc_lo, 1.0, v[214:215], 1.0
	v_mul_f64 v[235:236], v[233:234], v[231:232]
	v_fma_f64 v[216:217], -v[216:217], v[235:236], v[233:234]
	v_div_fmas_f64 v[216:217], v[216:217], v[231:232], v[235:236]
	v_div_fixup_f64 v[214:215], v[216:217], v[214:215], 1.0
	v_mul_f64 v[216:217], v[229:230], -v[214:215]
.LBB104_639:
	s_or_b32 exec_lo, exec_lo, s1
.LBB104_640:
	s_or_b32 exec_lo, exec_lo, s0
	s_mov_b32 s0, exec_lo
	v_cmpx_ne_u32_e64 v228, v222
	s_xor_b32 s0, exec_lo, s0
	s_cbranch_execz .LBB104_646
; %bb.641:
	s_mov_b32 s1, exec_lo
	v_cmpx_eq_u32_e32 30, v228
	s_cbranch_execz .LBB104_645
; %bb.642:
	v_cmp_ne_u32_e32 vcc_lo, 30, v222
	s_xor_b32 s7, s16, -1
	s_and_b32 s9, s7, vcc_lo
	s_and_saveexec_b32 s7, s9
	s_cbranch_execz .LBB104_644
; %bb.643:
	v_ashrrev_i32_e32 v223, 31, v222
	v_lshlrev_b64 v[228:229], 2, v[222:223]
	v_add_co_u32 v228, vcc_lo, v220, v228
	v_add_co_ci_u32_e64 v229, null, v221, v229, vcc_lo
	s_clause 0x1
	global_load_dword v0, v[228:229], off
	global_load_dword v223, v[220:221], off offset:120
	s_waitcnt vmcnt(1)
	global_store_dword v[220:221], v0, off offset:120
	s_waitcnt vmcnt(0)
	global_store_dword v[228:229], v223, off
.LBB104_644:
	s_or_b32 exec_lo, exec_lo, s7
	v_mov_b32_e32 v228, v222
	v_mov_b32_e32 v0, v222
.LBB104_645:
	s_or_b32 exec_lo, exec_lo, s1
.LBB104_646:
	s_andn2_saveexec_b32 s0, s0
	s_cbranch_execz .LBB104_648
; %bb.647:
	v_mov_b32_e32 v228, 30
	ds_write2_b64 v1, v[86:87], v[88:89] offset0:62 offset1:63
	ds_write2_b64 v1, v[82:83], v[84:85] offset0:64 offset1:65
	;; [unrolled: 1-line block ×22, first 2 shown]
.LBB104_648:
	s_or_b32 exec_lo, exec_lo, s0
	s_mov_b32 s0, exec_lo
	s_waitcnt lgkmcnt(0)
	s_waitcnt_vscnt null, 0x0
	s_barrier
	buffer_gl0_inv
	v_cmpx_lt_i32_e32 30, v228
	s_cbranch_execz .LBB104_650
; %bb.649:
	v_mul_f64 v[222:223], v[216:217], v[92:93]
	v_mul_f64 v[92:93], v[214:215], v[92:93]
	v_fma_f64 v[222:223], v[214:215], v[90:91], -v[222:223]
	v_fma_f64 v[92:93], v[216:217], v[90:91], v[92:93]
	ds_read2_b64 v[214:217], v1 offset0:62 offset1:63
	s_waitcnt lgkmcnt(0)
	v_mul_f64 v[90:91], v[216:217], v[92:93]
	v_fma_f64 v[90:91], v[214:215], v[222:223], -v[90:91]
	v_mul_f64 v[214:215], v[214:215], v[92:93]
	v_add_f64 v[86:87], v[86:87], -v[90:91]
	v_fma_f64 v[214:215], v[216:217], v[222:223], v[214:215]
	v_add_f64 v[88:89], v[88:89], -v[214:215]
	ds_read2_b64 v[214:217], v1 offset0:64 offset1:65
	s_waitcnt lgkmcnt(0)
	v_mul_f64 v[90:91], v[216:217], v[92:93]
	v_fma_f64 v[90:91], v[214:215], v[222:223], -v[90:91]
	v_mul_f64 v[214:215], v[214:215], v[92:93]
	v_add_f64 v[82:83], v[82:83], -v[90:91]
	v_fma_f64 v[214:215], v[216:217], v[222:223], v[214:215]
	v_add_f64 v[84:85], v[84:85], -v[214:215]
	;; [unrolled: 8-line block ×21, first 2 shown]
	ds_read2_b64 v[214:217], v1 offset0:104 offset1:105
	s_waitcnt lgkmcnt(0)
	v_mul_f64 v[90:91], v[216:217], v[92:93]
	v_fma_f64 v[90:91], v[214:215], v[222:223], -v[90:91]
	v_mul_f64 v[214:215], v[214:215], v[92:93]
	v_add_f64 v[2:3], v[2:3], -v[90:91]
	v_fma_f64 v[214:215], v[216:217], v[222:223], v[214:215]
	v_mov_b32_e32 v90, v222
	v_mov_b32_e32 v91, v223
	v_add_f64 v[4:5], v[4:5], -v[214:215]
.LBB104_650:
	s_or_b32 exec_lo, exec_lo, s0
	v_lshl_add_u32 v214, v228, 4, v1
	s_barrier
	buffer_gl0_inv
	v_mov_b32_e32 v222, 31
	ds_write2_b64 v214, v[86:87], v[88:89] offset1:1
	s_waitcnt lgkmcnt(0)
	s_barrier
	buffer_gl0_inv
	ds_read2_b64 v[214:217], v1 offset0:62 offset1:63
	s_cmp_lt_i32 s8, 33
	s_cbranch_scc1 .LBB104_653
; %bb.651:
	v_add3_u32 v223, v224, 0, 0x200
	v_mov_b32_e32 v222, 31
	s_mov_b32 s1, 32
	s_inst_prefetch 0x1
	.p2align	6
.LBB104_652:                            ; =>This Inner Loop Header: Depth=1
	s_waitcnt lgkmcnt(0)
	v_cmp_gt_f64_e32 vcc_lo, 0, v[216:217]
	v_cmp_gt_f64_e64 s0, 0, v[214:215]
	ds_read2_b64 v[229:232], v223 offset1:1
	v_xor_b32_e32 v234, 0x80000000, v215
	v_xor_b32_e32 v236, 0x80000000, v217
	v_mov_b32_e32 v233, v214
	v_mov_b32_e32 v235, v216
	v_add_nc_u32_e32 v223, 16, v223
	s_waitcnt lgkmcnt(0)
	v_xor_b32_e32 v238, 0x80000000, v232
	v_cndmask_b32_e64 v234, v215, v234, s0
	v_cndmask_b32_e32 v236, v217, v236, vcc_lo
	v_cmp_gt_f64_e32 vcc_lo, 0, v[231:232]
	v_cmp_gt_f64_e64 s0, 0, v[229:230]
	v_mov_b32_e32 v237, v231
	v_add_f64 v[233:234], v[233:234], v[235:236]
	v_xor_b32_e32 v236, 0x80000000, v230
	v_mov_b32_e32 v235, v229
	v_cndmask_b32_e32 v238, v232, v238, vcc_lo
	v_cndmask_b32_e64 v236, v230, v236, s0
	v_add_f64 v[235:236], v[235:236], v[237:238]
	v_cmp_lt_f64_e32 vcc_lo, v[233:234], v[235:236]
	v_cndmask_b32_e32 v215, v215, v230, vcc_lo
	v_cndmask_b32_e32 v214, v214, v229, vcc_lo
	;; [unrolled: 1-line block ×4, first 2 shown]
	v_cndmask_b32_e64 v222, v222, s1, vcc_lo
	s_add_i32 s1, s1, 1
	s_cmp_lg_u32 s8, s1
	s_cbranch_scc1 .LBB104_652
.LBB104_653:
	s_inst_prefetch 0x2
	s_waitcnt lgkmcnt(0)
	v_cmp_eq_f64_e32 vcc_lo, 0, v[214:215]
	v_cmp_eq_f64_e64 s0, 0, v[216:217]
	s_and_b32 s0, vcc_lo, s0
	s_and_saveexec_b32 s1, s0
	s_xor_b32 s0, exec_lo, s1
; %bb.654:
	v_cmp_ne_u32_e32 vcc_lo, 0, v227
	v_cndmask_b32_e32 v227, 32, v227, vcc_lo
; %bb.655:
	s_andn2_saveexec_b32 s0, s0
	s_cbranch_execz .LBB104_661
; %bb.656:
	v_cmp_ngt_f64_e64 s1, |v[214:215]|, |v[216:217]|
	s_and_saveexec_b32 s7, s1
	s_xor_b32 s1, exec_lo, s7
	s_cbranch_execz .LBB104_658
; %bb.657:
	v_div_scale_f64 v[229:230], null, v[216:217], v[216:217], v[214:215]
	v_div_scale_f64 v[235:236], vcc_lo, v[214:215], v[216:217], v[214:215]
	v_rcp_f64_e32 v[231:232], v[229:230]
	v_fma_f64 v[233:234], -v[229:230], v[231:232], 1.0
	v_fma_f64 v[231:232], v[231:232], v[233:234], v[231:232]
	v_fma_f64 v[233:234], -v[229:230], v[231:232], 1.0
	v_fma_f64 v[231:232], v[231:232], v[233:234], v[231:232]
	v_mul_f64 v[233:234], v[235:236], v[231:232]
	v_fma_f64 v[229:230], -v[229:230], v[233:234], v[235:236]
	v_div_fmas_f64 v[229:230], v[229:230], v[231:232], v[233:234]
	v_div_fixup_f64 v[229:230], v[229:230], v[216:217], v[214:215]
	v_fma_f64 v[214:215], v[214:215], v[229:230], v[216:217]
	v_div_scale_f64 v[216:217], null, v[214:215], v[214:215], 1.0
	v_rcp_f64_e32 v[231:232], v[216:217]
	v_fma_f64 v[233:234], -v[216:217], v[231:232], 1.0
	v_fma_f64 v[231:232], v[231:232], v[233:234], v[231:232]
	v_fma_f64 v[233:234], -v[216:217], v[231:232], 1.0
	v_fma_f64 v[231:232], v[231:232], v[233:234], v[231:232]
	v_div_scale_f64 v[233:234], vcc_lo, 1.0, v[214:215], 1.0
	v_mul_f64 v[235:236], v[233:234], v[231:232]
	v_fma_f64 v[216:217], -v[216:217], v[235:236], v[233:234]
	v_div_fmas_f64 v[216:217], v[216:217], v[231:232], v[235:236]
	v_div_fixup_f64 v[216:217], v[216:217], v[214:215], 1.0
	v_mul_f64 v[214:215], v[229:230], v[216:217]
	v_xor_b32_e32 v217, 0x80000000, v217
.LBB104_658:
	s_andn2_saveexec_b32 s1, s1
	s_cbranch_execz .LBB104_660
; %bb.659:
	v_div_scale_f64 v[229:230], null, v[214:215], v[214:215], v[216:217]
	v_div_scale_f64 v[235:236], vcc_lo, v[216:217], v[214:215], v[216:217]
	v_rcp_f64_e32 v[231:232], v[229:230]
	v_fma_f64 v[233:234], -v[229:230], v[231:232], 1.0
	v_fma_f64 v[231:232], v[231:232], v[233:234], v[231:232]
	v_fma_f64 v[233:234], -v[229:230], v[231:232], 1.0
	v_fma_f64 v[231:232], v[231:232], v[233:234], v[231:232]
	v_mul_f64 v[233:234], v[235:236], v[231:232]
	v_fma_f64 v[229:230], -v[229:230], v[233:234], v[235:236]
	v_div_fmas_f64 v[229:230], v[229:230], v[231:232], v[233:234]
	v_div_fixup_f64 v[229:230], v[229:230], v[214:215], v[216:217]
	v_fma_f64 v[214:215], v[216:217], v[229:230], v[214:215]
	v_div_scale_f64 v[216:217], null, v[214:215], v[214:215], 1.0
	v_rcp_f64_e32 v[231:232], v[216:217]
	v_fma_f64 v[233:234], -v[216:217], v[231:232], 1.0
	v_fma_f64 v[231:232], v[231:232], v[233:234], v[231:232]
	v_fma_f64 v[233:234], -v[216:217], v[231:232], 1.0
	v_fma_f64 v[231:232], v[231:232], v[233:234], v[231:232]
	v_div_scale_f64 v[233:234], vcc_lo, 1.0, v[214:215], 1.0
	v_mul_f64 v[235:236], v[233:234], v[231:232]
	v_fma_f64 v[216:217], -v[216:217], v[235:236], v[233:234]
	v_div_fmas_f64 v[216:217], v[216:217], v[231:232], v[235:236]
	v_div_fixup_f64 v[214:215], v[216:217], v[214:215], 1.0
	v_mul_f64 v[216:217], v[229:230], -v[214:215]
.LBB104_660:
	s_or_b32 exec_lo, exec_lo, s1
.LBB104_661:
	s_or_b32 exec_lo, exec_lo, s0
	s_mov_b32 s0, exec_lo
	v_cmpx_ne_u32_e64 v228, v222
	s_xor_b32 s0, exec_lo, s0
	s_cbranch_execz .LBB104_667
; %bb.662:
	s_mov_b32 s1, exec_lo
	v_cmpx_eq_u32_e32 31, v228
	s_cbranch_execz .LBB104_666
; %bb.663:
	v_cmp_ne_u32_e32 vcc_lo, 31, v222
	s_xor_b32 s7, s16, -1
	s_and_b32 s9, s7, vcc_lo
	s_and_saveexec_b32 s7, s9
	s_cbranch_execz .LBB104_665
; %bb.664:
	v_ashrrev_i32_e32 v223, 31, v222
	v_lshlrev_b64 v[228:229], 2, v[222:223]
	v_add_co_u32 v228, vcc_lo, v220, v228
	v_add_co_ci_u32_e64 v229, null, v221, v229, vcc_lo
	s_clause 0x1
	global_load_dword v0, v[228:229], off
	global_load_dword v223, v[220:221], off offset:124
	s_waitcnt vmcnt(1)
	global_store_dword v[220:221], v0, off offset:124
	s_waitcnt vmcnt(0)
	global_store_dword v[228:229], v223, off
.LBB104_665:
	s_or_b32 exec_lo, exec_lo, s7
	v_mov_b32_e32 v228, v222
	v_mov_b32_e32 v0, v222
.LBB104_666:
	s_or_b32 exec_lo, exec_lo, s1
.LBB104_667:
	s_andn2_saveexec_b32 s0, s0
	s_cbranch_execz .LBB104_669
; %bb.668:
	v_mov_b32_e32 v228, 31
	ds_write2_b64 v1, v[82:83], v[84:85] offset0:64 offset1:65
	ds_write2_b64 v1, v[78:79], v[80:81] offset0:66 offset1:67
	ds_write2_b64 v1, v[74:75], v[76:77] offset0:68 offset1:69
	ds_write2_b64 v1, v[70:71], v[72:73] offset0:70 offset1:71
	ds_write2_b64 v1, v[66:67], v[68:69] offset0:72 offset1:73
	ds_write2_b64 v1, v[62:63], v[64:65] offset0:74 offset1:75
	ds_write2_b64 v1, v[58:59], v[60:61] offset0:76 offset1:77
	ds_write2_b64 v1, v[54:55], v[56:57] offset0:78 offset1:79
	ds_write2_b64 v1, v[50:51], v[52:53] offset0:80 offset1:81
	ds_write2_b64 v1, v[46:47], v[48:49] offset0:82 offset1:83
	ds_write2_b64 v1, v[42:43], v[44:45] offset0:84 offset1:85
	ds_write2_b64 v1, v[38:39], v[40:41] offset0:86 offset1:87
	ds_write2_b64 v1, v[34:35], v[36:37] offset0:88 offset1:89
	ds_write2_b64 v1, v[30:31], v[32:33] offset0:90 offset1:91
	ds_write2_b64 v1, v[26:27], v[28:29] offset0:92 offset1:93
	ds_write2_b64 v1, v[22:23], v[24:25] offset0:94 offset1:95
	ds_write2_b64 v1, v[18:19], v[20:21] offset0:96 offset1:97
	ds_write2_b64 v1, v[14:15], v[16:17] offset0:98 offset1:99
	ds_write2_b64 v1, v[10:11], v[12:13] offset0:100 offset1:101
	ds_write2_b64 v1, v[6:7], v[8:9] offset0:102 offset1:103
	ds_write2_b64 v1, v[2:3], v[4:5] offset0:104 offset1:105
.LBB104_669:
	s_or_b32 exec_lo, exec_lo, s0
	s_mov_b32 s0, exec_lo
	s_waitcnt lgkmcnt(0)
	s_waitcnt_vscnt null, 0x0
	s_barrier
	buffer_gl0_inv
	v_cmpx_lt_i32_e32 31, v228
	s_cbranch_execz .LBB104_671
; %bb.670:
	v_mul_f64 v[222:223], v[216:217], v[88:89]
	v_mul_f64 v[88:89], v[214:215], v[88:89]
	v_fma_f64 v[222:223], v[214:215], v[86:87], -v[222:223]
	v_fma_f64 v[88:89], v[216:217], v[86:87], v[88:89]
	ds_read2_b64 v[214:217], v1 offset0:64 offset1:65
	s_waitcnt lgkmcnt(0)
	v_mul_f64 v[86:87], v[216:217], v[88:89]
	v_fma_f64 v[86:87], v[214:215], v[222:223], -v[86:87]
	v_mul_f64 v[214:215], v[214:215], v[88:89]
	v_add_f64 v[82:83], v[82:83], -v[86:87]
	v_fma_f64 v[214:215], v[216:217], v[222:223], v[214:215]
	v_add_f64 v[84:85], v[84:85], -v[214:215]
	ds_read2_b64 v[214:217], v1 offset0:66 offset1:67
	s_waitcnt lgkmcnt(0)
	v_mul_f64 v[86:87], v[216:217], v[88:89]
	v_fma_f64 v[86:87], v[214:215], v[222:223], -v[86:87]
	v_mul_f64 v[214:215], v[214:215], v[88:89]
	v_add_f64 v[78:79], v[78:79], -v[86:87]
	v_fma_f64 v[214:215], v[216:217], v[222:223], v[214:215]
	v_add_f64 v[80:81], v[80:81], -v[214:215]
	;; [unrolled: 8-line block ×20, first 2 shown]
	ds_read2_b64 v[214:217], v1 offset0:104 offset1:105
	s_waitcnt lgkmcnt(0)
	v_mul_f64 v[86:87], v[216:217], v[88:89]
	v_fma_f64 v[86:87], v[214:215], v[222:223], -v[86:87]
	v_mul_f64 v[214:215], v[214:215], v[88:89]
	v_add_f64 v[2:3], v[2:3], -v[86:87]
	v_fma_f64 v[214:215], v[216:217], v[222:223], v[214:215]
	v_mov_b32_e32 v86, v222
	v_mov_b32_e32 v87, v223
	v_add_f64 v[4:5], v[4:5], -v[214:215]
.LBB104_671:
	s_or_b32 exec_lo, exec_lo, s0
	v_lshl_add_u32 v214, v228, 4, v1
	s_barrier
	buffer_gl0_inv
	v_mov_b32_e32 v222, 32
	ds_write2_b64 v214, v[82:83], v[84:85] offset1:1
	s_waitcnt lgkmcnt(0)
	s_barrier
	buffer_gl0_inv
	ds_read2_b64 v[214:217], v1 offset0:64 offset1:65
	s_cmp_lt_i32 s8, 34
	s_cbranch_scc1 .LBB104_674
; %bb.672:
	v_add3_u32 v223, v224, 0, 0x210
	v_mov_b32_e32 v222, 32
	s_mov_b32 s1, 33
	s_inst_prefetch 0x1
	.p2align	6
.LBB104_673:                            ; =>This Inner Loop Header: Depth=1
	s_waitcnt lgkmcnt(0)
	v_cmp_gt_f64_e32 vcc_lo, 0, v[216:217]
	v_cmp_gt_f64_e64 s0, 0, v[214:215]
	ds_read2_b64 v[229:232], v223 offset1:1
	v_xor_b32_e32 v234, 0x80000000, v215
	v_xor_b32_e32 v236, 0x80000000, v217
	v_mov_b32_e32 v233, v214
	v_mov_b32_e32 v235, v216
	v_add_nc_u32_e32 v223, 16, v223
	s_waitcnt lgkmcnt(0)
	v_xor_b32_e32 v238, 0x80000000, v232
	v_cndmask_b32_e64 v234, v215, v234, s0
	v_cndmask_b32_e32 v236, v217, v236, vcc_lo
	v_cmp_gt_f64_e32 vcc_lo, 0, v[231:232]
	v_cmp_gt_f64_e64 s0, 0, v[229:230]
	v_mov_b32_e32 v237, v231
	v_add_f64 v[233:234], v[233:234], v[235:236]
	v_xor_b32_e32 v236, 0x80000000, v230
	v_mov_b32_e32 v235, v229
	v_cndmask_b32_e32 v238, v232, v238, vcc_lo
	v_cndmask_b32_e64 v236, v230, v236, s0
	v_add_f64 v[235:236], v[235:236], v[237:238]
	v_cmp_lt_f64_e32 vcc_lo, v[233:234], v[235:236]
	v_cndmask_b32_e32 v215, v215, v230, vcc_lo
	v_cndmask_b32_e32 v214, v214, v229, vcc_lo
	;; [unrolled: 1-line block ×4, first 2 shown]
	v_cndmask_b32_e64 v222, v222, s1, vcc_lo
	s_add_i32 s1, s1, 1
	s_cmp_lg_u32 s8, s1
	s_cbranch_scc1 .LBB104_673
.LBB104_674:
	s_inst_prefetch 0x2
	s_waitcnt lgkmcnt(0)
	v_cmp_eq_f64_e32 vcc_lo, 0, v[214:215]
	v_cmp_eq_f64_e64 s0, 0, v[216:217]
	s_and_b32 s0, vcc_lo, s0
	s_and_saveexec_b32 s1, s0
	s_xor_b32 s0, exec_lo, s1
; %bb.675:
	v_cmp_ne_u32_e32 vcc_lo, 0, v227
	v_cndmask_b32_e32 v227, 33, v227, vcc_lo
; %bb.676:
	s_andn2_saveexec_b32 s0, s0
	s_cbranch_execz .LBB104_682
; %bb.677:
	v_cmp_ngt_f64_e64 s1, |v[214:215]|, |v[216:217]|
	s_and_saveexec_b32 s7, s1
	s_xor_b32 s1, exec_lo, s7
	s_cbranch_execz .LBB104_679
; %bb.678:
	v_div_scale_f64 v[229:230], null, v[216:217], v[216:217], v[214:215]
	v_div_scale_f64 v[235:236], vcc_lo, v[214:215], v[216:217], v[214:215]
	v_rcp_f64_e32 v[231:232], v[229:230]
	v_fma_f64 v[233:234], -v[229:230], v[231:232], 1.0
	v_fma_f64 v[231:232], v[231:232], v[233:234], v[231:232]
	v_fma_f64 v[233:234], -v[229:230], v[231:232], 1.0
	v_fma_f64 v[231:232], v[231:232], v[233:234], v[231:232]
	v_mul_f64 v[233:234], v[235:236], v[231:232]
	v_fma_f64 v[229:230], -v[229:230], v[233:234], v[235:236]
	v_div_fmas_f64 v[229:230], v[229:230], v[231:232], v[233:234]
	v_div_fixup_f64 v[229:230], v[229:230], v[216:217], v[214:215]
	v_fma_f64 v[214:215], v[214:215], v[229:230], v[216:217]
	v_div_scale_f64 v[216:217], null, v[214:215], v[214:215], 1.0
	v_rcp_f64_e32 v[231:232], v[216:217]
	v_fma_f64 v[233:234], -v[216:217], v[231:232], 1.0
	v_fma_f64 v[231:232], v[231:232], v[233:234], v[231:232]
	v_fma_f64 v[233:234], -v[216:217], v[231:232], 1.0
	v_fma_f64 v[231:232], v[231:232], v[233:234], v[231:232]
	v_div_scale_f64 v[233:234], vcc_lo, 1.0, v[214:215], 1.0
	v_mul_f64 v[235:236], v[233:234], v[231:232]
	v_fma_f64 v[216:217], -v[216:217], v[235:236], v[233:234]
	v_div_fmas_f64 v[216:217], v[216:217], v[231:232], v[235:236]
	v_div_fixup_f64 v[216:217], v[216:217], v[214:215], 1.0
	v_mul_f64 v[214:215], v[229:230], v[216:217]
	v_xor_b32_e32 v217, 0x80000000, v217
.LBB104_679:
	s_andn2_saveexec_b32 s1, s1
	s_cbranch_execz .LBB104_681
; %bb.680:
	v_div_scale_f64 v[229:230], null, v[214:215], v[214:215], v[216:217]
	v_div_scale_f64 v[235:236], vcc_lo, v[216:217], v[214:215], v[216:217]
	v_rcp_f64_e32 v[231:232], v[229:230]
	v_fma_f64 v[233:234], -v[229:230], v[231:232], 1.0
	v_fma_f64 v[231:232], v[231:232], v[233:234], v[231:232]
	v_fma_f64 v[233:234], -v[229:230], v[231:232], 1.0
	v_fma_f64 v[231:232], v[231:232], v[233:234], v[231:232]
	v_mul_f64 v[233:234], v[235:236], v[231:232]
	v_fma_f64 v[229:230], -v[229:230], v[233:234], v[235:236]
	v_div_fmas_f64 v[229:230], v[229:230], v[231:232], v[233:234]
	v_div_fixup_f64 v[229:230], v[229:230], v[214:215], v[216:217]
	v_fma_f64 v[214:215], v[216:217], v[229:230], v[214:215]
	v_div_scale_f64 v[216:217], null, v[214:215], v[214:215], 1.0
	v_rcp_f64_e32 v[231:232], v[216:217]
	v_fma_f64 v[233:234], -v[216:217], v[231:232], 1.0
	v_fma_f64 v[231:232], v[231:232], v[233:234], v[231:232]
	v_fma_f64 v[233:234], -v[216:217], v[231:232], 1.0
	v_fma_f64 v[231:232], v[231:232], v[233:234], v[231:232]
	v_div_scale_f64 v[233:234], vcc_lo, 1.0, v[214:215], 1.0
	v_mul_f64 v[235:236], v[233:234], v[231:232]
	v_fma_f64 v[216:217], -v[216:217], v[235:236], v[233:234]
	v_div_fmas_f64 v[216:217], v[216:217], v[231:232], v[235:236]
	v_div_fixup_f64 v[214:215], v[216:217], v[214:215], 1.0
	v_mul_f64 v[216:217], v[229:230], -v[214:215]
.LBB104_681:
	s_or_b32 exec_lo, exec_lo, s1
.LBB104_682:
	s_or_b32 exec_lo, exec_lo, s0
	s_mov_b32 s0, exec_lo
	v_cmpx_ne_u32_e64 v228, v222
	s_xor_b32 s0, exec_lo, s0
	s_cbranch_execz .LBB104_688
; %bb.683:
	s_mov_b32 s1, exec_lo
	v_cmpx_eq_u32_e32 32, v228
	s_cbranch_execz .LBB104_687
; %bb.684:
	v_cmp_ne_u32_e32 vcc_lo, 32, v222
	s_xor_b32 s7, s16, -1
	s_and_b32 s9, s7, vcc_lo
	s_and_saveexec_b32 s7, s9
	s_cbranch_execz .LBB104_686
; %bb.685:
	v_ashrrev_i32_e32 v223, 31, v222
	v_lshlrev_b64 v[228:229], 2, v[222:223]
	v_add_co_u32 v228, vcc_lo, v220, v228
	v_add_co_ci_u32_e64 v229, null, v221, v229, vcc_lo
	s_clause 0x1
	global_load_dword v0, v[228:229], off
	global_load_dword v223, v[220:221], off offset:128
	s_waitcnt vmcnt(1)
	global_store_dword v[220:221], v0, off offset:128
	s_waitcnt vmcnt(0)
	global_store_dword v[228:229], v223, off
.LBB104_686:
	s_or_b32 exec_lo, exec_lo, s7
	v_mov_b32_e32 v228, v222
	v_mov_b32_e32 v0, v222
.LBB104_687:
	s_or_b32 exec_lo, exec_lo, s1
.LBB104_688:
	s_andn2_saveexec_b32 s0, s0
	s_cbranch_execz .LBB104_690
; %bb.689:
	v_mov_b32_e32 v228, 32
	ds_write2_b64 v1, v[78:79], v[80:81] offset0:66 offset1:67
	ds_write2_b64 v1, v[74:75], v[76:77] offset0:68 offset1:69
	;; [unrolled: 1-line block ×20, first 2 shown]
.LBB104_690:
	s_or_b32 exec_lo, exec_lo, s0
	s_mov_b32 s0, exec_lo
	s_waitcnt lgkmcnt(0)
	s_waitcnt_vscnt null, 0x0
	s_barrier
	buffer_gl0_inv
	v_cmpx_lt_i32_e32 32, v228
	s_cbranch_execz .LBB104_692
; %bb.691:
	v_mul_f64 v[222:223], v[216:217], v[84:85]
	v_mul_f64 v[84:85], v[214:215], v[84:85]
	v_fma_f64 v[222:223], v[214:215], v[82:83], -v[222:223]
	v_fma_f64 v[84:85], v[216:217], v[82:83], v[84:85]
	ds_read2_b64 v[214:217], v1 offset0:66 offset1:67
	s_waitcnt lgkmcnt(0)
	v_mul_f64 v[82:83], v[216:217], v[84:85]
	v_fma_f64 v[82:83], v[214:215], v[222:223], -v[82:83]
	v_mul_f64 v[214:215], v[214:215], v[84:85]
	v_add_f64 v[78:79], v[78:79], -v[82:83]
	v_fma_f64 v[214:215], v[216:217], v[222:223], v[214:215]
	v_add_f64 v[80:81], v[80:81], -v[214:215]
	ds_read2_b64 v[214:217], v1 offset0:68 offset1:69
	s_waitcnt lgkmcnt(0)
	v_mul_f64 v[82:83], v[216:217], v[84:85]
	v_fma_f64 v[82:83], v[214:215], v[222:223], -v[82:83]
	v_mul_f64 v[214:215], v[214:215], v[84:85]
	v_add_f64 v[74:75], v[74:75], -v[82:83]
	v_fma_f64 v[214:215], v[216:217], v[222:223], v[214:215]
	v_add_f64 v[76:77], v[76:77], -v[214:215]
	;; [unrolled: 8-line block ×19, first 2 shown]
	ds_read2_b64 v[214:217], v1 offset0:104 offset1:105
	s_waitcnt lgkmcnt(0)
	v_mul_f64 v[82:83], v[216:217], v[84:85]
	v_fma_f64 v[82:83], v[214:215], v[222:223], -v[82:83]
	v_mul_f64 v[214:215], v[214:215], v[84:85]
	v_add_f64 v[2:3], v[2:3], -v[82:83]
	v_fma_f64 v[214:215], v[216:217], v[222:223], v[214:215]
	v_mov_b32_e32 v82, v222
	v_mov_b32_e32 v83, v223
	v_add_f64 v[4:5], v[4:5], -v[214:215]
.LBB104_692:
	s_or_b32 exec_lo, exec_lo, s0
	v_lshl_add_u32 v214, v228, 4, v1
	s_barrier
	buffer_gl0_inv
	v_mov_b32_e32 v222, 33
	ds_write2_b64 v214, v[78:79], v[80:81] offset1:1
	s_waitcnt lgkmcnt(0)
	s_barrier
	buffer_gl0_inv
	ds_read2_b64 v[214:217], v1 offset0:66 offset1:67
	s_cmp_lt_i32 s8, 35
	s_cbranch_scc1 .LBB104_695
; %bb.693:
	v_add3_u32 v223, v224, 0, 0x220
	v_mov_b32_e32 v222, 33
	s_mov_b32 s1, 34
	s_inst_prefetch 0x1
	.p2align	6
.LBB104_694:                            ; =>This Inner Loop Header: Depth=1
	s_waitcnt lgkmcnt(0)
	v_cmp_gt_f64_e32 vcc_lo, 0, v[216:217]
	v_cmp_gt_f64_e64 s0, 0, v[214:215]
	ds_read2_b64 v[229:232], v223 offset1:1
	v_xor_b32_e32 v234, 0x80000000, v215
	v_xor_b32_e32 v236, 0x80000000, v217
	v_mov_b32_e32 v233, v214
	v_mov_b32_e32 v235, v216
	v_add_nc_u32_e32 v223, 16, v223
	s_waitcnt lgkmcnt(0)
	v_xor_b32_e32 v238, 0x80000000, v232
	v_cndmask_b32_e64 v234, v215, v234, s0
	v_cndmask_b32_e32 v236, v217, v236, vcc_lo
	v_cmp_gt_f64_e32 vcc_lo, 0, v[231:232]
	v_cmp_gt_f64_e64 s0, 0, v[229:230]
	v_mov_b32_e32 v237, v231
	v_add_f64 v[233:234], v[233:234], v[235:236]
	v_xor_b32_e32 v236, 0x80000000, v230
	v_mov_b32_e32 v235, v229
	v_cndmask_b32_e32 v238, v232, v238, vcc_lo
	v_cndmask_b32_e64 v236, v230, v236, s0
	v_add_f64 v[235:236], v[235:236], v[237:238]
	v_cmp_lt_f64_e32 vcc_lo, v[233:234], v[235:236]
	v_cndmask_b32_e32 v215, v215, v230, vcc_lo
	v_cndmask_b32_e32 v214, v214, v229, vcc_lo
	;; [unrolled: 1-line block ×4, first 2 shown]
	v_cndmask_b32_e64 v222, v222, s1, vcc_lo
	s_add_i32 s1, s1, 1
	s_cmp_lg_u32 s8, s1
	s_cbranch_scc1 .LBB104_694
.LBB104_695:
	s_inst_prefetch 0x2
	s_waitcnt lgkmcnt(0)
	v_cmp_eq_f64_e32 vcc_lo, 0, v[214:215]
	v_cmp_eq_f64_e64 s0, 0, v[216:217]
	s_and_b32 s0, vcc_lo, s0
	s_and_saveexec_b32 s1, s0
	s_xor_b32 s0, exec_lo, s1
; %bb.696:
	v_cmp_ne_u32_e32 vcc_lo, 0, v227
	v_cndmask_b32_e32 v227, 34, v227, vcc_lo
; %bb.697:
	s_andn2_saveexec_b32 s0, s0
	s_cbranch_execz .LBB104_703
; %bb.698:
	v_cmp_ngt_f64_e64 s1, |v[214:215]|, |v[216:217]|
	s_and_saveexec_b32 s7, s1
	s_xor_b32 s1, exec_lo, s7
	s_cbranch_execz .LBB104_700
; %bb.699:
	v_div_scale_f64 v[229:230], null, v[216:217], v[216:217], v[214:215]
	v_div_scale_f64 v[235:236], vcc_lo, v[214:215], v[216:217], v[214:215]
	v_rcp_f64_e32 v[231:232], v[229:230]
	v_fma_f64 v[233:234], -v[229:230], v[231:232], 1.0
	v_fma_f64 v[231:232], v[231:232], v[233:234], v[231:232]
	v_fma_f64 v[233:234], -v[229:230], v[231:232], 1.0
	v_fma_f64 v[231:232], v[231:232], v[233:234], v[231:232]
	v_mul_f64 v[233:234], v[235:236], v[231:232]
	v_fma_f64 v[229:230], -v[229:230], v[233:234], v[235:236]
	v_div_fmas_f64 v[229:230], v[229:230], v[231:232], v[233:234]
	v_div_fixup_f64 v[229:230], v[229:230], v[216:217], v[214:215]
	v_fma_f64 v[214:215], v[214:215], v[229:230], v[216:217]
	v_div_scale_f64 v[216:217], null, v[214:215], v[214:215], 1.0
	v_rcp_f64_e32 v[231:232], v[216:217]
	v_fma_f64 v[233:234], -v[216:217], v[231:232], 1.0
	v_fma_f64 v[231:232], v[231:232], v[233:234], v[231:232]
	v_fma_f64 v[233:234], -v[216:217], v[231:232], 1.0
	v_fma_f64 v[231:232], v[231:232], v[233:234], v[231:232]
	v_div_scale_f64 v[233:234], vcc_lo, 1.0, v[214:215], 1.0
	v_mul_f64 v[235:236], v[233:234], v[231:232]
	v_fma_f64 v[216:217], -v[216:217], v[235:236], v[233:234]
	v_div_fmas_f64 v[216:217], v[216:217], v[231:232], v[235:236]
	v_div_fixup_f64 v[216:217], v[216:217], v[214:215], 1.0
	v_mul_f64 v[214:215], v[229:230], v[216:217]
	v_xor_b32_e32 v217, 0x80000000, v217
.LBB104_700:
	s_andn2_saveexec_b32 s1, s1
	s_cbranch_execz .LBB104_702
; %bb.701:
	v_div_scale_f64 v[229:230], null, v[214:215], v[214:215], v[216:217]
	v_div_scale_f64 v[235:236], vcc_lo, v[216:217], v[214:215], v[216:217]
	v_rcp_f64_e32 v[231:232], v[229:230]
	v_fma_f64 v[233:234], -v[229:230], v[231:232], 1.0
	v_fma_f64 v[231:232], v[231:232], v[233:234], v[231:232]
	v_fma_f64 v[233:234], -v[229:230], v[231:232], 1.0
	v_fma_f64 v[231:232], v[231:232], v[233:234], v[231:232]
	v_mul_f64 v[233:234], v[235:236], v[231:232]
	v_fma_f64 v[229:230], -v[229:230], v[233:234], v[235:236]
	v_div_fmas_f64 v[229:230], v[229:230], v[231:232], v[233:234]
	v_div_fixup_f64 v[229:230], v[229:230], v[214:215], v[216:217]
	v_fma_f64 v[214:215], v[216:217], v[229:230], v[214:215]
	v_div_scale_f64 v[216:217], null, v[214:215], v[214:215], 1.0
	v_rcp_f64_e32 v[231:232], v[216:217]
	v_fma_f64 v[233:234], -v[216:217], v[231:232], 1.0
	v_fma_f64 v[231:232], v[231:232], v[233:234], v[231:232]
	v_fma_f64 v[233:234], -v[216:217], v[231:232], 1.0
	v_fma_f64 v[231:232], v[231:232], v[233:234], v[231:232]
	v_div_scale_f64 v[233:234], vcc_lo, 1.0, v[214:215], 1.0
	v_mul_f64 v[235:236], v[233:234], v[231:232]
	v_fma_f64 v[216:217], -v[216:217], v[235:236], v[233:234]
	v_div_fmas_f64 v[216:217], v[216:217], v[231:232], v[235:236]
	v_div_fixup_f64 v[214:215], v[216:217], v[214:215], 1.0
	v_mul_f64 v[216:217], v[229:230], -v[214:215]
.LBB104_702:
	s_or_b32 exec_lo, exec_lo, s1
.LBB104_703:
	s_or_b32 exec_lo, exec_lo, s0
	s_mov_b32 s0, exec_lo
	v_cmpx_ne_u32_e64 v228, v222
	s_xor_b32 s0, exec_lo, s0
	s_cbranch_execz .LBB104_709
; %bb.704:
	s_mov_b32 s1, exec_lo
	v_cmpx_eq_u32_e32 33, v228
	s_cbranch_execz .LBB104_708
; %bb.705:
	v_cmp_ne_u32_e32 vcc_lo, 33, v222
	s_xor_b32 s7, s16, -1
	s_and_b32 s9, s7, vcc_lo
	s_and_saveexec_b32 s7, s9
	s_cbranch_execz .LBB104_707
; %bb.706:
	v_ashrrev_i32_e32 v223, 31, v222
	v_lshlrev_b64 v[228:229], 2, v[222:223]
	v_add_co_u32 v228, vcc_lo, v220, v228
	v_add_co_ci_u32_e64 v229, null, v221, v229, vcc_lo
	s_clause 0x1
	global_load_dword v0, v[228:229], off
	global_load_dword v223, v[220:221], off offset:132
	s_waitcnt vmcnt(1)
	global_store_dword v[220:221], v0, off offset:132
	s_waitcnt vmcnt(0)
	global_store_dword v[228:229], v223, off
.LBB104_707:
	s_or_b32 exec_lo, exec_lo, s7
	v_mov_b32_e32 v228, v222
	v_mov_b32_e32 v0, v222
.LBB104_708:
	s_or_b32 exec_lo, exec_lo, s1
.LBB104_709:
	s_andn2_saveexec_b32 s0, s0
	s_cbranch_execz .LBB104_711
; %bb.710:
	v_mov_b32_e32 v228, 33
	ds_write2_b64 v1, v[74:75], v[76:77] offset0:68 offset1:69
	ds_write2_b64 v1, v[70:71], v[72:73] offset0:70 offset1:71
	;; [unrolled: 1-line block ×19, first 2 shown]
.LBB104_711:
	s_or_b32 exec_lo, exec_lo, s0
	s_mov_b32 s0, exec_lo
	s_waitcnt lgkmcnt(0)
	s_waitcnt_vscnt null, 0x0
	s_barrier
	buffer_gl0_inv
	v_cmpx_lt_i32_e32 33, v228
	s_cbranch_execz .LBB104_713
; %bb.712:
	v_mul_f64 v[222:223], v[216:217], v[80:81]
	v_mul_f64 v[80:81], v[214:215], v[80:81]
	v_fma_f64 v[222:223], v[214:215], v[78:79], -v[222:223]
	v_fma_f64 v[80:81], v[216:217], v[78:79], v[80:81]
	ds_read2_b64 v[214:217], v1 offset0:68 offset1:69
	s_waitcnt lgkmcnt(0)
	v_mul_f64 v[78:79], v[216:217], v[80:81]
	v_fma_f64 v[78:79], v[214:215], v[222:223], -v[78:79]
	v_mul_f64 v[214:215], v[214:215], v[80:81]
	v_add_f64 v[74:75], v[74:75], -v[78:79]
	v_fma_f64 v[214:215], v[216:217], v[222:223], v[214:215]
	v_add_f64 v[76:77], v[76:77], -v[214:215]
	ds_read2_b64 v[214:217], v1 offset0:70 offset1:71
	s_waitcnt lgkmcnt(0)
	v_mul_f64 v[78:79], v[216:217], v[80:81]
	v_fma_f64 v[78:79], v[214:215], v[222:223], -v[78:79]
	v_mul_f64 v[214:215], v[214:215], v[80:81]
	v_add_f64 v[70:71], v[70:71], -v[78:79]
	v_fma_f64 v[214:215], v[216:217], v[222:223], v[214:215]
	v_add_f64 v[72:73], v[72:73], -v[214:215]
	ds_read2_b64 v[214:217], v1 offset0:72 offset1:73
	s_waitcnt lgkmcnt(0)
	v_mul_f64 v[78:79], v[216:217], v[80:81]
	v_fma_f64 v[78:79], v[214:215], v[222:223], -v[78:79]
	v_mul_f64 v[214:215], v[214:215], v[80:81]
	v_add_f64 v[66:67], v[66:67], -v[78:79]
	v_fma_f64 v[214:215], v[216:217], v[222:223], v[214:215]
	v_add_f64 v[68:69], v[68:69], -v[214:215]
	ds_read2_b64 v[214:217], v1 offset0:74 offset1:75
	s_waitcnt lgkmcnt(0)
	v_mul_f64 v[78:79], v[216:217], v[80:81]
	v_fma_f64 v[78:79], v[214:215], v[222:223], -v[78:79]
	v_mul_f64 v[214:215], v[214:215], v[80:81]
	v_add_f64 v[62:63], v[62:63], -v[78:79]
	v_fma_f64 v[214:215], v[216:217], v[222:223], v[214:215]
	v_add_f64 v[64:65], v[64:65], -v[214:215]
	ds_read2_b64 v[214:217], v1 offset0:76 offset1:77
	s_waitcnt lgkmcnt(0)
	v_mul_f64 v[78:79], v[216:217], v[80:81]
	v_fma_f64 v[78:79], v[214:215], v[222:223], -v[78:79]
	v_mul_f64 v[214:215], v[214:215], v[80:81]
	v_add_f64 v[58:59], v[58:59], -v[78:79]
	v_fma_f64 v[214:215], v[216:217], v[222:223], v[214:215]
	v_add_f64 v[60:61], v[60:61], -v[214:215]
	ds_read2_b64 v[214:217], v1 offset0:78 offset1:79
	s_waitcnt lgkmcnt(0)
	v_mul_f64 v[78:79], v[216:217], v[80:81]
	v_fma_f64 v[78:79], v[214:215], v[222:223], -v[78:79]
	v_mul_f64 v[214:215], v[214:215], v[80:81]
	v_add_f64 v[54:55], v[54:55], -v[78:79]
	v_fma_f64 v[214:215], v[216:217], v[222:223], v[214:215]
	v_add_f64 v[56:57], v[56:57], -v[214:215]
	ds_read2_b64 v[214:217], v1 offset0:80 offset1:81
	s_waitcnt lgkmcnt(0)
	v_mul_f64 v[78:79], v[216:217], v[80:81]
	v_fma_f64 v[78:79], v[214:215], v[222:223], -v[78:79]
	v_mul_f64 v[214:215], v[214:215], v[80:81]
	v_add_f64 v[50:51], v[50:51], -v[78:79]
	v_fma_f64 v[214:215], v[216:217], v[222:223], v[214:215]
	v_add_f64 v[52:53], v[52:53], -v[214:215]
	ds_read2_b64 v[214:217], v1 offset0:82 offset1:83
	s_waitcnt lgkmcnt(0)
	v_mul_f64 v[78:79], v[216:217], v[80:81]
	v_fma_f64 v[78:79], v[214:215], v[222:223], -v[78:79]
	v_mul_f64 v[214:215], v[214:215], v[80:81]
	v_add_f64 v[46:47], v[46:47], -v[78:79]
	v_fma_f64 v[214:215], v[216:217], v[222:223], v[214:215]
	v_add_f64 v[48:49], v[48:49], -v[214:215]
	ds_read2_b64 v[214:217], v1 offset0:84 offset1:85
	s_waitcnt lgkmcnt(0)
	v_mul_f64 v[78:79], v[216:217], v[80:81]
	v_fma_f64 v[78:79], v[214:215], v[222:223], -v[78:79]
	v_mul_f64 v[214:215], v[214:215], v[80:81]
	v_add_f64 v[42:43], v[42:43], -v[78:79]
	v_fma_f64 v[214:215], v[216:217], v[222:223], v[214:215]
	v_add_f64 v[44:45], v[44:45], -v[214:215]
	ds_read2_b64 v[214:217], v1 offset0:86 offset1:87
	s_waitcnt lgkmcnt(0)
	v_mul_f64 v[78:79], v[216:217], v[80:81]
	v_fma_f64 v[78:79], v[214:215], v[222:223], -v[78:79]
	v_mul_f64 v[214:215], v[214:215], v[80:81]
	v_add_f64 v[38:39], v[38:39], -v[78:79]
	v_fma_f64 v[214:215], v[216:217], v[222:223], v[214:215]
	v_add_f64 v[40:41], v[40:41], -v[214:215]
	ds_read2_b64 v[214:217], v1 offset0:88 offset1:89
	s_waitcnt lgkmcnt(0)
	v_mul_f64 v[78:79], v[216:217], v[80:81]
	v_fma_f64 v[78:79], v[214:215], v[222:223], -v[78:79]
	v_mul_f64 v[214:215], v[214:215], v[80:81]
	v_add_f64 v[34:35], v[34:35], -v[78:79]
	v_fma_f64 v[214:215], v[216:217], v[222:223], v[214:215]
	v_add_f64 v[36:37], v[36:37], -v[214:215]
	ds_read2_b64 v[214:217], v1 offset0:90 offset1:91
	s_waitcnt lgkmcnt(0)
	v_mul_f64 v[78:79], v[216:217], v[80:81]
	v_fma_f64 v[78:79], v[214:215], v[222:223], -v[78:79]
	v_mul_f64 v[214:215], v[214:215], v[80:81]
	v_add_f64 v[30:31], v[30:31], -v[78:79]
	v_fma_f64 v[214:215], v[216:217], v[222:223], v[214:215]
	v_add_f64 v[32:33], v[32:33], -v[214:215]
	ds_read2_b64 v[214:217], v1 offset0:92 offset1:93
	s_waitcnt lgkmcnt(0)
	v_mul_f64 v[78:79], v[216:217], v[80:81]
	v_fma_f64 v[78:79], v[214:215], v[222:223], -v[78:79]
	v_mul_f64 v[214:215], v[214:215], v[80:81]
	v_add_f64 v[26:27], v[26:27], -v[78:79]
	v_fma_f64 v[214:215], v[216:217], v[222:223], v[214:215]
	v_add_f64 v[28:29], v[28:29], -v[214:215]
	ds_read2_b64 v[214:217], v1 offset0:94 offset1:95
	s_waitcnt lgkmcnt(0)
	v_mul_f64 v[78:79], v[216:217], v[80:81]
	v_fma_f64 v[78:79], v[214:215], v[222:223], -v[78:79]
	v_mul_f64 v[214:215], v[214:215], v[80:81]
	v_add_f64 v[22:23], v[22:23], -v[78:79]
	v_fma_f64 v[214:215], v[216:217], v[222:223], v[214:215]
	v_add_f64 v[24:25], v[24:25], -v[214:215]
	ds_read2_b64 v[214:217], v1 offset0:96 offset1:97
	s_waitcnt lgkmcnt(0)
	v_mul_f64 v[78:79], v[216:217], v[80:81]
	v_fma_f64 v[78:79], v[214:215], v[222:223], -v[78:79]
	v_mul_f64 v[214:215], v[214:215], v[80:81]
	v_add_f64 v[18:19], v[18:19], -v[78:79]
	v_fma_f64 v[214:215], v[216:217], v[222:223], v[214:215]
	v_add_f64 v[20:21], v[20:21], -v[214:215]
	ds_read2_b64 v[214:217], v1 offset0:98 offset1:99
	s_waitcnt lgkmcnt(0)
	v_mul_f64 v[78:79], v[216:217], v[80:81]
	v_fma_f64 v[78:79], v[214:215], v[222:223], -v[78:79]
	v_mul_f64 v[214:215], v[214:215], v[80:81]
	v_add_f64 v[14:15], v[14:15], -v[78:79]
	v_fma_f64 v[214:215], v[216:217], v[222:223], v[214:215]
	v_add_f64 v[16:17], v[16:17], -v[214:215]
	ds_read2_b64 v[214:217], v1 offset0:100 offset1:101
	s_waitcnt lgkmcnt(0)
	v_mul_f64 v[78:79], v[216:217], v[80:81]
	v_fma_f64 v[78:79], v[214:215], v[222:223], -v[78:79]
	v_mul_f64 v[214:215], v[214:215], v[80:81]
	v_add_f64 v[10:11], v[10:11], -v[78:79]
	v_fma_f64 v[214:215], v[216:217], v[222:223], v[214:215]
	v_add_f64 v[12:13], v[12:13], -v[214:215]
	ds_read2_b64 v[214:217], v1 offset0:102 offset1:103
	s_waitcnt lgkmcnt(0)
	v_mul_f64 v[78:79], v[216:217], v[80:81]
	v_fma_f64 v[78:79], v[214:215], v[222:223], -v[78:79]
	v_mul_f64 v[214:215], v[214:215], v[80:81]
	v_add_f64 v[6:7], v[6:7], -v[78:79]
	v_fma_f64 v[214:215], v[216:217], v[222:223], v[214:215]
	v_add_f64 v[8:9], v[8:9], -v[214:215]
	ds_read2_b64 v[214:217], v1 offset0:104 offset1:105
	s_waitcnt lgkmcnt(0)
	v_mul_f64 v[78:79], v[216:217], v[80:81]
	v_fma_f64 v[78:79], v[214:215], v[222:223], -v[78:79]
	v_mul_f64 v[214:215], v[214:215], v[80:81]
	v_add_f64 v[2:3], v[2:3], -v[78:79]
	v_fma_f64 v[214:215], v[216:217], v[222:223], v[214:215]
	v_mov_b32_e32 v78, v222
	v_mov_b32_e32 v79, v223
	v_add_f64 v[4:5], v[4:5], -v[214:215]
.LBB104_713:
	s_or_b32 exec_lo, exec_lo, s0
	v_lshl_add_u32 v214, v228, 4, v1
	s_barrier
	buffer_gl0_inv
	v_mov_b32_e32 v222, 34
	ds_write2_b64 v214, v[74:75], v[76:77] offset1:1
	s_waitcnt lgkmcnt(0)
	s_barrier
	buffer_gl0_inv
	ds_read2_b64 v[214:217], v1 offset0:68 offset1:69
	s_cmp_lt_i32 s8, 36
	s_cbranch_scc1 .LBB104_716
; %bb.714:
	v_add3_u32 v223, v224, 0, 0x230
	v_mov_b32_e32 v222, 34
	s_mov_b32 s1, 35
	s_inst_prefetch 0x1
	.p2align	6
.LBB104_715:                            ; =>This Inner Loop Header: Depth=1
	s_waitcnt lgkmcnt(0)
	v_cmp_gt_f64_e32 vcc_lo, 0, v[216:217]
	v_cmp_gt_f64_e64 s0, 0, v[214:215]
	ds_read2_b64 v[229:232], v223 offset1:1
	v_xor_b32_e32 v234, 0x80000000, v215
	v_xor_b32_e32 v236, 0x80000000, v217
	v_mov_b32_e32 v233, v214
	v_mov_b32_e32 v235, v216
	v_add_nc_u32_e32 v223, 16, v223
	s_waitcnt lgkmcnt(0)
	v_xor_b32_e32 v238, 0x80000000, v232
	v_cndmask_b32_e64 v234, v215, v234, s0
	v_cndmask_b32_e32 v236, v217, v236, vcc_lo
	v_cmp_gt_f64_e32 vcc_lo, 0, v[231:232]
	v_cmp_gt_f64_e64 s0, 0, v[229:230]
	v_mov_b32_e32 v237, v231
	v_add_f64 v[233:234], v[233:234], v[235:236]
	v_xor_b32_e32 v236, 0x80000000, v230
	v_mov_b32_e32 v235, v229
	v_cndmask_b32_e32 v238, v232, v238, vcc_lo
	v_cndmask_b32_e64 v236, v230, v236, s0
	v_add_f64 v[235:236], v[235:236], v[237:238]
	v_cmp_lt_f64_e32 vcc_lo, v[233:234], v[235:236]
	v_cndmask_b32_e32 v215, v215, v230, vcc_lo
	v_cndmask_b32_e32 v214, v214, v229, vcc_lo
	;; [unrolled: 1-line block ×4, first 2 shown]
	v_cndmask_b32_e64 v222, v222, s1, vcc_lo
	s_add_i32 s1, s1, 1
	s_cmp_lg_u32 s8, s1
	s_cbranch_scc1 .LBB104_715
.LBB104_716:
	s_inst_prefetch 0x2
	s_waitcnt lgkmcnt(0)
	v_cmp_eq_f64_e32 vcc_lo, 0, v[214:215]
	v_cmp_eq_f64_e64 s0, 0, v[216:217]
	s_and_b32 s0, vcc_lo, s0
	s_and_saveexec_b32 s1, s0
	s_xor_b32 s0, exec_lo, s1
; %bb.717:
	v_cmp_ne_u32_e32 vcc_lo, 0, v227
	v_cndmask_b32_e32 v227, 35, v227, vcc_lo
; %bb.718:
	s_andn2_saveexec_b32 s0, s0
	s_cbranch_execz .LBB104_724
; %bb.719:
	v_cmp_ngt_f64_e64 s1, |v[214:215]|, |v[216:217]|
	s_and_saveexec_b32 s7, s1
	s_xor_b32 s1, exec_lo, s7
	s_cbranch_execz .LBB104_721
; %bb.720:
	v_div_scale_f64 v[229:230], null, v[216:217], v[216:217], v[214:215]
	v_div_scale_f64 v[235:236], vcc_lo, v[214:215], v[216:217], v[214:215]
	v_rcp_f64_e32 v[231:232], v[229:230]
	v_fma_f64 v[233:234], -v[229:230], v[231:232], 1.0
	v_fma_f64 v[231:232], v[231:232], v[233:234], v[231:232]
	v_fma_f64 v[233:234], -v[229:230], v[231:232], 1.0
	v_fma_f64 v[231:232], v[231:232], v[233:234], v[231:232]
	v_mul_f64 v[233:234], v[235:236], v[231:232]
	v_fma_f64 v[229:230], -v[229:230], v[233:234], v[235:236]
	v_div_fmas_f64 v[229:230], v[229:230], v[231:232], v[233:234]
	v_div_fixup_f64 v[229:230], v[229:230], v[216:217], v[214:215]
	v_fma_f64 v[214:215], v[214:215], v[229:230], v[216:217]
	v_div_scale_f64 v[216:217], null, v[214:215], v[214:215], 1.0
	v_rcp_f64_e32 v[231:232], v[216:217]
	v_fma_f64 v[233:234], -v[216:217], v[231:232], 1.0
	v_fma_f64 v[231:232], v[231:232], v[233:234], v[231:232]
	v_fma_f64 v[233:234], -v[216:217], v[231:232], 1.0
	v_fma_f64 v[231:232], v[231:232], v[233:234], v[231:232]
	v_div_scale_f64 v[233:234], vcc_lo, 1.0, v[214:215], 1.0
	v_mul_f64 v[235:236], v[233:234], v[231:232]
	v_fma_f64 v[216:217], -v[216:217], v[235:236], v[233:234]
	v_div_fmas_f64 v[216:217], v[216:217], v[231:232], v[235:236]
	v_div_fixup_f64 v[216:217], v[216:217], v[214:215], 1.0
	v_mul_f64 v[214:215], v[229:230], v[216:217]
	v_xor_b32_e32 v217, 0x80000000, v217
.LBB104_721:
	s_andn2_saveexec_b32 s1, s1
	s_cbranch_execz .LBB104_723
; %bb.722:
	v_div_scale_f64 v[229:230], null, v[214:215], v[214:215], v[216:217]
	v_div_scale_f64 v[235:236], vcc_lo, v[216:217], v[214:215], v[216:217]
	v_rcp_f64_e32 v[231:232], v[229:230]
	v_fma_f64 v[233:234], -v[229:230], v[231:232], 1.0
	v_fma_f64 v[231:232], v[231:232], v[233:234], v[231:232]
	v_fma_f64 v[233:234], -v[229:230], v[231:232], 1.0
	v_fma_f64 v[231:232], v[231:232], v[233:234], v[231:232]
	v_mul_f64 v[233:234], v[235:236], v[231:232]
	v_fma_f64 v[229:230], -v[229:230], v[233:234], v[235:236]
	v_div_fmas_f64 v[229:230], v[229:230], v[231:232], v[233:234]
	v_div_fixup_f64 v[229:230], v[229:230], v[214:215], v[216:217]
	v_fma_f64 v[214:215], v[216:217], v[229:230], v[214:215]
	v_div_scale_f64 v[216:217], null, v[214:215], v[214:215], 1.0
	v_rcp_f64_e32 v[231:232], v[216:217]
	v_fma_f64 v[233:234], -v[216:217], v[231:232], 1.0
	v_fma_f64 v[231:232], v[231:232], v[233:234], v[231:232]
	v_fma_f64 v[233:234], -v[216:217], v[231:232], 1.0
	v_fma_f64 v[231:232], v[231:232], v[233:234], v[231:232]
	v_div_scale_f64 v[233:234], vcc_lo, 1.0, v[214:215], 1.0
	v_mul_f64 v[235:236], v[233:234], v[231:232]
	v_fma_f64 v[216:217], -v[216:217], v[235:236], v[233:234]
	v_div_fmas_f64 v[216:217], v[216:217], v[231:232], v[235:236]
	v_div_fixup_f64 v[214:215], v[216:217], v[214:215], 1.0
	v_mul_f64 v[216:217], v[229:230], -v[214:215]
.LBB104_723:
	s_or_b32 exec_lo, exec_lo, s1
.LBB104_724:
	s_or_b32 exec_lo, exec_lo, s0
	s_mov_b32 s0, exec_lo
	v_cmpx_ne_u32_e64 v228, v222
	s_xor_b32 s0, exec_lo, s0
	s_cbranch_execz .LBB104_730
; %bb.725:
	s_mov_b32 s1, exec_lo
	v_cmpx_eq_u32_e32 34, v228
	s_cbranch_execz .LBB104_729
; %bb.726:
	v_cmp_ne_u32_e32 vcc_lo, 34, v222
	s_xor_b32 s7, s16, -1
	s_and_b32 s9, s7, vcc_lo
	s_and_saveexec_b32 s7, s9
	s_cbranch_execz .LBB104_728
; %bb.727:
	v_ashrrev_i32_e32 v223, 31, v222
	v_lshlrev_b64 v[228:229], 2, v[222:223]
	v_add_co_u32 v228, vcc_lo, v220, v228
	v_add_co_ci_u32_e64 v229, null, v221, v229, vcc_lo
	s_clause 0x1
	global_load_dword v0, v[228:229], off
	global_load_dword v223, v[220:221], off offset:136
	s_waitcnt vmcnt(1)
	global_store_dword v[220:221], v0, off offset:136
	s_waitcnt vmcnt(0)
	global_store_dword v[228:229], v223, off
.LBB104_728:
	s_or_b32 exec_lo, exec_lo, s7
	v_mov_b32_e32 v228, v222
	v_mov_b32_e32 v0, v222
.LBB104_729:
	s_or_b32 exec_lo, exec_lo, s1
.LBB104_730:
	s_andn2_saveexec_b32 s0, s0
	s_cbranch_execz .LBB104_732
; %bb.731:
	v_mov_b32_e32 v228, 34
	ds_write2_b64 v1, v[70:71], v[72:73] offset0:70 offset1:71
	ds_write2_b64 v1, v[66:67], v[68:69] offset0:72 offset1:73
	;; [unrolled: 1-line block ×18, first 2 shown]
.LBB104_732:
	s_or_b32 exec_lo, exec_lo, s0
	s_mov_b32 s0, exec_lo
	s_waitcnt lgkmcnt(0)
	s_waitcnt_vscnt null, 0x0
	s_barrier
	buffer_gl0_inv
	v_cmpx_lt_i32_e32 34, v228
	s_cbranch_execz .LBB104_734
; %bb.733:
	v_mul_f64 v[222:223], v[216:217], v[76:77]
	v_mul_f64 v[76:77], v[214:215], v[76:77]
	v_fma_f64 v[222:223], v[214:215], v[74:75], -v[222:223]
	v_fma_f64 v[76:77], v[216:217], v[74:75], v[76:77]
	ds_read2_b64 v[214:217], v1 offset0:70 offset1:71
	s_waitcnt lgkmcnt(0)
	v_mul_f64 v[74:75], v[216:217], v[76:77]
	v_fma_f64 v[74:75], v[214:215], v[222:223], -v[74:75]
	v_mul_f64 v[214:215], v[214:215], v[76:77]
	v_add_f64 v[70:71], v[70:71], -v[74:75]
	v_fma_f64 v[214:215], v[216:217], v[222:223], v[214:215]
	v_add_f64 v[72:73], v[72:73], -v[214:215]
	ds_read2_b64 v[214:217], v1 offset0:72 offset1:73
	s_waitcnt lgkmcnt(0)
	v_mul_f64 v[74:75], v[216:217], v[76:77]
	v_fma_f64 v[74:75], v[214:215], v[222:223], -v[74:75]
	v_mul_f64 v[214:215], v[214:215], v[76:77]
	v_add_f64 v[66:67], v[66:67], -v[74:75]
	v_fma_f64 v[214:215], v[216:217], v[222:223], v[214:215]
	v_add_f64 v[68:69], v[68:69], -v[214:215]
	;; [unrolled: 8-line block ×17, first 2 shown]
	ds_read2_b64 v[214:217], v1 offset0:104 offset1:105
	s_waitcnt lgkmcnt(0)
	v_mul_f64 v[74:75], v[216:217], v[76:77]
	v_fma_f64 v[74:75], v[214:215], v[222:223], -v[74:75]
	v_mul_f64 v[214:215], v[214:215], v[76:77]
	v_add_f64 v[2:3], v[2:3], -v[74:75]
	v_fma_f64 v[214:215], v[216:217], v[222:223], v[214:215]
	v_mov_b32_e32 v74, v222
	v_mov_b32_e32 v75, v223
	v_add_f64 v[4:5], v[4:5], -v[214:215]
.LBB104_734:
	s_or_b32 exec_lo, exec_lo, s0
	v_lshl_add_u32 v214, v228, 4, v1
	s_barrier
	buffer_gl0_inv
	v_mov_b32_e32 v222, 35
	ds_write2_b64 v214, v[70:71], v[72:73] offset1:1
	s_waitcnt lgkmcnt(0)
	s_barrier
	buffer_gl0_inv
	ds_read2_b64 v[214:217], v1 offset0:70 offset1:71
	s_cmp_lt_i32 s8, 37
	s_cbranch_scc1 .LBB104_737
; %bb.735:
	v_add3_u32 v223, v224, 0, 0x240
	v_mov_b32_e32 v222, 35
	s_mov_b32 s1, 36
	s_inst_prefetch 0x1
	.p2align	6
.LBB104_736:                            ; =>This Inner Loop Header: Depth=1
	s_waitcnt lgkmcnt(0)
	v_cmp_gt_f64_e32 vcc_lo, 0, v[216:217]
	v_cmp_gt_f64_e64 s0, 0, v[214:215]
	ds_read2_b64 v[229:232], v223 offset1:1
	v_xor_b32_e32 v234, 0x80000000, v215
	v_xor_b32_e32 v236, 0x80000000, v217
	v_mov_b32_e32 v233, v214
	v_mov_b32_e32 v235, v216
	v_add_nc_u32_e32 v223, 16, v223
	s_waitcnt lgkmcnt(0)
	v_xor_b32_e32 v238, 0x80000000, v232
	v_cndmask_b32_e64 v234, v215, v234, s0
	v_cndmask_b32_e32 v236, v217, v236, vcc_lo
	v_cmp_gt_f64_e32 vcc_lo, 0, v[231:232]
	v_cmp_gt_f64_e64 s0, 0, v[229:230]
	v_mov_b32_e32 v237, v231
	v_add_f64 v[233:234], v[233:234], v[235:236]
	v_xor_b32_e32 v236, 0x80000000, v230
	v_mov_b32_e32 v235, v229
	v_cndmask_b32_e32 v238, v232, v238, vcc_lo
	v_cndmask_b32_e64 v236, v230, v236, s0
	v_add_f64 v[235:236], v[235:236], v[237:238]
	v_cmp_lt_f64_e32 vcc_lo, v[233:234], v[235:236]
	v_cndmask_b32_e32 v215, v215, v230, vcc_lo
	v_cndmask_b32_e32 v214, v214, v229, vcc_lo
	;; [unrolled: 1-line block ×4, first 2 shown]
	v_cndmask_b32_e64 v222, v222, s1, vcc_lo
	s_add_i32 s1, s1, 1
	s_cmp_lg_u32 s8, s1
	s_cbranch_scc1 .LBB104_736
.LBB104_737:
	s_inst_prefetch 0x2
	s_waitcnt lgkmcnt(0)
	v_cmp_eq_f64_e32 vcc_lo, 0, v[214:215]
	v_cmp_eq_f64_e64 s0, 0, v[216:217]
	s_and_b32 s0, vcc_lo, s0
	s_and_saveexec_b32 s1, s0
	s_xor_b32 s0, exec_lo, s1
; %bb.738:
	v_cmp_ne_u32_e32 vcc_lo, 0, v227
	v_cndmask_b32_e32 v227, 36, v227, vcc_lo
; %bb.739:
	s_andn2_saveexec_b32 s0, s0
	s_cbranch_execz .LBB104_745
; %bb.740:
	v_cmp_ngt_f64_e64 s1, |v[214:215]|, |v[216:217]|
	s_and_saveexec_b32 s7, s1
	s_xor_b32 s1, exec_lo, s7
	s_cbranch_execz .LBB104_742
; %bb.741:
	v_div_scale_f64 v[229:230], null, v[216:217], v[216:217], v[214:215]
	v_div_scale_f64 v[235:236], vcc_lo, v[214:215], v[216:217], v[214:215]
	v_rcp_f64_e32 v[231:232], v[229:230]
	v_fma_f64 v[233:234], -v[229:230], v[231:232], 1.0
	v_fma_f64 v[231:232], v[231:232], v[233:234], v[231:232]
	v_fma_f64 v[233:234], -v[229:230], v[231:232], 1.0
	v_fma_f64 v[231:232], v[231:232], v[233:234], v[231:232]
	v_mul_f64 v[233:234], v[235:236], v[231:232]
	v_fma_f64 v[229:230], -v[229:230], v[233:234], v[235:236]
	v_div_fmas_f64 v[229:230], v[229:230], v[231:232], v[233:234]
	v_div_fixup_f64 v[229:230], v[229:230], v[216:217], v[214:215]
	v_fma_f64 v[214:215], v[214:215], v[229:230], v[216:217]
	v_div_scale_f64 v[216:217], null, v[214:215], v[214:215], 1.0
	v_rcp_f64_e32 v[231:232], v[216:217]
	v_fma_f64 v[233:234], -v[216:217], v[231:232], 1.0
	v_fma_f64 v[231:232], v[231:232], v[233:234], v[231:232]
	v_fma_f64 v[233:234], -v[216:217], v[231:232], 1.0
	v_fma_f64 v[231:232], v[231:232], v[233:234], v[231:232]
	v_div_scale_f64 v[233:234], vcc_lo, 1.0, v[214:215], 1.0
	v_mul_f64 v[235:236], v[233:234], v[231:232]
	v_fma_f64 v[216:217], -v[216:217], v[235:236], v[233:234]
	v_div_fmas_f64 v[216:217], v[216:217], v[231:232], v[235:236]
	v_div_fixup_f64 v[216:217], v[216:217], v[214:215], 1.0
	v_mul_f64 v[214:215], v[229:230], v[216:217]
	v_xor_b32_e32 v217, 0x80000000, v217
.LBB104_742:
	s_andn2_saveexec_b32 s1, s1
	s_cbranch_execz .LBB104_744
; %bb.743:
	v_div_scale_f64 v[229:230], null, v[214:215], v[214:215], v[216:217]
	v_div_scale_f64 v[235:236], vcc_lo, v[216:217], v[214:215], v[216:217]
	v_rcp_f64_e32 v[231:232], v[229:230]
	v_fma_f64 v[233:234], -v[229:230], v[231:232], 1.0
	v_fma_f64 v[231:232], v[231:232], v[233:234], v[231:232]
	v_fma_f64 v[233:234], -v[229:230], v[231:232], 1.0
	v_fma_f64 v[231:232], v[231:232], v[233:234], v[231:232]
	v_mul_f64 v[233:234], v[235:236], v[231:232]
	v_fma_f64 v[229:230], -v[229:230], v[233:234], v[235:236]
	v_div_fmas_f64 v[229:230], v[229:230], v[231:232], v[233:234]
	v_div_fixup_f64 v[229:230], v[229:230], v[214:215], v[216:217]
	v_fma_f64 v[214:215], v[216:217], v[229:230], v[214:215]
	v_div_scale_f64 v[216:217], null, v[214:215], v[214:215], 1.0
	v_rcp_f64_e32 v[231:232], v[216:217]
	v_fma_f64 v[233:234], -v[216:217], v[231:232], 1.0
	v_fma_f64 v[231:232], v[231:232], v[233:234], v[231:232]
	v_fma_f64 v[233:234], -v[216:217], v[231:232], 1.0
	v_fma_f64 v[231:232], v[231:232], v[233:234], v[231:232]
	v_div_scale_f64 v[233:234], vcc_lo, 1.0, v[214:215], 1.0
	v_mul_f64 v[235:236], v[233:234], v[231:232]
	v_fma_f64 v[216:217], -v[216:217], v[235:236], v[233:234]
	v_div_fmas_f64 v[216:217], v[216:217], v[231:232], v[235:236]
	v_div_fixup_f64 v[214:215], v[216:217], v[214:215], 1.0
	v_mul_f64 v[216:217], v[229:230], -v[214:215]
.LBB104_744:
	s_or_b32 exec_lo, exec_lo, s1
.LBB104_745:
	s_or_b32 exec_lo, exec_lo, s0
	s_mov_b32 s0, exec_lo
	v_cmpx_ne_u32_e64 v228, v222
	s_xor_b32 s0, exec_lo, s0
	s_cbranch_execz .LBB104_751
; %bb.746:
	s_mov_b32 s1, exec_lo
	v_cmpx_eq_u32_e32 35, v228
	s_cbranch_execz .LBB104_750
; %bb.747:
	v_cmp_ne_u32_e32 vcc_lo, 35, v222
	s_xor_b32 s7, s16, -1
	s_and_b32 s9, s7, vcc_lo
	s_and_saveexec_b32 s7, s9
	s_cbranch_execz .LBB104_749
; %bb.748:
	v_ashrrev_i32_e32 v223, 31, v222
	v_lshlrev_b64 v[228:229], 2, v[222:223]
	v_add_co_u32 v228, vcc_lo, v220, v228
	v_add_co_ci_u32_e64 v229, null, v221, v229, vcc_lo
	s_clause 0x1
	global_load_dword v0, v[228:229], off
	global_load_dword v223, v[220:221], off offset:140
	s_waitcnt vmcnt(1)
	global_store_dword v[220:221], v0, off offset:140
	s_waitcnt vmcnt(0)
	global_store_dword v[228:229], v223, off
.LBB104_749:
	s_or_b32 exec_lo, exec_lo, s7
	v_mov_b32_e32 v228, v222
	v_mov_b32_e32 v0, v222
.LBB104_750:
	s_or_b32 exec_lo, exec_lo, s1
.LBB104_751:
	s_andn2_saveexec_b32 s0, s0
	s_cbranch_execz .LBB104_753
; %bb.752:
	v_mov_b32_e32 v228, 35
	ds_write2_b64 v1, v[66:67], v[68:69] offset0:72 offset1:73
	ds_write2_b64 v1, v[62:63], v[64:65] offset0:74 offset1:75
	;; [unrolled: 1-line block ×17, first 2 shown]
.LBB104_753:
	s_or_b32 exec_lo, exec_lo, s0
	s_mov_b32 s0, exec_lo
	s_waitcnt lgkmcnt(0)
	s_waitcnt_vscnt null, 0x0
	s_barrier
	buffer_gl0_inv
	v_cmpx_lt_i32_e32 35, v228
	s_cbranch_execz .LBB104_755
; %bb.754:
	v_mul_f64 v[222:223], v[216:217], v[72:73]
	v_mul_f64 v[72:73], v[214:215], v[72:73]
	v_fma_f64 v[222:223], v[214:215], v[70:71], -v[222:223]
	v_fma_f64 v[72:73], v[216:217], v[70:71], v[72:73]
	ds_read2_b64 v[214:217], v1 offset0:72 offset1:73
	s_waitcnt lgkmcnt(0)
	v_mul_f64 v[70:71], v[216:217], v[72:73]
	v_fma_f64 v[70:71], v[214:215], v[222:223], -v[70:71]
	v_mul_f64 v[214:215], v[214:215], v[72:73]
	v_add_f64 v[66:67], v[66:67], -v[70:71]
	v_fma_f64 v[214:215], v[216:217], v[222:223], v[214:215]
	v_add_f64 v[68:69], v[68:69], -v[214:215]
	ds_read2_b64 v[214:217], v1 offset0:74 offset1:75
	s_waitcnt lgkmcnt(0)
	v_mul_f64 v[70:71], v[216:217], v[72:73]
	v_fma_f64 v[70:71], v[214:215], v[222:223], -v[70:71]
	v_mul_f64 v[214:215], v[214:215], v[72:73]
	v_add_f64 v[62:63], v[62:63], -v[70:71]
	v_fma_f64 v[214:215], v[216:217], v[222:223], v[214:215]
	v_add_f64 v[64:65], v[64:65], -v[214:215]
	;; [unrolled: 8-line block ×16, first 2 shown]
	ds_read2_b64 v[214:217], v1 offset0:104 offset1:105
	s_waitcnt lgkmcnt(0)
	v_mul_f64 v[70:71], v[216:217], v[72:73]
	v_fma_f64 v[70:71], v[214:215], v[222:223], -v[70:71]
	v_mul_f64 v[214:215], v[214:215], v[72:73]
	v_add_f64 v[2:3], v[2:3], -v[70:71]
	v_fma_f64 v[214:215], v[216:217], v[222:223], v[214:215]
	v_mov_b32_e32 v70, v222
	v_mov_b32_e32 v71, v223
	v_add_f64 v[4:5], v[4:5], -v[214:215]
.LBB104_755:
	s_or_b32 exec_lo, exec_lo, s0
	v_lshl_add_u32 v214, v228, 4, v1
	s_barrier
	buffer_gl0_inv
	v_mov_b32_e32 v222, 36
	ds_write2_b64 v214, v[66:67], v[68:69] offset1:1
	s_waitcnt lgkmcnt(0)
	s_barrier
	buffer_gl0_inv
	ds_read2_b64 v[214:217], v1 offset0:72 offset1:73
	s_cmp_lt_i32 s8, 38
	s_cbranch_scc1 .LBB104_758
; %bb.756:
	v_add3_u32 v223, v224, 0, 0x250
	v_mov_b32_e32 v222, 36
	s_mov_b32 s1, 37
	s_inst_prefetch 0x1
	.p2align	6
.LBB104_757:                            ; =>This Inner Loop Header: Depth=1
	s_waitcnt lgkmcnt(0)
	v_cmp_gt_f64_e32 vcc_lo, 0, v[216:217]
	v_cmp_gt_f64_e64 s0, 0, v[214:215]
	ds_read2_b64 v[229:232], v223 offset1:1
	v_xor_b32_e32 v234, 0x80000000, v215
	v_xor_b32_e32 v236, 0x80000000, v217
	v_mov_b32_e32 v233, v214
	v_mov_b32_e32 v235, v216
	v_add_nc_u32_e32 v223, 16, v223
	s_waitcnt lgkmcnt(0)
	v_xor_b32_e32 v238, 0x80000000, v232
	v_cndmask_b32_e64 v234, v215, v234, s0
	v_cndmask_b32_e32 v236, v217, v236, vcc_lo
	v_cmp_gt_f64_e32 vcc_lo, 0, v[231:232]
	v_cmp_gt_f64_e64 s0, 0, v[229:230]
	v_mov_b32_e32 v237, v231
	v_add_f64 v[233:234], v[233:234], v[235:236]
	v_xor_b32_e32 v236, 0x80000000, v230
	v_mov_b32_e32 v235, v229
	v_cndmask_b32_e32 v238, v232, v238, vcc_lo
	v_cndmask_b32_e64 v236, v230, v236, s0
	v_add_f64 v[235:236], v[235:236], v[237:238]
	v_cmp_lt_f64_e32 vcc_lo, v[233:234], v[235:236]
	v_cndmask_b32_e32 v215, v215, v230, vcc_lo
	v_cndmask_b32_e32 v214, v214, v229, vcc_lo
	;; [unrolled: 1-line block ×4, first 2 shown]
	v_cndmask_b32_e64 v222, v222, s1, vcc_lo
	s_add_i32 s1, s1, 1
	s_cmp_lg_u32 s8, s1
	s_cbranch_scc1 .LBB104_757
.LBB104_758:
	s_inst_prefetch 0x2
	s_waitcnt lgkmcnt(0)
	v_cmp_eq_f64_e32 vcc_lo, 0, v[214:215]
	v_cmp_eq_f64_e64 s0, 0, v[216:217]
	s_and_b32 s0, vcc_lo, s0
	s_and_saveexec_b32 s1, s0
	s_xor_b32 s0, exec_lo, s1
; %bb.759:
	v_cmp_ne_u32_e32 vcc_lo, 0, v227
	v_cndmask_b32_e32 v227, 37, v227, vcc_lo
; %bb.760:
	s_andn2_saveexec_b32 s0, s0
	s_cbranch_execz .LBB104_766
; %bb.761:
	v_cmp_ngt_f64_e64 s1, |v[214:215]|, |v[216:217]|
	s_and_saveexec_b32 s7, s1
	s_xor_b32 s1, exec_lo, s7
	s_cbranch_execz .LBB104_763
; %bb.762:
	v_div_scale_f64 v[229:230], null, v[216:217], v[216:217], v[214:215]
	v_div_scale_f64 v[235:236], vcc_lo, v[214:215], v[216:217], v[214:215]
	v_rcp_f64_e32 v[231:232], v[229:230]
	v_fma_f64 v[233:234], -v[229:230], v[231:232], 1.0
	v_fma_f64 v[231:232], v[231:232], v[233:234], v[231:232]
	v_fma_f64 v[233:234], -v[229:230], v[231:232], 1.0
	v_fma_f64 v[231:232], v[231:232], v[233:234], v[231:232]
	v_mul_f64 v[233:234], v[235:236], v[231:232]
	v_fma_f64 v[229:230], -v[229:230], v[233:234], v[235:236]
	v_div_fmas_f64 v[229:230], v[229:230], v[231:232], v[233:234]
	v_div_fixup_f64 v[229:230], v[229:230], v[216:217], v[214:215]
	v_fma_f64 v[214:215], v[214:215], v[229:230], v[216:217]
	v_div_scale_f64 v[216:217], null, v[214:215], v[214:215], 1.0
	v_rcp_f64_e32 v[231:232], v[216:217]
	v_fma_f64 v[233:234], -v[216:217], v[231:232], 1.0
	v_fma_f64 v[231:232], v[231:232], v[233:234], v[231:232]
	v_fma_f64 v[233:234], -v[216:217], v[231:232], 1.0
	v_fma_f64 v[231:232], v[231:232], v[233:234], v[231:232]
	v_div_scale_f64 v[233:234], vcc_lo, 1.0, v[214:215], 1.0
	v_mul_f64 v[235:236], v[233:234], v[231:232]
	v_fma_f64 v[216:217], -v[216:217], v[235:236], v[233:234]
	v_div_fmas_f64 v[216:217], v[216:217], v[231:232], v[235:236]
	v_div_fixup_f64 v[216:217], v[216:217], v[214:215], 1.0
	v_mul_f64 v[214:215], v[229:230], v[216:217]
	v_xor_b32_e32 v217, 0x80000000, v217
.LBB104_763:
	s_andn2_saveexec_b32 s1, s1
	s_cbranch_execz .LBB104_765
; %bb.764:
	v_div_scale_f64 v[229:230], null, v[214:215], v[214:215], v[216:217]
	v_div_scale_f64 v[235:236], vcc_lo, v[216:217], v[214:215], v[216:217]
	v_rcp_f64_e32 v[231:232], v[229:230]
	v_fma_f64 v[233:234], -v[229:230], v[231:232], 1.0
	v_fma_f64 v[231:232], v[231:232], v[233:234], v[231:232]
	v_fma_f64 v[233:234], -v[229:230], v[231:232], 1.0
	v_fma_f64 v[231:232], v[231:232], v[233:234], v[231:232]
	v_mul_f64 v[233:234], v[235:236], v[231:232]
	v_fma_f64 v[229:230], -v[229:230], v[233:234], v[235:236]
	v_div_fmas_f64 v[229:230], v[229:230], v[231:232], v[233:234]
	v_div_fixup_f64 v[229:230], v[229:230], v[214:215], v[216:217]
	v_fma_f64 v[214:215], v[216:217], v[229:230], v[214:215]
	v_div_scale_f64 v[216:217], null, v[214:215], v[214:215], 1.0
	v_rcp_f64_e32 v[231:232], v[216:217]
	v_fma_f64 v[233:234], -v[216:217], v[231:232], 1.0
	v_fma_f64 v[231:232], v[231:232], v[233:234], v[231:232]
	v_fma_f64 v[233:234], -v[216:217], v[231:232], 1.0
	v_fma_f64 v[231:232], v[231:232], v[233:234], v[231:232]
	v_div_scale_f64 v[233:234], vcc_lo, 1.0, v[214:215], 1.0
	v_mul_f64 v[235:236], v[233:234], v[231:232]
	v_fma_f64 v[216:217], -v[216:217], v[235:236], v[233:234]
	v_div_fmas_f64 v[216:217], v[216:217], v[231:232], v[235:236]
	v_div_fixup_f64 v[214:215], v[216:217], v[214:215], 1.0
	v_mul_f64 v[216:217], v[229:230], -v[214:215]
.LBB104_765:
	s_or_b32 exec_lo, exec_lo, s1
.LBB104_766:
	s_or_b32 exec_lo, exec_lo, s0
	s_mov_b32 s0, exec_lo
	v_cmpx_ne_u32_e64 v228, v222
	s_xor_b32 s0, exec_lo, s0
	s_cbranch_execz .LBB104_772
; %bb.767:
	s_mov_b32 s1, exec_lo
	v_cmpx_eq_u32_e32 36, v228
	s_cbranch_execz .LBB104_771
; %bb.768:
	v_cmp_ne_u32_e32 vcc_lo, 36, v222
	s_xor_b32 s7, s16, -1
	s_and_b32 s9, s7, vcc_lo
	s_and_saveexec_b32 s7, s9
	s_cbranch_execz .LBB104_770
; %bb.769:
	v_ashrrev_i32_e32 v223, 31, v222
	v_lshlrev_b64 v[228:229], 2, v[222:223]
	v_add_co_u32 v228, vcc_lo, v220, v228
	v_add_co_ci_u32_e64 v229, null, v221, v229, vcc_lo
	s_clause 0x1
	global_load_dword v0, v[228:229], off
	global_load_dword v223, v[220:221], off offset:144
	s_waitcnt vmcnt(1)
	global_store_dword v[220:221], v0, off offset:144
	s_waitcnt vmcnt(0)
	global_store_dword v[228:229], v223, off
.LBB104_770:
	s_or_b32 exec_lo, exec_lo, s7
	v_mov_b32_e32 v228, v222
	v_mov_b32_e32 v0, v222
.LBB104_771:
	s_or_b32 exec_lo, exec_lo, s1
.LBB104_772:
	s_andn2_saveexec_b32 s0, s0
	s_cbranch_execz .LBB104_774
; %bb.773:
	v_mov_b32_e32 v228, 36
	ds_write2_b64 v1, v[62:63], v[64:65] offset0:74 offset1:75
	ds_write2_b64 v1, v[58:59], v[60:61] offset0:76 offset1:77
	;; [unrolled: 1-line block ×16, first 2 shown]
.LBB104_774:
	s_or_b32 exec_lo, exec_lo, s0
	s_mov_b32 s0, exec_lo
	s_waitcnt lgkmcnt(0)
	s_waitcnt_vscnt null, 0x0
	s_barrier
	buffer_gl0_inv
	v_cmpx_lt_i32_e32 36, v228
	s_cbranch_execz .LBB104_776
; %bb.775:
	v_mul_f64 v[222:223], v[214:215], v[68:69]
	v_mul_f64 v[68:69], v[216:217], v[68:69]
	v_fma_f64 v[222:223], v[216:217], v[66:67], v[222:223]
	v_fma_f64 v[66:67], v[214:215], v[66:67], -v[68:69]
	ds_read2_b64 v[214:217], v1 offset0:74 offset1:75
	s_waitcnt lgkmcnt(0)
	v_mul_f64 v[68:69], v[216:217], v[222:223]
	v_fma_f64 v[68:69], v[214:215], v[66:67], -v[68:69]
	v_mul_f64 v[214:215], v[214:215], v[222:223]
	v_add_f64 v[62:63], v[62:63], -v[68:69]
	v_fma_f64 v[214:215], v[216:217], v[66:67], v[214:215]
	v_add_f64 v[64:65], v[64:65], -v[214:215]
	ds_read2_b64 v[214:217], v1 offset0:76 offset1:77
	s_waitcnt lgkmcnt(0)
	v_mul_f64 v[68:69], v[216:217], v[222:223]
	v_fma_f64 v[68:69], v[214:215], v[66:67], -v[68:69]
	v_mul_f64 v[214:215], v[214:215], v[222:223]
	v_add_f64 v[58:59], v[58:59], -v[68:69]
	v_fma_f64 v[214:215], v[216:217], v[66:67], v[214:215]
	v_add_f64 v[60:61], v[60:61], -v[214:215]
	;; [unrolled: 8-line block ×15, first 2 shown]
	ds_read2_b64 v[214:217], v1 offset0:104 offset1:105
	s_waitcnt lgkmcnt(0)
	v_mul_f64 v[68:69], v[216:217], v[222:223]
	v_fma_f64 v[68:69], v[214:215], v[66:67], -v[68:69]
	v_mul_f64 v[214:215], v[214:215], v[222:223]
	v_add_f64 v[2:3], v[2:3], -v[68:69]
	v_fma_f64 v[214:215], v[216:217], v[66:67], v[214:215]
	v_mov_b32_e32 v68, v222
	v_mov_b32_e32 v69, v223
	v_add_f64 v[4:5], v[4:5], -v[214:215]
.LBB104_776:
	s_or_b32 exec_lo, exec_lo, s0
	v_lshl_add_u32 v214, v228, 4, v1
	s_barrier
	buffer_gl0_inv
	v_mov_b32_e32 v222, 37
	ds_write2_b64 v214, v[62:63], v[64:65] offset1:1
	s_waitcnt lgkmcnt(0)
	s_barrier
	buffer_gl0_inv
	ds_read2_b64 v[214:217], v1 offset0:74 offset1:75
	s_cmp_lt_i32 s8, 39
	s_cbranch_scc1 .LBB104_779
; %bb.777:
	v_add3_u32 v223, v224, 0, 0x260
	v_mov_b32_e32 v222, 37
	s_mov_b32 s1, 38
	s_inst_prefetch 0x1
	.p2align	6
.LBB104_778:                            ; =>This Inner Loop Header: Depth=1
	s_waitcnt lgkmcnt(0)
	v_cmp_gt_f64_e32 vcc_lo, 0, v[216:217]
	v_cmp_gt_f64_e64 s0, 0, v[214:215]
	ds_read2_b64 v[229:232], v223 offset1:1
	v_xor_b32_e32 v234, 0x80000000, v215
	v_xor_b32_e32 v236, 0x80000000, v217
	v_mov_b32_e32 v233, v214
	v_mov_b32_e32 v235, v216
	v_add_nc_u32_e32 v223, 16, v223
	s_waitcnt lgkmcnt(0)
	v_xor_b32_e32 v238, 0x80000000, v232
	v_cndmask_b32_e64 v234, v215, v234, s0
	v_cndmask_b32_e32 v236, v217, v236, vcc_lo
	v_cmp_gt_f64_e32 vcc_lo, 0, v[231:232]
	v_cmp_gt_f64_e64 s0, 0, v[229:230]
	v_mov_b32_e32 v237, v231
	v_add_f64 v[233:234], v[233:234], v[235:236]
	v_xor_b32_e32 v236, 0x80000000, v230
	v_mov_b32_e32 v235, v229
	v_cndmask_b32_e32 v238, v232, v238, vcc_lo
	v_cndmask_b32_e64 v236, v230, v236, s0
	v_add_f64 v[235:236], v[235:236], v[237:238]
	v_cmp_lt_f64_e32 vcc_lo, v[233:234], v[235:236]
	v_cndmask_b32_e32 v215, v215, v230, vcc_lo
	v_cndmask_b32_e32 v214, v214, v229, vcc_lo
	;; [unrolled: 1-line block ×4, first 2 shown]
	v_cndmask_b32_e64 v222, v222, s1, vcc_lo
	s_add_i32 s1, s1, 1
	s_cmp_lg_u32 s8, s1
	s_cbranch_scc1 .LBB104_778
.LBB104_779:
	s_inst_prefetch 0x2
	s_waitcnt lgkmcnt(0)
	v_cmp_eq_f64_e32 vcc_lo, 0, v[214:215]
	v_cmp_eq_f64_e64 s0, 0, v[216:217]
	s_and_b32 s0, vcc_lo, s0
	s_and_saveexec_b32 s1, s0
	s_xor_b32 s0, exec_lo, s1
; %bb.780:
	v_cmp_ne_u32_e32 vcc_lo, 0, v227
	v_cndmask_b32_e32 v227, 38, v227, vcc_lo
; %bb.781:
	s_andn2_saveexec_b32 s0, s0
	s_cbranch_execz .LBB104_787
; %bb.782:
	v_cmp_ngt_f64_e64 s1, |v[214:215]|, |v[216:217]|
	s_and_saveexec_b32 s7, s1
	s_xor_b32 s1, exec_lo, s7
	s_cbranch_execz .LBB104_784
; %bb.783:
	v_div_scale_f64 v[229:230], null, v[216:217], v[216:217], v[214:215]
	v_div_scale_f64 v[235:236], vcc_lo, v[214:215], v[216:217], v[214:215]
	v_rcp_f64_e32 v[231:232], v[229:230]
	v_fma_f64 v[233:234], -v[229:230], v[231:232], 1.0
	v_fma_f64 v[231:232], v[231:232], v[233:234], v[231:232]
	v_fma_f64 v[233:234], -v[229:230], v[231:232], 1.0
	v_fma_f64 v[231:232], v[231:232], v[233:234], v[231:232]
	v_mul_f64 v[233:234], v[235:236], v[231:232]
	v_fma_f64 v[229:230], -v[229:230], v[233:234], v[235:236]
	v_div_fmas_f64 v[229:230], v[229:230], v[231:232], v[233:234]
	v_div_fixup_f64 v[229:230], v[229:230], v[216:217], v[214:215]
	v_fma_f64 v[214:215], v[214:215], v[229:230], v[216:217]
	v_div_scale_f64 v[216:217], null, v[214:215], v[214:215], 1.0
	v_rcp_f64_e32 v[231:232], v[216:217]
	v_fma_f64 v[233:234], -v[216:217], v[231:232], 1.0
	v_fma_f64 v[231:232], v[231:232], v[233:234], v[231:232]
	v_fma_f64 v[233:234], -v[216:217], v[231:232], 1.0
	v_fma_f64 v[231:232], v[231:232], v[233:234], v[231:232]
	v_div_scale_f64 v[233:234], vcc_lo, 1.0, v[214:215], 1.0
	v_mul_f64 v[235:236], v[233:234], v[231:232]
	v_fma_f64 v[216:217], -v[216:217], v[235:236], v[233:234]
	v_div_fmas_f64 v[216:217], v[216:217], v[231:232], v[235:236]
	v_div_fixup_f64 v[216:217], v[216:217], v[214:215], 1.0
	v_mul_f64 v[214:215], v[229:230], v[216:217]
	v_xor_b32_e32 v217, 0x80000000, v217
.LBB104_784:
	s_andn2_saveexec_b32 s1, s1
	s_cbranch_execz .LBB104_786
; %bb.785:
	v_div_scale_f64 v[229:230], null, v[214:215], v[214:215], v[216:217]
	v_div_scale_f64 v[235:236], vcc_lo, v[216:217], v[214:215], v[216:217]
	v_rcp_f64_e32 v[231:232], v[229:230]
	v_fma_f64 v[233:234], -v[229:230], v[231:232], 1.0
	v_fma_f64 v[231:232], v[231:232], v[233:234], v[231:232]
	v_fma_f64 v[233:234], -v[229:230], v[231:232], 1.0
	v_fma_f64 v[231:232], v[231:232], v[233:234], v[231:232]
	v_mul_f64 v[233:234], v[235:236], v[231:232]
	v_fma_f64 v[229:230], -v[229:230], v[233:234], v[235:236]
	v_div_fmas_f64 v[229:230], v[229:230], v[231:232], v[233:234]
	v_div_fixup_f64 v[229:230], v[229:230], v[214:215], v[216:217]
	v_fma_f64 v[214:215], v[216:217], v[229:230], v[214:215]
	v_div_scale_f64 v[216:217], null, v[214:215], v[214:215], 1.0
	v_rcp_f64_e32 v[231:232], v[216:217]
	v_fma_f64 v[233:234], -v[216:217], v[231:232], 1.0
	v_fma_f64 v[231:232], v[231:232], v[233:234], v[231:232]
	v_fma_f64 v[233:234], -v[216:217], v[231:232], 1.0
	v_fma_f64 v[231:232], v[231:232], v[233:234], v[231:232]
	v_div_scale_f64 v[233:234], vcc_lo, 1.0, v[214:215], 1.0
	v_mul_f64 v[235:236], v[233:234], v[231:232]
	v_fma_f64 v[216:217], -v[216:217], v[235:236], v[233:234]
	v_div_fmas_f64 v[216:217], v[216:217], v[231:232], v[235:236]
	v_div_fixup_f64 v[214:215], v[216:217], v[214:215], 1.0
	v_mul_f64 v[216:217], v[229:230], -v[214:215]
.LBB104_786:
	s_or_b32 exec_lo, exec_lo, s1
.LBB104_787:
	s_or_b32 exec_lo, exec_lo, s0
	s_mov_b32 s0, exec_lo
	v_cmpx_ne_u32_e64 v228, v222
	s_xor_b32 s0, exec_lo, s0
	s_cbranch_execz .LBB104_793
; %bb.788:
	s_mov_b32 s1, exec_lo
	v_cmpx_eq_u32_e32 37, v228
	s_cbranch_execz .LBB104_792
; %bb.789:
	v_cmp_ne_u32_e32 vcc_lo, 37, v222
	s_xor_b32 s7, s16, -1
	s_and_b32 s9, s7, vcc_lo
	s_and_saveexec_b32 s7, s9
	s_cbranch_execz .LBB104_791
; %bb.790:
	v_ashrrev_i32_e32 v223, 31, v222
	v_lshlrev_b64 v[228:229], 2, v[222:223]
	v_add_co_u32 v228, vcc_lo, v220, v228
	v_add_co_ci_u32_e64 v229, null, v221, v229, vcc_lo
	s_clause 0x1
	global_load_dword v0, v[228:229], off
	global_load_dword v223, v[220:221], off offset:148
	s_waitcnt vmcnt(1)
	global_store_dword v[220:221], v0, off offset:148
	s_waitcnt vmcnt(0)
	global_store_dword v[228:229], v223, off
.LBB104_791:
	s_or_b32 exec_lo, exec_lo, s7
	v_mov_b32_e32 v228, v222
	v_mov_b32_e32 v0, v222
.LBB104_792:
	s_or_b32 exec_lo, exec_lo, s1
.LBB104_793:
	s_andn2_saveexec_b32 s0, s0
	s_cbranch_execz .LBB104_795
; %bb.794:
	v_mov_b32_e32 v228, 37
	ds_write2_b64 v1, v[58:59], v[60:61] offset0:76 offset1:77
	ds_write2_b64 v1, v[54:55], v[56:57] offset0:78 offset1:79
	;; [unrolled: 1-line block ×15, first 2 shown]
.LBB104_795:
	s_or_b32 exec_lo, exec_lo, s0
	s_mov_b32 s0, exec_lo
	s_waitcnt lgkmcnt(0)
	s_waitcnt_vscnt null, 0x0
	s_barrier
	buffer_gl0_inv
	v_cmpx_lt_i32_e32 37, v228
	s_cbranch_execz .LBB104_797
; %bb.796:
	v_mul_f64 v[222:223], v[214:215], v[64:65]
	v_mul_f64 v[64:65], v[216:217], v[64:65]
	v_fma_f64 v[222:223], v[216:217], v[62:63], v[222:223]
	v_fma_f64 v[62:63], v[214:215], v[62:63], -v[64:65]
	ds_read2_b64 v[214:217], v1 offset0:76 offset1:77
	s_waitcnt lgkmcnt(0)
	v_mul_f64 v[64:65], v[216:217], v[222:223]
	v_fma_f64 v[64:65], v[214:215], v[62:63], -v[64:65]
	v_mul_f64 v[214:215], v[214:215], v[222:223]
	v_add_f64 v[58:59], v[58:59], -v[64:65]
	v_fma_f64 v[214:215], v[216:217], v[62:63], v[214:215]
	v_add_f64 v[60:61], v[60:61], -v[214:215]
	ds_read2_b64 v[214:217], v1 offset0:78 offset1:79
	s_waitcnt lgkmcnt(0)
	v_mul_f64 v[64:65], v[216:217], v[222:223]
	v_fma_f64 v[64:65], v[214:215], v[62:63], -v[64:65]
	v_mul_f64 v[214:215], v[214:215], v[222:223]
	v_add_f64 v[54:55], v[54:55], -v[64:65]
	v_fma_f64 v[214:215], v[216:217], v[62:63], v[214:215]
	v_add_f64 v[56:57], v[56:57], -v[214:215]
	;; [unrolled: 8-line block ×14, first 2 shown]
	ds_read2_b64 v[214:217], v1 offset0:104 offset1:105
	s_waitcnt lgkmcnt(0)
	v_mul_f64 v[64:65], v[216:217], v[222:223]
	v_fma_f64 v[64:65], v[214:215], v[62:63], -v[64:65]
	v_mul_f64 v[214:215], v[214:215], v[222:223]
	v_add_f64 v[2:3], v[2:3], -v[64:65]
	v_fma_f64 v[214:215], v[216:217], v[62:63], v[214:215]
	v_mov_b32_e32 v64, v222
	v_mov_b32_e32 v65, v223
	v_add_f64 v[4:5], v[4:5], -v[214:215]
.LBB104_797:
	s_or_b32 exec_lo, exec_lo, s0
	v_lshl_add_u32 v214, v228, 4, v1
	s_barrier
	buffer_gl0_inv
	v_mov_b32_e32 v222, 38
	ds_write2_b64 v214, v[58:59], v[60:61] offset1:1
	s_waitcnt lgkmcnt(0)
	s_barrier
	buffer_gl0_inv
	ds_read2_b64 v[214:217], v1 offset0:76 offset1:77
	s_cmp_lt_i32 s8, 40
	s_cbranch_scc1 .LBB104_800
; %bb.798:
	v_add3_u32 v223, v224, 0, 0x270
	v_mov_b32_e32 v222, 38
	s_mov_b32 s1, 39
	s_inst_prefetch 0x1
	.p2align	6
.LBB104_799:                            ; =>This Inner Loop Header: Depth=1
	s_waitcnt lgkmcnt(0)
	v_cmp_gt_f64_e32 vcc_lo, 0, v[216:217]
	v_cmp_gt_f64_e64 s0, 0, v[214:215]
	ds_read2_b64 v[229:232], v223 offset1:1
	v_xor_b32_e32 v234, 0x80000000, v215
	v_xor_b32_e32 v236, 0x80000000, v217
	v_mov_b32_e32 v233, v214
	v_mov_b32_e32 v235, v216
	v_add_nc_u32_e32 v223, 16, v223
	s_waitcnt lgkmcnt(0)
	v_xor_b32_e32 v238, 0x80000000, v232
	v_cndmask_b32_e64 v234, v215, v234, s0
	v_cndmask_b32_e32 v236, v217, v236, vcc_lo
	v_cmp_gt_f64_e32 vcc_lo, 0, v[231:232]
	v_cmp_gt_f64_e64 s0, 0, v[229:230]
	v_mov_b32_e32 v237, v231
	v_add_f64 v[233:234], v[233:234], v[235:236]
	v_xor_b32_e32 v236, 0x80000000, v230
	v_mov_b32_e32 v235, v229
	v_cndmask_b32_e32 v238, v232, v238, vcc_lo
	v_cndmask_b32_e64 v236, v230, v236, s0
	v_add_f64 v[235:236], v[235:236], v[237:238]
	v_cmp_lt_f64_e32 vcc_lo, v[233:234], v[235:236]
	v_cndmask_b32_e32 v215, v215, v230, vcc_lo
	v_cndmask_b32_e32 v214, v214, v229, vcc_lo
	;; [unrolled: 1-line block ×4, first 2 shown]
	v_cndmask_b32_e64 v222, v222, s1, vcc_lo
	s_add_i32 s1, s1, 1
	s_cmp_lg_u32 s8, s1
	s_cbranch_scc1 .LBB104_799
.LBB104_800:
	s_inst_prefetch 0x2
	s_waitcnt lgkmcnt(0)
	v_cmp_eq_f64_e32 vcc_lo, 0, v[214:215]
	v_cmp_eq_f64_e64 s0, 0, v[216:217]
	s_and_b32 s0, vcc_lo, s0
	s_and_saveexec_b32 s1, s0
	s_xor_b32 s0, exec_lo, s1
; %bb.801:
	v_cmp_ne_u32_e32 vcc_lo, 0, v227
	v_cndmask_b32_e32 v227, 39, v227, vcc_lo
; %bb.802:
	s_andn2_saveexec_b32 s0, s0
	s_cbranch_execz .LBB104_808
; %bb.803:
	v_cmp_ngt_f64_e64 s1, |v[214:215]|, |v[216:217]|
	s_and_saveexec_b32 s7, s1
	s_xor_b32 s1, exec_lo, s7
	s_cbranch_execz .LBB104_805
; %bb.804:
	v_div_scale_f64 v[229:230], null, v[216:217], v[216:217], v[214:215]
	v_div_scale_f64 v[235:236], vcc_lo, v[214:215], v[216:217], v[214:215]
	v_rcp_f64_e32 v[231:232], v[229:230]
	v_fma_f64 v[233:234], -v[229:230], v[231:232], 1.0
	v_fma_f64 v[231:232], v[231:232], v[233:234], v[231:232]
	v_fma_f64 v[233:234], -v[229:230], v[231:232], 1.0
	v_fma_f64 v[231:232], v[231:232], v[233:234], v[231:232]
	v_mul_f64 v[233:234], v[235:236], v[231:232]
	v_fma_f64 v[229:230], -v[229:230], v[233:234], v[235:236]
	v_div_fmas_f64 v[229:230], v[229:230], v[231:232], v[233:234]
	v_div_fixup_f64 v[229:230], v[229:230], v[216:217], v[214:215]
	v_fma_f64 v[214:215], v[214:215], v[229:230], v[216:217]
	v_div_scale_f64 v[216:217], null, v[214:215], v[214:215], 1.0
	v_rcp_f64_e32 v[231:232], v[216:217]
	v_fma_f64 v[233:234], -v[216:217], v[231:232], 1.0
	v_fma_f64 v[231:232], v[231:232], v[233:234], v[231:232]
	v_fma_f64 v[233:234], -v[216:217], v[231:232], 1.0
	v_fma_f64 v[231:232], v[231:232], v[233:234], v[231:232]
	v_div_scale_f64 v[233:234], vcc_lo, 1.0, v[214:215], 1.0
	v_mul_f64 v[235:236], v[233:234], v[231:232]
	v_fma_f64 v[216:217], -v[216:217], v[235:236], v[233:234]
	v_div_fmas_f64 v[216:217], v[216:217], v[231:232], v[235:236]
	v_div_fixup_f64 v[216:217], v[216:217], v[214:215], 1.0
	v_mul_f64 v[214:215], v[229:230], v[216:217]
	v_xor_b32_e32 v217, 0x80000000, v217
.LBB104_805:
	s_andn2_saveexec_b32 s1, s1
	s_cbranch_execz .LBB104_807
; %bb.806:
	v_div_scale_f64 v[229:230], null, v[214:215], v[214:215], v[216:217]
	v_div_scale_f64 v[235:236], vcc_lo, v[216:217], v[214:215], v[216:217]
	v_rcp_f64_e32 v[231:232], v[229:230]
	v_fma_f64 v[233:234], -v[229:230], v[231:232], 1.0
	v_fma_f64 v[231:232], v[231:232], v[233:234], v[231:232]
	v_fma_f64 v[233:234], -v[229:230], v[231:232], 1.0
	v_fma_f64 v[231:232], v[231:232], v[233:234], v[231:232]
	v_mul_f64 v[233:234], v[235:236], v[231:232]
	v_fma_f64 v[229:230], -v[229:230], v[233:234], v[235:236]
	v_div_fmas_f64 v[229:230], v[229:230], v[231:232], v[233:234]
	v_div_fixup_f64 v[229:230], v[229:230], v[214:215], v[216:217]
	v_fma_f64 v[214:215], v[216:217], v[229:230], v[214:215]
	v_div_scale_f64 v[216:217], null, v[214:215], v[214:215], 1.0
	v_rcp_f64_e32 v[231:232], v[216:217]
	v_fma_f64 v[233:234], -v[216:217], v[231:232], 1.0
	v_fma_f64 v[231:232], v[231:232], v[233:234], v[231:232]
	v_fma_f64 v[233:234], -v[216:217], v[231:232], 1.0
	v_fma_f64 v[231:232], v[231:232], v[233:234], v[231:232]
	v_div_scale_f64 v[233:234], vcc_lo, 1.0, v[214:215], 1.0
	v_mul_f64 v[235:236], v[233:234], v[231:232]
	v_fma_f64 v[216:217], -v[216:217], v[235:236], v[233:234]
	v_div_fmas_f64 v[216:217], v[216:217], v[231:232], v[235:236]
	v_div_fixup_f64 v[214:215], v[216:217], v[214:215], 1.0
	v_mul_f64 v[216:217], v[229:230], -v[214:215]
.LBB104_807:
	s_or_b32 exec_lo, exec_lo, s1
.LBB104_808:
	s_or_b32 exec_lo, exec_lo, s0
	s_mov_b32 s0, exec_lo
	v_cmpx_ne_u32_e64 v228, v222
	s_xor_b32 s0, exec_lo, s0
	s_cbranch_execz .LBB104_814
; %bb.809:
	s_mov_b32 s1, exec_lo
	v_cmpx_eq_u32_e32 38, v228
	s_cbranch_execz .LBB104_813
; %bb.810:
	v_cmp_ne_u32_e32 vcc_lo, 38, v222
	s_xor_b32 s7, s16, -1
	s_and_b32 s9, s7, vcc_lo
	s_and_saveexec_b32 s7, s9
	s_cbranch_execz .LBB104_812
; %bb.811:
	v_ashrrev_i32_e32 v223, 31, v222
	v_lshlrev_b64 v[228:229], 2, v[222:223]
	v_add_co_u32 v228, vcc_lo, v220, v228
	v_add_co_ci_u32_e64 v229, null, v221, v229, vcc_lo
	s_clause 0x1
	global_load_dword v0, v[228:229], off
	global_load_dword v223, v[220:221], off offset:152
	s_waitcnt vmcnt(1)
	global_store_dword v[220:221], v0, off offset:152
	s_waitcnt vmcnt(0)
	global_store_dword v[228:229], v223, off
.LBB104_812:
	s_or_b32 exec_lo, exec_lo, s7
	v_mov_b32_e32 v228, v222
	v_mov_b32_e32 v0, v222
.LBB104_813:
	s_or_b32 exec_lo, exec_lo, s1
.LBB104_814:
	s_andn2_saveexec_b32 s0, s0
	s_cbranch_execz .LBB104_816
; %bb.815:
	v_mov_b32_e32 v228, 38
	ds_write2_b64 v1, v[54:55], v[56:57] offset0:78 offset1:79
	ds_write2_b64 v1, v[50:51], v[52:53] offset0:80 offset1:81
	;; [unrolled: 1-line block ×14, first 2 shown]
.LBB104_816:
	s_or_b32 exec_lo, exec_lo, s0
	s_mov_b32 s0, exec_lo
	s_waitcnt lgkmcnt(0)
	s_waitcnt_vscnt null, 0x0
	s_barrier
	buffer_gl0_inv
	v_cmpx_lt_i32_e32 38, v228
	s_cbranch_execz .LBB104_818
; %bb.817:
	v_mul_f64 v[222:223], v[214:215], v[60:61]
	v_mul_f64 v[60:61], v[216:217], v[60:61]
	v_fma_f64 v[222:223], v[216:217], v[58:59], v[222:223]
	v_fma_f64 v[58:59], v[214:215], v[58:59], -v[60:61]
	ds_read2_b64 v[214:217], v1 offset0:78 offset1:79
	s_waitcnt lgkmcnt(0)
	v_mul_f64 v[60:61], v[216:217], v[222:223]
	v_fma_f64 v[60:61], v[214:215], v[58:59], -v[60:61]
	v_mul_f64 v[214:215], v[214:215], v[222:223]
	v_add_f64 v[54:55], v[54:55], -v[60:61]
	v_fma_f64 v[214:215], v[216:217], v[58:59], v[214:215]
	v_add_f64 v[56:57], v[56:57], -v[214:215]
	ds_read2_b64 v[214:217], v1 offset0:80 offset1:81
	s_waitcnt lgkmcnt(0)
	v_mul_f64 v[60:61], v[216:217], v[222:223]
	v_fma_f64 v[60:61], v[214:215], v[58:59], -v[60:61]
	v_mul_f64 v[214:215], v[214:215], v[222:223]
	v_add_f64 v[50:51], v[50:51], -v[60:61]
	v_fma_f64 v[214:215], v[216:217], v[58:59], v[214:215]
	v_add_f64 v[52:53], v[52:53], -v[214:215]
	;; [unrolled: 8-line block ×13, first 2 shown]
	ds_read2_b64 v[214:217], v1 offset0:104 offset1:105
	s_waitcnt lgkmcnt(0)
	v_mul_f64 v[60:61], v[216:217], v[222:223]
	v_fma_f64 v[60:61], v[214:215], v[58:59], -v[60:61]
	v_mul_f64 v[214:215], v[214:215], v[222:223]
	v_add_f64 v[2:3], v[2:3], -v[60:61]
	v_fma_f64 v[214:215], v[216:217], v[58:59], v[214:215]
	v_mov_b32_e32 v60, v222
	v_mov_b32_e32 v61, v223
	v_add_f64 v[4:5], v[4:5], -v[214:215]
.LBB104_818:
	s_or_b32 exec_lo, exec_lo, s0
	v_lshl_add_u32 v214, v228, 4, v1
	s_barrier
	buffer_gl0_inv
	v_mov_b32_e32 v222, 39
	ds_write2_b64 v214, v[54:55], v[56:57] offset1:1
	s_waitcnt lgkmcnt(0)
	s_barrier
	buffer_gl0_inv
	ds_read2_b64 v[214:217], v1 offset0:78 offset1:79
	s_cmp_lt_i32 s8, 41
	s_cbranch_scc1 .LBB104_821
; %bb.819:
	v_add3_u32 v223, v224, 0, 0x280
	v_mov_b32_e32 v222, 39
	s_mov_b32 s1, 40
	s_inst_prefetch 0x1
	.p2align	6
.LBB104_820:                            ; =>This Inner Loop Header: Depth=1
	s_waitcnt lgkmcnt(0)
	v_cmp_gt_f64_e32 vcc_lo, 0, v[216:217]
	v_cmp_gt_f64_e64 s0, 0, v[214:215]
	ds_read2_b64 v[229:232], v223 offset1:1
	v_xor_b32_e32 v234, 0x80000000, v215
	v_xor_b32_e32 v236, 0x80000000, v217
	v_mov_b32_e32 v233, v214
	v_mov_b32_e32 v235, v216
	v_add_nc_u32_e32 v223, 16, v223
	s_waitcnt lgkmcnt(0)
	v_xor_b32_e32 v238, 0x80000000, v232
	v_cndmask_b32_e64 v234, v215, v234, s0
	v_cndmask_b32_e32 v236, v217, v236, vcc_lo
	v_cmp_gt_f64_e32 vcc_lo, 0, v[231:232]
	v_cmp_gt_f64_e64 s0, 0, v[229:230]
	v_mov_b32_e32 v237, v231
	v_add_f64 v[233:234], v[233:234], v[235:236]
	v_xor_b32_e32 v236, 0x80000000, v230
	v_mov_b32_e32 v235, v229
	v_cndmask_b32_e32 v238, v232, v238, vcc_lo
	v_cndmask_b32_e64 v236, v230, v236, s0
	v_add_f64 v[235:236], v[235:236], v[237:238]
	v_cmp_lt_f64_e32 vcc_lo, v[233:234], v[235:236]
	v_cndmask_b32_e32 v215, v215, v230, vcc_lo
	v_cndmask_b32_e32 v214, v214, v229, vcc_lo
	;; [unrolled: 1-line block ×4, first 2 shown]
	v_cndmask_b32_e64 v222, v222, s1, vcc_lo
	s_add_i32 s1, s1, 1
	s_cmp_lg_u32 s8, s1
	s_cbranch_scc1 .LBB104_820
.LBB104_821:
	s_inst_prefetch 0x2
	s_waitcnt lgkmcnt(0)
	v_cmp_eq_f64_e32 vcc_lo, 0, v[214:215]
	v_cmp_eq_f64_e64 s0, 0, v[216:217]
	s_and_b32 s0, vcc_lo, s0
	s_and_saveexec_b32 s1, s0
	s_xor_b32 s0, exec_lo, s1
; %bb.822:
	v_cmp_ne_u32_e32 vcc_lo, 0, v227
	v_cndmask_b32_e32 v227, 40, v227, vcc_lo
; %bb.823:
	s_andn2_saveexec_b32 s0, s0
	s_cbranch_execz .LBB104_829
; %bb.824:
	v_cmp_ngt_f64_e64 s1, |v[214:215]|, |v[216:217]|
	s_and_saveexec_b32 s7, s1
	s_xor_b32 s1, exec_lo, s7
	s_cbranch_execz .LBB104_826
; %bb.825:
	v_div_scale_f64 v[229:230], null, v[216:217], v[216:217], v[214:215]
	v_div_scale_f64 v[235:236], vcc_lo, v[214:215], v[216:217], v[214:215]
	v_rcp_f64_e32 v[231:232], v[229:230]
	v_fma_f64 v[233:234], -v[229:230], v[231:232], 1.0
	v_fma_f64 v[231:232], v[231:232], v[233:234], v[231:232]
	v_fma_f64 v[233:234], -v[229:230], v[231:232], 1.0
	v_fma_f64 v[231:232], v[231:232], v[233:234], v[231:232]
	v_mul_f64 v[233:234], v[235:236], v[231:232]
	v_fma_f64 v[229:230], -v[229:230], v[233:234], v[235:236]
	v_div_fmas_f64 v[229:230], v[229:230], v[231:232], v[233:234]
	v_div_fixup_f64 v[229:230], v[229:230], v[216:217], v[214:215]
	v_fma_f64 v[214:215], v[214:215], v[229:230], v[216:217]
	v_div_scale_f64 v[216:217], null, v[214:215], v[214:215], 1.0
	v_rcp_f64_e32 v[231:232], v[216:217]
	v_fma_f64 v[233:234], -v[216:217], v[231:232], 1.0
	v_fma_f64 v[231:232], v[231:232], v[233:234], v[231:232]
	v_fma_f64 v[233:234], -v[216:217], v[231:232], 1.0
	v_fma_f64 v[231:232], v[231:232], v[233:234], v[231:232]
	v_div_scale_f64 v[233:234], vcc_lo, 1.0, v[214:215], 1.0
	v_mul_f64 v[235:236], v[233:234], v[231:232]
	v_fma_f64 v[216:217], -v[216:217], v[235:236], v[233:234]
	v_div_fmas_f64 v[216:217], v[216:217], v[231:232], v[235:236]
	v_div_fixup_f64 v[216:217], v[216:217], v[214:215], 1.0
	v_mul_f64 v[214:215], v[229:230], v[216:217]
	v_xor_b32_e32 v217, 0x80000000, v217
.LBB104_826:
	s_andn2_saveexec_b32 s1, s1
	s_cbranch_execz .LBB104_828
; %bb.827:
	v_div_scale_f64 v[229:230], null, v[214:215], v[214:215], v[216:217]
	v_div_scale_f64 v[235:236], vcc_lo, v[216:217], v[214:215], v[216:217]
	v_rcp_f64_e32 v[231:232], v[229:230]
	v_fma_f64 v[233:234], -v[229:230], v[231:232], 1.0
	v_fma_f64 v[231:232], v[231:232], v[233:234], v[231:232]
	v_fma_f64 v[233:234], -v[229:230], v[231:232], 1.0
	v_fma_f64 v[231:232], v[231:232], v[233:234], v[231:232]
	v_mul_f64 v[233:234], v[235:236], v[231:232]
	v_fma_f64 v[229:230], -v[229:230], v[233:234], v[235:236]
	v_div_fmas_f64 v[229:230], v[229:230], v[231:232], v[233:234]
	v_div_fixup_f64 v[229:230], v[229:230], v[214:215], v[216:217]
	v_fma_f64 v[214:215], v[216:217], v[229:230], v[214:215]
	v_div_scale_f64 v[216:217], null, v[214:215], v[214:215], 1.0
	v_rcp_f64_e32 v[231:232], v[216:217]
	v_fma_f64 v[233:234], -v[216:217], v[231:232], 1.0
	v_fma_f64 v[231:232], v[231:232], v[233:234], v[231:232]
	v_fma_f64 v[233:234], -v[216:217], v[231:232], 1.0
	v_fma_f64 v[231:232], v[231:232], v[233:234], v[231:232]
	v_div_scale_f64 v[233:234], vcc_lo, 1.0, v[214:215], 1.0
	v_mul_f64 v[235:236], v[233:234], v[231:232]
	v_fma_f64 v[216:217], -v[216:217], v[235:236], v[233:234]
	v_div_fmas_f64 v[216:217], v[216:217], v[231:232], v[235:236]
	v_div_fixup_f64 v[214:215], v[216:217], v[214:215], 1.0
	v_mul_f64 v[216:217], v[229:230], -v[214:215]
.LBB104_828:
	s_or_b32 exec_lo, exec_lo, s1
.LBB104_829:
	s_or_b32 exec_lo, exec_lo, s0
	s_mov_b32 s0, exec_lo
	v_cmpx_ne_u32_e64 v228, v222
	s_xor_b32 s0, exec_lo, s0
	s_cbranch_execz .LBB104_835
; %bb.830:
	s_mov_b32 s1, exec_lo
	v_cmpx_eq_u32_e32 39, v228
	s_cbranch_execz .LBB104_834
; %bb.831:
	v_cmp_ne_u32_e32 vcc_lo, 39, v222
	s_xor_b32 s7, s16, -1
	s_and_b32 s9, s7, vcc_lo
	s_and_saveexec_b32 s7, s9
	s_cbranch_execz .LBB104_833
; %bb.832:
	v_ashrrev_i32_e32 v223, 31, v222
	v_lshlrev_b64 v[228:229], 2, v[222:223]
	v_add_co_u32 v228, vcc_lo, v220, v228
	v_add_co_ci_u32_e64 v229, null, v221, v229, vcc_lo
	s_clause 0x1
	global_load_dword v0, v[228:229], off
	global_load_dword v223, v[220:221], off offset:156
	s_waitcnt vmcnt(1)
	global_store_dword v[220:221], v0, off offset:156
	s_waitcnt vmcnt(0)
	global_store_dword v[228:229], v223, off
.LBB104_833:
	s_or_b32 exec_lo, exec_lo, s7
	v_mov_b32_e32 v228, v222
	v_mov_b32_e32 v0, v222
.LBB104_834:
	s_or_b32 exec_lo, exec_lo, s1
.LBB104_835:
	s_andn2_saveexec_b32 s0, s0
	s_cbranch_execz .LBB104_837
; %bb.836:
	v_mov_b32_e32 v228, 39
	ds_write2_b64 v1, v[50:51], v[52:53] offset0:80 offset1:81
	ds_write2_b64 v1, v[46:47], v[48:49] offset0:82 offset1:83
	;; [unrolled: 1-line block ×13, first 2 shown]
.LBB104_837:
	s_or_b32 exec_lo, exec_lo, s0
	s_mov_b32 s0, exec_lo
	s_waitcnt lgkmcnt(0)
	s_waitcnt_vscnt null, 0x0
	s_barrier
	buffer_gl0_inv
	v_cmpx_lt_i32_e32 39, v228
	s_cbranch_execz .LBB104_839
; %bb.838:
	v_mul_f64 v[222:223], v[214:215], v[56:57]
	v_mul_f64 v[56:57], v[216:217], v[56:57]
	v_fma_f64 v[222:223], v[216:217], v[54:55], v[222:223]
	v_fma_f64 v[54:55], v[214:215], v[54:55], -v[56:57]
	ds_read2_b64 v[214:217], v1 offset0:80 offset1:81
	s_waitcnt lgkmcnt(0)
	v_mul_f64 v[56:57], v[216:217], v[222:223]
	v_fma_f64 v[56:57], v[214:215], v[54:55], -v[56:57]
	v_mul_f64 v[214:215], v[214:215], v[222:223]
	v_add_f64 v[50:51], v[50:51], -v[56:57]
	v_fma_f64 v[214:215], v[216:217], v[54:55], v[214:215]
	v_add_f64 v[52:53], v[52:53], -v[214:215]
	ds_read2_b64 v[214:217], v1 offset0:82 offset1:83
	s_waitcnt lgkmcnt(0)
	v_mul_f64 v[56:57], v[216:217], v[222:223]
	v_fma_f64 v[56:57], v[214:215], v[54:55], -v[56:57]
	v_mul_f64 v[214:215], v[214:215], v[222:223]
	v_add_f64 v[46:47], v[46:47], -v[56:57]
	v_fma_f64 v[214:215], v[216:217], v[54:55], v[214:215]
	v_add_f64 v[48:49], v[48:49], -v[214:215]
	;; [unrolled: 8-line block ×12, first 2 shown]
	ds_read2_b64 v[214:217], v1 offset0:104 offset1:105
	s_waitcnt lgkmcnt(0)
	v_mul_f64 v[56:57], v[216:217], v[222:223]
	v_fma_f64 v[56:57], v[214:215], v[54:55], -v[56:57]
	v_mul_f64 v[214:215], v[214:215], v[222:223]
	v_add_f64 v[2:3], v[2:3], -v[56:57]
	v_fma_f64 v[214:215], v[216:217], v[54:55], v[214:215]
	v_mov_b32_e32 v56, v222
	v_mov_b32_e32 v57, v223
	v_add_f64 v[4:5], v[4:5], -v[214:215]
.LBB104_839:
	s_or_b32 exec_lo, exec_lo, s0
	v_lshl_add_u32 v214, v228, 4, v1
	s_barrier
	buffer_gl0_inv
	v_mov_b32_e32 v222, 40
	ds_write2_b64 v214, v[50:51], v[52:53] offset1:1
	s_waitcnt lgkmcnt(0)
	s_barrier
	buffer_gl0_inv
	ds_read2_b64 v[214:217], v1 offset0:80 offset1:81
	s_cmp_lt_i32 s8, 42
	s_cbranch_scc1 .LBB104_842
; %bb.840:
	v_add3_u32 v223, v224, 0, 0x290
	v_mov_b32_e32 v222, 40
	s_mov_b32 s1, 41
	s_inst_prefetch 0x1
	.p2align	6
.LBB104_841:                            ; =>This Inner Loop Header: Depth=1
	s_waitcnt lgkmcnt(0)
	v_cmp_gt_f64_e32 vcc_lo, 0, v[216:217]
	v_cmp_gt_f64_e64 s0, 0, v[214:215]
	ds_read2_b64 v[229:232], v223 offset1:1
	v_xor_b32_e32 v234, 0x80000000, v215
	v_xor_b32_e32 v236, 0x80000000, v217
	v_mov_b32_e32 v233, v214
	v_mov_b32_e32 v235, v216
	v_add_nc_u32_e32 v223, 16, v223
	s_waitcnt lgkmcnt(0)
	v_xor_b32_e32 v238, 0x80000000, v232
	v_cndmask_b32_e64 v234, v215, v234, s0
	v_cndmask_b32_e32 v236, v217, v236, vcc_lo
	v_cmp_gt_f64_e32 vcc_lo, 0, v[231:232]
	v_cmp_gt_f64_e64 s0, 0, v[229:230]
	v_mov_b32_e32 v237, v231
	v_add_f64 v[233:234], v[233:234], v[235:236]
	v_xor_b32_e32 v236, 0x80000000, v230
	v_mov_b32_e32 v235, v229
	v_cndmask_b32_e32 v238, v232, v238, vcc_lo
	v_cndmask_b32_e64 v236, v230, v236, s0
	v_add_f64 v[235:236], v[235:236], v[237:238]
	v_cmp_lt_f64_e32 vcc_lo, v[233:234], v[235:236]
	v_cndmask_b32_e32 v215, v215, v230, vcc_lo
	v_cndmask_b32_e32 v214, v214, v229, vcc_lo
	;; [unrolled: 1-line block ×4, first 2 shown]
	v_cndmask_b32_e64 v222, v222, s1, vcc_lo
	s_add_i32 s1, s1, 1
	s_cmp_lg_u32 s8, s1
	s_cbranch_scc1 .LBB104_841
.LBB104_842:
	s_inst_prefetch 0x2
	s_waitcnt lgkmcnt(0)
	v_cmp_eq_f64_e32 vcc_lo, 0, v[214:215]
	v_cmp_eq_f64_e64 s0, 0, v[216:217]
	s_and_b32 s0, vcc_lo, s0
	s_and_saveexec_b32 s1, s0
	s_xor_b32 s0, exec_lo, s1
; %bb.843:
	v_cmp_ne_u32_e32 vcc_lo, 0, v227
	v_cndmask_b32_e32 v227, 41, v227, vcc_lo
; %bb.844:
	s_andn2_saveexec_b32 s0, s0
	s_cbranch_execz .LBB104_850
; %bb.845:
	v_cmp_ngt_f64_e64 s1, |v[214:215]|, |v[216:217]|
	s_and_saveexec_b32 s7, s1
	s_xor_b32 s1, exec_lo, s7
	s_cbranch_execz .LBB104_847
; %bb.846:
	v_div_scale_f64 v[229:230], null, v[216:217], v[216:217], v[214:215]
	v_div_scale_f64 v[235:236], vcc_lo, v[214:215], v[216:217], v[214:215]
	v_rcp_f64_e32 v[231:232], v[229:230]
	v_fma_f64 v[233:234], -v[229:230], v[231:232], 1.0
	v_fma_f64 v[231:232], v[231:232], v[233:234], v[231:232]
	v_fma_f64 v[233:234], -v[229:230], v[231:232], 1.0
	v_fma_f64 v[231:232], v[231:232], v[233:234], v[231:232]
	v_mul_f64 v[233:234], v[235:236], v[231:232]
	v_fma_f64 v[229:230], -v[229:230], v[233:234], v[235:236]
	v_div_fmas_f64 v[229:230], v[229:230], v[231:232], v[233:234]
	v_div_fixup_f64 v[229:230], v[229:230], v[216:217], v[214:215]
	v_fma_f64 v[214:215], v[214:215], v[229:230], v[216:217]
	v_div_scale_f64 v[216:217], null, v[214:215], v[214:215], 1.0
	v_rcp_f64_e32 v[231:232], v[216:217]
	v_fma_f64 v[233:234], -v[216:217], v[231:232], 1.0
	v_fma_f64 v[231:232], v[231:232], v[233:234], v[231:232]
	v_fma_f64 v[233:234], -v[216:217], v[231:232], 1.0
	v_fma_f64 v[231:232], v[231:232], v[233:234], v[231:232]
	v_div_scale_f64 v[233:234], vcc_lo, 1.0, v[214:215], 1.0
	v_mul_f64 v[235:236], v[233:234], v[231:232]
	v_fma_f64 v[216:217], -v[216:217], v[235:236], v[233:234]
	v_div_fmas_f64 v[216:217], v[216:217], v[231:232], v[235:236]
	v_div_fixup_f64 v[216:217], v[216:217], v[214:215], 1.0
	v_mul_f64 v[214:215], v[229:230], v[216:217]
	v_xor_b32_e32 v217, 0x80000000, v217
.LBB104_847:
	s_andn2_saveexec_b32 s1, s1
	s_cbranch_execz .LBB104_849
; %bb.848:
	v_div_scale_f64 v[229:230], null, v[214:215], v[214:215], v[216:217]
	v_div_scale_f64 v[235:236], vcc_lo, v[216:217], v[214:215], v[216:217]
	v_rcp_f64_e32 v[231:232], v[229:230]
	v_fma_f64 v[233:234], -v[229:230], v[231:232], 1.0
	v_fma_f64 v[231:232], v[231:232], v[233:234], v[231:232]
	v_fma_f64 v[233:234], -v[229:230], v[231:232], 1.0
	v_fma_f64 v[231:232], v[231:232], v[233:234], v[231:232]
	v_mul_f64 v[233:234], v[235:236], v[231:232]
	v_fma_f64 v[229:230], -v[229:230], v[233:234], v[235:236]
	v_div_fmas_f64 v[229:230], v[229:230], v[231:232], v[233:234]
	v_div_fixup_f64 v[229:230], v[229:230], v[214:215], v[216:217]
	v_fma_f64 v[214:215], v[216:217], v[229:230], v[214:215]
	v_div_scale_f64 v[216:217], null, v[214:215], v[214:215], 1.0
	v_rcp_f64_e32 v[231:232], v[216:217]
	v_fma_f64 v[233:234], -v[216:217], v[231:232], 1.0
	v_fma_f64 v[231:232], v[231:232], v[233:234], v[231:232]
	v_fma_f64 v[233:234], -v[216:217], v[231:232], 1.0
	v_fma_f64 v[231:232], v[231:232], v[233:234], v[231:232]
	v_div_scale_f64 v[233:234], vcc_lo, 1.0, v[214:215], 1.0
	v_mul_f64 v[235:236], v[233:234], v[231:232]
	v_fma_f64 v[216:217], -v[216:217], v[235:236], v[233:234]
	v_div_fmas_f64 v[216:217], v[216:217], v[231:232], v[235:236]
	v_div_fixup_f64 v[214:215], v[216:217], v[214:215], 1.0
	v_mul_f64 v[216:217], v[229:230], -v[214:215]
.LBB104_849:
	s_or_b32 exec_lo, exec_lo, s1
.LBB104_850:
	s_or_b32 exec_lo, exec_lo, s0
	s_mov_b32 s0, exec_lo
	v_cmpx_ne_u32_e64 v228, v222
	s_xor_b32 s0, exec_lo, s0
	s_cbranch_execz .LBB104_856
; %bb.851:
	s_mov_b32 s1, exec_lo
	v_cmpx_eq_u32_e32 40, v228
	s_cbranch_execz .LBB104_855
; %bb.852:
	v_cmp_ne_u32_e32 vcc_lo, 40, v222
	s_xor_b32 s7, s16, -1
	s_and_b32 s9, s7, vcc_lo
	s_and_saveexec_b32 s7, s9
	s_cbranch_execz .LBB104_854
; %bb.853:
	v_ashrrev_i32_e32 v223, 31, v222
	v_lshlrev_b64 v[228:229], 2, v[222:223]
	v_add_co_u32 v228, vcc_lo, v220, v228
	v_add_co_ci_u32_e64 v229, null, v221, v229, vcc_lo
	s_clause 0x1
	global_load_dword v0, v[228:229], off
	global_load_dword v223, v[220:221], off offset:160
	s_waitcnt vmcnt(1)
	global_store_dword v[220:221], v0, off offset:160
	s_waitcnt vmcnt(0)
	global_store_dword v[228:229], v223, off
.LBB104_854:
	s_or_b32 exec_lo, exec_lo, s7
	v_mov_b32_e32 v228, v222
	v_mov_b32_e32 v0, v222
.LBB104_855:
	s_or_b32 exec_lo, exec_lo, s1
.LBB104_856:
	s_andn2_saveexec_b32 s0, s0
	s_cbranch_execz .LBB104_858
; %bb.857:
	v_mov_b32_e32 v228, 40
	ds_write2_b64 v1, v[46:47], v[48:49] offset0:82 offset1:83
	ds_write2_b64 v1, v[42:43], v[44:45] offset0:84 offset1:85
	;; [unrolled: 1-line block ×12, first 2 shown]
.LBB104_858:
	s_or_b32 exec_lo, exec_lo, s0
	s_mov_b32 s0, exec_lo
	s_waitcnt lgkmcnt(0)
	s_waitcnt_vscnt null, 0x0
	s_barrier
	buffer_gl0_inv
	v_cmpx_lt_i32_e32 40, v228
	s_cbranch_execz .LBB104_860
; %bb.859:
	v_mul_f64 v[222:223], v[214:215], v[52:53]
	v_mul_f64 v[52:53], v[216:217], v[52:53]
	v_fma_f64 v[222:223], v[216:217], v[50:51], v[222:223]
	v_fma_f64 v[50:51], v[214:215], v[50:51], -v[52:53]
	ds_read2_b64 v[214:217], v1 offset0:82 offset1:83
	s_waitcnt lgkmcnt(0)
	v_mul_f64 v[52:53], v[216:217], v[222:223]
	v_fma_f64 v[52:53], v[214:215], v[50:51], -v[52:53]
	v_mul_f64 v[214:215], v[214:215], v[222:223]
	v_add_f64 v[46:47], v[46:47], -v[52:53]
	v_fma_f64 v[214:215], v[216:217], v[50:51], v[214:215]
	v_add_f64 v[48:49], v[48:49], -v[214:215]
	ds_read2_b64 v[214:217], v1 offset0:84 offset1:85
	s_waitcnt lgkmcnt(0)
	v_mul_f64 v[52:53], v[216:217], v[222:223]
	v_fma_f64 v[52:53], v[214:215], v[50:51], -v[52:53]
	v_mul_f64 v[214:215], v[214:215], v[222:223]
	v_add_f64 v[42:43], v[42:43], -v[52:53]
	v_fma_f64 v[214:215], v[216:217], v[50:51], v[214:215]
	v_add_f64 v[44:45], v[44:45], -v[214:215]
	;; [unrolled: 8-line block ×11, first 2 shown]
	ds_read2_b64 v[214:217], v1 offset0:104 offset1:105
	s_waitcnt lgkmcnt(0)
	v_mul_f64 v[52:53], v[216:217], v[222:223]
	v_fma_f64 v[52:53], v[214:215], v[50:51], -v[52:53]
	v_mul_f64 v[214:215], v[214:215], v[222:223]
	v_add_f64 v[2:3], v[2:3], -v[52:53]
	v_fma_f64 v[214:215], v[216:217], v[50:51], v[214:215]
	v_mov_b32_e32 v52, v222
	v_mov_b32_e32 v53, v223
	v_add_f64 v[4:5], v[4:5], -v[214:215]
.LBB104_860:
	s_or_b32 exec_lo, exec_lo, s0
	v_lshl_add_u32 v214, v228, 4, v1
	s_barrier
	buffer_gl0_inv
	v_mov_b32_e32 v222, 41
	ds_write2_b64 v214, v[46:47], v[48:49] offset1:1
	s_waitcnt lgkmcnt(0)
	s_barrier
	buffer_gl0_inv
	ds_read2_b64 v[214:217], v1 offset0:82 offset1:83
	s_cmp_lt_i32 s8, 43
	s_cbranch_scc1 .LBB104_863
; %bb.861:
	v_add3_u32 v223, v224, 0, 0x2a0
	v_mov_b32_e32 v222, 41
	s_mov_b32 s1, 42
	s_inst_prefetch 0x1
	.p2align	6
.LBB104_862:                            ; =>This Inner Loop Header: Depth=1
	s_waitcnt lgkmcnt(0)
	v_cmp_gt_f64_e32 vcc_lo, 0, v[216:217]
	v_cmp_gt_f64_e64 s0, 0, v[214:215]
	ds_read2_b64 v[229:232], v223 offset1:1
	v_xor_b32_e32 v234, 0x80000000, v215
	v_xor_b32_e32 v236, 0x80000000, v217
	v_mov_b32_e32 v233, v214
	v_mov_b32_e32 v235, v216
	v_add_nc_u32_e32 v223, 16, v223
	s_waitcnt lgkmcnt(0)
	v_xor_b32_e32 v238, 0x80000000, v232
	v_cndmask_b32_e64 v234, v215, v234, s0
	v_cndmask_b32_e32 v236, v217, v236, vcc_lo
	v_cmp_gt_f64_e32 vcc_lo, 0, v[231:232]
	v_cmp_gt_f64_e64 s0, 0, v[229:230]
	v_mov_b32_e32 v237, v231
	v_add_f64 v[233:234], v[233:234], v[235:236]
	v_xor_b32_e32 v236, 0x80000000, v230
	v_mov_b32_e32 v235, v229
	v_cndmask_b32_e32 v238, v232, v238, vcc_lo
	v_cndmask_b32_e64 v236, v230, v236, s0
	v_add_f64 v[235:236], v[235:236], v[237:238]
	v_cmp_lt_f64_e32 vcc_lo, v[233:234], v[235:236]
	v_cndmask_b32_e32 v215, v215, v230, vcc_lo
	v_cndmask_b32_e32 v214, v214, v229, vcc_lo
	;; [unrolled: 1-line block ×4, first 2 shown]
	v_cndmask_b32_e64 v222, v222, s1, vcc_lo
	s_add_i32 s1, s1, 1
	s_cmp_lg_u32 s8, s1
	s_cbranch_scc1 .LBB104_862
.LBB104_863:
	s_inst_prefetch 0x2
	s_waitcnt lgkmcnt(0)
	v_cmp_eq_f64_e32 vcc_lo, 0, v[214:215]
	v_cmp_eq_f64_e64 s0, 0, v[216:217]
	s_and_b32 s0, vcc_lo, s0
	s_and_saveexec_b32 s1, s0
	s_xor_b32 s0, exec_lo, s1
; %bb.864:
	v_cmp_ne_u32_e32 vcc_lo, 0, v227
	v_cndmask_b32_e32 v227, 42, v227, vcc_lo
; %bb.865:
	s_andn2_saveexec_b32 s0, s0
	s_cbranch_execz .LBB104_871
; %bb.866:
	v_cmp_ngt_f64_e64 s1, |v[214:215]|, |v[216:217]|
	s_and_saveexec_b32 s7, s1
	s_xor_b32 s1, exec_lo, s7
	s_cbranch_execz .LBB104_868
; %bb.867:
	v_div_scale_f64 v[229:230], null, v[216:217], v[216:217], v[214:215]
	v_div_scale_f64 v[235:236], vcc_lo, v[214:215], v[216:217], v[214:215]
	v_rcp_f64_e32 v[231:232], v[229:230]
	v_fma_f64 v[233:234], -v[229:230], v[231:232], 1.0
	v_fma_f64 v[231:232], v[231:232], v[233:234], v[231:232]
	v_fma_f64 v[233:234], -v[229:230], v[231:232], 1.0
	v_fma_f64 v[231:232], v[231:232], v[233:234], v[231:232]
	v_mul_f64 v[233:234], v[235:236], v[231:232]
	v_fma_f64 v[229:230], -v[229:230], v[233:234], v[235:236]
	v_div_fmas_f64 v[229:230], v[229:230], v[231:232], v[233:234]
	v_div_fixup_f64 v[229:230], v[229:230], v[216:217], v[214:215]
	v_fma_f64 v[214:215], v[214:215], v[229:230], v[216:217]
	v_div_scale_f64 v[216:217], null, v[214:215], v[214:215], 1.0
	v_rcp_f64_e32 v[231:232], v[216:217]
	v_fma_f64 v[233:234], -v[216:217], v[231:232], 1.0
	v_fma_f64 v[231:232], v[231:232], v[233:234], v[231:232]
	v_fma_f64 v[233:234], -v[216:217], v[231:232], 1.0
	v_fma_f64 v[231:232], v[231:232], v[233:234], v[231:232]
	v_div_scale_f64 v[233:234], vcc_lo, 1.0, v[214:215], 1.0
	v_mul_f64 v[235:236], v[233:234], v[231:232]
	v_fma_f64 v[216:217], -v[216:217], v[235:236], v[233:234]
	v_div_fmas_f64 v[216:217], v[216:217], v[231:232], v[235:236]
	v_div_fixup_f64 v[216:217], v[216:217], v[214:215], 1.0
	v_mul_f64 v[214:215], v[229:230], v[216:217]
	v_xor_b32_e32 v217, 0x80000000, v217
.LBB104_868:
	s_andn2_saveexec_b32 s1, s1
	s_cbranch_execz .LBB104_870
; %bb.869:
	v_div_scale_f64 v[229:230], null, v[214:215], v[214:215], v[216:217]
	v_div_scale_f64 v[235:236], vcc_lo, v[216:217], v[214:215], v[216:217]
	v_rcp_f64_e32 v[231:232], v[229:230]
	v_fma_f64 v[233:234], -v[229:230], v[231:232], 1.0
	v_fma_f64 v[231:232], v[231:232], v[233:234], v[231:232]
	v_fma_f64 v[233:234], -v[229:230], v[231:232], 1.0
	v_fma_f64 v[231:232], v[231:232], v[233:234], v[231:232]
	v_mul_f64 v[233:234], v[235:236], v[231:232]
	v_fma_f64 v[229:230], -v[229:230], v[233:234], v[235:236]
	v_div_fmas_f64 v[229:230], v[229:230], v[231:232], v[233:234]
	v_div_fixup_f64 v[229:230], v[229:230], v[214:215], v[216:217]
	v_fma_f64 v[214:215], v[216:217], v[229:230], v[214:215]
	v_div_scale_f64 v[216:217], null, v[214:215], v[214:215], 1.0
	v_rcp_f64_e32 v[231:232], v[216:217]
	v_fma_f64 v[233:234], -v[216:217], v[231:232], 1.0
	v_fma_f64 v[231:232], v[231:232], v[233:234], v[231:232]
	v_fma_f64 v[233:234], -v[216:217], v[231:232], 1.0
	v_fma_f64 v[231:232], v[231:232], v[233:234], v[231:232]
	v_div_scale_f64 v[233:234], vcc_lo, 1.0, v[214:215], 1.0
	v_mul_f64 v[235:236], v[233:234], v[231:232]
	v_fma_f64 v[216:217], -v[216:217], v[235:236], v[233:234]
	v_div_fmas_f64 v[216:217], v[216:217], v[231:232], v[235:236]
	v_div_fixup_f64 v[214:215], v[216:217], v[214:215], 1.0
	v_mul_f64 v[216:217], v[229:230], -v[214:215]
.LBB104_870:
	s_or_b32 exec_lo, exec_lo, s1
.LBB104_871:
	s_or_b32 exec_lo, exec_lo, s0
	s_mov_b32 s0, exec_lo
	v_cmpx_ne_u32_e64 v228, v222
	s_xor_b32 s0, exec_lo, s0
	s_cbranch_execz .LBB104_877
; %bb.872:
	s_mov_b32 s1, exec_lo
	v_cmpx_eq_u32_e32 41, v228
	s_cbranch_execz .LBB104_876
; %bb.873:
	v_cmp_ne_u32_e32 vcc_lo, 41, v222
	s_xor_b32 s7, s16, -1
	s_and_b32 s9, s7, vcc_lo
	s_and_saveexec_b32 s7, s9
	s_cbranch_execz .LBB104_875
; %bb.874:
	v_ashrrev_i32_e32 v223, 31, v222
	v_lshlrev_b64 v[228:229], 2, v[222:223]
	v_add_co_u32 v228, vcc_lo, v220, v228
	v_add_co_ci_u32_e64 v229, null, v221, v229, vcc_lo
	s_clause 0x1
	global_load_dword v0, v[228:229], off
	global_load_dword v223, v[220:221], off offset:164
	s_waitcnt vmcnt(1)
	global_store_dword v[220:221], v0, off offset:164
	s_waitcnt vmcnt(0)
	global_store_dword v[228:229], v223, off
.LBB104_875:
	s_or_b32 exec_lo, exec_lo, s7
	v_mov_b32_e32 v228, v222
	v_mov_b32_e32 v0, v222
.LBB104_876:
	s_or_b32 exec_lo, exec_lo, s1
.LBB104_877:
	s_andn2_saveexec_b32 s0, s0
	s_cbranch_execz .LBB104_879
; %bb.878:
	v_mov_b32_e32 v228, 41
	ds_write2_b64 v1, v[42:43], v[44:45] offset0:84 offset1:85
	ds_write2_b64 v1, v[38:39], v[40:41] offset0:86 offset1:87
	;; [unrolled: 1-line block ×11, first 2 shown]
.LBB104_879:
	s_or_b32 exec_lo, exec_lo, s0
	s_mov_b32 s0, exec_lo
	s_waitcnt lgkmcnt(0)
	s_waitcnt_vscnt null, 0x0
	s_barrier
	buffer_gl0_inv
	v_cmpx_lt_i32_e32 41, v228
	s_cbranch_execz .LBB104_881
; %bb.880:
	v_mul_f64 v[222:223], v[214:215], v[48:49]
	v_mul_f64 v[48:49], v[216:217], v[48:49]
	v_fma_f64 v[222:223], v[216:217], v[46:47], v[222:223]
	v_fma_f64 v[46:47], v[214:215], v[46:47], -v[48:49]
	ds_read2_b64 v[214:217], v1 offset0:84 offset1:85
	s_waitcnt lgkmcnt(0)
	v_mul_f64 v[48:49], v[216:217], v[222:223]
	v_fma_f64 v[48:49], v[214:215], v[46:47], -v[48:49]
	v_mul_f64 v[214:215], v[214:215], v[222:223]
	v_add_f64 v[42:43], v[42:43], -v[48:49]
	v_fma_f64 v[214:215], v[216:217], v[46:47], v[214:215]
	v_add_f64 v[44:45], v[44:45], -v[214:215]
	ds_read2_b64 v[214:217], v1 offset0:86 offset1:87
	s_waitcnt lgkmcnt(0)
	v_mul_f64 v[48:49], v[216:217], v[222:223]
	v_fma_f64 v[48:49], v[214:215], v[46:47], -v[48:49]
	v_mul_f64 v[214:215], v[214:215], v[222:223]
	v_add_f64 v[38:39], v[38:39], -v[48:49]
	v_fma_f64 v[214:215], v[216:217], v[46:47], v[214:215]
	v_add_f64 v[40:41], v[40:41], -v[214:215]
	;; [unrolled: 8-line block ×10, first 2 shown]
	ds_read2_b64 v[214:217], v1 offset0:104 offset1:105
	s_waitcnt lgkmcnt(0)
	v_mul_f64 v[48:49], v[216:217], v[222:223]
	v_fma_f64 v[48:49], v[214:215], v[46:47], -v[48:49]
	v_mul_f64 v[214:215], v[214:215], v[222:223]
	v_add_f64 v[2:3], v[2:3], -v[48:49]
	v_fma_f64 v[214:215], v[216:217], v[46:47], v[214:215]
	v_mov_b32_e32 v48, v222
	v_mov_b32_e32 v49, v223
	v_add_f64 v[4:5], v[4:5], -v[214:215]
.LBB104_881:
	s_or_b32 exec_lo, exec_lo, s0
	v_lshl_add_u32 v214, v228, 4, v1
	s_barrier
	buffer_gl0_inv
	v_mov_b32_e32 v222, 42
	ds_write2_b64 v214, v[42:43], v[44:45] offset1:1
	s_waitcnt lgkmcnt(0)
	s_barrier
	buffer_gl0_inv
	ds_read2_b64 v[214:217], v1 offset0:84 offset1:85
	s_cmp_lt_i32 s8, 44
	s_cbranch_scc1 .LBB104_884
; %bb.882:
	v_add3_u32 v223, v224, 0, 0x2b0
	v_mov_b32_e32 v222, 42
	s_mov_b32 s1, 43
	s_inst_prefetch 0x1
	.p2align	6
.LBB104_883:                            ; =>This Inner Loop Header: Depth=1
	s_waitcnt lgkmcnt(0)
	v_cmp_gt_f64_e32 vcc_lo, 0, v[216:217]
	v_cmp_gt_f64_e64 s0, 0, v[214:215]
	ds_read2_b64 v[229:232], v223 offset1:1
	v_xor_b32_e32 v234, 0x80000000, v215
	v_xor_b32_e32 v236, 0x80000000, v217
	v_mov_b32_e32 v233, v214
	v_mov_b32_e32 v235, v216
	v_add_nc_u32_e32 v223, 16, v223
	s_waitcnt lgkmcnt(0)
	v_xor_b32_e32 v238, 0x80000000, v232
	v_cndmask_b32_e64 v234, v215, v234, s0
	v_cndmask_b32_e32 v236, v217, v236, vcc_lo
	v_cmp_gt_f64_e32 vcc_lo, 0, v[231:232]
	v_cmp_gt_f64_e64 s0, 0, v[229:230]
	v_mov_b32_e32 v237, v231
	v_add_f64 v[233:234], v[233:234], v[235:236]
	v_xor_b32_e32 v236, 0x80000000, v230
	v_mov_b32_e32 v235, v229
	v_cndmask_b32_e32 v238, v232, v238, vcc_lo
	v_cndmask_b32_e64 v236, v230, v236, s0
	v_add_f64 v[235:236], v[235:236], v[237:238]
	v_cmp_lt_f64_e32 vcc_lo, v[233:234], v[235:236]
	v_cndmask_b32_e32 v215, v215, v230, vcc_lo
	v_cndmask_b32_e32 v214, v214, v229, vcc_lo
	;; [unrolled: 1-line block ×4, first 2 shown]
	v_cndmask_b32_e64 v222, v222, s1, vcc_lo
	s_add_i32 s1, s1, 1
	s_cmp_lg_u32 s8, s1
	s_cbranch_scc1 .LBB104_883
.LBB104_884:
	s_inst_prefetch 0x2
	s_waitcnt lgkmcnt(0)
	v_cmp_eq_f64_e32 vcc_lo, 0, v[214:215]
	v_cmp_eq_f64_e64 s0, 0, v[216:217]
	s_and_b32 s0, vcc_lo, s0
	s_and_saveexec_b32 s1, s0
	s_xor_b32 s0, exec_lo, s1
; %bb.885:
	v_cmp_ne_u32_e32 vcc_lo, 0, v227
	v_cndmask_b32_e32 v227, 43, v227, vcc_lo
; %bb.886:
	s_andn2_saveexec_b32 s0, s0
	s_cbranch_execz .LBB104_892
; %bb.887:
	v_cmp_ngt_f64_e64 s1, |v[214:215]|, |v[216:217]|
	s_and_saveexec_b32 s7, s1
	s_xor_b32 s1, exec_lo, s7
	s_cbranch_execz .LBB104_889
; %bb.888:
	v_div_scale_f64 v[229:230], null, v[216:217], v[216:217], v[214:215]
	v_div_scale_f64 v[235:236], vcc_lo, v[214:215], v[216:217], v[214:215]
	v_rcp_f64_e32 v[231:232], v[229:230]
	v_fma_f64 v[233:234], -v[229:230], v[231:232], 1.0
	v_fma_f64 v[231:232], v[231:232], v[233:234], v[231:232]
	v_fma_f64 v[233:234], -v[229:230], v[231:232], 1.0
	v_fma_f64 v[231:232], v[231:232], v[233:234], v[231:232]
	v_mul_f64 v[233:234], v[235:236], v[231:232]
	v_fma_f64 v[229:230], -v[229:230], v[233:234], v[235:236]
	v_div_fmas_f64 v[229:230], v[229:230], v[231:232], v[233:234]
	v_div_fixup_f64 v[229:230], v[229:230], v[216:217], v[214:215]
	v_fma_f64 v[214:215], v[214:215], v[229:230], v[216:217]
	v_div_scale_f64 v[216:217], null, v[214:215], v[214:215], 1.0
	v_rcp_f64_e32 v[231:232], v[216:217]
	v_fma_f64 v[233:234], -v[216:217], v[231:232], 1.0
	v_fma_f64 v[231:232], v[231:232], v[233:234], v[231:232]
	v_fma_f64 v[233:234], -v[216:217], v[231:232], 1.0
	v_fma_f64 v[231:232], v[231:232], v[233:234], v[231:232]
	v_div_scale_f64 v[233:234], vcc_lo, 1.0, v[214:215], 1.0
	v_mul_f64 v[235:236], v[233:234], v[231:232]
	v_fma_f64 v[216:217], -v[216:217], v[235:236], v[233:234]
	v_div_fmas_f64 v[216:217], v[216:217], v[231:232], v[235:236]
	v_div_fixup_f64 v[216:217], v[216:217], v[214:215], 1.0
	v_mul_f64 v[214:215], v[229:230], v[216:217]
	v_xor_b32_e32 v217, 0x80000000, v217
.LBB104_889:
	s_andn2_saveexec_b32 s1, s1
	s_cbranch_execz .LBB104_891
; %bb.890:
	v_div_scale_f64 v[229:230], null, v[214:215], v[214:215], v[216:217]
	v_div_scale_f64 v[235:236], vcc_lo, v[216:217], v[214:215], v[216:217]
	v_rcp_f64_e32 v[231:232], v[229:230]
	v_fma_f64 v[233:234], -v[229:230], v[231:232], 1.0
	v_fma_f64 v[231:232], v[231:232], v[233:234], v[231:232]
	v_fma_f64 v[233:234], -v[229:230], v[231:232], 1.0
	v_fma_f64 v[231:232], v[231:232], v[233:234], v[231:232]
	v_mul_f64 v[233:234], v[235:236], v[231:232]
	v_fma_f64 v[229:230], -v[229:230], v[233:234], v[235:236]
	v_div_fmas_f64 v[229:230], v[229:230], v[231:232], v[233:234]
	v_div_fixup_f64 v[229:230], v[229:230], v[214:215], v[216:217]
	v_fma_f64 v[214:215], v[216:217], v[229:230], v[214:215]
	v_div_scale_f64 v[216:217], null, v[214:215], v[214:215], 1.0
	v_rcp_f64_e32 v[231:232], v[216:217]
	v_fma_f64 v[233:234], -v[216:217], v[231:232], 1.0
	v_fma_f64 v[231:232], v[231:232], v[233:234], v[231:232]
	v_fma_f64 v[233:234], -v[216:217], v[231:232], 1.0
	v_fma_f64 v[231:232], v[231:232], v[233:234], v[231:232]
	v_div_scale_f64 v[233:234], vcc_lo, 1.0, v[214:215], 1.0
	v_mul_f64 v[235:236], v[233:234], v[231:232]
	v_fma_f64 v[216:217], -v[216:217], v[235:236], v[233:234]
	v_div_fmas_f64 v[216:217], v[216:217], v[231:232], v[235:236]
	v_div_fixup_f64 v[214:215], v[216:217], v[214:215], 1.0
	v_mul_f64 v[216:217], v[229:230], -v[214:215]
.LBB104_891:
	s_or_b32 exec_lo, exec_lo, s1
.LBB104_892:
	s_or_b32 exec_lo, exec_lo, s0
	s_mov_b32 s0, exec_lo
	v_cmpx_ne_u32_e64 v228, v222
	s_xor_b32 s0, exec_lo, s0
	s_cbranch_execz .LBB104_898
; %bb.893:
	s_mov_b32 s1, exec_lo
	v_cmpx_eq_u32_e32 42, v228
	s_cbranch_execz .LBB104_897
; %bb.894:
	v_cmp_ne_u32_e32 vcc_lo, 42, v222
	s_xor_b32 s7, s16, -1
	s_and_b32 s9, s7, vcc_lo
	s_and_saveexec_b32 s7, s9
	s_cbranch_execz .LBB104_896
; %bb.895:
	v_ashrrev_i32_e32 v223, 31, v222
	v_lshlrev_b64 v[228:229], 2, v[222:223]
	v_add_co_u32 v228, vcc_lo, v220, v228
	v_add_co_ci_u32_e64 v229, null, v221, v229, vcc_lo
	s_clause 0x1
	global_load_dword v0, v[228:229], off
	global_load_dword v223, v[220:221], off offset:168
	s_waitcnt vmcnt(1)
	global_store_dword v[220:221], v0, off offset:168
	s_waitcnt vmcnt(0)
	global_store_dword v[228:229], v223, off
.LBB104_896:
	s_or_b32 exec_lo, exec_lo, s7
	v_mov_b32_e32 v228, v222
	v_mov_b32_e32 v0, v222
.LBB104_897:
	s_or_b32 exec_lo, exec_lo, s1
.LBB104_898:
	s_andn2_saveexec_b32 s0, s0
	s_cbranch_execz .LBB104_900
; %bb.899:
	v_mov_b32_e32 v228, 42
	ds_write2_b64 v1, v[38:39], v[40:41] offset0:86 offset1:87
	ds_write2_b64 v1, v[34:35], v[36:37] offset0:88 offset1:89
	ds_write2_b64 v1, v[30:31], v[32:33] offset0:90 offset1:91
	ds_write2_b64 v1, v[26:27], v[28:29] offset0:92 offset1:93
	ds_write2_b64 v1, v[22:23], v[24:25] offset0:94 offset1:95
	ds_write2_b64 v1, v[18:19], v[20:21] offset0:96 offset1:97
	ds_write2_b64 v1, v[14:15], v[16:17] offset0:98 offset1:99
	ds_write2_b64 v1, v[10:11], v[12:13] offset0:100 offset1:101
	ds_write2_b64 v1, v[6:7], v[8:9] offset0:102 offset1:103
	ds_write2_b64 v1, v[2:3], v[4:5] offset0:104 offset1:105
.LBB104_900:
	s_or_b32 exec_lo, exec_lo, s0
	s_mov_b32 s0, exec_lo
	s_waitcnt lgkmcnt(0)
	s_waitcnt_vscnt null, 0x0
	s_barrier
	buffer_gl0_inv
	v_cmpx_lt_i32_e32 42, v228
	s_cbranch_execz .LBB104_902
; %bb.901:
	v_mul_f64 v[222:223], v[214:215], v[44:45]
	v_mul_f64 v[44:45], v[216:217], v[44:45]
	v_fma_f64 v[222:223], v[216:217], v[42:43], v[222:223]
	v_fma_f64 v[42:43], v[214:215], v[42:43], -v[44:45]
	ds_read2_b64 v[214:217], v1 offset0:86 offset1:87
	s_waitcnt lgkmcnt(0)
	v_mul_f64 v[44:45], v[216:217], v[222:223]
	v_fma_f64 v[44:45], v[214:215], v[42:43], -v[44:45]
	v_mul_f64 v[214:215], v[214:215], v[222:223]
	v_add_f64 v[38:39], v[38:39], -v[44:45]
	v_fma_f64 v[214:215], v[216:217], v[42:43], v[214:215]
	v_add_f64 v[40:41], v[40:41], -v[214:215]
	ds_read2_b64 v[214:217], v1 offset0:88 offset1:89
	s_waitcnt lgkmcnt(0)
	v_mul_f64 v[44:45], v[216:217], v[222:223]
	v_fma_f64 v[44:45], v[214:215], v[42:43], -v[44:45]
	v_mul_f64 v[214:215], v[214:215], v[222:223]
	v_add_f64 v[34:35], v[34:35], -v[44:45]
	v_fma_f64 v[214:215], v[216:217], v[42:43], v[214:215]
	v_add_f64 v[36:37], v[36:37], -v[214:215]
	;; [unrolled: 8-line block ×9, first 2 shown]
	ds_read2_b64 v[214:217], v1 offset0:104 offset1:105
	s_waitcnt lgkmcnt(0)
	v_mul_f64 v[44:45], v[216:217], v[222:223]
	v_fma_f64 v[44:45], v[214:215], v[42:43], -v[44:45]
	v_mul_f64 v[214:215], v[214:215], v[222:223]
	v_add_f64 v[2:3], v[2:3], -v[44:45]
	v_fma_f64 v[214:215], v[216:217], v[42:43], v[214:215]
	v_mov_b32_e32 v44, v222
	v_mov_b32_e32 v45, v223
	v_add_f64 v[4:5], v[4:5], -v[214:215]
.LBB104_902:
	s_or_b32 exec_lo, exec_lo, s0
	v_lshl_add_u32 v214, v228, 4, v1
	s_barrier
	buffer_gl0_inv
	v_mov_b32_e32 v222, 43
	ds_write2_b64 v214, v[38:39], v[40:41] offset1:1
	s_waitcnt lgkmcnt(0)
	s_barrier
	buffer_gl0_inv
	ds_read2_b64 v[214:217], v1 offset0:86 offset1:87
	s_cmp_lt_i32 s8, 45
	s_cbranch_scc1 .LBB104_905
; %bb.903:
	v_add3_u32 v223, v224, 0, 0x2c0
	v_mov_b32_e32 v222, 43
	s_mov_b32 s1, 44
	s_inst_prefetch 0x1
	.p2align	6
.LBB104_904:                            ; =>This Inner Loop Header: Depth=1
	s_waitcnt lgkmcnt(0)
	v_cmp_gt_f64_e32 vcc_lo, 0, v[216:217]
	v_cmp_gt_f64_e64 s0, 0, v[214:215]
	ds_read2_b64 v[229:232], v223 offset1:1
	v_xor_b32_e32 v234, 0x80000000, v215
	v_xor_b32_e32 v236, 0x80000000, v217
	v_mov_b32_e32 v233, v214
	v_mov_b32_e32 v235, v216
	v_add_nc_u32_e32 v223, 16, v223
	s_waitcnt lgkmcnt(0)
	v_xor_b32_e32 v238, 0x80000000, v232
	v_cndmask_b32_e64 v234, v215, v234, s0
	v_cndmask_b32_e32 v236, v217, v236, vcc_lo
	v_cmp_gt_f64_e32 vcc_lo, 0, v[231:232]
	v_cmp_gt_f64_e64 s0, 0, v[229:230]
	v_mov_b32_e32 v237, v231
	v_add_f64 v[233:234], v[233:234], v[235:236]
	v_xor_b32_e32 v236, 0x80000000, v230
	v_mov_b32_e32 v235, v229
	v_cndmask_b32_e32 v238, v232, v238, vcc_lo
	v_cndmask_b32_e64 v236, v230, v236, s0
	v_add_f64 v[235:236], v[235:236], v[237:238]
	v_cmp_lt_f64_e32 vcc_lo, v[233:234], v[235:236]
	v_cndmask_b32_e32 v215, v215, v230, vcc_lo
	v_cndmask_b32_e32 v214, v214, v229, vcc_lo
	;; [unrolled: 1-line block ×4, first 2 shown]
	v_cndmask_b32_e64 v222, v222, s1, vcc_lo
	s_add_i32 s1, s1, 1
	s_cmp_lg_u32 s8, s1
	s_cbranch_scc1 .LBB104_904
.LBB104_905:
	s_inst_prefetch 0x2
	s_waitcnt lgkmcnt(0)
	v_cmp_eq_f64_e32 vcc_lo, 0, v[214:215]
	v_cmp_eq_f64_e64 s0, 0, v[216:217]
	s_and_b32 s0, vcc_lo, s0
	s_and_saveexec_b32 s1, s0
	s_xor_b32 s0, exec_lo, s1
; %bb.906:
	v_cmp_ne_u32_e32 vcc_lo, 0, v227
	v_cndmask_b32_e32 v227, 44, v227, vcc_lo
; %bb.907:
	s_andn2_saveexec_b32 s0, s0
	s_cbranch_execz .LBB104_913
; %bb.908:
	v_cmp_ngt_f64_e64 s1, |v[214:215]|, |v[216:217]|
	s_and_saveexec_b32 s7, s1
	s_xor_b32 s1, exec_lo, s7
	s_cbranch_execz .LBB104_910
; %bb.909:
	v_div_scale_f64 v[229:230], null, v[216:217], v[216:217], v[214:215]
	v_div_scale_f64 v[235:236], vcc_lo, v[214:215], v[216:217], v[214:215]
	v_rcp_f64_e32 v[231:232], v[229:230]
	v_fma_f64 v[233:234], -v[229:230], v[231:232], 1.0
	v_fma_f64 v[231:232], v[231:232], v[233:234], v[231:232]
	v_fma_f64 v[233:234], -v[229:230], v[231:232], 1.0
	v_fma_f64 v[231:232], v[231:232], v[233:234], v[231:232]
	v_mul_f64 v[233:234], v[235:236], v[231:232]
	v_fma_f64 v[229:230], -v[229:230], v[233:234], v[235:236]
	v_div_fmas_f64 v[229:230], v[229:230], v[231:232], v[233:234]
	v_div_fixup_f64 v[229:230], v[229:230], v[216:217], v[214:215]
	v_fma_f64 v[214:215], v[214:215], v[229:230], v[216:217]
	v_div_scale_f64 v[216:217], null, v[214:215], v[214:215], 1.0
	v_rcp_f64_e32 v[231:232], v[216:217]
	v_fma_f64 v[233:234], -v[216:217], v[231:232], 1.0
	v_fma_f64 v[231:232], v[231:232], v[233:234], v[231:232]
	v_fma_f64 v[233:234], -v[216:217], v[231:232], 1.0
	v_fma_f64 v[231:232], v[231:232], v[233:234], v[231:232]
	v_div_scale_f64 v[233:234], vcc_lo, 1.0, v[214:215], 1.0
	v_mul_f64 v[235:236], v[233:234], v[231:232]
	v_fma_f64 v[216:217], -v[216:217], v[235:236], v[233:234]
	v_div_fmas_f64 v[216:217], v[216:217], v[231:232], v[235:236]
	v_div_fixup_f64 v[216:217], v[216:217], v[214:215], 1.0
	v_mul_f64 v[214:215], v[229:230], v[216:217]
	v_xor_b32_e32 v217, 0x80000000, v217
.LBB104_910:
	s_andn2_saveexec_b32 s1, s1
	s_cbranch_execz .LBB104_912
; %bb.911:
	v_div_scale_f64 v[229:230], null, v[214:215], v[214:215], v[216:217]
	v_div_scale_f64 v[235:236], vcc_lo, v[216:217], v[214:215], v[216:217]
	v_rcp_f64_e32 v[231:232], v[229:230]
	v_fma_f64 v[233:234], -v[229:230], v[231:232], 1.0
	v_fma_f64 v[231:232], v[231:232], v[233:234], v[231:232]
	v_fma_f64 v[233:234], -v[229:230], v[231:232], 1.0
	v_fma_f64 v[231:232], v[231:232], v[233:234], v[231:232]
	v_mul_f64 v[233:234], v[235:236], v[231:232]
	v_fma_f64 v[229:230], -v[229:230], v[233:234], v[235:236]
	v_div_fmas_f64 v[229:230], v[229:230], v[231:232], v[233:234]
	v_div_fixup_f64 v[229:230], v[229:230], v[214:215], v[216:217]
	v_fma_f64 v[214:215], v[216:217], v[229:230], v[214:215]
	v_div_scale_f64 v[216:217], null, v[214:215], v[214:215], 1.0
	v_rcp_f64_e32 v[231:232], v[216:217]
	v_fma_f64 v[233:234], -v[216:217], v[231:232], 1.0
	v_fma_f64 v[231:232], v[231:232], v[233:234], v[231:232]
	v_fma_f64 v[233:234], -v[216:217], v[231:232], 1.0
	v_fma_f64 v[231:232], v[231:232], v[233:234], v[231:232]
	v_div_scale_f64 v[233:234], vcc_lo, 1.0, v[214:215], 1.0
	v_mul_f64 v[235:236], v[233:234], v[231:232]
	v_fma_f64 v[216:217], -v[216:217], v[235:236], v[233:234]
	v_div_fmas_f64 v[216:217], v[216:217], v[231:232], v[235:236]
	v_div_fixup_f64 v[214:215], v[216:217], v[214:215], 1.0
	v_mul_f64 v[216:217], v[229:230], -v[214:215]
.LBB104_912:
	s_or_b32 exec_lo, exec_lo, s1
.LBB104_913:
	s_or_b32 exec_lo, exec_lo, s0
	s_mov_b32 s0, exec_lo
	v_cmpx_ne_u32_e64 v228, v222
	s_xor_b32 s0, exec_lo, s0
	s_cbranch_execz .LBB104_919
; %bb.914:
	s_mov_b32 s1, exec_lo
	v_cmpx_eq_u32_e32 43, v228
	s_cbranch_execz .LBB104_918
; %bb.915:
	v_cmp_ne_u32_e32 vcc_lo, 43, v222
	s_xor_b32 s7, s16, -1
	s_and_b32 s9, s7, vcc_lo
	s_and_saveexec_b32 s7, s9
	s_cbranch_execz .LBB104_917
; %bb.916:
	v_ashrrev_i32_e32 v223, 31, v222
	v_lshlrev_b64 v[228:229], 2, v[222:223]
	v_add_co_u32 v228, vcc_lo, v220, v228
	v_add_co_ci_u32_e64 v229, null, v221, v229, vcc_lo
	s_clause 0x1
	global_load_dword v0, v[228:229], off
	global_load_dword v223, v[220:221], off offset:172
	s_waitcnt vmcnt(1)
	global_store_dword v[220:221], v0, off offset:172
	s_waitcnt vmcnt(0)
	global_store_dword v[228:229], v223, off
.LBB104_917:
	s_or_b32 exec_lo, exec_lo, s7
	v_mov_b32_e32 v228, v222
	v_mov_b32_e32 v0, v222
.LBB104_918:
	s_or_b32 exec_lo, exec_lo, s1
.LBB104_919:
	s_andn2_saveexec_b32 s0, s0
	s_cbranch_execz .LBB104_921
; %bb.920:
	v_mov_b32_e32 v228, 43
	ds_write2_b64 v1, v[34:35], v[36:37] offset0:88 offset1:89
	ds_write2_b64 v1, v[30:31], v[32:33] offset0:90 offset1:91
	;; [unrolled: 1-line block ×9, first 2 shown]
.LBB104_921:
	s_or_b32 exec_lo, exec_lo, s0
	s_mov_b32 s0, exec_lo
	s_waitcnt lgkmcnt(0)
	s_waitcnt_vscnt null, 0x0
	s_barrier
	buffer_gl0_inv
	v_cmpx_lt_i32_e32 43, v228
	s_cbranch_execz .LBB104_923
; %bb.922:
	v_mul_f64 v[222:223], v[214:215], v[40:41]
	v_mul_f64 v[40:41], v[216:217], v[40:41]
	v_fma_f64 v[222:223], v[216:217], v[38:39], v[222:223]
	v_fma_f64 v[38:39], v[214:215], v[38:39], -v[40:41]
	ds_read2_b64 v[214:217], v1 offset0:88 offset1:89
	s_waitcnt lgkmcnt(0)
	v_mul_f64 v[40:41], v[216:217], v[222:223]
	v_fma_f64 v[40:41], v[214:215], v[38:39], -v[40:41]
	v_mul_f64 v[214:215], v[214:215], v[222:223]
	v_add_f64 v[34:35], v[34:35], -v[40:41]
	v_fma_f64 v[214:215], v[216:217], v[38:39], v[214:215]
	v_add_f64 v[36:37], v[36:37], -v[214:215]
	ds_read2_b64 v[214:217], v1 offset0:90 offset1:91
	s_waitcnt lgkmcnt(0)
	v_mul_f64 v[40:41], v[216:217], v[222:223]
	v_fma_f64 v[40:41], v[214:215], v[38:39], -v[40:41]
	v_mul_f64 v[214:215], v[214:215], v[222:223]
	v_add_f64 v[30:31], v[30:31], -v[40:41]
	v_fma_f64 v[214:215], v[216:217], v[38:39], v[214:215]
	v_add_f64 v[32:33], v[32:33], -v[214:215]
	;; [unrolled: 8-line block ×8, first 2 shown]
	ds_read2_b64 v[214:217], v1 offset0:104 offset1:105
	s_waitcnt lgkmcnt(0)
	v_mul_f64 v[40:41], v[216:217], v[222:223]
	v_fma_f64 v[40:41], v[214:215], v[38:39], -v[40:41]
	v_mul_f64 v[214:215], v[214:215], v[222:223]
	v_add_f64 v[2:3], v[2:3], -v[40:41]
	v_fma_f64 v[214:215], v[216:217], v[38:39], v[214:215]
	v_mov_b32_e32 v40, v222
	v_mov_b32_e32 v41, v223
	v_add_f64 v[4:5], v[4:5], -v[214:215]
.LBB104_923:
	s_or_b32 exec_lo, exec_lo, s0
	v_lshl_add_u32 v214, v228, 4, v1
	s_barrier
	buffer_gl0_inv
	v_mov_b32_e32 v222, 44
	ds_write2_b64 v214, v[34:35], v[36:37] offset1:1
	s_waitcnt lgkmcnt(0)
	s_barrier
	buffer_gl0_inv
	ds_read2_b64 v[214:217], v1 offset0:88 offset1:89
	s_cmp_lt_i32 s8, 46
	s_cbranch_scc1 .LBB104_926
; %bb.924:
	v_add3_u32 v223, v224, 0, 0x2d0
	v_mov_b32_e32 v222, 44
	s_mov_b32 s1, 45
	s_inst_prefetch 0x1
	.p2align	6
.LBB104_925:                            ; =>This Inner Loop Header: Depth=1
	s_waitcnt lgkmcnt(0)
	v_cmp_gt_f64_e32 vcc_lo, 0, v[216:217]
	v_cmp_gt_f64_e64 s0, 0, v[214:215]
	ds_read2_b64 v[229:232], v223 offset1:1
	v_xor_b32_e32 v234, 0x80000000, v215
	v_xor_b32_e32 v236, 0x80000000, v217
	v_mov_b32_e32 v233, v214
	v_mov_b32_e32 v235, v216
	v_add_nc_u32_e32 v223, 16, v223
	s_waitcnt lgkmcnt(0)
	v_xor_b32_e32 v238, 0x80000000, v232
	v_cndmask_b32_e64 v234, v215, v234, s0
	v_cndmask_b32_e32 v236, v217, v236, vcc_lo
	v_cmp_gt_f64_e32 vcc_lo, 0, v[231:232]
	v_cmp_gt_f64_e64 s0, 0, v[229:230]
	v_mov_b32_e32 v237, v231
	v_add_f64 v[233:234], v[233:234], v[235:236]
	v_xor_b32_e32 v236, 0x80000000, v230
	v_mov_b32_e32 v235, v229
	v_cndmask_b32_e32 v238, v232, v238, vcc_lo
	v_cndmask_b32_e64 v236, v230, v236, s0
	v_add_f64 v[235:236], v[235:236], v[237:238]
	v_cmp_lt_f64_e32 vcc_lo, v[233:234], v[235:236]
	v_cndmask_b32_e32 v215, v215, v230, vcc_lo
	v_cndmask_b32_e32 v214, v214, v229, vcc_lo
	;; [unrolled: 1-line block ×4, first 2 shown]
	v_cndmask_b32_e64 v222, v222, s1, vcc_lo
	s_add_i32 s1, s1, 1
	s_cmp_lg_u32 s8, s1
	s_cbranch_scc1 .LBB104_925
.LBB104_926:
	s_inst_prefetch 0x2
	s_waitcnt lgkmcnt(0)
	v_cmp_eq_f64_e32 vcc_lo, 0, v[214:215]
	v_cmp_eq_f64_e64 s0, 0, v[216:217]
	s_and_b32 s0, vcc_lo, s0
	s_and_saveexec_b32 s1, s0
	s_xor_b32 s0, exec_lo, s1
; %bb.927:
	v_cmp_ne_u32_e32 vcc_lo, 0, v227
	v_cndmask_b32_e32 v227, 45, v227, vcc_lo
; %bb.928:
	s_andn2_saveexec_b32 s0, s0
	s_cbranch_execz .LBB104_934
; %bb.929:
	v_cmp_ngt_f64_e64 s1, |v[214:215]|, |v[216:217]|
	s_and_saveexec_b32 s7, s1
	s_xor_b32 s1, exec_lo, s7
	s_cbranch_execz .LBB104_931
; %bb.930:
	v_div_scale_f64 v[229:230], null, v[216:217], v[216:217], v[214:215]
	v_div_scale_f64 v[235:236], vcc_lo, v[214:215], v[216:217], v[214:215]
	v_rcp_f64_e32 v[231:232], v[229:230]
	v_fma_f64 v[233:234], -v[229:230], v[231:232], 1.0
	v_fma_f64 v[231:232], v[231:232], v[233:234], v[231:232]
	v_fma_f64 v[233:234], -v[229:230], v[231:232], 1.0
	v_fma_f64 v[231:232], v[231:232], v[233:234], v[231:232]
	v_mul_f64 v[233:234], v[235:236], v[231:232]
	v_fma_f64 v[229:230], -v[229:230], v[233:234], v[235:236]
	v_div_fmas_f64 v[229:230], v[229:230], v[231:232], v[233:234]
	v_div_fixup_f64 v[229:230], v[229:230], v[216:217], v[214:215]
	v_fma_f64 v[214:215], v[214:215], v[229:230], v[216:217]
	v_div_scale_f64 v[216:217], null, v[214:215], v[214:215], 1.0
	v_rcp_f64_e32 v[231:232], v[216:217]
	v_fma_f64 v[233:234], -v[216:217], v[231:232], 1.0
	v_fma_f64 v[231:232], v[231:232], v[233:234], v[231:232]
	v_fma_f64 v[233:234], -v[216:217], v[231:232], 1.0
	v_fma_f64 v[231:232], v[231:232], v[233:234], v[231:232]
	v_div_scale_f64 v[233:234], vcc_lo, 1.0, v[214:215], 1.0
	v_mul_f64 v[235:236], v[233:234], v[231:232]
	v_fma_f64 v[216:217], -v[216:217], v[235:236], v[233:234]
	v_div_fmas_f64 v[216:217], v[216:217], v[231:232], v[235:236]
	v_div_fixup_f64 v[216:217], v[216:217], v[214:215], 1.0
	v_mul_f64 v[214:215], v[229:230], v[216:217]
	v_xor_b32_e32 v217, 0x80000000, v217
.LBB104_931:
	s_andn2_saveexec_b32 s1, s1
	s_cbranch_execz .LBB104_933
; %bb.932:
	v_div_scale_f64 v[229:230], null, v[214:215], v[214:215], v[216:217]
	v_div_scale_f64 v[235:236], vcc_lo, v[216:217], v[214:215], v[216:217]
	v_rcp_f64_e32 v[231:232], v[229:230]
	v_fma_f64 v[233:234], -v[229:230], v[231:232], 1.0
	v_fma_f64 v[231:232], v[231:232], v[233:234], v[231:232]
	v_fma_f64 v[233:234], -v[229:230], v[231:232], 1.0
	v_fma_f64 v[231:232], v[231:232], v[233:234], v[231:232]
	v_mul_f64 v[233:234], v[235:236], v[231:232]
	v_fma_f64 v[229:230], -v[229:230], v[233:234], v[235:236]
	v_div_fmas_f64 v[229:230], v[229:230], v[231:232], v[233:234]
	v_div_fixup_f64 v[229:230], v[229:230], v[214:215], v[216:217]
	v_fma_f64 v[214:215], v[216:217], v[229:230], v[214:215]
	v_div_scale_f64 v[216:217], null, v[214:215], v[214:215], 1.0
	v_rcp_f64_e32 v[231:232], v[216:217]
	v_fma_f64 v[233:234], -v[216:217], v[231:232], 1.0
	v_fma_f64 v[231:232], v[231:232], v[233:234], v[231:232]
	v_fma_f64 v[233:234], -v[216:217], v[231:232], 1.0
	v_fma_f64 v[231:232], v[231:232], v[233:234], v[231:232]
	v_div_scale_f64 v[233:234], vcc_lo, 1.0, v[214:215], 1.0
	v_mul_f64 v[235:236], v[233:234], v[231:232]
	v_fma_f64 v[216:217], -v[216:217], v[235:236], v[233:234]
	v_div_fmas_f64 v[216:217], v[216:217], v[231:232], v[235:236]
	v_div_fixup_f64 v[214:215], v[216:217], v[214:215], 1.0
	v_mul_f64 v[216:217], v[229:230], -v[214:215]
.LBB104_933:
	s_or_b32 exec_lo, exec_lo, s1
.LBB104_934:
	s_or_b32 exec_lo, exec_lo, s0
	s_mov_b32 s0, exec_lo
	v_cmpx_ne_u32_e64 v228, v222
	s_xor_b32 s0, exec_lo, s0
	s_cbranch_execz .LBB104_940
; %bb.935:
	s_mov_b32 s1, exec_lo
	v_cmpx_eq_u32_e32 44, v228
	s_cbranch_execz .LBB104_939
; %bb.936:
	v_cmp_ne_u32_e32 vcc_lo, 44, v222
	s_xor_b32 s7, s16, -1
	s_and_b32 s9, s7, vcc_lo
	s_and_saveexec_b32 s7, s9
	s_cbranch_execz .LBB104_938
; %bb.937:
	v_ashrrev_i32_e32 v223, 31, v222
	v_lshlrev_b64 v[228:229], 2, v[222:223]
	v_add_co_u32 v228, vcc_lo, v220, v228
	v_add_co_ci_u32_e64 v229, null, v221, v229, vcc_lo
	s_clause 0x1
	global_load_dword v0, v[228:229], off
	global_load_dword v223, v[220:221], off offset:176
	s_waitcnt vmcnt(1)
	global_store_dword v[220:221], v0, off offset:176
	s_waitcnt vmcnt(0)
	global_store_dword v[228:229], v223, off
.LBB104_938:
	s_or_b32 exec_lo, exec_lo, s7
	v_mov_b32_e32 v228, v222
	v_mov_b32_e32 v0, v222
.LBB104_939:
	s_or_b32 exec_lo, exec_lo, s1
.LBB104_940:
	s_andn2_saveexec_b32 s0, s0
	s_cbranch_execz .LBB104_942
; %bb.941:
	v_mov_b32_e32 v228, 44
	ds_write2_b64 v1, v[30:31], v[32:33] offset0:90 offset1:91
	ds_write2_b64 v1, v[26:27], v[28:29] offset0:92 offset1:93
	;; [unrolled: 1-line block ×8, first 2 shown]
.LBB104_942:
	s_or_b32 exec_lo, exec_lo, s0
	s_mov_b32 s0, exec_lo
	s_waitcnt lgkmcnt(0)
	s_waitcnt_vscnt null, 0x0
	s_barrier
	buffer_gl0_inv
	v_cmpx_lt_i32_e32 44, v228
	s_cbranch_execz .LBB104_944
; %bb.943:
	v_mul_f64 v[222:223], v[214:215], v[36:37]
	v_mul_f64 v[36:37], v[216:217], v[36:37]
	v_fma_f64 v[222:223], v[216:217], v[34:35], v[222:223]
	v_fma_f64 v[34:35], v[214:215], v[34:35], -v[36:37]
	ds_read2_b64 v[214:217], v1 offset0:90 offset1:91
	s_waitcnt lgkmcnt(0)
	v_mul_f64 v[36:37], v[216:217], v[222:223]
	v_fma_f64 v[36:37], v[214:215], v[34:35], -v[36:37]
	v_mul_f64 v[214:215], v[214:215], v[222:223]
	v_add_f64 v[30:31], v[30:31], -v[36:37]
	v_fma_f64 v[214:215], v[216:217], v[34:35], v[214:215]
	v_add_f64 v[32:33], v[32:33], -v[214:215]
	ds_read2_b64 v[214:217], v1 offset0:92 offset1:93
	s_waitcnt lgkmcnt(0)
	v_mul_f64 v[36:37], v[216:217], v[222:223]
	v_fma_f64 v[36:37], v[214:215], v[34:35], -v[36:37]
	v_mul_f64 v[214:215], v[214:215], v[222:223]
	v_add_f64 v[26:27], v[26:27], -v[36:37]
	v_fma_f64 v[214:215], v[216:217], v[34:35], v[214:215]
	v_add_f64 v[28:29], v[28:29], -v[214:215]
	;; [unrolled: 8-line block ×7, first 2 shown]
	ds_read2_b64 v[214:217], v1 offset0:104 offset1:105
	s_waitcnt lgkmcnt(0)
	v_mul_f64 v[36:37], v[216:217], v[222:223]
	v_fma_f64 v[36:37], v[214:215], v[34:35], -v[36:37]
	v_mul_f64 v[214:215], v[214:215], v[222:223]
	v_add_f64 v[2:3], v[2:3], -v[36:37]
	v_fma_f64 v[214:215], v[216:217], v[34:35], v[214:215]
	v_mov_b32_e32 v36, v222
	v_mov_b32_e32 v37, v223
	v_add_f64 v[4:5], v[4:5], -v[214:215]
.LBB104_944:
	s_or_b32 exec_lo, exec_lo, s0
	v_lshl_add_u32 v214, v228, 4, v1
	s_barrier
	buffer_gl0_inv
	v_mov_b32_e32 v222, 45
	ds_write2_b64 v214, v[30:31], v[32:33] offset1:1
	s_waitcnt lgkmcnt(0)
	s_barrier
	buffer_gl0_inv
	ds_read2_b64 v[214:217], v1 offset0:90 offset1:91
	s_cmp_lt_i32 s8, 47
	s_cbranch_scc1 .LBB104_947
; %bb.945:
	v_add3_u32 v223, v224, 0, 0x2e0
	v_mov_b32_e32 v222, 45
	s_mov_b32 s1, 46
	s_inst_prefetch 0x1
	.p2align	6
.LBB104_946:                            ; =>This Inner Loop Header: Depth=1
	s_waitcnt lgkmcnt(0)
	v_cmp_gt_f64_e32 vcc_lo, 0, v[216:217]
	v_cmp_gt_f64_e64 s0, 0, v[214:215]
	ds_read2_b64 v[229:232], v223 offset1:1
	v_xor_b32_e32 v234, 0x80000000, v215
	v_xor_b32_e32 v236, 0x80000000, v217
	v_mov_b32_e32 v233, v214
	v_mov_b32_e32 v235, v216
	v_add_nc_u32_e32 v223, 16, v223
	s_waitcnt lgkmcnt(0)
	v_xor_b32_e32 v238, 0x80000000, v232
	v_cndmask_b32_e64 v234, v215, v234, s0
	v_cndmask_b32_e32 v236, v217, v236, vcc_lo
	v_cmp_gt_f64_e32 vcc_lo, 0, v[231:232]
	v_cmp_gt_f64_e64 s0, 0, v[229:230]
	v_mov_b32_e32 v237, v231
	v_add_f64 v[233:234], v[233:234], v[235:236]
	v_xor_b32_e32 v236, 0x80000000, v230
	v_mov_b32_e32 v235, v229
	v_cndmask_b32_e32 v238, v232, v238, vcc_lo
	v_cndmask_b32_e64 v236, v230, v236, s0
	v_add_f64 v[235:236], v[235:236], v[237:238]
	v_cmp_lt_f64_e32 vcc_lo, v[233:234], v[235:236]
	v_cndmask_b32_e32 v215, v215, v230, vcc_lo
	v_cndmask_b32_e32 v214, v214, v229, vcc_lo
	;; [unrolled: 1-line block ×4, first 2 shown]
	v_cndmask_b32_e64 v222, v222, s1, vcc_lo
	s_add_i32 s1, s1, 1
	s_cmp_lg_u32 s8, s1
	s_cbranch_scc1 .LBB104_946
.LBB104_947:
	s_inst_prefetch 0x2
	s_waitcnt lgkmcnt(0)
	v_cmp_eq_f64_e32 vcc_lo, 0, v[214:215]
	v_cmp_eq_f64_e64 s0, 0, v[216:217]
	s_and_b32 s0, vcc_lo, s0
	s_and_saveexec_b32 s1, s0
	s_xor_b32 s0, exec_lo, s1
; %bb.948:
	v_cmp_ne_u32_e32 vcc_lo, 0, v227
	v_cndmask_b32_e32 v227, 46, v227, vcc_lo
; %bb.949:
	s_andn2_saveexec_b32 s0, s0
	s_cbranch_execz .LBB104_955
; %bb.950:
	v_cmp_ngt_f64_e64 s1, |v[214:215]|, |v[216:217]|
	s_and_saveexec_b32 s7, s1
	s_xor_b32 s1, exec_lo, s7
	s_cbranch_execz .LBB104_952
; %bb.951:
	v_div_scale_f64 v[229:230], null, v[216:217], v[216:217], v[214:215]
	v_div_scale_f64 v[235:236], vcc_lo, v[214:215], v[216:217], v[214:215]
	v_rcp_f64_e32 v[231:232], v[229:230]
	v_fma_f64 v[233:234], -v[229:230], v[231:232], 1.0
	v_fma_f64 v[231:232], v[231:232], v[233:234], v[231:232]
	v_fma_f64 v[233:234], -v[229:230], v[231:232], 1.0
	v_fma_f64 v[231:232], v[231:232], v[233:234], v[231:232]
	v_mul_f64 v[233:234], v[235:236], v[231:232]
	v_fma_f64 v[229:230], -v[229:230], v[233:234], v[235:236]
	v_div_fmas_f64 v[229:230], v[229:230], v[231:232], v[233:234]
	v_div_fixup_f64 v[229:230], v[229:230], v[216:217], v[214:215]
	v_fma_f64 v[214:215], v[214:215], v[229:230], v[216:217]
	v_div_scale_f64 v[216:217], null, v[214:215], v[214:215], 1.0
	v_rcp_f64_e32 v[231:232], v[216:217]
	v_fma_f64 v[233:234], -v[216:217], v[231:232], 1.0
	v_fma_f64 v[231:232], v[231:232], v[233:234], v[231:232]
	v_fma_f64 v[233:234], -v[216:217], v[231:232], 1.0
	v_fma_f64 v[231:232], v[231:232], v[233:234], v[231:232]
	v_div_scale_f64 v[233:234], vcc_lo, 1.0, v[214:215], 1.0
	v_mul_f64 v[235:236], v[233:234], v[231:232]
	v_fma_f64 v[216:217], -v[216:217], v[235:236], v[233:234]
	v_div_fmas_f64 v[216:217], v[216:217], v[231:232], v[235:236]
	v_div_fixup_f64 v[216:217], v[216:217], v[214:215], 1.0
	v_mul_f64 v[214:215], v[229:230], v[216:217]
	v_xor_b32_e32 v217, 0x80000000, v217
.LBB104_952:
	s_andn2_saveexec_b32 s1, s1
	s_cbranch_execz .LBB104_954
; %bb.953:
	v_div_scale_f64 v[229:230], null, v[214:215], v[214:215], v[216:217]
	v_div_scale_f64 v[235:236], vcc_lo, v[216:217], v[214:215], v[216:217]
	v_rcp_f64_e32 v[231:232], v[229:230]
	v_fma_f64 v[233:234], -v[229:230], v[231:232], 1.0
	v_fma_f64 v[231:232], v[231:232], v[233:234], v[231:232]
	v_fma_f64 v[233:234], -v[229:230], v[231:232], 1.0
	v_fma_f64 v[231:232], v[231:232], v[233:234], v[231:232]
	v_mul_f64 v[233:234], v[235:236], v[231:232]
	v_fma_f64 v[229:230], -v[229:230], v[233:234], v[235:236]
	v_div_fmas_f64 v[229:230], v[229:230], v[231:232], v[233:234]
	v_div_fixup_f64 v[229:230], v[229:230], v[214:215], v[216:217]
	v_fma_f64 v[214:215], v[216:217], v[229:230], v[214:215]
	v_div_scale_f64 v[216:217], null, v[214:215], v[214:215], 1.0
	v_rcp_f64_e32 v[231:232], v[216:217]
	v_fma_f64 v[233:234], -v[216:217], v[231:232], 1.0
	v_fma_f64 v[231:232], v[231:232], v[233:234], v[231:232]
	v_fma_f64 v[233:234], -v[216:217], v[231:232], 1.0
	v_fma_f64 v[231:232], v[231:232], v[233:234], v[231:232]
	v_div_scale_f64 v[233:234], vcc_lo, 1.0, v[214:215], 1.0
	v_mul_f64 v[235:236], v[233:234], v[231:232]
	v_fma_f64 v[216:217], -v[216:217], v[235:236], v[233:234]
	v_div_fmas_f64 v[216:217], v[216:217], v[231:232], v[235:236]
	v_div_fixup_f64 v[214:215], v[216:217], v[214:215], 1.0
	v_mul_f64 v[216:217], v[229:230], -v[214:215]
.LBB104_954:
	s_or_b32 exec_lo, exec_lo, s1
.LBB104_955:
	s_or_b32 exec_lo, exec_lo, s0
	s_mov_b32 s0, exec_lo
	v_cmpx_ne_u32_e64 v228, v222
	s_xor_b32 s0, exec_lo, s0
	s_cbranch_execz .LBB104_961
; %bb.956:
	s_mov_b32 s1, exec_lo
	v_cmpx_eq_u32_e32 45, v228
	s_cbranch_execz .LBB104_960
; %bb.957:
	v_cmp_ne_u32_e32 vcc_lo, 45, v222
	s_xor_b32 s7, s16, -1
	s_and_b32 s9, s7, vcc_lo
	s_and_saveexec_b32 s7, s9
	s_cbranch_execz .LBB104_959
; %bb.958:
	v_ashrrev_i32_e32 v223, 31, v222
	v_lshlrev_b64 v[228:229], 2, v[222:223]
	v_add_co_u32 v228, vcc_lo, v220, v228
	v_add_co_ci_u32_e64 v229, null, v221, v229, vcc_lo
	s_clause 0x1
	global_load_dword v0, v[228:229], off
	global_load_dword v223, v[220:221], off offset:180
	s_waitcnt vmcnt(1)
	global_store_dword v[220:221], v0, off offset:180
	s_waitcnt vmcnt(0)
	global_store_dword v[228:229], v223, off
.LBB104_959:
	s_or_b32 exec_lo, exec_lo, s7
	v_mov_b32_e32 v228, v222
	v_mov_b32_e32 v0, v222
.LBB104_960:
	s_or_b32 exec_lo, exec_lo, s1
.LBB104_961:
	s_andn2_saveexec_b32 s0, s0
	s_cbranch_execz .LBB104_963
; %bb.962:
	v_mov_b32_e32 v228, 45
	ds_write2_b64 v1, v[26:27], v[28:29] offset0:92 offset1:93
	ds_write2_b64 v1, v[22:23], v[24:25] offset0:94 offset1:95
	;; [unrolled: 1-line block ×7, first 2 shown]
.LBB104_963:
	s_or_b32 exec_lo, exec_lo, s0
	s_mov_b32 s0, exec_lo
	s_waitcnt lgkmcnt(0)
	s_waitcnt_vscnt null, 0x0
	s_barrier
	buffer_gl0_inv
	v_cmpx_lt_i32_e32 45, v228
	s_cbranch_execz .LBB104_965
; %bb.964:
	v_mul_f64 v[222:223], v[214:215], v[32:33]
	v_mul_f64 v[32:33], v[216:217], v[32:33]
	v_fma_f64 v[222:223], v[216:217], v[30:31], v[222:223]
	v_fma_f64 v[30:31], v[214:215], v[30:31], -v[32:33]
	ds_read2_b64 v[214:217], v1 offset0:92 offset1:93
	s_waitcnt lgkmcnt(0)
	v_mul_f64 v[32:33], v[216:217], v[222:223]
	v_fma_f64 v[32:33], v[214:215], v[30:31], -v[32:33]
	v_mul_f64 v[214:215], v[214:215], v[222:223]
	v_add_f64 v[26:27], v[26:27], -v[32:33]
	v_fma_f64 v[214:215], v[216:217], v[30:31], v[214:215]
	v_add_f64 v[28:29], v[28:29], -v[214:215]
	ds_read2_b64 v[214:217], v1 offset0:94 offset1:95
	s_waitcnt lgkmcnt(0)
	v_mul_f64 v[32:33], v[216:217], v[222:223]
	v_fma_f64 v[32:33], v[214:215], v[30:31], -v[32:33]
	v_mul_f64 v[214:215], v[214:215], v[222:223]
	v_add_f64 v[22:23], v[22:23], -v[32:33]
	v_fma_f64 v[214:215], v[216:217], v[30:31], v[214:215]
	v_add_f64 v[24:25], v[24:25], -v[214:215]
	;; [unrolled: 8-line block ×6, first 2 shown]
	ds_read2_b64 v[214:217], v1 offset0:104 offset1:105
	s_waitcnt lgkmcnt(0)
	v_mul_f64 v[32:33], v[216:217], v[222:223]
	v_fma_f64 v[32:33], v[214:215], v[30:31], -v[32:33]
	v_mul_f64 v[214:215], v[214:215], v[222:223]
	v_add_f64 v[2:3], v[2:3], -v[32:33]
	v_fma_f64 v[214:215], v[216:217], v[30:31], v[214:215]
	v_mov_b32_e32 v32, v222
	v_mov_b32_e32 v33, v223
	v_add_f64 v[4:5], v[4:5], -v[214:215]
.LBB104_965:
	s_or_b32 exec_lo, exec_lo, s0
	v_lshl_add_u32 v214, v228, 4, v1
	s_barrier
	buffer_gl0_inv
	v_mov_b32_e32 v222, 46
	ds_write2_b64 v214, v[26:27], v[28:29] offset1:1
	s_waitcnt lgkmcnt(0)
	s_barrier
	buffer_gl0_inv
	ds_read2_b64 v[214:217], v1 offset0:92 offset1:93
	s_cmp_lt_i32 s8, 48
	s_cbranch_scc1 .LBB104_968
; %bb.966:
	v_add3_u32 v223, v224, 0, 0x2f0
	v_mov_b32_e32 v222, 46
	s_mov_b32 s1, 47
	s_inst_prefetch 0x1
	.p2align	6
.LBB104_967:                            ; =>This Inner Loop Header: Depth=1
	s_waitcnt lgkmcnt(0)
	v_cmp_gt_f64_e32 vcc_lo, 0, v[216:217]
	v_cmp_gt_f64_e64 s0, 0, v[214:215]
	ds_read2_b64 v[229:232], v223 offset1:1
	v_xor_b32_e32 v234, 0x80000000, v215
	v_xor_b32_e32 v236, 0x80000000, v217
	v_mov_b32_e32 v233, v214
	v_mov_b32_e32 v235, v216
	v_add_nc_u32_e32 v223, 16, v223
	s_waitcnt lgkmcnt(0)
	v_xor_b32_e32 v238, 0x80000000, v232
	v_cndmask_b32_e64 v234, v215, v234, s0
	v_cndmask_b32_e32 v236, v217, v236, vcc_lo
	v_cmp_gt_f64_e32 vcc_lo, 0, v[231:232]
	v_cmp_gt_f64_e64 s0, 0, v[229:230]
	v_mov_b32_e32 v237, v231
	v_add_f64 v[233:234], v[233:234], v[235:236]
	v_xor_b32_e32 v236, 0x80000000, v230
	v_mov_b32_e32 v235, v229
	v_cndmask_b32_e32 v238, v232, v238, vcc_lo
	v_cndmask_b32_e64 v236, v230, v236, s0
	v_add_f64 v[235:236], v[235:236], v[237:238]
	v_cmp_lt_f64_e32 vcc_lo, v[233:234], v[235:236]
	v_cndmask_b32_e32 v215, v215, v230, vcc_lo
	v_cndmask_b32_e32 v214, v214, v229, vcc_lo
	;; [unrolled: 1-line block ×4, first 2 shown]
	v_cndmask_b32_e64 v222, v222, s1, vcc_lo
	s_add_i32 s1, s1, 1
	s_cmp_lg_u32 s8, s1
	s_cbranch_scc1 .LBB104_967
.LBB104_968:
	s_inst_prefetch 0x2
	s_waitcnt lgkmcnt(0)
	v_cmp_eq_f64_e32 vcc_lo, 0, v[214:215]
	v_cmp_eq_f64_e64 s0, 0, v[216:217]
	s_and_b32 s0, vcc_lo, s0
	s_and_saveexec_b32 s1, s0
	s_xor_b32 s0, exec_lo, s1
; %bb.969:
	v_cmp_ne_u32_e32 vcc_lo, 0, v227
	v_cndmask_b32_e32 v227, 47, v227, vcc_lo
; %bb.970:
	s_andn2_saveexec_b32 s0, s0
	s_cbranch_execz .LBB104_976
; %bb.971:
	v_cmp_ngt_f64_e64 s1, |v[214:215]|, |v[216:217]|
	s_and_saveexec_b32 s7, s1
	s_xor_b32 s1, exec_lo, s7
	s_cbranch_execz .LBB104_973
; %bb.972:
	v_div_scale_f64 v[229:230], null, v[216:217], v[216:217], v[214:215]
	v_div_scale_f64 v[235:236], vcc_lo, v[214:215], v[216:217], v[214:215]
	v_rcp_f64_e32 v[231:232], v[229:230]
	v_fma_f64 v[233:234], -v[229:230], v[231:232], 1.0
	v_fma_f64 v[231:232], v[231:232], v[233:234], v[231:232]
	v_fma_f64 v[233:234], -v[229:230], v[231:232], 1.0
	v_fma_f64 v[231:232], v[231:232], v[233:234], v[231:232]
	v_mul_f64 v[233:234], v[235:236], v[231:232]
	v_fma_f64 v[229:230], -v[229:230], v[233:234], v[235:236]
	v_div_fmas_f64 v[229:230], v[229:230], v[231:232], v[233:234]
	v_div_fixup_f64 v[229:230], v[229:230], v[216:217], v[214:215]
	v_fma_f64 v[214:215], v[214:215], v[229:230], v[216:217]
	v_div_scale_f64 v[216:217], null, v[214:215], v[214:215], 1.0
	v_rcp_f64_e32 v[231:232], v[216:217]
	v_fma_f64 v[233:234], -v[216:217], v[231:232], 1.0
	v_fma_f64 v[231:232], v[231:232], v[233:234], v[231:232]
	v_fma_f64 v[233:234], -v[216:217], v[231:232], 1.0
	v_fma_f64 v[231:232], v[231:232], v[233:234], v[231:232]
	v_div_scale_f64 v[233:234], vcc_lo, 1.0, v[214:215], 1.0
	v_mul_f64 v[235:236], v[233:234], v[231:232]
	v_fma_f64 v[216:217], -v[216:217], v[235:236], v[233:234]
	v_div_fmas_f64 v[216:217], v[216:217], v[231:232], v[235:236]
	v_div_fixup_f64 v[216:217], v[216:217], v[214:215], 1.0
	v_mul_f64 v[214:215], v[229:230], v[216:217]
	v_xor_b32_e32 v217, 0x80000000, v217
.LBB104_973:
	s_andn2_saveexec_b32 s1, s1
	s_cbranch_execz .LBB104_975
; %bb.974:
	v_div_scale_f64 v[229:230], null, v[214:215], v[214:215], v[216:217]
	v_div_scale_f64 v[235:236], vcc_lo, v[216:217], v[214:215], v[216:217]
	v_rcp_f64_e32 v[231:232], v[229:230]
	v_fma_f64 v[233:234], -v[229:230], v[231:232], 1.0
	v_fma_f64 v[231:232], v[231:232], v[233:234], v[231:232]
	v_fma_f64 v[233:234], -v[229:230], v[231:232], 1.0
	v_fma_f64 v[231:232], v[231:232], v[233:234], v[231:232]
	v_mul_f64 v[233:234], v[235:236], v[231:232]
	v_fma_f64 v[229:230], -v[229:230], v[233:234], v[235:236]
	v_div_fmas_f64 v[229:230], v[229:230], v[231:232], v[233:234]
	v_div_fixup_f64 v[229:230], v[229:230], v[214:215], v[216:217]
	v_fma_f64 v[214:215], v[216:217], v[229:230], v[214:215]
	v_div_scale_f64 v[216:217], null, v[214:215], v[214:215], 1.0
	v_rcp_f64_e32 v[231:232], v[216:217]
	v_fma_f64 v[233:234], -v[216:217], v[231:232], 1.0
	v_fma_f64 v[231:232], v[231:232], v[233:234], v[231:232]
	v_fma_f64 v[233:234], -v[216:217], v[231:232], 1.0
	v_fma_f64 v[231:232], v[231:232], v[233:234], v[231:232]
	v_div_scale_f64 v[233:234], vcc_lo, 1.0, v[214:215], 1.0
	v_mul_f64 v[235:236], v[233:234], v[231:232]
	v_fma_f64 v[216:217], -v[216:217], v[235:236], v[233:234]
	v_div_fmas_f64 v[216:217], v[216:217], v[231:232], v[235:236]
	v_div_fixup_f64 v[214:215], v[216:217], v[214:215], 1.0
	v_mul_f64 v[216:217], v[229:230], -v[214:215]
.LBB104_975:
	s_or_b32 exec_lo, exec_lo, s1
.LBB104_976:
	s_or_b32 exec_lo, exec_lo, s0
	s_mov_b32 s0, exec_lo
	v_cmpx_ne_u32_e64 v228, v222
	s_xor_b32 s0, exec_lo, s0
	s_cbranch_execz .LBB104_982
; %bb.977:
	s_mov_b32 s1, exec_lo
	v_cmpx_eq_u32_e32 46, v228
	s_cbranch_execz .LBB104_981
; %bb.978:
	v_cmp_ne_u32_e32 vcc_lo, 46, v222
	s_xor_b32 s7, s16, -1
	s_and_b32 s9, s7, vcc_lo
	s_and_saveexec_b32 s7, s9
	s_cbranch_execz .LBB104_980
; %bb.979:
	v_ashrrev_i32_e32 v223, 31, v222
	v_lshlrev_b64 v[228:229], 2, v[222:223]
	v_add_co_u32 v228, vcc_lo, v220, v228
	v_add_co_ci_u32_e64 v229, null, v221, v229, vcc_lo
	s_clause 0x1
	global_load_dword v0, v[228:229], off
	global_load_dword v223, v[220:221], off offset:184
	s_waitcnt vmcnt(1)
	global_store_dword v[220:221], v0, off offset:184
	s_waitcnt vmcnt(0)
	global_store_dword v[228:229], v223, off
.LBB104_980:
	s_or_b32 exec_lo, exec_lo, s7
	v_mov_b32_e32 v228, v222
	v_mov_b32_e32 v0, v222
.LBB104_981:
	s_or_b32 exec_lo, exec_lo, s1
.LBB104_982:
	s_andn2_saveexec_b32 s0, s0
	s_cbranch_execz .LBB104_984
; %bb.983:
	v_mov_b32_e32 v228, 46
	ds_write2_b64 v1, v[22:23], v[24:25] offset0:94 offset1:95
	ds_write2_b64 v1, v[18:19], v[20:21] offset0:96 offset1:97
	;; [unrolled: 1-line block ×6, first 2 shown]
.LBB104_984:
	s_or_b32 exec_lo, exec_lo, s0
	s_mov_b32 s0, exec_lo
	s_waitcnt lgkmcnt(0)
	s_waitcnt_vscnt null, 0x0
	s_barrier
	buffer_gl0_inv
	v_cmpx_lt_i32_e32 46, v228
	s_cbranch_execz .LBB104_986
; %bb.985:
	v_mul_f64 v[222:223], v[214:215], v[28:29]
	v_mul_f64 v[28:29], v[216:217], v[28:29]
	v_fma_f64 v[222:223], v[216:217], v[26:27], v[222:223]
	v_fma_f64 v[26:27], v[214:215], v[26:27], -v[28:29]
	ds_read2_b64 v[214:217], v1 offset0:94 offset1:95
	s_waitcnt lgkmcnt(0)
	v_mul_f64 v[28:29], v[216:217], v[222:223]
	v_fma_f64 v[28:29], v[214:215], v[26:27], -v[28:29]
	v_mul_f64 v[214:215], v[214:215], v[222:223]
	v_add_f64 v[22:23], v[22:23], -v[28:29]
	v_fma_f64 v[214:215], v[216:217], v[26:27], v[214:215]
	v_add_f64 v[24:25], v[24:25], -v[214:215]
	ds_read2_b64 v[214:217], v1 offset0:96 offset1:97
	s_waitcnt lgkmcnt(0)
	v_mul_f64 v[28:29], v[216:217], v[222:223]
	v_fma_f64 v[28:29], v[214:215], v[26:27], -v[28:29]
	v_mul_f64 v[214:215], v[214:215], v[222:223]
	v_add_f64 v[18:19], v[18:19], -v[28:29]
	v_fma_f64 v[214:215], v[216:217], v[26:27], v[214:215]
	v_add_f64 v[20:21], v[20:21], -v[214:215]
	;; [unrolled: 8-line block ×5, first 2 shown]
	ds_read2_b64 v[214:217], v1 offset0:104 offset1:105
	s_waitcnt lgkmcnt(0)
	v_mul_f64 v[28:29], v[216:217], v[222:223]
	v_fma_f64 v[28:29], v[214:215], v[26:27], -v[28:29]
	v_mul_f64 v[214:215], v[214:215], v[222:223]
	v_add_f64 v[2:3], v[2:3], -v[28:29]
	v_fma_f64 v[214:215], v[216:217], v[26:27], v[214:215]
	v_mov_b32_e32 v28, v222
	v_mov_b32_e32 v29, v223
	v_add_f64 v[4:5], v[4:5], -v[214:215]
.LBB104_986:
	s_or_b32 exec_lo, exec_lo, s0
	v_lshl_add_u32 v214, v228, 4, v1
	s_barrier
	buffer_gl0_inv
	v_mov_b32_e32 v222, 47
	ds_write2_b64 v214, v[22:23], v[24:25] offset1:1
	s_waitcnt lgkmcnt(0)
	s_barrier
	buffer_gl0_inv
	ds_read2_b64 v[214:217], v1 offset0:94 offset1:95
	s_cmp_lt_i32 s8, 49
	s_cbranch_scc1 .LBB104_989
; %bb.987:
	v_add3_u32 v223, v224, 0, 0x300
	v_mov_b32_e32 v222, 47
	s_mov_b32 s1, 48
	s_inst_prefetch 0x1
	.p2align	6
.LBB104_988:                            ; =>This Inner Loop Header: Depth=1
	s_waitcnt lgkmcnt(0)
	v_cmp_gt_f64_e32 vcc_lo, 0, v[216:217]
	v_cmp_gt_f64_e64 s0, 0, v[214:215]
	ds_read2_b64 v[229:232], v223 offset1:1
	v_xor_b32_e32 v234, 0x80000000, v215
	v_xor_b32_e32 v236, 0x80000000, v217
	v_mov_b32_e32 v233, v214
	v_mov_b32_e32 v235, v216
	v_add_nc_u32_e32 v223, 16, v223
	s_waitcnt lgkmcnt(0)
	v_xor_b32_e32 v238, 0x80000000, v232
	v_cndmask_b32_e64 v234, v215, v234, s0
	v_cndmask_b32_e32 v236, v217, v236, vcc_lo
	v_cmp_gt_f64_e32 vcc_lo, 0, v[231:232]
	v_cmp_gt_f64_e64 s0, 0, v[229:230]
	v_mov_b32_e32 v237, v231
	v_add_f64 v[233:234], v[233:234], v[235:236]
	v_xor_b32_e32 v236, 0x80000000, v230
	v_mov_b32_e32 v235, v229
	v_cndmask_b32_e32 v238, v232, v238, vcc_lo
	v_cndmask_b32_e64 v236, v230, v236, s0
	v_add_f64 v[235:236], v[235:236], v[237:238]
	v_cmp_lt_f64_e32 vcc_lo, v[233:234], v[235:236]
	v_cndmask_b32_e32 v215, v215, v230, vcc_lo
	v_cndmask_b32_e32 v214, v214, v229, vcc_lo
	;; [unrolled: 1-line block ×4, first 2 shown]
	v_cndmask_b32_e64 v222, v222, s1, vcc_lo
	s_add_i32 s1, s1, 1
	s_cmp_lg_u32 s8, s1
	s_cbranch_scc1 .LBB104_988
.LBB104_989:
	s_inst_prefetch 0x2
	s_waitcnt lgkmcnt(0)
	v_cmp_eq_f64_e32 vcc_lo, 0, v[214:215]
	v_cmp_eq_f64_e64 s0, 0, v[216:217]
	s_and_b32 s0, vcc_lo, s0
	s_and_saveexec_b32 s1, s0
	s_xor_b32 s0, exec_lo, s1
; %bb.990:
	v_cmp_ne_u32_e32 vcc_lo, 0, v227
	v_cndmask_b32_e32 v227, 48, v227, vcc_lo
; %bb.991:
	s_andn2_saveexec_b32 s0, s0
	s_cbranch_execz .LBB104_997
; %bb.992:
	v_cmp_ngt_f64_e64 s1, |v[214:215]|, |v[216:217]|
	s_and_saveexec_b32 s7, s1
	s_xor_b32 s1, exec_lo, s7
	s_cbranch_execz .LBB104_994
; %bb.993:
	v_div_scale_f64 v[229:230], null, v[216:217], v[216:217], v[214:215]
	v_div_scale_f64 v[235:236], vcc_lo, v[214:215], v[216:217], v[214:215]
	v_rcp_f64_e32 v[231:232], v[229:230]
	v_fma_f64 v[233:234], -v[229:230], v[231:232], 1.0
	v_fma_f64 v[231:232], v[231:232], v[233:234], v[231:232]
	v_fma_f64 v[233:234], -v[229:230], v[231:232], 1.0
	v_fma_f64 v[231:232], v[231:232], v[233:234], v[231:232]
	v_mul_f64 v[233:234], v[235:236], v[231:232]
	v_fma_f64 v[229:230], -v[229:230], v[233:234], v[235:236]
	v_div_fmas_f64 v[229:230], v[229:230], v[231:232], v[233:234]
	v_div_fixup_f64 v[229:230], v[229:230], v[216:217], v[214:215]
	v_fma_f64 v[214:215], v[214:215], v[229:230], v[216:217]
	v_div_scale_f64 v[216:217], null, v[214:215], v[214:215], 1.0
	v_rcp_f64_e32 v[231:232], v[216:217]
	v_fma_f64 v[233:234], -v[216:217], v[231:232], 1.0
	v_fma_f64 v[231:232], v[231:232], v[233:234], v[231:232]
	v_fma_f64 v[233:234], -v[216:217], v[231:232], 1.0
	v_fma_f64 v[231:232], v[231:232], v[233:234], v[231:232]
	v_div_scale_f64 v[233:234], vcc_lo, 1.0, v[214:215], 1.0
	v_mul_f64 v[235:236], v[233:234], v[231:232]
	v_fma_f64 v[216:217], -v[216:217], v[235:236], v[233:234]
	v_div_fmas_f64 v[216:217], v[216:217], v[231:232], v[235:236]
	v_div_fixup_f64 v[216:217], v[216:217], v[214:215], 1.0
	v_mul_f64 v[214:215], v[229:230], v[216:217]
	v_xor_b32_e32 v217, 0x80000000, v217
.LBB104_994:
	s_andn2_saveexec_b32 s1, s1
	s_cbranch_execz .LBB104_996
; %bb.995:
	v_div_scale_f64 v[229:230], null, v[214:215], v[214:215], v[216:217]
	v_div_scale_f64 v[235:236], vcc_lo, v[216:217], v[214:215], v[216:217]
	v_rcp_f64_e32 v[231:232], v[229:230]
	v_fma_f64 v[233:234], -v[229:230], v[231:232], 1.0
	v_fma_f64 v[231:232], v[231:232], v[233:234], v[231:232]
	v_fma_f64 v[233:234], -v[229:230], v[231:232], 1.0
	v_fma_f64 v[231:232], v[231:232], v[233:234], v[231:232]
	v_mul_f64 v[233:234], v[235:236], v[231:232]
	v_fma_f64 v[229:230], -v[229:230], v[233:234], v[235:236]
	v_div_fmas_f64 v[229:230], v[229:230], v[231:232], v[233:234]
	v_div_fixup_f64 v[229:230], v[229:230], v[214:215], v[216:217]
	v_fma_f64 v[214:215], v[216:217], v[229:230], v[214:215]
	v_div_scale_f64 v[216:217], null, v[214:215], v[214:215], 1.0
	v_rcp_f64_e32 v[231:232], v[216:217]
	v_fma_f64 v[233:234], -v[216:217], v[231:232], 1.0
	v_fma_f64 v[231:232], v[231:232], v[233:234], v[231:232]
	v_fma_f64 v[233:234], -v[216:217], v[231:232], 1.0
	v_fma_f64 v[231:232], v[231:232], v[233:234], v[231:232]
	v_div_scale_f64 v[233:234], vcc_lo, 1.0, v[214:215], 1.0
	v_mul_f64 v[235:236], v[233:234], v[231:232]
	v_fma_f64 v[216:217], -v[216:217], v[235:236], v[233:234]
	v_div_fmas_f64 v[216:217], v[216:217], v[231:232], v[235:236]
	v_div_fixup_f64 v[214:215], v[216:217], v[214:215], 1.0
	v_mul_f64 v[216:217], v[229:230], -v[214:215]
.LBB104_996:
	s_or_b32 exec_lo, exec_lo, s1
.LBB104_997:
	s_or_b32 exec_lo, exec_lo, s0
	s_mov_b32 s0, exec_lo
	v_cmpx_ne_u32_e64 v228, v222
	s_xor_b32 s0, exec_lo, s0
	s_cbranch_execz .LBB104_1003
; %bb.998:
	s_mov_b32 s1, exec_lo
	v_cmpx_eq_u32_e32 47, v228
	s_cbranch_execz .LBB104_1002
; %bb.999:
	v_cmp_ne_u32_e32 vcc_lo, 47, v222
	s_xor_b32 s7, s16, -1
	s_and_b32 s9, s7, vcc_lo
	s_and_saveexec_b32 s7, s9
	s_cbranch_execz .LBB104_1001
; %bb.1000:
	v_ashrrev_i32_e32 v223, 31, v222
	v_lshlrev_b64 v[228:229], 2, v[222:223]
	v_add_co_u32 v228, vcc_lo, v220, v228
	v_add_co_ci_u32_e64 v229, null, v221, v229, vcc_lo
	s_clause 0x1
	global_load_dword v0, v[228:229], off
	global_load_dword v223, v[220:221], off offset:188
	s_waitcnt vmcnt(1)
	global_store_dword v[220:221], v0, off offset:188
	s_waitcnt vmcnt(0)
	global_store_dword v[228:229], v223, off
.LBB104_1001:
	s_or_b32 exec_lo, exec_lo, s7
	v_mov_b32_e32 v228, v222
	v_mov_b32_e32 v0, v222
.LBB104_1002:
	s_or_b32 exec_lo, exec_lo, s1
.LBB104_1003:
	s_andn2_saveexec_b32 s0, s0
	s_cbranch_execz .LBB104_1005
; %bb.1004:
	v_mov_b32_e32 v228, 47
	ds_write2_b64 v1, v[18:19], v[20:21] offset0:96 offset1:97
	ds_write2_b64 v1, v[14:15], v[16:17] offset0:98 offset1:99
	;; [unrolled: 1-line block ×5, first 2 shown]
.LBB104_1005:
	s_or_b32 exec_lo, exec_lo, s0
	s_mov_b32 s0, exec_lo
	s_waitcnt lgkmcnt(0)
	s_waitcnt_vscnt null, 0x0
	s_barrier
	buffer_gl0_inv
	v_cmpx_lt_i32_e32 47, v228
	s_cbranch_execz .LBB104_1007
; %bb.1006:
	v_mul_f64 v[222:223], v[214:215], v[24:25]
	v_mul_f64 v[24:25], v[216:217], v[24:25]
	v_fma_f64 v[222:223], v[216:217], v[22:23], v[222:223]
	v_fma_f64 v[22:23], v[214:215], v[22:23], -v[24:25]
	ds_read2_b64 v[214:217], v1 offset0:96 offset1:97
	s_waitcnt lgkmcnt(0)
	v_mul_f64 v[24:25], v[216:217], v[222:223]
	v_fma_f64 v[24:25], v[214:215], v[22:23], -v[24:25]
	v_mul_f64 v[214:215], v[214:215], v[222:223]
	v_add_f64 v[18:19], v[18:19], -v[24:25]
	v_fma_f64 v[214:215], v[216:217], v[22:23], v[214:215]
	v_add_f64 v[20:21], v[20:21], -v[214:215]
	ds_read2_b64 v[214:217], v1 offset0:98 offset1:99
	s_waitcnt lgkmcnt(0)
	v_mul_f64 v[24:25], v[216:217], v[222:223]
	v_fma_f64 v[24:25], v[214:215], v[22:23], -v[24:25]
	v_mul_f64 v[214:215], v[214:215], v[222:223]
	v_add_f64 v[14:15], v[14:15], -v[24:25]
	v_fma_f64 v[214:215], v[216:217], v[22:23], v[214:215]
	v_add_f64 v[16:17], v[16:17], -v[214:215]
	;; [unrolled: 8-line block ×4, first 2 shown]
	ds_read2_b64 v[214:217], v1 offset0:104 offset1:105
	s_waitcnt lgkmcnt(0)
	v_mul_f64 v[24:25], v[216:217], v[222:223]
	v_fma_f64 v[24:25], v[214:215], v[22:23], -v[24:25]
	v_mul_f64 v[214:215], v[214:215], v[222:223]
	v_add_f64 v[2:3], v[2:3], -v[24:25]
	v_fma_f64 v[214:215], v[216:217], v[22:23], v[214:215]
	v_mov_b32_e32 v24, v222
	v_mov_b32_e32 v25, v223
	v_add_f64 v[4:5], v[4:5], -v[214:215]
.LBB104_1007:
	s_or_b32 exec_lo, exec_lo, s0
	v_lshl_add_u32 v214, v228, 4, v1
	s_barrier
	buffer_gl0_inv
	v_mov_b32_e32 v222, 48
	ds_write2_b64 v214, v[18:19], v[20:21] offset1:1
	s_waitcnt lgkmcnt(0)
	s_barrier
	buffer_gl0_inv
	ds_read2_b64 v[214:217], v1 offset0:96 offset1:97
	s_cmp_lt_i32 s8, 50
	s_cbranch_scc1 .LBB104_1010
; %bb.1008:
	v_add3_u32 v223, v224, 0, 0x310
	v_mov_b32_e32 v222, 48
	s_mov_b32 s1, 49
	s_inst_prefetch 0x1
	.p2align	6
.LBB104_1009:                           ; =>This Inner Loop Header: Depth=1
	s_waitcnt lgkmcnt(0)
	v_cmp_gt_f64_e32 vcc_lo, 0, v[216:217]
	v_cmp_gt_f64_e64 s0, 0, v[214:215]
	ds_read2_b64 v[229:232], v223 offset1:1
	v_xor_b32_e32 v234, 0x80000000, v215
	v_xor_b32_e32 v236, 0x80000000, v217
	v_mov_b32_e32 v233, v214
	v_mov_b32_e32 v235, v216
	v_add_nc_u32_e32 v223, 16, v223
	s_waitcnt lgkmcnt(0)
	v_xor_b32_e32 v238, 0x80000000, v232
	v_cndmask_b32_e64 v234, v215, v234, s0
	v_cndmask_b32_e32 v236, v217, v236, vcc_lo
	v_cmp_gt_f64_e32 vcc_lo, 0, v[231:232]
	v_cmp_gt_f64_e64 s0, 0, v[229:230]
	v_mov_b32_e32 v237, v231
	v_add_f64 v[233:234], v[233:234], v[235:236]
	v_xor_b32_e32 v236, 0x80000000, v230
	v_mov_b32_e32 v235, v229
	v_cndmask_b32_e32 v238, v232, v238, vcc_lo
	v_cndmask_b32_e64 v236, v230, v236, s0
	v_add_f64 v[235:236], v[235:236], v[237:238]
	v_cmp_lt_f64_e32 vcc_lo, v[233:234], v[235:236]
	v_cndmask_b32_e32 v215, v215, v230, vcc_lo
	v_cndmask_b32_e32 v214, v214, v229, vcc_lo
	;; [unrolled: 1-line block ×4, first 2 shown]
	v_cndmask_b32_e64 v222, v222, s1, vcc_lo
	s_add_i32 s1, s1, 1
	s_cmp_lg_u32 s8, s1
	s_cbranch_scc1 .LBB104_1009
.LBB104_1010:
	s_inst_prefetch 0x2
	s_waitcnt lgkmcnt(0)
	v_cmp_eq_f64_e32 vcc_lo, 0, v[214:215]
	v_cmp_eq_f64_e64 s0, 0, v[216:217]
	s_and_b32 s0, vcc_lo, s0
	s_and_saveexec_b32 s1, s0
	s_xor_b32 s0, exec_lo, s1
; %bb.1011:
	v_cmp_ne_u32_e32 vcc_lo, 0, v227
	v_cndmask_b32_e32 v227, 49, v227, vcc_lo
; %bb.1012:
	s_andn2_saveexec_b32 s0, s0
	s_cbranch_execz .LBB104_1018
; %bb.1013:
	v_cmp_ngt_f64_e64 s1, |v[214:215]|, |v[216:217]|
	s_and_saveexec_b32 s7, s1
	s_xor_b32 s1, exec_lo, s7
	s_cbranch_execz .LBB104_1015
; %bb.1014:
	v_div_scale_f64 v[229:230], null, v[216:217], v[216:217], v[214:215]
	v_div_scale_f64 v[235:236], vcc_lo, v[214:215], v[216:217], v[214:215]
	v_rcp_f64_e32 v[231:232], v[229:230]
	v_fma_f64 v[233:234], -v[229:230], v[231:232], 1.0
	v_fma_f64 v[231:232], v[231:232], v[233:234], v[231:232]
	v_fma_f64 v[233:234], -v[229:230], v[231:232], 1.0
	v_fma_f64 v[231:232], v[231:232], v[233:234], v[231:232]
	v_mul_f64 v[233:234], v[235:236], v[231:232]
	v_fma_f64 v[229:230], -v[229:230], v[233:234], v[235:236]
	v_div_fmas_f64 v[229:230], v[229:230], v[231:232], v[233:234]
	v_div_fixup_f64 v[229:230], v[229:230], v[216:217], v[214:215]
	v_fma_f64 v[214:215], v[214:215], v[229:230], v[216:217]
	v_div_scale_f64 v[216:217], null, v[214:215], v[214:215], 1.0
	v_rcp_f64_e32 v[231:232], v[216:217]
	v_fma_f64 v[233:234], -v[216:217], v[231:232], 1.0
	v_fma_f64 v[231:232], v[231:232], v[233:234], v[231:232]
	v_fma_f64 v[233:234], -v[216:217], v[231:232], 1.0
	v_fma_f64 v[231:232], v[231:232], v[233:234], v[231:232]
	v_div_scale_f64 v[233:234], vcc_lo, 1.0, v[214:215], 1.0
	v_mul_f64 v[235:236], v[233:234], v[231:232]
	v_fma_f64 v[216:217], -v[216:217], v[235:236], v[233:234]
	v_div_fmas_f64 v[216:217], v[216:217], v[231:232], v[235:236]
	v_div_fixup_f64 v[216:217], v[216:217], v[214:215], 1.0
	v_mul_f64 v[214:215], v[229:230], v[216:217]
	v_xor_b32_e32 v217, 0x80000000, v217
.LBB104_1015:
	s_andn2_saveexec_b32 s1, s1
	s_cbranch_execz .LBB104_1017
; %bb.1016:
	v_div_scale_f64 v[229:230], null, v[214:215], v[214:215], v[216:217]
	v_div_scale_f64 v[235:236], vcc_lo, v[216:217], v[214:215], v[216:217]
	v_rcp_f64_e32 v[231:232], v[229:230]
	v_fma_f64 v[233:234], -v[229:230], v[231:232], 1.0
	v_fma_f64 v[231:232], v[231:232], v[233:234], v[231:232]
	v_fma_f64 v[233:234], -v[229:230], v[231:232], 1.0
	v_fma_f64 v[231:232], v[231:232], v[233:234], v[231:232]
	v_mul_f64 v[233:234], v[235:236], v[231:232]
	v_fma_f64 v[229:230], -v[229:230], v[233:234], v[235:236]
	v_div_fmas_f64 v[229:230], v[229:230], v[231:232], v[233:234]
	v_div_fixup_f64 v[229:230], v[229:230], v[214:215], v[216:217]
	v_fma_f64 v[214:215], v[216:217], v[229:230], v[214:215]
	v_div_scale_f64 v[216:217], null, v[214:215], v[214:215], 1.0
	v_rcp_f64_e32 v[231:232], v[216:217]
	v_fma_f64 v[233:234], -v[216:217], v[231:232], 1.0
	v_fma_f64 v[231:232], v[231:232], v[233:234], v[231:232]
	v_fma_f64 v[233:234], -v[216:217], v[231:232], 1.0
	v_fma_f64 v[231:232], v[231:232], v[233:234], v[231:232]
	v_div_scale_f64 v[233:234], vcc_lo, 1.0, v[214:215], 1.0
	v_mul_f64 v[235:236], v[233:234], v[231:232]
	v_fma_f64 v[216:217], -v[216:217], v[235:236], v[233:234]
	v_div_fmas_f64 v[216:217], v[216:217], v[231:232], v[235:236]
	v_div_fixup_f64 v[214:215], v[216:217], v[214:215], 1.0
	v_mul_f64 v[216:217], v[229:230], -v[214:215]
.LBB104_1017:
	s_or_b32 exec_lo, exec_lo, s1
.LBB104_1018:
	s_or_b32 exec_lo, exec_lo, s0
	s_mov_b32 s0, exec_lo
	v_cmpx_ne_u32_e64 v228, v222
	s_xor_b32 s0, exec_lo, s0
	s_cbranch_execz .LBB104_1024
; %bb.1019:
	s_mov_b32 s1, exec_lo
	v_cmpx_eq_u32_e32 48, v228
	s_cbranch_execz .LBB104_1023
; %bb.1020:
	v_cmp_ne_u32_e32 vcc_lo, 48, v222
	s_xor_b32 s7, s16, -1
	s_and_b32 s9, s7, vcc_lo
	s_and_saveexec_b32 s7, s9
	s_cbranch_execz .LBB104_1022
; %bb.1021:
	v_ashrrev_i32_e32 v223, 31, v222
	v_lshlrev_b64 v[228:229], 2, v[222:223]
	v_add_co_u32 v228, vcc_lo, v220, v228
	v_add_co_ci_u32_e64 v229, null, v221, v229, vcc_lo
	s_clause 0x1
	global_load_dword v0, v[228:229], off
	global_load_dword v223, v[220:221], off offset:192
	s_waitcnt vmcnt(1)
	global_store_dword v[220:221], v0, off offset:192
	s_waitcnt vmcnt(0)
	global_store_dword v[228:229], v223, off
.LBB104_1022:
	s_or_b32 exec_lo, exec_lo, s7
	v_mov_b32_e32 v228, v222
	v_mov_b32_e32 v0, v222
.LBB104_1023:
	s_or_b32 exec_lo, exec_lo, s1
.LBB104_1024:
	s_andn2_saveexec_b32 s0, s0
	s_cbranch_execz .LBB104_1026
; %bb.1025:
	v_mov_b32_e32 v228, 48
	ds_write2_b64 v1, v[14:15], v[16:17] offset0:98 offset1:99
	ds_write2_b64 v1, v[10:11], v[12:13] offset0:100 offset1:101
	;; [unrolled: 1-line block ×4, first 2 shown]
.LBB104_1026:
	s_or_b32 exec_lo, exec_lo, s0
	s_mov_b32 s0, exec_lo
	s_waitcnt lgkmcnt(0)
	s_waitcnt_vscnt null, 0x0
	s_barrier
	buffer_gl0_inv
	v_cmpx_lt_i32_e32 48, v228
	s_cbranch_execz .LBB104_1028
; %bb.1027:
	v_mul_f64 v[222:223], v[214:215], v[20:21]
	v_mul_f64 v[20:21], v[216:217], v[20:21]
	v_fma_f64 v[222:223], v[216:217], v[18:19], v[222:223]
	v_fma_f64 v[18:19], v[214:215], v[18:19], -v[20:21]
	ds_read2_b64 v[214:217], v1 offset0:98 offset1:99
	s_waitcnt lgkmcnt(0)
	v_mul_f64 v[20:21], v[216:217], v[222:223]
	v_fma_f64 v[20:21], v[214:215], v[18:19], -v[20:21]
	v_mul_f64 v[214:215], v[214:215], v[222:223]
	v_add_f64 v[14:15], v[14:15], -v[20:21]
	v_fma_f64 v[214:215], v[216:217], v[18:19], v[214:215]
	v_add_f64 v[16:17], v[16:17], -v[214:215]
	ds_read2_b64 v[214:217], v1 offset0:100 offset1:101
	s_waitcnt lgkmcnt(0)
	v_mul_f64 v[20:21], v[216:217], v[222:223]
	v_fma_f64 v[20:21], v[214:215], v[18:19], -v[20:21]
	v_mul_f64 v[214:215], v[214:215], v[222:223]
	v_add_f64 v[10:11], v[10:11], -v[20:21]
	v_fma_f64 v[214:215], v[216:217], v[18:19], v[214:215]
	v_add_f64 v[12:13], v[12:13], -v[214:215]
	;; [unrolled: 8-line block ×3, first 2 shown]
	ds_read2_b64 v[214:217], v1 offset0:104 offset1:105
	s_waitcnt lgkmcnt(0)
	v_mul_f64 v[20:21], v[216:217], v[222:223]
	v_fma_f64 v[20:21], v[214:215], v[18:19], -v[20:21]
	v_mul_f64 v[214:215], v[214:215], v[222:223]
	v_add_f64 v[2:3], v[2:3], -v[20:21]
	v_fma_f64 v[214:215], v[216:217], v[18:19], v[214:215]
	v_mov_b32_e32 v20, v222
	v_mov_b32_e32 v21, v223
	v_add_f64 v[4:5], v[4:5], -v[214:215]
.LBB104_1028:
	s_or_b32 exec_lo, exec_lo, s0
	v_lshl_add_u32 v214, v228, 4, v1
	s_barrier
	buffer_gl0_inv
	v_mov_b32_e32 v222, 49
	ds_write2_b64 v214, v[14:15], v[16:17] offset1:1
	s_waitcnt lgkmcnt(0)
	s_barrier
	buffer_gl0_inv
	ds_read2_b64 v[214:217], v1 offset0:98 offset1:99
	s_cmp_lt_i32 s8, 51
	s_cbranch_scc1 .LBB104_1031
; %bb.1029:
	v_add3_u32 v223, v224, 0, 0x320
	v_mov_b32_e32 v222, 49
	s_mov_b32 s1, 50
	s_inst_prefetch 0x1
	.p2align	6
.LBB104_1030:                           ; =>This Inner Loop Header: Depth=1
	s_waitcnt lgkmcnt(0)
	v_cmp_gt_f64_e32 vcc_lo, 0, v[216:217]
	v_cmp_gt_f64_e64 s0, 0, v[214:215]
	ds_read2_b64 v[229:232], v223 offset1:1
	v_xor_b32_e32 v234, 0x80000000, v215
	v_xor_b32_e32 v236, 0x80000000, v217
	v_mov_b32_e32 v233, v214
	v_mov_b32_e32 v235, v216
	v_add_nc_u32_e32 v223, 16, v223
	s_waitcnt lgkmcnt(0)
	v_xor_b32_e32 v238, 0x80000000, v232
	v_cndmask_b32_e64 v234, v215, v234, s0
	v_cndmask_b32_e32 v236, v217, v236, vcc_lo
	v_cmp_gt_f64_e32 vcc_lo, 0, v[231:232]
	v_cmp_gt_f64_e64 s0, 0, v[229:230]
	v_mov_b32_e32 v237, v231
	v_add_f64 v[233:234], v[233:234], v[235:236]
	v_xor_b32_e32 v236, 0x80000000, v230
	v_mov_b32_e32 v235, v229
	v_cndmask_b32_e32 v238, v232, v238, vcc_lo
	v_cndmask_b32_e64 v236, v230, v236, s0
	v_add_f64 v[235:236], v[235:236], v[237:238]
	v_cmp_lt_f64_e32 vcc_lo, v[233:234], v[235:236]
	v_cndmask_b32_e32 v215, v215, v230, vcc_lo
	v_cndmask_b32_e32 v214, v214, v229, vcc_lo
	;; [unrolled: 1-line block ×4, first 2 shown]
	v_cndmask_b32_e64 v222, v222, s1, vcc_lo
	s_add_i32 s1, s1, 1
	s_cmp_lg_u32 s8, s1
	s_cbranch_scc1 .LBB104_1030
.LBB104_1031:
	s_inst_prefetch 0x2
	s_waitcnt lgkmcnt(0)
	v_cmp_eq_f64_e32 vcc_lo, 0, v[214:215]
	v_cmp_eq_f64_e64 s0, 0, v[216:217]
	s_and_b32 s0, vcc_lo, s0
	s_and_saveexec_b32 s1, s0
	s_xor_b32 s0, exec_lo, s1
; %bb.1032:
	v_cmp_ne_u32_e32 vcc_lo, 0, v227
	v_cndmask_b32_e32 v227, 50, v227, vcc_lo
; %bb.1033:
	s_andn2_saveexec_b32 s0, s0
	s_cbranch_execz .LBB104_1039
; %bb.1034:
	v_cmp_ngt_f64_e64 s1, |v[214:215]|, |v[216:217]|
	s_and_saveexec_b32 s7, s1
	s_xor_b32 s1, exec_lo, s7
	s_cbranch_execz .LBB104_1036
; %bb.1035:
	v_div_scale_f64 v[229:230], null, v[216:217], v[216:217], v[214:215]
	v_div_scale_f64 v[235:236], vcc_lo, v[214:215], v[216:217], v[214:215]
	v_rcp_f64_e32 v[231:232], v[229:230]
	v_fma_f64 v[233:234], -v[229:230], v[231:232], 1.0
	v_fma_f64 v[231:232], v[231:232], v[233:234], v[231:232]
	v_fma_f64 v[233:234], -v[229:230], v[231:232], 1.0
	v_fma_f64 v[231:232], v[231:232], v[233:234], v[231:232]
	v_mul_f64 v[233:234], v[235:236], v[231:232]
	v_fma_f64 v[229:230], -v[229:230], v[233:234], v[235:236]
	v_div_fmas_f64 v[229:230], v[229:230], v[231:232], v[233:234]
	v_div_fixup_f64 v[229:230], v[229:230], v[216:217], v[214:215]
	v_fma_f64 v[214:215], v[214:215], v[229:230], v[216:217]
	v_div_scale_f64 v[216:217], null, v[214:215], v[214:215], 1.0
	v_rcp_f64_e32 v[231:232], v[216:217]
	v_fma_f64 v[233:234], -v[216:217], v[231:232], 1.0
	v_fma_f64 v[231:232], v[231:232], v[233:234], v[231:232]
	v_fma_f64 v[233:234], -v[216:217], v[231:232], 1.0
	v_fma_f64 v[231:232], v[231:232], v[233:234], v[231:232]
	v_div_scale_f64 v[233:234], vcc_lo, 1.0, v[214:215], 1.0
	v_mul_f64 v[235:236], v[233:234], v[231:232]
	v_fma_f64 v[216:217], -v[216:217], v[235:236], v[233:234]
	v_div_fmas_f64 v[216:217], v[216:217], v[231:232], v[235:236]
	v_div_fixup_f64 v[216:217], v[216:217], v[214:215], 1.0
	v_mul_f64 v[214:215], v[229:230], v[216:217]
	v_xor_b32_e32 v217, 0x80000000, v217
.LBB104_1036:
	s_andn2_saveexec_b32 s1, s1
	s_cbranch_execz .LBB104_1038
; %bb.1037:
	v_div_scale_f64 v[229:230], null, v[214:215], v[214:215], v[216:217]
	v_div_scale_f64 v[235:236], vcc_lo, v[216:217], v[214:215], v[216:217]
	v_rcp_f64_e32 v[231:232], v[229:230]
	v_fma_f64 v[233:234], -v[229:230], v[231:232], 1.0
	v_fma_f64 v[231:232], v[231:232], v[233:234], v[231:232]
	v_fma_f64 v[233:234], -v[229:230], v[231:232], 1.0
	v_fma_f64 v[231:232], v[231:232], v[233:234], v[231:232]
	v_mul_f64 v[233:234], v[235:236], v[231:232]
	v_fma_f64 v[229:230], -v[229:230], v[233:234], v[235:236]
	v_div_fmas_f64 v[229:230], v[229:230], v[231:232], v[233:234]
	v_div_fixup_f64 v[229:230], v[229:230], v[214:215], v[216:217]
	v_fma_f64 v[214:215], v[216:217], v[229:230], v[214:215]
	v_div_scale_f64 v[216:217], null, v[214:215], v[214:215], 1.0
	v_rcp_f64_e32 v[231:232], v[216:217]
	v_fma_f64 v[233:234], -v[216:217], v[231:232], 1.0
	v_fma_f64 v[231:232], v[231:232], v[233:234], v[231:232]
	v_fma_f64 v[233:234], -v[216:217], v[231:232], 1.0
	v_fma_f64 v[231:232], v[231:232], v[233:234], v[231:232]
	v_div_scale_f64 v[233:234], vcc_lo, 1.0, v[214:215], 1.0
	v_mul_f64 v[235:236], v[233:234], v[231:232]
	v_fma_f64 v[216:217], -v[216:217], v[235:236], v[233:234]
	v_div_fmas_f64 v[216:217], v[216:217], v[231:232], v[235:236]
	v_div_fixup_f64 v[214:215], v[216:217], v[214:215], 1.0
	v_mul_f64 v[216:217], v[229:230], -v[214:215]
.LBB104_1038:
	s_or_b32 exec_lo, exec_lo, s1
.LBB104_1039:
	s_or_b32 exec_lo, exec_lo, s0
	s_mov_b32 s0, exec_lo
	v_cmpx_ne_u32_e64 v228, v222
	s_xor_b32 s0, exec_lo, s0
	s_cbranch_execz .LBB104_1045
; %bb.1040:
	s_mov_b32 s1, exec_lo
	v_cmpx_eq_u32_e32 49, v228
	s_cbranch_execz .LBB104_1044
; %bb.1041:
	v_cmp_ne_u32_e32 vcc_lo, 49, v222
	s_xor_b32 s7, s16, -1
	s_and_b32 s9, s7, vcc_lo
	s_and_saveexec_b32 s7, s9
	s_cbranch_execz .LBB104_1043
; %bb.1042:
	v_ashrrev_i32_e32 v223, 31, v222
	v_lshlrev_b64 v[228:229], 2, v[222:223]
	v_add_co_u32 v228, vcc_lo, v220, v228
	v_add_co_ci_u32_e64 v229, null, v221, v229, vcc_lo
	s_clause 0x1
	global_load_dword v0, v[228:229], off
	global_load_dword v223, v[220:221], off offset:196
	s_waitcnt vmcnt(1)
	global_store_dword v[220:221], v0, off offset:196
	s_waitcnt vmcnt(0)
	global_store_dword v[228:229], v223, off
.LBB104_1043:
	s_or_b32 exec_lo, exec_lo, s7
	v_mov_b32_e32 v228, v222
	v_mov_b32_e32 v0, v222
.LBB104_1044:
	s_or_b32 exec_lo, exec_lo, s1
.LBB104_1045:
	s_andn2_saveexec_b32 s0, s0
	s_cbranch_execz .LBB104_1047
; %bb.1046:
	v_mov_b32_e32 v228, 49
	ds_write2_b64 v1, v[10:11], v[12:13] offset0:100 offset1:101
	ds_write2_b64 v1, v[6:7], v[8:9] offset0:102 offset1:103
	;; [unrolled: 1-line block ×3, first 2 shown]
.LBB104_1047:
	s_or_b32 exec_lo, exec_lo, s0
	s_mov_b32 s0, exec_lo
	s_waitcnt lgkmcnt(0)
	s_waitcnt_vscnt null, 0x0
	s_barrier
	buffer_gl0_inv
	v_cmpx_lt_i32_e32 49, v228
	s_cbranch_execz .LBB104_1049
; %bb.1048:
	v_mul_f64 v[222:223], v[214:215], v[16:17]
	v_mul_f64 v[16:17], v[216:217], v[16:17]
	ds_read2_b64 v[229:232], v1 offset0:100 offset1:101
	ds_read2_b64 v[233:236], v1 offset0:102 offset1:103
	;; [unrolled: 1-line block ×3, first 2 shown]
	v_fma_f64 v[216:217], v[216:217], v[14:15], v[222:223]
	v_fma_f64 v[14:15], v[214:215], v[14:15], -v[16:17]
	s_waitcnt lgkmcnt(2)
	v_mul_f64 v[16:17], v[231:232], v[216:217]
	v_mul_f64 v[214:215], v[229:230], v[216:217]
	s_waitcnt lgkmcnt(1)
	v_mul_f64 v[222:223], v[235:236], v[216:217]
	v_mul_f64 v[241:242], v[233:234], v[216:217]
	;; [unrolled: 3-line block ×3, first 2 shown]
	v_fma_f64 v[16:17], v[229:230], v[14:15], -v[16:17]
	v_fma_f64 v[214:215], v[231:232], v[14:15], v[214:215]
	v_fma_f64 v[222:223], v[233:234], v[14:15], -v[222:223]
	v_fma_f64 v[229:230], v[235:236], v[14:15], v[241:242]
	;; [unrolled: 2-line block ×3, first 2 shown]
	v_add_f64 v[10:11], v[10:11], -v[16:17]
	v_add_f64 v[12:13], v[12:13], -v[214:215]
	;; [unrolled: 1-line block ×6, first 2 shown]
	v_mov_b32_e32 v16, v216
	v_mov_b32_e32 v17, v217
.LBB104_1049:
	s_or_b32 exec_lo, exec_lo, s0
	v_lshl_add_u32 v214, v228, 4, v1
	s_barrier
	buffer_gl0_inv
	v_mov_b32_e32 v222, 50
	ds_write2_b64 v214, v[10:11], v[12:13] offset1:1
	s_waitcnt lgkmcnt(0)
	s_barrier
	buffer_gl0_inv
	ds_read2_b64 v[214:217], v1 offset0:100 offset1:101
	s_cmp_lt_i32 s8, 52
	s_cbranch_scc1 .LBB104_1052
; %bb.1050:
	v_add3_u32 v223, v224, 0, 0x330
	v_mov_b32_e32 v222, 50
	s_mov_b32 s1, 51
	s_inst_prefetch 0x1
	.p2align	6
.LBB104_1051:                           ; =>This Inner Loop Header: Depth=1
	s_waitcnt lgkmcnt(0)
	v_cmp_gt_f64_e32 vcc_lo, 0, v[216:217]
	v_cmp_gt_f64_e64 s0, 0, v[214:215]
	ds_read2_b64 v[229:232], v223 offset1:1
	v_xor_b32_e32 v234, 0x80000000, v215
	v_xor_b32_e32 v236, 0x80000000, v217
	v_mov_b32_e32 v233, v214
	v_mov_b32_e32 v235, v216
	v_add_nc_u32_e32 v223, 16, v223
	s_waitcnt lgkmcnt(0)
	v_xor_b32_e32 v238, 0x80000000, v232
	v_cndmask_b32_e64 v234, v215, v234, s0
	v_cndmask_b32_e32 v236, v217, v236, vcc_lo
	v_cmp_gt_f64_e32 vcc_lo, 0, v[231:232]
	v_cmp_gt_f64_e64 s0, 0, v[229:230]
	v_mov_b32_e32 v237, v231
	v_add_f64 v[233:234], v[233:234], v[235:236]
	v_xor_b32_e32 v236, 0x80000000, v230
	v_mov_b32_e32 v235, v229
	v_cndmask_b32_e32 v238, v232, v238, vcc_lo
	v_cndmask_b32_e64 v236, v230, v236, s0
	v_add_f64 v[235:236], v[235:236], v[237:238]
	v_cmp_lt_f64_e32 vcc_lo, v[233:234], v[235:236]
	v_cndmask_b32_e32 v215, v215, v230, vcc_lo
	v_cndmask_b32_e32 v214, v214, v229, vcc_lo
	;; [unrolled: 1-line block ×4, first 2 shown]
	v_cndmask_b32_e64 v222, v222, s1, vcc_lo
	s_add_i32 s1, s1, 1
	s_cmp_lg_u32 s8, s1
	s_cbranch_scc1 .LBB104_1051
.LBB104_1052:
	s_inst_prefetch 0x2
	s_waitcnt lgkmcnt(0)
	v_cmp_eq_f64_e32 vcc_lo, 0, v[214:215]
	v_cmp_eq_f64_e64 s0, 0, v[216:217]
	s_and_b32 s0, vcc_lo, s0
	s_and_saveexec_b32 s1, s0
	s_xor_b32 s0, exec_lo, s1
; %bb.1053:
	v_cmp_ne_u32_e32 vcc_lo, 0, v227
	v_cndmask_b32_e32 v227, 51, v227, vcc_lo
; %bb.1054:
	s_andn2_saveexec_b32 s0, s0
	s_cbranch_execz .LBB104_1060
; %bb.1055:
	v_cmp_ngt_f64_e64 s1, |v[214:215]|, |v[216:217]|
	s_and_saveexec_b32 s7, s1
	s_xor_b32 s1, exec_lo, s7
	s_cbranch_execz .LBB104_1057
; %bb.1056:
	v_div_scale_f64 v[229:230], null, v[216:217], v[216:217], v[214:215]
	v_div_scale_f64 v[235:236], vcc_lo, v[214:215], v[216:217], v[214:215]
	v_rcp_f64_e32 v[231:232], v[229:230]
	v_fma_f64 v[233:234], -v[229:230], v[231:232], 1.0
	v_fma_f64 v[231:232], v[231:232], v[233:234], v[231:232]
	v_fma_f64 v[233:234], -v[229:230], v[231:232], 1.0
	v_fma_f64 v[231:232], v[231:232], v[233:234], v[231:232]
	v_mul_f64 v[233:234], v[235:236], v[231:232]
	v_fma_f64 v[229:230], -v[229:230], v[233:234], v[235:236]
	v_div_fmas_f64 v[229:230], v[229:230], v[231:232], v[233:234]
	v_div_fixup_f64 v[229:230], v[229:230], v[216:217], v[214:215]
	v_fma_f64 v[214:215], v[214:215], v[229:230], v[216:217]
	v_div_scale_f64 v[216:217], null, v[214:215], v[214:215], 1.0
	v_rcp_f64_e32 v[231:232], v[216:217]
	v_fma_f64 v[233:234], -v[216:217], v[231:232], 1.0
	v_fma_f64 v[231:232], v[231:232], v[233:234], v[231:232]
	v_fma_f64 v[233:234], -v[216:217], v[231:232], 1.0
	v_fma_f64 v[231:232], v[231:232], v[233:234], v[231:232]
	v_div_scale_f64 v[233:234], vcc_lo, 1.0, v[214:215], 1.0
	v_mul_f64 v[235:236], v[233:234], v[231:232]
	v_fma_f64 v[216:217], -v[216:217], v[235:236], v[233:234]
	v_div_fmas_f64 v[216:217], v[216:217], v[231:232], v[235:236]
	v_div_fixup_f64 v[216:217], v[216:217], v[214:215], 1.0
	v_mul_f64 v[214:215], v[229:230], v[216:217]
	v_xor_b32_e32 v217, 0x80000000, v217
.LBB104_1057:
	s_andn2_saveexec_b32 s1, s1
	s_cbranch_execz .LBB104_1059
; %bb.1058:
	v_div_scale_f64 v[229:230], null, v[214:215], v[214:215], v[216:217]
	v_div_scale_f64 v[235:236], vcc_lo, v[216:217], v[214:215], v[216:217]
	v_rcp_f64_e32 v[231:232], v[229:230]
	v_fma_f64 v[233:234], -v[229:230], v[231:232], 1.0
	v_fma_f64 v[231:232], v[231:232], v[233:234], v[231:232]
	v_fma_f64 v[233:234], -v[229:230], v[231:232], 1.0
	v_fma_f64 v[231:232], v[231:232], v[233:234], v[231:232]
	v_mul_f64 v[233:234], v[235:236], v[231:232]
	v_fma_f64 v[229:230], -v[229:230], v[233:234], v[235:236]
	v_div_fmas_f64 v[229:230], v[229:230], v[231:232], v[233:234]
	v_div_fixup_f64 v[229:230], v[229:230], v[214:215], v[216:217]
	v_fma_f64 v[214:215], v[216:217], v[229:230], v[214:215]
	v_div_scale_f64 v[216:217], null, v[214:215], v[214:215], 1.0
	v_rcp_f64_e32 v[231:232], v[216:217]
	v_fma_f64 v[233:234], -v[216:217], v[231:232], 1.0
	v_fma_f64 v[231:232], v[231:232], v[233:234], v[231:232]
	v_fma_f64 v[233:234], -v[216:217], v[231:232], 1.0
	v_fma_f64 v[231:232], v[231:232], v[233:234], v[231:232]
	v_div_scale_f64 v[233:234], vcc_lo, 1.0, v[214:215], 1.0
	v_mul_f64 v[235:236], v[233:234], v[231:232]
	v_fma_f64 v[216:217], -v[216:217], v[235:236], v[233:234]
	v_div_fmas_f64 v[216:217], v[216:217], v[231:232], v[235:236]
	v_div_fixup_f64 v[214:215], v[216:217], v[214:215], 1.0
	v_mul_f64 v[216:217], v[229:230], -v[214:215]
.LBB104_1059:
	s_or_b32 exec_lo, exec_lo, s1
.LBB104_1060:
	s_or_b32 exec_lo, exec_lo, s0
	s_mov_b32 s0, exec_lo
	v_cmpx_ne_u32_e64 v228, v222
	s_xor_b32 s0, exec_lo, s0
	s_cbranch_execz .LBB104_1066
; %bb.1061:
	s_mov_b32 s1, exec_lo
	v_cmpx_eq_u32_e32 50, v228
	s_cbranch_execz .LBB104_1065
; %bb.1062:
	v_cmp_ne_u32_e32 vcc_lo, 50, v222
	s_xor_b32 s7, s16, -1
	s_and_b32 s9, s7, vcc_lo
	s_and_saveexec_b32 s7, s9
	s_cbranch_execz .LBB104_1064
; %bb.1063:
	v_ashrrev_i32_e32 v223, 31, v222
	v_lshlrev_b64 v[228:229], 2, v[222:223]
	v_add_co_u32 v228, vcc_lo, v220, v228
	v_add_co_ci_u32_e64 v229, null, v221, v229, vcc_lo
	s_clause 0x1
	global_load_dword v0, v[228:229], off
	global_load_dword v223, v[220:221], off offset:200
	s_waitcnt vmcnt(1)
	global_store_dword v[220:221], v0, off offset:200
	s_waitcnt vmcnt(0)
	global_store_dword v[228:229], v223, off
.LBB104_1064:
	s_or_b32 exec_lo, exec_lo, s7
	v_mov_b32_e32 v228, v222
	v_mov_b32_e32 v0, v222
.LBB104_1065:
	s_or_b32 exec_lo, exec_lo, s1
.LBB104_1066:
	s_andn2_saveexec_b32 s0, s0
	s_cbranch_execz .LBB104_1068
; %bb.1067:
	v_mov_b32_e32 v228, 50
	ds_write2_b64 v1, v[6:7], v[8:9] offset0:102 offset1:103
	ds_write2_b64 v1, v[2:3], v[4:5] offset0:104 offset1:105
.LBB104_1068:
	s_or_b32 exec_lo, exec_lo, s0
	s_mov_b32 s0, exec_lo
	s_waitcnt lgkmcnt(0)
	s_waitcnt_vscnt null, 0x0
	s_barrier
	buffer_gl0_inv
	v_cmpx_lt_i32_e32 50, v228
	s_cbranch_execz .LBB104_1070
; %bb.1069:
	v_mul_f64 v[222:223], v[214:215], v[12:13]
	v_mul_f64 v[12:13], v[216:217], v[12:13]
	ds_read2_b64 v[229:232], v1 offset0:102 offset1:103
	ds_read2_b64 v[233:236], v1 offset0:104 offset1:105
	v_fma_f64 v[216:217], v[216:217], v[10:11], v[222:223]
	v_fma_f64 v[10:11], v[214:215], v[10:11], -v[12:13]
	s_waitcnt lgkmcnt(1)
	v_mul_f64 v[12:13], v[231:232], v[216:217]
	v_mul_f64 v[214:215], v[229:230], v[216:217]
	s_waitcnt lgkmcnt(0)
	v_mul_f64 v[222:223], v[235:236], v[216:217]
	v_mul_f64 v[237:238], v[233:234], v[216:217]
	v_fma_f64 v[12:13], v[229:230], v[10:11], -v[12:13]
	v_fma_f64 v[214:215], v[231:232], v[10:11], v[214:215]
	v_fma_f64 v[222:223], v[233:234], v[10:11], -v[222:223]
	v_fma_f64 v[229:230], v[235:236], v[10:11], v[237:238]
	v_add_f64 v[6:7], v[6:7], -v[12:13]
	v_add_f64 v[8:9], v[8:9], -v[214:215]
	;; [unrolled: 1-line block ×4, first 2 shown]
	v_mov_b32_e32 v12, v216
	v_mov_b32_e32 v13, v217
.LBB104_1070:
	s_or_b32 exec_lo, exec_lo, s0
	v_lshl_add_u32 v214, v228, 4, v1
	s_barrier
	buffer_gl0_inv
	v_mov_b32_e32 v222, 51
	ds_write2_b64 v214, v[6:7], v[8:9] offset1:1
	s_waitcnt lgkmcnt(0)
	s_barrier
	buffer_gl0_inv
	ds_read2_b64 v[214:217], v1 offset0:102 offset1:103
	s_cmp_lt_i32 s8, 53
	s_cbranch_scc1 .LBB104_1073
; %bb.1071:
	v_add3_u32 v223, v224, 0, 0x340
	v_mov_b32_e32 v222, 51
	s_mov_b32 s1, 52
	s_inst_prefetch 0x1
	.p2align	6
.LBB104_1072:                           ; =>This Inner Loop Header: Depth=1
	s_waitcnt lgkmcnt(0)
	v_cmp_gt_f64_e32 vcc_lo, 0, v[216:217]
	v_cmp_gt_f64_e64 s0, 0, v[214:215]
	ds_read2_b64 v[229:232], v223 offset1:1
	v_xor_b32_e32 v234, 0x80000000, v215
	v_xor_b32_e32 v236, 0x80000000, v217
	v_mov_b32_e32 v233, v214
	v_mov_b32_e32 v235, v216
	v_add_nc_u32_e32 v223, 16, v223
	s_waitcnt lgkmcnt(0)
	v_xor_b32_e32 v238, 0x80000000, v232
	v_cndmask_b32_e64 v234, v215, v234, s0
	v_cndmask_b32_e32 v236, v217, v236, vcc_lo
	v_cmp_gt_f64_e32 vcc_lo, 0, v[231:232]
	v_cmp_gt_f64_e64 s0, 0, v[229:230]
	v_mov_b32_e32 v237, v231
	v_add_f64 v[233:234], v[233:234], v[235:236]
	v_xor_b32_e32 v236, 0x80000000, v230
	v_mov_b32_e32 v235, v229
	v_cndmask_b32_e32 v238, v232, v238, vcc_lo
	v_cndmask_b32_e64 v236, v230, v236, s0
	v_add_f64 v[235:236], v[235:236], v[237:238]
	v_cmp_lt_f64_e32 vcc_lo, v[233:234], v[235:236]
	v_cndmask_b32_e32 v215, v215, v230, vcc_lo
	v_cndmask_b32_e32 v214, v214, v229, vcc_lo
	;; [unrolled: 1-line block ×4, first 2 shown]
	v_cndmask_b32_e64 v222, v222, s1, vcc_lo
	s_add_i32 s1, s1, 1
	s_cmp_lg_u32 s8, s1
	s_cbranch_scc1 .LBB104_1072
.LBB104_1073:
	s_inst_prefetch 0x2
	s_waitcnt lgkmcnt(0)
	v_cmp_eq_f64_e32 vcc_lo, 0, v[214:215]
	v_cmp_eq_f64_e64 s0, 0, v[216:217]
	s_and_b32 s0, vcc_lo, s0
	s_and_saveexec_b32 s1, s0
	s_xor_b32 s0, exec_lo, s1
; %bb.1074:
	v_cmp_ne_u32_e32 vcc_lo, 0, v227
	v_cndmask_b32_e32 v227, 52, v227, vcc_lo
; %bb.1075:
	s_andn2_saveexec_b32 s0, s0
	s_cbranch_execz .LBB104_1081
; %bb.1076:
	v_cmp_ngt_f64_e64 s1, |v[214:215]|, |v[216:217]|
	s_and_saveexec_b32 s7, s1
	s_xor_b32 s1, exec_lo, s7
	s_cbranch_execz .LBB104_1078
; %bb.1077:
	v_div_scale_f64 v[229:230], null, v[216:217], v[216:217], v[214:215]
	v_div_scale_f64 v[235:236], vcc_lo, v[214:215], v[216:217], v[214:215]
	v_rcp_f64_e32 v[231:232], v[229:230]
	v_fma_f64 v[233:234], -v[229:230], v[231:232], 1.0
	v_fma_f64 v[231:232], v[231:232], v[233:234], v[231:232]
	v_fma_f64 v[233:234], -v[229:230], v[231:232], 1.0
	v_fma_f64 v[231:232], v[231:232], v[233:234], v[231:232]
	v_mul_f64 v[233:234], v[235:236], v[231:232]
	v_fma_f64 v[229:230], -v[229:230], v[233:234], v[235:236]
	v_div_fmas_f64 v[229:230], v[229:230], v[231:232], v[233:234]
	v_div_fixup_f64 v[229:230], v[229:230], v[216:217], v[214:215]
	v_fma_f64 v[214:215], v[214:215], v[229:230], v[216:217]
	v_div_scale_f64 v[216:217], null, v[214:215], v[214:215], 1.0
	v_rcp_f64_e32 v[231:232], v[216:217]
	v_fma_f64 v[233:234], -v[216:217], v[231:232], 1.0
	v_fma_f64 v[231:232], v[231:232], v[233:234], v[231:232]
	v_fma_f64 v[233:234], -v[216:217], v[231:232], 1.0
	v_fma_f64 v[231:232], v[231:232], v[233:234], v[231:232]
	v_div_scale_f64 v[233:234], vcc_lo, 1.0, v[214:215], 1.0
	v_mul_f64 v[235:236], v[233:234], v[231:232]
	v_fma_f64 v[216:217], -v[216:217], v[235:236], v[233:234]
	v_div_fmas_f64 v[216:217], v[216:217], v[231:232], v[235:236]
	v_div_fixup_f64 v[216:217], v[216:217], v[214:215], 1.0
	v_mul_f64 v[214:215], v[229:230], v[216:217]
	v_xor_b32_e32 v217, 0x80000000, v217
.LBB104_1078:
	s_andn2_saveexec_b32 s1, s1
	s_cbranch_execz .LBB104_1080
; %bb.1079:
	v_div_scale_f64 v[229:230], null, v[214:215], v[214:215], v[216:217]
	v_div_scale_f64 v[235:236], vcc_lo, v[216:217], v[214:215], v[216:217]
	v_rcp_f64_e32 v[231:232], v[229:230]
	v_fma_f64 v[233:234], -v[229:230], v[231:232], 1.0
	v_fma_f64 v[231:232], v[231:232], v[233:234], v[231:232]
	v_fma_f64 v[233:234], -v[229:230], v[231:232], 1.0
	v_fma_f64 v[231:232], v[231:232], v[233:234], v[231:232]
	v_mul_f64 v[233:234], v[235:236], v[231:232]
	v_fma_f64 v[229:230], -v[229:230], v[233:234], v[235:236]
	v_div_fmas_f64 v[229:230], v[229:230], v[231:232], v[233:234]
	v_div_fixup_f64 v[229:230], v[229:230], v[214:215], v[216:217]
	v_fma_f64 v[214:215], v[216:217], v[229:230], v[214:215]
	v_div_scale_f64 v[216:217], null, v[214:215], v[214:215], 1.0
	v_rcp_f64_e32 v[231:232], v[216:217]
	v_fma_f64 v[233:234], -v[216:217], v[231:232], 1.0
	v_fma_f64 v[231:232], v[231:232], v[233:234], v[231:232]
	v_fma_f64 v[233:234], -v[216:217], v[231:232], 1.0
	v_fma_f64 v[231:232], v[231:232], v[233:234], v[231:232]
	v_div_scale_f64 v[233:234], vcc_lo, 1.0, v[214:215], 1.0
	v_mul_f64 v[235:236], v[233:234], v[231:232]
	v_fma_f64 v[216:217], -v[216:217], v[235:236], v[233:234]
	v_div_fmas_f64 v[216:217], v[216:217], v[231:232], v[235:236]
	v_div_fixup_f64 v[214:215], v[216:217], v[214:215], 1.0
	v_mul_f64 v[216:217], v[229:230], -v[214:215]
.LBB104_1080:
	s_or_b32 exec_lo, exec_lo, s1
.LBB104_1081:
	s_or_b32 exec_lo, exec_lo, s0
	s_mov_b32 s0, exec_lo
	v_cmpx_ne_u32_e64 v228, v222
	s_xor_b32 s0, exec_lo, s0
	s_cbranch_execz .LBB104_1087
; %bb.1082:
	s_mov_b32 s1, exec_lo
	v_cmpx_eq_u32_e32 51, v228
	s_cbranch_execz .LBB104_1086
; %bb.1083:
	v_cmp_ne_u32_e32 vcc_lo, 51, v222
	s_xor_b32 s7, s16, -1
	s_and_b32 s9, s7, vcc_lo
	s_and_saveexec_b32 s7, s9
	s_cbranch_execz .LBB104_1085
; %bb.1084:
	v_ashrrev_i32_e32 v223, 31, v222
	v_lshlrev_b64 v[228:229], 2, v[222:223]
	v_add_co_u32 v228, vcc_lo, v220, v228
	v_add_co_ci_u32_e64 v229, null, v221, v229, vcc_lo
	s_clause 0x1
	global_load_dword v0, v[228:229], off
	global_load_dword v223, v[220:221], off offset:204
	s_waitcnt vmcnt(1)
	global_store_dword v[220:221], v0, off offset:204
	s_waitcnt vmcnt(0)
	global_store_dword v[228:229], v223, off
.LBB104_1085:
	s_or_b32 exec_lo, exec_lo, s7
	v_mov_b32_e32 v228, v222
	v_mov_b32_e32 v0, v222
.LBB104_1086:
	s_or_b32 exec_lo, exec_lo, s1
.LBB104_1087:
	s_andn2_saveexec_b32 s0, s0
; %bb.1088:
	v_mov_b32_e32 v228, 51
	ds_write2_b64 v1, v[2:3], v[4:5] offset0:104 offset1:105
; %bb.1089:
	s_or_b32 exec_lo, exec_lo, s0
	s_mov_b32 s0, exec_lo
	s_waitcnt lgkmcnt(0)
	s_waitcnt_vscnt null, 0x0
	s_barrier
	buffer_gl0_inv
	v_cmpx_lt_i32_e32 51, v228
	s_cbranch_execz .LBB104_1091
; %bb.1090:
	v_mul_f64 v[222:223], v[214:215], v[8:9]
	v_mul_f64 v[8:9], v[216:217], v[8:9]
	ds_read2_b64 v[229:232], v1 offset0:104 offset1:105
	v_fma_f64 v[216:217], v[216:217], v[6:7], v[222:223]
	v_fma_f64 v[6:7], v[214:215], v[6:7], -v[8:9]
	s_waitcnt lgkmcnt(0)
	v_mul_f64 v[8:9], v[231:232], v[216:217]
	v_mul_f64 v[214:215], v[229:230], v[216:217]
	v_fma_f64 v[8:9], v[229:230], v[6:7], -v[8:9]
	v_fma_f64 v[214:215], v[231:232], v[6:7], v[214:215]
	v_add_f64 v[2:3], v[2:3], -v[8:9]
	v_add_f64 v[4:5], v[4:5], -v[214:215]
	v_mov_b32_e32 v8, v216
	v_mov_b32_e32 v9, v217
.LBB104_1091:
	s_or_b32 exec_lo, exec_lo, s0
	v_lshl_add_u32 v214, v228, 4, v1
	s_barrier
	buffer_gl0_inv
	v_mov_b32_e32 v222, 52
	ds_write2_b64 v214, v[2:3], v[4:5] offset1:1
	s_waitcnt lgkmcnt(0)
	s_barrier
	buffer_gl0_inv
	ds_read2_b64 v[214:217], v1 offset0:104 offset1:105
	s_cmp_lt_i32 s8, 54
	s_cbranch_scc1 .LBB104_1094
; %bb.1092:
	v_add3_u32 v1, v224, 0, 0x350
	v_mov_b32_e32 v222, 52
	s_mov_b32 s1, 53
	s_inst_prefetch 0x1
	.p2align	6
.LBB104_1093:                           ; =>This Inner Loop Header: Depth=1
	s_waitcnt lgkmcnt(0)
	v_cmp_gt_f64_e32 vcc_lo, 0, v[216:217]
	v_cmp_gt_f64_e64 s0, 0, v[214:215]
	ds_read2_b64 v[229:232], v1 offset1:1
	v_xor_b32_e32 v224, 0x80000000, v215
	v_xor_b32_e32 v234, 0x80000000, v217
	v_mov_b32_e32 v223, v214
	v_mov_b32_e32 v233, v216
	v_add_nc_u32_e32 v1, 16, v1
	s_waitcnt lgkmcnt(0)
	v_xor_b32_e32 v236, 0x80000000, v232
	v_cndmask_b32_e64 v224, v215, v224, s0
	v_cndmask_b32_e32 v234, v217, v234, vcc_lo
	v_cmp_gt_f64_e32 vcc_lo, 0, v[231:232]
	v_cmp_gt_f64_e64 s0, 0, v[229:230]
	v_mov_b32_e32 v235, v231
	v_add_f64 v[223:224], v[223:224], v[233:234]
	v_xor_b32_e32 v234, 0x80000000, v230
	v_mov_b32_e32 v233, v229
	v_cndmask_b32_e32 v236, v232, v236, vcc_lo
	v_cndmask_b32_e64 v234, v230, v234, s0
	v_add_f64 v[233:234], v[233:234], v[235:236]
	v_cmp_lt_f64_e32 vcc_lo, v[223:224], v[233:234]
	v_cndmask_b32_e32 v215, v215, v230, vcc_lo
	v_cndmask_b32_e32 v214, v214, v229, vcc_lo
	;; [unrolled: 1-line block ×4, first 2 shown]
	v_cndmask_b32_e64 v222, v222, s1, vcc_lo
	s_add_i32 s1, s1, 1
	s_cmp_lg_u32 s8, s1
	s_cbranch_scc1 .LBB104_1093
.LBB104_1094:
	s_inst_prefetch 0x2
	s_waitcnt lgkmcnt(0)
	v_cmp_eq_f64_e32 vcc_lo, 0, v[214:215]
	v_cmp_eq_f64_e64 s0, 0, v[216:217]
	s_and_b32 s0, vcc_lo, s0
	s_and_saveexec_b32 s1, s0
	s_xor_b32 s0, exec_lo, s1
; %bb.1095:
	v_cmp_ne_u32_e32 vcc_lo, 0, v227
	v_cndmask_b32_e32 v227, 53, v227, vcc_lo
; %bb.1096:
	s_andn2_saveexec_b32 s0, s0
	s_cbranch_execz .LBB104_1102
; %bb.1097:
	v_cmp_ngt_f64_e64 s1, |v[214:215]|, |v[216:217]|
	s_and_saveexec_b32 s7, s1
	s_xor_b32 s1, exec_lo, s7
	s_cbranch_execz .LBB104_1099
; %bb.1098:
	v_div_scale_f64 v[223:224], null, v[216:217], v[216:217], v[214:215]
	v_div_scale_f64 v[233:234], vcc_lo, v[214:215], v[216:217], v[214:215]
	v_rcp_f64_e32 v[229:230], v[223:224]
	v_fma_f64 v[231:232], -v[223:224], v[229:230], 1.0
	v_fma_f64 v[229:230], v[229:230], v[231:232], v[229:230]
	v_fma_f64 v[231:232], -v[223:224], v[229:230], 1.0
	v_fma_f64 v[229:230], v[229:230], v[231:232], v[229:230]
	v_mul_f64 v[231:232], v[233:234], v[229:230]
	v_fma_f64 v[223:224], -v[223:224], v[231:232], v[233:234]
	v_div_fmas_f64 v[223:224], v[223:224], v[229:230], v[231:232]
	v_div_fixup_f64 v[223:224], v[223:224], v[216:217], v[214:215]
	v_fma_f64 v[214:215], v[214:215], v[223:224], v[216:217]
	v_div_scale_f64 v[216:217], null, v[214:215], v[214:215], 1.0
	v_rcp_f64_e32 v[229:230], v[216:217]
	v_fma_f64 v[231:232], -v[216:217], v[229:230], 1.0
	v_fma_f64 v[229:230], v[229:230], v[231:232], v[229:230]
	v_fma_f64 v[231:232], -v[216:217], v[229:230], 1.0
	v_fma_f64 v[229:230], v[229:230], v[231:232], v[229:230]
	v_div_scale_f64 v[231:232], vcc_lo, 1.0, v[214:215], 1.0
	v_mul_f64 v[233:234], v[231:232], v[229:230]
	v_fma_f64 v[216:217], -v[216:217], v[233:234], v[231:232]
	v_div_fmas_f64 v[216:217], v[216:217], v[229:230], v[233:234]
	v_div_fixup_f64 v[216:217], v[216:217], v[214:215], 1.0
	v_mul_f64 v[214:215], v[223:224], v[216:217]
	v_xor_b32_e32 v217, 0x80000000, v217
.LBB104_1099:
	s_andn2_saveexec_b32 s1, s1
	s_cbranch_execz .LBB104_1101
; %bb.1100:
	v_div_scale_f64 v[223:224], null, v[214:215], v[214:215], v[216:217]
	v_div_scale_f64 v[233:234], vcc_lo, v[216:217], v[214:215], v[216:217]
	v_rcp_f64_e32 v[229:230], v[223:224]
	v_fma_f64 v[231:232], -v[223:224], v[229:230], 1.0
	v_fma_f64 v[229:230], v[229:230], v[231:232], v[229:230]
	v_fma_f64 v[231:232], -v[223:224], v[229:230], 1.0
	v_fma_f64 v[229:230], v[229:230], v[231:232], v[229:230]
	v_mul_f64 v[231:232], v[233:234], v[229:230]
	v_fma_f64 v[223:224], -v[223:224], v[231:232], v[233:234]
	v_div_fmas_f64 v[223:224], v[223:224], v[229:230], v[231:232]
	v_div_fixup_f64 v[223:224], v[223:224], v[214:215], v[216:217]
	v_fma_f64 v[214:215], v[216:217], v[223:224], v[214:215]
	v_div_scale_f64 v[216:217], null, v[214:215], v[214:215], 1.0
	v_rcp_f64_e32 v[229:230], v[216:217]
	v_fma_f64 v[231:232], -v[216:217], v[229:230], 1.0
	v_fma_f64 v[229:230], v[229:230], v[231:232], v[229:230]
	v_fma_f64 v[231:232], -v[216:217], v[229:230], 1.0
	v_fma_f64 v[229:230], v[229:230], v[231:232], v[229:230]
	v_div_scale_f64 v[231:232], vcc_lo, 1.0, v[214:215], 1.0
	v_mul_f64 v[233:234], v[231:232], v[229:230]
	v_fma_f64 v[216:217], -v[216:217], v[233:234], v[231:232]
	v_div_fmas_f64 v[216:217], v[216:217], v[229:230], v[233:234]
	v_div_fixup_f64 v[214:215], v[216:217], v[214:215], 1.0
	v_mul_f64 v[216:217], v[223:224], -v[214:215]
.LBB104_1101:
	s_or_b32 exec_lo, exec_lo, s1
.LBB104_1102:
	s_or_b32 exec_lo, exec_lo, s0
	v_mov_b32_e32 v223, 52
	s_mov_b32 s0, exec_lo
	v_cmpx_ne_u32_e64 v228, v222
	s_cbranch_execz .LBB104_1108
; %bb.1103:
	s_mov_b32 s1, exec_lo
	v_cmpx_eq_u32_e32 52, v228
	s_cbranch_execz .LBB104_1107
; %bb.1104:
	v_cmp_ne_u32_e32 vcc_lo, 52, v222
	s_xor_b32 s7, s16, -1
	s_and_b32 s8, s7, vcc_lo
	s_and_saveexec_b32 s7, s8
	s_cbranch_execz .LBB104_1106
; %bb.1105:
	v_ashrrev_i32_e32 v223, 31, v222
	v_lshlrev_b64 v[0:1], 2, v[222:223]
	v_add_co_u32 v0, vcc_lo, v220, v0
	v_add_co_ci_u32_e64 v1, null, v221, v1, vcc_lo
	s_clause 0x1
	global_load_dword v223, v[0:1], off
	global_load_dword v224, v[220:221], off offset:208
	s_waitcnt vmcnt(1)
	global_store_dword v[220:221], v223, off offset:208
	s_waitcnt vmcnt(0)
	global_store_dword v[0:1], v224, off
.LBB104_1106:
	s_or_b32 exec_lo, exec_lo, s7
	v_mov_b32_e32 v228, v222
	v_mov_b32_e32 v0, v222
.LBB104_1107:
	s_or_b32 exec_lo, exec_lo, s1
	v_mov_b32_e32 v223, v228
.LBB104_1108:
	s_or_b32 exec_lo, exec_lo, s0
	s_mov_b32 s0, exec_lo
	s_waitcnt_vscnt null, 0x0
	s_barrier
	buffer_gl0_inv
	v_cmpx_lt_i32_e32 52, v223
	s_cbranch_execz .LBB104_1110
; %bb.1109:
	v_mul_f64 v[220:221], v[216:217], v[4:5]
	v_mul_f64 v[4:5], v[214:215], v[4:5]
	v_fma_f64 v[214:215], v[214:215], v[2:3], -v[220:221]
	v_fma_f64 v[4:5], v[216:217], v[2:3], v[4:5]
	v_mov_b32_e32 v2, v214
	v_mov_b32_e32 v3, v215
.LBB104_1110:
	s_or_b32 exec_lo, exec_lo, s0
	v_ashrrev_i32_e32 v224, 31, v223
	s_mov_b32 s0, exec_lo
	s_barrier
	buffer_gl0_inv
	v_cmpx_gt_i32_e32 53, v223
	s_cbranch_execz .LBB104_1112
; %bb.1111:
	v_mul_lo_u32 v1, s15, v218
	v_mul_lo_u32 v216, s14, v219
	v_mad_u64_u32 v[214:215], null, s14, v218, 0
	s_lshl_b64 s[8:9], s[12:13], 2
	v_add3_u32 v0, v0, s17, 1
	v_add3_u32 v215, v215, v216, v1
	v_lshlrev_b64 v[214:215], 2, v[214:215]
	v_add_co_u32 v1, vcc_lo, s10, v214
	v_add_co_ci_u32_e64 v216, null, s11, v215, vcc_lo
	v_lshlrev_b64 v[214:215], 2, v[223:224]
	v_add_co_u32 v1, vcc_lo, v1, s8
	v_add_co_ci_u32_e64 v216, null, s9, v216, vcc_lo
	v_add_co_u32 v214, vcc_lo, v1, v214
	v_add_co_ci_u32_e64 v215, null, v216, v215, vcc_lo
	global_store_dword v[214:215], v0, off
.LBB104_1112:
	s_or_b32 exec_lo, exec_lo, s0
	s_mov_b32 s1, exec_lo
	v_cmpx_eq_u32_e32 0, v223
	s_cbranch_execz .LBB104_1115
; %bb.1113:
	v_lshlrev_b64 v[0:1], 2, v[218:219]
	v_cmp_ne_u32_e64 s0, 0, v227
	v_add_co_u32 v0, vcc_lo, s4, v0
	v_add_co_ci_u32_e64 v1, null, s5, v1, vcc_lo
	global_load_dword v214, v[0:1], off
	s_waitcnt vmcnt(0)
	v_cmp_eq_u32_e32 vcc_lo, 0, v214
	s_and_b32 s0, vcc_lo, s0
	s_and_b32 exec_lo, exec_lo, s0
	s_cbranch_execz .LBB104_1115
; %bb.1114:
	v_add_nc_u32_e32 v214, s17, v227
	global_store_dword v[0:1], v214, off
.LBB104_1115:
	s_or_b32 exec_lo, exec_lo, s1
	v_lshlrev_b64 v[214:215], 4, v[223:224]
	v_add3_u32 v0, s6, s6, v223
	v_add_nc_u32_e32 v216, s6, v0
	v_add_co_u32 v214, vcc_lo, v225, v214
	v_add_co_ci_u32_e64 v215, null, v226, v215, vcc_lo
	v_ashrrev_i32_e32 v1, 31, v0
	v_ashrrev_i32_e32 v217, 31, v216
	global_store_dwordx4 v[214:215], v[210:213], off
	v_add_nc_u32_e32 v212, s6, v216
	v_lshlrev_b64 v[0:1], 4, v[0:1]
	v_add_co_u32 v210, vcc_lo, v214, s2
	v_add_co_ci_u32_e64 v211, null, s3, v215, vcc_lo
	v_add_nc_u32_e32 v214, s6, v212
	v_add_co_u32 v0, vcc_lo, v225, v0
	v_ashrrev_i32_e32 v213, 31, v212
	v_add_co_ci_u32_e64 v1, null, v226, v1, vcc_lo
	v_ashrrev_i32_e32 v215, 31, v214
	v_lshlrev_b64 v[216:217], 4, v[216:217]
	global_store_dwordx4 v[210:211], v[202:205], off
	global_store_dwordx4 v[0:1], v[206:209], off
	v_lshlrev_b64 v[0:1], 4, v[212:213]
	v_add_nc_u32_e32 v206, s6, v214
	v_lshlrev_b64 v[204:205], 4, v[214:215]
	v_add_co_u32 v202, vcc_lo, v225, v216
	v_add_co_ci_u32_e64 v203, null, v226, v217, vcc_lo
	v_add_co_u32 v0, vcc_lo, v225, v0
	v_add_co_ci_u32_e64 v1, null, v226, v1, vcc_lo
	v_add_co_u32 v204, vcc_lo, v225, v204
	v_add_nc_u32_e32 v208, s6, v206
	v_add_co_ci_u32_e64 v205, null, v226, v205, vcc_lo
	v_ashrrev_i32_e32 v207, 31, v206
	global_store_dwordx4 v[202:203], v[198:201], off
	global_store_dwordx4 v[0:1], v[194:197], off
	global_store_dwordx4 v[204:205], v[190:193], off
	v_add_nc_u32_e32 v190, s6, v208
	v_ashrrev_i32_e32 v209, 31, v208
	v_lshlrev_b64 v[198:199], 4, v[206:207]
	v_add_nc_u32_e32 v194, s6, v190
	v_lshlrev_b64 v[0:1], 4, v[208:209]
	v_ashrrev_i32_e32 v191, 31, v190
	v_add_co_u32 v192, vcc_lo, v225, v198
	v_add_nc_u32_e32 v196, s6, v194
	v_add_co_ci_u32_e64 v193, null, v226, v199, vcc_lo
	v_add_co_u32 v0, vcc_lo, v225, v0
	v_ashrrev_i32_e32 v195, 31, v194
	v_add_co_ci_u32_e64 v1, null, v226, v1, vcc_lo
	v_ashrrev_i32_e32 v197, 31, v196
	v_lshlrev_b64 v[190:191], 4, v[190:191]
	global_store_dwordx4 v[192:193], v[186:189], off
	global_store_dwordx4 v[0:1], v[182:185], off
	v_lshlrev_b64 v[0:1], 4, v[194:195]
	v_add_nc_u32_e32 v186, s6, v196
	v_lshlrev_b64 v[184:185], 4, v[196:197]
	v_add_co_u32 v182, vcc_lo, v225, v190
	v_add_co_ci_u32_e64 v183, null, v226, v191, vcc_lo
	v_add_co_u32 v0, vcc_lo, v225, v0
	v_add_co_ci_u32_e64 v1, null, v226, v1, vcc_lo
	v_add_co_u32 v184, vcc_lo, v225, v184
	v_add_nc_u32_e32 v188, s6, v186
	v_add_co_ci_u32_e64 v185, null, v226, v185, vcc_lo
	v_ashrrev_i32_e32 v187, 31, v186
	global_store_dwordx4 v[182:183], v[178:181], off
	global_store_dwordx4 v[0:1], v[174:177], off
	global_store_dwordx4 v[184:185], v[170:173], off
	v_add_nc_u32_e32 v170, s6, v188
	v_ashrrev_i32_e32 v189, 31, v188
	v_lshlrev_b64 v[178:179], 4, v[186:187]
	v_add_nc_u32_e32 v174, s6, v170
	v_lshlrev_b64 v[0:1], 4, v[188:189]
	v_ashrrev_i32_e32 v171, 31, v170
	v_add_co_u32 v172, vcc_lo, v225, v178
	v_add_nc_u32_e32 v176, s6, v174
	v_add_co_ci_u32_e64 v173, null, v226, v179, vcc_lo
	;; [unrolled: 30-line block ×8, first 2 shown]
	v_add_co_u32 v0, vcc_lo, v225, v0
	v_ashrrev_i32_e32 v55, 31, v54
	v_add_co_ci_u32_e64 v1, null, v226, v1, vcc_lo
	v_ashrrev_i32_e32 v57, 31, v56
	v_lshlrev_b64 v[50:51], 4, v[50:51]
	global_store_dwordx4 v[52:53], v[46:49], off
	global_store_dwordx4 v[0:1], v[42:45], off
	v_lshlrev_b64 v[0:1], 4, v[54:55]
	v_add_nc_u32_e32 v46, s6, v56
	v_lshlrev_b64 v[44:45], 4, v[56:57]
	v_add_co_u32 v42, vcc_lo, v225, v50
	v_add_co_ci_u32_e64 v43, null, v226, v51, vcc_lo
	v_add_co_u32 v0, vcc_lo, v225, v0
	v_add_nc_u32_e32 v48, s6, v46
	v_add_co_ci_u32_e64 v1, null, v226, v1, vcc_lo
	v_add_co_u32 v44, vcc_lo, v225, v44
	v_ashrrev_i32_e32 v47, 31, v46
	v_add_co_ci_u32_e64 v45, null, v226, v45, vcc_lo
	v_ashrrev_i32_e32 v49, 31, v48
	global_store_dwordx4 v[42:43], v[38:41], off
	v_lshlrev_b64 v[38:39], 4, v[46:47]
	global_store_dwordx4 v[0:1], v[34:37], off
	global_store_dwordx4 v[44:45], v[30:33], off
	v_add_nc_u32_e32 v30, s6, v48
	v_lshlrev_b64 v[0:1], 4, v[48:49]
	v_add_co_u32 v32, vcc_lo, v225, v38
	v_add_nc_u32_e32 v34, s6, v30
	v_add_co_ci_u32_e64 v33, null, v226, v39, vcc_lo
	v_add_co_u32 v0, vcc_lo, v225, v0
	v_add_co_ci_u32_e64 v1, null, v226, v1, vcc_lo
	v_add_nc_u32_e32 v36, s6, v34
	v_ashrrev_i32_e32 v31, 31, v30
	global_store_dwordx4 v[32:33], v[26:29], off
	global_store_dwordx4 v[0:1], v[22:25], off
	v_ashrrev_i32_e32 v35, 31, v34
	v_add_nc_u32_e32 v22, s6, v36
	v_lshlrev_b64 v[26:27], 4, v[30:31]
	v_ashrrev_i32_e32 v37, 31, v36
	v_lshlrev_b64 v[0:1], 4, v[34:35]
	v_add_nc_u32_e32 v28, s6, v22
	v_ashrrev_i32_e32 v23, 31, v22
	v_add_co_u32 v24, vcc_lo, v225, v26
	v_add_co_ci_u32_e64 v25, null, v226, v27, vcc_lo
	v_ashrrev_i32_e32 v29, 31, v28
	v_lshlrev_b64 v[26:27], 4, v[36:37]
	v_lshlrev_b64 v[22:23], 4, v[22:23]
	v_add_co_u32 v0, vcc_lo, v225, v0
	v_lshlrev_b64 v[28:29], 4, v[28:29]
	v_add_co_ci_u32_e64 v1, null, v226, v1, vcc_lo
	v_add_co_u32 v26, vcc_lo, v225, v26
	v_add_co_ci_u32_e64 v27, null, v226, v27, vcc_lo
	v_add_co_u32 v22, vcc_lo, v225, v22
	;; [unrolled: 2-line block ×3, first 2 shown]
	v_add_co_ci_u32_e64 v29, null, v226, v29, vcc_lo
	global_store_dwordx4 v[24:25], v[18:21], off
	global_store_dwordx4 v[0:1], v[14:17], off
	;; [unrolled: 1-line block ×5, first 2 shown]
.LBB104_1116:
	s_endpgm
	.section	.rodata,"a",@progbits
	.p2align	6, 0x0
	.amdhsa_kernel _ZN9rocsolver6v33100L18getf2_small_kernelILi53E19rocblas_complex_numIdEiiPS3_EEvT1_T3_lS5_lPS5_llPT2_S5_S5_S7_l
		.amdhsa_group_segment_fixed_size 0
		.amdhsa_private_segment_fixed_size 0
		.amdhsa_kernarg_size 352
		.amdhsa_user_sgpr_count 6
		.amdhsa_user_sgpr_private_segment_buffer 1
		.amdhsa_user_sgpr_dispatch_ptr 0
		.amdhsa_user_sgpr_queue_ptr 0
		.amdhsa_user_sgpr_kernarg_segment_ptr 1
		.amdhsa_user_sgpr_dispatch_id 0
		.amdhsa_user_sgpr_flat_scratch_init 0
		.amdhsa_user_sgpr_private_segment_size 0
		.amdhsa_wavefront_size32 1
		.amdhsa_uses_dynamic_stack 0
		.amdhsa_system_sgpr_private_segment_wavefront_offset 0
		.amdhsa_system_sgpr_workgroup_id_x 1
		.amdhsa_system_sgpr_workgroup_id_y 1
		.amdhsa_system_sgpr_workgroup_id_z 0
		.amdhsa_system_sgpr_workgroup_info 0
		.amdhsa_system_vgpr_workitem_id 1
		.amdhsa_next_free_vgpr 255
		.amdhsa_next_free_sgpr 20
		.amdhsa_reserve_vcc 1
		.amdhsa_reserve_flat_scratch 0
		.amdhsa_float_round_mode_32 0
		.amdhsa_float_round_mode_16_64 0
		.amdhsa_float_denorm_mode_32 3
		.amdhsa_float_denorm_mode_16_64 3
		.amdhsa_dx10_clamp 1
		.amdhsa_ieee_mode 1
		.amdhsa_fp16_overflow 0
		.amdhsa_workgroup_processor_mode 1
		.amdhsa_memory_ordered 1
		.amdhsa_forward_progress 1
		.amdhsa_shared_vgpr_count 0
		.amdhsa_exception_fp_ieee_invalid_op 0
		.amdhsa_exception_fp_denorm_src 0
		.amdhsa_exception_fp_ieee_div_zero 0
		.amdhsa_exception_fp_ieee_overflow 0
		.amdhsa_exception_fp_ieee_underflow 0
		.amdhsa_exception_fp_ieee_inexact 0
		.amdhsa_exception_int_div_zero 0
	.end_amdhsa_kernel
	.section	.text._ZN9rocsolver6v33100L18getf2_small_kernelILi53E19rocblas_complex_numIdEiiPS3_EEvT1_T3_lS5_lPS5_llPT2_S5_S5_S7_l,"axG",@progbits,_ZN9rocsolver6v33100L18getf2_small_kernelILi53E19rocblas_complex_numIdEiiPS3_EEvT1_T3_lS5_lPS5_llPT2_S5_S5_S7_l,comdat
.Lfunc_end104:
	.size	_ZN9rocsolver6v33100L18getf2_small_kernelILi53E19rocblas_complex_numIdEiiPS3_EEvT1_T3_lS5_lPS5_llPT2_S5_S5_S7_l, .Lfunc_end104-_ZN9rocsolver6v33100L18getf2_small_kernelILi53E19rocblas_complex_numIdEiiPS3_EEvT1_T3_lS5_lPS5_llPT2_S5_S5_S7_l
                                        ; -- End function
	.set _ZN9rocsolver6v33100L18getf2_small_kernelILi53E19rocblas_complex_numIdEiiPS3_EEvT1_T3_lS5_lPS5_llPT2_S5_S5_S7_l.num_vgpr, 255
	.set _ZN9rocsolver6v33100L18getf2_small_kernelILi53E19rocblas_complex_numIdEiiPS3_EEvT1_T3_lS5_lPS5_llPT2_S5_S5_S7_l.num_agpr, 0
	.set _ZN9rocsolver6v33100L18getf2_small_kernelILi53E19rocblas_complex_numIdEiiPS3_EEvT1_T3_lS5_lPS5_llPT2_S5_S5_S7_l.numbered_sgpr, 20
	.set _ZN9rocsolver6v33100L18getf2_small_kernelILi53E19rocblas_complex_numIdEiiPS3_EEvT1_T3_lS5_lPS5_llPT2_S5_S5_S7_l.num_named_barrier, 0
	.set _ZN9rocsolver6v33100L18getf2_small_kernelILi53E19rocblas_complex_numIdEiiPS3_EEvT1_T3_lS5_lPS5_llPT2_S5_S5_S7_l.private_seg_size, 0
	.set _ZN9rocsolver6v33100L18getf2_small_kernelILi53E19rocblas_complex_numIdEiiPS3_EEvT1_T3_lS5_lPS5_llPT2_S5_S5_S7_l.uses_vcc, 1
	.set _ZN9rocsolver6v33100L18getf2_small_kernelILi53E19rocblas_complex_numIdEiiPS3_EEvT1_T3_lS5_lPS5_llPT2_S5_S5_S7_l.uses_flat_scratch, 0
	.set _ZN9rocsolver6v33100L18getf2_small_kernelILi53E19rocblas_complex_numIdEiiPS3_EEvT1_T3_lS5_lPS5_llPT2_S5_S5_S7_l.has_dyn_sized_stack, 0
	.set _ZN9rocsolver6v33100L18getf2_small_kernelILi53E19rocblas_complex_numIdEiiPS3_EEvT1_T3_lS5_lPS5_llPT2_S5_S5_S7_l.has_recursion, 0
	.set _ZN9rocsolver6v33100L18getf2_small_kernelILi53E19rocblas_complex_numIdEiiPS3_EEvT1_T3_lS5_lPS5_llPT2_S5_S5_S7_l.has_indirect_call, 0
	.section	.AMDGPU.csdata,"",@progbits
; Kernel info:
; codeLenInByte = 150456
; TotalNumSgprs: 22
; NumVgprs: 255
; ScratchSize: 0
; MemoryBound: 0
; FloatMode: 240
; IeeeMode: 1
; LDSByteSize: 0 bytes/workgroup (compile time only)
; SGPRBlocks: 0
; VGPRBlocks: 31
; NumSGPRsForWavesPerEU: 22
; NumVGPRsForWavesPerEU: 255
; Occupancy: 4
; WaveLimiterHint : 0
; COMPUTE_PGM_RSRC2:SCRATCH_EN: 0
; COMPUTE_PGM_RSRC2:USER_SGPR: 6
; COMPUTE_PGM_RSRC2:TRAP_HANDLER: 0
; COMPUTE_PGM_RSRC2:TGID_X_EN: 1
; COMPUTE_PGM_RSRC2:TGID_Y_EN: 1
; COMPUTE_PGM_RSRC2:TGID_Z_EN: 0
; COMPUTE_PGM_RSRC2:TIDIG_COMP_CNT: 1
	.section	.text._ZN9rocsolver6v33100L23getf2_npvt_small_kernelILi53E19rocblas_complex_numIdEiiPS3_EEvT1_T3_lS5_lPT2_S5_S5_,"axG",@progbits,_ZN9rocsolver6v33100L23getf2_npvt_small_kernelILi53E19rocblas_complex_numIdEiiPS3_EEvT1_T3_lS5_lPT2_S5_S5_,comdat
	.globl	_ZN9rocsolver6v33100L23getf2_npvt_small_kernelILi53E19rocblas_complex_numIdEiiPS3_EEvT1_T3_lS5_lPT2_S5_S5_ ; -- Begin function _ZN9rocsolver6v33100L23getf2_npvt_small_kernelILi53E19rocblas_complex_numIdEiiPS3_EEvT1_T3_lS5_lPT2_S5_S5_
	.p2align	8
	.type	_ZN9rocsolver6v33100L23getf2_npvt_small_kernelILi53E19rocblas_complex_numIdEiiPS3_EEvT1_T3_lS5_lPT2_S5_S5_,@function
_ZN9rocsolver6v33100L23getf2_npvt_small_kernelILi53E19rocblas_complex_numIdEiiPS3_EEvT1_T3_lS5_lPT2_S5_S5_: ; @_ZN9rocsolver6v33100L23getf2_npvt_small_kernelILi53E19rocblas_complex_numIdEiiPS3_EEvT1_T3_lS5_lPT2_S5_S5_
; %bb.0:
	s_mov_b64 s[18:19], s[2:3]
	s_mov_b64 s[16:17], s[0:1]
	s_clause 0x1
	s_load_dword s0, s[4:5], 0x44
	s_load_dwordx2 s[12:13], s[4:5], 0x30
	s_add_u32 s16, s16, s8
	s_addc_u32 s17, s17, 0
	s_waitcnt lgkmcnt(0)
	s_lshr_b32 s14, s0, 16
	s_mov_b32 s0, exec_lo
	v_mad_u64_u32 v[189:190], null, s7, s14, v[1:2]
	v_cmpx_gt_i32_e64 s12, v189
	s_cbranch_execnz .LBB105_1
; %bb.483:
	s_getpc_b64 s[20:21]
.Lpost_getpc7:
	s_add_u32 s20, s20, (.LBB105_482-.Lpost_getpc7)&4294967295
	s_addc_u32 s21, s21, (.LBB105_482-.Lpost_getpc7)>>32
	s_setpc_b64 s[20:21]
.LBB105_1:
	s_clause 0x2
	s_load_dwordx4 s[8:11], s[4:5], 0x20
	s_load_dword s6, s[4:5], 0x18
	s_load_dwordx4 s[0:3], s[4:5], 0x8
	v_ashrrev_i32_e32 v190, 31, v189
	v_mad_u32_u24 v253, 0x350, v1, 0
	v_lshlrev_b32_e32 v1, 4, v1
	s_mulk_i32 s14, 0x350
	v_add3_u32 v255, 0, s14, v1
	s_waitcnt lgkmcnt(0)
	v_mul_lo_u32 v5, s9, v189
	v_mul_lo_u32 v7, s8, v190
	v_mad_u64_u32 v[2:3], null, s8, v189, 0
	v_add3_u32 v4, s6, s6, v0
	s_lshl_b64 s[2:3], s[2:3], 4
	s_ashr_i32 s7, s6, 31
	v_add_nc_u32_e32 v6, s6, v4
	v_add3_u32 v3, v3, v7, v5
	v_ashrrev_i32_e32 v5, 31, v4
	v_add_nc_u32_e32 v8, s6, v6
	v_lshlrev_b64 v[2:3], 4, v[2:3]
	v_ashrrev_i32_e32 v7, 31, v6
	v_lshlrev_b64 v[4:5], 4, v[4:5]
	v_add_nc_u32_e32 v10, s6, v8
	v_ashrrev_i32_e32 v9, 31, v8
	v_add_co_u32 v2, vcc_lo, s0, v2
	v_add_co_ci_u32_e64 v3, null, s1, v3, vcc_lo
	v_add_nc_u32_e32 v12, s6, v10
	v_add_co_u32 v2, vcc_lo, v2, s2
	v_lshlrev_b64 v[6:7], 4, v[6:7]
	v_ashrrev_i32_e32 v11, 31, v10
	v_add_co_ci_u32_e64 v3, null, s3, v3, vcc_lo
	v_add_nc_u32_e32 v14, s6, v12
	v_lshlrev_b64 v[8:9], 4, v[8:9]
	v_ashrrev_i32_e32 v13, 31, v12
	v_add_co_u32 v201, vcc_lo, v2, v4
	v_lshlrev_b64 v[10:11], 4, v[10:11]
	v_add_co_ci_u32_e64 v202, null, v3, v5, vcc_lo
	v_add_co_u32 v16, vcc_lo, v2, v6
	v_add_nc_u32_e32 v6, s6, v14
	v_lshlrev_b64 v[4:5], 4, v[12:13]
	v_ashrrev_i32_e32 v15, 31, v14
	v_add_co_ci_u32_e64 v17, null, v3, v7, vcc_lo
	v_add_co_u32 v66, vcc_lo, v2, v8
	v_add_co_ci_u32_e64 v67, null, v3, v9, vcc_lo
	v_add_co_u32 v203, vcc_lo, v2, v10
	v_ashrrev_i32_e32 v7, 31, v6
	v_add_nc_u32_e32 v10, s6, v6
	v_lshlrev_b64 v[8:9], 4, v[14:15]
	v_add_co_ci_u32_e64 v204, null, v3, v11, vcc_lo
	v_add_co_u32 v12, vcc_lo, v2, v4
	v_add_co_ci_u32_e64 v13, null, v3, v5, vcc_lo
	v_lshlrev_b64 v[4:5], 4, v[6:7]
	v_ashrrev_i32_e32 v11, 31, v10
	v_add_nc_u32_e32 v6, s6, v10
	v_add_co_u32 v207, vcc_lo, v2, v8
	v_add_co_ci_u32_e64 v208, null, v3, v9, vcc_lo
	v_lshlrev_b64 v[8:9], 4, v[10:11]
	v_ashrrev_i32_e32 v7, 31, v6
	v_add_nc_u32_e32 v10, s6, v6
	;; [unrolled: 5-line block ×42, first 2 shown]
	v_add_co_u32 v221, vcc_lo, v2, v4
	v_add_co_ci_u32_e64 v222, null, v3, v5, vcc_lo
	v_lshlrev_b64 v[4:5], 4, v[6:7]
	v_add_nc_u32_e32 v6, s6, v10
	v_ashrrev_i32_e32 v11, 31, v10
	v_add_co_u32 v229, vcc_lo, v2, v8
	v_add_co_ci_u32_e64 v230, null, v3, v9, vcc_lo
	v_ashrrev_i32_e32 v7, 31, v6
	v_lshlrev_b64 v[8:9], 4, v[10:11]
	v_add_co_u32 v10, vcc_lo, v2, v4
	v_add_co_ci_u32_e64 v11, null, v3, v5, vcc_lo
	v_lshlrev_b64 v[4:5], 4, v[6:7]
	v_lshlrev_b32_e32 v6, 4, v0
	v_add_co_u32 v7, vcc_lo, v2, v8
	v_add_co_ci_u32_e64 v8, null, v3, v9, vcc_lo
	v_add_co_u32 v231, vcc_lo, v2, v4
	v_add_co_ci_u32_e64 v232, null, v3, v5, vcc_lo
	;; [unrolled: 2-line block ×3, first 2 shown]
	s_lshl_b64 s[0:1], s[6:7], 4
	v_add_co_u32 v4, vcc_lo, v2, s0
	v_add_co_ci_u32_e64 v5, null, s1, v3, vcc_lo
	buffer_store_dword v2, off, s[16:19], 0 offset:448 ; 4-byte Folded Spill
	buffer_store_dword v3, off, s[16:19], 0 offset:452 ; 4-byte Folded Spill
	v_cmp_ne_u32_e64 s1, 0, v0
	v_cmp_eq_u32_e64 s0, 0, v0
	global_load_dwordx4 v[56:59], v[2:3], off
	s_waitcnt vmcnt(0)
	buffer_store_dword v56, off, s[16:19], 0 offset:144 ; 4-byte Folded Spill
	buffer_store_dword v57, off, s[16:19], 0 offset:148 ; 4-byte Folded Spill
	;; [unrolled: 1-line block ×6, first 2 shown]
	global_load_dwordx4 v[1:4], v[4:5], off
	s_waitcnt vmcnt(0)
	buffer_store_dword v1, off, s[16:19], 0 offset:128 ; 4-byte Folded Spill
	buffer_store_dword v2, off, s[16:19], 0 offset:132 ; 4-byte Folded Spill
	buffer_store_dword v3, off, s[16:19], 0 offset:136 ; 4-byte Folded Spill
	buffer_store_dword v4, off, s[16:19], 0 offset:140 ; 4-byte Folded Spill
	global_load_dwordx4 v[1:4], v[201:202], off
	s_waitcnt vmcnt(0)
	buffer_store_dword v1, off, s[16:19], 0 offset:112 ; 4-byte Folded Spill
	buffer_store_dword v2, off, s[16:19], 0 offset:116 ; 4-byte Folded Spill
	buffer_store_dword v3, off, s[16:19], 0 offset:120 ; 4-byte Folded Spill
	buffer_store_dword v4, off, s[16:19], 0 offset:124 ; 4-byte Folded Spill
	buffer_store_dword v16, off, s[16:19], 0 offset:160 ; 4-byte Folded Spill
	buffer_store_dword v17, off, s[16:19], 0 offset:164 ; 4-byte Folded Spill
	global_load_dwordx4 v[1:4], v[16:17], off
	s_waitcnt vmcnt(0)
	buffer_store_dword v1, off, s[16:19], 0 offset:96 ; 4-byte Folded Spill
	buffer_store_dword v2, off, s[16:19], 0 offset:100 ; 4-byte Folded Spill
	;; [unrolled: 8-line block ×3, first 2 shown]
	buffer_store_dword v3, off, s[16:19], 0 offset:88 ; 4-byte Folded Spill
	buffer_store_dword v4, off, s[16:19], 0 offset:92 ; 4-byte Folded Spill
	global_load_dwordx4 v[1:4], v[203:204], off
	s_waitcnt vmcnt(0)
	buffer_store_dword v1, off, s[16:19], 0 offset:64 ; 4-byte Folded Spill
	buffer_store_dword v2, off, s[16:19], 0 offset:68 ; 4-byte Folded Spill
	;; [unrolled: 1-line block ×6, first 2 shown]
	global_load_dwordx4 v[1:4], v[12:13], off
	s_waitcnt vmcnt(0)
	buffer_store_dword v1, off, s[16:19], 0 offset:48 ; 4-byte Folded Spill
	buffer_store_dword v2, off, s[16:19], 0 offset:52 ; 4-byte Folded Spill
	buffer_store_dword v3, off, s[16:19], 0 offset:56 ; 4-byte Folded Spill
	buffer_store_dword v4, off, s[16:19], 0 offset:60 ; 4-byte Folded Spill
	global_load_dwordx4 v[1:4], v[207:208], off
	s_waitcnt vmcnt(0)
	buffer_store_dword v1, off, s[16:19], 0 offset:32 ; 4-byte Folded Spill
	buffer_store_dword v2, off, s[16:19], 0 offset:36 ; 4-byte Folded Spill
	;; [unrolled: 1-line block ×6, first 2 shown]
	global_load_dwordx4 v[1:4], v[68:69], off
	s_waitcnt vmcnt(0)
	buffer_store_dword v1, off, s[16:19], 0 offset:16 ; 4-byte Folded Spill
	buffer_store_dword v2, off, s[16:19], 0 offset:20 ; 4-byte Folded Spill
	;; [unrolled: 1-line block ×6, first 2 shown]
	global_load_dwordx4 v[1:4], v[14:15], off
	s_waitcnt vmcnt(0)
	buffer_store_dword v1, off, s[16:19], 0 ; 4-byte Folded Spill
	buffer_store_dword v2, off, s[16:19], 0 offset:4 ; 4-byte Folded Spill
	buffer_store_dword v3, off, s[16:19], 0 offset:8 ; 4-byte Folded Spill
	;; [unrolled: 1-line block ×3, first 2 shown]
	global_load_dwordx4 v[169:172], v[195:196], off
	buffer_store_dword v70, off, s[16:19], 0 offset:640 ; 4-byte Folded Spill
	buffer_store_dword v71, off, s[16:19], 0 offset:644 ; 4-byte Folded Spill
	global_load_dwordx4 v[165:168], v[70:71], off
	buffer_store_dword v40, off, s[16:19], 0 offset:272 ; 4-byte Folded Spill
	buffer_store_dword v41, off, s[16:19], 0 offset:276 ; 4-byte Folded Spill
	;; [unrolled: 3-line block ×15, first 2 shown]
	s_clause 0x1
	global_load_dwordx4 v[109:112], v[42:43], off
	global_load_dwordx4 v[105:108], v[187:188], off
	buffer_store_dword v74, off, s[16:19], 0 offset:656 ; 4-byte Folded Spill
	buffer_store_dword v75, off, s[16:19], 0 offset:660 ; 4-byte Folded Spill
	global_load_dwordx4 v[101:104], v[74:75], off
	buffer_store_dword v60, off, s[16:19], 0 offset:488 ; 4-byte Folded Spill
	buffer_store_dword v61, off, s[16:19], 0 offset:492 ; 4-byte Folded Spill
	;; [unrolled: 3-line block ×4, first 2 shown]
	s_clause 0x1
	global_load_dwordx4 v[89:92], v[44:45], off
	global_load_dwordx4 v[85:88], v[181:182], off
	buffer_store_dword v76, off, s[16:19], 0 offset:648 ; 4-byte Folded Spill
	buffer_store_dword v77, off, s[16:19], 0 offset:652 ; 4-byte Folded Spill
	global_load_dwordx4 v[81:84], v[76:77], off
	buffer_store_dword v64, off, s[16:19], 0 offset:496 ; 4-byte Folded Spill
	buffer_store_dword v65, off, s[16:19], 0 offset:500 ; 4-byte Folded Spill
	;; [unrolled: 3-line block ×21, first 2 shown]
	global_load_dwordx4 v[1:4], v[231:232], off
	s_and_saveexec_b32 s3, s0
	s_cbranch_execz .LBB105_8
; %bb.2:
	s_clause 0x3
	buffer_load_dword v209, off, s[16:19], 0 offset:144
	buffer_load_dword v210, off, s[16:19], 0 offset:148
	;; [unrolled: 1-line block ×4, first 2 shown]
	s_waitcnt vmcnt(0)
	ds_write2_b64 v255, v[209:210], v[211:212] offset1:1
	s_clause 0x3
	buffer_load_dword v209, off, s[16:19], 0 offset:128
	buffer_load_dword v210, off, s[16:19], 0 offset:132
	buffer_load_dword v211, off, s[16:19], 0 offset:136
	buffer_load_dword v212, off, s[16:19], 0 offset:140
	s_waitcnt vmcnt(0)
	ds_write2_b64 v253, v[209:210], v[211:212] offset0:2 offset1:3
	s_clause 0x3
	buffer_load_dword v209, off, s[16:19], 0 offset:112
	buffer_load_dword v210, off, s[16:19], 0 offset:116
	buffer_load_dword v211, off, s[16:19], 0 offset:120
	buffer_load_dword v212, off, s[16:19], 0 offset:124
	s_waitcnt vmcnt(0)
	ds_write2_b64 v253, v[209:210], v[211:212] offset0:4 offset1:5
	;; [unrolled: 7-line block ×8, first 2 shown]
	s_clause 0x3
	buffer_load_dword v173, off, s[16:19], 0
	buffer_load_dword v174, off, s[16:19], 0 offset:4
	buffer_load_dword v175, off, s[16:19], 0 offset:8
	;; [unrolled: 1-line block ×3, first 2 shown]
	s_waitcnt vmcnt(0)
	ds_write2_b64 v253, v[173:174], v[175:176] offset0:18 offset1:19
	ds_write2_b64 v253, v[169:170], v[171:172] offset0:20 offset1:21
	;; [unrolled: 1-line block ×44, first 2 shown]
	ds_read2_b64 v[209:212], v255 offset1:1
	s_waitcnt lgkmcnt(0)
	v_cmp_neq_f64_e32 vcc_lo, 0, v[209:210]
	v_cmp_neq_f64_e64 s2, 0, v[211:212]
	s_or_b32 s2, vcc_lo, s2
	s_and_b32 exec_lo, exec_lo, s2
	s_cbranch_execz .LBB105_8
; %bb.3:
	v_cmp_ngt_f64_e64 s2, |v[209:210]|, |v[211:212]|
                                        ; implicit-def: $vgpr213_vgpr214
	s_and_saveexec_b32 s4, s2
	s_xor_b32 s2, exec_lo, s4
                                        ; implicit-def: $vgpr215_vgpr216
	s_cbranch_execz .LBB105_5
; %bb.4:
	v_div_scale_f64 v[213:214], null, v[211:212], v[211:212], v[209:210]
	v_div_scale_f64 v[219:220], vcc_lo, v[209:210], v[211:212], v[209:210]
	v_rcp_f64_e32 v[215:216], v[213:214]
	v_fma_f64 v[217:218], -v[213:214], v[215:216], 1.0
	v_fma_f64 v[215:216], v[215:216], v[217:218], v[215:216]
	v_fma_f64 v[217:218], -v[213:214], v[215:216], 1.0
	v_fma_f64 v[215:216], v[215:216], v[217:218], v[215:216]
	v_mul_f64 v[217:218], v[219:220], v[215:216]
	v_fma_f64 v[213:214], -v[213:214], v[217:218], v[219:220]
	v_div_fmas_f64 v[213:214], v[213:214], v[215:216], v[217:218]
	v_div_fixup_f64 v[213:214], v[213:214], v[211:212], v[209:210]
	v_fma_f64 v[209:210], v[209:210], v[213:214], v[211:212]
	v_div_scale_f64 v[211:212], null, v[209:210], v[209:210], 1.0
	v_rcp_f64_e32 v[215:216], v[211:212]
	v_fma_f64 v[217:218], -v[211:212], v[215:216], 1.0
	v_fma_f64 v[215:216], v[215:216], v[217:218], v[215:216]
	v_fma_f64 v[217:218], -v[211:212], v[215:216], 1.0
	v_fma_f64 v[215:216], v[215:216], v[217:218], v[215:216]
	v_div_scale_f64 v[217:218], vcc_lo, 1.0, v[209:210], 1.0
	v_mul_f64 v[219:220], v[217:218], v[215:216]
	v_fma_f64 v[211:212], -v[211:212], v[219:220], v[217:218]
	v_div_fmas_f64 v[211:212], v[211:212], v[215:216], v[219:220]
	v_div_fixup_f64 v[215:216], v[211:212], v[209:210], 1.0
                                        ; implicit-def: $vgpr209_vgpr210
	v_mul_f64 v[213:214], v[213:214], v[215:216]
	v_xor_b32_e32 v216, 0x80000000, v216
.LBB105_5:
	s_andn2_saveexec_b32 s2, s2
	s_cbranch_execz .LBB105_7
; %bb.6:
	v_div_scale_f64 v[213:214], null, v[209:210], v[209:210], v[211:212]
	v_div_scale_f64 v[219:220], vcc_lo, v[211:212], v[209:210], v[211:212]
	v_rcp_f64_e32 v[215:216], v[213:214]
	v_fma_f64 v[217:218], -v[213:214], v[215:216], 1.0
	v_fma_f64 v[215:216], v[215:216], v[217:218], v[215:216]
	v_fma_f64 v[217:218], -v[213:214], v[215:216], 1.0
	v_fma_f64 v[215:216], v[215:216], v[217:218], v[215:216]
	v_mul_f64 v[217:218], v[219:220], v[215:216]
	v_fma_f64 v[213:214], -v[213:214], v[217:218], v[219:220]
	v_div_fmas_f64 v[213:214], v[213:214], v[215:216], v[217:218]
	v_div_fixup_f64 v[215:216], v[213:214], v[209:210], v[211:212]
	v_fma_f64 v[209:210], v[211:212], v[215:216], v[209:210]
	v_div_scale_f64 v[211:212], null, v[209:210], v[209:210], 1.0
	v_rcp_f64_e32 v[213:214], v[211:212]
	v_fma_f64 v[217:218], -v[211:212], v[213:214], 1.0
	v_fma_f64 v[213:214], v[213:214], v[217:218], v[213:214]
	v_fma_f64 v[217:218], -v[211:212], v[213:214], 1.0
	v_fma_f64 v[213:214], v[213:214], v[217:218], v[213:214]
	v_div_scale_f64 v[217:218], vcc_lo, 1.0, v[209:210], 1.0
	v_mul_f64 v[219:220], v[217:218], v[213:214]
	v_fma_f64 v[211:212], -v[211:212], v[219:220], v[217:218]
	v_div_fmas_f64 v[211:212], v[211:212], v[213:214], v[219:220]
	v_div_fixup_f64 v[213:214], v[211:212], v[209:210], 1.0
	v_mul_f64 v[215:216], v[215:216], -v[213:214]
.LBB105_7:
	s_or_b32 exec_lo, exec_lo, s2
	ds_write2_b64 v255, v[213:214], v[215:216] offset1:1
.LBB105_8:
	s_or_b32 exec_lo, exec_lo, s3
	s_waitcnt vmcnt(0) lgkmcnt(0)
	s_waitcnt_vscnt null, 0x0
	s_barrier
	buffer_gl0_inv
	ds_read2_b64 v[209:212], v255 offset1:1
	s_waitcnt lgkmcnt(0)
	buffer_store_dword v209, off, s[16:19], 0 offset:464 ; 4-byte Folded Spill
	buffer_store_dword v210, off, s[16:19], 0 offset:468 ; 4-byte Folded Spill
	;; [unrolled: 1-line block ×4, first 2 shown]
	s_and_saveexec_b32 s2, s1
	s_cbranch_execz .LBB105_10
; %bb.9:
	s_clause 0x7
	buffer_load_dword v219, off, s[16:19], 0 offset:144
	buffer_load_dword v220, off, s[16:19], 0 offset:148
	;; [unrolled: 1-line block ×8, first 2 shown]
	s_waitcnt vmcnt(0)
	v_mul_f64 v[209:210], v[213:214], v[221:222]
	v_fma_f64 v[209:210], v[211:212], v[219:220], -v[209:210]
	v_mul_f64 v[211:212], v[211:212], v[221:222]
	v_fma_f64 v[221:222], v[213:214], v[219:220], v[211:212]
	ds_read2_b64 v[211:214], v253 offset0:2 offset1:3
	s_clause 0x3
	buffer_load_dword v217, off, s[16:19], 0 offset:128
	buffer_load_dword v218, off, s[16:19], 0 offset:132
	buffer_load_dword v219, off, s[16:19], 0 offset:136
	buffer_load_dword v220, off, s[16:19], 0 offset:140
	s_waitcnt lgkmcnt(0)
	v_mul_f64 v[215:216], v[213:214], v[221:222]
	v_fma_f64 v[215:216], v[211:212], v[209:210], -v[215:216]
	v_mul_f64 v[211:212], v[211:212], v[221:222]
	v_fma_f64 v[211:212], v[213:214], v[209:210], v[211:212]
	s_waitcnt vmcnt(2)
	v_add_f64 v[217:218], v[217:218], -v[215:216]
	s_waitcnt vmcnt(0)
	v_add_f64 v[219:220], v[219:220], -v[211:212]
	buffer_store_dword v217, off, s[16:19], 0 offset:128 ; 4-byte Folded Spill
	buffer_store_dword v218, off, s[16:19], 0 offset:132 ; 4-byte Folded Spill
	buffer_store_dword v219, off, s[16:19], 0 offset:136 ; 4-byte Folded Spill
	buffer_store_dword v220, off, s[16:19], 0 offset:140 ; 4-byte Folded Spill
	ds_read2_b64 v[211:214], v253 offset0:4 offset1:5
	s_clause 0x3
	buffer_load_dword v217, off, s[16:19], 0 offset:112
	buffer_load_dword v218, off, s[16:19], 0 offset:116
	buffer_load_dword v219, off, s[16:19], 0 offset:120
	buffer_load_dword v220, off, s[16:19], 0 offset:124
	s_waitcnt lgkmcnt(0)
	v_mul_f64 v[215:216], v[213:214], v[221:222]
	v_fma_f64 v[215:216], v[211:212], v[209:210], -v[215:216]
	v_mul_f64 v[211:212], v[211:212], v[221:222]
	v_fma_f64 v[211:212], v[213:214], v[209:210], v[211:212]
	s_waitcnt vmcnt(2)
	v_add_f64 v[217:218], v[217:218], -v[215:216]
	s_waitcnt vmcnt(0)
	v_add_f64 v[219:220], v[219:220], -v[211:212]
	buffer_store_dword v217, off, s[16:19], 0 offset:112 ; 4-byte Folded Spill
	buffer_store_dword v218, off, s[16:19], 0 offset:116 ; 4-byte Folded Spill
	buffer_store_dword v219, off, s[16:19], 0 offset:120 ; 4-byte Folded Spill
	buffer_store_dword v220, off, s[16:19], 0 offset:124 ; 4-byte Folded Spill
	;; [unrolled: 19-line block ×8, first 2 shown]
	ds_read2_b64 v[211:214], v253 offset0:18 offset1:19
	s_clause 0x3
	buffer_load_dword v173, off, s[16:19], 0
	buffer_load_dword v174, off, s[16:19], 0 offset:4
	buffer_load_dword v175, off, s[16:19], 0 offset:8
	;; [unrolled: 1-line block ×3, first 2 shown]
	v_mov_b32_e32 v220, v210
	v_mov_b32_e32 v219, v209
	s_waitcnt lgkmcnt(0)
	v_mul_f64 v[215:216], v[213:214], v[221:222]
	v_fma_f64 v[215:216], v[211:212], v[209:210], -v[215:216]
	v_mul_f64 v[211:212], v[211:212], v[221:222]
	v_fma_f64 v[211:212], v[213:214], v[209:210], v[211:212]
	s_waitcnt vmcnt(2)
	v_add_f64 v[173:174], v[173:174], -v[215:216]
	s_waitcnt vmcnt(0)
	v_add_f64 v[175:176], v[175:176], -v[211:212]
	buffer_store_dword v173, off, s[16:19], 0 ; 4-byte Folded Spill
	buffer_store_dword v174, off, s[16:19], 0 offset:4 ; 4-byte Folded Spill
	buffer_store_dword v175, off, s[16:19], 0 offset:8 ; 4-byte Folded Spill
	;; [unrolled: 1-line block ×3, first 2 shown]
	ds_read2_b64 v[211:214], v253 offset0:20 offset1:21
	s_waitcnt lgkmcnt(0)
	v_mul_f64 v[215:216], v[213:214], v[221:222]
	v_fma_f64 v[215:216], v[211:212], v[209:210], -v[215:216]
	v_mul_f64 v[211:212], v[211:212], v[221:222]
	v_add_f64 v[169:170], v[169:170], -v[215:216]
	v_fma_f64 v[211:212], v[213:214], v[209:210], v[211:212]
	v_add_f64 v[171:172], v[171:172], -v[211:212]
	ds_read2_b64 v[211:214], v253 offset0:22 offset1:23
	s_waitcnt lgkmcnt(0)
	v_mul_f64 v[215:216], v[213:214], v[221:222]
	v_fma_f64 v[215:216], v[211:212], v[209:210], -v[215:216]
	v_mul_f64 v[211:212], v[211:212], v[221:222]
	v_add_f64 v[165:166], v[165:166], -v[215:216]
	v_fma_f64 v[211:212], v[213:214], v[209:210], v[211:212]
	v_add_f64 v[167:168], v[167:168], -v[211:212]
	;; [unrolled: 8-line block ×42, first 2 shown]
	ds_read2_b64 v[211:214], v253 offset0:104 offset1:105
	s_waitcnt lgkmcnt(0)
	v_mul_f64 v[215:216], v[213:214], v[221:222]
	v_fma_f64 v[215:216], v[211:212], v[209:210], -v[215:216]
	v_mul_f64 v[211:212], v[211:212], v[221:222]
	buffer_store_dword v219, off, s[16:19], 0 offset:144 ; 4-byte Folded Spill
	buffer_store_dword v220, off, s[16:19], 0 offset:148 ; 4-byte Folded Spill
	;; [unrolled: 1-line block ×4, first 2 shown]
	v_add_f64 v[1:2], v[1:2], -v[215:216]
	v_fma_f64 v[211:212], v[213:214], v[209:210], v[211:212]
	v_add_f64 v[3:4], v[3:4], -v[211:212]
.LBB105_10:
	s_or_b32 exec_lo, exec_lo, s2
	s_mov_b32 s2, exec_lo
	s_waitcnt_vscnt null, 0x0
	s_barrier
	buffer_gl0_inv
	v_cmpx_eq_u32_e32 1, v0
	s_cbranch_execz .LBB105_17
; %bb.11:
	s_clause 0x3
	buffer_load_dword v209, off, s[16:19], 0 offset:128
	buffer_load_dword v210, off, s[16:19], 0 offset:132
	;; [unrolled: 1-line block ×4, first 2 shown]
	s_waitcnt vmcnt(0)
	ds_write2_b64 v255, v[209:210], v[211:212] offset1:1
	s_clause 0x3
	buffer_load_dword v209, off, s[16:19], 0 offset:112
	buffer_load_dword v210, off, s[16:19], 0 offset:116
	buffer_load_dword v211, off, s[16:19], 0 offset:120
	buffer_load_dword v212, off, s[16:19], 0 offset:124
	s_waitcnt vmcnt(0)
	ds_write2_b64 v253, v[209:210], v[211:212] offset0:4 offset1:5
	s_clause 0x3
	buffer_load_dword v209, off, s[16:19], 0 offset:96
	buffer_load_dword v210, off, s[16:19], 0 offset:100
	buffer_load_dword v211, off, s[16:19], 0 offset:104
	buffer_load_dword v212, off, s[16:19], 0 offset:108
	s_waitcnt vmcnt(0)
	ds_write2_b64 v253, v[209:210], v[211:212] offset0:6 offset1:7
	;; [unrolled: 7-line block ×7, first 2 shown]
	s_clause 0x3
	buffer_load_dword v173, off, s[16:19], 0
	buffer_load_dword v174, off, s[16:19], 0 offset:4
	buffer_load_dword v175, off, s[16:19], 0 offset:8
	;; [unrolled: 1-line block ×3, first 2 shown]
	s_waitcnt vmcnt(0)
	ds_write2_b64 v253, v[173:174], v[175:176] offset0:18 offset1:19
	ds_write2_b64 v253, v[169:170], v[171:172] offset0:20 offset1:21
	;; [unrolled: 1-line block ×44, first 2 shown]
	ds_read2_b64 v[209:212], v255 offset1:1
	s_waitcnt lgkmcnt(0)
	v_cmp_neq_f64_e32 vcc_lo, 0, v[209:210]
	v_cmp_neq_f64_e64 s1, 0, v[211:212]
	s_or_b32 s1, vcc_lo, s1
	s_and_b32 exec_lo, exec_lo, s1
	s_cbranch_execz .LBB105_17
; %bb.12:
	v_cmp_ngt_f64_e64 s1, |v[209:210]|, |v[211:212]|
                                        ; implicit-def: $vgpr213_vgpr214
	s_and_saveexec_b32 s3, s1
	s_xor_b32 s1, exec_lo, s3
                                        ; implicit-def: $vgpr215_vgpr216
	s_cbranch_execz .LBB105_14
; %bb.13:
	v_div_scale_f64 v[213:214], null, v[211:212], v[211:212], v[209:210]
	v_div_scale_f64 v[219:220], vcc_lo, v[209:210], v[211:212], v[209:210]
	v_rcp_f64_e32 v[215:216], v[213:214]
	v_fma_f64 v[217:218], -v[213:214], v[215:216], 1.0
	v_fma_f64 v[215:216], v[215:216], v[217:218], v[215:216]
	v_fma_f64 v[217:218], -v[213:214], v[215:216], 1.0
	v_fma_f64 v[215:216], v[215:216], v[217:218], v[215:216]
	v_mul_f64 v[217:218], v[219:220], v[215:216]
	v_fma_f64 v[213:214], -v[213:214], v[217:218], v[219:220]
	v_div_fmas_f64 v[213:214], v[213:214], v[215:216], v[217:218]
	v_div_fixup_f64 v[213:214], v[213:214], v[211:212], v[209:210]
	v_fma_f64 v[209:210], v[209:210], v[213:214], v[211:212]
	v_div_scale_f64 v[211:212], null, v[209:210], v[209:210], 1.0
	v_rcp_f64_e32 v[215:216], v[211:212]
	v_fma_f64 v[217:218], -v[211:212], v[215:216], 1.0
	v_fma_f64 v[215:216], v[215:216], v[217:218], v[215:216]
	v_fma_f64 v[217:218], -v[211:212], v[215:216], 1.0
	v_fma_f64 v[215:216], v[215:216], v[217:218], v[215:216]
	v_div_scale_f64 v[217:218], vcc_lo, 1.0, v[209:210], 1.0
	v_mul_f64 v[219:220], v[217:218], v[215:216]
	v_fma_f64 v[211:212], -v[211:212], v[219:220], v[217:218]
	v_div_fmas_f64 v[211:212], v[211:212], v[215:216], v[219:220]
	v_div_fixup_f64 v[215:216], v[211:212], v[209:210], 1.0
                                        ; implicit-def: $vgpr209_vgpr210
	v_mul_f64 v[213:214], v[213:214], v[215:216]
	v_xor_b32_e32 v216, 0x80000000, v216
.LBB105_14:
	s_andn2_saveexec_b32 s1, s1
	s_cbranch_execz .LBB105_16
; %bb.15:
	v_div_scale_f64 v[213:214], null, v[209:210], v[209:210], v[211:212]
	v_div_scale_f64 v[219:220], vcc_lo, v[211:212], v[209:210], v[211:212]
	v_rcp_f64_e32 v[215:216], v[213:214]
	v_fma_f64 v[217:218], -v[213:214], v[215:216], 1.0
	v_fma_f64 v[215:216], v[215:216], v[217:218], v[215:216]
	v_fma_f64 v[217:218], -v[213:214], v[215:216], 1.0
	v_fma_f64 v[215:216], v[215:216], v[217:218], v[215:216]
	v_mul_f64 v[217:218], v[219:220], v[215:216]
	v_fma_f64 v[213:214], -v[213:214], v[217:218], v[219:220]
	v_div_fmas_f64 v[213:214], v[213:214], v[215:216], v[217:218]
	v_div_fixup_f64 v[215:216], v[213:214], v[209:210], v[211:212]
	v_fma_f64 v[209:210], v[211:212], v[215:216], v[209:210]
	v_div_scale_f64 v[211:212], null, v[209:210], v[209:210], 1.0
	v_rcp_f64_e32 v[213:214], v[211:212]
	v_fma_f64 v[217:218], -v[211:212], v[213:214], 1.0
	v_fma_f64 v[213:214], v[213:214], v[217:218], v[213:214]
	v_fma_f64 v[217:218], -v[211:212], v[213:214], 1.0
	v_fma_f64 v[213:214], v[213:214], v[217:218], v[213:214]
	v_div_scale_f64 v[217:218], vcc_lo, 1.0, v[209:210], 1.0
	v_mul_f64 v[219:220], v[217:218], v[213:214]
	v_fma_f64 v[211:212], -v[211:212], v[219:220], v[217:218]
	v_div_fmas_f64 v[211:212], v[211:212], v[213:214], v[219:220]
	v_div_fixup_f64 v[213:214], v[211:212], v[209:210], 1.0
	v_mul_f64 v[215:216], v[215:216], -v[213:214]
.LBB105_16:
	s_or_b32 exec_lo, exec_lo, s1
	ds_write2_b64 v255, v[213:214], v[215:216] offset1:1
.LBB105_17:
	s_or_b32 exec_lo, exec_lo, s2
	s_waitcnt lgkmcnt(0)
	s_barrier
	buffer_gl0_inv
	ds_read2_b64 v[177:180], v255 offset1:1
	s_mov_b32 s1, exec_lo
	s_waitcnt lgkmcnt(0)
	buffer_store_dword v177, off, s[16:19], 0 offset:664 ; 4-byte Folded Spill
	buffer_store_dword v178, off, s[16:19], 0 offset:668 ; 4-byte Folded Spill
	;; [unrolled: 1-line block ×4, first 2 shown]
	v_cmpx_lt_u32_e32 1, v0
	s_cbranch_execz .LBB105_19
; %bb.18:
	s_clause 0x7
	buffer_load_dword v215, off, s[16:19], 0 offset:128
	buffer_load_dword v216, off, s[16:19], 0 offset:132
	;; [unrolled: 1-line block ×8, first 2 shown]
	v_mov_b32_e32 v197, v207
	v_mov_b32_e32 v198, v208
	ds_read2_b64 v[211:214], v253 offset0:4 offset1:5
	s_waitcnt vmcnt(2)
	v_mul_f64 v[207:208], v[177:178], v[217:218]
	s_waitcnt vmcnt(0)
	v_mul_f64 v[209:210], v[179:180], v[217:218]
	v_fma_f64 v[217:218], v[179:180], v[215:216], v[207:208]
	v_mov_b32_e32 v208, v198
	v_fma_f64 v[209:210], v[177:178], v[215:216], -v[209:210]
	v_mov_b32_e32 v207, v197
	s_waitcnt lgkmcnt(0)
	v_mul_f64 v[205:206], v[213:214], v[217:218]
	v_fma_f64 v[205:206], v[211:212], v[209:210], -v[205:206]
	v_mul_f64 v[211:212], v[211:212], v[217:218]
	v_fma_f64 v[211:212], v[213:214], v[209:210], v[211:212]
	s_clause 0x3
	buffer_load_dword v213, off, s[16:19], 0 offset:112
	buffer_load_dword v214, off, s[16:19], 0 offset:116
	buffer_load_dword v215, off, s[16:19], 0 offset:120
	buffer_load_dword v216, off, s[16:19], 0 offset:124
	s_waitcnt vmcnt(2)
	v_add_f64 v[213:214], v[213:214], -v[205:206]
	s_waitcnt vmcnt(0)
	v_add_f64 v[215:216], v[215:216], -v[211:212]
	buffer_store_dword v213, off, s[16:19], 0 offset:112 ; 4-byte Folded Spill
	buffer_store_dword v214, off, s[16:19], 0 offset:116 ; 4-byte Folded Spill
	buffer_store_dword v215, off, s[16:19], 0 offset:120 ; 4-byte Folded Spill
	buffer_store_dword v216, off, s[16:19], 0 offset:124 ; 4-byte Folded Spill
	ds_read2_b64 v[211:214], v253 offset0:6 offset1:7
	s_waitcnt lgkmcnt(0)
	v_mul_f64 v[205:206], v[213:214], v[217:218]
	v_fma_f64 v[205:206], v[211:212], v[209:210], -v[205:206]
	v_mul_f64 v[211:212], v[211:212], v[217:218]
	v_fma_f64 v[211:212], v[213:214], v[209:210], v[211:212]
	s_clause 0x3
	buffer_load_dword v213, off, s[16:19], 0 offset:96
	buffer_load_dword v214, off, s[16:19], 0 offset:100
	buffer_load_dword v215, off, s[16:19], 0 offset:104
	buffer_load_dword v216, off, s[16:19], 0 offset:108
	s_waitcnt vmcnt(2)
	v_add_f64 v[213:214], v[213:214], -v[205:206]
	s_waitcnt vmcnt(0)
	v_add_f64 v[215:216], v[215:216], -v[211:212]
	buffer_store_dword v213, off, s[16:19], 0 offset:96 ; 4-byte Folded Spill
	buffer_store_dword v214, off, s[16:19], 0 offset:100 ; 4-byte Folded Spill
	buffer_store_dword v215, off, s[16:19], 0 offset:104 ; 4-byte Folded Spill
	buffer_store_dword v216, off, s[16:19], 0 offset:108 ; 4-byte Folded Spill
	ds_read2_b64 v[211:214], v253 offset0:8 offset1:9
	;; [unrolled: 19-line block ×7, first 2 shown]
	s_clause 0x3
	buffer_load_dword v173, off, s[16:19], 0
	buffer_load_dword v174, off, s[16:19], 0 offset:4
	buffer_load_dword v175, off, s[16:19], 0 offset:8
	;; [unrolled: 1-line block ×3, first 2 shown]
	v_mov_b32_e32 v216, v210
	v_mov_b32_e32 v215, v209
	s_waitcnt lgkmcnt(0)
	v_mul_f64 v[205:206], v[213:214], v[217:218]
	v_fma_f64 v[205:206], v[211:212], v[209:210], -v[205:206]
	v_mul_f64 v[211:212], v[211:212], v[217:218]
	v_fma_f64 v[211:212], v[213:214], v[209:210], v[211:212]
	s_waitcnt vmcnt(2)
	v_add_f64 v[173:174], v[173:174], -v[205:206]
	s_waitcnt vmcnt(0)
	v_add_f64 v[175:176], v[175:176], -v[211:212]
	buffer_store_dword v173, off, s[16:19], 0 ; 4-byte Folded Spill
	buffer_store_dword v174, off, s[16:19], 0 offset:4 ; 4-byte Folded Spill
	buffer_store_dword v175, off, s[16:19], 0 offset:8 ; 4-byte Folded Spill
	buffer_store_dword v176, off, s[16:19], 0 offset:12 ; 4-byte Folded Spill
	ds_read2_b64 v[211:214], v253 offset0:20 offset1:21
	s_waitcnt lgkmcnt(0)
	v_mul_f64 v[205:206], v[213:214], v[217:218]
	v_fma_f64 v[205:206], v[211:212], v[209:210], -v[205:206]
	v_mul_f64 v[211:212], v[211:212], v[217:218]
	v_add_f64 v[169:170], v[169:170], -v[205:206]
	v_fma_f64 v[211:212], v[213:214], v[209:210], v[211:212]
	v_add_f64 v[171:172], v[171:172], -v[211:212]
	ds_read2_b64 v[211:214], v253 offset0:22 offset1:23
	s_waitcnt lgkmcnt(0)
	v_mul_f64 v[205:206], v[213:214], v[217:218]
	v_fma_f64 v[205:206], v[211:212], v[209:210], -v[205:206]
	v_mul_f64 v[211:212], v[211:212], v[217:218]
	v_add_f64 v[165:166], v[165:166], -v[205:206]
	v_fma_f64 v[211:212], v[213:214], v[209:210], v[211:212]
	v_add_f64 v[167:168], v[167:168], -v[211:212]
	;; [unrolled: 8-line block ×42, first 2 shown]
	ds_read2_b64 v[211:214], v253 offset0:104 offset1:105
	s_waitcnt lgkmcnt(0)
	v_mul_f64 v[205:206], v[213:214], v[217:218]
	v_fma_f64 v[205:206], v[211:212], v[209:210], -v[205:206]
	v_mul_f64 v[211:212], v[211:212], v[217:218]
	buffer_store_dword v215, off, s[16:19], 0 offset:128 ; 4-byte Folded Spill
	buffer_store_dword v216, off, s[16:19], 0 offset:132 ; 4-byte Folded Spill
	;; [unrolled: 1-line block ×4, first 2 shown]
	v_add_f64 v[1:2], v[1:2], -v[205:206]
	v_fma_f64 v[211:212], v[213:214], v[209:210], v[211:212]
	v_add_f64 v[3:4], v[3:4], -v[211:212]
.LBB105_19:
	s_or_b32 exec_lo, exec_lo, s1
	s_mov_b32 s2, exec_lo
	s_waitcnt_vscnt null, 0x0
	s_barrier
	buffer_gl0_inv
	v_cmpx_eq_u32_e32 2, v0
	s_cbranch_execz .LBB105_26
; %bb.20:
	s_clause 0x3
	buffer_load_dword v209, off, s[16:19], 0 offset:112
	buffer_load_dword v210, off, s[16:19], 0 offset:116
	;; [unrolled: 1-line block ×4, first 2 shown]
	s_waitcnt vmcnt(0)
	ds_write2_b64 v255, v[209:210], v[211:212] offset1:1
	s_clause 0x3
	buffer_load_dword v209, off, s[16:19], 0 offset:96
	buffer_load_dword v210, off, s[16:19], 0 offset:100
	buffer_load_dword v211, off, s[16:19], 0 offset:104
	buffer_load_dword v212, off, s[16:19], 0 offset:108
	s_waitcnt vmcnt(0)
	ds_write2_b64 v253, v[209:210], v[211:212] offset0:6 offset1:7
	s_clause 0x3
	buffer_load_dword v209, off, s[16:19], 0 offset:80
	buffer_load_dword v210, off, s[16:19], 0 offset:84
	buffer_load_dword v211, off, s[16:19], 0 offset:88
	buffer_load_dword v212, off, s[16:19], 0 offset:92
	s_waitcnt vmcnt(0)
	ds_write2_b64 v253, v[209:210], v[211:212] offset0:8 offset1:9
	;; [unrolled: 7-line block ×6, first 2 shown]
	s_clause 0x3
	buffer_load_dword v173, off, s[16:19], 0
	buffer_load_dword v174, off, s[16:19], 0 offset:4
	buffer_load_dword v175, off, s[16:19], 0 offset:8
	;; [unrolled: 1-line block ×3, first 2 shown]
	s_waitcnt vmcnt(0)
	ds_write2_b64 v253, v[173:174], v[175:176] offset0:18 offset1:19
	ds_write2_b64 v253, v[169:170], v[171:172] offset0:20 offset1:21
	;; [unrolled: 1-line block ×44, first 2 shown]
	ds_read2_b64 v[209:212], v255 offset1:1
	s_waitcnt lgkmcnt(0)
	v_cmp_neq_f64_e32 vcc_lo, 0, v[209:210]
	v_cmp_neq_f64_e64 s1, 0, v[211:212]
	s_or_b32 s1, vcc_lo, s1
	s_and_b32 exec_lo, exec_lo, s1
	s_cbranch_execz .LBB105_26
; %bb.21:
	v_cmp_ngt_f64_e64 s1, |v[209:210]|, |v[211:212]|
                                        ; implicit-def: $vgpr213_vgpr214
	s_and_saveexec_b32 s3, s1
	s_xor_b32 s1, exec_lo, s3
                                        ; implicit-def: $vgpr215_vgpr216
	s_cbranch_execz .LBB105_23
; %bb.22:
	v_div_scale_f64 v[213:214], null, v[211:212], v[211:212], v[209:210]
	v_div_scale_f64 v[219:220], vcc_lo, v[209:210], v[211:212], v[209:210]
	v_rcp_f64_e32 v[215:216], v[213:214]
	v_fma_f64 v[217:218], -v[213:214], v[215:216], 1.0
	v_fma_f64 v[215:216], v[215:216], v[217:218], v[215:216]
	v_fma_f64 v[217:218], -v[213:214], v[215:216], 1.0
	v_fma_f64 v[215:216], v[215:216], v[217:218], v[215:216]
	v_mul_f64 v[217:218], v[219:220], v[215:216]
	v_fma_f64 v[213:214], -v[213:214], v[217:218], v[219:220]
	v_div_fmas_f64 v[213:214], v[213:214], v[215:216], v[217:218]
	v_div_fixup_f64 v[213:214], v[213:214], v[211:212], v[209:210]
	v_fma_f64 v[209:210], v[209:210], v[213:214], v[211:212]
	v_div_scale_f64 v[211:212], null, v[209:210], v[209:210], 1.0
	v_rcp_f64_e32 v[215:216], v[211:212]
	v_fma_f64 v[217:218], -v[211:212], v[215:216], 1.0
	v_fma_f64 v[215:216], v[215:216], v[217:218], v[215:216]
	v_fma_f64 v[217:218], -v[211:212], v[215:216], 1.0
	v_fma_f64 v[215:216], v[215:216], v[217:218], v[215:216]
	v_div_scale_f64 v[217:218], vcc_lo, 1.0, v[209:210], 1.0
	v_mul_f64 v[219:220], v[217:218], v[215:216]
	v_fma_f64 v[211:212], -v[211:212], v[219:220], v[217:218]
	v_div_fmas_f64 v[211:212], v[211:212], v[215:216], v[219:220]
	v_div_fixup_f64 v[215:216], v[211:212], v[209:210], 1.0
                                        ; implicit-def: $vgpr209_vgpr210
	v_mul_f64 v[213:214], v[213:214], v[215:216]
	v_xor_b32_e32 v216, 0x80000000, v216
.LBB105_23:
	s_andn2_saveexec_b32 s1, s1
	s_cbranch_execz .LBB105_25
; %bb.24:
	v_div_scale_f64 v[213:214], null, v[209:210], v[209:210], v[211:212]
	v_div_scale_f64 v[219:220], vcc_lo, v[211:212], v[209:210], v[211:212]
	v_rcp_f64_e32 v[215:216], v[213:214]
	v_fma_f64 v[217:218], -v[213:214], v[215:216], 1.0
	v_fma_f64 v[215:216], v[215:216], v[217:218], v[215:216]
	v_fma_f64 v[217:218], -v[213:214], v[215:216], 1.0
	v_fma_f64 v[215:216], v[215:216], v[217:218], v[215:216]
	v_mul_f64 v[217:218], v[219:220], v[215:216]
	v_fma_f64 v[213:214], -v[213:214], v[217:218], v[219:220]
	v_div_fmas_f64 v[213:214], v[213:214], v[215:216], v[217:218]
	v_div_fixup_f64 v[215:216], v[213:214], v[209:210], v[211:212]
	v_fma_f64 v[209:210], v[211:212], v[215:216], v[209:210]
	v_div_scale_f64 v[211:212], null, v[209:210], v[209:210], 1.0
	v_rcp_f64_e32 v[213:214], v[211:212]
	v_fma_f64 v[217:218], -v[211:212], v[213:214], 1.0
	v_fma_f64 v[213:214], v[213:214], v[217:218], v[213:214]
	v_fma_f64 v[217:218], -v[211:212], v[213:214], 1.0
	v_fma_f64 v[213:214], v[213:214], v[217:218], v[213:214]
	v_div_scale_f64 v[217:218], vcc_lo, 1.0, v[209:210], 1.0
	v_mul_f64 v[219:220], v[217:218], v[213:214]
	v_fma_f64 v[211:212], -v[211:212], v[219:220], v[217:218]
	v_div_fmas_f64 v[211:212], v[211:212], v[213:214], v[219:220]
	v_div_fixup_f64 v[213:214], v[211:212], v[209:210], 1.0
	v_mul_f64 v[215:216], v[215:216], -v[213:214]
.LBB105_25:
	s_or_b32 exec_lo, exec_lo, s1
	ds_write2_b64 v255, v[213:214], v[215:216] offset1:1
.LBB105_26:
	s_or_b32 exec_lo, exec_lo, s2
	s_waitcnt lgkmcnt(0)
	s_barrier
	buffer_gl0_inv
	ds_read2_b64 v[177:180], v255 offset1:1
	s_mov_b32 s1, exec_lo
	s_waitcnt lgkmcnt(0)
	buffer_store_dword v177, off, s[16:19], 0 offset:504 ; 4-byte Folded Spill
	buffer_store_dword v178, off, s[16:19], 0 offset:508 ; 4-byte Folded Spill
	;; [unrolled: 1-line block ×4, first 2 shown]
	v_cmpx_lt_u32_e32 2, v0
	s_cbranch_execz .LBB105_28
; %bb.27:
	s_clause 0x7
	buffer_load_dword v215, off, s[16:19], 0 offset:112
	buffer_load_dword v216, off, s[16:19], 0 offset:116
	;; [unrolled: 1-line block ×8, first 2 shown]
	v_mov_b32_e32 v197, v203
	v_mov_b32_e32 v198, v204
	ds_read2_b64 v[211:214], v253 offset0:6 offset1:7
	v_mov_b32_e32 v206, v202
	v_mov_b32_e32 v205, v201
	s_waitcnt vmcnt(2)
	v_mul_f64 v[203:204], v[177:178], v[217:218]
	s_waitcnt vmcnt(0)
	v_mul_f64 v[209:210], v[179:180], v[217:218]
	v_fma_f64 v[217:218], v[179:180], v[215:216], v[203:204]
	v_mov_b32_e32 v204, v198
	v_fma_f64 v[209:210], v[177:178], v[215:216], -v[209:210]
	v_mov_b32_e32 v203, v197
	s_waitcnt lgkmcnt(0)
	v_mul_f64 v[201:202], v[213:214], v[217:218]
	v_fma_f64 v[201:202], v[211:212], v[209:210], -v[201:202]
	v_mul_f64 v[211:212], v[211:212], v[217:218]
	v_fma_f64 v[211:212], v[213:214], v[209:210], v[211:212]
	s_clause 0x3
	buffer_load_dword v213, off, s[16:19], 0 offset:96
	buffer_load_dword v214, off, s[16:19], 0 offset:100
	buffer_load_dword v215, off, s[16:19], 0 offset:104
	buffer_load_dword v216, off, s[16:19], 0 offset:108
	s_waitcnt vmcnt(2)
	v_add_f64 v[213:214], v[213:214], -v[201:202]
	s_waitcnt vmcnt(0)
	v_add_f64 v[215:216], v[215:216], -v[211:212]
	buffer_store_dword v213, off, s[16:19], 0 offset:96 ; 4-byte Folded Spill
	buffer_store_dword v214, off, s[16:19], 0 offset:100 ; 4-byte Folded Spill
	buffer_store_dword v215, off, s[16:19], 0 offset:104 ; 4-byte Folded Spill
	buffer_store_dword v216, off, s[16:19], 0 offset:108 ; 4-byte Folded Spill
	ds_read2_b64 v[211:214], v253 offset0:8 offset1:9
	s_waitcnt lgkmcnt(0)
	v_mul_f64 v[201:202], v[213:214], v[217:218]
	v_fma_f64 v[201:202], v[211:212], v[209:210], -v[201:202]
	v_mul_f64 v[211:212], v[211:212], v[217:218]
	v_fma_f64 v[211:212], v[213:214], v[209:210], v[211:212]
	s_clause 0x3
	buffer_load_dword v213, off, s[16:19], 0 offset:80
	buffer_load_dword v214, off, s[16:19], 0 offset:84
	buffer_load_dword v215, off, s[16:19], 0 offset:88
	buffer_load_dword v216, off, s[16:19], 0 offset:92
	s_waitcnt vmcnt(2)
	v_add_f64 v[213:214], v[213:214], -v[201:202]
	s_waitcnt vmcnt(0)
	v_add_f64 v[215:216], v[215:216], -v[211:212]
	buffer_store_dword v213, off, s[16:19], 0 offset:80 ; 4-byte Folded Spill
	buffer_store_dword v214, off, s[16:19], 0 offset:84 ; 4-byte Folded Spill
	buffer_store_dword v215, off, s[16:19], 0 offset:88 ; 4-byte Folded Spill
	buffer_store_dword v216, off, s[16:19], 0 offset:92 ; 4-byte Folded Spill
	ds_read2_b64 v[211:214], v253 offset0:10 offset1:11
	;; [unrolled: 19-line block ×6, first 2 shown]
	s_clause 0x3
	buffer_load_dword v173, off, s[16:19], 0
	buffer_load_dword v174, off, s[16:19], 0 offset:4
	buffer_load_dword v175, off, s[16:19], 0 offset:8
	;; [unrolled: 1-line block ×3, first 2 shown]
	v_mov_b32_e32 v216, v210
	v_mov_b32_e32 v215, v209
	s_waitcnt lgkmcnt(0)
	v_mul_f64 v[201:202], v[213:214], v[217:218]
	v_fma_f64 v[201:202], v[211:212], v[209:210], -v[201:202]
	v_mul_f64 v[211:212], v[211:212], v[217:218]
	v_fma_f64 v[211:212], v[213:214], v[209:210], v[211:212]
	s_waitcnt vmcnt(2)
	v_add_f64 v[173:174], v[173:174], -v[201:202]
	s_waitcnt vmcnt(0)
	v_add_f64 v[175:176], v[175:176], -v[211:212]
	buffer_store_dword v173, off, s[16:19], 0 ; 4-byte Folded Spill
	buffer_store_dword v174, off, s[16:19], 0 offset:4 ; 4-byte Folded Spill
	buffer_store_dword v175, off, s[16:19], 0 offset:8 ; 4-byte Folded Spill
	;; [unrolled: 1-line block ×3, first 2 shown]
	ds_read2_b64 v[211:214], v253 offset0:20 offset1:21
	s_waitcnt lgkmcnt(0)
	v_mul_f64 v[201:202], v[213:214], v[217:218]
	v_fma_f64 v[201:202], v[211:212], v[209:210], -v[201:202]
	v_mul_f64 v[211:212], v[211:212], v[217:218]
	v_add_f64 v[169:170], v[169:170], -v[201:202]
	v_fma_f64 v[211:212], v[213:214], v[209:210], v[211:212]
	v_add_f64 v[171:172], v[171:172], -v[211:212]
	ds_read2_b64 v[211:214], v253 offset0:22 offset1:23
	s_waitcnt lgkmcnt(0)
	v_mul_f64 v[201:202], v[213:214], v[217:218]
	v_fma_f64 v[201:202], v[211:212], v[209:210], -v[201:202]
	v_mul_f64 v[211:212], v[211:212], v[217:218]
	v_add_f64 v[165:166], v[165:166], -v[201:202]
	v_fma_f64 v[211:212], v[213:214], v[209:210], v[211:212]
	v_add_f64 v[167:168], v[167:168], -v[211:212]
	ds_read2_b64 v[211:214], v253 offset0:24 offset1:25
	s_waitcnt lgkmcnt(0)
	v_mul_f64 v[201:202], v[213:214], v[217:218]
	v_fma_f64 v[201:202], v[211:212], v[209:210], -v[201:202]
	v_mul_f64 v[211:212], v[211:212], v[217:218]
	v_add_f64 v[161:162], v[161:162], -v[201:202]
	v_fma_f64 v[211:212], v[213:214], v[209:210], v[211:212]
	v_add_f64 v[163:164], v[163:164], -v[211:212]
	ds_read2_b64 v[211:214], v253 offset0:26 offset1:27
	s_waitcnt lgkmcnt(0)
	v_mul_f64 v[201:202], v[213:214], v[217:218]
	v_fma_f64 v[201:202], v[211:212], v[209:210], -v[201:202]
	v_mul_f64 v[211:212], v[211:212], v[217:218]
	v_add_f64 v[157:158], v[157:158], -v[201:202]
	v_fma_f64 v[211:212], v[213:214], v[209:210], v[211:212]
	v_add_f64 v[159:160], v[159:160], -v[211:212]
	ds_read2_b64 v[211:214], v253 offset0:28 offset1:29
	s_waitcnt lgkmcnt(0)
	v_mul_f64 v[201:202], v[213:214], v[217:218]
	v_fma_f64 v[201:202], v[211:212], v[209:210], -v[201:202]
	v_mul_f64 v[211:212], v[211:212], v[217:218]
	v_add_f64 v[153:154], v[153:154], -v[201:202]
	v_fma_f64 v[211:212], v[213:214], v[209:210], v[211:212]
	v_add_f64 v[155:156], v[155:156], -v[211:212]
	ds_read2_b64 v[211:214], v253 offset0:30 offset1:31
	s_waitcnt lgkmcnt(0)
	v_mul_f64 v[201:202], v[213:214], v[217:218]
	v_fma_f64 v[201:202], v[211:212], v[209:210], -v[201:202]
	v_mul_f64 v[211:212], v[211:212], v[217:218]
	v_add_f64 v[149:150], v[149:150], -v[201:202]
	v_fma_f64 v[211:212], v[213:214], v[209:210], v[211:212]
	v_add_f64 v[151:152], v[151:152], -v[211:212]
	ds_read2_b64 v[211:214], v253 offset0:32 offset1:33
	s_waitcnt lgkmcnt(0)
	v_mul_f64 v[201:202], v[213:214], v[217:218]
	v_fma_f64 v[201:202], v[211:212], v[209:210], -v[201:202]
	v_mul_f64 v[211:212], v[211:212], v[217:218]
	v_add_f64 v[145:146], v[145:146], -v[201:202]
	v_fma_f64 v[211:212], v[213:214], v[209:210], v[211:212]
	v_add_f64 v[147:148], v[147:148], -v[211:212]
	ds_read2_b64 v[211:214], v253 offset0:34 offset1:35
	s_waitcnt lgkmcnt(0)
	v_mul_f64 v[201:202], v[213:214], v[217:218]
	v_fma_f64 v[201:202], v[211:212], v[209:210], -v[201:202]
	v_mul_f64 v[211:212], v[211:212], v[217:218]
	v_add_f64 v[141:142], v[141:142], -v[201:202]
	v_fma_f64 v[211:212], v[213:214], v[209:210], v[211:212]
	v_add_f64 v[143:144], v[143:144], -v[211:212]
	ds_read2_b64 v[211:214], v253 offset0:36 offset1:37
	s_waitcnt lgkmcnt(0)
	v_mul_f64 v[201:202], v[213:214], v[217:218]
	v_fma_f64 v[201:202], v[211:212], v[209:210], -v[201:202]
	v_mul_f64 v[211:212], v[211:212], v[217:218]
	v_add_f64 v[137:138], v[137:138], -v[201:202]
	v_fma_f64 v[211:212], v[213:214], v[209:210], v[211:212]
	v_add_f64 v[139:140], v[139:140], -v[211:212]
	ds_read2_b64 v[211:214], v253 offset0:38 offset1:39
	s_waitcnt lgkmcnt(0)
	v_mul_f64 v[201:202], v[213:214], v[217:218]
	v_fma_f64 v[201:202], v[211:212], v[209:210], -v[201:202]
	v_mul_f64 v[211:212], v[211:212], v[217:218]
	v_add_f64 v[133:134], v[133:134], -v[201:202]
	v_fma_f64 v[211:212], v[213:214], v[209:210], v[211:212]
	v_add_f64 v[135:136], v[135:136], -v[211:212]
	ds_read2_b64 v[211:214], v253 offset0:40 offset1:41
	s_waitcnt lgkmcnt(0)
	v_mul_f64 v[201:202], v[213:214], v[217:218]
	v_fma_f64 v[201:202], v[211:212], v[209:210], -v[201:202]
	v_mul_f64 v[211:212], v[211:212], v[217:218]
	v_add_f64 v[129:130], v[129:130], -v[201:202]
	v_fma_f64 v[211:212], v[213:214], v[209:210], v[211:212]
	v_add_f64 v[131:132], v[131:132], -v[211:212]
	ds_read2_b64 v[211:214], v253 offset0:42 offset1:43
	s_waitcnt lgkmcnt(0)
	v_mul_f64 v[201:202], v[213:214], v[217:218]
	v_fma_f64 v[201:202], v[211:212], v[209:210], -v[201:202]
	v_mul_f64 v[211:212], v[211:212], v[217:218]
	v_add_f64 v[125:126], v[125:126], -v[201:202]
	v_fma_f64 v[211:212], v[213:214], v[209:210], v[211:212]
	v_add_f64 v[127:128], v[127:128], -v[211:212]
	ds_read2_b64 v[211:214], v253 offset0:44 offset1:45
	s_waitcnt lgkmcnt(0)
	v_mul_f64 v[201:202], v[213:214], v[217:218]
	v_fma_f64 v[201:202], v[211:212], v[209:210], -v[201:202]
	v_mul_f64 v[211:212], v[211:212], v[217:218]
	v_add_f64 v[121:122], v[121:122], -v[201:202]
	v_fma_f64 v[211:212], v[213:214], v[209:210], v[211:212]
	v_add_f64 v[123:124], v[123:124], -v[211:212]
	ds_read2_b64 v[211:214], v253 offset0:46 offset1:47
	s_waitcnt lgkmcnt(0)
	v_mul_f64 v[201:202], v[213:214], v[217:218]
	v_fma_f64 v[201:202], v[211:212], v[209:210], -v[201:202]
	v_mul_f64 v[211:212], v[211:212], v[217:218]
	v_add_f64 v[117:118], v[117:118], -v[201:202]
	v_fma_f64 v[211:212], v[213:214], v[209:210], v[211:212]
	v_add_f64 v[119:120], v[119:120], -v[211:212]
	ds_read2_b64 v[211:214], v253 offset0:48 offset1:49
	s_waitcnt lgkmcnt(0)
	v_mul_f64 v[201:202], v[213:214], v[217:218]
	v_fma_f64 v[201:202], v[211:212], v[209:210], -v[201:202]
	v_mul_f64 v[211:212], v[211:212], v[217:218]
	v_add_f64 v[113:114], v[113:114], -v[201:202]
	v_fma_f64 v[211:212], v[213:214], v[209:210], v[211:212]
	v_add_f64 v[115:116], v[115:116], -v[211:212]
	ds_read2_b64 v[211:214], v253 offset0:50 offset1:51
	s_waitcnt lgkmcnt(0)
	v_mul_f64 v[201:202], v[213:214], v[217:218]
	v_fma_f64 v[201:202], v[211:212], v[209:210], -v[201:202]
	v_mul_f64 v[211:212], v[211:212], v[217:218]
	v_add_f64 v[109:110], v[109:110], -v[201:202]
	v_fma_f64 v[211:212], v[213:214], v[209:210], v[211:212]
	v_add_f64 v[111:112], v[111:112], -v[211:212]
	ds_read2_b64 v[211:214], v253 offset0:52 offset1:53
	s_waitcnt lgkmcnt(0)
	v_mul_f64 v[201:202], v[213:214], v[217:218]
	v_fma_f64 v[201:202], v[211:212], v[209:210], -v[201:202]
	v_mul_f64 v[211:212], v[211:212], v[217:218]
	v_add_f64 v[105:106], v[105:106], -v[201:202]
	v_fma_f64 v[211:212], v[213:214], v[209:210], v[211:212]
	v_add_f64 v[107:108], v[107:108], -v[211:212]
	ds_read2_b64 v[211:214], v253 offset0:54 offset1:55
	s_waitcnt lgkmcnt(0)
	v_mul_f64 v[201:202], v[213:214], v[217:218]
	v_fma_f64 v[201:202], v[211:212], v[209:210], -v[201:202]
	v_mul_f64 v[211:212], v[211:212], v[217:218]
	v_add_f64 v[101:102], v[101:102], -v[201:202]
	v_fma_f64 v[211:212], v[213:214], v[209:210], v[211:212]
	v_add_f64 v[103:104], v[103:104], -v[211:212]
	ds_read2_b64 v[211:214], v253 offset0:56 offset1:57
	s_waitcnt lgkmcnt(0)
	v_mul_f64 v[201:202], v[213:214], v[217:218]
	v_fma_f64 v[201:202], v[211:212], v[209:210], -v[201:202]
	v_mul_f64 v[211:212], v[211:212], v[217:218]
	v_add_f64 v[97:98], v[97:98], -v[201:202]
	v_fma_f64 v[211:212], v[213:214], v[209:210], v[211:212]
	v_add_f64 v[99:100], v[99:100], -v[211:212]
	ds_read2_b64 v[211:214], v253 offset0:58 offset1:59
	s_waitcnt lgkmcnt(0)
	v_mul_f64 v[201:202], v[213:214], v[217:218]
	v_fma_f64 v[201:202], v[211:212], v[209:210], -v[201:202]
	v_mul_f64 v[211:212], v[211:212], v[217:218]
	v_add_f64 v[93:94], v[93:94], -v[201:202]
	v_fma_f64 v[211:212], v[213:214], v[209:210], v[211:212]
	v_add_f64 v[95:96], v[95:96], -v[211:212]
	ds_read2_b64 v[211:214], v253 offset0:60 offset1:61
	s_waitcnt lgkmcnt(0)
	v_mul_f64 v[201:202], v[213:214], v[217:218]
	v_fma_f64 v[201:202], v[211:212], v[209:210], -v[201:202]
	v_mul_f64 v[211:212], v[211:212], v[217:218]
	v_add_f64 v[89:90], v[89:90], -v[201:202]
	v_fma_f64 v[211:212], v[213:214], v[209:210], v[211:212]
	v_add_f64 v[91:92], v[91:92], -v[211:212]
	ds_read2_b64 v[211:214], v253 offset0:62 offset1:63
	s_waitcnt lgkmcnt(0)
	v_mul_f64 v[201:202], v[213:214], v[217:218]
	v_fma_f64 v[201:202], v[211:212], v[209:210], -v[201:202]
	v_mul_f64 v[211:212], v[211:212], v[217:218]
	v_add_f64 v[85:86], v[85:86], -v[201:202]
	v_fma_f64 v[211:212], v[213:214], v[209:210], v[211:212]
	v_add_f64 v[87:88], v[87:88], -v[211:212]
	ds_read2_b64 v[211:214], v253 offset0:64 offset1:65
	s_waitcnt lgkmcnt(0)
	v_mul_f64 v[201:202], v[213:214], v[217:218]
	v_fma_f64 v[201:202], v[211:212], v[209:210], -v[201:202]
	v_mul_f64 v[211:212], v[211:212], v[217:218]
	v_add_f64 v[81:82], v[81:82], -v[201:202]
	v_fma_f64 v[211:212], v[213:214], v[209:210], v[211:212]
	v_add_f64 v[83:84], v[83:84], -v[211:212]
	ds_read2_b64 v[211:214], v253 offset0:66 offset1:67
	s_waitcnt lgkmcnt(0)
	v_mul_f64 v[201:202], v[213:214], v[217:218]
	v_fma_f64 v[201:202], v[211:212], v[209:210], -v[201:202]
	v_mul_f64 v[211:212], v[211:212], v[217:218]
	v_add_f64 v[77:78], v[77:78], -v[201:202]
	v_fma_f64 v[211:212], v[213:214], v[209:210], v[211:212]
	v_add_f64 v[79:80], v[79:80], -v[211:212]
	ds_read2_b64 v[211:214], v253 offset0:68 offset1:69
	s_waitcnt lgkmcnt(0)
	v_mul_f64 v[201:202], v[213:214], v[217:218]
	v_fma_f64 v[201:202], v[211:212], v[209:210], -v[201:202]
	v_mul_f64 v[211:212], v[211:212], v[217:218]
	v_add_f64 v[73:74], v[73:74], -v[201:202]
	v_fma_f64 v[211:212], v[213:214], v[209:210], v[211:212]
	v_add_f64 v[75:76], v[75:76], -v[211:212]
	ds_read2_b64 v[211:214], v253 offset0:70 offset1:71
	s_waitcnt lgkmcnt(0)
	v_mul_f64 v[201:202], v[213:214], v[217:218]
	v_fma_f64 v[201:202], v[211:212], v[209:210], -v[201:202]
	v_mul_f64 v[211:212], v[211:212], v[217:218]
	v_add_f64 v[69:70], v[69:70], -v[201:202]
	v_fma_f64 v[211:212], v[213:214], v[209:210], v[211:212]
	v_add_f64 v[71:72], v[71:72], -v[211:212]
	ds_read2_b64 v[211:214], v253 offset0:72 offset1:73
	s_waitcnt lgkmcnt(0)
	v_mul_f64 v[201:202], v[213:214], v[217:218]
	v_fma_f64 v[201:202], v[211:212], v[209:210], -v[201:202]
	v_mul_f64 v[211:212], v[211:212], v[217:218]
	v_add_f64 v[65:66], v[65:66], -v[201:202]
	v_fma_f64 v[211:212], v[213:214], v[209:210], v[211:212]
	v_add_f64 v[67:68], v[67:68], -v[211:212]
	ds_read2_b64 v[211:214], v253 offset0:74 offset1:75
	s_waitcnt lgkmcnt(0)
	v_mul_f64 v[201:202], v[213:214], v[217:218]
	v_fma_f64 v[201:202], v[211:212], v[209:210], -v[201:202]
	v_mul_f64 v[211:212], v[211:212], v[217:218]
	v_add_f64 v[61:62], v[61:62], -v[201:202]
	v_fma_f64 v[211:212], v[213:214], v[209:210], v[211:212]
	v_add_f64 v[63:64], v[63:64], -v[211:212]
	ds_read2_b64 v[211:214], v253 offset0:76 offset1:77
	s_waitcnt lgkmcnt(0)
	v_mul_f64 v[201:202], v[213:214], v[217:218]
	v_fma_f64 v[201:202], v[211:212], v[209:210], -v[201:202]
	v_mul_f64 v[211:212], v[211:212], v[217:218]
	v_add_f64 v[57:58], v[57:58], -v[201:202]
	v_fma_f64 v[211:212], v[213:214], v[209:210], v[211:212]
	v_add_f64 v[59:60], v[59:60], -v[211:212]
	ds_read2_b64 v[211:214], v253 offset0:78 offset1:79
	s_waitcnt lgkmcnt(0)
	v_mul_f64 v[201:202], v[213:214], v[217:218]
	v_fma_f64 v[201:202], v[211:212], v[209:210], -v[201:202]
	v_mul_f64 v[211:212], v[211:212], v[217:218]
	v_add_f64 v[53:54], v[53:54], -v[201:202]
	v_fma_f64 v[211:212], v[213:214], v[209:210], v[211:212]
	v_add_f64 v[55:56], v[55:56], -v[211:212]
	ds_read2_b64 v[211:214], v253 offset0:80 offset1:81
	s_waitcnt lgkmcnt(0)
	v_mul_f64 v[201:202], v[213:214], v[217:218]
	v_fma_f64 v[201:202], v[211:212], v[209:210], -v[201:202]
	v_mul_f64 v[211:212], v[211:212], v[217:218]
	v_add_f64 v[49:50], v[49:50], -v[201:202]
	v_fma_f64 v[211:212], v[213:214], v[209:210], v[211:212]
	v_add_f64 v[51:52], v[51:52], -v[211:212]
	ds_read2_b64 v[211:214], v253 offset0:82 offset1:83
	s_waitcnt lgkmcnt(0)
	v_mul_f64 v[201:202], v[213:214], v[217:218]
	v_fma_f64 v[201:202], v[211:212], v[209:210], -v[201:202]
	v_mul_f64 v[211:212], v[211:212], v[217:218]
	v_add_f64 v[45:46], v[45:46], -v[201:202]
	v_fma_f64 v[211:212], v[213:214], v[209:210], v[211:212]
	v_add_f64 v[47:48], v[47:48], -v[211:212]
	ds_read2_b64 v[211:214], v253 offset0:84 offset1:85
	s_waitcnt lgkmcnt(0)
	v_mul_f64 v[201:202], v[213:214], v[217:218]
	v_fma_f64 v[201:202], v[211:212], v[209:210], -v[201:202]
	v_mul_f64 v[211:212], v[211:212], v[217:218]
	v_add_f64 v[41:42], v[41:42], -v[201:202]
	v_fma_f64 v[211:212], v[213:214], v[209:210], v[211:212]
	v_add_f64 v[43:44], v[43:44], -v[211:212]
	ds_read2_b64 v[211:214], v253 offset0:86 offset1:87
	s_waitcnt lgkmcnt(0)
	v_mul_f64 v[201:202], v[213:214], v[217:218]
	v_fma_f64 v[201:202], v[211:212], v[209:210], -v[201:202]
	v_mul_f64 v[211:212], v[211:212], v[217:218]
	v_add_f64 v[37:38], v[37:38], -v[201:202]
	v_fma_f64 v[211:212], v[213:214], v[209:210], v[211:212]
	v_add_f64 v[39:40], v[39:40], -v[211:212]
	ds_read2_b64 v[211:214], v253 offset0:88 offset1:89
	s_waitcnt lgkmcnt(0)
	v_mul_f64 v[201:202], v[213:214], v[217:218]
	v_fma_f64 v[201:202], v[211:212], v[209:210], -v[201:202]
	v_mul_f64 v[211:212], v[211:212], v[217:218]
	v_add_f64 v[33:34], v[33:34], -v[201:202]
	v_fma_f64 v[211:212], v[213:214], v[209:210], v[211:212]
	v_add_f64 v[35:36], v[35:36], -v[211:212]
	ds_read2_b64 v[211:214], v253 offset0:90 offset1:91
	s_waitcnt lgkmcnt(0)
	v_mul_f64 v[201:202], v[213:214], v[217:218]
	v_fma_f64 v[201:202], v[211:212], v[209:210], -v[201:202]
	v_mul_f64 v[211:212], v[211:212], v[217:218]
	v_add_f64 v[29:30], v[29:30], -v[201:202]
	v_fma_f64 v[211:212], v[213:214], v[209:210], v[211:212]
	v_add_f64 v[31:32], v[31:32], -v[211:212]
	ds_read2_b64 v[211:214], v253 offset0:92 offset1:93
	s_waitcnt lgkmcnt(0)
	v_mul_f64 v[201:202], v[213:214], v[217:218]
	v_fma_f64 v[201:202], v[211:212], v[209:210], -v[201:202]
	v_mul_f64 v[211:212], v[211:212], v[217:218]
	v_add_f64 v[25:26], v[25:26], -v[201:202]
	v_fma_f64 v[211:212], v[213:214], v[209:210], v[211:212]
	v_add_f64 v[27:28], v[27:28], -v[211:212]
	ds_read2_b64 v[211:214], v253 offset0:94 offset1:95
	s_waitcnt lgkmcnt(0)
	v_mul_f64 v[201:202], v[213:214], v[217:218]
	v_fma_f64 v[201:202], v[211:212], v[209:210], -v[201:202]
	v_mul_f64 v[211:212], v[211:212], v[217:218]
	v_add_f64 v[21:22], v[21:22], -v[201:202]
	v_fma_f64 v[211:212], v[213:214], v[209:210], v[211:212]
	v_add_f64 v[23:24], v[23:24], -v[211:212]
	ds_read2_b64 v[211:214], v253 offset0:96 offset1:97
	s_waitcnt lgkmcnt(0)
	v_mul_f64 v[201:202], v[213:214], v[217:218]
	v_fma_f64 v[201:202], v[211:212], v[209:210], -v[201:202]
	v_mul_f64 v[211:212], v[211:212], v[217:218]
	v_add_f64 v[17:18], v[17:18], -v[201:202]
	v_fma_f64 v[211:212], v[213:214], v[209:210], v[211:212]
	v_add_f64 v[19:20], v[19:20], -v[211:212]
	ds_read2_b64 v[211:214], v253 offset0:98 offset1:99
	s_waitcnt lgkmcnt(0)
	v_mul_f64 v[201:202], v[213:214], v[217:218]
	v_fma_f64 v[201:202], v[211:212], v[209:210], -v[201:202]
	v_mul_f64 v[211:212], v[211:212], v[217:218]
	v_add_f64 v[13:14], v[13:14], -v[201:202]
	v_fma_f64 v[211:212], v[213:214], v[209:210], v[211:212]
	v_add_f64 v[15:16], v[15:16], -v[211:212]
	ds_read2_b64 v[211:214], v253 offset0:100 offset1:101
	s_waitcnt lgkmcnt(0)
	v_mul_f64 v[201:202], v[213:214], v[217:218]
	v_fma_f64 v[201:202], v[211:212], v[209:210], -v[201:202]
	v_mul_f64 v[211:212], v[211:212], v[217:218]
	v_add_f64 v[9:10], v[9:10], -v[201:202]
	v_fma_f64 v[211:212], v[213:214], v[209:210], v[211:212]
	v_add_f64 v[11:12], v[11:12], -v[211:212]
	ds_read2_b64 v[211:214], v253 offset0:102 offset1:103
	s_waitcnt lgkmcnt(0)
	v_mul_f64 v[201:202], v[213:214], v[217:218]
	v_fma_f64 v[201:202], v[211:212], v[209:210], -v[201:202]
	v_mul_f64 v[211:212], v[211:212], v[217:218]
	v_add_f64 v[5:6], v[5:6], -v[201:202]
	v_fma_f64 v[211:212], v[213:214], v[209:210], v[211:212]
	v_add_f64 v[7:8], v[7:8], -v[211:212]
	ds_read2_b64 v[211:214], v253 offset0:104 offset1:105
	s_waitcnt lgkmcnt(0)
	v_mul_f64 v[201:202], v[213:214], v[217:218]
	v_fma_f64 v[201:202], v[211:212], v[209:210], -v[201:202]
	v_mul_f64 v[211:212], v[211:212], v[217:218]
	buffer_store_dword v215, off, s[16:19], 0 offset:112 ; 4-byte Folded Spill
	buffer_store_dword v216, off, s[16:19], 0 offset:116 ; 4-byte Folded Spill
	;; [unrolled: 1-line block ×4, first 2 shown]
	v_add_f64 v[1:2], v[1:2], -v[201:202]
	v_fma_f64 v[211:212], v[213:214], v[209:210], v[211:212]
	v_mov_b32_e32 v201, v205
	v_mov_b32_e32 v202, v206
	v_add_f64 v[3:4], v[3:4], -v[211:212]
.LBB105_28:
	s_or_b32 exec_lo, exec_lo, s1
	s_mov_b32 s2, exec_lo
	s_waitcnt_vscnt null, 0x0
	s_barrier
	buffer_gl0_inv
	v_cmpx_eq_u32_e32 3, v0
	s_cbranch_execz .LBB105_35
; %bb.29:
	s_clause 0x3
	buffer_load_dword v209, off, s[16:19], 0 offset:96
	buffer_load_dword v210, off, s[16:19], 0 offset:100
	;; [unrolled: 1-line block ×4, first 2 shown]
	s_waitcnt vmcnt(0)
	ds_write2_b64 v255, v[209:210], v[211:212] offset1:1
	s_clause 0x3
	buffer_load_dword v209, off, s[16:19], 0 offset:80
	buffer_load_dword v210, off, s[16:19], 0 offset:84
	buffer_load_dword v211, off, s[16:19], 0 offset:88
	buffer_load_dword v212, off, s[16:19], 0 offset:92
	s_waitcnt vmcnt(0)
	ds_write2_b64 v253, v[209:210], v[211:212] offset0:8 offset1:9
	s_clause 0x3
	buffer_load_dword v209, off, s[16:19], 0 offset:64
	buffer_load_dword v210, off, s[16:19], 0 offset:68
	buffer_load_dword v211, off, s[16:19], 0 offset:72
	buffer_load_dword v212, off, s[16:19], 0 offset:76
	s_waitcnt vmcnt(0)
	ds_write2_b64 v253, v[209:210], v[211:212] offset0:10 offset1:11
	;; [unrolled: 7-line block ×5, first 2 shown]
	s_clause 0x3
	buffer_load_dword v173, off, s[16:19], 0
	buffer_load_dword v174, off, s[16:19], 0 offset:4
	buffer_load_dword v175, off, s[16:19], 0 offset:8
	;; [unrolled: 1-line block ×3, first 2 shown]
	s_waitcnt vmcnt(0)
	ds_write2_b64 v253, v[173:174], v[175:176] offset0:18 offset1:19
	ds_write2_b64 v253, v[169:170], v[171:172] offset0:20 offset1:21
	;; [unrolled: 1-line block ×44, first 2 shown]
	ds_read2_b64 v[209:212], v255 offset1:1
	s_waitcnt lgkmcnt(0)
	v_cmp_neq_f64_e32 vcc_lo, 0, v[209:210]
	v_cmp_neq_f64_e64 s1, 0, v[211:212]
	s_or_b32 s1, vcc_lo, s1
	s_and_b32 exec_lo, exec_lo, s1
	s_cbranch_execz .LBB105_35
; %bb.30:
	v_cmp_ngt_f64_e64 s1, |v[209:210]|, |v[211:212]|
                                        ; implicit-def: $vgpr213_vgpr214
	s_and_saveexec_b32 s3, s1
	s_xor_b32 s1, exec_lo, s3
                                        ; implicit-def: $vgpr215_vgpr216
	s_cbranch_execz .LBB105_32
; %bb.31:
	v_div_scale_f64 v[213:214], null, v[211:212], v[211:212], v[209:210]
	v_div_scale_f64 v[219:220], vcc_lo, v[209:210], v[211:212], v[209:210]
	v_rcp_f64_e32 v[215:216], v[213:214]
	v_fma_f64 v[217:218], -v[213:214], v[215:216], 1.0
	v_fma_f64 v[215:216], v[215:216], v[217:218], v[215:216]
	v_fma_f64 v[217:218], -v[213:214], v[215:216], 1.0
	v_fma_f64 v[215:216], v[215:216], v[217:218], v[215:216]
	v_mul_f64 v[217:218], v[219:220], v[215:216]
	v_fma_f64 v[213:214], -v[213:214], v[217:218], v[219:220]
	v_div_fmas_f64 v[213:214], v[213:214], v[215:216], v[217:218]
	v_div_fixup_f64 v[213:214], v[213:214], v[211:212], v[209:210]
	v_fma_f64 v[209:210], v[209:210], v[213:214], v[211:212]
	v_div_scale_f64 v[211:212], null, v[209:210], v[209:210], 1.0
	v_rcp_f64_e32 v[215:216], v[211:212]
	v_fma_f64 v[217:218], -v[211:212], v[215:216], 1.0
	v_fma_f64 v[215:216], v[215:216], v[217:218], v[215:216]
	v_fma_f64 v[217:218], -v[211:212], v[215:216], 1.0
	v_fma_f64 v[215:216], v[215:216], v[217:218], v[215:216]
	v_div_scale_f64 v[217:218], vcc_lo, 1.0, v[209:210], 1.0
	v_mul_f64 v[219:220], v[217:218], v[215:216]
	v_fma_f64 v[211:212], -v[211:212], v[219:220], v[217:218]
	v_div_fmas_f64 v[211:212], v[211:212], v[215:216], v[219:220]
	v_div_fixup_f64 v[215:216], v[211:212], v[209:210], 1.0
                                        ; implicit-def: $vgpr209_vgpr210
	v_mul_f64 v[213:214], v[213:214], v[215:216]
	v_xor_b32_e32 v216, 0x80000000, v216
.LBB105_32:
	s_andn2_saveexec_b32 s1, s1
	s_cbranch_execz .LBB105_34
; %bb.33:
	v_div_scale_f64 v[213:214], null, v[209:210], v[209:210], v[211:212]
	v_div_scale_f64 v[219:220], vcc_lo, v[211:212], v[209:210], v[211:212]
	v_rcp_f64_e32 v[215:216], v[213:214]
	v_fma_f64 v[217:218], -v[213:214], v[215:216], 1.0
	v_fma_f64 v[215:216], v[215:216], v[217:218], v[215:216]
	v_fma_f64 v[217:218], -v[213:214], v[215:216], 1.0
	v_fma_f64 v[215:216], v[215:216], v[217:218], v[215:216]
	v_mul_f64 v[217:218], v[219:220], v[215:216]
	v_fma_f64 v[213:214], -v[213:214], v[217:218], v[219:220]
	v_div_fmas_f64 v[213:214], v[213:214], v[215:216], v[217:218]
	v_div_fixup_f64 v[215:216], v[213:214], v[209:210], v[211:212]
	v_fma_f64 v[209:210], v[211:212], v[215:216], v[209:210]
	v_div_scale_f64 v[211:212], null, v[209:210], v[209:210], 1.0
	v_rcp_f64_e32 v[213:214], v[211:212]
	v_fma_f64 v[217:218], -v[211:212], v[213:214], 1.0
	v_fma_f64 v[213:214], v[213:214], v[217:218], v[213:214]
	v_fma_f64 v[217:218], -v[211:212], v[213:214], 1.0
	v_fma_f64 v[213:214], v[213:214], v[217:218], v[213:214]
	v_div_scale_f64 v[217:218], vcc_lo, 1.0, v[209:210], 1.0
	v_mul_f64 v[219:220], v[217:218], v[213:214]
	v_fma_f64 v[211:212], -v[211:212], v[219:220], v[217:218]
	v_div_fmas_f64 v[211:212], v[211:212], v[213:214], v[219:220]
	v_div_fixup_f64 v[213:214], v[211:212], v[209:210], 1.0
	v_mul_f64 v[215:216], v[215:216], -v[213:214]
.LBB105_34:
	s_or_b32 exec_lo, exec_lo, s1
	ds_write2_b64 v255, v[213:214], v[215:216] offset1:1
.LBB105_35:
	s_or_b32 exec_lo, exec_lo, s2
	s_waitcnt lgkmcnt(0)
	s_barrier
	buffer_gl0_inv
	ds_read2_b64 v[177:180], v255 offset1:1
	s_mov_b32 s1, exec_lo
	s_waitcnt lgkmcnt(0)
	buffer_store_dword v177, off, s[16:19], 0 offset:520 ; 4-byte Folded Spill
	buffer_store_dword v178, off, s[16:19], 0 offset:524 ; 4-byte Folded Spill
	buffer_store_dword v179, off, s[16:19], 0 offset:528 ; 4-byte Folded Spill
	buffer_store_dword v180, off, s[16:19], 0 offset:532 ; 4-byte Folded Spill
	v_cmpx_lt_u32_e32 3, v0
	s_cbranch_execz .LBB105_37
; %bb.36:
	s_clause 0x7
	buffer_load_dword v215, off, s[16:19], 0 offset:96
	buffer_load_dword v216, off, s[16:19], 0 offset:100
	;; [unrolled: 1-line block ×8, first 2 shown]
	ds_read2_b64 v[211:214], v253 offset0:8 offset1:9
	s_waitcnt vmcnt(2)
	v_mul_f64 v[199:200], v[177:178], v[217:218]
	s_waitcnt vmcnt(0)
	v_mul_f64 v[209:210], v[179:180], v[217:218]
	v_fma_f64 v[217:218], v[179:180], v[215:216], v[199:200]
	v_fma_f64 v[209:210], v[177:178], v[215:216], -v[209:210]
	s_waitcnt lgkmcnt(0)
	v_mul_f64 v[197:198], v[213:214], v[217:218]
	v_fma_f64 v[197:198], v[211:212], v[209:210], -v[197:198]
	v_mul_f64 v[211:212], v[211:212], v[217:218]
	v_fma_f64 v[211:212], v[213:214], v[209:210], v[211:212]
	s_clause 0x3
	buffer_load_dword v213, off, s[16:19], 0 offset:80
	buffer_load_dword v214, off, s[16:19], 0 offset:84
	buffer_load_dword v215, off, s[16:19], 0 offset:88
	buffer_load_dword v216, off, s[16:19], 0 offset:92
	s_waitcnt vmcnt(2)
	v_add_f64 v[213:214], v[213:214], -v[197:198]
	s_waitcnt vmcnt(0)
	v_add_f64 v[215:216], v[215:216], -v[211:212]
	buffer_store_dword v213, off, s[16:19], 0 offset:80 ; 4-byte Folded Spill
	buffer_store_dword v214, off, s[16:19], 0 offset:84 ; 4-byte Folded Spill
	buffer_store_dword v215, off, s[16:19], 0 offset:88 ; 4-byte Folded Spill
	buffer_store_dword v216, off, s[16:19], 0 offset:92 ; 4-byte Folded Spill
	ds_read2_b64 v[211:214], v253 offset0:10 offset1:11
	s_waitcnt lgkmcnt(0)
	v_mul_f64 v[197:198], v[213:214], v[217:218]
	v_fma_f64 v[197:198], v[211:212], v[209:210], -v[197:198]
	v_mul_f64 v[211:212], v[211:212], v[217:218]
	v_fma_f64 v[211:212], v[213:214], v[209:210], v[211:212]
	s_clause 0x3
	buffer_load_dword v213, off, s[16:19], 0 offset:64
	buffer_load_dword v214, off, s[16:19], 0 offset:68
	buffer_load_dword v215, off, s[16:19], 0 offset:72
	buffer_load_dword v216, off, s[16:19], 0 offset:76
	s_waitcnt vmcnt(2)
	v_add_f64 v[213:214], v[213:214], -v[197:198]
	s_waitcnt vmcnt(0)
	v_add_f64 v[215:216], v[215:216], -v[211:212]
	buffer_store_dword v213, off, s[16:19], 0 offset:64 ; 4-byte Folded Spill
	buffer_store_dword v214, off, s[16:19], 0 offset:68 ; 4-byte Folded Spill
	buffer_store_dword v215, off, s[16:19], 0 offset:72 ; 4-byte Folded Spill
	buffer_store_dword v216, off, s[16:19], 0 offset:76 ; 4-byte Folded Spill
	ds_read2_b64 v[211:214], v253 offset0:12 offset1:13
	;; [unrolled: 19-line block ×5, first 2 shown]
	s_clause 0x3
	buffer_load_dword v173, off, s[16:19], 0
	buffer_load_dword v174, off, s[16:19], 0 offset:4
	buffer_load_dword v175, off, s[16:19], 0 offset:8
	;; [unrolled: 1-line block ×3, first 2 shown]
	v_mov_b32_e32 v216, v210
	v_mov_b32_e32 v215, v209
	s_waitcnt lgkmcnt(0)
	v_mul_f64 v[197:198], v[213:214], v[217:218]
	v_fma_f64 v[197:198], v[211:212], v[209:210], -v[197:198]
	v_mul_f64 v[211:212], v[211:212], v[217:218]
	v_fma_f64 v[211:212], v[213:214], v[209:210], v[211:212]
	s_waitcnt vmcnt(2)
	v_add_f64 v[173:174], v[173:174], -v[197:198]
	s_waitcnt vmcnt(0)
	v_add_f64 v[175:176], v[175:176], -v[211:212]
	buffer_store_dword v173, off, s[16:19], 0 ; 4-byte Folded Spill
	buffer_store_dword v174, off, s[16:19], 0 offset:4 ; 4-byte Folded Spill
	buffer_store_dword v175, off, s[16:19], 0 offset:8 ; 4-byte Folded Spill
	;; [unrolled: 1-line block ×3, first 2 shown]
	ds_read2_b64 v[211:214], v253 offset0:20 offset1:21
	s_waitcnt lgkmcnt(0)
	v_mul_f64 v[197:198], v[213:214], v[217:218]
	v_fma_f64 v[197:198], v[211:212], v[209:210], -v[197:198]
	v_mul_f64 v[211:212], v[211:212], v[217:218]
	v_add_f64 v[169:170], v[169:170], -v[197:198]
	v_fma_f64 v[211:212], v[213:214], v[209:210], v[211:212]
	v_add_f64 v[171:172], v[171:172], -v[211:212]
	ds_read2_b64 v[211:214], v253 offset0:22 offset1:23
	s_waitcnt lgkmcnt(0)
	v_mul_f64 v[197:198], v[213:214], v[217:218]
	v_fma_f64 v[197:198], v[211:212], v[209:210], -v[197:198]
	v_mul_f64 v[211:212], v[211:212], v[217:218]
	v_add_f64 v[165:166], v[165:166], -v[197:198]
	v_fma_f64 v[211:212], v[213:214], v[209:210], v[211:212]
	v_add_f64 v[167:168], v[167:168], -v[211:212]
	;; [unrolled: 8-line block ×42, first 2 shown]
	ds_read2_b64 v[211:214], v253 offset0:104 offset1:105
	s_waitcnt lgkmcnt(0)
	v_mul_f64 v[197:198], v[213:214], v[217:218]
	v_fma_f64 v[197:198], v[211:212], v[209:210], -v[197:198]
	v_mul_f64 v[211:212], v[211:212], v[217:218]
	buffer_store_dword v215, off, s[16:19], 0 offset:96 ; 4-byte Folded Spill
	buffer_store_dword v216, off, s[16:19], 0 offset:100 ; 4-byte Folded Spill
	;; [unrolled: 1-line block ×4, first 2 shown]
	v_add_f64 v[1:2], v[1:2], -v[197:198]
	v_fma_f64 v[211:212], v[213:214], v[209:210], v[211:212]
	v_add_f64 v[3:4], v[3:4], -v[211:212]
.LBB105_37:
	s_or_b32 exec_lo, exec_lo, s1
	s_mov_b32 s2, exec_lo
	s_waitcnt_vscnt null, 0x0
	s_barrier
	buffer_gl0_inv
	v_cmpx_eq_u32_e32 4, v0
	s_cbranch_execz .LBB105_44
; %bb.38:
	s_clause 0x3
	buffer_load_dword v209, off, s[16:19], 0 offset:80
	buffer_load_dword v210, off, s[16:19], 0 offset:84
	;; [unrolled: 1-line block ×4, first 2 shown]
	s_waitcnt vmcnt(0)
	ds_write2_b64 v255, v[209:210], v[211:212] offset1:1
	s_clause 0x3
	buffer_load_dword v209, off, s[16:19], 0 offset:64
	buffer_load_dword v210, off, s[16:19], 0 offset:68
	buffer_load_dword v211, off, s[16:19], 0 offset:72
	buffer_load_dword v212, off, s[16:19], 0 offset:76
	s_waitcnt vmcnt(0)
	ds_write2_b64 v253, v[209:210], v[211:212] offset0:10 offset1:11
	s_clause 0x3
	buffer_load_dword v209, off, s[16:19], 0 offset:48
	buffer_load_dword v210, off, s[16:19], 0 offset:52
	buffer_load_dword v211, off, s[16:19], 0 offset:56
	buffer_load_dword v212, off, s[16:19], 0 offset:60
	s_waitcnt vmcnt(0)
	ds_write2_b64 v253, v[209:210], v[211:212] offset0:12 offset1:13
	;; [unrolled: 7-line block ×4, first 2 shown]
	s_clause 0x3
	buffer_load_dword v173, off, s[16:19], 0
	buffer_load_dword v174, off, s[16:19], 0 offset:4
	buffer_load_dword v175, off, s[16:19], 0 offset:8
	;; [unrolled: 1-line block ×3, first 2 shown]
	s_waitcnt vmcnt(0)
	ds_write2_b64 v253, v[173:174], v[175:176] offset0:18 offset1:19
	ds_write2_b64 v253, v[169:170], v[171:172] offset0:20 offset1:21
	;; [unrolled: 1-line block ×44, first 2 shown]
	ds_read2_b64 v[209:212], v255 offset1:1
	s_waitcnt lgkmcnt(0)
	v_cmp_neq_f64_e32 vcc_lo, 0, v[209:210]
	v_cmp_neq_f64_e64 s1, 0, v[211:212]
	s_or_b32 s1, vcc_lo, s1
	s_and_b32 exec_lo, exec_lo, s1
	s_cbranch_execz .LBB105_44
; %bb.39:
	v_cmp_ngt_f64_e64 s1, |v[209:210]|, |v[211:212]|
                                        ; implicit-def: $vgpr213_vgpr214
	s_and_saveexec_b32 s3, s1
	s_xor_b32 s1, exec_lo, s3
                                        ; implicit-def: $vgpr215_vgpr216
	s_cbranch_execz .LBB105_41
; %bb.40:
	v_div_scale_f64 v[213:214], null, v[211:212], v[211:212], v[209:210]
	v_div_scale_f64 v[219:220], vcc_lo, v[209:210], v[211:212], v[209:210]
	v_rcp_f64_e32 v[215:216], v[213:214]
	v_fma_f64 v[217:218], -v[213:214], v[215:216], 1.0
	v_fma_f64 v[215:216], v[215:216], v[217:218], v[215:216]
	v_fma_f64 v[217:218], -v[213:214], v[215:216], 1.0
	v_fma_f64 v[215:216], v[215:216], v[217:218], v[215:216]
	v_mul_f64 v[217:218], v[219:220], v[215:216]
	v_fma_f64 v[213:214], -v[213:214], v[217:218], v[219:220]
	v_div_fmas_f64 v[213:214], v[213:214], v[215:216], v[217:218]
	v_div_fixup_f64 v[213:214], v[213:214], v[211:212], v[209:210]
	v_fma_f64 v[209:210], v[209:210], v[213:214], v[211:212]
	v_div_scale_f64 v[211:212], null, v[209:210], v[209:210], 1.0
	v_rcp_f64_e32 v[215:216], v[211:212]
	v_fma_f64 v[217:218], -v[211:212], v[215:216], 1.0
	v_fma_f64 v[215:216], v[215:216], v[217:218], v[215:216]
	v_fma_f64 v[217:218], -v[211:212], v[215:216], 1.0
	v_fma_f64 v[215:216], v[215:216], v[217:218], v[215:216]
	v_div_scale_f64 v[217:218], vcc_lo, 1.0, v[209:210], 1.0
	v_mul_f64 v[219:220], v[217:218], v[215:216]
	v_fma_f64 v[211:212], -v[211:212], v[219:220], v[217:218]
	v_div_fmas_f64 v[211:212], v[211:212], v[215:216], v[219:220]
	v_div_fixup_f64 v[215:216], v[211:212], v[209:210], 1.0
                                        ; implicit-def: $vgpr209_vgpr210
	v_mul_f64 v[213:214], v[213:214], v[215:216]
	v_xor_b32_e32 v216, 0x80000000, v216
.LBB105_41:
	s_andn2_saveexec_b32 s1, s1
	s_cbranch_execz .LBB105_43
; %bb.42:
	v_div_scale_f64 v[213:214], null, v[209:210], v[209:210], v[211:212]
	v_div_scale_f64 v[219:220], vcc_lo, v[211:212], v[209:210], v[211:212]
	v_rcp_f64_e32 v[215:216], v[213:214]
	v_fma_f64 v[217:218], -v[213:214], v[215:216], 1.0
	v_fma_f64 v[215:216], v[215:216], v[217:218], v[215:216]
	v_fma_f64 v[217:218], -v[213:214], v[215:216], 1.0
	v_fma_f64 v[215:216], v[215:216], v[217:218], v[215:216]
	v_mul_f64 v[217:218], v[219:220], v[215:216]
	v_fma_f64 v[213:214], -v[213:214], v[217:218], v[219:220]
	v_div_fmas_f64 v[213:214], v[213:214], v[215:216], v[217:218]
	v_div_fixup_f64 v[215:216], v[213:214], v[209:210], v[211:212]
	v_fma_f64 v[209:210], v[211:212], v[215:216], v[209:210]
	v_div_scale_f64 v[211:212], null, v[209:210], v[209:210], 1.0
	v_rcp_f64_e32 v[213:214], v[211:212]
	v_fma_f64 v[217:218], -v[211:212], v[213:214], 1.0
	v_fma_f64 v[213:214], v[213:214], v[217:218], v[213:214]
	v_fma_f64 v[217:218], -v[211:212], v[213:214], 1.0
	v_fma_f64 v[213:214], v[213:214], v[217:218], v[213:214]
	v_div_scale_f64 v[217:218], vcc_lo, 1.0, v[209:210], 1.0
	v_mul_f64 v[219:220], v[217:218], v[213:214]
	v_fma_f64 v[211:212], -v[211:212], v[219:220], v[217:218]
	v_div_fmas_f64 v[211:212], v[211:212], v[213:214], v[219:220]
	v_div_fixup_f64 v[213:214], v[211:212], v[209:210], 1.0
	v_mul_f64 v[215:216], v[215:216], -v[213:214]
.LBB105_43:
	s_or_b32 exec_lo, exec_lo, s1
	ds_write2_b64 v255, v[213:214], v[215:216] offset1:1
.LBB105_44:
	s_or_b32 exec_lo, exec_lo, s2
	s_waitcnt lgkmcnt(0)
	s_barrier
	buffer_gl0_inv
	ds_read2_b64 v[177:180], v255 offset1:1
	s_mov_b32 s1, exec_lo
	s_waitcnt lgkmcnt(0)
	buffer_store_dword v177, off, s[16:19], 0 offset:536 ; 4-byte Folded Spill
	buffer_store_dword v178, off, s[16:19], 0 offset:540 ; 4-byte Folded Spill
	;; [unrolled: 1-line block ×4, first 2 shown]
	v_cmpx_lt_u32_e32 4, v0
	s_cbranch_execz .LBB105_46
; %bb.45:
	s_clause 0x7
	buffer_load_dword v215, off, s[16:19], 0 offset:80
	buffer_load_dword v216, off, s[16:19], 0 offset:84
	;; [unrolled: 1-line block ×8, first 2 shown]
	v_mov_b32_e32 v198, v196
	v_mov_b32_e32 v197, v195
	ds_read2_b64 v[211:214], v253 offset0:10 offset1:11
	s_waitcnt vmcnt(2)
	v_mul_f64 v[195:196], v[177:178], v[217:218]
	s_waitcnt vmcnt(0)
	v_mul_f64 v[209:210], v[179:180], v[217:218]
	v_fma_f64 v[217:218], v[179:180], v[215:216], v[195:196]
	v_mov_b32_e32 v195, v197
	v_fma_f64 v[209:210], v[177:178], v[215:216], -v[209:210]
	v_mov_b32_e32 v196, v198
	s_waitcnt lgkmcnt(0)
	v_mul_f64 v[193:194], v[213:214], v[217:218]
	v_fma_f64 v[193:194], v[211:212], v[209:210], -v[193:194]
	v_mul_f64 v[211:212], v[211:212], v[217:218]
	v_fma_f64 v[211:212], v[213:214], v[209:210], v[211:212]
	s_clause 0x3
	buffer_load_dword v213, off, s[16:19], 0 offset:64
	buffer_load_dword v214, off, s[16:19], 0 offset:68
	buffer_load_dword v215, off, s[16:19], 0 offset:72
	buffer_load_dword v216, off, s[16:19], 0 offset:76
	s_waitcnt vmcnt(2)
	v_add_f64 v[213:214], v[213:214], -v[193:194]
	s_waitcnt vmcnt(0)
	v_add_f64 v[215:216], v[215:216], -v[211:212]
	buffer_store_dword v213, off, s[16:19], 0 offset:64 ; 4-byte Folded Spill
	buffer_store_dword v214, off, s[16:19], 0 offset:68 ; 4-byte Folded Spill
	buffer_store_dword v215, off, s[16:19], 0 offset:72 ; 4-byte Folded Spill
	buffer_store_dword v216, off, s[16:19], 0 offset:76 ; 4-byte Folded Spill
	ds_read2_b64 v[211:214], v253 offset0:12 offset1:13
	s_waitcnt lgkmcnt(0)
	v_mul_f64 v[193:194], v[213:214], v[217:218]
	v_fma_f64 v[193:194], v[211:212], v[209:210], -v[193:194]
	v_mul_f64 v[211:212], v[211:212], v[217:218]
	v_fma_f64 v[211:212], v[213:214], v[209:210], v[211:212]
	s_clause 0x3
	buffer_load_dword v213, off, s[16:19], 0 offset:48
	buffer_load_dword v214, off, s[16:19], 0 offset:52
	buffer_load_dword v215, off, s[16:19], 0 offset:56
	buffer_load_dword v216, off, s[16:19], 0 offset:60
	s_waitcnt vmcnt(2)
	v_add_f64 v[213:214], v[213:214], -v[193:194]
	s_waitcnt vmcnt(0)
	v_add_f64 v[215:216], v[215:216], -v[211:212]
	buffer_store_dword v213, off, s[16:19], 0 offset:48 ; 4-byte Folded Spill
	buffer_store_dword v214, off, s[16:19], 0 offset:52 ; 4-byte Folded Spill
	buffer_store_dword v215, off, s[16:19], 0 offset:56 ; 4-byte Folded Spill
	buffer_store_dword v216, off, s[16:19], 0 offset:60 ; 4-byte Folded Spill
	ds_read2_b64 v[211:214], v253 offset0:14 offset1:15
	;; [unrolled: 19-line block ×4, first 2 shown]
	s_clause 0x3
	buffer_load_dword v173, off, s[16:19], 0
	buffer_load_dword v174, off, s[16:19], 0 offset:4
	buffer_load_dword v175, off, s[16:19], 0 offset:8
	;; [unrolled: 1-line block ×3, first 2 shown]
	v_mov_b32_e32 v216, v210
	v_mov_b32_e32 v215, v209
	s_waitcnt lgkmcnt(0)
	v_mul_f64 v[193:194], v[213:214], v[217:218]
	v_fma_f64 v[193:194], v[211:212], v[209:210], -v[193:194]
	v_mul_f64 v[211:212], v[211:212], v[217:218]
	v_fma_f64 v[211:212], v[213:214], v[209:210], v[211:212]
	s_waitcnt vmcnt(2)
	v_add_f64 v[173:174], v[173:174], -v[193:194]
	s_waitcnt vmcnt(0)
	v_add_f64 v[175:176], v[175:176], -v[211:212]
	buffer_store_dword v173, off, s[16:19], 0 ; 4-byte Folded Spill
	buffer_store_dword v174, off, s[16:19], 0 offset:4 ; 4-byte Folded Spill
	buffer_store_dword v175, off, s[16:19], 0 offset:8 ; 4-byte Folded Spill
	;; [unrolled: 1-line block ×3, first 2 shown]
	ds_read2_b64 v[211:214], v253 offset0:20 offset1:21
	s_waitcnt lgkmcnt(0)
	v_mul_f64 v[193:194], v[213:214], v[217:218]
	v_fma_f64 v[193:194], v[211:212], v[209:210], -v[193:194]
	v_mul_f64 v[211:212], v[211:212], v[217:218]
	v_add_f64 v[169:170], v[169:170], -v[193:194]
	v_fma_f64 v[211:212], v[213:214], v[209:210], v[211:212]
	v_add_f64 v[171:172], v[171:172], -v[211:212]
	ds_read2_b64 v[211:214], v253 offset0:22 offset1:23
	s_waitcnt lgkmcnt(0)
	v_mul_f64 v[193:194], v[213:214], v[217:218]
	v_fma_f64 v[193:194], v[211:212], v[209:210], -v[193:194]
	v_mul_f64 v[211:212], v[211:212], v[217:218]
	v_add_f64 v[165:166], v[165:166], -v[193:194]
	v_fma_f64 v[211:212], v[213:214], v[209:210], v[211:212]
	v_add_f64 v[167:168], v[167:168], -v[211:212]
	;; [unrolled: 8-line block ×42, first 2 shown]
	ds_read2_b64 v[211:214], v253 offset0:104 offset1:105
	s_waitcnt lgkmcnt(0)
	v_mul_f64 v[193:194], v[213:214], v[217:218]
	v_fma_f64 v[193:194], v[211:212], v[209:210], -v[193:194]
	v_mul_f64 v[211:212], v[211:212], v[217:218]
	buffer_store_dword v215, off, s[16:19], 0 offset:80 ; 4-byte Folded Spill
	buffer_store_dword v216, off, s[16:19], 0 offset:84 ; 4-byte Folded Spill
	;; [unrolled: 1-line block ×4, first 2 shown]
	v_add_f64 v[1:2], v[1:2], -v[193:194]
	v_fma_f64 v[211:212], v[213:214], v[209:210], v[211:212]
	v_add_f64 v[3:4], v[3:4], -v[211:212]
.LBB105_46:
	s_or_b32 exec_lo, exec_lo, s1
	s_mov_b32 s2, exec_lo
	s_waitcnt_vscnt null, 0x0
	s_barrier
	buffer_gl0_inv
	v_cmpx_eq_u32_e32 5, v0
	s_cbranch_execz .LBB105_53
; %bb.47:
	s_clause 0x3
	buffer_load_dword v209, off, s[16:19], 0 offset:64
	buffer_load_dword v210, off, s[16:19], 0 offset:68
	;; [unrolled: 1-line block ×4, first 2 shown]
	s_waitcnt vmcnt(0)
	ds_write2_b64 v255, v[209:210], v[211:212] offset1:1
	s_clause 0x3
	buffer_load_dword v209, off, s[16:19], 0 offset:48
	buffer_load_dword v210, off, s[16:19], 0 offset:52
	buffer_load_dword v211, off, s[16:19], 0 offset:56
	buffer_load_dword v212, off, s[16:19], 0 offset:60
	s_waitcnt vmcnt(0)
	ds_write2_b64 v253, v[209:210], v[211:212] offset0:12 offset1:13
	s_clause 0x3
	buffer_load_dword v209, off, s[16:19], 0 offset:32
	buffer_load_dword v210, off, s[16:19], 0 offset:36
	buffer_load_dword v211, off, s[16:19], 0 offset:40
	buffer_load_dword v212, off, s[16:19], 0 offset:44
	s_waitcnt vmcnt(0)
	ds_write2_b64 v253, v[209:210], v[211:212] offset0:14 offset1:15
	;; [unrolled: 7-line block ×3, first 2 shown]
	s_clause 0x3
	buffer_load_dword v173, off, s[16:19], 0
	buffer_load_dword v174, off, s[16:19], 0 offset:4
	buffer_load_dword v175, off, s[16:19], 0 offset:8
	;; [unrolled: 1-line block ×3, first 2 shown]
	s_waitcnt vmcnt(0)
	ds_write2_b64 v253, v[173:174], v[175:176] offset0:18 offset1:19
	ds_write2_b64 v253, v[169:170], v[171:172] offset0:20 offset1:21
	;; [unrolled: 1-line block ×44, first 2 shown]
	ds_read2_b64 v[209:212], v255 offset1:1
	s_waitcnt lgkmcnt(0)
	v_cmp_neq_f64_e32 vcc_lo, 0, v[209:210]
	v_cmp_neq_f64_e64 s1, 0, v[211:212]
	s_or_b32 s1, vcc_lo, s1
	s_and_b32 exec_lo, exec_lo, s1
	s_cbranch_execz .LBB105_53
; %bb.48:
	v_cmp_ngt_f64_e64 s1, |v[209:210]|, |v[211:212]|
                                        ; implicit-def: $vgpr213_vgpr214
	s_and_saveexec_b32 s3, s1
	s_xor_b32 s1, exec_lo, s3
                                        ; implicit-def: $vgpr215_vgpr216
	s_cbranch_execz .LBB105_50
; %bb.49:
	v_div_scale_f64 v[213:214], null, v[211:212], v[211:212], v[209:210]
	v_div_scale_f64 v[219:220], vcc_lo, v[209:210], v[211:212], v[209:210]
	v_rcp_f64_e32 v[215:216], v[213:214]
	v_fma_f64 v[217:218], -v[213:214], v[215:216], 1.0
	v_fma_f64 v[215:216], v[215:216], v[217:218], v[215:216]
	v_fma_f64 v[217:218], -v[213:214], v[215:216], 1.0
	v_fma_f64 v[215:216], v[215:216], v[217:218], v[215:216]
	v_mul_f64 v[217:218], v[219:220], v[215:216]
	v_fma_f64 v[213:214], -v[213:214], v[217:218], v[219:220]
	v_div_fmas_f64 v[213:214], v[213:214], v[215:216], v[217:218]
	v_div_fixup_f64 v[213:214], v[213:214], v[211:212], v[209:210]
	v_fma_f64 v[209:210], v[209:210], v[213:214], v[211:212]
	v_div_scale_f64 v[211:212], null, v[209:210], v[209:210], 1.0
	v_rcp_f64_e32 v[215:216], v[211:212]
	v_fma_f64 v[217:218], -v[211:212], v[215:216], 1.0
	v_fma_f64 v[215:216], v[215:216], v[217:218], v[215:216]
	v_fma_f64 v[217:218], -v[211:212], v[215:216], 1.0
	v_fma_f64 v[215:216], v[215:216], v[217:218], v[215:216]
	v_div_scale_f64 v[217:218], vcc_lo, 1.0, v[209:210], 1.0
	v_mul_f64 v[219:220], v[217:218], v[215:216]
	v_fma_f64 v[211:212], -v[211:212], v[219:220], v[217:218]
	v_div_fmas_f64 v[211:212], v[211:212], v[215:216], v[219:220]
	v_div_fixup_f64 v[215:216], v[211:212], v[209:210], 1.0
                                        ; implicit-def: $vgpr209_vgpr210
	v_mul_f64 v[213:214], v[213:214], v[215:216]
	v_xor_b32_e32 v216, 0x80000000, v216
.LBB105_50:
	s_andn2_saveexec_b32 s1, s1
	s_cbranch_execz .LBB105_52
; %bb.51:
	v_div_scale_f64 v[213:214], null, v[209:210], v[209:210], v[211:212]
	v_div_scale_f64 v[219:220], vcc_lo, v[211:212], v[209:210], v[211:212]
	v_rcp_f64_e32 v[215:216], v[213:214]
	v_fma_f64 v[217:218], -v[213:214], v[215:216], 1.0
	v_fma_f64 v[215:216], v[215:216], v[217:218], v[215:216]
	v_fma_f64 v[217:218], -v[213:214], v[215:216], 1.0
	v_fma_f64 v[215:216], v[215:216], v[217:218], v[215:216]
	v_mul_f64 v[217:218], v[219:220], v[215:216]
	v_fma_f64 v[213:214], -v[213:214], v[217:218], v[219:220]
	v_div_fmas_f64 v[213:214], v[213:214], v[215:216], v[217:218]
	v_div_fixup_f64 v[215:216], v[213:214], v[209:210], v[211:212]
	v_fma_f64 v[209:210], v[211:212], v[215:216], v[209:210]
	v_div_scale_f64 v[211:212], null, v[209:210], v[209:210], 1.0
	v_rcp_f64_e32 v[213:214], v[211:212]
	v_fma_f64 v[217:218], -v[211:212], v[213:214], 1.0
	v_fma_f64 v[213:214], v[213:214], v[217:218], v[213:214]
	v_fma_f64 v[217:218], -v[211:212], v[213:214], 1.0
	v_fma_f64 v[213:214], v[213:214], v[217:218], v[213:214]
	v_div_scale_f64 v[217:218], vcc_lo, 1.0, v[209:210], 1.0
	v_mul_f64 v[219:220], v[217:218], v[213:214]
	v_fma_f64 v[211:212], -v[211:212], v[219:220], v[217:218]
	v_div_fmas_f64 v[211:212], v[211:212], v[213:214], v[219:220]
	v_div_fixup_f64 v[213:214], v[211:212], v[209:210], 1.0
	v_mul_f64 v[215:216], v[215:216], -v[213:214]
.LBB105_52:
	s_or_b32 exec_lo, exec_lo, s1
	ds_write2_b64 v255, v[213:214], v[215:216] offset1:1
.LBB105_53:
	s_or_b32 exec_lo, exec_lo, s2
	s_waitcnt lgkmcnt(0)
	s_barrier
	buffer_gl0_inv
	ds_read2_b64 v[177:180], v255 offset1:1
	s_mov_b32 s1, exec_lo
	s_waitcnt lgkmcnt(0)
	buffer_store_dword v177, off, s[16:19], 0 offset:552 ; 4-byte Folded Spill
	buffer_store_dword v178, off, s[16:19], 0 offset:556 ; 4-byte Folded Spill
	;; [unrolled: 1-line block ×4, first 2 shown]
	v_cmpx_lt_u32_e32 5, v0
	s_cbranch_execz .LBB105_55
; %bb.54:
	s_clause 0x7
	buffer_load_dword v215, off, s[16:19], 0 offset:64
	buffer_load_dword v216, off, s[16:19], 0 offset:68
	;; [unrolled: 1-line block ×8, first 2 shown]
	ds_read2_b64 v[211:214], v253 offset0:12 offset1:13
	v_mov_b32_e32 v198, v190
	v_mov_b32_e32 v197, v189
	s_waitcnt vmcnt(2)
	v_mul_f64 v[191:192], v[177:178], v[217:218]
	s_waitcnt vmcnt(0)
	v_mul_f64 v[209:210], v[179:180], v[217:218]
	v_fma_f64 v[217:218], v[179:180], v[215:216], v[191:192]
	v_fma_f64 v[209:210], v[177:178], v[215:216], -v[209:210]
	s_waitcnt lgkmcnt(0)
	v_mul_f64 v[189:190], v[213:214], v[217:218]
	v_fma_f64 v[189:190], v[211:212], v[209:210], -v[189:190]
	v_mul_f64 v[211:212], v[211:212], v[217:218]
	v_fma_f64 v[211:212], v[213:214], v[209:210], v[211:212]
	s_clause 0x3
	buffer_load_dword v213, off, s[16:19], 0 offset:48
	buffer_load_dword v214, off, s[16:19], 0 offset:52
	buffer_load_dword v215, off, s[16:19], 0 offset:56
	buffer_load_dword v216, off, s[16:19], 0 offset:60
	s_waitcnt vmcnt(2)
	v_add_f64 v[213:214], v[213:214], -v[189:190]
	s_waitcnt vmcnt(0)
	v_add_f64 v[215:216], v[215:216], -v[211:212]
	buffer_store_dword v213, off, s[16:19], 0 offset:48 ; 4-byte Folded Spill
	buffer_store_dword v214, off, s[16:19], 0 offset:52 ; 4-byte Folded Spill
	buffer_store_dword v215, off, s[16:19], 0 offset:56 ; 4-byte Folded Spill
	buffer_store_dword v216, off, s[16:19], 0 offset:60 ; 4-byte Folded Spill
	ds_read2_b64 v[211:214], v253 offset0:14 offset1:15
	s_waitcnt lgkmcnt(0)
	v_mul_f64 v[189:190], v[213:214], v[217:218]
	v_fma_f64 v[189:190], v[211:212], v[209:210], -v[189:190]
	v_mul_f64 v[211:212], v[211:212], v[217:218]
	v_fma_f64 v[211:212], v[213:214], v[209:210], v[211:212]
	s_clause 0x3
	buffer_load_dword v213, off, s[16:19], 0 offset:32
	buffer_load_dword v214, off, s[16:19], 0 offset:36
	buffer_load_dword v215, off, s[16:19], 0 offset:40
	buffer_load_dword v216, off, s[16:19], 0 offset:44
	s_waitcnt vmcnt(2)
	v_add_f64 v[213:214], v[213:214], -v[189:190]
	s_waitcnt vmcnt(0)
	v_add_f64 v[215:216], v[215:216], -v[211:212]
	buffer_store_dword v213, off, s[16:19], 0 offset:32 ; 4-byte Folded Spill
	buffer_store_dword v214, off, s[16:19], 0 offset:36 ; 4-byte Folded Spill
	buffer_store_dword v215, off, s[16:19], 0 offset:40 ; 4-byte Folded Spill
	buffer_store_dword v216, off, s[16:19], 0 offset:44 ; 4-byte Folded Spill
	ds_read2_b64 v[211:214], v253 offset0:16 offset1:17
	;; [unrolled: 19-line block ×3, first 2 shown]
	s_clause 0x3
	buffer_load_dword v173, off, s[16:19], 0
	buffer_load_dword v174, off, s[16:19], 0 offset:4
	buffer_load_dword v175, off, s[16:19], 0 offset:8
	;; [unrolled: 1-line block ×3, first 2 shown]
	v_mov_b32_e32 v216, v210
	v_mov_b32_e32 v215, v209
	s_waitcnt lgkmcnt(0)
	v_mul_f64 v[189:190], v[213:214], v[217:218]
	v_fma_f64 v[189:190], v[211:212], v[209:210], -v[189:190]
	v_mul_f64 v[211:212], v[211:212], v[217:218]
	v_fma_f64 v[211:212], v[213:214], v[209:210], v[211:212]
	s_waitcnt vmcnt(2)
	v_add_f64 v[173:174], v[173:174], -v[189:190]
	s_waitcnt vmcnt(0)
	v_add_f64 v[175:176], v[175:176], -v[211:212]
	buffer_store_dword v173, off, s[16:19], 0 ; 4-byte Folded Spill
	buffer_store_dword v174, off, s[16:19], 0 offset:4 ; 4-byte Folded Spill
	buffer_store_dword v175, off, s[16:19], 0 offset:8 ; 4-byte Folded Spill
	;; [unrolled: 1-line block ×3, first 2 shown]
	ds_read2_b64 v[211:214], v253 offset0:20 offset1:21
	s_waitcnt lgkmcnt(0)
	v_mul_f64 v[189:190], v[213:214], v[217:218]
	v_fma_f64 v[189:190], v[211:212], v[209:210], -v[189:190]
	v_mul_f64 v[211:212], v[211:212], v[217:218]
	v_add_f64 v[169:170], v[169:170], -v[189:190]
	v_fma_f64 v[211:212], v[213:214], v[209:210], v[211:212]
	v_add_f64 v[171:172], v[171:172], -v[211:212]
	ds_read2_b64 v[211:214], v253 offset0:22 offset1:23
	s_waitcnt lgkmcnt(0)
	v_mul_f64 v[189:190], v[213:214], v[217:218]
	v_fma_f64 v[189:190], v[211:212], v[209:210], -v[189:190]
	v_mul_f64 v[211:212], v[211:212], v[217:218]
	v_add_f64 v[165:166], v[165:166], -v[189:190]
	v_fma_f64 v[211:212], v[213:214], v[209:210], v[211:212]
	v_add_f64 v[167:168], v[167:168], -v[211:212]
	;; [unrolled: 8-line block ×42, first 2 shown]
	ds_read2_b64 v[211:214], v253 offset0:104 offset1:105
	s_waitcnt lgkmcnt(0)
	v_mul_f64 v[189:190], v[213:214], v[217:218]
	v_fma_f64 v[189:190], v[211:212], v[209:210], -v[189:190]
	v_mul_f64 v[211:212], v[211:212], v[217:218]
	buffer_store_dword v215, off, s[16:19], 0 offset:64 ; 4-byte Folded Spill
	buffer_store_dword v216, off, s[16:19], 0 offset:68 ; 4-byte Folded Spill
	;; [unrolled: 1-line block ×4, first 2 shown]
	v_add_f64 v[1:2], v[1:2], -v[189:190]
	v_fma_f64 v[211:212], v[213:214], v[209:210], v[211:212]
	v_mov_b32_e32 v189, v197
	v_mov_b32_e32 v190, v198
	v_add_f64 v[3:4], v[3:4], -v[211:212]
.LBB105_55:
	s_or_b32 exec_lo, exec_lo, s1
	s_mov_b32 s2, exec_lo
	s_waitcnt_vscnt null, 0x0
	s_barrier
	buffer_gl0_inv
	v_cmpx_eq_u32_e32 6, v0
	s_cbranch_execz .LBB105_62
; %bb.56:
	s_clause 0x3
	buffer_load_dword v209, off, s[16:19], 0 offset:48
	buffer_load_dword v210, off, s[16:19], 0 offset:52
	;; [unrolled: 1-line block ×4, first 2 shown]
	s_waitcnt vmcnt(0)
	ds_write2_b64 v255, v[209:210], v[211:212] offset1:1
	s_clause 0x3
	buffer_load_dword v209, off, s[16:19], 0 offset:32
	buffer_load_dword v210, off, s[16:19], 0 offset:36
	;; [unrolled: 1-line block ×4, first 2 shown]
	s_waitcnt vmcnt(0)
	ds_write2_b64 v253, v[209:210], v[211:212] offset0:14 offset1:15
	s_clause 0x3
	buffer_load_dword v209, off, s[16:19], 0 offset:16
	buffer_load_dword v210, off, s[16:19], 0 offset:20
	;; [unrolled: 1-line block ×4, first 2 shown]
	s_waitcnt vmcnt(0)
	ds_write2_b64 v253, v[209:210], v[211:212] offset0:16 offset1:17
	s_clause 0x3
	buffer_load_dword v173, off, s[16:19], 0
	buffer_load_dword v174, off, s[16:19], 0 offset:4
	buffer_load_dword v175, off, s[16:19], 0 offset:8
	;; [unrolled: 1-line block ×3, first 2 shown]
	s_waitcnt vmcnt(0)
	ds_write2_b64 v253, v[173:174], v[175:176] offset0:18 offset1:19
	ds_write2_b64 v253, v[169:170], v[171:172] offset0:20 offset1:21
	;; [unrolled: 1-line block ×44, first 2 shown]
	ds_read2_b64 v[209:212], v255 offset1:1
	s_waitcnt lgkmcnt(0)
	v_cmp_neq_f64_e32 vcc_lo, 0, v[209:210]
	v_cmp_neq_f64_e64 s1, 0, v[211:212]
	s_or_b32 s1, vcc_lo, s1
	s_and_b32 exec_lo, exec_lo, s1
	s_cbranch_execz .LBB105_62
; %bb.57:
	v_cmp_ngt_f64_e64 s1, |v[209:210]|, |v[211:212]|
                                        ; implicit-def: $vgpr213_vgpr214
	s_and_saveexec_b32 s3, s1
	s_xor_b32 s1, exec_lo, s3
                                        ; implicit-def: $vgpr215_vgpr216
	s_cbranch_execz .LBB105_59
; %bb.58:
	v_div_scale_f64 v[213:214], null, v[211:212], v[211:212], v[209:210]
	v_div_scale_f64 v[219:220], vcc_lo, v[209:210], v[211:212], v[209:210]
	v_rcp_f64_e32 v[215:216], v[213:214]
	v_fma_f64 v[217:218], -v[213:214], v[215:216], 1.0
	v_fma_f64 v[215:216], v[215:216], v[217:218], v[215:216]
	v_fma_f64 v[217:218], -v[213:214], v[215:216], 1.0
	v_fma_f64 v[215:216], v[215:216], v[217:218], v[215:216]
	v_mul_f64 v[217:218], v[219:220], v[215:216]
	v_fma_f64 v[213:214], -v[213:214], v[217:218], v[219:220]
	v_div_fmas_f64 v[213:214], v[213:214], v[215:216], v[217:218]
	v_div_fixup_f64 v[213:214], v[213:214], v[211:212], v[209:210]
	v_fma_f64 v[209:210], v[209:210], v[213:214], v[211:212]
	v_div_scale_f64 v[211:212], null, v[209:210], v[209:210], 1.0
	v_rcp_f64_e32 v[215:216], v[211:212]
	v_fma_f64 v[217:218], -v[211:212], v[215:216], 1.0
	v_fma_f64 v[215:216], v[215:216], v[217:218], v[215:216]
	v_fma_f64 v[217:218], -v[211:212], v[215:216], 1.0
	v_fma_f64 v[215:216], v[215:216], v[217:218], v[215:216]
	v_div_scale_f64 v[217:218], vcc_lo, 1.0, v[209:210], 1.0
	v_mul_f64 v[219:220], v[217:218], v[215:216]
	v_fma_f64 v[211:212], -v[211:212], v[219:220], v[217:218]
	v_div_fmas_f64 v[211:212], v[211:212], v[215:216], v[219:220]
	v_div_fixup_f64 v[215:216], v[211:212], v[209:210], 1.0
                                        ; implicit-def: $vgpr209_vgpr210
	v_mul_f64 v[213:214], v[213:214], v[215:216]
	v_xor_b32_e32 v216, 0x80000000, v216
.LBB105_59:
	s_andn2_saveexec_b32 s1, s1
	s_cbranch_execz .LBB105_61
; %bb.60:
	v_div_scale_f64 v[213:214], null, v[209:210], v[209:210], v[211:212]
	v_div_scale_f64 v[219:220], vcc_lo, v[211:212], v[209:210], v[211:212]
	v_rcp_f64_e32 v[215:216], v[213:214]
	v_fma_f64 v[217:218], -v[213:214], v[215:216], 1.0
	v_fma_f64 v[215:216], v[215:216], v[217:218], v[215:216]
	v_fma_f64 v[217:218], -v[213:214], v[215:216], 1.0
	v_fma_f64 v[215:216], v[215:216], v[217:218], v[215:216]
	v_mul_f64 v[217:218], v[219:220], v[215:216]
	v_fma_f64 v[213:214], -v[213:214], v[217:218], v[219:220]
	v_div_fmas_f64 v[213:214], v[213:214], v[215:216], v[217:218]
	v_div_fixup_f64 v[215:216], v[213:214], v[209:210], v[211:212]
	v_fma_f64 v[209:210], v[211:212], v[215:216], v[209:210]
	v_div_scale_f64 v[211:212], null, v[209:210], v[209:210], 1.0
	v_rcp_f64_e32 v[213:214], v[211:212]
	v_fma_f64 v[217:218], -v[211:212], v[213:214], 1.0
	v_fma_f64 v[213:214], v[213:214], v[217:218], v[213:214]
	v_fma_f64 v[217:218], -v[211:212], v[213:214], 1.0
	v_fma_f64 v[213:214], v[213:214], v[217:218], v[213:214]
	v_div_scale_f64 v[217:218], vcc_lo, 1.0, v[209:210], 1.0
	v_mul_f64 v[219:220], v[217:218], v[213:214]
	v_fma_f64 v[211:212], -v[211:212], v[219:220], v[217:218]
	v_div_fmas_f64 v[211:212], v[211:212], v[213:214], v[219:220]
	v_div_fixup_f64 v[213:214], v[211:212], v[209:210], 1.0
	v_mul_f64 v[215:216], v[215:216], -v[213:214]
.LBB105_61:
	s_or_b32 exec_lo, exec_lo, s1
	ds_write2_b64 v255, v[213:214], v[215:216] offset1:1
.LBB105_62:
	s_or_b32 exec_lo, exec_lo, s2
	s_waitcnt lgkmcnt(0)
	s_barrier
	buffer_gl0_inv
	ds_read2_b64 v[177:180], v255 offset1:1
	s_mov_b32 s1, exec_lo
	s_waitcnt lgkmcnt(0)
	buffer_store_dword v177, off, s[16:19], 0 offset:568 ; 4-byte Folded Spill
	buffer_store_dword v178, off, s[16:19], 0 offset:572 ; 4-byte Folded Spill
	;; [unrolled: 1-line block ×4, first 2 shown]
	v_cmpx_lt_u32_e32 6, v0
	s_cbranch_execz .LBB105_64
; %bb.63:
	s_clause 0x7
	buffer_load_dword v215, off, s[16:19], 0 offset:48
	buffer_load_dword v216, off, s[16:19], 0 offset:52
	;; [unrolled: 1-line block ×8, first 2 shown]
	v_mov_b32_e32 v198, v188
	v_mov_b32_e32 v197, v187
	ds_read2_b64 v[211:214], v253 offset0:14 offset1:15
	s_waitcnt vmcnt(2)
	v_mul_f64 v[187:188], v[177:178], v[217:218]
	s_waitcnt vmcnt(0)
	v_mul_f64 v[209:210], v[179:180], v[217:218]
	v_fma_f64 v[217:218], v[179:180], v[215:216], v[187:188]
	v_mov_b32_e32 v187, v197
	v_fma_f64 v[209:210], v[177:178], v[215:216], -v[209:210]
	v_mov_b32_e32 v188, v198
	s_waitcnt lgkmcnt(0)
	v_mul_f64 v[185:186], v[213:214], v[217:218]
	v_fma_f64 v[185:186], v[211:212], v[209:210], -v[185:186]
	v_mul_f64 v[211:212], v[211:212], v[217:218]
	v_fma_f64 v[211:212], v[213:214], v[209:210], v[211:212]
	s_clause 0x3
	buffer_load_dword v213, off, s[16:19], 0 offset:32
	buffer_load_dword v214, off, s[16:19], 0 offset:36
	;; [unrolled: 1-line block ×4, first 2 shown]
	s_waitcnt vmcnt(2)
	v_add_f64 v[213:214], v[213:214], -v[185:186]
	s_waitcnt vmcnt(0)
	v_add_f64 v[215:216], v[215:216], -v[211:212]
	buffer_store_dword v213, off, s[16:19], 0 offset:32 ; 4-byte Folded Spill
	buffer_store_dword v214, off, s[16:19], 0 offset:36 ; 4-byte Folded Spill
	;; [unrolled: 1-line block ×4, first 2 shown]
	ds_read2_b64 v[211:214], v253 offset0:16 offset1:17
	s_waitcnt lgkmcnt(0)
	v_mul_f64 v[185:186], v[213:214], v[217:218]
	v_fma_f64 v[185:186], v[211:212], v[209:210], -v[185:186]
	v_mul_f64 v[211:212], v[211:212], v[217:218]
	v_fma_f64 v[211:212], v[213:214], v[209:210], v[211:212]
	s_clause 0x3
	buffer_load_dword v213, off, s[16:19], 0 offset:16
	buffer_load_dword v214, off, s[16:19], 0 offset:20
	;; [unrolled: 1-line block ×4, first 2 shown]
	s_waitcnt vmcnt(2)
	v_add_f64 v[213:214], v[213:214], -v[185:186]
	s_waitcnt vmcnt(0)
	v_add_f64 v[215:216], v[215:216], -v[211:212]
	buffer_store_dword v213, off, s[16:19], 0 offset:16 ; 4-byte Folded Spill
	buffer_store_dword v214, off, s[16:19], 0 offset:20 ; 4-byte Folded Spill
	;; [unrolled: 1-line block ×4, first 2 shown]
	ds_read2_b64 v[211:214], v253 offset0:18 offset1:19
	s_clause 0x3
	buffer_load_dword v173, off, s[16:19], 0
	buffer_load_dword v174, off, s[16:19], 0 offset:4
	buffer_load_dword v175, off, s[16:19], 0 offset:8
	;; [unrolled: 1-line block ×3, first 2 shown]
	v_mov_b32_e32 v216, v210
	v_mov_b32_e32 v215, v209
	s_waitcnt lgkmcnt(0)
	v_mul_f64 v[185:186], v[213:214], v[217:218]
	v_fma_f64 v[185:186], v[211:212], v[209:210], -v[185:186]
	v_mul_f64 v[211:212], v[211:212], v[217:218]
	v_fma_f64 v[211:212], v[213:214], v[209:210], v[211:212]
	s_waitcnt vmcnt(2)
	v_add_f64 v[173:174], v[173:174], -v[185:186]
	s_waitcnt vmcnt(0)
	v_add_f64 v[175:176], v[175:176], -v[211:212]
	buffer_store_dword v173, off, s[16:19], 0 ; 4-byte Folded Spill
	buffer_store_dword v174, off, s[16:19], 0 offset:4 ; 4-byte Folded Spill
	buffer_store_dword v175, off, s[16:19], 0 offset:8 ; 4-byte Folded Spill
	;; [unrolled: 1-line block ×3, first 2 shown]
	ds_read2_b64 v[211:214], v253 offset0:20 offset1:21
	s_waitcnt lgkmcnt(0)
	v_mul_f64 v[185:186], v[213:214], v[217:218]
	v_fma_f64 v[185:186], v[211:212], v[209:210], -v[185:186]
	v_mul_f64 v[211:212], v[211:212], v[217:218]
	v_add_f64 v[169:170], v[169:170], -v[185:186]
	v_fma_f64 v[211:212], v[213:214], v[209:210], v[211:212]
	v_add_f64 v[171:172], v[171:172], -v[211:212]
	ds_read2_b64 v[211:214], v253 offset0:22 offset1:23
	s_waitcnt lgkmcnt(0)
	v_mul_f64 v[185:186], v[213:214], v[217:218]
	v_fma_f64 v[185:186], v[211:212], v[209:210], -v[185:186]
	v_mul_f64 v[211:212], v[211:212], v[217:218]
	v_add_f64 v[165:166], v[165:166], -v[185:186]
	v_fma_f64 v[211:212], v[213:214], v[209:210], v[211:212]
	v_add_f64 v[167:168], v[167:168], -v[211:212]
	;; [unrolled: 8-line block ×42, first 2 shown]
	ds_read2_b64 v[211:214], v253 offset0:104 offset1:105
	s_waitcnt lgkmcnt(0)
	v_mul_f64 v[185:186], v[213:214], v[217:218]
	v_fma_f64 v[185:186], v[211:212], v[209:210], -v[185:186]
	v_mul_f64 v[211:212], v[211:212], v[217:218]
	buffer_store_dword v215, off, s[16:19], 0 offset:48 ; 4-byte Folded Spill
	buffer_store_dword v216, off, s[16:19], 0 offset:52 ; 4-byte Folded Spill
	;; [unrolled: 1-line block ×4, first 2 shown]
	v_add_f64 v[1:2], v[1:2], -v[185:186]
	v_fma_f64 v[211:212], v[213:214], v[209:210], v[211:212]
	v_add_f64 v[3:4], v[3:4], -v[211:212]
.LBB105_64:
	s_or_b32 exec_lo, exec_lo, s1
	s_mov_b32 s2, exec_lo
	s_waitcnt_vscnt null, 0x0
	s_barrier
	buffer_gl0_inv
	v_cmpx_eq_u32_e32 7, v0
	s_cbranch_execz .LBB105_71
; %bb.65:
	s_clause 0x3
	buffer_load_dword v209, off, s[16:19], 0 offset:32
	buffer_load_dword v210, off, s[16:19], 0 offset:36
	;; [unrolled: 1-line block ×4, first 2 shown]
	s_waitcnt vmcnt(0)
	ds_write2_b64 v255, v[209:210], v[211:212] offset1:1
	s_clause 0x3
	buffer_load_dword v209, off, s[16:19], 0 offset:16
	buffer_load_dword v210, off, s[16:19], 0 offset:20
	;; [unrolled: 1-line block ×4, first 2 shown]
	s_waitcnt vmcnt(0)
	ds_write2_b64 v253, v[209:210], v[211:212] offset0:16 offset1:17
	s_clause 0x3
	buffer_load_dword v173, off, s[16:19], 0
	buffer_load_dword v174, off, s[16:19], 0 offset:4
	buffer_load_dword v175, off, s[16:19], 0 offset:8
	;; [unrolled: 1-line block ×3, first 2 shown]
	s_waitcnt vmcnt(0)
	ds_write2_b64 v253, v[173:174], v[175:176] offset0:18 offset1:19
	ds_write2_b64 v253, v[169:170], v[171:172] offset0:20 offset1:21
	;; [unrolled: 1-line block ×44, first 2 shown]
	ds_read2_b64 v[209:212], v255 offset1:1
	s_waitcnt lgkmcnt(0)
	v_cmp_neq_f64_e32 vcc_lo, 0, v[209:210]
	v_cmp_neq_f64_e64 s1, 0, v[211:212]
	s_or_b32 s1, vcc_lo, s1
	s_and_b32 exec_lo, exec_lo, s1
	s_cbranch_execz .LBB105_71
; %bb.66:
	v_cmp_ngt_f64_e64 s1, |v[209:210]|, |v[211:212]|
                                        ; implicit-def: $vgpr213_vgpr214
	s_and_saveexec_b32 s3, s1
	s_xor_b32 s1, exec_lo, s3
                                        ; implicit-def: $vgpr215_vgpr216
	s_cbranch_execz .LBB105_68
; %bb.67:
	v_div_scale_f64 v[213:214], null, v[211:212], v[211:212], v[209:210]
	v_div_scale_f64 v[219:220], vcc_lo, v[209:210], v[211:212], v[209:210]
	v_rcp_f64_e32 v[215:216], v[213:214]
	v_fma_f64 v[217:218], -v[213:214], v[215:216], 1.0
	v_fma_f64 v[215:216], v[215:216], v[217:218], v[215:216]
	v_fma_f64 v[217:218], -v[213:214], v[215:216], 1.0
	v_fma_f64 v[215:216], v[215:216], v[217:218], v[215:216]
	v_mul_f64 v[217:218], v[219:220], v[215:216]
	v_fma_f64 v[213:214], -v[213:214], v[217:218], v[219:220]
	v_div_fmas_f64 v[213:214], v[213:214], v[215:216], v[217:218]
	v_div_fixup_f64 v[213:214], v[213:214], v[211:212], v[209:210]
	v_fma_f64 v[209:210], v[209:210], v[213:214], v[211:212]
	v_div_scale_f64 v[211:212], null, v[209:210], v[209:210], 1.0
	v_rcp_f64_e32 v[215:216], v[211:212]
	v_fma_f64 v[217:218], -v[211:212], v[215:216], 1.0
	v_fma_f64 v[215:216], v[215:216], v[217:218], v[215:216]
	v_fma_f64 v[217:218], -v[211:212], v[215:216], 1.0
	v_fma_f64 v[215:216], v[215:216], v[217:218], v[215:216]
	v_div_scale_f64 v[217:218], vcc_lo, 1.0, v[209:210], 1.0
	v_mul_f64 v[219:220], v[217:218], v[215:216]
	v_fma_f64 v[211:212], -v[211:212], v[219:220], v[217:218]
	v_div_fmas_f64 v[211:212], v[211:212], v[215:216], v[219:220]
	v_div_fixup_f64 v[215:216], v[211:212], v[209:210], 1.0
                                        ; implicit-def: $vgpr209_vgpr210
	v_mul_f64 v[213:214], v[213:214], v[215:216]
	v_xor_b32_e32 v216, 0x80000000, v216
.LBB105_68:
	s_andn2_saveexec_b32 s1, s1
	s_cbranch_execz .LBB105_70
; %bb.69:
	v_div_scale_f64 v[213:214], null, v[209:210], v[209:210], v[211:212]
	v_div_scale_f64 v[219:220], vcc_lo, v[211:212], v[209:210], v[211:212]
	v_rcp_f64_e32 v[215:216], v[213:214]
	v_fma_f64 v[217:218], -v[213:214], v[215:216], 1.0
	v_fma_f64 v[215:216], v[215:216], v[217:218], v[215:216]
	v_fma_f64 v[217:218], -v[213:214], v[215:216], 1.0
	v_fma_f64 v[215:216], v[215:216], v[217:218], v[215:216]
	v_mul_f64 v[217:218], v[219:220], v[215:216]
	v_fma_f64 v[213:214], -v[213:214], v[217:218], v[219:220]
	v_div_fmas_f64 v[213:214], v[213:214], v[215:216], v[217:218]
	v_div_fixup_f64 v[215:216], v[213:214], v[209:210], v[211:212]
	v_fma_f64 v[209:210], v[211:212], v[215:216], v[209:210]
	v_div_scale_f64 v[211:212], null, v[209:210], v[209:210], 1.0
	v_rcp_f64_e32 v[213:214], v[211:212]
	v_fma_f64 v[217:218], -v[211:212], v[213:214], 1.0
	v_fma_f64 v[213:214], v[213:214], v[217:218], v[213:214]
	v_fma_f64 v[217:218], -v[211:212], v[213:214], 1.0
	v_fma_f64 v[213:214], v[213:214], v[217:218], v[213:214]
	v_div_scale_f64 v[217:218], vcc_lo, 1.0, v[209:210], 1.0
	v_mul_f64 v[219:220], v[217:218], v[213:214]
	v_fma_f64 v[211:212], -v[211:212], v[219:220], v[217:218]
	v_div_fmas_f64 v[211:212], v[211:212], v[213:214], v[219:220]
	v_div_fixup_f64 v[213:214], v[211:212], v[209:210], 1.0
	v_mul_f64 v[215:216], v[215:216], -v[213:214]
.LBB105_70:
	s_or_b32 exec_lo, exec_lo, s1
	ds_write2_b64 v255, v[213:214], v[215:216] offset1:1
.LBB105_71:
	s_or_b32 exec_lo, exec_lo, s2
	s_waitcnt lgkmcnt(0)
	s_barrier
	buffer_gl0_inv
	ds_read2_b64 v[177:180], v255 offset1:1
	s_mov_b32 s1, exec_lo
	s_waitcnt lgkmcnt(0)
	buffer_store_dword v177, off, s[16:19], 0 offset:584 ; 4-byte Folded Spill
	buffer_store_dword v178, off, s[16:19], 0 offset:588 ; 4-byte Folded Spill
	;; [unrolled: 1-line block ×4, first 2 shown]
	v_cmpx_lt_u32_e32 7, v0
	s_cbranch_execz .LBB105_73
; %bb.72:
	s_clause 0x7
	buffer_load_dword v215, off, s[16:19], 0 offset:32
	buffer_load_dword v216, off, s[16:19], 0 offset:36
	;; [unrolled: 1-line block ×8, first 2 shown]
	v_mov_b32_e32 v198, v182
	v_mov_b32_e32 v197, v181
	s_waitcnt vmcnt(2)
	v_mul_f64 v[183:184], v[211:212], v[217:218]
	s_waitcnt vmcnt(0)
	v_mul_f64 v[209:210], v[213:214], v[217:218]
	v_fma_f64 v[217:218], v[213:214], v[215:216], v[183:184]
	v_fma_f64 v[209:210], v[211:212], v[215:216], -v[209:210]
	ds_read2_b64 v[211:214], v253 offset0:16 offset1:17
	s_waitcnt lgkmcnt(0)
	v_mul_f64 v[181:182], v[213:214], v[217:218]
	v_fma_f64 v[181:182], v[211:212], v[209:210], -v[181:182]
	v_mul_f64 v[211:212], v[211:212], v[217:218]
	v_fma_f64 v[211:212], v[213:214], v[209:210], v[211:212]
	s_clause 0x3
	buffer_load_dword v213, off, s[16:19], 0 offset:16
	buffer_load_dword v214, off, s[16:19], 0 offset:20
	;; [unrolled: 1-line block ×4, first 2 shown]
	s_waitcnt vmcnt(2)
	v_add_f64 v[213:214], v[213:214], -v[181:182]
	s_waitcnt vmcnt(0)
	v_add_f64 v[215:216], v[215:216], -v[211:212]
	buffer_store_dword v213, off, s[16:19], 0 offset:16 ; 4-byte Folded Spill
	buffer_store_dword v214, off, s[16:19], 0 offset:20 ; 4-byte Folded Spill
	;; [unrolled: 1-line block ×4, first 2 shown]
	ds_read2_b64 v[211:214], v253 offset0:18 offset1:19
	s_clause 0x3
	buffer_load_dword v173, off, s[16:19], 0
	buffer_load_dword v174, off, s[16:19], 0 offset:4
	buffer_load_dword v175, off, s[16:19], 0 offset:8
	;; [unrolled: 1-line block ×3, first 2 shown]
	v_mov_b32_e32 v216, v210
	v_mov_b32_e32 v215, v209
	s_waitcnt lgkmcnt(0)
	v_mul_f64 v[181:182], v[213:214], v[217:218]
	v_fma_f64 v[181:182], v[211:212], v[209:210], -v[181:182]
	v_mul_f64 v[211:212], v[211:212], v[217:218]
	v_fma_f64 v[211:212], v[213:214], v[209:210], v[211:212]
	s_waitcnt vmcnt(2)
	v_add_f64 v[173:174], v[173:174], -v[181:182]
	s_waitcnt vmcnt(0)
	v_add_f64 v[175:176], v[175:176], -v[211:212]
	buffer_store_dword v173, off, s[16:19], 0 ; 4-byte Folded Spill
	buffer_store_dword v174, off, s[16:19], 0 offset:4 ; 4-byte Folded Spill
	buffer_store_dword v175, off, s[16:19], 0 offset:8 ; 4-byte Folded Spill
	;; [unrolled: 1-line block ×3, first 2 shown]
	ds_read2_b64 v[211:214], v253 offset0:20 offset1:21
	s_waitcnt lgkmcnt(0)
	v_mul_f64 v[181:182], v[213:214], v[217:218]
	v_fma_f64 v[181:182], v[211:212], v[209:210], -v[181:182]
	v_mul_f64 v[211:212], v[211:212], v[217:218]
	v_add_f64 v[169:170], v[169:170], -v[181:182]
	v_fma_f64 v[211:212], v[213:214], v[209:210], v[211:212]
	v_add_f64 v[171:172], v[171:172], -v[211:212]
	ds_read2_b64 v[211:214], v253 offset0:22 offset1:23
	s_waitcnt lgkmcnt(0)
	v_mul_f64 v[181:182], v[213:214], v[217:218]
	v_fma_f64 v[181:182], v[211:212], v[209:210], -v[181:182]
	v_mul_f64 v[211:212], v[211:212], v[217:218]
	v_add_f64 v[165:166], v[165:166], -v[181:182]
	v_fma_f64 v[211:212], v[213:214], v[209:210], v[211:212]
	v_add_f64 v[167:168], v[167:168], -v[211:212]
	;; [unrolled: 8-line block ×42, first 2 shown]
	ds_read2_b64 v[211:214], v253 offset0:104 offset1:105
	s_waitcnt lgkmcnt(0)
	v_mul_f64 v[181:182], v[213:214], v[217:218]
	v_fma_f64 v[181:182], v[211:212], v[209:210], -v[181:182]
	v_mul_f64 v[211:212], v[211:212], v[217:218]
	buffer_store_dword v215, off, s[16:19], 0 offset:32 ; 4-byte Folded Spill
	buffer_store_dword v216, off, s[16:19], 0 offset:36 ; 4-byte Folded Spill
	;; [unrolled: 1-line block ×4, first 2 shown]
	v_add_f64 v[1:2], v[1:2], -v[181:182]
	v_fma_f64 v[211:212], v[213:214], v[209:210], v[211:212]
	v_mov_b32_e32 v181, v197
	v_mov_b32_e32 v182, v198
	v_add_f64 v[3:4], v[3:4], -v[211:212]
.LBB105_73:
	s_or_b32 exec_lo, exec_lo, s1
	s_mov_b32 s2, exec_lo
	s_waitcnt_vscnt null, 0x0
	s_barrier
	buffer_gl0_inv
	v_cmpx_eq_u32_e32 8, v0
	s_cbranch_execz .LBB105_80
; %bb.74:
	s_clause 0x3
	buffer_load_dword v209, off, s[16:19], 0 offset:16
	buffer_load_dword v210, off, s[16:19], 0 offset:20
	;; [unrolled: 1-line block ×4, first 2 shown]
	s_waitcnt vmcnt(0)
	ds_write2_b64 v255, v[209:210], v[211:212] offset1:1
	s_clause 0x3
	buffer_load_dword v173, off, s[16:19], 0
	buffer_load_dword v174, off, s[16:19], 0 offset:4
	buffer_load_dword v175, off, s[16:19], 0 offset:8
	;; [unrolled: 1-line block ×3, first 2 shown]
	s_waitcnt vmcnt(0)
	ds_write2_b64 v253, v[173:174], v[175:176] offset0:18 offset1:19
	ds_write2_b64 v253, v[169:170], v[171:172] offset0:20 offset1:21
	;; [unrolled: 1-line block ×44, first 2 shown]
	ds_read2_b64 v[209:212], v255 offset1:1
	s_waitcnt lgkmcnt(0)
	v_cmp_neq_f64_e32 vcc_lo, 0, v[209:210]
	v_cmp_neq_f64_e64 s1, 0, v[211:212]
	s_or_b32 s1, vcc_lo, s1
	s_and_b32 exec_lo, exec_lo, s1
	s_cbranch_execz .LBB105_80
; %bb.75:
	v_cmp_ngt_f64_e64 s1, |v[209:210]|, |v[211:212]|
                                        ; implicit-def: $vgpr213_vgpr214
	s_and_saveexec_b32 s3, s1
	s_xor_b32 s1, exec_lo, s3
                                        ; implicit-def: $vgpr215_vgpr216
	s_cbranch_execz .LBB105_77
; %bb.76:
	v_div_scale_f64 v[213:214], null, v[211:212], v[211:212], v[209:210]
	v_div_scale_f64 v[219:220], vcc_lo, v[209:210], v[211:212], v[209:210]
	v_rcp_f64_e32 v[215:216], v[213:214]
	v_fma_f64 v[217:218], -v[213:214], v[215:216], 1.0
	v_fma_f64 v[215:216], v[215:216], v[217:218], v[215:216]
	v_fma_f64 v[217:218], -v[213:214], v[215:216], 1.0
	v_fma_f64 v[215:216], v[215:216], v[217:218], v[215:216]
	v_mul_f64 v[217:218], v[219:220], v[215:216]
	v_fma_f64 v[213:214], -v[213:214], v[217:218], v[219:220]
	v_div_fmas_f64 v[213:214], v[213:214], v[215:216], v[217:218]
	v_div_fixup_f64 v[213:214], v[213:214], v[211:212], v[209:210]
	v_fma_f64 v[209:210], v[209:210], v[213:214], v[211:212]
	v_div_scale_f64 v[211:212], null, v[209:210], v[209:210], 1.0
	v_rcp_f64_e32 v[215:216], v[211:212]
	v_fma_f64 v[217:218], -v[211:212], v[215:216], 1.0
	v_fma_f64 v[215:216], v[215:216], v[217:218], v[215:216]
	v_fma_f64 v[217:218], -v[211:212], v[215:216], 1.0
	v_fma_f64 v[215:216], v[215:216], v[217:218], v[215:216]
	v_div_scale_f64 v[217:218], vcc_lo, 1.0, v[209:210], 1.0
	v_mul_f64 v[219:220], v[217:218], v[215:216]
	v_fma_f64 v[211:212], -v[211:212], v[219:220], v[217:218]
	v_div_fmas_f64 v[211:212], v[211:212], v[215:216], v[219:220]
	v_div_fixup_f64 v[215:216], v[211:212], v[209:210], 1.0
                                        ; implicit-def: $vgpr209_vgpr210
	v_mul_f64 v[213:214], v[213:214], v[215:216]
	v_xor_b32_e32 v216, 0x80000000, v216
.LBB105_77:
	s_andn2_saveexec_b32 s1, s1
	s_cbranch_execz .LBB105_79
; %bb.78:
	v_div_scale_f64 v[213:214], null, v[209:210], v[209:210], v[211:212]
	v_div_scale_f64 v[219:220], vcc_lo, v[211:212], v[209:210], v[211:212]
	v_rcp_f64_e32 v[215:216], v[213:214]
	v_fma_f64 v[217:218], -v[213:214], v[215:216], 1.0
	v_fma_f64 v[215:216], v[215:216], v[217:218], v[215:216]
	v_fma_f64 v[217:218], -v[213:214], v[215:216], 1.0
	v_fma_f64 v[215:216], v[215:216], v[217:218], v[215:216]
	v_mul_f64 v[217:218], v[219:220], v[215:216]
	v_fma_f64 v[213:214], -v[213:214], v[217:218], v[219:220]
	v_div_fmas_f64 v[213:214], v[213:214], v[215:216], v[217:218]
	v_div_fixup_f64 v[215:216], v[213:214], v[209:210], v[211:212]
	v_fma_f64 v[209:210], v[211:212], v[215:216], v[209:210]
	v_div_scale_f64 v[211:212], null, v[209:210], v[209:210], 1.0
	v_rcp_f64_e32 v[213:214], v[211:212]
	v_fma_f64 v[217:218], -v[211:212], v[213:214], 1.0
	v_fma_f64 v[213:214], v[213:214], v[217:218], v[213:214]
	v_fma_f64 v[217:218], -v[211:212], v[213:214], 1.0
	v_fma_f64 v[213:214], v[213:214], v[217:218], v[213:214]
	v_div_scale_f64 v[217:218], vcc_lo, 1.0, v[209:210], 1.0
	v_mul_f64 v[219:220], v[217:218], v[213:214]
	v_fma_f64 v[211:212], -v[211:212], v[219:220], v[217:218]
	v_div_fmas_f64 v[211:212], v[211:212], v[213:214], v[219:220]
	v_div_fixup_f64 v[213:214], v[211:212], v[209:210], 1.0
	v_mul_f64 v[215:216], v[215:216], -v[213:214]
.LBB105_79:
	s_or_b32 exec_lo, exec_lo, s1
	ds_write2_b64 v255, v[213:214], v[215:216] offset1:1
.LBB105_80:
	s_or_b32 exec_lo, exec_lo, s2
	s_waitcnt lgkmcnt(0)
	s_barrier
	buffer_gl0_inv
	ds_read2_b64 v[177:180], v255 offset1:1
	s_mov_b32 s1, exec_lo
	s_waitcnt lgkmcnt(0)
	buffer_store_dword v177, off, s[16:19], 0 offset:600 ; 4-byte Folded Spill
	buffer_store_dword v178, off, s[16:19], 0 offset:604 ; 4-byte Folded Spill
	;; [unrolled: 1-line block ×4, first 2 shown]
	v_cmpx_lt_u32_e32 8, v0
	s_cbranch_execz .LBB105_82
; %bb.81:
	s_clause 0x7
	buffer_load_dword v213, off, s[16:19], 0 offset:16
	buffer_load_dword v214, off, s[16:19], 0 offset:20
	;; [unrolled: 1-line block ×8, first 2 shown]
	s_waitcnt vmcnt(2)
	v_mul_f64 v[179:180], v[217:218], v[215:216]
	s_waitcnt vmcnt(0)
	v_mul_f64 v[209:210], v[219:220], v[215:216]
	v_fma_f64 v[215:216], v[219:220], v[213:214], v[179:180]
	v_fma_f64 v[209:210], v[217:218], v[213:214], -v[209:210]
	ds_read2_b64 v[211:214], v253 offset0:18 offset1:19
	s_clause 0x3
	buffer_load_dword v173, off, s[16:19], 0
	buffer_load_dword v174, off, s[16:19], 0 offset:4
	buffer_load_dword v175, off, s[16:19], 0 offset:8
	;; [unrolled: 1-line block ×3, first 2 shown]
	s_waitcnt lgkmcnt(0)
	v_mul_f64 v[177:178], v[213:214], v[215:216]
	v_fma_f64 v[177:178], v[211:212], v[209:210], -v[177:178]
	v_mul_f64 v[211:212], v[211:212], v[215:216]
	v_fma_f64 v[211:212], v[213:214], v[209:210], v[211:212]
	s_waitcnt vmcnt(2)
	v_add_f64 v[173:174], v[173:174], -v[177:178]
	s_waitcnt vmcnt(0)
	v_add_f64 v[175:176], v[175:176], -v[211:212]
	buffer_store_dword v173, off, s[16:19], 0 ; 4-byte Folded Spill
	buffer_store_dword v174, off, s[16:19], 0 offset:4 ; 4-byte Folded Spill
	buffer_store_dword v175, off, s[16:19], 0 offset:8 ; 4-byte Folded Spill
	;; [unrolled: 1-line block ×3, first 2 shown]
	ds_read2_b64 v[211:214], v253 offset0:20 offset1:21
	s_waitcnt lgkmcnt(0)
	v_mul_f64 v[177:178], v[213:214], v[215:216]
	v_fma_f64 v[177:178], v[211:212], v[209:210], -v[177:178]
	v_mul_f64 v[211:212], v[211:212], v[215:216]
	v_add_f64 v[169:170], v[169:170], -v[177:178]
	v_fma_f64 v[211:212], v[213:214], v[209:210], v[211:212]
	v_add_f64 v[171:172], v[171:172], -v[211:212]
	ds_read2_b64 v[211:214], v253 offset0:22 offset1:23
	s_waitcnt lgkmcnt(0)
	v_mul_f64 v[177:178], v[213:214], v[215:216]
	v_fma_f64 v[177:178], v[211:212], v[209:210], -v[177:178]
	v_mul_f64 v[211:212], v[211:212], v[215:216]
	v_add_f64 v[165:166], v[165:166], -v[177:178]
	v_fma_f64 v[211:212], v[213:214], v[209:210], v[211:212]
	v_add_f64 v[167:168], v[167:168], -v[211:212]
	;; [unrolled: 8-line block ×42, first 2 shown]
	ds_read2_b64 v[211:214], v253 offset0:104 offset1:105
	s_waitcnt lgkmcnt(0)
	v_mul_f64 v[177:178], v[213:214], v[215:216]
	v_fma_f64 v[177:178], v[211:212], v[209:210], -v[177:178]
	v_mul_f64 v[211:212], v[211:212], v[215:216]
	v_add_f64 v[1:2], v[1:2], -v[177:178]
	v_fma_f64 v[211:212], v[213:214], v[209:210], v[211:212]
	v_mov_b32_e32 v214, v210
	v_mov_b32_e32 v213, v209
	buffer_store_dword v213, off, s[16:19], 0 offset:16 ; 4-byte Folded Spill
	buffer_store_dword v214, off, s[16:19], 0 offset:20 ; 4-byte Folded Spill
	;; [unrolled: 1-line block ×4, first 2 shown]
	v_add_f64 v[3:4], v[3:4], -v[211:212]
.LBB105_82:
	s_or_b32 exec_lo, exec_lo, s1
	s_mov_b32 s2, exec_lo
	s_waitcnt_vscnt null, 0x0
	s_barrier
	buffer_gl0_inv
	v_cmpx_eq_u32_e32 9, v0
	s_cbranch_execz .LBB105_89
; %bb.83:
	s_clause 0x3
	buffer_load_dword v173, off, s[16:19], 0
	buffer_load_dword v174, off, s[16:19], 0 offset:4
	buffer_load_dword v175, off, s[16:19], 0 offset:8
	;; [unrolled: 1-line block ×3, first 2 shown]
	s_waitcnt vmcnt(0)
	ds_write2_b64 v255, v[173:174], v[175:176] offset1:1
	ds_write2_b64 v253, v[169:170], v[171:172] offset0:20 offset1:21
	ds_write2_b64 v253, v[165:166], v[167:168] offset0:22 offset1:23
	;; [unrolled: 1-line block ×43, first 2 shown]
	ds_read2_b64 v[209:212], v255 offset1:1
	s_waitcnt lgkmcnt(0)
	v_cmp_neq_f64_e32 vcc_lo, 0, v[209:210]
	v_cmp_neq_f64_e64 s1, 0, v[211:212]
	s_or_b32 s1, vcc_lo, s1
	s_and_b32 exec_lo, exec_lo, s1
	s_cbranch_execz .LBB105_89
; %bb.84:
	v_cmp_ngt_f64_e64 s1, |v[209:210]|, |v[211:212]|
                                        ; implicit-def: $vgpr213_vgpr214
	s_and_saveexec_b32 s3, s1
	s_xor_b32 s1, exec_lo, s3
                                        ; implicit-def: $vgpr215_vgpr216
	s_cbranch_execz .LBB105_86
; %bb.85:
	v_div_scale_f64 v[213:214], null, v[211:212], v[211:212], v[209:210]
	v_div_scale_f64 v[219:220], vcc_lo, v[209:210], v[211:212], v[209:210]
	v_rcp_f64_e32 v[215:216], v[213:214]
	v_fma_f64 v[217:218], -v[213:214], v[215:216], 1.0
	v_fma_f64 v[215:216], v[215:216], v[217:218], v[215:216]
	v_fma_f64 v[217:218], -v[213:214], v[215:216], 1.0
	v_fma_f64 v[215:216], v[215:216], v[217:218], v[215:216]
	v_mul_f64 v[217:218], v[219:220], v[215:216]
	v_fma_f64 v[213:214], -v[213:214], v[217:218], v[219:220]
	v_div_fmas_f64 v[213:214], v[213:214], v[215:216], v[217:218]
	v_div_fixup_f64 v[213:214], v[213:214], v[211:212], v[209:210]
	v_fma_f64 v[209:210], v[209:210], v[213:214], v[211:212]
	v_div_scale_f64 v[211:212], null, v[209:210], v[209:210], 1.0
	v_rcp_f64_e32 v[215:216], v[211:212]
	v_fma_f64 v[217:218], -v[211:212], v[215:216], 1.0
	v_fma_f64 v[215:216], v[215:216], v[217:218], v[215:216]
	v_fma_f64 v[217:218], -v[211:212], v[215:216], 1.0
	v_fma_f64 v[215:216], v[215:216], v[217:218], v[215:216]
	v_div_scale_f64 v[217:218], vcc_lo, 1.0, v[209:210], 1.0
	v_mul_f64 v[219:220], v[217:218], v[215:216]
	v_fma_f64 v[211:212], -v[211:212], v[219:220], v[217:218]
	v_div_fmas_f64 v[211:212], v[211:212], v[215:216], v[219:220]
	v_div_fixup_f64 v[215:216], v[211:212], v[209:210], 1.0
                                        ; implicit-def: $vgpr209_vgpr210
	v_mul_f64 v[213:214], v[213:214], v[215:216]
	v_xor_b32_e32 v216, 0x80000000, v216
.LBB105_86:
	s_andn2_saveexec_b32 s1, s1
	s_cbranch_execz .LBB105_88
; %bb.87:
	v_div_scale_f64 v[213:214], null, v[209:210], v[209:210], v[211:212]
	v_div_scale_f64 v[219:220], vcc_lo, v[211:212], v[209:210], v[211:212]
	v_rcp_f64_e32 v[215:216], v[213:214]
	v_fma_f64 v[217:218], -v[213:214], v[215:216], 1.0
	v_fma_f64 v[215:216], v[215:216], v[217:218], v[215:216]
	v_fma_f64 v[217:218], -v[213:214], v[215:216], 1.0
	v_fma_f64 v[215:216], v[215:216], v[217:218], v[215:216]
	v_mul_f64 v[217:218], v[219:220], v[215:216]
	v_fma_f64 v[213:214], -v[213:214], v[217:218], v[219:220]
	v_div_fmas_f64 v[213:214], v[213:214], v[215:216], v[217:218]
	v_div_fixup_f64 v[215:216], v[213:214], v[209:210], v[211:212]
	v_fma_f64 v[209:210], v[211:212], v[215:216], v[209:210]
	v_div_scale_f64 v[211:212], null, v[209:210], v[209:210], 1.0
	v_rcp_f64_e32 v[213:214], v[211:212]
	v_fma_f64 v[217:218], -v[211:212], v[213:214], 1.0
	v_fma_f64 v[213:214], v[213:214], v[217:218], v[213:214]
	v_fma_f64 v[217:218], -v[211:212], v[213:214], 1.0
	v_fma_f64 v[213:214], v[213:214], v[217:218], v[213:214]
	v_div_scale_f64 v[217:218], vcc_lo, 1.0, v[209:210], 1.0
	v_mul_f64 v[219:220], v[217:218], v[213:214]
	v_fma_f64 v[211:212], -v[211:212], v[219:220], v[217:218]
	v_div_fmas_f64 v[211:212], v[211:212], v[213:214], v[219:220]
	v_div_fixup_f64 v[213:214], v[211:212], v[209:210], 1.0
	v_mul_f64 v[215:216], v[215:216], -v[213:214]
.LBB105_88:
	s_or_b32 exec_lo, exec_lo, s1
	ds_write2_b64 v255, v[213:214], v[215:216] offset1:1
.LBB105_89:
	s_or_b32 exec_lo, exec_lo, s2
	s_waitcnt lgkmcnt(0)
	s_barrier
	buffer_gl0_inv
	ds_read2_b64 v[177:180], v255 offset1:1
	s_mov_b32 s1, exec_lo
	s_waitcnt lgkmcnt(0)
	buffer_store_dword v177, off, s[16:19], 0 offset:680 ; 4-byte Folded Spill
	buffer_store_dword v178, off, s[16:19], 0 offset:684 ; 4-byte Folded Spill
	;; [unrolled: 1-line block ×4, first 2 shown]
	v_cmpx_lt_u32_e32 9, v0
	s_cbranch_execz .LBB105_91
; %bb.90:
	s_clause 0x7
	buffer_load_dword v177, off, s[16:19], 0 offset:680
	buffer_load_dword v178, off, s[16:19], 0 offset:684
	;; [unrolled: 1-line block ×4, first 2 shown]
	buffer_load_dword v173, off, s[16:19], 0
	buffer_load_dword v174, off, s[16:19], 0 offset:4
	buffer_load_dword v175, off, s[16:19], 0 offset:8
	;; [unrolled: 1-line block ×3, first 2 shown]
	ds_read2_b64 v[211:214], v253 offset0:20 offset1:21
	s_waitcnt vmcnt(0)
	v_mul_f64 v[209:210], v[179:180], v[175:176]
	v_mul_f64 v[175:176], v[177:178], v[175:176]
	v_fma_f64 v[209:210], v[177:178], v[173:174], -v[209:210]
	v_fma_f64 v[175:176], v[179:180], v[173:174], v[175:176]
	s_waitcnt lgkmcnt(0)
	v_mul_f64 v[173:174], v[213:214], v[175:176]
	v_fma_f64 v[173:174], v[211:212], v[209:210], -v[173:174]
	v_mul_f64 v[211:212], v[211:212], v[175:176]
	v_add_f64 v[169:170], v[169:170], -v[173:174]
	v_fma_f64 v[211:212], v[213:214], v[209:210], v[211:212]
	v_add_f64 v[171:172], v[171:172], -v[211:212]
	ds_read2_b64 v[211:214], v253 offset0:22 offset1:23
	s_waitcnt lgkmcnt(0)
	v_mul_f64 v[173:174], v[213:214], v[175:176]
	v_fma_f64 v[173:174], v[211:212], v[209:210], -v[173:174]
	v_mul_f64 v[211:212], v[211:212], v[175:176]
	v_add_f64 v[165:166], v[165:166], -v[173:174]
	v_fma_f64 v[211:212], v[213:214], v[209:210], v[211:212]
	v_add_f64 v[167:168], v[167:168], -v[211:212]
	ds_read2_b64 v[211:214], v253 offset0:24 offset1:25
	;; [unrolled: 8-line block ×42, first 2 shown]
	s_waitcnt lgkmcnt(0)
	v_mul_f64 v[173:174], v[213:214], v[175:176]
	v_fma_f64 v[173:174], v[211:212], v[209:210], -v[173:174]
	v_mul_f64 v[211:212], v[211:212], v[175:176]
	v_add_f64 v[1:2], v[1:2], -v[173:174]
	v_fma_f64 v[211:212], v[213:214], v[209:210], v[211:212]
	v_mov_b32_e32 v173, v209
	v_mov_b32_e32 v174, v210
	buffer_store_dword v173, off, s[16:19], 0 ; 4-byte Folded Spill
	buffer_store_dword v174, off, s[16:19], 0 offset:4 ; 4-byte Folded Spill
	buffer_store_dword v175, off, s[16:19], 0 offset:8 ; 4-byte Folded Spill
	;; [unrolled: 1-line block ×3, first 2 shown]
	v_add_f64 v[3:4], v[3:4], -v[211:212]
.LBB105_91:
	s_or_b32 exec_lo, exec_lo, s1
	s_mov_b32 s2, exec_lo
	s_waitcnt_vscnt null, 0x0
	s_barrier
	buffer_gl0_inv
	v_cmpx_eq_u32_e32 10, v0
	s_cbranch_execz .LBB105_98
; %bb.92:
	ds_write2_b64 v255, v[169:170], v[171:172] offset1:1
	ds_write2_b64 v253, v[165:166], v[167:168] offset0:22 offset1:23
	ds_write2_b64 v253, v[161:162], v[163:164] offset0:24 offset1:25
	;; [unrolled: 1-line block ×42, first 2 shown]
	ds_read2_b64 v[209:212], v255 offset1:1
	s_waitcnt lgkmcnt(0)
	v_cmp_neq_f64_e32 vcc_lo, 0, v[209:210]
	v_cmp_neq_f64_e64 s1, 0, v[211:212]
	s_or_b32 s1, vcc_lo, s1
	s_and_b32 exec_lo, exec_lo, s1
	s_cbranch_execz .LBB105_98
; %bb.93:
	v_cmp_ngt_f64_e64 s1, |v[209:210]|, |v[211:212]|
                                        ; implicit-def: $vgpr213_vgpr214
	s_and_saveexec_b32 s3, s1
	s_xor_b32 s1, exec_lo, s3
                                        ; implicit-def: $vgpr215_vgpr216
	s_cbranch_execz .LBB105_95
; %bb.94:
	v_div_scale_f64 v[213:214], null, v[211:212], v[211:212], v[209:210]
	v_div_scale_f64 v[219:220], vcc_lo, v[209:210], v[211:212], v[209:210]
	v_rcp_f64_e32 v[215:216], v[213:214]
	v_fma_f64 v[217:218], -v[213:214], v[215:216], 1.0
	v_fma_f64 v[215:216], v[215:216], v[217:218], v[215:216]
	v_fma_f64 v[217:218], -v[213:214], v[215:216], 1.0
	v_fma_f64 v[215:216], v[215:216], v[217:218], v[215:216]
	v_mul_f64 v[217:218], v[219:220], v[215:216]
	v_fma_f64 v[213:214], -v[213:214], v[217:218], v[219:220]
	v_div_fmas_f64 v[213:214], v[213:214], v[215:216], v[217:218]
	v_div_fixup_f64 v[213:214], v[213:214], v[211:212], v[209:210]
	v_fma_f64 v[209:210], v[209:210], v[213:214], v[211:212]
	v_div_scale_f64 v[211:212], null, v[209:210], v[209:210], 1.0
	v_rcp_f64_e32 v[215:216], v[211:212]
	v_fma_f64 v[217:218], -v[211:212], v[215:216], 1.0
	v_fma_f64 v[215:216], v[215:216], v[217:218], v[215:216]
	v_fma_f64 v[217:218], -v[211:212], v[215:216], 1.0
	v_fma_f64 v[215:216], v[215:216], v[217:218], v[215:216]
	v_div_scale_f64 v[217:218], vcc_lo, 1.0, v[209:210], 1.0
	v_mul_f64 v[219:220], v[217:218], v[215:216]
	v_fma_f64 v[211:212], -v[211:212], v[219:220], v[217:218]
	v_div_fmas_f64 v[211:212], v[211:212], v[215:216], v[219:220]
	v_div_fixup_f64 v[215:216], v[211:212], v[209:210], 1.0
                                        ; implicit-def: $vgpr209_vgpr210
	v_mul_f64 v[213:214], v[213:214], v[215:216]
	v_xor_b32_e32 v216, 0x80000000, v216
.LBB105_95:
	s_andn2_saveexec_b32 s1, s1
	s_cbranch_execz .LBB105_97
; %bb.96:
	v_div_scale_f64 v[213:214], null, v[209:210], v[209:210], v[211:212]
	v_div_scale_f64 v[219:220], vcc_lo, v[211:212], v[209:210], v[211:212]
	v_rcp_f64_e32 v[215:216], v[213:214]
	v_fma_f64 v[217:218], -v[213:214], v[215:216], 1.0
	v_fma_f64 v[215:216], v[215:216], v[217:218], v[215:216]
	v_fma_f64 v[217:218], -v[213:214], v[215:216], 1.0
	v_fma_f64 v[215:216], v[215:216], v[217:218], v[215:216]
	v_mul_f64 v[217:218], v[219:220], v[215:216]
	v_fma_f64 v[213:214], -v[213:214], v[217:218], v[219:220]
	v_div_fmas_f64 v[213:214], v[213:214], v[215:216], v[217:218]
	v_div_fixup_f64 v[215:216], v[213:214], v[209:210], v[211:212]
	v_fma_f64 v[209:210], v[211:212], v[215:216], v[209:210]
	v_div_scale_f64 v[211:212], null, v[209:210], v[209:210], 1.0
	v_rcp_f64_e32 v[213:214], v[211:212]
	v_fma_f64 v[217:218], -v[211:212], v[213:214], 1.0
	v_fma_f64 v[213:214], v[213:214], v[217:218], v[213:214]
	v_fma_f64 v[217:218], -v[211:212], v[213:214], 1.0
	v_fma_f64 v[213:214], v[213:214], v[217:218], v[213:214]
	v_div_scale_f64 v[217:218], vcc_lo, 1.0, v[209:210], 1.0
	v_mul_f64 v[219:220], v[217:218], v[213:214]
	v_fma_f64 v[211:212], -v[211:212], v[219:220], v[217:218]
	v_div_fmas_f64 v[211:212], v[211:212], v[213:214], v[219:220]
	v_div_fixup_f64 v[213:214], v[211:212], v[209:210], 1.0
	v_mul_f64 v[215:216], v[215:216], -v[213:214]
.LBB105_97:
	s_or_b32 exec_lo, exec_lo, s1
	ds_write2_b64 v255, v[213:214], v[215:216] offset1:1
.LBB105_98:
	s_or_b32 exec_lo, exec_lo, s2
	s_waitcnt lgkmcnt(0)
	s_barrier
	buffer_gl0_inv
	ds_read2_b64 v[225:228], v255 offset1:1
	s_mov_b32 s1, exec_lo
	v_cmpx_lt_u32_e32 10, v0
	s_cbranch_execz .LBB105_100
; %bb.99:
	s_waitcnt lgkmcnt(0)
	v_mul_f64 v[209:210], v[227:228], v[171:172]
	v_mul_f64 v[171:172], v[225:226], v[171:172]
	ds_read2_b64 v[211:214], v253 offset0:22 offset1:23
	v_fma_f64 v[209:210], v[225:226], v[169:170], -v[209:210]
	v_fma_f64 v[171:172], v[227:228], v[169:170], v[171:172]
	s_waitcnt lgkmcnt(0)
	v_mul_f64 v[169:170], v[213:214], v[171:172]
	v_fma_f64 v[169:170], v[211:212], v[209:210], -v[169:170]
	v_mul_f64 v[211:212], v[211:212], v[171:172]
	v_add_f64 v[165:166], v[165:166], -v[169:170]
	v_fma_f64 v[211:212], v[213:214], v[209:210], v[211:212]
	v_add_f64 v[167:168], v[167:168], -v[211:212]
	ds_read2_b64 v[211:214], v253 offset0:24 offset1:25
	s_waitcnt lgkmcnt(0)
	v_mul_f64 v[169:170], v[213:214], v[171:172]
	v_fma_f64 v[169:170], v[211:212], v[209:210], -v[169:170]
	v_mul_f64 v[211:212], v[211:212], v[171:172]
	v_add_f64 v[161:162], v[161:162], -v[169:170]
	v_fma_f64 v[211:212], v[213:214], v[209:210], v[211:212]
	v_add_f64 v[163:164], v[163:164], -v[211:212]
	ds_read2_b64 v[211:214], v253 offset0:26 offset1:27
	s_waitcnt lgkmcnt(0)
	v_mul_f64 v[169:170], v[213:214], v[171:172]
	v_fma_f64 v[169:170], v[211:212], v[209:210], -v[169:170]
	v_mul_f64 v[211:212], v[211:212], v[171:172]
	v_add_f64 v[157:158], v[157:158], -v[169:170]
	v_fma_f64 v[211:212], v[213:214], v[209:210], v[211:212]
	v_add_f64 v[159:160], v[159:160], -v[211:212]
	ds_read2_b64 v[211:214], v253 offset0:28 offset1:29
	s_waitcnt lgkmcnt(0)
	v_mul_f64 v[169:170], v[213:214], v[171:172]
	v_fma_f64 v[169:170], v[211:212], v[209:210], -v[169:170]
	v_mul_f64 v[211:212], v[211:212], v[171:172]
	v_add_f64 v[153:154], v[153:154], -v[169:170]
	v_fma_f64 v[211:212], v[213:214], v[209:210], v[211:212]
	v_add_f64 v[155:156], v[155:156], -v[211:212]
	ds_read2_b64 v[211:214], v253 offset0:30 offset1:31
	s_waitcnt lgkmcnt(0)
	v_mul_f64 v[169:170], v[213:214], v[171:172]
	v_fma_f64 v[169:170], v[211:212], v[209:210], -v[169:170]
	v_mul_f64 v[211:212], v[211:212], v[171:172]
	v_add_f64 v[149:150], v[149:150], -v[169:170]
	v_fma_f64 v[211:212], v[213:214], v[209:210], v[211:212]
	v_add_f64 v[151:152], v[151:152], -v[211:212]
	ds_read2_b64 v[211:214], v253 offset0:32 offset1:33
	s_waitcnt lgkmcnt(0)
	v_mul_f64 v[169:170], v[213:214], v[171:172]
	v_fma_f64 v[169:170], v[211:212], v[209:210], -v[169:170]
	v_mul_f64 v[211:212], v[211:212], v[171:172]
	v_add_f64 v[145:146], v[145:146], -v[169:170]
	v_fma_f64 v[211:212], v[213:214], v[209:210], v[211:212]
	v_add_f64 v[147:148], v[147:148], -v[211:212]
	ds_read2_b64 v[211:214], v253 offset0:34 offset1:35
	s_waitcnt lgkmcnt(0)
	v_mul_f64 v[169:170], v[213:214], v[171:172]
	v_fma_f64 v[169:170], v[211:212], v[209:210], -v[169:170]
	v_mul_f64 v[211:212], v[211:212], v[171:172]
	v_add_f64 v[141:142], v[141:142], -v[169:170]
	v_fma_f64 v[211:212], v[213:214], v[209:210], v[211:212]
	v_add_f64 v[143:144], v[143:144], -v[211:212]
	ds_read2_b64 v[211:214], v253 offset0:36 offset1:37
	s_waitcnt lgkmcnt(0)
	v_mul_f64 v[169:170], v[213:214], v[171:172]
	v_fma_f64 v[169:170], v[211:212], v[209:210], -v[169:170]
	v_mul_f64 v[211:212], v[211:212], v[171:172]
	v_add_f64 v[137:138], v[137:138], -v[169:170]
	v_fma_f64 v[211:212], v[213:214], v[209:210], v[211:212]
	v_add_f64 v[139:140], v[139:140], -v[211:212]
	ds_read2_b64 v[211:214], v253 offset0:38 offset1:39
	s_waitcnt lgkmcnt(0)
	v_mul_f64 v[169:170], v[213:214], v[171:172]
	v_fma_f64 v[169:170], v[211:212], v[209:210], -v[169:170]
	v_mul_f64 v[211:212], v[211:212], v[171:172]
	v_add_f64 v[133:134], v[133:134], -v[169:170]
	v_fma_f64 v[211:212], v[213:214], v[209:210], v[211:212]
	v_add_f64 v[135:136], v[135:136], -v[211:212]
	ds_read2_b64 v[211:214], v253 offset0:40 offset1:41
	s_waitcnt lgkmcnt(0)
	v_mul_f64 v[169:170], v[213:214], v[171:172]
	v_fma_f64 v[169:170], v[211:212], v[209:210], -v[169:170]
	v_mul_f64 v[211:212], v[211:212], v[171:172]
	v_add_f64 v[129:130], v[129:130], -v[169:170]
	v_fma_f64 v[211:212], v[213:214], v[209:210], v[211:212]
	v_add_f64 v[131:132], v[131:132], -v[211:212]
	ds_read2_b64 v[211:214], v253 offset0:42 offset1:43
	s_waitcnt lgkmcnt(0)
	v_mul_f64 v[169:170], v[213:214], v[171:172]
	v_fma_f64 v[169:170], v[211:212], v[209:210], -v[169:170]
	v_mul_f64 v[211:212], v[211:212], v[171:172]
	v_add_f64 v[125:126], v[125:126], -v[169:170]
	v_fma_f64 v[211:212], v[213:214], v[209:210], v[211:212]
	v_add_f64 v[127:128], v[127:128], -v[211:212]
	ds_read2_b64 v[211:214], v253 offset0:44 offset1:45
	s_waitcnt lgkmcnt(0)
	v_mul_f64 v[169:170], v[213:214], v[171:172]
	v_fma_f64 v[169:170], v[211:212], v[209:210], -v[169:170]
	v_mul_f64 v[211:212], v[211:212], v[171:172]
	v_add_f64 v[121:122], v[121:122], -v[169:170]
	v_fma_f64 v[211:212], v[213:214], v[209:210], v[211:212]
	v_add_f64 v[123:124], v[123:124], -v[211:212]
	ds_read2_b64 v[211:214], v253 offset0:46 offset1:47
	s_waitcnt lgkmcnt(0)
	v_mul_f64 v[169:170], v[213:214], v[171:172]
	v_fma_f64 v[169:170], v[211:212], v[209:210], -v[169:170]
	v_mul_f64 v[211:212], v[211:212], v[171:172]
	v_add_f64 v[117:118], v[117:118], -v[169:170]
	v_fma_f64 v[211:212], v[213:214], v[209:210], v[211:212]
	v_add_f64 v[119:120], v[119:120], -v[211:212]
	ds_read2_b64 v[211:214], v253 offset0:48 offset1:49
	s_waitcnt lgkmcnt(0)
	v_mul_f64 v[169:170], v[213:214], v[171:172]
	v_fma_f64 v[169:170], v[211:212], v[209:210], -v[169:170]
	v_mul_f64 v[211:212], v[211:212], v[171:172]
	v_add_f64 v[113:114], v[113:114], -v[169:170]
	v_fma_f64 v[211:212], v[213:214], v[209:210], v[211:212]
	v_add_f64 v[115:116], v[115:116], -v[211:212]
	ds_read2_b64 v[211:214], v253 offset0:50 offset1:51
	s_waitcnt lgkmcnt(0)
	v_mul_f64 v[169:170], v[213:214], v[171:172]
	v_fma_f64 v[169:170], v[211:212], v[209:210], -v[169:170]
	v_mul_f64 v[211:212], v[211:212], v[171:172]
	v_add_f64 v[109:110], v[109:110], -v[169:170]
	v_fma_f64 v[211:212], v[213:214], v[209:210], v[211:212]
	v_add_f64 v[111:112], v[111:112], -v[211:212]
	ds_read2_b64 v[211:214], v253 offset0:52 offset1:53
	s_waitcnt lgkmcnt(0)
	v_mul_f64 v[169:170], v[213:214], v[171:172]
	v_fma_f64 v[169:170], v[211:212], v[209:210], -v[169:170]
	v_mul_f64 v[211:212], v[211:212], v[171:172]
	v_add_f64 v[105:106], v[105:106], -v[169:170]
	v_fma_f64 v[211:212], v[213:214], v[209:210], v[211:212]
	v_add_f64 v[107:108], v[107:108], -v[211:212]
	ds_read2_b64 v[211:214], v253 offset0:54 offset1:55
	s_waitcnt lgkmcnt(0)
	v_mul_f64 v[169:170], v[213:214], v[171:172]
	v_fma_f64 v[169:170], v[211:212], v[209:210], -v[169:170]
	v_mul_f64 v[211:212], v[211:212], v[171:172]
	v_add_f64 v[101:102], v[101:102], -v[169:170]
	v_fma_f64 v[211:212], v[213:214], v[209:210], v[211:212]
	v_add_f64 v[103:104], v[103:104], -v[211:212]
	ds_read2_b64 v[211:214], v253 offset0:56 offset1:57
	s_waitcnt lgkmcnt(0)
	v_mul_f64 v[169:170], v[213:214], v[171:172]
	v_fma_f64 v[169:170], v[211:212], v[209:210], -v[169:170]
	v_mul_f64 v[211:212], v[211:212], v[171:172]
	v_add_f64 v[97:98], v[97:98], -v[169:170]
	v_fma_f64 v[211:212], v[213:214], v[209:210], v[211:212]
	v_add_f64 v[99:100], v[99:100], -v[211:212]
	ds_read2_b64 v[211:214], v253 offset0:58 offset1:59
	s_waitcnt lgkmcnt(0)
	v_mul_f64 v[169:170], v[213:214], v[171:172]
	v_fma_f64 v[169:170], v[211:212], v[209:210], -v[169:170]
	v_mul_f64 v[211:212], v[211:212], v[171:172]
	v_add_f64 v[93:94], v[93:94], -v[169:170]
	v_fma_f64 v[211:212], v[213:214], v[209:210], v[211:212]
	v_add_f64 v[95:96], v[95:96], -v[211:212]
	ds_read2_b64 v[211:214], v253 offset0:60 offset1:61
	s_waitcnt lgkmcnt(0)
	v_mul_f64 v[169:170], v[213:214], v[171:172]
	v_fma_f64 v[169:170], v[211:212], v[209:210], -v[169:170]
	v_mul_f64 v[211:212], v[211:212], v[171:172]
	v_add_f64 v[89:90], v[89:90], -v[169:170]
	v_fma_f64 v[211:212], v[213:214], v[209:210], v[211:212]
	v_add_f64 v[91:92], v[91:92], -v[211:212]
	ds_read2_b64 v[211:214], v253 offset0:62 offset1:63
	s_waitcnt lgkmcnt(0)
	v_mul_f64 v[169:170], v[213:214], v[171:172]
	v_fma_f64 v[169:170], v[211:212], v[209:210], -v[169:170]
	v_mul_f64 v[211:212], v[211:212], v[171:172]
	v_add_f64 v[85:86], v[85:86], -v[169:170]
	v_fma_f64 v[211:212], v[213:214], v[209:210], v[211:212]
	v_add_f64 v[87:88], v[87:88], -v[211:212]
	ds_read2_b64 v[211:214], v253 offset0:64 offset1:65
	s_waitcnt lgkmcnt(0)
	v_mul_f64 v[169:170], v[213:214], v[171:172]
	v_fma_f64 v[169:170], v[211:212], v[209:210], -v[169:170]
	v_mul_f64 v[211:212], v[211:212], v[171:172]
	v_add_f64 v[81:82], v[81:82], -v[169:170]
	v_fma_f64 v[211:212], v[213:214], v[209:210], v[211:212]
	v_add_f64 v[83:84], v[83:84], -v[211:212]
	ds_read2_b64 v[211:214], v253 offset0:66 offset1:67
	s_waitcnt lgkmcnt(0)
	v_mul_f64 v[169:170], v[213:214], v[171:172]
	v_fma_f64 v[169:170], v[211:212], v[209:210], -v[169:170]
	v_mul_f64 v[211:212], v[211:212], v[171:172]
	v_add_f64 v[77:78], v[77:78], -v[169:170]
	v_fma_f64 v[211:212], v[213:214], v[209:210], v[211:212]
	v_add_f64 v[79:80], v[79:80], -v[211:212]
	ds_read2_b64 v[211:214], v253 offset0:68 offset1:69
	s_waitcnt lgkmcnt(0)
	v_mul_f64 v[169:170], v[213:214], v[171:172]
	v_fma_f64 v[169:170], v[211:212], v[209:210], -v[169:170]
	v_mul_f64 v[211:212], v[211:212], v[171:172]
	v_add_f64 v[73:74], v[73:74], -v[169:170]
	v_fma_f64 v[211:212], v[213:214], v[209:210], v[211:212]
	v_add_f64 v[75:76], v[75:76], -v[211:212]
	ds_read2_b64 v[211:214], v253 offset0:70 offset1:71
	s_waitcnt lgkmcnt(0)
	v_mul_f64 v[169:170], v[213:214], v[171:172]
	v_fma_f64 v[169:170], v[211:212], v[209:210], -v[169:170]
	v_mul_f64 v[211:212], v[211:212], v[171:172]
	v_add_f64 v[69:70], v[69:70], -v[169:170]
	v_fma_f64 v[211:212], v[213:214], v[209:210], v[211:212]
	v_add_f64 v[71:72], v[71:72], -v[211:212]
	ds_read2_b64 v[211:214], v253 offset0:72 offset1:73
	s_waitcnt lgkmcnt(0)
	v_mul_f64 v[169:170], v[213:214], v[171:172]
	v_fma_f64 v[169:170], v[211:212], v[209:210], -v[169:170]
	v_mul_f64 v[211:212], v[211:212], v[171:172]
	v_add_f64 v[65:66], v[65:66], -v[169:170]
	v_fma_f64 v[211:212], v[213:214], v[209:210], v[211:212]
	v_add_f64 v[67:68], v[67:68], -v[211:212]
	ds_read2_b64 v[211:214], v253 offset0:74 offset1:75
	s_waitcnt lgkmcnt(0)
	v_mul_f64 v[169:170], v[213:214], v[171:172]
	v_fma_f64 v[169:170], v[211:212], v[209:210], -v[169:170]
	v_mul_f64 v[211:212], v[211:212], v[171:172]
	v_add_f64 v[61:62], v[61:62], -v[169:170]
	v_fma_f64 v[211:212], v[213:214], v[209:210], v[211:212]
	v_add_f64 v[63:64], v[63:64], -v[211:212]
	ds_read2_b64 v[211:214], v253 offset0:76 offset1:77
	s_waitcnt lgkmcnt(0)
	v_mul_f64 v[169:170], v[213:214], v[171:172]
	v_fma_f64 v[169:170], v[211:212], v[209:210], -v[169:170]
	v_mul_f64 v[211:212], v[211:212], v[171:172]
	v_add_f64 v[57:58], v[57:58], -v[169:170]
	v_fma_f64 v[211:212], v[213:214], v[209:210], v[211:212]
	v_add_f64 v[59:60], v[59:60], -v[211:212]
	ds_read2_b64 v[211:214], v253 offset0:78 offset1:79
	s_waitcnt lgkmcnt(0)
	v_mul_f64 v[169:170], v[213:214], v[171:172]
	v_fma_f64 v[169:170], v[211:212], v[209:210], -v[169:170]
	v_mul_f64 v[211:212], v[211:212], v[171:172]
	v_add_f64 v[53:54], v[53:54], -v[169:170]
	v_fma_f64 v[211:212], v[213:214], v[209:210], v[211:212]
	v_add_f64 v[55:56], v[55:56], -v[211:212]
	ds_read2_b64 v[211:214], v253 offset0:80 offset1:81
	s_waitcnt lgkmcnt(0)
	v_mul_f64 v[169:170], v[213:214], v[171:172]
	v_fma_f64 v[169:170], v[211:212], v[209:210], -v[169:170]
	v_mul_f64 v[211:212], v[211:212], v[171:172]
	v_add_f64 v[49:50], v[49:50], -v[169:170]
	v_fma_f64 v[211:212], v[213:214], v[209:210], v[211:212]
	v_add_f64 v[51:52], v[51:52], -v[211:212]
	ds_read2_b64 v[211:214], v253 offset0:82 offset1:83
	s_waitcnt lgkmcnt(0)
	v_mul_f64 v[169:170], v[213:214], v[171:172]
	v_fma_f64 v[169:170], v[211:212], v[209:210], -v[169:170]
	v_mul_f64 v[211:212], v[211:212], v[171:172]
	v_add_f64 v[45:46], v[45:46], -v[169:170]
	v_fma_f64 v[211:212], v[213:214], v[209:210], v[211:212]
	v_add_f64 v[47:48], v[47:48], -v[211:212]
	ds_read2_b64 v[211:214], v253 offset0:84 offset1:85
	s_waitcnt lgkmcnt(0)
	v_mul_f64 v[169:170], v[213:214], v[171:172]
	v_fma_f64 v[169:170], v[211:212], v[209:210], -v[169:170]
	v_mul_f64 v[211:212], v[211:212], v[171:172]
	v_add_f64 v[41:42], v[41:42], -v[169:170]
	v_fma_f64 v[211:212], v[213:214], v[209:210], v[211:212]
	v_add_f64 v[43:44], v[43:44], -v[211:212]
	ds_read2_b64 v[211:214], v253 offset0:86 offset1:87
	s_waitcnt lgkmcnt(0)
	v_mul_f64 v[169:170], v[213:214], v[171:172]
	v_fma_f64 v[169:170], v[211:212], v[209:210], -v[169:170]
	v_mul_f64 v[211:212], v[211:212], v[171:172]
	v_add_f64 v[37:38], v[37:38], -v[169:170]
	v_fma_f64 v[211:212], v[213:214], v[209:210], v[211:212]
	v_add_f64 v[39:40], v[39:40], -v[211:212]
	ds_read2_b64 v[211:214], v253 offset0:88 offset1:89
	s_waitcnt lgkmcnt(0)
	v_mul_f64 v[169:170], v[213:214], v[171:172]
	v_fma_f64 v[169:170], v[211:212], v[209:210], -v[169:170]
	v_mul_f64 v[211:212], v[211:212], v[171:172]
	v_add_f64 v[33:34], v[33:34], -v[169:170]
	v_fma_f64 v[211:212], v[213:214], v[209:210], v[211:212]
	v_add_f64 v[35:36], v[35:36], -v[211:212]
	ds_read2_b64 v[211:214], v253 offset0:90 offset1:91
	s_waitcnt lgkmcnt(0)
	v_mul_f64 v[169:170], v[213:214], v[171:172]
	v_fma_f64 v[169:170], v[211:212], v[209:210], -v[169:170]
	v_mul_f64 v[211:212], v[211:212], v[171:172]
	v_add_f64 v[29:30], v[29:30], -v[169:170]
	v_fma_f64 v[211:212], v[213:214], v[209:210], v[211:212]
	v_add_f64 v[31:32], v[31:32], -v[211:212]
	ds_read2_b64 v[211:214], v253 offset0:92 offset1:93
	s_waitcnt lgkmcnt(0)
	v_mul_f64 v[169:170], v[213:214], v[171:172]
	v_fma_f64 v[169:170], v[211:212], v[209:210], -v[169:170]
	v_mul_f64 v[211:212], v[211:212], v[171:172]
	v_add_f64 v[25:26], v[25:26], -v[169:170]
	v_fma_f64 v[211:212], v[213:214], v[209:210], v[211:212]
	v_add_f64 v[27:28], v[27:28], -v[211:212]
	ds_read2_b64 v[211:214], v253 offset0:94 offset1:95
	s_waitcnt lgkmcnt(0)
	v_mul_f64 v[169:170], v[213:214], v[171:172]
	v_fma_f64 v[169:170], v[211:212], v[209:210], -v[169:170]
	v_mul_f64 v[211:212], v[211:212], v[171:172]
	v_add_f64 v[21:22], v[21:22], -v[169:170]
	v_fma_f64 v[211:212], v[213:214], v[209:210], v[211:212]
	v_add_f64 v[23:24], v[23:24], -v[211:212]
	ds_read2_b64 v[211:214], v253 offset0:96 offset1:97
	s_waitcnt lgkmcnt(0)
	v_mul_f64 v[169:170], v[213:214], v[171:172]
	v_fma_f64 v[169:170], v[211:212], v[209:210], -v[169:170]
	v_mul_f64 v[211:212], v[211:212], v[171:172]
	v_add_f64 v[17:18], v[17:18], -v[169:170]
	v_fma_f64 v[211:212], v[213:214], v[209:210], v[211:212]
	v_add_f64 v[19:20], v[19:20], -v[211:212]
	ds_read2_b64 v[211:214], v253 offset0:98 offset1:99
	s_waitcnt lgkmcnt(0)
	v_mul_f64 v[169:170], v[213:214], v[171:172]
	v_fma_f64 v[169:170], v[211:212], v[209:210], -v[169:170]
	v_mul_f64 v[211:212], v[211:212], v[171:172]
	v_add_f64 v[13:14], v[13:14], -v[169:170]
	v_fma_f64 v[211:212], v[213:214], v[209:210], v[211:212]
	v_add_f64 v[15:16], v[15:16], -v[211:212]
	ds_read2_b64 v[211:214], v253 offset0:100 offset1:101
	s_waitcnt lgkmcnt(0)
	v_mul_f64 v[169:170], v[213:214], v[171:172]
	v_fma_f64 v[169:170], v[211:212], v[209:210], -v[169:170]
	v_mul_f64 v[211:212], v[211:212], v[171:172]
	v_add_f64 v[9:10], v[9:10], -v[169:170]
	v_fma_f64 v[211:212], v[213:214], v[209:210], v[211:212]
	v_add_f64 v[11:12], v[11:12], -v[211:212]
	ds_read2_b64 v[211:214], v253 offset0:102 offset1:103
	s_waitcnt lgkmcnt(0)
	v_mul_f64 v[169:170], v[213:214], v[171:172]
	v_fma_f64 v[169:170], v[211:212], v[209:210], -v[169:170]
	v_mul_f64 v[211:212], v[211:212], v[171:172]
	v_add_f64 v[5:6], v[5:6], -v[169:170]
	v_fma_f64 v[211:212], v[213:214], v[209:210], v[211:212]
	v_add_f64 v[7:8], v[7:8], -v[211:212]
	ds_read2_b64 v[211:214], v253 offset0:104 offset1:105
	s_waitcnt lgkmcnt(0)
	v_mul_f64 v[169:170], v[213:214], v[171:172]
	v_fma_f64 v[169:170], v[211:212], v[209:210], -v[169:170]
	v_mul_f64 v[211:212], v[211:212], v[171:172]
	v_add_f64 v[1:2], v[1:2], -v[169:170]
	v_fma_f64 v[211:212], v[213:214], v[209:210], v[211:212]
	v_mov_b32_e32 v169, v209
	v_mov_b32_e32 v170, v210
	v_add_f64 v[3:4], v[3:4], -v[211:212]
.LBB105_100:
	s_or_b32 exec_lo, exec_lo, s1
	s_mov_b32 s2, exec_lo
	s_waitcnt lgkmcnt(0)
	s_barrier
	buffer_gl0_inv
	v_cmpx_eq_u32_e32 11, v0
	s_cbranch_execz .LBB105_107
; %bb.101:
	ds_write2_b64 v255, v[165:166], v[167:168] offset1:1
	ds_write2_b64 v253, v[161:162], v[163:164] offset0:24 offset1:25
	ds_write2_b64 v253, v[157:158], v[159:160] offset0:26 offset1:27
	;; [unrolled: 1-line block ×41, first 2 shown]
	ds_read2_b64 v[209:212], v255 offset1:1
	s_waitcnt lgkmcnt(0)
	v_cmp_neq_f64_e32 vcc_lo, 0, v[209:210]
	v_cmp_neq_f64_e64 s1, 0, v[211:212]
	s_or_b32 s1, vcc_lo, s1
	s_and_b32 exec_lo, exec_lo, s1
	s_cbranch_execz .LBB105_107
; %bb.102:
	v_cmp_ngt_f64_e64 s1, |v[209:210]|, |v[211:212]|
                                        ; implicit-def: $vgpr213_vgpr214
	s_and_saveexec_b32 s3, s1
	s_xor_b32 s1, exec_lo, s3
                                        ; implicit-def: $vgpr215_vgpr216
	s_cbranch_execz .LBB105_104
; %bb.103:
	v_div_scale_f64 v[213:214], null, v[211:212], v[211:212], v[209:210]
	v_div_scale_f64 v[219:220], vcc_lo, v[209:210], v[211:212], v[209:210]
	v_rcp_f64_e32 v[215:216], v[213:214]
	v_fma_f64 v[217:218], -v[213:214], v[215:216], 1.0
	v_fma_f64 v[215:216], v[215:216], v[217:218], v[215:216]
	v_fma_f64 v[217:218], -v[213:214], v[215:216], 1.0
	v_fma_f64 v[215:216], v[215:216], v[217:218], v[215:216]
	v_mul_f64 v[217:218], v[219:220], v[215:216]
	v_fma_f64 v[213:214], -v[213:214], v[217:218], v[219:220]
	v_div_fmas_f64 v[213:214], v[213:214], v[215:216], v[217:218]
	v_div_fixup_f64 v[213:214], v[213:214], v[211:212], v[209:210]
	v_fma_f64 v[209:210], v[209:210], v[213:214], v[211:212]
	v_div_scale_f64 v[211:212], null, v[209:210], v[209:210], 1.0
	v_rcp_f64_e32 v[215:216], v[211:212]
	v_fma_f64 v[217:218], -v[211:212], v[215:216], 1.0
	v_fma_f64 v[215:216], v[215:216], v[217:218], v[215:216]
	v_fma_f64 v[217:218], -v[211:212], v[215:216], 1.0
	v_fma_f64 v[215:216], v[215:216], v[217:218], v[215:216]
	v_div_scale_f64 v[217:218], vcc_lo, 1.0, v[209:210], 1.0
	v_mul_f64 v[219:220], v[217:218], v[215:216]
	v_fma_f64 v[211:212], -v[211:212], v[219:220], v[217:218]
	v_div_fmas_f64 v[211:212], v[211:212], v[215:216], v[219:220]
	v_div_fixup_f64 v[215:216], v[211:212], v[209:210], 1.0
                                        ; implicit-def: $vgpr209_vgpr210
	v_mul_f64 v[213:214], v[213:214], v[215:216]
	v_xor_b32_e32 v216, 0x80000000, v216
.LBB105_104:
	s_andn2_saveexec_b32 s1, s1
	s_cbranch_execz .LBB105_106
; %bb.105:
	v_div_scale_f64 v[213:214], null, v[209:210], v[209:210], v[211:212]
	v_div_scale_f64 v[219:220], vcc_lo, v[211:212], v[209:210], v[211:212]
	v_rcp_f64_e32 v[215:216], v[213:214]
	v_fma_f64 v[217:218], -v[213:214], v[215:216], 1.0
	v_fma_f64 v[215:216], v[215:216], v[217:218], v[215:216]
	v_fma_f64 v[217:218], -v[213:214], v[215:216], 1.0
	v_fma_f64 v[215:216], v[215:216], v[217:218], v[215:216]
	v_mul_f64 v[217:218], v[219:220], v[215:216]
	v_fma_f64 v[213:214], -v[213:214], v[217:218], v[219:220]
	v_div_fmas_f64 v[213:214], v[213:214], v[215:216], v[217:218]
	v_div_fixup_f64 v[215:216], v[213:214], v[209:210], v[211:212]
	v_fma_f64 v[209:210], v[211:212], v[215:216], v[209:210]
	v_div_scale_f64 v[211:212], null, v[209:210], v[209:210], 1.0
	v_rcp_f64_e32 v[213:214], v[211:212]
	v_fma_f64 v[217:218], -v[211:212], v[213:214], 1.0
	v_fma_f64 v[213:214], v[213:214], v[217:218], v[213:214]
	v_fma_f64 v[217:218], -v[211:212], v[213:214], 1.0
	v_fma_f64 v[213:214], v[213:214], v[217:218], v[213:214]
	v_div_scale_f64 v[217:218], vcc_lo, 1.0, v[209:210], 1.0
	v_mul_f64 v[219:220], v[217:218], v[213:214]
	v_fma_f64 v[211:212], -v[211:212], v[219:220], v[217:218]
	v_div_fmas_f64 v[211:212], v[211:212], v[213:214], v[219:220]
	v_div_fixup_f64 v[213:214], v[211:212], v[209:210], 1.0
	v_mul_f64 v[215:216], v[215:216], -v[213:214]
.LBB105_106:
	s_or_b32 exec_lo, exec_lo, s1
	ds_write2_b64 v255, v[213:214], v[215:216] offset1:1
.LBB105_107:
	s_or_b32 exec_lo, exec_lo, s2
	s_waitcnt lgkmcnt(0)
	s_barrier
	buffer_gl0_inv
	ds_read2_b64 v[177:180], v255 offset1:1
	s_mov_b32 s1, exec_lo
	v_cmpx_lt_u32_e32 11, v0
	s_cbranch_execz .LBB105_109
; %bb.108:
	s_waitcnt lgkmcnt(0)
	v_mul_f64 v[209:210], v[179:180], v[167:168]
	v_mul_f64 v[167:168], v[177:178], v[167:168]
	ds_read2_b64 v[211:214], v253 offset0:24 offset1:25
	v_fma_f64 v[209:210], v[177:178], v[165:166], -v[209:210]
	v_fma_f64 v[167:168], v[179:180], v[165:166], v[167:168]
	s_waitcnt lgkmcnt(0)
	v_mul_f64 v[165:166], v[213:214], v[167:168]
	v_fma_f64 v[165:166], v[211:212], v[209:210], -v[165:166]
	v_mul_f64 v[211:212], v[211:212], v[167:168]
	v_add_f64 v[161:162], v[161:162], -v[165:166]
	v_fma_f64 v[211:212], v[213:214], v[209:210], v[211:212]
	v_add_f64 v[163:164], v[163:164], -v[211:212]
	ds_read2_b64 v[211:214], v253 offset0:26 offset1:27
	s_waitcnt lgkmcnt(0)
	v_mul_f64 v[165:166], v[213:214], v[167:168]
	v_fma_f64 v[165:166], v[211:212], v[209:210], -v[165:166]
	v_mul_f64 v[211:212], v[211:212], v[167:168]
	v_add_f64 v[157:158], v[157:158], -v[165:166]
	v_fma_f64 v[211:212], v[213:214], v[209:210], v[211:212]
	v_add_f64 v[159:160], v[159:160], -v[211:212]
	ds_read2_b64 v[211:214], v253 offset0:28 offset1:29
	;; [unrolled: 8-line block ×40, first 2 shown]
	s_waitcnt lgkmcnt(0)
	v_mul_f64 v[165:166], v[213:214], v[167:168]
	v_fma_f64 v[165:166], v[211:212], v[209:210], -v[165:166]
	v_mul_f64 v[211:212], v[211:212], v[167:168]
	v_add_f64 v[1:2], v[1:2], -v[165:166]
	v_fma_f64 v[211:212], v[213:214], v[209:210], v[211:212]
	v_mov_b32_e32 v165, v209
	v_mov_b32_e32 v166, v210
	v_add_f64 v[3:4], v[3:4], -v[211:212]
.LBB105_109:
	s_or_b32 exec_lo, exec_lo, s1
	s_mov_b32 s2, exec_lo
	s_waitcnt lgkmcnt(0)
	s_barrier
	buffer_gl0_inv
	v_cmpx_eq_u32_e32 12, v0
	s_cbranch_execz .LBB105_116
; %bb.110:
	ds_write2_b64 v255, v[161:162], v[163:164] offset1:1
	ds_write2_b64 v253, v[157:158], v[159:160] offset0:26 offset1:27
	ds_write2_b64 v253, v[153:154], v[155:156] offset0:28 offset1:29
	;; [unrolled: 1-line block ×40, first 2 shown]
	ds_read2_b64 v[209:212], v255 offset1:1
	s_waitcnt lgkmcnt(0)
	v_cmp_neq_f64_e32 vcc_lo, 0, v[209:210]
	v_cmp_neq_f64_e64 s1, 0, v[211:212]
	s_or_b32 s1, vcc_lo, s1
	s_and_b32 exec_lo, exec_lo, s1
	s_cbranch_execz .LBB105_116
; %bb.111:
	v_cmp_ngt_f64_e64 s1, |v[209:210]|, |v[211:212]|
                                        ; implicit-def: $vgpr213_vgpr214
	s_and_saveexec_b32 s3, s1
	s_xor_b32 s1, exec_lo, s3
                                        ; implicit-def: $vgpr215_vgpr216
	s_cbranch_execz .LBB105_113
; %bb.112:
	v_div_scale_f64 v[213:214], null, v[211:212], v[211:212], v[209:210]
	v_div_scale_f64 v[219:220], vcc_lo, v[209:210], v[211:212], v[209:210]
	v_rcp_f64_e32 v[215:216], v[213:214]
	v_fma_f64 v[217:218], -v[213:214], v[215:216], 1.0
	v_fma_f64 v[215:216], v[215:216], v[217:218], v[215:216]
	v_fma_f64 v[217:218], -v[213:214], v[215:216], 1.0
	v_fma_f64 v[215:216], v[215:216], v[217:218], v[215:216]
	v_mul_f64 v[217:218], v[219:220], v[215:216]
	v_fma_f64 v[213:214], -v[213:214], v[217:218], v[219:220]
	v_div_fmas_f64 v[213:214], v[213:214], v[215:216], v[217:218]
	v_div_fixup_f64 v[213:214], v[213:214], v[211:212], v[209:210]
	v_fma_f64 v[209:210], v[209:210], v[213:214], v[211:212]
	v_div_scale_f64 v[211:212], null, v[209:210], v[209:210], 1.0
	v_rcp_f64_e32 v[215:216], v[211:212]
	v_fma_f64 v[217:218], -v[211:212], v[215:216], 1.0
	v_fma_f64 v[215:216], v[215:216], v[217:218], v[215:216]
	v_fma_f64 v[217:218], -v[211:212], v[215:216], 1.0
	v_fma_f64 v[215:216], v[215:216], v[217:218], v[215:216]
	v_div_scale_f64 v[217:218], vcc_lo, 1.0, v[209:210], 1.0
	v_mul_f64 v[219:220], v[217:218], v[215:216]
	v_fma_f64 v[211:212], -v[211:212], v[219:220], v[217:218]
	v_div_fmas_f64 v[211:212], v[211:212], v[215:216], v[219:220]
	v_div_fixup_f64 v[215:216], v[211:212], v[209:210], 1.0
                                        ; implicit-def: $vgpr209_vgpr210
	v_mul_f64 v[213:214], v[213:214], v[215:216]
	v_xor_b32_e32 v216, 0x80000000, v216
.LBB105_113:
	s_andn2_saveexec_b32 s1, s1
	s_cbranch_execz .LBB105_115
; %bb.114:
	v_div_scale_f64 v[213:214], null, v[209:210], v[209:210], v[211:212]
	v_div_scale_f64 v[219:220], vcc_lo, v[211:212], v[209:210], v[211:212]
	v_rcp_f64_e32 v[215:216], v[213:214]
	v_fma_f64 v[217:218], -v[213:214], v[215:216], 1.0
	v_fma_f64 v[215:216], v[215:216], v[217:218], v[215:216]
	v_fma_f64 v[217:218], -v[213:214], v[215:216], 1.0
	v_fma_f64 v[215:216], v[215:216], v[217:218], v[215:216]
	v_mul_f64 v[217:218], v[219:220], v[215:216]
	v_fma_f64 v[213:214], -v[213:214], v[217:218], v[219:220]
	v_div_fmas_f64 v[213:214], v[213:214], v[215:216], v[217:218]
	v_div_fixup_f64 v[215:216], v[213:214], v[209:210], v[211:212]
	v_fma_f64 v[209:210], v[211:212], v[215:216], v[209:210]
	v_div_scale_f64 v[211:212], null, v[209:210], v[209:210], 1.0
	v_rcp_f64_e32 v[213:214], v[211:212]
	v_fma_f64 v[217:218], -v[211:212], v[213:214], 1.0
	v_fma_f64 v[213:214], v[213:214], v[217:218], v[213:214]
	v_fma_f64 v[217:218], -v[211:212], v[213:214], 1.0
	v_fma_f64 v[213:214], v[213:214], v[217:218], v[213:214]
	v_div_scale_f64 v[217:218], vcc_lo, 1.0, v[209:210], 1.0
	v_mul_f64 v[219:220], v[217:218], v[213:214]
	v_fma_f64 v[211:212], -v[211:212], v[219:220], v[217:218]
	v_div_fmas_f64 v[211:212], v[211:212], v[213:214], v[219:220]
	v_div_fixup_f64 v[213:214], v[211:212], v[209:210], 1.0
	v_mul_f64 v[215:216], v[215:216], -v[213:214]
.LBB105_115:
	s_or_b32 exec_lo, exec_lo, s1
	ds_write2_b64 v255, v[213:214], v[215:216] offset1:1
.LBB105_116:
	s_or_b32 exec_lo, exec_lo, s2
	s_waitcnt lgkmcnt(0)
	s_barrier
	buffer_gl0_inv
	ds_read2_b64 v[229:232], v255 offset1:1
	s_mov_b32 s1, exec_lo
	v_cmpx_lt_u32_e32 12, v0
	s_cbranch_execz .LBB105_118
; %bb.117:
	s_waitcnt lgkmcnt(0)
	v_mul_f64 v[209:210], v[231:232], v[163:164]
	v_mul_f64 v[163:164], v[229:230], v[163:164]
	ds_read2_b64 v[211:214], v253 offset0:26 offset1:27
	v_fma_f64 v[209:210], v[229:230], v[161:162], -v[209:210]
	v_fma_f64 v[163:164], v[231:232], v[161:162], v[163:164]
	s_waitcnt lgkmcnt(0)
	v_mul_f64 v[161:162], v[213:214], v[163:164]
	v_fma_f64 v[161:162], v[211:212], v[209:210], -v[161:162]
	v_mul_f64 v[211:212], v[211:212], v[163:164]
	v_add_f64 v[157:158], v[157:158], -v[161:162]
	v_fma_f64 v[211:212], v[213:214], v[209:210], v[211:212]
	v_add_f64 v[159:160], v[159:160], -v[211:212]
	ds_read2_b64 v[211:214], v253 offset0:28 offset1:29
	s_waitcnt lgkmcnt(0)
	v_mul_f64 v[161:162], v[213:214], v[163:164]
	v_fma_f64 v[161:162], v[211:212], v[209:210], -v[161:162]
	v_mul_f64 v[211:212], v[211:212], v[163:164]
	v_add_f64 v[153:154], v[153:154], -v[161:162]
	v_fma_f64 v[211:212], v[213:214], v[209:210], v[211:212]
	v_add_f64 v[155:156], v[155:156], -v[211:212]
	ds_read2_b64 v[211:214], v253 offset0:30 offset1:31
	;; [unrolled: 8-line block ×39, first 2 shown]
	s_waitcnt lgkmcnt(0)
	v_mul_f64 v[161:162], v[213:214], v[163:164]
	v_fma_f64 v[161:162], v[211:212], v[209:210], -v[161:162]
	v_mul_f64 v[211:212], v[211:212], v[163:164]
	v_add_f64 v[1:2], v[1:2], -v[161:162]
	v_fma_f64 v[211:212], v[213:214], v[209:210], v[211:212]
	v_mov_b32_e32 v161, v209
	v_mov_b32_e32 v162, v210
	v_add_f64 v[3:4], v[3:4], -v[211:212]
.LBB105_118:
	s_or_b32 exec_lo, exec_lo, s1
	s_mov_b32 s2, exec_lo
	s_waitcnt lgkmcnt(0)
	s_barrier
	buffer_gl0_inv
	v_cmpx_eq_u32_e32 13, v0
	s_cbranch_execz .LBB105_125
; %bb.119:
	ds_write2_b64 v255, v[157:158], v[159:160] offset1:1
	ds_write2_b64 v253, v[153:154], v[155:156] offset0:28 offset1:29
	ds_write2_b64 v253, v[149:150], v[151:152] offset0:30 offset1:31
	ds_write2_b64 v253, v[145:146], v[147:148] offset0:32 offset1:33
	ds_write2_b64 v253, v[141:142], v[143:144] offset0:34 offset1:35
	ds_write2_b64 v253, v[137:138], v[139:140] offset0:36 offset1:37
	ds_write2_b64 v253, v[133:134], v[135:136] offset0:38 offset1:39
	ds_write2_b64 v253, v[129:130], v[131:132] offset0:40 offset1:41
	ds_write2_b64 v253, v[125:126], v[127:128] offset0:42 offset1:43
	ds_write2_b64 v253, v[121:122], v[123:124] offset0:44 offset1:45
	ds_write2_b64 v253, v[117:118], v[119:120] offset0:46 offset1:47
	ds_write2_b64 v253, v[113:114], v[115:116] offset0:48 offset1:49
	ds_write2_b64 v253, v[109:110], v[111:112] offset0:50 offset1:51
	ds_write2_b64 v253, v[105:106], v[107:108] offset0:52 offset1:53
	ds_write2_b64 v253, v[101:102], v[103:104] offset0:54 offset1:55
	ds_write2_b64 v253, v[97:98], v[99:100] offset0:56 offset1:57
	ds_write2_b64 v253, v[93:94], v[95:96] offset0:58 offset1:59
	ds_write2_b64 v253, v[89:90], v[91:92] offset0:60 offset1:61
	ds_write2_b64 v253, v[85:86], v[87:88] offset0:62 offset1:63
	ds_write2_b64 v253, v[81:82], v[83:84] offset0:64 offset1:65
	ds_write2_b64 v253, v[77:78], v[79:80] offset0:66 offset1:67
	ds_write2_b64 v253, v[73:74], v[75:76] offset0:68 offset1:69
	ds_write2_b64 v253, v[69:70], v[71:72] offset0:70 offset1:71
	ds_write2_b64 v253, v[65:66], v[67:68] offset0:72 offset1:73
	ds_write2_b64 v253, v[61:62], v[63:64] offset0:74 offset1:75
	ds_write2_b64 v253, v[57:58], v[59:60] offset0:76 offset1:77
	ds_write2_b64 v253, v[53:54], v[55:56] offset0:78 offset1:79
	ds_write2_b64 v253, v[49:50], v[51:52] offset0:80 offset1:81
	ds_write2_b64 v253, v[45:46], v[47:48] offset0:82 offset1:83
	ds_write2_b64 v253, v[41:42], v[43:44] offset0:84 offset1:85
	ds_write2_b64 v253, v[37:38], v[39:40] offset0:86 offset1:87
	ds_write2_b64 v253, v[33:34], v[35:36] offset0:88 offset1:89
	ds_write2_b64 v253, v[29:30], v[31:32] offset0:90 offset1:91
	ds_write2_b64 v253, v[25:26], v[27:28] offset0:92 offset1:93
	ds_write2_b64 v253, v[21:22], v[23:24] offset0:94 offset1:95
	ds_write2_b64 v253, v[17:18], v[19:20] offset0:96 offset1:97
	ds_write2_b64 v253, v[13:14], v[15:16] offset0:98 offset1:99
	ds_write2_b64 v253, v[9:10], v[11:12] offset0:100 offset1:101
	ds_write2_b64 v253, v[5:6], v[7:8] offset0:102 offset1:103
	ds_write2_b64 v253, v[1:2], v[3:4] offset0:104 offset1:105
	ds_read2_b64 v[209:212], v255 offset1:1
	s_waitcnt lgkmcnt(0)
	v_cmp_neq_f64_e32 vcc_lo, 0, v[209:210]
	v_cmp_neq_f64_e64 s1, 0, v[211:212]
	s_or_b32 s1, vcc_lo, s1
	s_and_b32 exec_lo, exec_lo, s1
	s_cbranch_execz .LBB105_125
; %bb.120:
	v_cmp_ngt_f64_e64 s1, |v[209:210]|, |v[211:212]|
                                        ; implicit-def: $vgpr213_vgpr214
	s_and_saveexec_b32 s3, s1
	s_xor_b32 s1, exec_lo, s3
                                        ; implicit-def: $vgpr215_vgpr216
	s_cbranch_execz .LBB105_122
; %bb.121:
	v_div_scale_f64 v[213:214], null, v[211:212], v[211:212], v[209:210]
	v_div_scale_f64 v[219:220], vcc_lo, v[209:210], v[211:212], v[209:210]
	v_rcp_f64_e32 v[215:216], v[213:214]
	v_fma_f64 v[217:218], -v[213:214], v[215:216], 1.0
	v_fma_f64 v[215:216], v[215:216], v[217:218], v[215:216]
	v_fma_f64 v[217:218], -v[213:214], v[215:216], 1.0
	v_fma_f64 v[215:216], v[215:216], v[217:218], v[215:216]
	v_mul_f64 v[217:218], v[219:220], v[215:216]
	v_fma_f64 v[213:214], -v[213:214], v[217:218], v[219:220]
	v_div_fmas_f64 v[213:214], v[213:214], v[215:216], v[217:218]
	v_div_fixup_f64 v[213:214], v[213:214], v[211:212], v[209:210]
	v_fma_f64 v[209:210], v[209:210], v[213:214], v[211:212]
	v_div_scale_f64 v[211:212], null, v[209:210], v[209:210], 1.0
	v_rcp_f64_e32 v[215:216], v[211:212]
	v_fma_f64 v[217:218], -v[211:212], v[215:216], 1.0
	v_fma_f64 v[215:216], v[215:216], v[217:218], v[215:216]
	v_fma_f64 v[217:218], -v[211:212], v[215:216], 1.0
	v_fma_f64 v[215:216], v[215:216], v[217:218], v[215:216]
	v_div_scale_f64 v[217:218], vcc_lo, 1.0, v[209:210], 1.0
	v_mul_f64 v[219:220], v[217:218], v[215:216]
	v_fma_f64 v[211:212], -v[211:212], v[219:220], v[217:218]
	v_div_fmas_f64 v[211:212], v[211:212], v[215:216], v[219:220]
	v_div_fixup_f64 v[215:216], v[211:212], v[209:210], 1.0
                                        ; implicit-def: $vgpr209_vgpr210
	v_mul_f64 v[213:214], v[213:214], v[215:216]
	v_xor_b32_e32 v216, 0x80000000, v216
.LBB105_122:
	s_andn2_saveexec_b32 s1, s1
	s_cbranch_execz .LBB105_124
; %bb.123:
	v_div_scale_f64 v[213:214], null, v[209:210], v[209:210], v[211:212]
	v_div_scale_f64 v[219:220], vcc_lo, v[211:212], v[209:210], v[211:212]
	v_rcp_f64_e32 v[215:216], v[213:214]
	v_fma_f64 v[217:218], -v[213:214], v[215:216], 1.0
	v_fma_f64 v[215:216], v[215:216], v[217:218], v[215:216]
	v_fma_f64 v[217:218], -v[213:214], v[215:216], 1.0
	v_fma_f64 v[215:216], v[215:216], v[217:218], v[215:216]
	v_mul_f64 v[217:218], v[219:220], v[215:216]
	v_fma_f64 v[213:214], -v[213:214], v[217:218], v[219:220]
	v_div_fmas_f64 v[213:214], v[213:214], v[215:216], v[217:218]
	v_div_fixup_f64 v[215:216], v[213:214], v[209:210], v[211:212]
	v_fma_f64 v[209:210], v[211:212], v[215:216], v[209:210]
	v_div_scale_f64 v[211:212], null, v[209:210], v[209:210], 1.0
	v_rcp_f64_e32 v[213:214], v[211:212]
	v_fma_f64 v[217:218], -v[211:212], v[213:214], 1.0
	v_fma_f64 v[213:214], v[213:214], v[217:218], v[213:214]
	v_fma_f64 v[217:218], -v[211:212], v[213:214], 1.0
	v_fma_f64 v[213:214], v[213:214], v[217:218], v[213:214]
	v_div_scale_f64 v[217:218], vcc_lo, 1.0, v[209:210], 1.0
	v_mul_f64 v[219:220], v[217:218], v[213:214]
	v_fma_f64 v[211:212], -v[211:212], v[219:220], v[217:218]
	v_div_fmas_f64 v[211:212], v[211:212], v[213:214], v[219:220]
	v_div_fixup_f64 v[213:214], v[211:212], v[209:210], 1.0
	v_mul_f64 v[215:216], v[215:216], -v[213:214]
.LBB105_124:
	s_or_b32 exec_lo, exec_lo, s1
	ds_write2_b64 v255, v[213:214], v[215:216] offset1:1
.LBB105_125:
	s_or_b32 exec_lo, exec_lo, s2
	s_waitcnt lgkmcnt(0)
	s_barrier
	buffer_gl0_inv
	ds_read2_b64 v[233:236], v255 offset1:1
	s_mov_b32 s1, exec_lo
	v_cmpx_lt_u32_e32 13, v0
	s_cbranch_execz .LBB105_127
; %bb.126:
	s_waitcnt lgkmcnt(0)
	v_mul_f64 v[209:210], v[235:236], v[159:160]
	v_mul_f64 v[159:160], v[233:234], v[159:160]
	ds_read2_b64 v[211:214], v253 offset0:28 offset1:29
	v_fma_f64 v[209:210], v[233:234], v[157:158], -v[209:210]
	v_fma_f64 v[159:160], v[235:236], v[157:158], v[159:160]
	s_waitcnt lgkmcnt(0)
	v_mul_f64 v[157:158], v[213:214], v[159:160]
	v_fma_f64 v[157:158], v[211:212], v[209:210], -v[157:158]
	v_mul_f64 v[211:212], v[211:212], v[159:160]
	v_add_f64 v[153:154], v[153:154], -v[157:158]
	v_fma_f64 v[211:212], v[213:214], v[209:210], v[211:212]
	v_add_f64 v[155:156], v[155:156], -v[211:212]
	ds_read2_b64 v[211:214], v253 offset0:30 offset1:31
	s_waitcnt lgkmcnt(0)
	v_mul_f64 v[157:158], v[213:214], v[159:160]
	v_fma_f64 v[157:158], v[211:212], v[209:210], -v[157:158]
	v_mul_f64 v[211:212], v[211:212], v[159:160]
	v_add_f64 v[149:150], v[149:150], -v[157:158]
	v_fma_f64 v[211:212], v[213:214], v[209:210], v[211:212]
	v_add_f64 v[151:152], v[151:152], -v[211:212]
	ds_read2_b64 v[211:214], v253 offset0:32 offset1:33
	;; [unrolled: 8-line block ×38, first 2 shown]
	s_waitcnt lgkmcnt(0)
	v_mul_f64 v[157:158], v[213:214], v[159:160]
	v_fma_f64 v[157:158], v[211:212], v[209:210], -v[157:158]
	v_mul_f64 v[211:212], v[211:212], v[159:160]
	v_add_f64 v[1:2], v[1:2], -v[157:158]
	v_fma_f64 v[211:212], v[213:214], v[209:210], v[211:212]
	v_mov_b32_e32 v157, v209
	v_mov_b32_e32 v158, v210
	v_add_f64 v[3:4], v[3:4], -v[211:212]
.LBB105_127:
	s_or_b32 exec_lo, exec_lo, s1
	s_mov_b32 s2, exec_lo
	s_waitcnt lgkmcnt(0)
	s_barrier
	buffer_gl0_inv
	v_cmpx_eq_u32_e32 14, v0
	s_cbranch_execz .LBB105_134
; %bb.128:
	ds_write2_b64 v255, v[153:154], v[155:156] offset1:1
	ds_write2_b64 v253, v[149:150], v[151:152] offset0:30 offset1:31
	ds_write2_b64 v253, v[145:146], v[147:148] offset0:32 offset1:33
	;; [unrolled: 1-line block ×38, first 2 shown]
	ds_read2_b64 v[209:212], v255 offset1:1
	s_waitcnt lgkmcnt(0)
	v_cmp_neq_f64_e32 vcc_lo, 0, v[209:210]
	v_cmp_neq_f64_e64 s1, 0, v[211:212]
	s_or_b32 s1, vcc_lo, s1
	s_and_b32 exec_lo, exec_lo, s1
	s_cbranch_execz .LBB105_134
; %bb.129:
	v_cmp_ngt_f64_e64 s1, |v[209:210]|, |v[211:212]|
                                        ; implicit-def: $vgpr213_vgpr214
	s_and_saveexec_b32 s3, s1
	s_xor_b32 s1, exec_lo, s3
                                        ; implicit-def: $vgpr215_vgpr216
	s_cbranch_execz .LBB105_131
; %bb.130:
	v_div_scale_f64 v[213:214], null, v[211:212], v[211:212], v[209:210]
	v_div_scale_f64 v[219:220], vcc_lo, v[209:210], v[211:212], v[209:210]
	v_rcp_f64_e32 v[215:216], v[213:214]
	v_fma_f64 v[217:218], -v[213:214], v[215:216], 1.0
	v_fma_f64 v[215:216], v[215:216], v[217:218], v[215:216]
	v_fma_f64 v[217:218], -v[213:214], v[215:216], 1.0
	v_fma_f64 v[215:216], v[215:216], v[217:218], v[215:216]
	v_mul_f64 v[217:218], v[219:220], v[215:216]
	v_fma_f64 v[213:214], -v[213:214], v[217:218], v[219:220]
	v_div_fmas_f64 v[213:214], v[213:214], v[215:216], v[217:218]
	v_div_fixup_f64 v[213:214], v[213:214], v[211:212], v[209:210]
	v_fma_f64 v[209:210], v[209:210], v[213:214], v[211:212]
	v_div_scale_f64 v[211:212], null, v[209:210], v[209:210], 1.0
	v_rcp_f64_e32 v[215:216], v[211:212]
	v_fma_f64 v[217:218], -v[211:212], v[215:216], 1.0
	v_fma_f64 v[215:216], v[215:216], v[217:218], v[215:216]
	v_fma_f64 v[217:218], -v[211:212], v[215:216], 1.0
	v_fma_f64 v[215:216], v[215:216], v[217:218], v[215:216]
	v_div_scale_f64 v[217:218], vcc_lo, 1.0, v[209:210], 1.0
	v_mul_f64 v[219:220], v[217:218], v[215:216]
	v_fma_f64 v[211:212], -v[211:212], v[219:220], v[217:218]
	v_div_fmas_f64 v[211:212], v[211:212], v[215:216], v[219:220]
	v_div_fixup_f64 v[215:216], v[211:212], v[209:210], 1.0
                                        ; implicit-def: $vgpr209_vgpr210
	v_mul_f64 v[213:214], v[213:214], v[215:216]
	v_xor_b32_e32 v216, 0x80000000, v216
.LBB105_131:
	s_andn2_saveexec_b32 s1, s1
	s_cbranch_execz .LBB105_133
; %bb.132:
	v_div_scale_f64 v[213:214], null, v[209:210], v[209:210], v[211:212]
	v_div_scale_f64 v[219:220], vcc_lo, v[211:212], v[209:210], v[211:212]
	v_rcp_f64_e32 v[215:216], v[213:214]
	v_fma_f64 v[217:218], -v[213:214], v[215:216], 1.0
	v_fma_f64 v[215:216], v[215:216], v[217:218], v[215:216]
	v_fma_f64 v[217:218], -v[213:214], v[215:216], 1.0
	v_fma_f64 v[215:216], v[215:216], v[217:218], v[215:216]
	v_mul_f64 v[217:218], v[219:220], v[215:216]
	v_fma_f64 v[213:214], -v[213:214], v[217:218], v[219:220]
	v_div_fmas_f64 v[213:214], v[213:214], v[215:216], v[217:218]
	v_div_fixup_f64 v[215:216], v[213:214], v[209:210], v[211:212]
	v_fma_f64 v[209:210], v[211:212], v[215:216], v[209:210]
	v_div_scale_f64 v[211:212], null, v[209:210], v[209:210], 1.0
	v_rcp_f64_e32 v[213:214], v[211:212]
	v_fma_f64 v[217:218], -v[211:212], v[213:214], 1.0
	v_fma_f64 v[213:214], v[213:214], v[217:218], v[213:214]
	v_fma_f64 v[217:218], -v[211:212], v[213:214], 1.0
	v_fma_f64 v[213:214], v[213:214], v[217:218], v[213:214]
	v_div_scale_f64 v[217:218], vcc_lo, 1.0, v[209:210], 1.0
	v_mul_f64 v[219:220], v[217:218], v[213:214]
	v_fma_f64 v[211:212], -v[211:212], v[219:220], v[217:218]
	v_div_fmas_f64 v[211:212], v[211:212], v[213:214], v[219:220]
	v_div_fixup_f64 v[213:214], v[211:212], v[209:210], 1.0
	v_mul_f64 v[215:216], v[215:216], -v[213:214]
.LBB105_133:
	s_or_b32 exec_lo, exec_lo, s1
	ds_write2_b64 v255, v[213:214], v[215:216] offset1:1
.LBB105_134:
	s_or_b32 exec_lo, exec_lo, s2
	s_waitcnt lgkmcnt(0)
	s_barrier
	buffer_gl0_inv
	ds_read2_b64 v[237:240], v255 offset1:1
	s_mov_b32 s1, exec_lo
	v_cmpx_lt_u32_e32 14, v0
	s_cbranch_execz .LBB105_136
; %bb.135:
	s_waitcnt lgkmcnt(0)
	v_mul_f64 v[209:210], v[239:240], v[155:156]
	v_mul_f64 v[155:156], v[237:238], v[155:156]
	ds_read2_b64 v[211:214], v253 offset0:30 offset1:31
	v_fma_f64 v[209:210], v[237:238], v[153:154], -v[209:210]
	v_fma_f64 v[155:156], v[239:240], v[153:154], v[155:156]
	s_waitcnt lgkmcnt(0)
	v_mul_f64 v[153:154], v[213:214], v[155:156]
	v_fma_f64 v[153:154], v[211:212], v[209:210], -v[153:154]
	v_mul_f64 v[211:212], v[211:212], v[155:156]
	v_add_f64 v[149:150], v[149:150], -v[153:154]
	v_fma_f64 v[211:212], v[213:214], v[209:210], v[211:212]
	v_add_f64 v[151:152], v[151:152], -v[211:212]
	ds_read2_b64 v[211:214], v253 offset0:32 offset1:33
	s_waitcnt lgkmcnt(0)
	v_mul_f64 v[153:154], v[213:214], v[155:156]
	v_fma_f64 v[153:154], v[211:212], v[209:210], -v[153:154]
	v_mul_f64 v[211:212], v[211:212], v[155:156]
	v_add_f64 v[145:146], v[145:146], -v[153:154]
	v_fma_f64 v[211:212], v[213:214], v[209:210], v[211:212]
	v_add_f64 v[147:148], v[147:148], -v[211:212]
	ds_read2_b64 v[211:214], v253 offset0:34 offset1:35
	;; [unrolled: 8-line block ×37, first 2 shown]
	s_waitcnt lgkmcnt(0)
	v_mul_f64 v[153:154], v[213:214], v[155:156]
	v_fma_f64 v[153:154], v[211:212], v[209:210], -v[153:154]
	v_mul_f64 v[211:212], v[211:212], v[155:156]
	v_add_f64 v[1:2], v[1:2], -v[153:154]
	v_fma_f64 v[211:212], v[213:214], v[209:210], v[211:212]
	v_mov_b32_e32 v153, v209
	v_mov_b32_e32 v154, v210
	v_add_f64 v[3:4], v[3:4], -v[211:212]
.LBB105_136:
	s_or_b32 exec_lo, exec_lo, s1
	s_mov_b32 s2, exec_lo
	s_waitcnt lgkmcnt(0)
	s_barrier
	buffer_gl0_inv
	v_cmpx_eq_u32_e32 15, v0
	s_cbranch_execz .LBB105_143
; %bb.137:
	ds_write2_b64 v255, v[149:150], v[151:152] offset1:1
	ds_write2_b64 v253, v[145:146], v[147:148] offset0:32 offset1:33
	ds_write2_b64 v253, v[141:142], v[143:144] offset0:34 offset1:35
	;; [unrolled: 1-line block ×37, first 2 shown]
	ds_read2_b64 v[209:212], v255 offset1:1
	s_waitcnt lgkmcnt(0)
	v_cmp_neq_f64_e32 vcc_lo, 0, v[209:210]
	v_cmp_neq_f64_e64 s1, 0, v[211:212]
	s_or_b32 s1, vcc_lo, s1
	s_and_b32 exec_lo, exec_lo, s1
	s_cbranch_execz .LBB105_143
; %bb.138:
	v_cmp_ngt_f64_e64 s1, |v[209:210]|, |v[211:212]|
                                        ; implicit-def: $vgpr213_vgpr214
	s_and_saveexec_b32 s3, s1
	s_xor_b32 s1, exec_lo, s3
                                        ; implicit-def: $vgpr215_vgpr216
	s_cbranch_execz .LBB105_140
; %bb.139:
	v_div_scale_f64 v[213:214], null, v[211:212], v[211:212], v[209:210]
	v_div_scale_f64 v[219:220], vcc_lo, v[209:210], v[211:212], v[209:210]
	v_rcp_f64_e32 v[215:216], v[213:214]
	v_fma_f64 v[217:218], -v[213:214], v[215:216], 1.0
	v_fma_f64 v[215:216], v[215:216], v[217:218], v[215:216]
	v_fma_f64 v[217:218], -v[213:214], v[215:216], 1.0
	v_fma_f64 v[215:216], v[215:216], v[217:218], v[215:216]
	v_mul_f64 v[217:218], v[219:220], v[215:216]
	v_fma_f64 v[213:214], -v[213:214], v[217:218], v[219:220]
	v_div_fmas_f64 v[213:214], v[213:214], v[215:216], v[217:218]
	v_div_fixup_f64 v[213:214], v[213:214], v[211:212], v[209:210]
	v_fma_f64 v[209:210], v[209:210], v[213:214], v[211:212]
	v_div_scale_f64 v[211:212], null, v[209:210], v[209:210], 1.0
	v_rcp_f64_e32 v[215:216], v[211:212]
	v_fma_f64 v[217:218], -v[211:212], v[215:216], 1.0
	v_fma_f64 v[215:216], v[215:216], v[217:218], v[215:216]
	v_fma_f64 v[217:218], -v[211:212], v[215:216], 1.0
	v_fma_f64 v[215:216], v[215:216], v[217:218], v[215:216]
	v_div_scale_f64 v[217:218], vcc_lo, 1.0, v[209:210], 1.0
	v_mul_f64 v[219:220], v[217:218], v[215:216]
	v_fma_f64 v[211:212], -v[211:212], v[219:220], v[217:218]
	v_div_fmas_f64 v[211:212], v[211:212], v[215:216], v[219:220]
	v_div_fixup_f64 v[215:216], v[211:212], v[209:210], 1.0
                                        ; implicit-def: $vgpr209_vgpr210
	v_mul_f64 v[213:214], v[213:214], v[215:216]
	v_xor_b32_e32 v216, 0x80000000, v216
.LBB105_140:
	s_andn2_saveexec_b32 s1, s1
	s_cbranch_execz .LBB105_142
; %bb.141:
	v_div_scale_f64 v[213:214], null, v[209:210], v[209:210], v[211:212]
	v_div_scale_f64 v[219:220], vcc_lo, v[211:212], v[209:210], v[211:212]
	v_rcp_f64_e32 v[215:216], v[213:214]
	v_fma_f64 v[217:218], -v[213:214], v[215:216], 1.0
	v_fma_f64 v[215:216], v[215:216], v[217:218], v[215:216]
	v_fma_f64 v[217:218], -v[213:214], v[215:216], 1.0
	v_fma_f64 v[215:216], v[215:216], v[217:218], v[215:216]
	v_mul_f64 v[217:218], v[219:220], v[215:216]
	v_fma_f64 v[213:214], -v[213:214], v[217:218], v[219:220]
	v_div_fmas_f64 v[213:214], v[213:214], v[215:216], v[217:218]
	v_div_fixup_f64 v[215:216], v[213:214], v[209:210], v[211:212]
	v_fma_f64 v[209:210], v[211:212], v[215:216], v[209:210]
	v_div_scale_f64 v[211:212], null, v[209:210], v[209:210], 1.0
	v_rcp_f64_e32 v[213:214], v[211:212]
	v_fma_f64 v[217:218], -v[211:212], v[213:214], 1.0
	v_fma_f64 v[213:214], v[213:214], v[217:218], v[213:214]
	v_fma_f64 v[217:218], -v[211:212], v[213:214], 1.0
	v_fma_f64 v[213:214], v[213:214], v[217:218], v[213:214]
	v_div_scale_f64 v[217:218], vcc_lo, 1.0, v[209:210], 1.0
	v_mul_f64 v[219:220], v[217:218], v[213:214]
	v_fma_f64 v[211:212], -v[211:212], v[219:220], v[217:218]
	v_div_fmas_f64 v[211:212], v[211:212], v[213:214], v[219:220]
	v_div_fixup_f64 v[213:214], v[211:212], v[209:210], 1.0
	v_mul_f64 v[215:216], v[215:216], -v[213:214]
.LBB105_142:
	s_or_b32 exec_lo, exec_lo, s1
	ds_write2_b64 v255, v[213:214], v[215:216] offset1:1
.LBB105_143:
	s_or_b32 exec_lo, exec_lo, s2
	s_waitcnt lgkmcnt(0)
	s_barrier
	buffer_gl0_inv
	ds_read2_b64 v[241:244], v255 offset1:1
	s_mov_b32 s1, exec_lo
	v_cmpx_lt_u32_e32 15, v0
	s_cbranch_execz .LBB105_145
; %bb.144:
	s_waitcnt lgkmcnt(0)
	v_mul_f64 v[209:210], v[243:244], v[151:152]
	v_mul_f64 v[151:152], v[241:242], v[151:152]
	ds_read2_b64 v[211:214], v253 offset0:32 offset1:33
	v_fma_f64 v[209:210], v[241:242], v[149:150], -v[209:210]
	v_fma_f64 v[151:152], v[243:244], v[149:150], v[151:152]
	s_waitcnt lgkmcnt(0)
	v_mul_f64 v[149:150], v[213:214], v[151:152]
	v_fma_f64 v[149:150], v[211:212], v[209:210], -v[149:150]
	v_mul_f64 v[211:212], v[211:212], v[151:152]
	v_add_f64 v[145:146], v[145:146], -v[149:150]
	v_fma_f64 v[211:212], v[213:214], v[209:210], v[211:212]
	v_add_f64 v[147:148], v[147:148], -v[211:212]
	ds_read2_b64 v[211:214], v253 offset0:34 offset1:35
	s_waitcnt lgkmcnt(0)
	v_mul_f64 v[149:150], v[213:214], v[151:152]
	v_fma_f64 v[149:150], v[211:212], v[209:210], -v[149:150]
	v_mul_f64 v[211:212], v[211:212], v[151:152]
	v_add_f64 v[141:142], v[141:142], -v[149:150]
	v_fma_f64 v[211:212], v[213:214], v[209:210], v[211:212]
	v_add_f64 v[143:144], v[143:144], -v[211:212]
	ds_read2_b64 v[211:214], v253 offset0:36 offset1:37
	;; [unrolled: 8-line block ×36, first 2 shown]
	s_waitcnt lgkmcnt(0)
	v_mul_f64 v[149:150], v[213:214], v[151:152]
	v_fma_f64 v[149:150], v[211:212], v[209:210], -v[149:150]
	v_mul_f64 v[211:212], v[211:212], v[151:152]
	v_add_f64 v[1:2], v[1:2], -v[149:150]
	v_fma_f64 v[211:212], v[213:214], v[209:210], v[211:212]
	v_mov_b32_e32 v149, v209
	v_mov_b32_e32 v150, v210
	v_add_f64 v[3:4], v[3:4], -v[211:212]
.LBB105_145:
	s_or_b32 exec_lo, exec_lo, s1
	s_mov_b32 s2, exec_lo
	s_waitcnt lgkmcnt(0)
	s_barrier
	buffer_gl0_inv
	v_cmpx_eq_u32_e32 16, v0
	s_cbranch_execz .LBB105_152
; %bb.146:
	ds_write2_b64 v255, v[145:146], v[147:148] offset1:1
	ds_write2_b64 v253, v[141:142], v[143:144] offset0:34 offset1:35
	ds_write2_b64 v253, v[137:138], v[139:140] offset0:36 offset1:37
	;; [unrolled: 1-line block ×36, first 2 shown]
	ds_read2_b64 v[209:212], v255 offset1:1
	s_waitcnt lgkmcnt(0)
	v_cmp_neq_f64_e32 vcc_lo, 0, v[209:210]
	v_cmp_neq_f64_e64 s1, 0, v[211:212]
	s_or_b32 s1, vcc_lo, s1
	s_and_b32 exec_lo, exec_lo, s1
	s_cbranch_execz .LBB105_152
; %bb.147:
	v_cmp_ngt_f64_e64 s1, |v[209:210]|, |v[211:212]|
                                        ; implicit-def: $vgpr213_vgpr214
	s_and_saveexec_b32 s3, s1
	s_xor_b32 s1, exec_lo, s3
                                        ; implicit-def: $vgpr215_vgpr216
	s_cbranch_execz .LBB105_149
; %bb.148:
	v_div_scale_f64 v[213:214], null, v[211:212], v[211:212], v[209:210]
	v_div_scale_f64 v[219:220], vcc_lo, v[209:210], v[211:212], v[209:210]
	v_rcp_f64_e32 v[215:216], v[213:214]
	v_fma_f64 v[217:218], -v[213:214], v[215:216], 1.0
	v_fma_f64 v[215:216], v[215:216], v[217:218], v[215:216]
	v_fma_f64 v[217:218], -v[213:214], v[215:216], 1.0
	v_fma_f64 v[215:216], v[215:216], v[217:218], v[215:216]
	v_mul_f64 v[217:218], v[219:220], v[215:216]
	v_fma_f64 v[213:214], -v[213:214], v[217:218], v[219:220]
	v_div_fmas_f64 v[213:214], v[213:214], v[215:216], v[217:218]
	v_div_fixup_f64 v[213:214], v[213:214], v[211:212], v[209:210]
	v_fma_f64 v[209:210], v[209:210], v[213:214], v[211:212]
	v_div_scale_f64 v[211:212], null, v[209:210], v[209:210], 1.0
	v_rcp_f64_e32 v[215:216], v[211:212]
	v_fma_f64 v[217:218], -v[211:212], v[215:216], 1.0
	v_fma_f64 v[215:216], v[215:216], v[217:218], v[215:216]
	v_fma_f64 v[217:218], -v[211:212], v[215:216], 1.0
	v_fma_f64 v[215:216], v[215:216], v[217:218], v[215:216]
	v_div_scale_f64 v[217:218], vcc_lo, 1.0, v[209:210], 1.0
	v_mul_f64 v[219:220], v[217:218], v[215:216]
	v_fma_f64 v[211:212], -v[211:212], v[219:220], v[217:218]
	v_div_fmas_f64 v[211:212], v[211:212], v[215:216], v[219:220]
	v_div_fixup_f64 v[215:216], v[211:212], v[209:210], 1.0
                                        ; implicit-def: $vgpr209_vgpr210
	v_mul_f64 v[213:214], v[213:214], v[215:216]
	v_xor_b32_e32 v216, 0x80000000, v216
.LBB105_149:
	s_andn2_saveexec_b32 s1, s1
	s_cbranch_execz .LBB105_151
; %bb.150:
	v_div_scale_f64 v[213:214], null, v[209:210], v[209:210], v[211:212]
	v_div_scale_f64 v[219:220], vcc_lo, v[211:212], v[209:210], v[211:212]
	v_rcp_f64_e32 v[215:216], v[213:214]
	v_fma_f64 v[217:218], -v[213:214], v[215:216], 1.0
	v_fma_f64 v[215:216], v[215:216], v[217:218], v[215:216]
	v_fma_f64 v[217:218], -v[213:214], v[215:216], 1.0
	v_fma_f64 v[215:216], v[215:216], v[217:218], v[215:216]
	v_mul_f64 v[217:218], v[219:220], v[215:216]
	v_fma_f64 v[213:214], -v[213:214], v[217:218], v[219:220]
	v_div_fmas_f64 v[213:214], v[213:214], v[215:216], v[217:218]
	v_div_fixup_f64 v[215:216], v[213:214], v[209:210], v[211:212]
	v_fma_f64 v[209:210], v[211:212], v[215:216], v[209:210]
	v_div_scale_f64 v[211:212], null, v[209:210], v[209:210], 1.0
	v_rcp_f64_e32 v[213:214], v[211:212]
	v_fma_f64 v[217:218], -v[211:212], v[213:214], 1.0
	v_fma_f64 v[213:214], v[213:214], v[217:218], v[213:214]
	v_fma_f64 v[217:218], -v[211:212], v[213:214], 1.0
	v_fma_f64 v[213:214], v[213:214], v[217:218], v[213:214]
	v_div_scale_f64 v[217:218], vcc_lo, 1.0, v[209:210], 1.0
	v_mul_f64 v[219:220], v[217:218], v[213:214]
	v_fma_f64 v[211:212], -v[211:212], v[219:220], v[217:218]
	v_div_fmas_f64 v[211:212], v[211:212], v[213:214], v[219:220]
	v_div_fixup_f64 v[213:214], v[211:212], v[209:210], 1.0
	v_mul_f64 v[215:216], v[215:216], -v[213:214]
.LBB105_151:
	s_or_b32 exec_lo, exec_lo, s1
	ds_write2_b64 v255, v[213:214], v[215:216] offset1:1
.LBB105_152:
	s_or_b32 exec_lo, exec_lo, s2
	s_waitcnt lgkmcnt(0)
	s_barrier
	buffer_gl0_inv
	ds_read2_b64 v[245:248], v255 offset1:1
	s_mov_b32 s1, exec_lo
	v_cmpx_lt_u32_e32 16, v0
	s_cbranch_execz .LBB105_154
; %bb.153:
	s_waitcnt lgkmcnt(0)
	v_mul_f64 v[209:210], v[247:248], v[147:148]
	v_mul_f64 v[147:148], v[245:246], v[147:148]
	ds_read2_b64 v[211:214], v253 offset0:34 offset1:35
	v_fma_f64 v[209:210], v[245:246], v[145:146], -v[209:210]
	v_fma_f64 v[147:148], v[247:248], v[145:146], v[147:148]
	s_waitcnt lgkmcnt(0)
	v_mul_f64 v[145:146], v[213:214], v[147:148]
	v_fma_f64 v[145:146], v[211:212], v[209:210], -v[145:146]
	v_mul_f64 v[211:212], v[211:212], v[147:148]
	v_add_f64 v[141:142], v[141:142], -v[145:146]
	v_fma_f64 v[211:212], v[213:214], v[209:210], v[211:212]
	v_add_f64 v[143:144], v[143:144], -v[211:212]
	ds_read2_b64 v[211:214], v253 offset0:36 offset1:37
	s_waitcnt lgkmcnt(0)
	v_mul_f64 v[145:146], v[213:214], v[147:148]
	v_fma_f64 v[145:146], v[211:212], v[209:210], -v[145:146]
	v_mul_f64 v[211:212], v[211:212], v[147:148]
	v_add_f64 v[137:138], v[137:138], -v[145:146]
	v_fma_f64 v[211:212], v[213:214], v[209:210], v[211:212]
	v_add_f64 v[139:140], v[139:140], -v[211:212]
	ds_read2_b64 v[211:214], v253 offset0:38 offset1:39
	;; [unrolled: 8-line block ×35, first 2 shown]
	s_waitcnt lgkmcnt(0)
	v_mul_f64 v[145:146], v[213:214], v[147:148]
	v_fma_f64 v[145:146], v[211:212], v[209:210], -v[145:146]
	v_mul_f64 v[211:212], v[211:212], v[147:148]
	v_add_f64 v[1:2], v[1:2], -v[145:146]
	v_fma_f64 v[211:212], v[213:214], v[209:210], v[211:212]
	v_mov_b32_e32 v145, v209
	v_mov_b32_e32 v146, v210
	v_add_f64 v[3:4], v[3:4], -v[211:212]
.LBB105_154:
	s_or_b32 exec_lo, exec_lo, s1
	s_mov_b32 s2, exec_lo
	s_waitcnt lgkmcnt(0)
	s_barrier
	buffer_gl0_inv
	v_cmpx_eq_u32_e32 17, v0
	s_cbranch_execz .LBB105_161
; %bb.155:
	ds_write2_b64 v255, v[141:142], v[143:144] offset1:1
	ds_write2_b64 v253, v[137:138], v[139:140] offset0:36 offset1:37
	ds_write2_b64 v253, v[133:134], v[135:136] offset0:38 offset1:39
	;; [unrolled: 1-line block ×35, first 2 shown]
	ds_read2_b64 v[209:212], v255 offset1:1
	s_waitcnt lgkmcnt(0)
	v_cmp_neq_f64_e32 vcc_lo, 0, v[209:210]
	v_cmp_neq_f64_e64 s1, 0, v[211:212]
	s_or_b32 s1, vcc_lo, s1
	s_and_b32 exec_lo, exec_lo, s1
	s_cbranch_execz .LBB105_161
; %bb.156:
	v_cmp_ngt_f64_e64 s1, |v[209:210]|, |v[211:212]|
                                        ; implicit-def: $vgpr213_vgpr214
	s_and_saveexec_b32 s3, s1
	s_xor_b32 s1, exec_lo, s3
                                        ; implicit-def: $vgpr215_vgpr216
	s_cbranch_execz .LBB105_158
; %bb.157:
	v_div_scale_f64 v[213:214], null, v[211:212], v[211:212], v[209:210]
	v_div_scale_f64 v[219:220], vcc_lo, v[209:210], v[211:212], v[209:210]
	v_rcp_f64_e32 v[215:216], v[213:214]
	v_fma_f64 v[217:218], -v[213:214], v[215:216], 1.0
	v_fma_f64 v[215:216], v[215:216], v[217:218], v[215:216]
	v_fma_f64 v[217:218], -v[213:214], v[215:216], 1.0
	v_fma_f64 v[215:216], v[215:216], v[217:218], v[215:216]
	v_mul_f64 v[217:218], v[219:220], v[215:216]
	v_fma_f64 v[213:214], -v[213:214], v[217:218], v[219:220]
	v_div_fmas_f64 v[213:214], v[213:214], v[215:216], v[217:218]
	v_div_fixup_f64 v[213:214], v[213:214], v[211:212], v[209:210]
	v_fma_f64 v[209:210], v[209:210], v[213:214], v[211:212]
	v_div_scale_f64 v[211:212], null, v[209:210], v[209:210], 1.0
	v_rcp_f64_e32 v[215:216], v[211:212]
	v_fma_f64 v[217:218], -v[211:212], v[215:216], 1.0
	v_fma_f64 v[215:216], v[215:216], v[217:218], v[215:216]
	v_fma_f64 v[217:218], -v[211:212], v[215:216], 1.0
	v_fma_f64 v[215:216], v[215:216], v[217:218], v[215:216]
	v_div_scale_f64 v[217:218], vcc_lo, 1.0, v[209:210], 1.0
	v_mul_f64 v[219:220], v[217:218], v[215:216]
	v_fma_f64 v[211:212], -v[211:212], v[219:220], v[217:218]
	v_div_fmas_f64 v[211:212], v[211:212], v[215:216], v[219:220]
	v_div_fixup_f64 v[215:216], v[211:212], v[209:210], 1.0
                                        ; implicit-def: $vgpr209_vgpr210
	v_mul_f64 v[213:214], v[213:214], v[215:216]
	v_xor_b32_e32 v216, 0x80000000, v216
.LBB105_158:
	s_andn2_saveexec_b32 s1, s1
	s_cbranch_execz .LBB105_160
; %bb.159:
	v_div_scale_f64 v[213:214], null, v[209:210], v[209:210], v[211:212]
	v_div_scale_f64 v[219:220], vcc_lo, v[211:212], v[209:210], v[211:212]
	v_rcp_f64_e32 v[215:216], v[213:214]
	v_fma_f64 v[217:218], -v[213:214], v[215:216], 1.0
	v_fma_f64 v[215:216], v[215:216], v[217:218], v[215:216]
	v_fma_f64 v[217:218], -v[213:214], v[215:216], 1.0
	v_fma_f64 v[215:216], v[215:216], v[217:218], v[215:216]
	v_mul_f64 v[217:218], v[219:220], v[215:216]
	v_fma_f64 v[213:214], -v[213:214], v[217:218], v[219:220]
	v_div_fmas_f64 v[213:214], v[213:214], v[215:216], v[217:218]
	v_div_fixup_f64 v[215:216], v[213:214], v[209:210], v[211:212]
	v_fma_f64 v[209:210], v[211:212], v[215:216], v[209:210]
	v_div_scale_f64 v[211:212], null, v[209:210], v[209:210], 1.0
	v_rcp_f64_e32 v[213:214], v[211:212]
	v_fma_f64 v[217:218], -v[211:212], v[213:214], 1.0
	v_fma_f64 v[213:214], v[213:214], v[217:218], v[213:214]
	v_fma_f64 v[217:218], -v[211:212], v[213:214], 1.0
	v_fma_f64 v[213:214], v[213:214], v[217:218], v[213:214]
	v_div_scale_f64 v[217:218], vcc_lo, 1.0, v[209:210], 1.0
	v_mul_f64 v[219:220], v[217:218], v[213:214]
	v_fma_f64 v[211:212], -v[211:212], v[219:220], v[217:218]
	v_div_fmas_f64 v[211:212], v[211:212], v[213:214], v[219:220]
	v_div_fixup_f64 v[213:214], v[211:212], v[209:210], 1.0
	v_mul_f64 v[215:216], v[215:216], -v[213:214]
.LBB105_160:
	s_or_b32 exec_lo, exec_lo, s1
	ds_write2_b64 v255, v[213:214], v[215:216] offset1:1
.LBB105_161:
	s_or_b32 exec_lo, exec_lo, s2
	s_waitcnt lgkmcnt(0)
	s_barrier
	buffer_gl0_inv
	ds_read2_b64 v[249:252], v255 offset1:1
	s_mov_b32 s1, exec_lo
	v_cmpx_lt_u32_e32 17, v0
	s_cbranch_execz .LBB105_163
; %bb.162:
	s_waitcnt lgkmcnt(0)
	v_mul_f64 v[209:210], v[251:252], v[143:144]
	v_mul_f64 v[143:144], v[249:250], v[143:144]
	ds_read2_b64 v[211:214], v253 offset0:36 offset1:37
	v_fma_f64 v[209:210], v[249:250], v[141:142], -v[209:210]
	v_fma_f64 v[143:144], v[251:252], v[141:142], v[143:144]
	s_waitcnt lgkmcnt(0)
	v_mul_f64 v[141:142], v[213:214], v[143:144]
	v_fma_f64 v[141:142], v[211:212], v[209:210], -v[141:142]
	v_mul_f64 v[211:212], v[211:212], v[143:144]
	v_add_f64 v[137:138], v[137:138], -v[141:142]
	v_fma_f64 v[211:212], v[213:214], v[209:210], v[211:212]
	v_add_f64 v[139:140], v[139:140], -v[211:212]
	ds_read2_b64 v[211:214], v253 offset0:38 offset1:39
	s_waitcnt lgkmcnt(0)
	v_mul_f64 v[141:142], v[213:214], v[143:144]
	v_fma_f64 v[141:142], v[211:212], v[209:210], -v[141:142]
	v_mul_f64 v[211:212], v[211:212], v[143:144]
	v_add_f64 v[133:134], v[133:134], -v[141:142]
	v_fma_f64 v[211:212], v[213:214], v[209:210], v[211:212]
	v_add_f64 v[135:136], v[135:136], -v[211:212]
	ds_read2_b64 v[211:214], v253 offset0:40 offset1:41
	;; [unrolled: 8-line block ×34, first 2 shown]
	s_waitcnt lgkmcnt(0)
	v_mul_f64 v[141:142], v[213:214], v[143:144]
	v_fma_f64 v[141:142], v[211:212], v[209:210], -v[141:142]
	v_mul_f64 v[211:212], v[211:212], v[143:144]
	v_add_f64 v[1:2], v[1:2], -v[141:142]
	v_fma_f64 v[211:212], v[213:214], v[209:210], v[211:212]
	v_mov_b32_e32 v141, v209
	v_mov_b32_e32 v142, v210
	v_add_f64 v[3:4], v[3:4], -v[211:212]
.LBB105_163:
	s_or_b32 exec_lo, exec_lo, s1
	s_mov_b32 s2, exec_lo
	s_waitcnt lgkmcnt(0)
	s_barrier
	buffer_gl0_inv
	v_cmpx_eq_u32_e32 18, v0
	s_cbranch_execz .LBB105_170
; %bb.164:
	ds_write2_b64 v255, v[137:138], v[139:140] offset1:1
	ds_write2_b64 v253, v[133:134], v[135:136] offset0:38 offset1:39
	ds_write2_b64 v253, v[129:130], v[131:132] offset0:40 offset1:41
	;; [unrolled: 1-line block ×34, first 2 shown]
	ds_read2_b64 v[209:212], v255 offset1:1
	s_waitcnt lgkmcnt(0)
	v_cmp_neq_f64_e32 vcc_lo, 0, v[209:210]
	v_cmp_neq_f64_e64 s1, 0, v[211:212]
	s_or_b32 s1, vcc_lo, s1
	s_and_b32 exec_lo, exec_lo, s1
	s_cbranch_execz .LBB105_170
; %bb.165:
	v_cmp_ngt_f64_e64 s1, |v[209:210]|, |v[211:212]|
                                        ; implicit-def: $vgpr213_vgpr214
	s_and_saveexec_b32 s3, s1
	s_xor_b32 s1, exec_lo, s3
                                        ; implicit-def: $vgpr215_vgpr216
	s_cbranch_execz .LBB105_167
; %bb.166:
	v_div_scale_f64 v[213:214], null, v[211:212], v[211:212], v[209:210]
	v_div_scale_f64 v[219:220], vcc_lo, v[209:210], v[211:212], v[209:210]
	v_rcp_f64_e32 v[215:216], v[213:214]
	v_fma_f64 v[217:218], -v[213:214], v[215:216], 1.0
	v_fma_f64 v[215:216], v[215:216], v[217:218], v[215:216]
	v_fma_f64 v[217:218], -v[213:214], v[215:216], 1.0
	v_fma_f64 v[215:216], v[215:216], v[217:218], v[215:216]
	v_mul_f64 v[217:218], v[219:220], v[215:216]
	v_fma_f64 v[213:214], -v[213:214], v[217:218], v[219:220]
	v_div_fmas_f64 v[213:214], v[213:214], v[215:216], v[217:218]
	v_div_fixup_f64 v[213:214], v[213:214], v[211:212], v[209:210]
	v_fma_f64 v[209:210], v[209:210], v[213:214], v[211:212]
	v_div_scale_f64 v[211:212], null, v[209:210], v[209:210], 1.0
	v_rcp_f64_e32 v[215:216], v[211:212]
	v_fma_f64 v[217:218], -v[211:212], v[215:216], 1.0
	v_fma_f64 v[215:216], v[215:216], v[217:218], v[215:216]
	v_fma_f64 v[217:218], -v[211:212], v[215:216], 1.0
	v_fma_f64 v[215:216], v[215:216], v[217:218], v[215:216]
	v_div_scale_f64 v[217:218], vcc_lo, 1.0, v[209:210], 1.0
	v_mul_f64 v[219:220], v[217:218], v[215:216]
	v_fma_f64 v[211:212], -v[211:212], v[219:220], v[217:218]
	v_div_fmas_f64 v[211:212], v[211:212], v[215:216], v[219:220]
	v_div_fixup_f64 v[215:216], v[211:212], v[209:210], 1.0
                                        ; implicit-def: $vgpr209_vgpr210
	v_mul_f64 v[213:214], v[213:214], v[215:216]
	v_xor_b32_e32 v216, 0x80000000, v216
.LBB105_167:
	s_andn2_saveexec_b32 s1, s1
	s_cbranch_execz .LBB105_169
; %bb.168:
	v_div_scale_f64 v[213:214], null, v[209:210], v[209:210], v[211:212]
	v_div_scale_f64 v[219:220], vcc_lo, v[211:212], v[209:210], v[211:212]
	v_rcp_f64_e32 v[215:216], v[213:214]
	v_fma_f64 v[217:218], -v[213:214], v[215:216], 1.0
	v_fma_f64 v[215:216], v[215:216], v[217:218], v[215:216]
	v_fma_f64 v[217:218], -v[213:214], v[215:216], 1.0
	v_fma_f64 v[215:216], v[215:216], v[217:218], v[215:216]
	v_mul_f64 v[217:218], v[219:220], v[215:216]
	v_fma_f64 v[213:214], -v[213:214], v[217:218], v[219:220]
	v_div_fmas_f64 v[213:214], v[213:214], v[215:216], v[217:218]
	v_div_fixup_f64 v[215:216], v[213:214], v[209:210], v[211:212]
	v_fma_f64 v[209:210], v[211:212], v[215:216], v[209:210]
	v_div_scale_f64 v[211:212], null, v[209:210], v[209:210], 1.0
	v_rcp_f64_e32 v[213:214], v[211:212]
	v_fma_f64 v[217:218], -v[211:212], v[213:214], 1.0
	v_fma_f64 v[213:214], v[213:214], v[217:218], v[213:214]
	v_fma_f64 v[217:218], -v[211:212], v[213:214], 1.0
	v_fma_f64 v[213:214], v[213:214], v[217:218], v[213:214]
	v_div_scale_f64 v[217:218], vcc_lo, 1.0, v[209:210], 1.0
	v_mul_f64 v[219:220], v[217:218], v[213:214]
	v_fma_f64 v[211:212], -v[211:212], v[219:220], v[217:218]
	v_div_fmas_f64 v[211:212], v[211:212], v[213:214], v[219:220]
	v_div_fixup_f64 v[213:214], v[211:212], v[209:210], 1.0
	v_mul_f64 v[215:216], v[215:216], -v[213:214]
.LBB105_169:
	s_or_b32 exec_lo, exec_lo, s1
	ds_write2_b64 v255, v[213:214], v[215:216] offset1:1
.LBB105_170:
	s_or_b32 exec_lo, exec_lo, s2
	s_waitcnt lgkmcnt(0)
	s_barrier
	buffer_gl0_inv
	ds_read2_b64 v[173:176], v255 offset1:1
	s_mov_b32 s1, exec_lo
	v_cmpx_lt_u32_e32 18, v0
	s_cbranch_execz .LBB105_172
; %bb.171:
	s_waitcnt lgkmcnt(0)
	v_mul_f64 v[209:210], v[175:176], v[139:140]
	v_mul_f64 v[139:140], v[173:174], v[139:140]
	ds_read2_b64 v[211:214], v253 offset0:38 offset1:39
	v_fma_f64 v[209:210], v[173:174], v[137:138], -v[209:210]
	v_fma_f64 v[139:140], v[175:176], v[137:138], v[139:140]
	s_waitcnt lgkmcnt(0)
	v_mul_f64 v[137:138], v[213:214], v[139:140]
	v_fma_f64 v[137:138], v[211:212], v[209:210], -v[137:138]
	v_mul_f64 v[211:212], v[211:212], v[139:140]
	v_add_f64 v[133:134], v[133:134], -v[137:138]
	v_fma_f64 v[211:212], v[213:214], v[209:210], v[211:212]
	v_add_f64 v[135:136], v[135:136], -v[211:212]
	ds_read2_b64 v[211:214], v253 offset0:40 offset1:41
	s_waitcnt lgkmcnt(0)
	v_mul_f64 v[137:138], v[213:214], v[139:140]
	v_fma_f64 v[137:138], v[211:212], v[209:210], -v[137:138]
	v_mul_f64 v[211:212], v[211:212], v[139:140]
	v_add_f64 v[129:130], v[129:130], -v[137:138]
	v_fma_f64 v[211:212], v[213:214], v[209:210], v[211:212]
	v_add_f64 v[131:132], v[131:132], -v[211:212]
	ds_read2_b64 v[211:214], v253 offset0:42 offset1:43
	;; [unrolled: 8-line block ×33, first 2 shown]
	s_waitcnt lgkmcnt(0)
	v_mul_f64 v[137:138], v[213:214], v[139:140]
	v_fma_f64 v[137:138], v[211:212], v[209:210], -v[137:138]
	v_mul_f64 v[211:212], v[211:212], v[139:140]
	v_add_f64 v[1:2], v[1:2], -v[137:138]
	v_fma_f64 v[211:212], v[213:214], v[209:210], v[211:212]
	v_mov_b32_e32 v137, v209
	v_mov_b32_e32 v138, v210
	v_add_f64 v[3:4], v[3:4], -v[211:212]
.LBB105_172:
	s_or_b32 exec_lo, exec_lo, s1
	s_mov_b32 s2, exec_lo
	s_waitcnt lgkmcnt(0)
	s_barrier
	buffer_gl0_inv
	v_cmpx_eq_u32_e32 19, v0
	s_cbranch_execz .LBB105_179
; %bb.173:
	ds_write2_b64 v255, v[133:134], v[135:136] offset1:1
	ds_write2_b64 v253, v[129:130], v[131:132] offset0:40 offset1:41
	ds_write2_b64 v253, v[125:126], v[127:128] offset0:42 offset1:43
	;; [unrolled: 1-line block ×33, first 2 shown]
	ds_read2_b64 v[209:212], v255 offset1:1
	s_waitcnt lgkmcnt(0)
	v_cmp_neq_f64_e32 vcc_lo, 0, v[209:210]
	v_cmp_neq_f64_e64 s1, 0, v[211:212]
	s_or_b32 s1, vcc_lo, s1
	s_and_b32 exec_lo, exec_lo, s1
	s_cbranch_execz .LBB105_179
; %bb.174:
	v_cmp_ngt_f64_e64 s1, |v[209:210]|, |v[211:212]|
                                        ; implicit-def: $vgpr213_vgpr214
	s_and_saveexec_b32 s3, s1
	s_xor_b32 s1, exec_lo, s3
                                        ; implicit-def: $vgpr215_vgpr216
	s_cbranch_execz .LBB105_176
; %bb.175:
	v_div_scale_f64 v[213:214], null, v[211:212], v[211:212], v[209:210]
	v_div_scale_f64 v[219:220], vcc_lo, v[209:210], v[211:212], v[209:210]
	v_rcp_f64_e32 v[215:216], v[213:214]
	v_fma_f64 v[217:218], -v[213:214], v[215:216], 1.0
	v_fma_f64 v[215:216], v[215:216], v[217:218], v[215:216]
	v_fma_f64 v[217:218], -v[213:214], v[215:216], 1.0
	v_fma_f64 v[215:216], v[215:216], v[217:218], v[215:216]
	v_mul_f64 v[217:218], v[219:220], v[215:216]
	v_fma_f64 v[213:214], -v[213:214], v[217:218], v[219:220]
	v_div_fmas_f64 v[213:214], v[213:214], v[215:216], v[217:218]
	v_div_fixup_f64 v[213:214], v[213:214], v[211:212], v[209:210]
	v_fma_f64 v[209:210], v[209:210], v[213:214], v[211:212]
	v_div_scale_f64 v[211:212], null, v[209:210], v[209:210], 1.0
	v_rcp_f64_e32 v[215:216], v[211:212]
	v_fma_f64 v[217:218], -v[211:212], v[215:216], 1.0
	v_fma_f64 v[215:216], v[215:216], v[217:218], v[215:216]
	v_fma_f64 v[217:218], -v[211:212], v[215:216], 1.0
	v_fma_f64 v[215:216], v[215:216], v[217:218], v[215:216]
	v_div_scale_f64 v[217:218], vcc_lo, 1.0, v[209:210], 1.0
	v_mul_f64 v[219:220], v[217:218], v[215:216]
	v_fma_f64 v[211:212], -v[211:212], v[219:220], v[217:218]
	v_div_fmas_f64 v[211:212], v[211:212], v[215:216], v[219:220]
	v_div_fixup_f64 v[215:216], v[211:212], v[209:210], 1.0
                                        ; implicit-def: $vgpr209_vgpr210
	v_mul_f64 v[213:214], v[213:214], v[215:216]
	v_xor_b32_e32 v216, 0x80000000, v216
.LBB105_176:
	s_andn2_saveexec_b32 s1, s1
	s_cbranch_execz .LBB105_178
; %bb.177:
	v_div_scale_f64 v[213:214], null, v[209:210], v[209:210], v[211:212]
	v_div_scale_f64 v[219:220], vcc_lo, v[211:212], v[209:210], v[211:212]
	v_rcp_f64_e32 v[215:216], v[213:214]
	v_fma_f64 v[217:218], -v[213:214], v[215:216], 1.0
	v_fma_f64 v[215:216], v[215:216], v[217:218], v[215:216]
	v_fma_f64 v[217:218], -v[213:214], v[215:216], 1.0
	v_fma_f64 v[215:216], v[215:216], v[217:218], v[215:216]
	v_mul_f64 v[217:218], v[219:220], v[215:216]
	v_fma_f64 v[213:214], -v[213:214], v[217:218], v[219:220]
	v_div_fmas_f64 v[213:214], v[213:214], v[215:216], v[217:218]
	v_div_fixup_f64 v[215:216], v[213:214], v[209:210], v[211:212]
	v_fma_f64 v[209:210], v[211:212], v[215:216], v[209:210]
	v_div_scale_f64 v[211:212], null, v[209:210], v[209:210], 1.0
	v_rcp_f64_e32 v[213:214], v[211:212]
	v_fma_f64 v[217:218], -v[211:212], v[213:214], 1.0
	v_fma_f64 v[213:214], v[213:214], v[217:218], v[213:214]
	v_fma_f64 v[217:218], -v[211:212], v[213:214], 1.0
	v_fma_f64 v[213:214], v[213:214], v[217:218], v[213:214]
	v_div_scale_f64 v[217:218], vcc_lo, 1.0, v[209:210], 1.0
	v_mul_f64 v[219:220], v[217:218], v[213:214]
	v_fma_f64 v[211:212], -v[211:212], v[219:220], v[217:218]
	v_div_fmas_f64 v[211:212], v[211:212], v[213:214], v[219:220]
	v_div_fixup_f64 v[213:214], v[211:212], v[209:210], 1.0
	v_mul_f64 v[215:216], v[215:216], -v[213:214]
.LBB105_178:
	s_or_b32 exec_lo, exec_lo, s1
	ds_write2_b64 v255, v[213:214], v[215:216] offset1:1
.LBB105_179:
	s_or_b32 exec_lo, exec_lo, s2
	s_waitcnt lgkmcnt(0)
	s_barrier
	buffer_gl0_inv
	ds_read2_b64 v[183:186], v255 offset1:1
	s_mov_b32 s1, exec_lo
	s_waitcnt lgkmcnt(0)
	buffer_store_dword v183, off, s[16:19], 0 offset:696 ; 4-byte Folded Spill
	buffer_store_dword v184, off, s[16:19], 0 offset:700 ; 4-byte Folded Spill
	buffer_store_dword v185, off, s[16:19], 0 offset:704 ; 4-byte Folded Spill
	buffer_store_dword v186, off, s[16:19], 0 offset:708 ; 4-byte Folded Spill
	v_cmpx_lt_u32_e32 19, v0
	s_cbranch_execz .LBB105_181
; %bb.180:
	s_clause 0x3
	buffer_load_dword v183, off, s[16:19], 0 offset:696
	buffer_load_dword v184, off, s[16:19], 0 offset:700
	;; [unrolled: 1-line block ×4, first 2 shown]
	ds_read2_b64 v[211:214], v253 offset0:40 offset1:41
	s_waitcnt vmcnt(0)
	v_mul_f64 v[209:210], v[185:186], v[135:136]
	v_mul_f64 v[135:136], v[183:184], v[135:136]
	v_fma_f64 v[209:210], v[183:184], v[133:134], -v[209:210]
	v_fma_f64 v[135:136], v[185:186], v[133:134], v[135:136]
	s_waitcnt lgkmcnt(0)
	v_mul_f64 v[133:134], v[213:214], v[135:136]
	v_fma_f64 v[133:134], v[211:212], v[209:210], -v[133:134]
	v_mul_f64 v[211:212], v[211:212], v[135:136]
	v_add_f64 v[129:130], v[129:130], -v[133:134]
	v_fma_f64 v[211:212], v[213:214], v[209:210], v[211:212]
	v_add_f64 v[131:132], v[131:132], -v[211:212]
	ds_read2_b64 v[211:214], v253 offset0:42 offset1:43
	s_waitcnt lgkmcnt(0)
	v_mul_f64 v[133:134], v[213:214], v[135:136]
	v_fma_f64 v[133:134], v[211:212], v[209:210], -v[133:134]
	v_mul_f64 v[211:212], v[211:212], v[135:136]
	v_add_f64 v[125:126], v[125:126], -v[133:134]
	v_fma_f64 v[211:212], v[213:214], v[209:210], v[211:212]
	v_add_f64 v[127:128], v[127:128], -v[211:212]
	ds_read2_b64 v[211:214], v253 offset0:44 offset1:45
	;; [unrolled: 8-line block ×32, first 2 shown]
	s_waitcnt lgkmcnt(0)
	v_mul_f64 v[133:134], v[213:214], v[135:136]
	v_fma_f64 v[133:134], v[211:212], v[209:210], -v[133:134]
	v_mul_f64 v[211:212], v[211:212], v[135:136]
	v_add_f64 v[1:2], v[1:2], -v[133:134]
	v_fma_f64 v[211:212], v[213:214], v[209:210], v[211:212]
	v_mov_b32_e32 v133, v209
	v_mov_b32_e32 v134, v210
	v_add_f64 v[3:4], v[3:4], -v[211:212]
.LBB105_181:
	s_or_b32 exec_lo, exec_lo, s1
	s_mov_b32 s2, exec_lo
	s_waitcnt_vscnt null, 0x0
	s_barrier
	buffer_gl0_inv
	v_cmpx_eq_u32_e32 20, v0
	s_cbranch_execz .LBB105_188
; %bb.182:
	ds_write2_b64 v255, v[129:130], v[131:132] offset1:1
	ds_write2_b64 v253, v[125:126], v[127:128] offset0:42 offset1:43
	ds_write2_b64 v253, v[121:122], v[123:124] offset0:44 offset1:45
	;; [unrolled: 1-line block ×32, first 2 shown]
	ds_read2_b64 v[209:212], v255 offset1:1
	s_waitcnt lgkmcnt(0)
	v_cmp_neq_f64_e32 vcc_lo, 0, v[209:210]
	v_cmp_neq_f64_e64 s1, 0, v[211:212]
	s_or_b32 s1, vcc_lo, s1
	s_and_b32 exec_lo, exec_lo, s1
	s_cbranch_execz .LBB105_188
; %bb.183:
	v_cmp_ngt_f64_e64 s1, |v[209:210]|, |v[211:212]|
                                        ; implicit-def: $vgpr213_vgpr214
	s_and_saveexec_b32 s3, s1
	s_xor_b32 s1, exec_lo, s3
                                        ; implicit-def: $vgpr215_vgpr216
	s_cbranch_execz .LBB105_185
; %bb.184:
	v_div_scale_f64 v[213:214], null, v[211:212], v[211:212], v[209:210]
	v_div_scale_f64 v[219:220], vcc_lo, v[209:210], v[211:212], v[209:210]
	v_rcp_f64_e32 v[215:216], v[213:214]
	v_fma_f64 v[217:218], -v[213:214], v[215:216], 1.0
	v_fma_f64 v[215:216], v[215:216], v[217:218], v[215:216]
	v_fma_f64 v[217:218], -v[213:214], v[215:216], 1.0
	v_fma_f64 v[215:216], v[215:216], v[217:218], v[215:216]
	v_mul_f64 v[217:218], v[219:220], v[215:216]
	v_fma_f64 v[213:214], -v[213:214], v[217:218], v[219:220]
	v_div_fmas_f64 v[213:214], v[213:214], v[215:216], v[217:218]
	v_div_fixup_f64 v[213:214], v[213:214], v[211:212], v[209:210]
	v_fma_f64 v[209:210], v[209:210], v[213:214], v[211:212]
	v_div_scale_f64 v[211:212], null, v[209:210], v[209:210], 1.0
	v_rcp_f64_e32 v[215:216], v[211:212]
	v_fma_f64 v[217:218], -v[211:212], v[215:216], 1.0
	v_fma_f64 v[215:216], v[215:216], v[217:218], v[215:216]
	v_fma_f64 v[217:218], -v[211:212], v[215:216], 1.0
	v_fma_f64 v[215:216], v[215:216], v[217:218], v[215:216]
	v_div_scale_f64 v[217:218], vcc_lo, 1.0, v[209:210], 1.0
	v_mul_f64 v[219:220], v[217:218], v[215:216]
	v_fma_f64 v[211:212], -v[211:212], v[219:220], v[217:218]
	v_div_fmas_f64 v[211:212], v[211:212], v[215:216], v[219:220]
	v_div_fixup_f64 v[215:216], v[211:212], v[209:210], 1.0
                                        ; implicit-def: $vgpr209_vgpr210
	v_mul_f64 v[213:214], v[213:214], v[215:216]
	v_xor_b32_e32 v216, 0x80000000, v216
.LBB105_185:
	s_andn2_saveexec_b32 s1, s1
	s_cbranch_execz .LBB105_187
; %bb.186:
	v_div_scale_f64 v[213:214], null, v[209:210], v[209:210], v[211:212]
	v_div_scale_f64 v[219:220], vcc_lo, v[211:212], v[209:210], v[211:212]
	v_rcp_f64_e32 v[215:216], v[213:214]
	v_fma_f64 v[217:218], -v[213:214], v[215:216], 1.0
	v_fma_f64 v[215:216], v[215:216], v[217:218], v[215:216]
	v_fma_f64 v[217:218], -v[213:214], v[215:216], 1.0
	v_fma_f64 v[215:216], v[215:216], v[217:218], v[215:216]
	v_mul_f64 v[217:218], v[219:220], v[215:216]
	v_fma_f64 v[213:214], -v[213:214], v[217:218], v[219:220]
	v_div_fmas_f64 v[213:214], v[213:214], v[215:216], v[217:218]
	v_div_fixup_f64 v[215:216], v[213:214], v[209:210], v[211:212]
	v_fma_f64 v[209:210], v[211:212], v[215:216], v[209:210]
	v_div_scale_f64 v[211:212], null, v[209:210], v[209:210], 1.0
	v_rcp_f64_e32 v[213:214], v[211:212]
	v_fma_f64 v[217:218], -v[211:212], v[213:214], 1.0
	v_fma_f64 v[213:214], v[213:214], v[217:218], v[213:214]
	v_fma_f64 v[217:218], -v[211:212], v[213:214], 1.0
	v_fma_f64 v[213:214], v[213:214], v[217:218], v[213:214]
	v_div_scale_f64 v[217:218], vcc_lo, 1.0, v[209:210], 1.0
	v_mul_f64 v[219:220], v[217:218], v[213:214]
	v_fma_f64 v[211:212], -v[211:212], v[219:220], v[217:218]
	v_div_fmas_f64 v[211:212], v[211:212], v[213:214], v[219:220]
	v_div_fixup_f64 v[213:214], v[211:212], v[209:210], 1.0
	v_mul_f64 v[215:216], v[215:216], -v[213:214]
.LBB105_187:
	s_or_b32 exec_lo, exec_lo, s1
	ds_write2_b64 v255, v[213:214], v[215:216] offset1:1
.LBB105_188:
	s_or_b32 exec_lo, exec_lo, s2
	s_waitcnt lgkmcnt(0)
	s_barrier
	buffer_gl0_inv
	ds_read2_b64 v[183:186], v255 offset1:1
	s_mov_b32 s1, exec_lo
	s_waitcnt lgkmcnt(0)
	buffer_store_dword v183, off, s[16:19], 0 offset:712 ; 4-byte Folded Spill
	buffer_store_dword v184, off, s[16:19], 0 offset:716 ; 4-byte Folded Spill
	;; [unrolled: 1-line block ×4, first 2 shown]
	v_cmpx_lt_u32_e32 20, v0
	s_cbranch_execz .LBB105_190
; %bb.189:
	s_clause 0x3
	buffer_load_dword v183, off, s[16:19], 0 offset:712
	buffer_load_dword v184, off, s[16:19], 0 offset:716
	;; [unrolled: 1-line block ×4, first 2 shown]
	ds_read2_b64 v[211:214], v253 offset0:42 offset1:43
	s_waitcnt vmcnt(0)
	v_mul_f64 v[209:210], v[185:186], v[131:132]
	v_mul_f64 v[131:132], v[183:184], v[131:132]
	v_fma_f64 v[209:210], v[183:184], v[129:130], -v[209:210]
	v_fma_f64 v[131:132], v[185:186], v[129:130], v[131:132]
	s_waitcnt lgkmcnt(0)
	v_mul_f64 v[129:130], v[213:214], v[131:132]
	v_fma_f64 v[129:130], v[211:212], v[209:210], -v[129:130]
	v_mul_f64 v[211:212], v[211:212], v[131:132]
	v_add_f64 v[125:126], v[125:126], -v[129:130]
	v_fma_f64 v[211:212], v[213:214], v[209:210], v[211:212]
	v_add_f64 v[127:128], v[127:128], -v[211:212]
	ds_read2_b64 v[211:214], v253 offset0:44 offset1:45
	s_waitcnt lgkmcnt(0)
	v_mul_f64 v[129:130], v[213:214], v[131:132]
	v_fma_f64 v[129:130], v[211:212], v[209:210], -v[129:130]
	v_mul_f64 v[211:212], v[211:212], v[131:132]
	v_add_f64 v[121:122], v[121:122], -v[129:130]
	v_fma_f64 v[211:212], v[213:214], v[209:210], v[211:212]
	v_add_f64 v[123:124], v[123:124], -v[211:212]
	ds_read2_b64 v[211:214], v253 offset0:46 offset1:47
	;; [unrolled: 8-line block ×31, first 2 shown]
	s_waitcnt lgkmcnt(0)
	v_mul_f64 v[129:130], v[213:214], v[131:132]
	v_fma_f64 v[129:130], v[211:212], v[209:210], -v[129:130]
	v_mul_f64 v[211:212], v[211:212], v[131:132]
	v_add_f64 v[1:2], v[1:2], -v[129:130]
	v_fma_f64 v[211:212], v[213:214], v[209:210], v[211:212]
	v_mov_b32_e32 v129, v209
	v_mov_b32_e32 v130, v210
	v_add_f64 v[3:4], v[3:4], -v[211:212]
.LBB105_190:
	s_or_b32 exec_lo, exec_lo, s1
	s_mov_b32 s2, exec_lo
	s_waitcnt_vscnt null, 0x0
	s_barrier
	buffer_gl0_inv
	v_cmpx_eq_u32_e32 21, v0
	s_cbranch_execz .LBB105_197
; %bb.191:
	ds_write2_b64 v255, v[125:126], v[127:128] offset1:1
	ds_write2_b64 v253, v[121:122], v[123:124] offset0:44 offset1:45
	ds_write2_b64 v253, v[117:118], v[119:120] offset0:46 offset1:47
	;; [unrolled: 1-line block ×31, first 2 shown]
	ds_read2_b64 v[209:212], v255 offset1:1
	s_waitcnt lgkmcnt(0)
	v_cmp_neq_f64_e32 vcc_lo, 0, v[209:210]
	v_cmp_neq_f64_e64 s1, 0, v[211:212]
	s_or_b32 s1, vcc_lo, s1
	s_and_b32 exec_lo, exec_lo, s1
	s_cbranch_execz .LBB105_197
; %bb.192:
	v_cmp_ngt_f64_e64 s1, |v[209:210]|, |v[211:212]|
                                        ; implicit-def: $vgpr213_vgpr214
	s_and_saveexec_b32 s3, s1
	s_xor_b32 s1, exec_lo, s3
                                        ; implicit-def: $vgpr215_vgpr216
	s_cbranch_execz .LBB105_194
; %bb.193:
	v_div_scale_f64 v[213:214], null, v[211:212], v[211:212], v[209:210]
	v_div_scale_f64 v[219:220], vcc_lo, v[209:210], v[211:212], v[209:210]
	v_rcp_f64_e32 v[215:216], v[213:214]
	v_fma_f64 v[217:218], -v[213:214], v[215:216], 1.0
	v_fma_f64 v[215:216], v[215:216], v[217:218], v[215:216]
	v_fma_f64 v[217:218], -v[213:214], v[215:216], 1.0
	v_fma_f64 v[215:216], v[215:216], v[217:218], v[215:216]
	v_mul_f64 v[217:218], v[219:220], v[215:216]
	v_fma_f64 v[213:214], -v[213:214], v[217:218], v[219:220]
	v_div_fmas_f64 v[213:214], v[213:214], v[215:216], v[217:218]
	v_div_fixup_f64 v[213:214], v[213:214], v[211:212], v[209:210]
	v_fma_f64 v[209:210], v[209:210], v[213:214], v[211:212]
	v_div_scale_f64 v[211:212], null, v[209:210], v[209:210], 1.0
	v_rcp_f64_e32 v[215:216], v[211:212]
	v_fma_f64 v[217:218], -v[211:212], v[215:216], 1.0
	v_fma_f64 v[215:216], v[215:216], v[217:218], v[215:216]
	v_fma_f64 v[217:218], -v[211:212], v[215:216], 1.0
	v_fma_f64 v[215:216], v[215:216], v[217:218], v[215:216]
	v_div_scale_f64 v[217:218], vcc_lo, 1.0, v[209:210], 1.0
	v_mul_f64 v[219:220], v[217:218], v[215:216]
	v_fma_f64 v[211:212], -v[211:212], v[219:220], v[217:218]
	v_div_fmas_f64 v[211:212], v[211:212], v[215:216], v[219:220]
	v_div_fixup_f64 v[215:216], v[211:212], v[209:210], 1.0
                                        ; implicit-def: $vgpr209_vgpr210
	v_mul_f64 v[213:214], v[213:214], v[215:216]
	v_xor_b32_e32 v216, 0x80000000, v216
.LBB105_194:
	s_andn2_saveexec_b32 s1, s1
	s_cbranch_execz .LBB105_196
; %bb.195:
	v_div_scale_f64 v[213:214], null, v[209:210], v[209:210], v[211:212]
	v_div_scale_f64 v[219:220], vcc_lo, v[211:212], v[209:210], v[211:212]
	v_rcp_f64_e32 v[215:216], v[213:214]
	v_fma_f64 v[217:218], -v[213:214], v[215:216], 1.0
	v_fma_f64 v[215:216], v[215:216], v[217:218], v[215:216]
	v_fma_f64 v[217:218], -v[213:214], v[215:216], 1.0
	v_fma_f64 v[215:216], v[215:216], v[217:218], v[215:216]
	v_mul_f64 v[217:218], v[219:220], v[215:216]
	v_fma_f64 v[213:214], -v[213:214], v[217:218], v[219:220]
	v_div_fmas_f64 v[213:214], v[213:214], v[215:216], v[217:218]
	v_div_fixup_f64 v[215:216], v[213:214], v[209:210], v[211:212]
	v_fma_f64 v[209:210], v[211:212], v[215:216], v[209:210]
	v_div_scale_f64 v[211:212], null, v[209:210], v[209:210], 1.0
	v_rcp_f64_e32 v[213:214], v[211:212]
	v_fma_f64 v[217:218], -v[211:212], v[213:214], 1.0
	v_fma_f64 v[213:214], v[213:214], v[217:218], v[213:214]
	v_fma_f64 v[217:218], -v[211:212], v[213:214], 1.0
	v_fma_f64 v[213:214], v[213:214], v[217:218], v[213:214]
	v_div_scale_f64 v[217:218], vcc_lo, 1.0, v[209:210], 1.0
	v_mul_f64 v[219:220], v[217:218], v[213:214]
	v_fma_f64 v[211:212], -v[211:212], v[219:220], v[217:218]
	v_div_fmas_f64 v[211:212], v[211:212], v[213:214], v[219:220]
	v_div_fixup_f64 v[213:214], v[211:212], v[209:210], 1.0
	v_mul_f64 v[215:216], v[215:216], -v[213:214]
.LBB105_196:
	s_or_b32 exec_lo, exec_lo, s1
	ds_write2_b64 v255, v[213:214], v[215:216] offset1:1
.LBB105_197:
	s_or_b32 exec_lo, exec_lo, s2
	s_waitcnt lgkmcnt(0)
	s_barrier
	buffer_gl0_inv
	ds_read2_b64 v[183:186], v255 offset1:1
	s_mov_b32 s1, exec_lo
	s_waitcnt lgkmcnt(0)
	buffer_store_dword v183, off, s[16:19], 0 offset:728 ; 4-byte Folded Spill
	buffer_store_dword v184, off, s[16:19], 0 offset:732 ; 4-byte Folded Spill
	buffer_store_dword v185, off, s[16:19], 0 offset:736 ; 4-byte Folded Spill
	buffer_store_dword v186, off, s[16:19], 0 offset:740 ; 4-byte Folded Spill
	v_cmpx_lt_u32_e32 21, v0
	s_cbranch_execz .LBB105_199
; %bb.198:
	s_clause 0x3
	buffer_load_dword v183, off, s[16:19], 0 offset:728
	buffer_load_dword v184, off, s[16:19], 0 offset:732
	;; [unrolled: 1-line block ×4, first 2 shown]
	ds_read2_b64 v[211:214], v253 offset0:44 offset1:45
	s_waitcnt vmcnt(0)
	v_mul_f64 v[209:210], v[185:186], v[127:128]
	v_mul_f64 v[127:128], v[183:184], v[127:128]
	v_fma_f64 v[209:210], v[183:184], v[125:126], -v[209:210]
	v_fma_f64 v[127:128], v[185:186], v[125:126], v[127:128]
	s_waitcnt lgkmcnt(0)
	v_mul_f64 v[125:126], v[213:214], v[127:128]
	v_fma_f64 v[125:126], v[211:212], v[209:210], -v[125:126]
	v_mul_f64 v[211:212], v[211:212], v[127:128]
	v_add_f64 v[121:122], v[121:122], -v[125:126]
	v_fma_f64 v[211:212], v[213:214], v[209:210], v[211:212]
	v_add_f64 v[123:124], v[123:124], -v[211:212]
	ds_read2_b64 v[211:214], v253 offset0:46 offset1:47
	s_waitcnt lgkmcnt(0)
	v_mul_f64 v[125:126], v[213:214], v[127:128]
	v_fma_f64 v[125:126], v[211:212], v[209:210], -v[125:126]
	v_mul_f64 v[211:212], v[211:212], v[127:128]
	v_add_f64 v[117:118], v[117:118], -v[125:126]
	v_fma_f64 v[211:212], v[213:214], v[209:210], v[211:212]
	v_add_f64 v[119:120], v[119:120], -v[211:212]
	ds_read2_b64 v[211:214], v253 offset0:48 offset1:49
	;; [unrolled: 8-line block ×30, first 2 shown]
	s_waitcnt lgkmcnt(0)
	v_mul_f64 v[125:126], v[213:214], v[127:128]
	v_fma_f64 v[125:126], v[211:212], v[209:210], -v[125:126]
	v_mul_f64 v[211:212], v[211:212], v[127:128]
	v_add_f64 v[1:2], v[1:2], -v[125:126]
	v_fma_f64 v[211:212], v[213:214], v[209:210], v[211:212]
	v_mov_b32_e32 v125, v209
	v_mov_b32_e32 v126, v210
	v_add_f64 v[3:4], v[3:4], -v[211:212]
.LBB105_199:
	s_or_b32 exec_lo, exec_lo, s1
	s_mov_b32 s2, exec_lo
	s_waitcnt_vscnt null, 0x0
	s_barrier
	buffer_gl0_inv
	v_cmpx_eq_u32_e32 22, v0
	s_cbranch_execz .LBB105_206
; %bb.200:
	ds_write2_b64 v255, v[121:122], v[123:124] offset1:1
	ds_write2_b64 v253, v[117:118], v[119:120] offset0:46 offset1:47
	ds_write2_b64 v253, v[113:114], v[115:116] offset0:48 offset1:49
	;; [unrolled: 1-line block ×30, first 2 shown]
	ds_read2_b64 v[209:212], v255 offset1:1
	s_waitcnt lgkmcnt(0)
	v_cmp_neq_f64_e32 vcc_lo, 0, v[209:210]
	v_cmp_neq_f64_e64 s1, 0, v[211:212]
	s_or_b32 s1, vcc_lo, s1
	s_and_b32 exec_lo, exec_lo, s1
	s_cbranch_execz .LBB105_206
; %bb.201:
	v_cmp_ngt_f64_e64 s1, |v[209:210]|, |v[211:212]|
                                        ; implicit-def: $vgpr213_vgpr214
	s_and_saveexec_b32 s3, s1
	s_xor_b32 s1, exec_lo, s3
                                        ; implicit-def: $vgpr215_vgpr216
	s_cbranch_execz .LBB105_203
; %bb.202:
	v_div_scale_f64 v[213:214], null, v[211:212], v[211:212], v[209:210]
	v_div_scale_f64 v[219:220], vcc_lo, v[209:210], v[211:212], v[209:210]
	v_rcp_f64_e32 v[215:216], v[213:214]
	v_fma_f64 v[217:218], -v[213:214], v[215:216], 1.0
	v_fma_f64 v[215:216], v[215:216], v[217:218], v[215:216]
	v_fma_f64 v[217:218], -v[213:214], v[215:216], 1.0
	v_fma_f64 v[215:216], v[215:216], v[217:218], v[215:216]
	v_mul_f64 v[217:218], v[219:220], v[215:216]
	v_fma_f64 v[213:214], -v[213:214], v[217:218], v[219:220]
	v_div_fmas_f64 v[213:214], v[213:214], v[215:216], v[217:218]
	v_div_fixup_f64 v[213:214], v[213:214], v[211:212], v[209:210]
	v_fma_f64 v[209:210], v[209:210], v[213:214], v[211:212]
	v_div_scale_f64 v[211:212], null, v[209:210], v[209:210], 1.0
	v_rcp_f64_e32 v[215:216], v[211:212]
	v_fma_f64 v[217:218], -v[211:212], v[215:216], 1.0
	v_fma_f64 v[215:216], v[215:216], v[217:218], v[215:216]
	v_fma_f64 v[217:218], -v[211:212], v[215:216], 1.0
	v_fma_f64 v[215:216], v[215:216], v[217:218], v[215:216]
	v_div_scale_f64 v[217:218], vcc_lo, 1.0, v[209:210], 1.0
	v_mul_f64 v[219:220], v[217:218], v[215:216]
	v_fma_f64 v[211:212], -v[211:212], v[219:220], v[217:218]
	v_div_fmas_f64 v[211:212], v[211:212], v[215:216], v[219:220]
	v_div_fixup_f64 v[215:216], v[211:212], v[209:210], 1.0
                                        ; implicit-def: $vgpr209_vgpr210
	v_mul_f64 v[213:214], v[213:214], v[215:216]
	v_xor_b32_e32 v216, 0x80000000, v216
.LBB105_203:
	s_andn2_saveexec_b32 s1, s1
	s_cbranch_execz .LBB105_205
; %bb.204:
	v_div_scale_f64 v[213:214], null, v[209:210], v[209:210], v[211:212]
	v_div_scale_f64 v[219:220], vcc_lo, v[211:212], v[209:210], v[211:212]
	v_rcp_f64_e32 v[215:216], v[213:214]
	v_fma_f64 v[217:218], -v[213:214], v[215:216], 1.0
	v_fma_f64 v[215:216], v[215:216], v[217:218], v[215:216]
	v_fma_f64 v[217:218], -v[213:214], v[215:216], 1.0
	v_fma_f64 v[215:216], v[215:216], v[217:218], v[215:216]
	v_mul_f64 v[217:218], v[219:220], v[215:216]
	v_fma_f64 v[213:214], -v[213:214], v[217:218], v[219:220]
	v_div_fmas_f64 v[213:214], v[213:214], v[215:216], v[217:218]
	v_div_fixup_f64 v[215:216], v[213:214], v[209:210], v[211:212]
	v_fma_f64 v[209:210], v[211:212], v[215:216], v[209:210]
	v_div_scale_f64 v[211:212], null, v[209:210], v[209:210], 1.0
	v_rcp_f64_e32 v[213:214], v[211:212]
	v_fma_f64 v[217:218], -v[211:212], v[213:214], 1.0
	v_fma_f64 v[213:214], v[213:214], v[217:218], v[213:214]
	v_fma_f64 v[217:218], -v[211:212], v[213:214], 1.0
	v_fma_f64 v[213:214], v[213:214], v[217:218], v[213:214]
	v_div_scale_f64 v[217:218], vcc_lo, 1.0, v[209:210], 1.0
	v_mul_f64 v[219:220], v[217:218], v[213:214]
	v_fma_f64 v[211:212], -v[211:212], v[219:220], v[217:218]
	v_div_fmas_f64 v[211:212], v[211:212], v[213:214], v[219:220]
	v_div_fixup_f64 v[213:214], v[211:212], v[209:210], 1.0
	v_mul_f64 v[215:216], v[215:216], -v[213:214]
.LBB105_205:
	s_or_b32 exec_lo, exec_lo, s1
	ds_write2_b64 v255, v[213:214], v[215:216] offset1:1
.LBB105_206:
	s_or_b32 exec_lo, exec_lo, s2
	s_waitcnt lgkmcnt(0)
	s_barrier
	buffer_gl0_inv
	ds_read2_b64 v[183:186], v255 offset1:1
	s_mov_b32 s1, exec_lo
	s_waitcnt lgkmcnt(0)
	buffer_store_dword v183, off, s[16:19], 0 offset:744 ; 4-byte Folded Spill
	buffer_store_dword v184, off, s[16:19], 0 offset:748 ; 4-byte Folded Spill
	;; [unrolled: 1-line block ×4, first 2 shown]
	v_cmpx_lt_u32_e32 22, v0
	s_cbranch_execz .LBB105_208
; %bb.207:
	s_clause 0x3
	buffer_load_dword v183, off, s[16:19], 0 offset:744
	buffer_load_dword v184, off, s[16:19], 0 offset:748
	;; [unrolled: 1-line block ×4, first 2 shown]
	ds_read2_b64 v[211:214], v253 offset0:46 offset1:47
	s_waitcnt vmcnt(0)
	v_mul_f64 v[209:210], v[185:186], v[123:124]
	v_mul_f64 v[123:124], v[183:184], v[123:124]
	v_fma_f64 v[209:210], v[183:184], v[121:122], -v[209:210]
	v_fma_f64 v[123:124], v[185:186], v[121:122], v[123:124]
	s_waitcnt lgkmcnt(0)
	v_mul_f64 v[121:122], v[213:214], v[123:124]
	v_fma_f64 v[121:122], v[211:212], v[209:210], -v[121:122]
	v_mul_f64 v[211:212], v[211:212], v[123:124]
	v_add_f64 v[117:118], v[117:118], -v[121:122]
	v_fma_f64 v[211:212], v[213:214], v[209:210], v[211:212]
	v_add_f64 v[119:120], v[119:120], -v[211:212]
	ds_read2_b64 v[211:214], v253 offset0:48 offset1:49
	s_waitcnt lgkmcnt(0)
	v_mul_f64 v[121:122], v[213:214], v[123:124]
	v_fma_f64 v[121:122], v[211:212], v[209:210], -v[121:122]
	v_mul_f64 v[211:212], v[211:212], v[123:124]
	v_add_f64 v[113:114], v[113:114], -v[121:122]
	v_fma_f64 v[211:212], v[213:214], v[209:210], v[211:212]
	v_add_f64 v[115:116], v[115:116], -v[211:212]
	ds_read2_b64 v[211:214], v253 offset0:50 offset1:51
	;; [unrolled: 8-line block ×29, first 2 shown]
	s_waitcnt lgkmcnt(0)
	v_mul_f64 v[121:122], v[213:214], v[123:124]
	v_fma_f64 v[121:122], v[211:212], v[209:210], -v[121:122]
	v_mul_f64 v[211:212], v[211:212], v[123:124]
	v_add_f64 v[1:2], v[1:2], -v[121:122]
	v_fma_f64 v[211:212], v[213:214], v[209:210], v[211:212]
	v_mov_b32_e32 v121, v209
	v_mov_b32_e32 v122, v210
	v_add_f64 v[3:4], v[3:4], -v[211:212]
.LBB105_208:
	s_or_b32 exec_lo, exec_lo, s1
	s_mov_b32 s2, exec_lo
	s_waitcnt_vscnt null, 0x0
	s_barrier
	buffer_gl0_inv
	v_cmpx_eq_u32_e32 23, v0
	s_cbranch_execz .LBB105_215
; %bb.209:
	ds_write2_b64 v255, v[117:118], v[119:120] offset1:1
	ds_write2_b64 v253, v[113:114], v[115:116] offset0:48 offset1:49
	ds_write2_b64 v253, v[109:110], v[111:112] offset0:50 offset1:51
	;; [unrolled: 1-line block ×29, first 2 shown]
	ds_read2_b64 v[209:212], v255 offset1:1
	s_waitcnt lgkmcnt(0)
	v_cmp_neq_f64_e32 vcc_lo, 0, v[209:210]
	v_cmp_neq_f64_e64 s1, 0, v[211:212]
	s_or_b32 s1, vcc_lo, s1
	s_and_b32 exec_lo, exec_lo, s1
	s_cbranch_execz .LBB105_215
; %bb.210:
	v_cmp_ngt_f64_e64 s1, |v[209:210]|, |v[211:212]|
                                        ; implicit-def: $vgpr213_vgpr214
	s_and_saveexec_b32 s3, s1
	s_xor_b32 s1, exec_lo, s3
                                        ; implicit-def: $vgpr215_vgpr216
	s_cbranch_execz .LBB105_212
; %bb.211:
	v_div_scale_f64 v[213:214], null, v[211:212], v[211:212], v[209:210]
	v_div_scale_f64 v[219:220], vcc_lo, v[209:210], v[211:212], v[209:210]
	v_rcp_f64_e32 v[215:216], v[213:214]
	v_fma_f64 v[217:218], -v[213:214], v[215:216], 1.0
	v_fma_f64 v[215:216], v[215:216], v[217:218], v[215:216]
	v_fma_f64 v[217:218], -v[213:214], v[215:216], 1.0
	v_fma_f64 v[215:216], v[215:216], v[217:218], v[215:216]
	v_mul_f64 v[217:218], v[219:220], v[215:216]
	v_fma_f64 v[213:214], -v[213:214], v[217:218], v[219:220]
	v_div_fmas_f64 v[213:214], v[213:214], v[215:216], v[217:218]
	v_div_fixup_f64 v[213:214], v[213:214], v[211:212], v[209:210]
	v_fma_f64 v[209:210], v[209:210], v[213:214], v[211:212]
	v_div_scale_f64 v[211:212], null, v[209:210], v[209:210], 1.0
	v_rcp_f64_e32 v[215:216], v[211:212]
	v_fma_f64 v[217:218], -v[211:212], v[215:216], 1.0
	v_fma_f64 v[215:216], v[215:216], v[217:218], v[215:216]
	v_fma_f64 v[217:218], -v[211:212], v[215:216], 1.0
	v_fma_f64 v[215:216], v[215:216], v[217:218], v[215:216]
	v_div_scale_f64 v[217:218], vcc_lo, 1.0, v[209:210], 1.0
	v_mul_f64 v[219:220], v[217:218], v[215:216]
	v_fma_f64 v[211:212], -v[211:212], v[219:220], v[217:218]
	v_div_fmas_f64 v[211:212], v[211:212], v[215:216], v[219:220]
	v_div_fixup_f64 v[215:216], v[211:212], v[209:210], 1.0
                                        ; implicit-def: $vgpr209_vgpr210
	v_mul_f64 v[213:214], v[213:214], v[215:216]
	v_xor_b32_e32 v216, 0x80000000, v216
.LBB105_212:
	s_andn2_saveexec_b32 s1, s1
	s_cbranch_execz .LBB105_214
; %bb.213:
	v_div_scale_f64 v[213:214], null, v[209:210], v[209:210], v[211:212]
	v_div_scale_f64 v[219:220], vcc_lo, v[211:212], v[209:210], v[211:212]
	v_rcp_f64_e32 v[215:216], v[213:214]
	v_fma_f64 v[217:218], -v[213:214], v[215:216], 1.0
	v_fma_f64 v[215:216], v[215:216], v[217:218], v[215:216]
	v_fma_f64 v[217:218], -v[213:214], v[215:216], 1.0
	v_fma_f64 v[215:216], v[215:216], v[217:218], v[215:216]
	v_mul_f64 v[217:218], v[219:220], v[215:216]
	v_fma_f64 v[213:214], -v[213:214], v[217:218], v[219:220]
	v_div_fmas_f64 v[213:214], v[213:214], v[215:216], v[217:218]
	v_div_fixup_f64 v[215:216], v[213:214], v[209:210], v[211:212]
	v_fma_f64 v[209:210], v[211:212], v[215:216], v[209:210]
	v_div_scale_f64 v[211:212], null, v[209:210], v[209:210], 1.0
	v_rcp_f64_e32 v[213:214], v[211:212]
	v_fma_f64 v[217:218], -v[211:212], v[213:214], 1.0
	v_fma_f64 v[213:214], v[213:214], v[217:218], v[213:214]
	v_fma_f64 v[217:218], -v[211:212], v[213:214], 1.0
	v_fma_f64 v[213:214], v[213:214], v[217:218], v[213:214]
	v_div_scale_f64 v[217:218], vcc_lo, 1.0, v[209:210], 1.0
	v_mul_f64 v[219:220], v[217:218], v[213:214]
	v_fma_f64 v[211:212], -v[211:212], v[219:220], v[217:218]
	v_div_fmas_f64 v[211:212], v[211:212], v[213:214], v[219:220]
	v_div_fixup_f64 v[213:214], v[211:212], v[209:210], 1.0
	v_mul_f64 v[215:216], v[215:216], -v[213:214]
.LBB105_214:
	s_or_b32 exec_lo, exec_lo, s1
	ds_write2_b64 v255, v[213:214], v[215:216] offset1:1
.LBB105_215:
	s_or_b32 exec_lo, exec_lo, s2
	s_waitcnt lgkmcnt(0)
	s_barrier
	buffer_gl0_inv
	ds_read2_b64 v[183:186], v255 offset1:1
	s_mov_b32 s1, exec_lo
	s_waitcnt lgkmcnt(0)
	buffer_store_dword v183, off, s[16:19], 0 offset:760 ; 4-byte Folded Spill
	buffer_store_dword v184, off, s[16:19], 0 offset:764 ; 4-byte Folded Spill
	;; [unrolled: 1-line block ×4, first 2 shown]
	v_cmpx_lt_u32_e32 23, v0
	s_cbranch_execz .LBB105_217
; %bb.216:
	s_clause 0x3
	buffer_load_dword v183, off, s[16:19], 0 offset:760
	buffer_load_dword v184, off, s[16:19], 0 offset:764
	;; [unrolled: 1-line block ×4, first 2 shown]
	ds_read2_b64 v[211:214], v253 offset0:48 offset1:49
	s_waitcnt vmcnt(0)
	v_mul_f64 v[209:210], v[185:186], v[119:120]
	v_mul_f64 v[119:120], v[183:184], v[119:120]
	v_fma_f64 v[209:210], v[183:184], v[117:118], -v[209:210]
	v_fma_f64 v[119:120], v[185:186], v[117:118], v[119:120]
	s_waitcnt lgkmcnt(0)
	v_mul_f64 v[117:118], v[213:214], v[119:120]
	v_fma_f64 v[117:118], v[211:212], v[209:210], -v[117:118]
	v_mul_f64 v[211:212], v[211:212], v[119:120]
	v_add_f64 v[113:114], v[113:114], -v[117:118]
	v_fma_f64 v[211:212], v[213:214], v[209:210], v[211:212]
	v_add_f64 v[115:116], v[115:116], -v[211:212]
	ds_read2_b64 v[211:214], v253 offset0:50 offset1:51
	s_waitcnt lgkmcnt(0)
	v_mul_f64 v[117:118], v[213:214], v[119:120]
	v_fma_f64 v[117:118], v[211:212], v[209:210], -v[117:118]
	v_mul_f64 v[211:212], v[211:212], v[119:120]
	v_add_f64 v[109:110], v[109:110], -v[117:118]
	v_fma_f64 v[211:212], v[213:214], v[209:210], v[211:212]
	v_add_f64 v[111:112], v[111:112], -v[211:212]
	ds_read2_b64 v[211:214], v253 offset0:52 offset1:53
	;; [unrolled: 8-line block ×28, first 2 shown]
	s_waitcnt lgkmcnt(0)
	v_mul_f64 v[117:118], v[213:214], v[119:120]
	v_fma_f64 v[117:118], v[211:212], v[209:210], -v[117:118]
	v_mul_f64 v[211:212], v[211:212], v[119:120]
	v_add_f64 v[1:2], v[1:2], -v[117:118]
	v_fma_f64 v[211:212], v[213:214], v[209:210], v[211:212]
	v_mov_b32_e32 v117, v209
	v_mov_b32_e32 v118, v210
	v_add_f64 v[3:4], v[3:4], -v[211:212]
.LBB105_217:
	s_or_b32 exec_lo, exec_lo, s1
	s_mov_b32 s2, exec_lo
	s_waitcnt_vscnt null, 0x0
	s_barrier
	buffer_gl0_inv
	v_cmpx_eq_u32_e32 24, v0
	s_cbranch_execz .LBB105_224
; %bb.218:
	ds_write2_b64 v255, v[113:114], v[115:116] offset1:1
	ds_write2_b64 v253, v[109:110], v[111:112] offset0:50 offset1:51
	ds_write2_b64 v253, v[105:106], v[107:108] offset0:52 offset1:53
	;; [unrolled: 1-line block ×28, first 2 shown]
	ds_read2_b64 v[209:212], v255 offset1:1
	s_waitcnt lgkmcnt(0)
	v_cmp_neq_f64_e32 vcc_lo, 0, v[209:210]
	v_cmp_neq_f64_e64 s1, 0, v[211:212]
	s_or_b32 s1, vcc_lo, s1
	s_and_b32 exec_lo, exec_lo, s1
	s_cbranch_execz .LBB105_224
; %bb.219:
	v_cmp_ngt_f64_e64 s1, |v[209:210]|, |v[211:212]|
                                        ; implicit-def: $vgpr213_vgpr214
	s_and_saveexec_b32 s3, s1
	s_xor_b32 s1, exec_lo, s3
                                        ; implicit-def: $vgpr215_vgpr216
	s_cbranch_execz .LBB105_221
; %bb.220:
	v_div_scale_f64 v[213:214], null, v[211:212], v[211:212], v[209:210]
	v_div_scale_f64 v[219:220], vcc_lo, v[209:210], v[211:212], v[209:210]
	v_rcp_f64_e32 v[215:216], v[213:214]
	v_fma_f64 v[217:218], -v[213:214], v[215:216], 1.0
	v_fma_f64 v[215:216], v[215:216], v[217:218], v[215:216]
	v_fma_f64 v[217:218], -v[213:214], v[215:216], 1.0
	v_fma_f64 v[215:216], v[215:216], v[217:218], v[215:216]
	v_mul_f64 v[217:218], v[219:220], v[215:216]
	v_fma_f64 v[213:214], -v[213:214], v[217:218], v[219:220]
	v_div_fmas_f64 v[213:214], v[213:214], v[215:216], v[217:218]
	v_div_fixup_f64 v[213:214], v[213:214], v[211:212], v[209:210]
	v_fma_f64 v[209:210], v[209:210], v[213:214], v[211:212]
	v_div_scale_f64 v[211:212], null, v[209:210], v[209:210], 1.0
	v_rcp_f64_e32 v[215:216], v[211:212]
	v_fma_f64 v[217:218], -v[211:212], v[215:216], 1.0
	v_fma_f64 v[215:216], v[215:216], v[217:218], v[215:216]
	v_fma_f64 v[217:218], -v[211:212], v[215:216], 1.0
	v_fma_f64 v[215:216], v[215:216], v[217:218], v[215:216]
	v_div_scale_f64 v[217:218], vcc_lo, 1.0, v[209:210], 1.0
	v_mul_f64 v[219:220], v[217:218], v[215:216]
	v_fma_f64 v[211:212], -v[211:212], v[219:220], v[217:218]
	v_div_fmas_f64 v[211:212], v[211:212], v[215:216], v[219:220]
	v_div_fixup_f64 v[215:216], v[211:212], v[209:210], 1.0
                                        ; implicit-def: $vgpr209_vgpr210
	v_mul_f64 v[213:214], v[213:214], v[215:216]
	v_xor_b32_e32 v216, 0x80000000, v216
.LBB105_221:
	s_andn2_saveexec_b32 s1, s1
	s_cbranch_execz .LBB105_223
; %bb.222:
	v_div_scale_f64 v[213:214], null, v[209:210], v[209:210], v[211:212]
	v_div_scale_f64 v[219:220], vcc_lo, v[211:212], v[209:210], v[211:212]
	v_rcp_f64_e32 v[215:216], v[213:214]
	v_fma_f64 v[217:218], -v[213:214], v[215:216], 1.0
	v_fma_f64 v[215:216], v[215:216], v[217:218], v[215:216]
	v_fma_f64 v[217:218], -v[213:214], v[215:216], 1.0
	v_fma_f64 v[215:216], v[215:216], v[217:218], v[215:216]
	v_mul_f64 v[217:218], v[219:220], v[215:216]
	v_fma_f64 v[213:214], -v[213:214], v[217:218], v[219:220]
	v_div_fmas_f64 v[213:214], v[213:214], v[215:216], v[217:218]
	v_div_fixup_f64 v[215:216], v[213:214], v[209:210], v[211:212]
	v_fma_f64 v[209:210], v[211:212], v[215:216], v[209:210]
	v_div_scale_f64 v[211:212], null, v[209:210], v[209:210], 1.0
	v_rcp_f64_e32 v[213:214], v[211:212]
	v_fma_f64 v[217:218], -v[211:212], v[213:214], 1.0
	v_fma_f64 v[213:214], v[213:214], v[217:218], v[213:214]
	v_fma_f64 v[217:218], -v[211:212], v[213:214], 1.0
	v_fma_f64 v[213:214], v[213:214], v[217:218], v[213:214]
	v_div_scale_f64 v[217:218], vcc_lo, 1.0, v[209:210], 1.0
	v_mul_f64 v[219:220], v[217:218], v[213:214]
	v_fma_f64 v[211:212], -v[211:212], v[219:220], v[217:218]
	v_div_fmas_f64 v[211:212], v[211:212], v[213:214], v[219:220]
	v_div_fixup_f64 v[213:214], v[211:212], v[209:210], 1.0
	v_mul_f64 v[215:216], v[215:216], -v[213:214]
.LBB105_223:
	s_or_b32 exec_lo, exec_lo, s1
	ds_write2_b64 v255, v[213:214], v[215:216] offset1:1
.LBB105_224:
	s_or_b32 exec_lo, exec_lo, s2
	s_waitcnt lgkmcnt(0)
	s_barrier
	buffer_gl0_inv
	ds_read2_b64 v[183:186], v255 offset1:1
	s_mov_b32 s1, exec_lo
	s_waitcnt lgkmcnt(0)
	buffer_store_dword v183, off, s[16:19], 0 offset:776 ; 4-byte Folded Spill
	buffer_store_dword v184, off, s[16:19], 0 offset:780 ; 4-byte Folded Spill
	;; [unrolled: 1-line block ×4, first 2 shown]
	v_cmpx_lt_u32_e32 24, v0
	s_cbranch_execz .LBB105_226
; %bb.225:
	s_clause 0x3
	buffer_load_dword v183, off, s[16:19], 0 offset:776
	buffer_load_dword v184, off, s[16:19], 0 offset:780
	;; [unrolled: 1-line block ×4, first 2 shown]
	ds_read2_b64 v[211:214], v253 offset0:50 offset1:51
	s_waitcnt vmcnt(0)
	v_mul_f64 v[209:210], v[185:186], v[115:116]
	v_mul_f64 v[115:116], v[183:184], v[115:116]
	v_fma_f64 v[209:210], v[183:184], v[113:114], -v[209:210]
	v_fma_f64 v[115:116], v[185:186], v[113:114], v[115:116]
	s_waitcnt lgkmcnt(0)
	v_mul_f64 v[113:114], v[213:214], v[115:116]
	v_fma_f64 v[113:114], v[211:212], v[209:210], -v[113:114]
	v_mul_f64 v[211:212], v[211:212], v[115:116]
	v_add_f64 v[109:110], v[109:110], -v[113:114]
	v_fma_f64 v[211:212], v[213:214], v[209:210], v[211:212]
	v_add_f64 v[111:112], v[111:112], -v[211:212]
	ds_read2_b64 v[211:214], v253 offset0:52 offset1:53
	s_waitcnt lgkmcnt(0)
	v_mul_f64 v[113:114], v[213:214], v[115:116]
	v_fma_f64 v[113:114], v[211:212], v[209:210], -v[113:114]
	v_mul_f64 v[211:212], v[211:212], v[115:116]
	v_add_f64 v[105:106], v[105:106], -v[113:114]
	v_fma_f64 v[211:212], v[213:214], v[209:210], v[211:212]
	v_add_f64 v[107:108], v[107:108], -v[211:212]
	ds_read2_b64 v[211:214], v253 offset0:54 offset1:55
	s_waitcnt lgkmcnt(0)
	v_mul_f64 v[113:114], v[213:214], v[115:116]
	v_fma_f64 v[113:114], v[211:212], v[209:210], -v[113:114]
	v_mul_f64 v[211:212], v[211:212], v[115:116]
	v_add_f64 v[101:102], v[101:102], -v[113:114]
	v_fma_f64 v[211:212], v[213:214], v[209:210], v[211:212]
	v_add_f64 v[103:104], v[103:104], -v[211:212]
	ds_read2_b64 v[211:214], v253 offset0:56 offset1:57
	s_waitcnt lgkmcnt(0)
	v_mul_f64 v[113:114], v[213:214], v[115:116]
	v_fma_f64 v[113:114], v[211:212], v[209:210], -v[113:114]
	v_mul_f64 v[211:212], v[211:212], v[115:116]
	v_add_f64 v[97:98], v[97:98], -v[113:114]
	v_fma_f64 v[211:212], v[213:214], v[209:210], v[211:212]
	v_add_f64 v[99:100], v[99:100], -v[211:212]
	ds_read2_b64 v[211:214], v253 offset0:58 offset1:59
	s_waitcnt lgkmcnt(0)
	v_mul_f64 v[113:114], v[213:214], v[115:116]
	v_fma_f64 v[113:114], v[211:212], v[209:210], -v[113:114]
	v_mul_f64 v[211:212], v[211:212], v[115:116]
	v_add_f64 v[93:94], v[93:94], -v[113:114]
	v_fma_f64 v[211:212], v[213:214], v[209:210], v[211:212]
	v_add_f64 v[95:96], v[95:96], -v[211:212]
	ds_read2_b64 v[211:214], v253 offset0:60 offset1:61
	s_waitcnt lgkmcnt(0)
	v_mul_f64 v[113:114], v[213:214], v[115:116]
	v_fma_f64 v[113:114], v[211:212], v[209:210], -v[113:114]
	v_mul_f64 v[211:212], v[211:212], v[115:116]
	v_add_f64 v[89:90], v[89:90], -v[113:114]
	v_fma_f64 v[211:212], v[213:214], v[209:210], v[211:212]
	v_add_f64 v[91:92], v[91:92], -v[211:212]
	ds_read2_b64 v[211:214], v253 offset0:62 offset1:63
	s_waitcnt lgkmcnt(0)
	v_mul_f64 v[113:114], v[213:214], v[115:116]
	v_fma_f64 v[113:114], v[211:212], v[209:210], -v[113:114]
	v_mul_f64 v[211:212], v[211:212], v[115:116]
	v_add_f64 v[85:86], v[85:86], -v[113:114]
	v_fma_f64 v[211:212], v[213:214], v[209:210], v[211:212]
	v_add_f64 v[87:88], v[87:88], -v[211:212]
	ds_read2_b64 v[211:214], v253 offset0:64 offset1:65
	s_waitcnt lgkmcnt(0)
	v_mul_f64 v[113:114], v[213:214], v[115:116]
	v_fma_f64 v[113:114], v[211:212], v[209:210], -v[113:114]
	v_mul_f64 v[211:212], v[211:212], v[115:116]
	v_add_f64 v[81:82], v[81:82], -v[113:114]
	v_fma_f64 v[211:212], v[213:214], v[209:210], v[211:212]
	v_add_f64 v[83:84], v[83:84], -v[211:212]
	ds_read2_b64 v[211:214], v253 offset0:66 offset1:67
	s_waitcnt lgkmcnt(0)
	v_mul_f64 v[113:114], v[213:214], v[115:116]
	v_fma_f64 v[113:114], v[211:212], v[209:210], -v[113:114]
	v_mul_f64 v[211:212], v[211:212], v[115:116]
	v_add_f64 v[77:78], v[77:78], -v[113:114]
	v_fma_f64 v[211:212], v[213:214], v[209:210], v[211:212]
	v_add_f64 v[79:80], v[79:80], -v[211:212]
	ds_read2_b64 v[211:214], v253 offset0:68 offset1:69
	s_waitcnt lgkmcnt(0)
	v_mul_f64 v[113:114], v[213:214], v[115:116]
	v_fma_f64 v[113:114], v[211:212], v[209:210], -v[113:114]
	v_mul_f64 v[211:212], v[211:212], v[115:116]
	v_add_f64 v[73:74], v[73:74], -v[113:114]
	v_fma_f64 v[211:212], v[213:214], v[209:210], v[211:212]
	v_add_f64 v[75:76], v[75:76], -v[211:212]
	ds_read2_b64 v[211:214], v253 offset0:70 offset1:71
	s_waitcnt lgkmcnt(0)
	v_mul_f64 v[113:114], v[213:214], v[115:116]
	v_fma_f64 v[113:114], v[211:212], v[209:210], -v[113:114]
	v_mul_f64 v[211:212], v[211:212], v[115:116]
	v_add_f64 v[69:70], v[69:70], -v[113:114]
	v_fma_f64 v[211:212], v[213:214], v[209:210], v[211:212]
	v_add_f64 v[71:72], v[71:72], -v[211:212]
	ds_read2_b64 v[211:214], v253 offset0:72 offset1:73
	s_waitcnt lgkmcnt(0)
	v_mul_f64 v[113:114], v[213:214], v[115:116]
	v_fma_f64 v[113:114], v[211:212], v[209:210], -v[113:114]
	v_mul_f64 v[211:212], v[211:212], v[115:116]
	v_add_f64 v[65:66], v[65:66], -v[113:114]
	v_fma_f64 v[211:212], v[213:214], v[209:210], v[211:212]
	v_add_f64 v[67:68], v[67:68], -v[211:212]
	ds_read2_b64 v[211:214], v253 offset0:74 offset1:75
	s_waitcnt lgkmcnt(0)
	v_mul_f64 v[113:114], v[213:214], v[115:116]
	v_fma_f64 v[113:114], v[211:212], v[209:210], -v[113:114]
	v_mul_f64 v[211:212], v[211:212], v[115:116]
	v_add_f64 v[61:62], v[61:62], -v[113:114]
	v_fma_f64 v[211:212], v[213:214], v[209:210], v[211:212]
	v_add_f64 v[63:64], v[63:64], -v[211:212]
	ds_read2_b64 v[211:214], v253 offset0:76 offset1:77
	s_waitcnt lgkmcnt(0)
	v_mul_f64 v[113:114], v[213:214], v[115:116]
	v_fma_f64 v[113:114], v[211:212], v[209:210], -v[113:114]
	v_mul_f64 v[211:212], v[211:212], v[115:116]
	v_add_f64 v[57:58], v[57:58], -v[113:114]
	v_fma_f64 v[211:212], v[213:214], v[209:210], v[211:212]
	v_add_f64 v[59:60], v[59:60], -v[211:212]
	ds_read2_b64 v[211:214], v253 offset0:78 offset1:79
	s_waitcnt lgkmcnt(0)
	v_mul_f64 v[113:114], v[213:214], v[115:116]
	v_fma_f64 v[113:114], v[211:212], v[209:210], -v[113:114]
	v_mul_f64 v[211:212], v[211:212], v[115:116]
	v_add_f64 v[53:54], v[53:54], -v[113:114]
	v_fma_f64 v[211:212], v[213:214], v[209:210], v[211:212]
	v_add_f64 v[55:56], v[55:56], -v[211:212]
	ds_read2_b64 v[211:214], v253 offset0:80 offset1:81
	s_waitcnt lgkmcnt(0)
	v_mul_f64 v[113:114], v[213:214], v[115:116]
	v_fma_f64 v[113:114], v[211:212], v[209:210], -v[113:114]
	v_mul_f64 v[211:212], v[211:212], v[115:116]
	v_add_f64 v[49:50], v[49:50], -v[113:114]
	v_fma_f64 v[211:212], v[213:214], v[209:210], v[211:212]
	v_add_f64 v[51:52], v[51:52], -v[211:212]
	ds_read2_b64 v[211:214], v253 offset0:82 offset1:83
	s_waitcnt lgkmcnt(0)
	v_mul_f64 v[113:114], v[213:214], v[115:116]
	v_fma_f64 v[113:114], v[211:212], v[209:210], -v[113:114]
	v_mul_f64 v[211:212], v[211:212], v[115:116]
	v_add_f64 v[45:46], v[45:46], -v[113:114]
	v_fma_f64 v[211:212], v[213:214], v[209:210], v[211:212]
	v_add_f64 v[47:48], v[47:48], -v[211:212]
	ds_read2_b64 v[211:214], v253 offset0:84 offset1:85
	s_waitcnt lgkmcnt(0)
	v_mul_f64 v[113:114], v[213:214], v[115:116]
	v_fma_f64 v[113:114], v[211:212], v[209:210], -v[113:114]
	v_mul_f64 v[211:212], v[211:212], v[115:116]
	v_add_f64 v[41:42], v[41:42], -v[113:114]
	v_fma_f64 v[211:212], v[213:214], v[209:210], v[211:212]
	v_add_f64 v[43:44], v[43:44], -v[211:212]
	ds_read2_b64 v[211:214], v253 offset0:86 offset1:87
	s_waitcnt lgkmcnt(0)
	v_mul_f64 v[113:114], v[213:214], v[115:116]
	v_fma_f64 v[113:114], v[211:212], v[209:210], -v[113:114]
	v_mul_f64 v[211:212], v[211:212], v[115:116]
	v_add_f64 v[37:38], v[37:38], -v[113:114]
	v_fma_f64 v[211:212], v[213:214], v[209:210], v[211:212]
	v_add_f64 v[39:40], v[39:40], -v[211:212]
	ds_read2_b64 v[211:214], v253 offset0:88 offset1:89
	s_waitcnt lgkmcnt(0)
	v_mul_f64 v[113:114], v[213:214], v[115:116]
	v_fma_f64 v[113:114], v[211:212], v[209:210], -v[113:114]
	v_mul_f64 v[211:212], v[211:212], v[115:116]
	v_add_f64 v[33:34], v[33:34], -v[113:114]
	v_fma_f64 v[211:212], v[213:214], v[209:210], v[211:212]
	v_add_f64 v[35:36], v[35:36], -v[211:212]
	ds_read2_b64 v[211:214], v253 offset0:90 offset1:91
	s_waitcnt lgkmcnt(0)
	v_mul_f64 v[113:114], v[213:214], v[115:116]
	v_fma_f64 v[113:114], v[211:212], v[209:210], -v[113:114]
	v_mul_f64 v[211:212], v[211:212], v[115:116]
	v_add_f64 v[29:30], v[29:30], -v[113:114]
	v_fma_f64 v[211:212], v[213:214], v[209:210], v[211:212]
	v_add_f64 v[31:32], v[31:32], -v[211:212]
	ds_read2_b64 v[211:214], v253 offset0:92 offset1:93
	s_waitcnt lgkmcnt(0)
	v_mul_f64 v[113:114], v[213:214], v[115:116]
	v_fma_f64 v[113:114], v[211:212], v[209:210], -v[113:114]
	v_mul_f64 v[211:212], v[211:212], v[115:116]
	v_add_f64 v[25:26], v[25:26], -v[113:114]
	v_fma_f64 v[211:212], v[213:214], v[209:210], v[211:212]
	v_add_f64 v[27:28], v[27:28], -v[211:212]
	ds_read2_b64 v[211:214], v253 offset0:94 offset1:95
	s_waitcnt lgkmcnt(0)
	v_mul_f64 v[113:114], v[213:214], v[115:116]
	v_fma_f64 v[113:114], v[211:212], v[209:210], -v[113:114]
	v_mul_f64 v[211:212], v[211:212], v[115:116]
	v_add_f64 v[21:22], v[21:22], -v[113:114]
	v_fma_f64 v[211:212], v[213:214], v[209:210], v[211:212]
	v_add_f64 v[23:24], v[23:24], -v[211:212]
	ds_read2_b64 v[211:214], v253 offset0:96 offset1:97
	s_waitcnt lgkmcnt(0)
	v_mul_f64 v[113:114], v[213:214], v[115:116]
	v_fma_f64 v[113:114], v[211:212], v[209:210], -v[113:114]
	v_mul_f64 v[211:212], v[211:212], v[115:116]
	v_add_f64 v[17:18], v[17:18], -v[113:114]
	v_fma_f64 v[211:212], v[213:214], v[209:210], v[211:212]
	v_add_f64 v[19:20], v[19:20], -v[211:212]
	ds_read2_b64 v[211:214], v253 offset0:98 offset1:99
	s_waitcnt lgkmcnt(0)
	v_mul_f64 v[113:114], v[213:214], v[115:116]
	v_fma_f64 v[113:114], v[211:212], v[209:210], -v[113:114]
	v_mul_f64 v[211:212], v[211:212], v[115:116]
	v_add_f64 v[13:14], v[13:14], -v[113:114]
	v_fma_f64 v[211:212], v[213:214], v[209:210], v[211:212]
	v_add_f64 v[15:16], v[15:16], -v[211:212]
	ds_read2_b64 v[211:214], v253 offset0:100 offset1:101
	s_waitcnt lgkmcnt(0)
	v_mul_f64 v[113:114], v[213:214], v[115:116]
	v_fma_f64 v[113:114], v[211:212], v[209:210], -v[113:114]
	v_mul_f64 v[211:212], v[211:212], v[115:116]
	v_add_f64 v[9:10], v[9:10], -v[113:114]
	v_fma_f64 v[211:212], v[213:214], v[209:210], v[211:212]
	v_add_f64 v[11:12], v[11:12], -v[211:212]
	ds_read2_b64 v[211:214], v253 offset0:102 offset1:103
	s_waitcnt lgkmcnt(0)
	v_mul_f64 v[113:114], v[213:214], v[115:116]
	v_fma_f64 v[113:114], v[211:212], v[209:210], -v[113:114]
	v_mul_f64 v[211:212], v[211:212], v[115:116]
	v_add_f64 v[5:6], v[5:6], -v[113:114]
	v_fma_f64 v[211:212], v[213:214], v[209:210], v[211:212]
	v_add_f64 v[7:8], v[7:8], -v[211:212]
	ds_read2_b64 v[211:214], v253 offset0:104 offset1:105
	s_waitcnt lgkmcnt(0)
	v_mul_f64 v[113:114], v[213:214], v[115:116]
	v_fma_f64 v[113:114], v[211:212], v[209:210], -v[113:114]
	v_mul_f64 v[211:212], v[211:212], v[115:116]
	v_add_f64 v[1:2], v[1:2], -v[113:114]
	v_fma_f64 v[211:212], v[213:214], v[209:210], v[211:212]
	v_mov_b32_e32 v113, v209
	v_mov_b32_e32 v114, v210
	v_add_f64 v[3:4], v[3:4], -v[211:212]
.LBB105_226:
	s_or_b32 exec_lo, exec_lo, s1
	s_mov_b32 s2, exec_lo
	s_waitcnt_vscnt null, 0x0
	s_barrier
	buffer_gl0_inv
	v_cmpx_eq_u32_e32 25, v0
	s_cbranch_execz .LBB105_233
; %bb.227:
	ds_write2_b64 v255, v[109:110], v[111:112] offset1:1
	ds_write2_b64 v253, v[105:106], v[107:108] offset0:52 offset1:53
	ds_write2_b64 v253, v[101:102], v[103:104] offset0:54 offset1:55
	;; [unrolled: 1-line block ×27, first 2 shown]
	ds_read2_b64 v[209:212], v255 offset1:1
	s_waitcnt lgkmcnt(0)
	v_cmp_neq_f64_e32 vcc_lo, 0, v[209:210]
	v_cmp_neq_f64_e64 s1, 0, v[211:212]
	s_or_b32 s1, vcc_lo, s1
	s_and_b32 exec_lo, exec_lo, s1
	s_cbranch_execz .LBB105_233
; %bb.228:
	v_cmp_ngt_f64_e64 s1, |v[209:210]|, |v[211:212]|
                                        ; implicit-def: $vgpr213_vgpr214
	s_and_saveexec_b32 s3, s1
	s_xor_b32 s1, exec_lo, s3
                                        ; implicit-def: $vgpr215_vgpr216
	s_cbranch_execz .LBB105_230
; %bb.229:
	v_div_scale_f64 v[213:214], null, v[211:212], v[211:212], v[209:210]
	v_div_scale_f64 v[219:220], vcc_lo, v[209:210], v[211:212], v[209:210]
	v_rcp_f64_e32 v[215:216], v[213:214]
	v_fma_f64 v[217:218], -v[213:214], v[215:216], 1.0
	v_fma_f64 v[215:216], v[215:216], v[217:218], v[215:216]
	v_fma_f64 v[217:218], -v[213:214], v[215:216], 1.0
	v_fma_f64 v[215:216], v[215:216], v[217:218], v[215:216]
	v_mul_f64 v[217:218], v[219:220], v[215:216]
	v_fma_f64 v[213:214], -v[213:214], v[217:218], v[219:220]
	v_div_fmas_f64 v[213:214], v[213:214], v[215:216], v[217:218]
	v_div_fixup_f64 v[213:214], v[213:214], v[211:212], v[209:210]
	v_fma_f64 v[209:210], v[209:210], v[213:214], v[211:212]
	v_div_scale_f64 v[211:212], null, v[209:210], v[209:210], 1.0
	v_rcp_f64_e32 v[215:216], v[211:212]
	v_fma_f64 v[217:218], -v[211:212], v[215:216], 1.0
	v_fma_f64 v[215:216], v[215:216], v[217:218], v[215:216]
	v_fma_f64 v[217:218], -v[211:212], v[215:216], 1.0
	v_fma_f64 v[215:216], v[215:216], v[217:218], v[215:216]
	v_div_scale_f64 v[217:218], vcc_lo, 1.0, v[209:210], 1.0
	v_mul_f64 v[219:220], v[217:218], v[215:216]
	v_fma_f64 v[211:212], -v[211:212], v[219:220], v[217:218]
	v_div_fmas_f64 v[211:212], v[211:212], v[215:216], v[219:220]
	v_div_fixup_f64 v[215:216], v[211:212], v[209:210], 1.0
                                        ; implicit-def: $vgpr209_vgpr210
	v_mul_f64 v[213:214], v[213:214], v[215:216]
	v_xor_b32_e32 v216, 0x80000000, v216
.LBB105_230:
	s_andn2_saveexec_b32 s1, s1
	s_cbranch_execz .LBB105_232
; %bb.231:
	v_div_scale_f64 v[213:214], null, v[209:210], v[209:210], v[211:212]
	v_div_scale_f64 v[219:220], vcc_lo, v[211:212], v[209:210], v[211:212]
	v_rcp_f64_e32 v[215:216], v[213:214]
	v_fma_f64 v[217:218], -v[213:214], v[215:216], 1.0
	v_fma_f64 v[215:216], v[215:216], v[217:218], v[215:216]
	v_fma_f64 v[217:218], -v[213:214], v[215:216], 1.0
	v_fma_f64 v[215:216], v[215:216], v[217:218], v[215:216]
	v_mul_f64 v[217:218], v[219:220], v[215:216]
	v_fma_f64 v[213:214], -v[213:214], v[217:218], v[219:220]
	v_div_fmas_f64 v[213:214], v[213:214], v[215:216], v[217:218]
	v_div_fixup_f64 v[215:216], v[213:214], v[209:210], v[211:212]
	v_fma_f64 v[209:210], v[211:212], v[215:216], v[209:210]
	v_div_scale_f64 v[211:212], null, v[209:210], v[209:210], 1.0
	v_rcp_f64_e32 v[213:214], v[211:212]
	v_fma_f64 v[217:218], -v[211:212], v[213:214], 1.0
	v_fma_f64 v[213:214], v[213:214], v[217:218], v[213:214]
	v_fma_f64 v[217:218], -v[211:212], v[213:214], 1.0
	v_fma_f64 v[213:214], v[213:214], v[217:218], v[213:214]
	v_div_scale_f64 v[217:218], vcc_lo, 1.0, v[209:210], 1.0
	v_mul_f64 v[219:220], v[217:218], v[213:214]
	v_fma_f64 v[211:212], -v[211:212], v[219:220], v[217:218]
	v_div_fmas_f64 v[211:212], v[211:212], v[213:214], v[219:220]
	v_div_fixup_f64 v[213:214], v[211:212], v[209:210], 1.0
	v_mul_f64 v[215:216], v[215:216], -v[213:214]
.LBB105_232:
	s_or_b32 exec_lo, exec_lo, s1
	ds_write2_b64 v255, v[213:214], v[215:216] offset1:1
.LBB105_233:
	s_or_b32 exec_lo, exec_lo, s2
	s_waitcnt lgkmcnt(0)
	s_barrier
	buffer_gl0_inv
	ds_read2_b64 v[183:186], v255 offset1:1
	s_mov_b32 s1, exec_lo
	s_waitcnt lgkmcnt(0)
	buffer_store_dword v183, off, s[16:19], 0 offset:792 ; 4-byte Folded Spill
	buffer_store_dword v184, off, s[16:19], 0 offset:796 ; 4-byte Folded Spill
	;; [unrolled: 1-line block ×4, first 2 shown]
	v_cmpx_lt_u32_e32 25, v0
	s_cbranch_execz .LBB105_235
; %bb.234:
	s_clause 0x3
	buffer_load_dword v183, off, s[16:19], 0 offset:792
	buffer_load_dword v184, off, s[16:19], 0 offset:796
	;; [unrolled: 1-line block ×4, first 2 shown]
	ds_read2_b64 v[211:214], v253 offset0:52 offset1:53
	s_waitcnt vmcnt(0)
	v_mul_f64 v[209:210], v[185:186], v[111:112]
	v_mul_f64 v[111:112], v[183:184], v[111:112]
	v_fma_f64 v[209:210], v[183:184], v[109:110], -v[209:210]
	v_fma_f64 v[111:112], v[185:186], v[109:110], v[111:112]
	s_waitcnt lgkmcnt(0)
	v_mul_f64 v[109:110], v[213:214], v[111:112]
	v_fma_f64 v[109:110], v[211:212], v[209:210], -v[109:110]
	v_mul_f64 v[211:212], v[211:212], v[111:112]
	v_add_f64 v[105:106], v[105:106], -v[109:110]
	v_fma_f64 v[211:212], v[213:214], v[209:210], v[211:212]
	v_add_f64 v[107:108], v[107:108], -v[211:212]
	ds_read2_b64 v[211:214], v253 offset0:54 offset1:55
	s_waitcnt lgkmcnt(0)
	v_mul_f64 v[109:110], v[213:214], v[111:112]
	v_fma_f64 v[109:110], v[211:212], v[209:210], -v[109:110]
	v_mul_f64 v[211:212], v[211:212], v[111:112]
	v_add_f64 v[101:102], v[101:102], -v[109:110]
	v_fma_f64 v[211:212], v[213:214], v[209:210], v[211:212]
	v_add_f64 v[103:104], v[103:104], -v[211:212]
	ds_read2_b64 v[211:214], v253 offset0:56 offset1:57
	;; [unrolled: 8-line block ×26, first 2 shown]
	s_waitcnt lgkmcnt(0)
	v_mul_f64 v[109:110], v[213:214], v[111:112]
	v_fma_f64 v[109:110], v[211:212], v[209:210], -v[109:110]
	v_mul_f64 v[211:212], v[211:212], v[111:112]
	v_add_f64 v[1:2], v[1:2], -v[109:110]
	v_fma_f64 v[211:212], v[213:214], v[209:210], v[211:212]
	v_mov_b32_e32 v109, v209
	v_mov_b32_e32 v110, v210
	v_add_f64 v[3:4], v[3:4], -v[211:212]
.LBB105_235:
	s_or_b32 exec_lo, exec_lo, s1
	s_mov_b32 s2, exec_lo
	s_waitcnt_vscnt null, 0x0
	s_barrier
	buffer_gl0_inv
	v_cmpx_eq_u32_e32 26, v0
	s_cbranch_execz .LBB105_242
; %bb.236:
	ds_write2_b64 v255, v[105:106], v[107:108] offset1:1
	ds_write2_b64 v253, v[101:102], v[103:104] offset0:54 offset1:55
	ds_write2_b64 v253, v[97:98], v[99:100] offset0:56 offset1:57
	;; [unrolled: 1-line block ×26, first 2 shown]
	ds_read2_b64 v[209:212], v255 offset1:1
	s_waitcnt lgkmcnt(0)
	v_cmp_neq_f64_e32 vcc_lo, 0, v[209:210]
	v_cmp_neq_f64_e64 s1, 0, v[211:212]
	s_or_b32 s1, vcc_lo, s1
	s_and_b32 exec_lo, exec_lo, s1
	s_cbranch_execz .LBB105_242
; %bb.237:
	v_cmp_ngt_f64_e64 s1, |v[209:210]|, |v[211:212]|
                                        ; implicit-def: $vgpr213_vgpr214
	s_and_saveexec_b32 s3, s1
	s_xor_b32 s1, exec_lo, s3
                                        ; implicit-def: $vgpr215_vgpr216
	s_cbranch_execz .LBB105_239
; %bb.238:
	v_div_scale_f64 v[213:214], null, v[211:212], v[211:212], v[209:210]
	v_div_scale_f64 v[219:220], vcc_lo, v[209:210], v[211:212], v[209:210]
	v_rcp_f64_e32 v[215:216], v[213:214]
	v_fma_f64 v[217:218], -v[213:214], v[215:216], 1.0
	v_fma_f64 v[215:216], v[215:216], v[217:218], v[215:216]
	v_fma_f64 v[217:218], -v[213:214], v[215:216], 1.0
	v_fma_f64 v[215:216], v[215:216], v[217:218], v[215:216]
	v_mul_f64 v[217:218], v[219:220], v[215:216]
	v_fma_f64 v[213:214], -v[213:214], v[217:218], v[219:220]
	v_div_fmas_f64 v[213:214], v[213:214], v[215:216], v[217:218]
	v_div_fixup_f64 v[213:214], v[213:214], v[211:212], v[209:210]
	v_fma_f64 v[209:210], v[209:210], v[213:214], v[211:212]
	v_div_scale_f64 v[211:212], null, v[209:210], v[209:210], 1.0
	v_rcp_f64_e32 v[215:216], v[211:212]
	v_fma_f64 v[217:218], -v[211:212], v[215:216], 1.0
	v_fma_f64 v[215:216], v[215:216], v[217:218], v[215:216]
	v_fma_f64 v[217:218], -v[211:212], v[215:216], 1.0
	v_fma_f64 v[215:216], v[215:216], v[217:218], v[215:216]
	v_div_scale_f64 v[217:218], vcc_lo, 1.0, v[209:210], 1.0
	v_mul_f64 v[219:220], v[217:218], v[215:216]
	v_fma_f64 v[211:212], -v[211:212], v[219:220], v[217:218]
	v_div_fmas_f64 v[211:212], v[211:212], v[215:216], v[219:220]
	v_div_fixup_f64 v[215:216], v[211:212], v[209:210], 1.0
                                        ; implicit-def: $vgpr209_vgpr210
	v_mul_f64 v[213:214], v[213:214], v[215:216]
	v_xor_b32_e32 v216, 0x80000000, v216
.LBB105_239:
	s_andn2_saveexec_b32 s1, s1
	s_cbranch_execz .LBB105_241
; %bb.240:
	v_div_scale_f64 v[213:214], null, v[209:210], v[209:210], v[211:212]
	v_div_scale_f64 v[219:220], vcc_lo, v[211:212], v[209:210], v[211:212]
	v_rcp_f64_e32 v[215:216], v[213:214]
	v_fma_f64 v[217:218], -v[213:214], v[215:216], 1.0
	v_fma_f64 v[215:216], v[215:216], v[217:218], v[215:216]
	v_fma_f64 v[217:218], -v[213:214], v[215:216], 1.0
	v_fma_f64 v[215:216], v[215:216], v[217:218], v[215:216]
	v_mul_f64 v[217:218], v[219:220], v[215:216]
	v_fma_f64 v[213:214], -v[213:214], v[217:218], v[219:220]
	v_div_fmas_f64 v[213:214], v[213:214], v[215:216], v[217:218]
	v_div_fixup_f64 v[215:216], v[213:214], v[209:210], v[211:212]
	v_fma_f64 v[209:210], v[211:212], v[215:216], v[209:210]
	v_div_scale_f64 v[211:212], null, v[209:210], v[209:210], 1.0
	v_rcp_f64_e32 v[213:214], v[211:212]
	v_fma_f64 v[217:218], -v[211:212], v[213:214], 1.0
	v_fma_f64 v[213:214], v[213:214], v[217:218], v[213:214]
	v_fma_f64 v[217:218], -v[211:212], v[213:214], 1.0
	v_fma_f64 v[213:214], v[213:214], v[217:218], v[213:214]
	v_div_scale_f64 v[217:218], vcc_lo, 1.0, v[209:210], 1.0
	v_mul_f64 v[219:220], v[217:218], v[213:214]
	v_fma_f64 v[211:212], -v[211:212], v[219:220], v[217:218]
	v_div_fmas_f64 v[211:212], v[211:212], v[213:214], v[219:220]
	v_div_fixup_f64 v[213:214], v[211:212], v[209:210], 1.0
	v_mul_f64 v[215:216], v[215:216], -v[213:214]
.LBB105_241:
	s_or_b32 exec_lo, exec_lo, s1
	ds_write2_b64 v255, v[213:214], v[215:216] offset1:1
.LBB105_242:
	s_or_b32 exec_lo, exec_lo, s2
	s_waitcnt lgkmcnt(0)
	s_barrier
	buffer_gl0_inv
	ds_read2_b64 v[183:186], v255 offset1:1
	s_mov_b32 s1, exec_lo
	s_waitcnt lgkmcnt(0)
	buffer_store_dword v183, off, s[16:19], 0 offset:808 ; 4-byte Folded Spill
	buffer_store_dword v184, off, s[16:19], 0 offset:812 ; 4-byte Folded Spill
	;; [unrolled: 1-line block ×4, first 2 shown]
	v_cmpx_lt_u32_e32 26, v0
	s_cbranch_execz .LBB105_244
; %bb.243:
	s_clause 0x3
	buffer_load_dword v183, off, s[16:19], 0 offset:808
	buffer_load_dword v184, off, s[16:19], 0 offset:812
	buffer_load_dword v185, off, s[16:19], 0 offset:816
	buffer_load_dword v186, off, s[16:19], 0 offset:820
	ds_read2_b64 v[211:214], v253 offset0:54 offset1:55
	s_waitcnt vmcnt(0)
	v_mul_f64 v[209:210], v[185:186], v[107:108]
	v_mul_f64 v[107:108], v[183:184], v[107:108]
	v_fma_f64 v[209:210], v[183:184], v[105:106], -v[209:210]
	v_fma_f64 v[107:108], v[185:186], v[105:106], v[107:108]
	s_waitcnt lgkmcnt(0)
	v_mul_f64 v[105:106], v[213:214], v[107:108]
	v_fma_f64 v[105:106], v[211:212], v[209:210], -v[105:106]
	v_mul_f64 v[211:212], v[211:212], v[107:108]
	v_add_f64 v[101:102], v[101:102], -v[105:106]
	v_fma_f64 v[211:212], v[213:214], v[209:210], v[211:212]
	v_add_f64 v[103:104], v[103:104], -v[211:212]
	ds_read2_b64 v[211:214], v253 offset0:56 offset1:57
	s_waitcnt lgkmcnt(0)
	v_mul_f64 v[105:106], v[213:214], v[107:108]
	v_fma_f64 v[105:106], v[211:212], v[209:210], -v[105:106]
	v_mul_f64 v[211:212], v[211:212], v[107:108]
	v_add_f64 v[97:98], v[97:98], -v[105:106]
	v_fma_f64 v[211:212], v[213:214], v[209:210], v[211:212]
	v_add_f64 v[99:100], v[99:100], -v[211:212]
	ds_read2_b64 v[211:214], v253 offset0:58 offset1:59
	;; [unrolled: 8-line block ×25, first 2 shown]
	s_waitcnt lgkmcnt(0)
	v_mul_f64 v[105:106], v[213:214], v[107:108]
	v_fma_f64 v[105:106], v[211:212], v[209:210], -v[105:106]
	v_mul_f64 v[211:212], v[211:212], v[107:108]
	v_add_f64 v[1:2], v[1:2], -v[105:106]
	v_fma_f64 v[211:212], v[213:214], v[209:210], v[211:212]
	v_mov_b32_e32 v105, v209
	v_mov_b32_e32 v106, v210
	v_add_f64 v[3:4], v[3:4], -v[211:212]
.LBB105_244:
	s_or_b32 exec_lo, exec_lo, s1
	s_mov_b32 s2, exec_lo
	s_waitcnt_vscnt null, 0x0
	s_barrier
	buffer_gl0_inv
	v_cmpx_eq_u32_e32 27, v0
	s_cbranch_execz .LBB105_251
; %bb.245:
	ds_write2_b64 v255, v[101:102], v[103:104] offset1:1
	ds_write2_b64 v253, v[97:98], v[99:100] offset0:56 offset1:57
	ds_write2_b64 v253, v[93:94], v[95:96] offset0:58 offset1:59
	;; [unrolled: 1-line block ×25, first 2 shown]
	ds_read2_b64 v[209:212], v255 offset1:1
	s_waitcnt lgkmcnt(0)
	v_cmp_neq_f64_e32 vcc_lo, 0, v[209:210]
	v_cmp_neq_f64_e64 s1, 0, v[211:212]
	s_or_b32 s1, vcc_lo, s1
	s_and_b32 exec_lo, exec_lo, s1
	s_cbranch_execz .LBB105_251
; %bb.246:
	v_cmp_ngt_f64_e64 s1, |v[209:210]|, |v[211:212]|
                                        ; implicit-def: $vgpr213_vgpr214
	s_and_saveexec_b32 s3, s1
	s_xor_b32 s1, exec_lo, s3
                                        ; implicit-def: $vgpr215_vgpr216
	s_cbranch_execz .LBB105_248
; %bb.247:
	v_div_scale_f64 v[213:214], null, v[211:212], v[211:212], v[209:210]
	v_div_scale_f64 v[219:220], vcc_lo, v[209:210], v[211:212], v[209:210]
	v_rcp_f64_e32 v[215:216], v[213:214]
	v_fma_f64 v[217:218], -v[213:214], v[215:216], 1.0
	v_fma_f64 v[215:216], v[215:216], v[217:218], v[215:216]
	v_fma_f64 v[217:218], -v[213:214], v[215:216], 1.0
	v_fma_f64 v[215:216], v[215:216], v[217:218], v[215:216]
	v_mul_f64 v[217:218], v[219:220], v[215:216]
	v_fma_f64 v[213:214], -v[213:214], v[217:218], v[219:220]
	v_div_fmas_f64 v[213:214], v[213:214], v[215:216], v[217:218]
	v_div_fixup_f64 v[213:214], v[213:214], v[211:212], v[209:210]
	v_fma_f64 v[209:210], v[209:210], v[213:214], v[211:212]
	v_div_scale_f64 v[211:212], null, v[209:210], v[209:210], 1.0
	v_rcp_f64_e32 v[215:216], v[211:212]
	v_fma_f64 v[217:218], -v[211:212], v[215:216], 1.0
	v_fma_f64 v[215:216], v[215:216], v[217:218], v[215:216]
	v_fma_f64 v[217:218], -v[211:212], v[215:216], 1.0
	v_fma_f64 v[215:216], v[215:216], v[217:218], v[215:216]
	v_div_scale_f64 v[217:218], vcc_lo, 1.0, v[209:210], 1.0
	v_mul_f64 v[219:220], v[217:218], v[215:216]
	v_fma_f64 v[211:212], -v[211:212], v[219:220], v[217:218]
	v_div_fmas_f64 v[211:212], v[211:212], v[215:216], v[219:220]
	v_div_fixup_f64 v[215:216], v[211:212], v[209:210], 1.0
                                        ; implicit-def: $vgpr209_vgpr210
	v_mul_f64 v[213:214], v[213:214], v[215:216]
	v_xor_b32_e32 v216, 0x80000000, v216
.LBB105_248:
	s_andn2_saveexec_b32 s1, s1
	s_cbranch_execz .LBB105_250
; %bb.249:
	v_div_scale_f64 v[213:214], null, v[209:210], v[209:210], v[211:212]
	v_div_scale_f64 v[219:220], vcc_lo, v[211:212], v[209:210], v[211:212]
	v_rcp_f64_e32 v[215:216], v[213:214]
	v_fma_f64 v[217:218], -v[213:214], v[215:216], 1.0
	v_fma_f64 v[215:216], v[215:216], v[217:218], v[215:216]
	v_fma_f64 v[217:218], -v[213:214], v[215:216], 1.0
	v_fma_f64 v[215:216], v[215:216], v[217:218], v[215:216]
	v_mul_f64 v[217:218], v[219:220], v[215:216]
	v_fma_f64 v[213:214], -v[213:214], v[217:218], v[219:220]
	v_div_fmas_f64 v[213:214], v[213:214], v[215:216], v[217:218]
	v_div_fixup_f64 v[215:216], v[213:214], v[209:210], v[211:212]
	v_fma_f64 v[209:210], v[211:212], v[215:216], v[209:210]
	v_div_scale_f64 v[211:212], null, v[209:210], v[209:210], 1.0
	v_rcp_f64_e32 v[213:214], v[211:212]
	v_fma_f64 v[217:218], -v[211:212], v[213:214], 1.0
	v_fma_f64 v[213:214], v[213:214], v[217:218], v[213:214]
	v_fma_f64 v[217:218], -v[211:212], v[213:214], 1.0
	v_fma_f64 v[213:214], v[213:214], v[217:218], v[213:214]
	v_div_scale_f64 v[217:218], vcc_lo, 1.0, v[209:210], 1.0
	v_mul_f64 v[219:220], v[217:218], v[213:214]
	v_fma_f64 v[211:212], -v[211:212], v[219:220], v[217:218]
	v_div_fmas_f64 v[211:212], v[211:212], v[213:214], v[219:220]
	v_div_fixup_f64 v[213:214], v[211:212], v[209:210], 1.0
	v_mul_f64 v[215:216], v[215:216], -v[213:214]
.LBB105_250:
	s_or_b32 exec_lo, exec_lo, s1
	ds_write2_b64 v255, v[213:214], v[215:216] offset1:1
.LBB105_251:
	s_or_b32 exec_lo, exec_lo, s2
	s_waitcnt lgkmcnt(0)
	s_barrier
	buffer_gl0_inv
	ds_read2_b64 v[183:186], v255 offset1:1
	s_mov_b32 s1, exec_lo
	s_waitcnt lgkmcnt(0)
	buffer_store_dword v183, off, s[16:19], 0 offset:824 ; 4-byte Folded Spill
	buffer_store_dword v184, off, s[16:19], 0 offset:828 ; 4-byte Folded Spill
	;; [unrolled: 1-line block ×4, first 2 shown]
	v_cmpx_lt_u32_e32 27, v0
	s_cbranch_execz .LBB105_253
; %bb.252:
	s_clause 0x3
	buffer_load_dword v183, off, s[16:19], 0 offset:824
	buffer_load_dword v184, off, s[16:19], 0 offset:828
	;; [unrolled: 1-line block ×4, first 2 shown]
	ds_read2_b64 v[211:214], v253 offset0:56 offset1:57
	s_waitcnt vmcnt(0)
	v_mul_f64 v[209:210], v[185:186], v[103:104]
	v_mul_f64 v[103:104], v[183:184], v[103:104]
	v_fma_f64 v[209:210], v[183:184], v[101:102], -v[209:210]
	v_fma_f64 v[103:104], v[185:186], v[101:102], v[103:104]
	s_waitcnt lgkmcnt(0)
	v_mul_f64 v[101:102], v[213:214], v[103:104]
	v_fma_f64 v[101:102], v[211:212], v[209:210], -v[101:102]
	v_mul_f64 v[211:212], v[211:212], v[103:104]
	v_add_f64 v[97:98], v[97:98], -v[101:102]
	v_fma_f64 v[211:212], v[213:214], v[209:210], v[211:212]
	v_add_f64 v[99:100], v[99:100], -v[211:212]
	ds_read2_b64 v[211:214], v253 offset0:58 offset1:59
	s_waitcnt lgkmcnt(0)
	v_mul_f64 v[101:102], v[213:214], v[103:104]
	v_fma_f64 v[101:102], v[211:212], v[209:210], -v[101:102]
	v_mul_f64 v[211:212], v[211:212], v[103:104]
	v_add_f64 v[93:94], v[93:94], -v[101:102]
	v_fma_f64 v[211:212], v[213:214], v[209:210], v[211:212]
	v_add_f64 v[95:96], v[95:96], -v[211:212]
	ds_read2_b64 v[211:214], v253 offset0:60 offset1:61
	s_waitcnt lgkmcnt(0)
	v_mul_f64 v[101:102], v[213:214], v[103:104]
	v_fma_f64 v[101:102], v[211:212], v[209:210], -v[101:102]
	v_mul_f64 v[211:212], v[211:212], v[103:104]
	v_add_f64 v[89:90], v[89:90], -v[101:102]
	v_fma_f64 v[211:212], v[213:214], v[209:210], v[211:212]
	v_add_f64 v[91:92], v[91:92], -v[211:212]
	ds_read2_b64 v[211:214], v253 offset0:62 offset1:63
	s_waitcnt lgkmcnt(0)
	v_mul_f64 v[101:102], v[213:214], v[103:104]
	v_fma_f64 v[101:102], v[211:212], v[209:210], -v[101:102]
	v_mul_f64 v[211:212], v[211:212], v[103:104]
	v_add_f64 v[85:86], v[85:86], -v[101:102]
	v_fma_f64 v[211:212], v[213:214], v[209:210], v[211:212]
	v_add_f64 v[87:88], v[87:88], -v[211:212]
	ds_read2_b64 v[211:214], v253 offset0:64 offset1:65
	s_waitcnt lgkmcnt(0)
	v_mul_f64 v[101:102], v[213:214], v[103:104]
	v_fma_f64 v[101:102], v[211:212], v[209:210], -v[101:102]
	v_mul_f64 v[211:212], v[211:212], v[103:104]
	v_add_f64 v[81:82], v[81:82], -v[101:102]
	v_fma_f64 v[211:212], v[213:214], v[209:210], v[211:212]
	v_add_f64 v[83:84], v[83:84], -v[211:212]
	ds_read2_b64 v[211:214], v253 offset0:66 offset1:67
	s_waitcnt lgkmcnt(0)
	v_mul_f64 v[101:102], v[213:214], v[103:104]
	v_fma_f64 v[101:102], v[211:212], v[209:210], -v[101:102]
	v_mul_f64 v[211:212], v[211:212], v[103:104]
	v_add_f64 v[77:78], v[77:78], -v[101:102]
	v_fma_f64 v[211:212], v[213:214], v[209:210], v[211:212]
	v_add_f64 v[79:80], v[79:80], -v[211:212]
	ds_read2_b64 v[211:214], v253 offset0:68 offset1:69
	s_waitcnt lgkmcnt(0)
	v_mul_f64 v[101:102], v[213:214], v[103:104]
	v_fma_f64 v[101:102], v[211:212], v[209:210], -v[101:102]
	v_mul_f64 v[211:212], v[211:212], v[103:104]
	v_add_f64 v[73:74], v[73:74], -v[101:102]
	v_fma_f64 v[211:212], v[213:214], v[209:210], v[211:212]
	v_add_f64 v[75:76], v[75:76], -v[211:212]
	ds_read2_b64 v[211:214], v253 offset0:70 offset1:71
	s_waitcnt lgkmcnt(0)
	v_mul_f64 v[101:102], v[213:214], v[103:104]
	v_fma_f64 v[101:102], v[211:212], v[209:210], -v[101:102]
	v_mul_f64 v[211:212], v[211:212], v[103:104]
	v_add_f64 v[69:70], v[69:70], -v[101:102]
	v_fma_f64 v[211:212], v[213:214], v[209:210], v[211:212]
	v_add_f64 v[71:72], v[71:72], -v[211:212]
	ds_read2_b64 v[211:214], v253 offset0:72 offset1:73
	s_waitcnt lgkmcnt(0)
	v_mul_f64 v[101:102], v[213:214], v[103:104]
	v_fma_f64 v[101:102], v[211:212], v[209:210], -v[101:102]
	v_mul_f64 v[211:212], v[211:212], v[103:104]
	v_add_f64 v[65:66], v[65:66], -v[101:102]
	v_fma_f64 v[211:212], v[213:214], v[209:210], v[211:212]
	v_add_f64 v[67:68], v[67:68], -v[211:212]
	ds_read2_b64 v[211:214], v253 offset0:74 offset1:75
	s_waitcnt lgkmcnt(0)
	v_mul_f64 v[101:102], v[213:214], v[103:104]
	v_fma_f64 v[101:102], v[211:212], v[209:210], -v[101:102]
	v_mul_f64 v[211:212], v[211:212], v[103:104]
	v_add_f64 v[61:62], v[61:62], -v[101:102]
	v_fma_f64 v[211:212], v[213:214], v[209:210], v[211:212]
	v_add_f64 v[63:64], v[63:64], -v[211:212]
	ds_read2_b64 v[211:214], v253 offset0:76 offset1:77
	s_waitcnt lgkmcnt(0)
	v_mul_f64 v[101:102], v[213:214], v[103:104]
	v_fma_f64 v[101:102], v[211:212], v[209:210], -v[101:102]
	v_mul_f64 v[211:212], v[211:212], v[103:104]
	v_add_f64 v[57:58], v[57:58], -v[101:102]
	v_fma_f64 v[211:212], v[213:214], v[209:210], v[211:212]
	v_add_f64 v[59:60], v[59:60], -v[211:212]
	ds_read2_b64 v[211:214], v253 offset0:78 offset1:79
	s_waitcnt lgkmcnt(0)
	v_mul_f64 v[101:102], v[213:214], v[103:104]
	v_fma_f64 v[101:102], v[211:212], v[209:210], -v[101:102]
	v_mul_f64 v[211:212], v[211:212], v[103:104]
	v_add_f64 v[53:54], v[53:54], -v[101:102]
	v_fma_f64 v[211:212], v[213:214], v[209:210], v[211:212]
	v_add_f64 v[55:56], v[55:56], -v[211:212]
	ds_read2_b64 v[211:214], v253 offset0:80 offset1:81
	s_waitcnt lgkmcnt(0)
	v_mul_f64 v[101:102], v[213:214], v[103:104]
	v_fma_f64 v[101:102], v[211:212], v[209:210], -v[101:102]
	v_mul_f64 v[211:212], v[211:212], v[103:104]
	v_add_f64 v[49:50], v[49:50], -v[101:102]
	v_fma_f64 v[211:212], v[213:214], v[209:210], v[211:212]
	v_add_f64 v[51:52], v[51:52], -v[211:212]
	ds_read2_b64 v[211:214], v253 offset0:82 offset1:83
	s_waitcnt lgkmcnt(0)
	v_mul_f64 v[101:102], v[213:214], v[103:104]
	v_fma_f64 v[101:102], v[211:212], v[209:210], -v[101:102]
	v_mul_f64 v[211:212], v[211:212], v[103:104]
	v_add_f64 v[45:46], v[45:46], -v[101:102]
	v_fma_f64 v[211:212], v[213:214], v[209:210], v[211:212]
	v_add_f64 v[47:48], v[47:48], -v[211:212]
	ds_read2_b64 v[211:214], v253 offset0:84 offset1:85
	s_waitcnt lgkmcnt(0)
	v_mul_f64 v[101:102], v[213:214], v[103:104]
	v_fma_f64 v[101:102], v[211:212], v[209:210], -v[101:102]
	v_mul_f64 v[211:212], v[211:212], v[103:104]
	v_add_f64 v[41:42], v[41:42], -v[101:102]
	v_fma_f64 v[211:212], v[213:214], v[209:210], v[211:212]
	v_add_f64 v[43:44], v[43:44], -v[211:212]
	ds_read2_b64 v[211:214], v253 offset0:86 offset1:87
	s_waitcnt lgkmcnt(0)
	v_mul_f64 v[101:102], v[213:214], v[103:104]
	v_fma_f64 v[101:102], v[211:212], v[209:210], -v[101:102]
	v_mul_f64 v[211:212], v[211:212], v[103:104]
	v_add_f64 v[37:38], v[37:38], -v[101:102]
	v_fma_f64 v[211:212], v[213:214], v[209:210], v[211:212]
	v_add_f64 v[39:40], v[39:40], -v[211:212]
	ds_read2_b64 v[211:214], v253 offset0:88 offset1:89
	s_waitcnt lgkmcnt(0)
	v_mul_f64 v[101:102], v[213:214], v[103:104]
	v_fma_f64 v[101:102], v[211:212], v[209:210], -v[101:102]
	v_mul_f64 v[211:212], v[211:212], v[103:104]
	v_add_f64 v[33:34], v[33:34], -v[101:102]
	v_fma_f64 v[211:212], v[213:214], v[209:210], v[211:212]
	v_add_f64 v[35:36], v[35:36], -v[211:212]
	ds_read2_b64 v[211:214], v253 offset0:90 offset1:91
	s_waitcnt lgkmcnt(0)
	v_mul_f64 v[101:102], v[213:214], v[103:104]
	v_fma_f64 v[101:102], v[211:212], v[209:210], -v[101:102]
	v_mul_f64 v[211:212], v[211:212], v[103:104]
	v_add_f64 v[29:30], v[29:30], -v[101:102]
	v_fma_f64 v[211:212], v[213:214], v[209:210], v[211:212]
	v_add_f64 v[31:32], v[31:32], -v[211:212]
	ds_read2_b64 v[211:214], v253 offset0:92 offset1:93
	s_waitcnt lgkmcnt(0)
	v_mul_f64 v[101:102], v[213:214], v[103:104]
	v_fma_f64 v[101:102], v[211:212], v[209:210], -v[101:102]
	v_mul_f64 v[211:212], v[211:212], v[103:104]
	v_add_f64 v[25:26], v[25:26], -v[101:102]
	v_fma_f64 v[211:212], v[213:214], v[209:210], v[211:212]
	v_add_f64 v[27:28], v[27:28], -v[211:212]
	ds_read2_b64 v[211:214], v253 offset0:94 offset1:95
	s_waitcnt lgkmcnt(0)
	v_mul_f64 v[101:102], v[213:214], v[103:104]
	v_fma_f64 v[101:102], v[211:212], v[209:210], -v[101:102]
	v_mul_f64 v[211:212], v[211:212], v[103:104]
	v_add_f64 v[21:22], v[21:22], -v[101:102]
	v_fma_f64 v[211:212], v[213:214], v[209:210], v[211:212]
	v_add_f64 v[23:24], v[23:24], -v[211:212]
	ds_read2_b64 v[211:214], v253 offset0:96 offset1:97
	s_waitcnt lgkmcnt(0)
	v_mul_f64 v[101:102], v[213:214], v[103:104]
	v_fma_f64 v[101:102], v[211:212], v[209:210], -v[101:102]
	v_mul_f64 v[211:212], v[211:212], v[103:104]
	v_add_f64 v[17:18], v[17:18], -v[101:102]
	v_fma_f64 v[211:212], v[213:214], v[209:210], v[211:212]
	v_add_f64 v[19:20], v[19:20], -v[211:212]
	ds_read2_b64 v[211:214], v253 offset0:98 offset1:99
	s_waitcnt lgkmcnt(0)
	v_mul_f64 v[101:102], v[213:214], v[103:104]
	v_fma_f64 v[101:102], v[211:212], v[209:210], -v[101:102]
	v_mul_f64 v[211:212], v[211:212], v[103:104]
	v_add_f64 v[13:14], v[13:14], -v[101:102]
	v_fma_f64 v[211:212], v[213:214], v[209:210], v[211:212]
	v_add_f64 v[15:16], v[15:16], -v[211:212]
	ds_read2_b64 v[211:214], v253 offset0:100 offset1:101
	s_waitcnt lgkmcnt(0)
	v_mul_f64 v[101:102], v[213:214], v[103:104]
	v_fma_f64 v[101:102], v[211:212], v[209:210], -v[101:102]
	v_mul_f64 v[211:212], v[211:212], v[103:104]
	v_add_f64 v[9:10], v[9:10], -v[101:102]
	v_fma_f64 v[211:212], v[213:214], v[209:210], v[211:212]
	v_add_f64 v[11:12], v[11:12], -v[211:212]
	ds_read2_b64 v[211:214], v253 offset0:102 offset1:103
	s_waitcnt lgkmcnt(0)
	v_mul_f64 v[101:102], v[213:214], v[103:104]
	v_fma_f64 v[101:102], v[211:212], v[209:210], -v[101:102]
	v_mul_f64 v[211:212], v[211:212], v[103:104]
	v_add_f64 v[5:6], v[5:6], -v[101:102]
	v_fma_f64 v[211:212], v[213:214], v[209:210], v[211:212]
	v_add_f64 v[7:8], v[7:8], -v[211:212]
	ds_read2_b64 v[211:214], v253 offset0:104 offset1:105
	s_waitcnt lgkmcnt(0)
	v_mul_f64 v[101:102], v[213:214], v[103:104]
	v_fma_f64 v[101:102], v[211:212], v[209:210], -v[101:102]
	v_mul_f64 v[211:212], v[211:212], v[103:104]
	v_add_f64 v[1:2], v[1:2], -v[101:102]
	v_fma_f64 v[211:212], v[213:214], v[209:210], v[211:212]
	v_mov_b32_e32 v101, v209
	v_mov_b32_e32 v102, v210
	v_add_f64 v[3:4], v[3:4], -v[211:212]
.LBB105_253:
	s_or_b32 exec_lo, exec_lo, s1
	s_mov_b32 s2, exec_lo
	s_waitcnt_vscnt null, 0x0
	s_barrier
	buffer_gl0_inv
	v_cmpx_eq_u32_e32 28, v0
	s_cbranch_execz .LBB105_260
; %bb.254:
	ds_write2_b64 v255, v[97:98], v[99:100] offset1:1
	ds_write2_b64 v253, v[93:94], v[95:96] offset0:58 offset1:59
	ds_write2_b64 v253, v[89:90], v[91:92] offset0:60 offset1:61
	;; [unrolled: 1-line block ×24, first 2 shown]
	ds_read2_b64 v[209:212], v255 offset1:1
	s_waitcnt lgkmcnt(0)
	v_cmp_neq_f64_e32 vcc_lo, 0, v[209:210]
	v_cmp_neq_f64_e64 s1, 0, v[211:212]
	s_or_b32 s1, vcc_lo, s1
	s_and_b32 exec_lo, exec_lo, s1
	s_cbranch_execz .LBB105_260
; %bb.255:
	v_cmp_ngt_f64_e64 s1, |v[209:210]|, |v[211:212]|
                                        ; implicit-def: $vgpr213_vgpr214
	s_and_saveexec_b32 s3, s1
	s_xor_b32 s1, exec_lo, s3
                                        ; implicit-def: $vgpr215_vgpr216
	s_cbranch_execz .LBB105_257
; %bb.256:
	v_div_scale_f64 v[213:214], null, v[211:212], v[211:212], v[209:210]
	v_div_scale_f64 v[219:220], vcc_lo, v[209:210], v[211:212], v[209:210]
	v_rcp_f64_e32 v[215:216], v[213:214]
	v_fma_f64 v[217:218], -v[213:214], v[215:216], 1.0
	v_fma_f64 v[215:216], v[215:216], v[217:218], v[215:216]
	v_fma_f64 v[217:218], -v[213:214], v[215:216], 1.0
	v_fma_f64 v[215:216], v[215:216], v[217:218], v[215:216]
	v_mul_f64 v[217:218], v[219:220], v[215:216]
	v_fma_f64 v[213:214], -v[213:214], v[217:218], v[219:220]
	v_div_fmas_f64 v[213:214], v[213:214], v[215:216], v[217:218]
	v_div_fixup_f64 v[213:214], v[213:214], v[211:212], v[209:210]
	v_fma_f64 v[209:210], v[209:210], v[213:214], v[211:212]
	v_div_scale_f64 v[211:212], null, v[209:210], v[209:210], 1.0
	v_rcp_f64_e32 v[215:216], v[211:212]
	v_fma_f64 v[217:218], -v[211:212], v[215:216], 1.0
	v_fma_f64 v[215:216], v[215:216], v[217:218], v[215:216]
	v_fma_f64 v[217:218], -v[211:212], v[215:216], 1.0
	v_fma_f64 v[215:216], v[215:216], v[217:218], v[215:216]
	v_div_scale_f64 v[217:218], vcc_lo, 1.0, v[209:210], 1.0
	v_mul_f64 v[219:220], v[217:218], v[215:216]
	v_fma_f64 v[211:212], -v[211:212], v[219:220], v[217:218]
	v_div_fmas_f64 v[211:212], v[211:212], v[215:216], v[219:220]
	v_div_fixup_f64 v[215:216], v[211:212], v[209:210], 1.0
                                        ; implicit-def: $vgpr209_vgpr210
	v_mul_f64 v[213:214], v[213:214], v[215:216]
	v_xor_b32_e32 v216, 0x80000000, v216
.LBB105_257:
	s_andn2_saveexec_b32 s1, s1
	s_cbranch_execz .LBB105_259
; %bb.258:
	v_div_scale_f64 v[213:214], null, v[209:210], v[209:210], v[211:212]
	v_div_scale_f64 v[219:220], vcc_lo, v[211:212], v[209:210], v[211:212]
	v_rcp_f64_e32 v[215:216], v[213:214]
	v_fma_f64 v[217:218], -v[213:214], v[215:216], 1.0
	v_fma_f64 v[215:216], v[215:216], v[217:218], v[215:216]
	v_fma_f64 v[217:218], -v[213:214], v[215:216], 1.0
	v_fma_f64 v[215:216], v[215:216], v[217:218], v[215:216]
	v_mul_f64 v[217:218], v[219:220], v[215:216]
	v_fma_f64 v[213:214], -v[213:214], v[217:218], v[219:220]
	v_div_fmas_f64 v[213:214], v[213:214], v[215:216], v[217:218]
	v_div_fixup_f64 v[215:216], v[213:214], v[209:210], v[211:212]
	v_fma_f64 v[209:210], v[211:212], v[215:216], v[209:210]
	v_div_scale_f64 v[211:212], null, v[209:210], v[209:210], 1.0
	v_rcp_f64_e32 v[213:214], v[211:212]
	v_fma_f64 v[217:218], -v[211:212], v[213:214], 1.0
	v_fma_f64 v[213:214], v[213:214], v[217:218], v[213:214]
	v_fma_f64 v[217:218], -v[211:212], v[213:214], 1.0
	v_fma_f64 v[213:214], v[213:214], v[217:218], v[213:214]
	v_div_scale_f64 v[217:218], vcc_lo, 1.0, v[209:210], 1.0
	v_mul_f64 v[219:220], v[217:218], v[213:214]
	v_fma_f64 v[211:212], -v[211:212], v[219:220], v[217:218]
	v_div_fmas_f64 v[211:212], v[211:212], v[213:214], v[219:220]
	v_div_fixup_f64 v[213:214], v[211:212], v[209:210], 1.0
	v_mul_f64 v[215:216], v[215:216], -v[213:214]
.LBB105_259:
	s_or_b32 exec_lo, exec_lo, s1
	ds_write2_b64 v255, v[213:214], v[215:216] offset1:1
.LBB105_260:
	s_or_b32 exec_lo, exec_lo, s2
	s_waitcnt lgkmcnt(0)
	s_barrier
	buffer_gl0_inv
	ds_read2_b64 v[183:186], v255 offset1:1
	s_mov_b32 s1, exec_lo
	s_waitcnt lgkmcnt(0)
	buffer_store_dword v183, off, s[16:19], 0 offset:840 ; 4-byte Folded Spill
	buffer_store_dword v184, off, s[16:19], 0 offset:844 ; 4-byte Folded Spill
	;; [unrolled: 1-line block ×4, first 2 shown]
	v_cmpx_lt_u32_e32 28, v0
	s_cbranch_execz .LBB105_262
; %bb.261:
	s_clause 0x3
	buffer_load_dword v183, off, s[16:19], 0 offset:840
	buffer_load_dword v184, off, s[16:19], 0 offset:844
	;; [unrolled: 1-line block ×4, first 2 shown]
	ds_read2_b64 v[211:214], v253 offset0:58 offset1:59
	s_waitcnt vmcnt(0)
	v_mul_f64 v[209:210], v[185:186], v[99:100]
	v_mul_f64 v[99:100], v[183:184], v[99:100]
	v_fma_f64 v[209:210], v[183:184], v[97:98], -v[209:210]
	v_fma_f64 v[99:100], v[185:186], v[97:98], v[99:100]
	s_waitcnt lgkmcnt(0)
	v_mul_f64 v[97:98], v[213:214], v[99:100]
	v_fma_f64 v[97:98], v[211:212], v[209:210], -v[97:98]
	v_mul_f64 v[211:212], v[211:212], v[99:100]
	v_add_f64 v[93:94], v[93:94], -v[97:98]
	v_fma_f64 v[211:212], v[213:214], v[209:210], v[211:212]
	v_add_f64 v[95:96], v[95:96], -v[211:212]
	ds_read2_b64 v[211:214], v253 offset0:60 offset1:61
	s_waitcnt lgkmcnt(0)
	v_mul_f64 v[97:98], v[213:214], v[99:100]
	v_fma_f64 v[97:98], v[211:212], v[209:210], -v[97:98]
	v_mul_f64 v[211:212], v[211:212], v[99:100]
	v_add_f64 v[89:90], v[89:90], -v[97:98]
	v_fma_f64 v[211:212], v[213:214], v[209:210], v[211:212]
	v_add_f64 v[91:92], v[91:92], -v[211:212]
	ds_read2_b64 v[211:214], v253 offset0:62 offset1:63
	;; [unrolled: 8-line block ×23, first 2 shown]
	s_waitcnt lgkmcnt(0)
	v_mul_f64 v[97:98], v[213:214], v[99:100]
	v_fma_f64 v[97:98], v[211:212], v[209:210], -v[97:98]
	v_mul_f64 v[211:212], v[211:212], v[99:100]
	v_add_f64 v[1:2], v[1:2], -v[97:98]
	v_fma_f64 v[211:212], v[213:214], v[209:210], v[211:212]
	v_mov_b32_e32 v97, v209
	v_mov_b32_e32 v98, v210
	v_add_f64 v[3:4], v[3:4], -v[211:212]
.LBB105_262:
	s_or_b32 exec_lo, exec_lo, s1
	s_mov_b32 s2, exec_lo
	s_waitcnt_vscnt null, 0x0
	s_barrier
	buffer_gl0_inv
	v_cmpx_eq_u32_e32 29, v0
	s_cbranch_execz .LBB105_269
; %bb.263:
	ds_write2_b64 v255, v[93:94], v[95:96] offset1:1
	ds_write2_b64 v253, v[89:90], v[91:92] offset0:60 offset1:61
	ds_write2_b64 v253, v[85:86], v[87:88] offset0:62 offset1:63
	;; [unrolled: 1-line block ×23, first 2 shown]
	ds_read2_b64 v[209:212], v255 offset1:1
	s_waitcnt lgkmcnt(0)
	v_cmp_neq_f64_e32 vcc_lo, 0, v[209:210]
	v_cmp_neq_f64_e64 s1, 0, v[211:212]
	s_or_b32 s1, vcc_lo, s1
	s_and_b32 exec_lo, exec_lo, s1
	s_cbranch_execz .LBB105_269
; %bb.264:
	v_cmp_ngt_f64_e64 s1, |v[209:210]|, |v[211:212]|
                                        ; implicit-def: $vgpr213_vgpr214
	s_and_saveexec_b32 s3, s1
	s_xor_b32 s1, exec_lo, s3
                                        ; implicit-def: $vgpr215_vgpr216
	s_cbranch_execz .LBB105_266
; %bb.265:
	v_div_scale_f64 v[213:214], null, v[211:212], v[211:212], v[209:210]
	v_div_scale_f64 v[219:220], vcc_lo, v[209:210], v[211:212], v[209:210]
	v_rcp_f64_e32 v[215:216], v[213:214]
	v_fma_f64 v[217:218], -v[213:214], v[215:216], 1.0
	v_fma_f64 v[215:216], v[215:216], v[217:218], v[215:216]
	v_fma_f64 v[217:218], -v[213:214], v[215:216], 1.0
	v_fma_f64 v[215:216], v[215:216], v[217:218], v[215:216]
	v_mul_f64 v[217:218], v[219:220], v[215:216]
	v_fma_f64 v[213:214], -v[213:214], v[217:218], v[219:220]
	v_div_fmas_f64 v[213:214], v[213:214], v[215:216], v[217:218]
	v_div_fixup_f64 v[213:214], v[213:214], v[211:212], v[209:210]
	v_fma_f64 v[209:210], v[209:210], v[213:214], v[211:212]
	v_div_scale_f64 v[211:212], null, v[209:210], v[209:210], 1.0
	v_rcp_f64_e32 v[215:216], v[211:212]
	v_fma_f64 v[217:218], -v[211:212], v[215:216], 1.0
	v_fma_f64 v[215:216], v[215:216], v[217:218], v[215:216]
	v_fma_f64 v[217:218], -v[211:212], v[215:216], 1.0
	v_fma_f64 v[215:216], v[215:216], v[217:218], v[215:216]
	v_div_scale_f64 v[217:218], vcc_lo, 1.0, v[209:210], 1.0
	v_mul_f64 v[219:220], v[217:218], v[215:216]
	v_fma_f64 v[211:212], -v[211:212], v[219:220], v[217:218]
	v_div_fmas_f64 v[211:212], v[211:212], v[215:216], v[219:220]
	v_div_fixup_f64 v[215:216], v[211:212], v[209:210], 1.0
                                        ; implicit-def: $vgpr209_vgpr210
	v_mul_f64 v[213:214], v[213:214], v[215:216]
	v_xor_b32_e32 v216, 0x80000000, v216
.LBB105_266:
	s_andn2_saveexec_b32 s1, s1
	s_cbranch_execz .LBB105_268
; %bb.267:
	v_div_scale_f64 v[213:214], null, v[209:210], v[209:210], v[211:212]
	v_div_scale_f64 v[219:220], vcc_lo, v[211:212], v[209:210], v[211:212]
	v_rcp_f64_e32 v[215:216], v[213:214]
	v_fma_f64 v[217:218], -v[213:214], v[215:216], 1.0
	v_fma_f64 v[215:216], v[215:216], v[217:218], v[215:216]
	v_fma_f64 v[217:218], -v[213:214], v[215:216], 1.0
	v_fma_f64 v[215:216], v[215:216], v[217:218], v[215:216]
	v_mul_f64 v[217:218], v[219:220], v[215:216]
	v_fma_f64 v[213:214], -v[213:214], v[217:218], v[219:220]
	v_div_fmas_f64 v[213:214], v[213:214], v[215:216], v[217:218]
	v_div_fixup_f64 v[215:216], v[213:214], v[209:210], v[211:212]
	v_fma_f64 v[209:210], v[211:212], v[215:216], v[209:210]
	v_div_scale_f64 v[211:212], null, v[209:210], v[209:210], 1.0
	v_rcp_f64_e32 v[213:214], v[211:212]
	v_fma_f64 v[217:218], -v[211:212], v[213:214], 1.0
	v_fma_f64 v[213:214], v[213:214], v[217:218], v[213:214]
	v_fma_f64 v[217:218], -v[211:212], v[213:214], 1.0
	v_fma_f64 v[213:214], v[213:214], v[217:218], v[213:214]
	v_div_scale_f64 v[217:218], vcc_lo, 1.0, v[209:210], 1.0
	v_mul_f64 v[219:220], v[217:218], v[213:214]
	v_fma_f64 v[211:212], -v[211:212], v[219:220], v[217:218]
	v_div_fmas_f64 v[211:212], v[211:212], v[213:214], v[219:220]
	v_div_fixup_f64 v[213:214], v[211:212], v[209:210], 1.0
	v_mul_f64 v[215:216], v[215:216], -v[213:214]
.LBB105_268:
	s_or_b32 exec_lo, exec_lo, s1
	ds_write2_b64 v255, v[213:214], v[215:216] offset1:1
.LBB105_269:
	s_or_b32 exec_lo, exec_lo, s2
	s_waitcnt lgkmcnt(0)
	s_barrier
	buffer_gl0_inv
	ds_read2_b64 v[183:186], v255 offset1:1
	s_mov_b32 s1, exec_lo
	s_waitcnt lgkmcnt(0)
	buffer_store_dword v183, off, s[16:19], 0 offset:856 ; 4-byte Folded Spill
	buffer_store_dword v184, off, s[16:19], 0 offset:860 ; 4-byte Folded Spill
	buffer_store_dword v185, off, s[16:19], 0 offset:864 ; 4-byte Folded Spill
	buffer_store_dword v186, off, s[16:19], 0 offset:868 ; 4-byte Folded Spill
	v_cmpx_lt_u32_e32 29, v0
	s_cbranch_execz .LBB105_271
; %bb.270:
	s_clause 0x3
	buffer_load_dword v183, off, s[16:19], 0 offset:856
	buffer_load_dword v184, off, s[16:19], 0 offset:860
	;; [unrolled: 1-line block ×4, first 2 shown]
	ds_read2_b64 v[211:214], v253 offset0:60 offset1:61
	s_waitcnt vmcnt(0)
	v_mul_f64 v[209:210], v[185:186], v[95:96]
	v_mul_f64 v[95:96], v[183:184], v[95:96]
	v_fma_f64 v[209:210], v[183:184], v[93:94], -v[209:210]
	v_fma_f64 v[95:96], v[185:186], v[93:94], v[95:96]
	s_waitcnt lgkmcnt(0)
	v_mul_f64 v[93:94], v[213:214], v[95:96]
	v_fma_f64 v[93:94], v[211:212], v[209:210], -v[93:94]
	v_mul_f64 v[211:212], v[211:212], v[95:96]
	v_add_f64 v[89:90], v[89:90], -v[93:94]
	v_fma_f64 v[211:212], v[213:214], v[209:210], v[211:212]
	v_add_f64 v[91:92], v[91:92], -v[211:212]
	ds_read2_b64 v[211:214], v253 offset0:62 offset1:63
	s_waitcnt lgkmcnt(0)
	v_mul_f64 v[93:94], v[213:214], v[95:96]
	v_fma_f64 v[93:94], v[211:212], v[209:210], -v[93:94]
	v_mul_f64 v[211:212], v[211:212], v[95:96]
	v_add_f64 v[85:86], v[85:86], -v[93:94]
	v_fma_f64 v[211:212], v[213:214], v[209:210], v[211:212]
	v_add_f64 v[87:88], v[87:88], -v[211:212]
	ds_read2_b64 v[211:214], v253 offset0:64 offset1:65
	;; [unrolled: 8-line block ×22, first 2 shown]
	s_waitcnt lgkmcnt(0)
	v_mul_f64 v[93:94], v[213:214], v[95:96]
	v_fma_f64 v[93:94], v[211:212], v[209:210], -v[93:94]
	v_mul_f64 v[211:212], v[211:212], v[95:96]
	v_add_f64 v[1:2], v[1:2], -v[93:94]
	v_fma_f64 v[211:212], v[213:214], v[209:210], v[211:212]
	v_mov_b32_e32 v93, v209
	v_mov_b32_e32 v94, v210
	v_add_f64 v[3:4], v[3:4], -v[211:212]
.LBB105_271:
	s_or_b32 exec_lo, exec_lo, s1
	s_mov_b32 s2, exec_lo
	s_waitcnt_vscnt null, 0x0
	s_barrier
	buffer_gl0_inv
	v_cmpx_eq_u32_e32 30, v0
	s_cbranch_execz .LBB105_278
; %bb.272:
	ds_write2_b64 v255, v[89:90], v[91:92] offset1:1
	ds_write2_b64 v253, v[85:86], v[87:88] offset0:62 offset1:63
	ds_write2_b64 v253, v[81:82], v[83:84] offset0:64 offset1:65
	ds_write2_b64 v253, v[77:78], v[79:80] offset0:66 offset1:67
	ds_write2_b64 v253, v[73:74], v[75:76] offset0:68 offset1:69
	ds_write2_b64 v253, v[69:70], v[71:72] offset0:70 offset1:71
	ds_write2_b64 v253, v[65:66], v[67:68] offset0:72 offset1:73
	ds_write2_b64 v253, v[61:62], v[63:64] offset0:74 offset1:75
	ds_write2_b64 v253, v[57:58], v[59:60] offset0:76 offset1:77
	ds_write2_b64 v253, v[53:54], v[55:56] offset0:78 offset1:79
	ds_write2_b64 v253, v[49:50], v[51:52] offset0:80 offset1:81
	ds_write2_b64 v253, v[45:46], v[47:48] offset0:82 offset1:83
	ds_write2_b64 v253, v[41:42], v[43:44] offset0:84 offset1:85
	ds_write2_b64 v253, v[37:38], v[39:40] offset0:86 offset1:87
	ds_write2_b64 v253, v[33:34], v[35:36] offset0:88 offset1:89
	ds_write2_b64 v253, v[29:30], v[31:32] offset0:90 offset1:91
	ds_write2_b64 v253, v[25:26], v[27:28] offset0:92 offset1:93
	ds_write2_b64 v253, v[21:22], v[23:24] offset0:94 offset1:95
	ds_write2_b64 v253, v[17:18], v[19:20] offset0:96 offset1:97
	ds_write2_b64 v253, v[13:14], v[15:16] offset0:98 offset1:99
	ds_write2_b64 v253, v[9:10], v[11:12] offset0:100 offset1:101
	ds_write2_b64 v253, v[5:6], v[7:8] offset0:102 offset1:103
	ds_write2_b64 v253, v[1:2], v[3:4] offset0:104 offset1:105
	ds_read2_b64 v[209:212], v255 offset1:1
	s_waitcnt lgkmcnt(0)
	v_cmp_neq_f64_e32 vcc_lo, 0, v[209:210]
	v_cmp_neq_f64_e64 s1, 0, v[211:212]
	s_or_b32 s1, vcc_lo, s1
	s_and_b32 exec_lo, exec_lo, s1
	s_cbranch_execz .LBB105_278
; %bb.273:
	v_cmp_ngt_f64_e64 s1, |v[209:210]|, |v[211:212]|
                                        ; implicit-def: $vgpr213_vgpr214
	s_and_saveexec_b32 s3, s1
	s_xor_b32 s1, exec_lo, s3
                                        ; implicit-def: $vgpr215_vgpr216
	s_cbranch_execz .LBB105_275
; %bb.274:
	v_div_scale_f64 v[213:214], null, v[211:212], v[211:212], v[209:210]
	v_div_scale_f64 v[219:220], vcc_lo, v[209:210], v[211:212], v[209:210]
	v_rcp_f64_e32 v[215:216], v[213:214]
	v_fma_f64 v[217:218], -v[213:214], v[215:216], 1.0
	v_fma_f64 v[215:216], v[215:216], v[217:218], v[215:216]
	v_fma_f64 v[217:218], -v[213:214], v[215:216], 1.0
	v_fma_f64 v[215:216], v[215:216], v[217:218], v[215:216]
	v_mul_f64 v[217:218], v[219:220], v[215:216]
	v_fma_f64 v[213:214], -v[213:214], v[217:218], v[219:220]
	v_div_fmas_f64 v[213:214], v[213:214], v[215:216], v[217:218]
	v_div_fixup_f64 v[213:214], v[213:214], v[211:212], v[209:210]
	v_fma_f64 v[209:210], v[209:210], v[213:214], v[211:212]
	v_div_scale_f64 v[211:212], null, v[209:210], v[209:210], 1.0
	v_rcp_f64_e32 v[215:216], v[211:212]
	v_fma_f64 v[217:218], -v[211:212], v[215:216], 1.0
	v_fma_f64 v[215:216], v[215:216], v[217:218], v[215:216]
	v_fma_f64 v[217:218], -v[211:212], v[215:216], 1.0
	v_fma_f64 v[215:216], v[215:216], v[217:218], v[215:216]
	v_div_scale_f64 v[217:218], vcc_lo, 1.0, v[209:210], 1.0
	v_mul_f64 v[219:220], v[217:218], v[215:216]
	v_fma_f64 v[211:212], -v[211:212], v[219:220], v[217:218]
	v_div_fmas_f64 v[211:212], v[211:212], v[215:216], v[219:220]
	v_div_fixup_f64 v[215:216], v[211:212], v[209:210], 1.0
                                        ; implicit-def: $vgpr209_vgpr210
	v_mul_f64 v[213:214], v[213:214], v[215:216]
	v_xor_b32_e32 v216, 0x80000000, v216
.LBB105_275:
	s_andn2_saveexec_b32 s1, s1
	s_cbranch_execz .LBB105_277
; %bb.276:
	v_div_scale_f64 v[213:214], null, v[209:210], v[209:210], v[211:212]
	v_div_scale_f64 v[219:220], vcc_lo, v[211:212], v[209:210], v[211:212]
	v_rcp_f64_e32 v[215:216], v[213:214]
	v_fma_f64 v[217:218], -v[213:214], v[215:216], 1.0
	v_fma_f64 v[215:216], v[215:216], v[217:218], v[215:216]
	v_fma_f64 v[217:218], -v[213:214], v[215:216], 1.0
	v_fma_f64 v[215:216], v[215:216], v[217:218], v[215:216]
	v_mul_f64 v[217:218], v[219:220], v[215:216]
	v_fma_f64 v[213:214], -v[213:214], v[217:218], v[219:220]
	v_div_fmas_f64 v[213:214], v[213:214], v[215:216], v[217:218]
	v_div_fixup_f64 v[215:216], v[213:214], v[209:210], v[211:212]
	v_fma_f64 v[209:210], v[211:212], v[215:216], v[209:210]
	v_div_scale_f64 v[211:212], null, v[209:210], v[209:210], 1.0
	v_rcp_f64_e32 v[213:214], v[211:212]
	v_fma_f64 v[217:218], -v[211:212], v[213:214], 1.0
	v_fma_f64 v[213:214], v[213:214], v[217:218], v[213:214]
	v_fma_f64 v[217:218], -v[211:212], v[213:214], 1.0
	v_fma_f64 v[213:214], v[213:214], v[217:218], v[213:214]
	v_div_scale_f64 v[217:218], vcc_lo, 1.0, v[209:210], 1.0
	v_mul_f64 v[219:220], v[217:218], v[213:214]
	v_fma_f64 v[211:212], -v[211:212], v[219:220], v[217:218]
	v_div_fmas_f64 v[211:212], v[211:212], v[213:214], v[219:220]
	v_div_fixup_f64 v[213:214], v[211:212], v[209:210], 1.0
	v_mul_f64 v[215:216], v[215:216], -v[213:214]
.LBB105_277:
	s_or_b32 exec_lo, exec_lo, s1
	ds_write2_b64 v255, v[213:214], v[215:216] offset1:1
.LBB105_278:
	s_or_b32 exec_lo, exec_lo, s2
	s_waitcnt lgkmcnt(0)
	s_barrier
	buffer_gl0_inv
	ds_read2_b64 v[183:186], v255 offset1:1
	s_mov_b32 s1, exec_lo
	s_waitcnt lgkmcnt(0)
	buffer_store_dword v183, off, s[16:19], 0 offset:872 ; 4-byte Folded Spill
	buffer_store_dword v184, off, s[16:19], 0 offset:876 ; 4-byte Folded Spill
	;; [unrolled: 1-line block ×4, first 2 shown]
	v_cmpx_lt_u32_e32 30, v0
	s_cbranch_execz .LBB105_280
; %bb.279:
	s_clause 0x3
	buffer_load_dword v183, off, s[16:19], 0 offset:872
	buffer_load_dword v184, off, s[16:19], 0 offset:876
	;; [unrolled: 1-line block ×4, first 2 shown]
	ds_read2_b64 v[211:214], v253 offset0:62 offset1:63
	s_waitcnt vmcnt(0)
	v_mul_f64 v[209:210], v[185:186], v[91:92]
	v_mul_f64 v[91:92], v[183:184], v[91:92]
	v_fma_f64 v[209:210], v[183:184], v[89:90], -v[209:210]
	v_fma_f64 v[91:92], v[185:186], v[89:90], v[91:92]
	s_waitcnt lgkmcnt(0)
	v_mul_f64 v[89:90], v[213:214], v[91:92]
	v_fma_f64 v[89:90], v[211:212], v[209:210], -v[89:90]
	v_mul_f64 v[211:212], v[211:212], v[91:92]
	v_add_f64 v[85:86], v[85:86], -v[89:90]
	v_fma_f64 v[211:212], v[213:214], v[209:210], v[211:212]
	v_add_f64 v[87:88], v[87:88], -v[211:212]
	ds_read2_b64 v[211:214], v253 offset0:64 offset1:65
	s_waitcnt lgkmcnt(0)
	v_mul_f64 v[89:90], v[213:214], v[91:92]
	v_fma_f64 v[89:90], v[211:212], v[209:210], -v[89:90]
	v_mul_f64 v[211:212], v[211:212], v[91:92]
	v_add_f64 v[81:82], v[81:82], -v[89:90]
	v_fma_f64 v[211:212], v[213:214], v[209:210], v[211:212]
	v_add_f64 v[83:84], v[83:84], -v[211:212]
	ds_read2_b64 v[211:214], v253 offset0:66 offset1:67
	;; [unrolled: 8-line block ×21, first 2 shown]
	s_waitcnt lgkmcnt(0)
	v_mul_f64 v[89:90], v[213:214], v[91:92]
	v_fma_f64 v[89:90], v[211:212], v[209:210], -v[89:90]
	v_mul_f64 v[211:212], v[211:212], v[91:92]
	v_add_f64 v[1:2], v[1:2], -v[89:90]
	v_fma_f64 v[211:212], v[213:214], v[209:210], v[211:212]
	v_mov_b32_e32 v89, v209
	v_mov_b32_e32 v90, v210
	v_add_f64 v[3:4], v[3:4], -v[211:212]
.LBB105_280:
	s_or_b32 exec_lo, exec_lo, s1
	s_mov_b32 s2, exec_lo
	s_waitcnt_vscnt null, 0x0
	s_barrier
	buffer_gl0_inv
	v_cmpx_eq_u32_e32 31, v0
	s_cbranch_execz .LBB105_287
; %bb.281:
	ds_write2_b64 v255, v[85:86], v[87:88] offset1:1
	ds_write2_b64 v253, v[81:82], v[83:84] offset0:64 offset1:65
	ds_write2_b64 v253, v[77:78], v[79:80] offset0:66 offset1:67
	;; [unrolled: 1-line block ×21, first 2 shown]
	ds_read2_b64 v[209:212], v255 offset1:1
	s_waitcnt lgkmcnt(0)
	v_cmp_neq_f64_e32 vcc_lo, 0, v[209:210]
	v_cmp_neq_f64_e64 s1, 0, v[211:212]
	s_or_b32 s1, vcc_lo, s1
	s_and_b32 exec_lo, exec_lo, s1
	s_cbranch_execz .LBB105_287
; %bb.282:
	v_cmp_ngt_f64_e64 s1, |v[209:210]|, |v[211:212]|
                                        ; implicit-def: $vgpr213_vgpr214
	s_and_saveexec_b32 s3, s1
	s_xor_b32 s1, exec_lo, s3
                                        ; implicit-def: $vgpr215_vgpr216
	s_cbranch_execz .LBB105_284
; %bb.283:
	v_div_scale_f64 v[213:214], null, v[211:212], v[211:212], v[209:210]
	v_div_scale_f64 v[219:220], vcc_lo, v[209:210], v[211:212], v[209:210]
	v_rcp_f64_e32 v[215:216], v[213:214]
	v_fma_f64 v[217:218], -v[213:214], v[215:216], 1.0
	v_fma_f64 v[215:216], v[215:216], v[217:218], v[215:216]
	v_fma_f64 v[217:218], -v[213:214], v[215:216], 1.0
	v_fma_f64 v[215:216], v[215:216], v[217:218], v[215:216]
	v_mul_f64 v[217:218], v[219:220], v[215:216]
	v_fma_f64 v[213:214], -v[213:214], v[217:218], v[219:220]
	v_div_fmas_f64 v[213:214], v[213:214], v[215:216], v[217:218]
	v_div_fixup_f64 v[213:214], v[213:214], v[211:212], v[209:210]
	v_fma_f64 v[209:210], v[209:210], v[213:214], v[211:212]
	v_div_scale_f64 v[211:212], null, v[209:210], v[209:210], 1.0
	v_rcp_f64_e32 v[215:216], v[211:212]
	v_fma_f64 v[217:218], -v[211:212], v[215:216], 1.0
	v_fma_f64 v[215:216], v[215:216], v[217:218], v[215:216]
	v_fma_f64 v[217:218], -v[211:212], v[215:216], 1.0
	v_fma_f64 v[215:216], v[215:216], v[217:218], v[215:216]
	v_div_scale_f64 v[217:218], vcc_lo, 1.0, v[209:210], 1.0
	v_mul_f64 v[219:220], v[217:218], v[215:216]
	v_fma_f64 v[211:212], -v[211:212], v[219:220], v[217:218]
	v_div_fmas_f64 v[211:212], v[211:212], v[215:216], v[219:220]
	v_div_fixup_f64 v[215:216], v[211:212], v[209:210], 1.0
                                        ; implicit-def: $vgpr209_vgpr210
	v_mul_f64 v[213:214], v[213:214], v[215:216]
	v_xor_b32_e32 v216, 0x80000000, v216
.LBB105_284:
	s_andn2_saveexec_b32 s1, s1
	s_cbranch_execz .LBB105_286
; %bb.285:
	v_div_scale_f64 v[213:214], null, v[209:210], v[209:210], v[211:212]
	v_div_scale_f64 v[219:220], vcc_lo, v[211:212], v[209:210], v[211:212]
	v_rcp_f64_e32 v[215:216], v[213:214]
	v_fma_f64 v[217:218], -v[213:214], v[215:216], 1.0
	v_fma_f64 v[215:216], v[215:216], v[217:218], v[215:216]
	v_fma_f64 v[217:218], -v[213:214], v[215:216], 1.0
	v_fma_f64 v[215:216], v[215:216], v[217:218], v[215:216]
	v_mul_f64 v[217:218], v[219:220], v[215:216]
	v_fma_f64 v[213:214], -v[213:214], v[217:218], v[219:220]
	v_div_fmas_f64 v[213:214], v[213:214], v[215:216], v[217:218]
	v_div_fixup_f64 v[215:216], v[213:214], v[209:210], v[211:212]
	v_fma_f64 v[209:210], v[211:212], v[215:216], v[209:210]
	v_div_scale_f64 v[211:212], null, v[209:210], v[209:210], 1.0
	v_rcp_f64_e32 v[213:214], v[211:212]
	v_fma_f64 v[217:218], -v[211:212], v[213:214], 1.0
	v_fma_f64 v[213:214], v[213:214], v[217:218], v[213:214]
	v_fma_f64 v[217:218], -v[211:212], v[213:214], 1.0
	v_fma_f64 v[213:214], v[213:214], v[217:218], v[213:214]
	v_div_scale_f64 v[217:218], vcc_lo, 1.0, v[209:210], 1.0
	v_mul_f64 v[219:220], v[217:218], v[213:214]
	v_fma_f64 v[211:212], -v[211:212], v[219:220], v[217:218]
	v_div_fmas_f64 v[211:212], v[211:212], v[213:214], v[219:220]
	v_div_fixup_f64 v[213:214], v[211:212], v[209:210], 1.0
	v_mul_f64 v[215:216], v[215:216], -v[213:214]
.LBB105_286:
	s_or_b32 exec_lo, exec_lo, s1
	ds_write2_b64 v255, v[213:214], v[215:216] offset1:1
.LBB105_287:
	s_or_b32 exec_lo, exec_lo, s2
	s_waitcnt lgkmcnt(0)
	s_barrier
	buffer_gl0_inv
	ds_read2_b64 v[183:186], v255 offset1:1
	s_mov_b32 s1, exec_lo
	s_waitcnt lgkmcnt(0)
	buffer_store_dword v183, off, s[16:19], 0 offset:888 ; 4-byte Folded Spill
	buffer_store_dword v184, off, s[16:19], 0 offset:892 ; 4-byte Folded Spill
	;; [unrolled: 1-line block ×4, first 2 shown]
	v_cmpx_lt_u32_e32 31, v0
	s_cbranch_execz .LBB105_289
; %bb.288:
	s_clause 0x3
	buffer_load_dword v183, off, s[16:19], 0 offset:888
	buffer_load_dword v184, off, s[16:19], 0 offset:892
	;; [unrolled: 1-line block ×4, first 2 shown]
	ds_read2_b64 v[211:214], v253 offset0:64 offset1:65
	s_waitcnt vmcnt(0)
	v_mul_f64 v[209:210], v[185:186], v[87:88]
	v_mul_f64 v[87:88], v[183:184], v[87:88]
	v_fma_f64 v[209:210], v[183:184], v[85:86], -v[209:210]
	v_fma_f64 v[87:88], v[185:186], v[85:86], v[87:88]
	s_waitcnt lgkmcnt(0)
	v_mul_f64 v[85:86], v[213:214], v[87:88]
	v_fma_f64 v[85:86], v[211:212], v[209:210], -v[85:86]
	v_mul_f64 v[211:212], v[211:212], v[87:88]
	v_add_f64 v[81:82], v[81:82], -v[85:86]
	v_fma_f64 v[211:212], v[213:214], v[209:210], v[211:212]
	v_add_f64 v[83:84], v[83:84], -v[211:212]
	ds_read2_b64 v[211:214], v253 offset0:66 offset1:67
	s_waitcnt lgkmcnt(0)
	v_mul_f64 v[85:86], v[213:214], v[87:88]
	v_fma_f64 v[85:86], v[211:212], v[209:210], -v[85:86]
	v_mul_f64 v[211:212], v[211:212], v[87:88]
	v_add_f64 v[77:78], v[77:78], -v[85:86]
	v_fma_f64 v[211:212], v[213:214], v[209:210], v[211:212]
	v_add_f64 v[79:80], v[79:80], -v[211:212]
	ds_read2_b64 v[211:214], v253 offset0:68 offset1:69
	;; [unrolled: 8-line block ×20, first 2 shown]
	s_waitcnt lgkmcnt(0)
	v_mul_f64 v[85:86], v[213:214], v[87:88]
	v_fma_f64 v[85:86], v[211:212], v[209:210], -v[85:86]
	v_mul_f64 v[211:212], v[211:212], v[87:88]
	v_add_f64 v[1:2], v[1:2], -v[85:86]
	v_fma_f64 v[211:212], v[213:214], v[209:210], v[211:212]
	v_mov_b32_e32 v85, v209
	v_mov_b32_e32 v86, v210
	v_add_f64 v[3:4], v[3:4], -v[211:212]
.LBB105_289:
	s_or_b32 exec_lo, exec_lo, s1
	s_mov_b32 s2, exec_lo
	s_waitcnt_vscnt null, 0x0
	s_barrier
	buffer_gl0_inv
	v_cmpx_eq_u32_e32 32, v0
	s_cbranch_execz .LBB105_296
; %bb.290:
	ds_write2_b64 v255, v[81:82], v[83:84] offset1:1
	ds_write2_b64 v253, v[77:78], v[79:80] offset0:66 offset1:67
	ds_write2_b64 v253, v[73:74], v[75:76] offset0:68 offset1:69
	;; [unrolled: 1-line block ×20, first 2 shown]
	ds_read2_b64 v[209:212], v255 offset1:1
	s_waitcnt lgkmcnt(0)
	v_cmp_neq_f64_e32 vcc_lo, 0, v[209:210]
	v_cmp_neq_f64_e64 s1, 0, v[211:212]
	s_or_b32 s1, vcc_lo, s1
	s_and_b32 exec_lo, exec_lo, s1
	s_cbranch_execz .LBB105_296
; %bb.291:
	v_cmp_ngt_f64_e64 s1, |v[209:210]|, |v[211:212]|
                                        ; implicit-def: $vgpr213_vgpr214
	s_and_saveexec_b32 s3, s1
	s_xor_b32 s1, exec_lo, s3
                                        ; implicit-def: $vgpr215_vgpr216
	s_cbranch_execz .LBB105_293
; %bb.292:
	v_div_scale_f64 v[213:214], null, v[211:212], v[211:212], v[209:210]
	v_div_scale_f64 v[219:220], vcc_lo, v[209:210], v[211:212], v[209:210]
	v_rcp_f64_e32 v[215:216], v[213:214]
	v_fma_f64 v[217:218], -v[213:214], v[215:216], 1.0
	v_fma_f64 v[215:216], v[215:216], v[217:218], v[215:216]
	v_fma_f64 v[217:218], -v[213:214], v[215:216], 1.0
	v_fma_f64 v[215:216], v[215:216], v[217:218], v[215:216]
	v_mul_f64 v[217:218], v[219:220], v[215:216]
	v_fma_f64 v[213:214], -v[213:214], v[217:218], v[219:220]
	v_div_fmas_f64 v[213:214], v[213:214], v[215:216], v[217:218]
	v_div_fixup_f64 v[213:214], v[213:214], v[211:212], v[209:210]
	v_fma_f64 v[209:210], v[209:210], v[213:214], v[211:212]
	v_div_scale_f64 v[211:212], null, v[209:210], v[209:210], 1.0
	v_rcp_f64_e32 v[215:216], v[211:212]
	v_fma_f64 v[217:218], -v[211:212], v[215:216], 1.0
	v_fma_f64 v[215:216], v[215:216], v[217:218], v[215:216]
	v_fma_f64 v[217:218], -v[211:212], v[215:216], 1.0
	v_fma_f64 v[215:216], v[215:216], v[217:218], v[215:216]
	v_div_scale_f64 v[217:218], vcc_lo, 1.0, v[209:210], 1.0
	v_mul_f64 v[219:220], v[217:218], v[215:216]
	v_fma_f64 v[211:212], -v[211:212], v[219:220], v[217:218]
	v_div_fmas_f64 v[211:212], v[211:212], v[215:216], v[219:220]
	v_div_fixup_f64 v[215:216], v[211:212], v[209:210], 1.0
                                        ; implicit-def: $vgpr209_vgpr210
	v_mul_f64 v[213:214], v[213:214], v[215:216]
	v_xor_b32_e32 v216, 0x80000000, v216
.LBB105_293:
	s_andn2_saveexec_b32 s1, s1
	s_cbranch_execz .LBB105_295
; %bb.294:
	v_div_scale_f64 v[213:214], null, v[209:210], v[209:210], v[211:212]
	v_div_scale_f64 v[219:220], vcc_lo, v[211:212], v[209:210], v[211:212]
	v_rcp_f64_e32 v[215:216], v[213:214]
	v_fma_f64 v[217:218], -v[213:214], v[215:216], 1.0
	v_fma_f64 v[215:216], v[215:216], v[217:218], v[215:216]
	v_fma_f64 v[217:218], -v[213:214], v[215:216], 1.0
	v_fma_f64 v[215:216], v[215:216], v[217:218], v[215:216]
	v_mul_f64 v[217:218], v[219:220], v[215:216]
	v_fma_f64 v[213:214], -v[213:214], v[217:218], v[219:220]
	v_div_fmas_f64 v[213:214], v[213:214], v[215:216], v[217:218]
	v_div_fixup_f64 v[215:216], v[213:214], v[209:210], v[211:212]
	v_fma_f64 v[209:210], v[211:212], v[215:216], v[209:210]
	v_div_scale_f64 v[211:212], null, v[209:210], v[209:210], 1.0
	v_rcp_f64_e32 v[213:214], v[211:212]
	v_fma_f64 v[217:218], -v[211:212], v[213:214], 1.0
	v_fma_f64 v[213:214], v[213:214], v[217:218], v[213:214]
	v_fma_f64 v[217:218], -v[211:212], v[213:214], 1.0
	v_fma_f64 v[213:214], v[213:214], v[217:218], v[213:214]
	v_div_scale_f64 v[217:218], vcc_lo, 1.0, v[209:210], 1.0
	v_mul_f64 v[219:220], v[217:218], v[213:214]
	v_fma_f64 v[211:212], -v[211:212], v[219:220], v[217:218]
	v_div_fmas_f64 v[211:212], v[211:212], v[213:214], v[219:220]
	v_div_fixup_f64 v[213:214], v[211:212], v[209:210], 1.0
	v_mul_f64 v[215:216], v[215:216], -v[213:214]
.LBB105_295:
	s_or_b32 exec_lo, exec_lo, s1
	ds_write2_b64 v255, v[213:214], v[215:216] offset1:1
.LBB105_296:
	s_or_b32 exec_lo, exec_lo, s2
	s_waitcnt lgkmcnt(0)
	s_barrier
	buffer_gl0_inv
	ds_read2_b64 v[183:186], v255 offset1:1
	s_mov_b32 s1, exec_lo
	s_waitcnt lgkmcnt(0)
	buffer_store_dword v183, off, s[16:19], 0 offset:904 ; 4-byte Folded Spill
	buffer_store_dword v184, off, s[16:19], 0 offset:908 ; 4-byte Folded Spill
	;; [unrolled: 1-line block ×4, first 2 shown]
	v_cmpx_lt_u32_e32 32, v0
	s_cbranch_execz .LBB105_298
; %bb.297:
	s_clause 0x3
	buffer_load_dword v183, off, s[16:19], 0 offset:904
	buffer_load_dword v184, off, s[16:19], 0 offset:908
	;; [unrolled: 1-line block ×4, first 2 shown]
	ds_read2_b64 v[211:214], v253 offset0:66 offset1:67
	s_waitcnt vmcnt(0)
	v_mul_f64 v[209:210], v[185:186], v[83:84]
	v_mul_f64 v[83:84], v[183:184], v[83:84]
	v_fma_f64 v[209:210], v[183:184], v[81:82], -v[209:210]
	v_fma_f64 v[83:84], v[185:186], v[81:82], v[83:84]
	s_waitcnt lgkmcnt(0)
	v_mul_f64 v[81:82], v[213:214], v[83:84]
	v_fma_f64 v[81:82], v[211:212], v[209:210], -v[81:82]
	v_mul_f64 v[211:212], v[211:212], v[83:84]
	v_add_f64 v[77:78], v[77:78], -v[81:82]
	v_fma_f64 v[211:212], v[213:214], v[209:210], v[211:212]
	v_add_f64 v[79:80], v[79:80], -v[211:212]
	ds_read2_b64 v[211:214], v253 offset0:68 offset1:69
	s_waitcnt lgkmcnt(0)
	v_mul_f64 v[81:82], v[213:214], v[83:84]
	v_fma_f64 v[81:82], v[211:212], v[209:210], -v[81:82]
	v_mul_f64 v[211:212], v[211:212], v[83:84]
	v_add_f64 v[73:74], v[73:74], -v[81:82]
	v_fma_f64 v[211:212], v[213:214], v[209:210], v[211:212]
	v_add_f64 v[75:76], v[75:76], -v[211:212]
	ds_read2_b64 v[211:214], v253 offset0:70 offset1:71
	;; [unrolled: 8-line block ×19, first 2 shown]
	s_waitcnt lgkmcnt(0)
	v_mul_f64 v[81:82], v[213:214], v[83:84]
	v_fma_f64 v[81:82], v[211:212], v[209:210], -v[81:82]
	v_mul_f64 v[211:212], v[211:212], v[83:84]
	v_add_f64 v[1:2], v[1:2], -v[81:82]
	v_fma_f64 v[211:212], v[213:214], v[209:210], v[211:212]
	v_mov_b32_e32 v81, v209
	v_mov_b32_e32 v82, v210
	v_add_f64 v[3:4], v[3:4], -v[211:212]
.LBB105_298:
	s_or_b32 exec_lo, exec_lo, s1
	s_mov_b32 s2, exec_lo
	s_waitcnt_vscnt null, 0x0
	s_barrier
	buffer_gl0_inv
	v_cmpx_eq_u32_e32 33, v0
	s_cbranch_execz .LBB105_305
; %bb.299:
	ds_write2_b64 v255, v[77:78], v[79:80] offset1:1
	ds_write2_b64 v253, v[73:74], v[75:76] offset0:68 offset1:69
	ds_write2_b64 v253, v[69:70], v[71:72] offset0:70 offset1:71
	;; [unrolled: 1-line block ×19, first 2 shown]
	ds_read2_b64 v[209:212], v255 offset1:1
	s_waitcnt lgkmcnt(0)
	v_cmp_neq_f64_e32 vcc_lo, 0, v[209:210]
	v_cmp_neq_f64_e64 s1, 0, v[211:212]
	s_or_b32 s1, vcc_lo, s1
	s_and_b32 exec_lo, exec_lo, s1
	s_cbranch_execz .LBB105_305
; %bb.300:
	v_cmp_ngt_f64_e64 s1, |v[209:210]|, |v[211:212]|
                                        ; implicit-def: $vgpr213_vgpr214
	s_and_saveexec_b32 s3, s1
	s_xor_b32 s1, exec_lo, s3
                                        ; implicit-def: $vgpr215_vgpr216
	s_cbranch_execz .LBB105_302
; %bb.301:
	v_div_scale_f64 v[213:214], null, v[211:212], v[211:212], v[209:210]
	v_div_scale_f64 v[219:220], vcc_lo, v[209:210], v[211:212], v[209:210]
	v_rcp_f64_e32 v[215:216], v[213:214]
	v_fma_f64 v[217:218], -v[213:214], v[215:216], 1.0
	v_fma_f64 v[215:216], v[215:216], v[217:218], v[215:216]
	v_fma_f64 v[217:218], -v[213:214], v[215:216], 1.0
	v_fma_f64 v[215:216], v[215:216], v[217:218], v[215:216]
	v_mul_f64 v[217:218], v[219:220], v[215:216]
	v_fma_f64 v[213:214], -v[213:214], v[217:218], v[219:220]
	v_div_fmas_f64 v[213:214], v[213:214], v[215:216], v[217:218]
	v_div_fixup_f64 v[213:214], v[213:214], v[211:212], v[209:210]
	v_fma_f64 v[209:210], v[209:210], v[213:214], v[211:212]
	v_div_scale_f64 v[211:212], null, v[209:210], v[209:210], 1.0
	v_rcp_f64_e32 v[215:216], v[211:212]
	v_fma_f64 v[217:218], -v[211:212], v[215:216], 1.0
	v_fma_f64 v[215:216], v[215:216], v[217:218], v[215:216]
	v_fma_f64 v[217:218], -v[211:212], v[215:216], 1.0
	v_fma_f64 v[215:216], v[215:216], v[217:218], v[215:216]
	v_div_scale_f64 v[217:218], vcc_lo, 1.0, v[209:210], 1.0
	v_mul_f64 v[219:220], v[217:218], v[215:216]
	v_fma_f64 v[211:212], -v[211:212], v[219:220], v[217:218]
	v_div_fmas_f64 v[211:212], v[211:212], v[215:216], v[219:220]
	v_div_fixup_f64 v[215:216], v[211:212], v[209:210], 1.0
                                        ; implicit-def: $vgpr209_vgpr210
	v_mul_f64 v[213:214], v[213:214], v[215:216]
	v_xor_b32_e32 v216, 0x80000000, v216
.LBB105_302:
	s_andn2_saveexec_b32 s1, s1
	s_cbranch_execz .LBB105_304
; %bb.303:
	v_div_scale_f64 v[213:214], null, v[209:210], v[209:210], v[211:212]
	v_div_scale_f64 v[219:220], vcc_lo, v[211:212], v[209:210], v[211:212]
	v_rcp_f64_e32 v[215:216], v[213:214]
	v_fma_f64 v[217:218], -v[213:214], v[215:216], 1.0
	v_fma_f64 v[215:216], v[215:216], v[217:218], v[215:216]
	v_fma_f64 v[217:218], -v[213:214], v[215:216], 1.0
	v_fma_f64 v[215:216], v[215:216], v[217:218], v[215:216]
	v_mul_f64 v[217:218], v[219:220], v[215:216]
	v_fma_f64 v[213:214], -v[213:214], v[217:218], v[219:220]
	v_div_fmas_f64 v[213:214], v[213:214], v[215:216], v[217:218]
	v_div_fixup_f64 v[215:216], v[213:214], v[209:210], v[211:212]
	v_fma_f64 v[209:210], v[211:212], v[215:216], v[209:210]
	v_div_scale_f64 v[211:212], null, v[209:210], v[209:210], 1.0
	v_rcp_f64_e32 v[213:214], v[211:212]
	v_fma_f64 v[217:218], -v[211:212], v[213:214], 1.0
	v_fma_f64 v[213:214], v[213:214], v[217:218], v[213:214]
	v_fma_f64 v[217:218], -v[211:212], v[213:214], 1.0
	v_fma_f64 v[213:214], v[213:214], v[217:218], v[213:214]
	v_div_scale_f64 v[217:218], vcc_lo, 1.0, v[209:210], 1.0
	v_mul_f64 v[219:220], v[217:218], v[213:214]
	v_fma_f64 v[211:212], -v[211:212], v[219:220], v[217:218]
	v_div_fmas_f64 v[211:212], v[211:212], v[213:214], v[219:220]
	v_div_fixup_f64 v[213:214], v[211:212], v[209:210], 1.0
	v_mul_f64 v[215:216], v[215:216], -v[213:214]
.LBB105_304:
	s_or_b32 exec_lo, exec_lo, s1
	ds_write2_b64 v255, v[213:214], v[215:216] offset1:1
.LBB105_305:
	s_or_b32 exec_lo, exec_lo, s2
	s_waitcnt lgkmcnt(0)
	s_barrier
	buffer_gl0_inv
	ds_read2_b64 v[183:186], v255 offset1:1
	s_mov_b32 s1, exec_lo
	s_waitcnt lgkmcnt(0)
	buffer_store_dword v183, off, s[16:19], 0 offset:920 ; 4-byte Folded Spill
	buffer_store_dword v184, off, s[16:19], 0 offset:924 ; 4-byte Folded Spill
	;; [unrolled: 1-line block ×4, first 2 shown]
	v_cmpx_lt_u32_e32 33, v0
	s_cbranch_execz .LBB105_307
; %bb.306:
	s_clause 0x3
	buffer_load_dword v183, off, s[16:19], 0 offset:920
	buffer_load_dword v184, off, s[16:19], 0 offset:924
	;; [unrolled: 1-line block ×4, first 2 shown]
	ds_read2_b64 v[211:214], v253 offset0:68 offset1:69
	s_waitcnt vmcnt(0)
	v_mul_f64 v[209:210], v[185:186], v[79:80]
	v_mul_f64 v[79:80], v[183:184], v[79:80]
	v_fma_f64 v[209:210], v[183:184], v[77:78], -v[209:210]
	v_fma_f64 v[79:80], v[185:186], v[77:78], v[79:80]
	s_waitcnt lgkmcnt(0)
	v_mul_f64 v[77:78], v[213:214], v[79:80]
	v_fma_f64 v[77:78], v[211:212], v[209:210], -v[77:78]
	v_mul_f64 v[211:212], v[211:212], v[79:80]
	v_add_f64 v[73:74], v[73:74], -v[77:78]
	v_fma_f64 v[211:212], v[213:214], v[209:210], v[211:212]
	v_add_f64 v[75:76], v[75:76], -v[211:212]
	ds_read2_b64 v[211:214], v253 offset0:70 offset1:71
	s_waitcnt lgkmcnt(0)
	v_mul_f64 v[77:78], v[213:214], v[79:80]
	v_fma_f64 v[77:78], v[211:212], v[209:210], -v[77:78]
	v_mul_f64 v[211:212], v[211:212], v[79:80]
	v_add_f64 v[69:70], v[69:70], -v[77:78]
	v_fma_f64 v[211:212], v[213:214], v[209:210], v[211:212]
	v_add_f64 v[71:72], v[71:72], -v[211:212]
	ds_read2_b64 v[211:214], v253 offset0:72 offset1:73
	;; [unrolled: 8-line block ×18, first 2 shown]
	s_waitcnt lgkmcnt(0)
	v_mul_f64 v[77:78], v[213:214], v[79:80]
	v_fma_f64 v[77:78], v[211:212], v[209:210], -v[77:78]
	v_mul_f64 v[211:212], v[211:212], v[79:80]
	v_add_f64 v[1:2], v[1:2], -v[77:78]
	v_fma_f64 v[211:212], v[213:214], v[209:210], v[211:212]
	v_mov_b32_e32 v77, v209
	v_mov_b32_e32 v78, v210
	v_add_f64 v[3:4], v[3:4], -v[211:212]
.LBB105_307:
	s_or_b32 exec_lo, exec_lo, s1
	s_mov_b32 s2, exec_lo
	s_waitcnt_vscnt null, 0x0
	s_barrier
	buffer_gl0_inv
	v_cmpx_eq_u32_e32 34, v0
	s_cbranch_execz .LBB105_314
; %bb.308:
	ds_write2_b64 v255, v[73:74], v[75:76] offset1:1
	ds_write2_b64 v253, v[69:70], v[71:72] offset0:70 offset1:71
	ds_write2_b64 v253, v[65:66], v[67:68] offset0:72 offset1:73
	;; [unrolled: 1-line block ×18, first 2 shown]
	ds_read2_b64 v[209:212], v255 offset1:1
	s_waitcnt lgkmcnt(0)
	v_cmp_neq_f64_e32 vcc_lo, 0, v[209:210]
	v_cmp_neq_f64_e64 s1, 0, v[211:212]
	s_or_b32 s1, vcc_lo, s1
	s_and_b32 exec_lo, exec_lo, s1
	s_cbranch_execz .LBB105_314
; %bb.309:
	v_cmp_ngt_f64_e64 s1, |v[209:210]|, |v[211:212]|
                                        ; implicit-def: $vgpr213_vgpr214
	s_and_saveexec_b32 s3, s1
	s_xor_b32 s1, exec_lo, s3
                                        ; implicit-def: $vgpr215_vgpr216
	s_cbranch_execz .LBB105_311
; %bb.310:
	v_div_scale_f64 v[213:214], null, v[211:212], v[211:212], v[209:210]
	v_div_scale_f64 v[219:220], vcc_lo, v[209:210], v[211:212], v[209:210]
	v_rcp_f64_e32 v[215:216], v[213:214]
	v_fma_f64 v[217:218], -v[213:214], v[215:216], 1.0
	v_fma_f64 v[215:216], v[215:216], v[217:218], v[215:216]
	v_fma_f64 v[217:218], -v[213:214], v[215:216], 1.0
	v_fma_f64 v[215:216], v[215:216], v[217:218], v[215:216]
	v_mul_f64 v[217:218], v[219:220], v[215:216]
	v_fma_f64 v[213:214], -v[213:214], v[217:218], v[219:220]
	v_div_fmas_f64 v[213:214], v[213:214], v[215:216], v[217:218]
	v_div_fixup_f64 v[213:214], v[213:214], v[211:212], v[209:210]
	v_fma_f64 v[209:210], v[209:210], v[213:214], v[211:212]
	v_div_scale_f64 v[211:212], null, v[209:210], v[209:210], 1.0
	v_rcp_f64_e32 v[215:216], v[211:212]
	v_fma_f64 v[217:218], -v[211:212], v[215:216], 1.0
	v_fma_f64 v[215:216], v[215:216], v[217:218], v[215:216]
	v_fma_f64 v[217:218], -v[211:212], v[215:216], 1.0
	v_fma_f64 v[215:216], v[215:216], v[217:218], v[215:216]
	v_div_scale_f64 v[217:218], vcc_lo, 1.0, v[209:210], 1.0
	v_mul_f64 v[219:220], v[217:218], v[215:216]
	v_fma_f64 v[211:212], -v[211:212], v[219:220], v[217:218]
	v_div_fmas_f64 v[211:212], v[211:212], v[215:216], v[219:220]
	v_div_fixup_f64 v[215:216], v[211:212], v[209:210], 1.0
                                        ; implicit-def: $vgpr209_vgpr210
	v_mul_f64 v[213:214], v[213:214], v[215:216]
	v_xor_b32_e32 v216, 0x80000000, v216
.LBB105_311:
	s_andn2_saveexec_b32 s1, s1
	s_cbranch_execz .LBB105_313
; %bb.312:
	v_div_scale_f64 v[213:214], null, v[209:210], v[209:210], v[211:212]
	v_div_scale_f64 v[219:220], vcc_lo, v[211:212], v[209:210], v[211:212]
	v_rcp_f64_e32 v[215:216], v[213:214]
	v_fma_f64 v[217:218], -v[213:214], v[215:216], 1.0
	v_fma_f64 v[215:216], v[215:216], v[217:218], v[215:216]
	v_fma_f64 v[217:218], -v[213:214], v[215:216], 1.0
	v_fma_f64 v[215:216], v[215:216], v[217:218], v[215:216]
	v_mul_f64 v[217:218], v[219:220], v[215:216]
	v_fma_f64 v[213:214], -v[213:214], v[217:218], v[219:220]
	v_div_fmas_f64 v[213:214], v[213:214], v[215:216], v[217:218]
	v_div_fixup_f64 v[215:216], v[213:214], v[209:210], v[211:212]
	v_fma_f64 v[209:210], v[211:212], v[215:216], v[209:210]
	v_div_scale_f64 v[211:212], null, v[209:210], v[209:210], 1.0
	v_rcp_f64_e32 v[213:214], v[211:212]
	v_fma_f64 v[217:218], -v[211:212], v[213:214], 1.0
	v_fma_f64 v[213:214], v[213:214], v[217:218], v[213:214]
	v_fma_f64 v[217:218], -v[211:212], v[213:214], 1.0
	v_fma_f64 v[213:214], v[213:214], v[217:218], v[213:214]
	v_div_scale_f64 v[217:218], vcc_lo, 1.0, v[209:210], 1.0
	v_mul_f64 v[219:220], v[217:218], v[213:214]
	v_fma_f64 v[211:212], -v[211:212], v[219:220], v[217:218]
	v_div_fmas_f64 v[211:212], v[211:212], v[213:214], v[219:220]
	v_div_fixup_f64 v[213:214], v[211:212], v[209:210], 1.0
	v_mul_f64 v[215:216], v[215:216], -v[213:214]
.LBB105_313:
	s_or_b32 exec_lo, exec_lo, s1
	ds_write2_b64 v255, v[213:214], v[215:216] offset1:1
.LBB105_314:
	s_or_b32 exec_lo, exec_lo, s2
	s_waitcnt lgkmcnt(0)
	s_barrier
	buffer_gl0_inv
	ds_read2_b64 v[183:186], v255 offset1:1
	s_mov_b32 s1, exec_lo
	s_waitcnt lgkmcnt(0)
	buffer_store_dword v183, off, s[16:19], 0 offset:936 ; 4-byte Folded Spill
	buffer_store_dword v184, off, s[16:19], 0 offset:940 ; 4-byte Folded Spill
	;; [unrolled: 1-line block ×4, first 2 shown]
	v_cmpx_lt_u32_e32 34, v0
	s_cbranch_execz .LBB105_316
; %bb.315:
	s_clause 0x3
	buffer_load_dword v183, off, s[16:19], 0 offset:936
	buffer_load_dword v184, off, s[16:19], 0 offset:940
	buffer_load_dword v185, off, s[16:19], 0 offset:944
	buffer_load_dword v186, off, s[16:19], 0 offset:948
	ds_read2_b64 v[211:214], v253 offset0:70 offset1:71
	s_waitcnt vmcnt(0)
	v_mul_f64 v[209:210], v[185:186], v[75:76]
	v_mul_f64 v[75:76], v[183:184], v[75:76]
	v_fma_f64 v[209:210], v[183:184], v[73:74], -v[209:210]
	v_fma_f64 v[75:76], v[185:186], v[73:74], v[75:76]
	s_waitcnt lgkmcnt(0)
	v_mul_f64 v[73:74], v[213:214], v[75:76]
	v_fma_f64 v[73:74], v[211:212], v[209:210], -v[73:74]
	v_mul_f64 v[211:212], v[211:212], v[75:76]
	v_add_f64 v[69:70], v[69:70], -v[73:74]
	v_fma_f64 v[211:212], v[213:214], v[209:210], v[211:212]
	v_add_f64 v[71:72], v[71:72], -v[211:212]
	ds_read2_b64 v[211:214], v253 offset0:72 offset1:73
	s_waitcnt lgkmcnt(0)
	v_mul_f64 v[73:74], v[213:214], v[75:76]
	v_fma_f64 v[73:74], v[211:212], v[209:210], -v[73:74]
	v_mul_f64 v[211:212], v[211:212], v[75:76]
	v_add_f64 v[65:66], v[65:66], -v[73:74]
	v_fma_f64 v[211:212], v[213:214], v[209:210], v[211:212]
	v_add_f64 v[67:68], v[67:68], -v[211:212]
	ds_read2_b64 v[211:214], v253 offset0:74 offset1:75
	;; [unrolled: 8-line block ×17, first 2 shown]
	s_waitcnt lgkmcnt(0)
	v_mul_f64 v[73:74], v[213:214], v[75:76]
	v_fma_f64 v[73:74], v[211:212], v[209:210], -v[73:74]
	v_mul_f64 v[211:212], v[211:212], v[75:76]
	v_add_f64 v[1:2], v[1:2], -v[73:74]
	v_fma_f64 v[211:212], v[213:214], v[209:210], v[211:212]
	v_mov_b32_e32 v73, v209
	v_mov_b32_e32 v74, v210
	v_add_f64 v[3:4], v[3:4], -v[211:212]
.LBB105_316:
	s_or_b32 exec_lo, exec_lo, s1
	s_mov_b32 s2, exec_lo
	s_waitcnt_vscnt null, 0x0
	s_barrier
	buffer_gl0_inv
	v_cmpx_eq_u32_e32 35, v0
	s_cbranch_execz .LBB105_323
; %bb.317:
	ds_write2_b64 v255, v[69:70], v[71:72] offset1:1
	ds_write2_b64 v253, v[65:66], v[67:68] offset0:72 offset1:73
	ds_write2_b64 v253, v[61:62], v[63:64] offset0:74 offset1:75
	;; [unrolled: 1-line block ×17, first 2 shown]
	ds_read2_b64 v[209:212], v255 offset1:1
	s_waitcnt lgkmcnt(0)
	v_cmp_neq_f64_e32 vcc_lo, 0, v[209:210]
	v_cmp_neq_f64_e64 s1, 0, v[211:212]
	s_or_b32 s1, vcc_lo, s1
	s_and_b32 exec_lo, exec_lo, s1
	s_cbranch_execz .LBB105_323
; %bb.318:
	v_cmp_ngt_f64_e64 s1, |v[209:210]|, |v[211:212]|
                                        ; implicit-def: $vgpr213_vgpr214
	s_and_saveexec_b32 s3, s1
	s_xor_b32 s1, exec_lo, s3
                                        ; implicit-def: $vgpr215_vgpr216
	s_cbranch_execz .LBB105_320
; %bb.319:
	v_div_scale_f64 v[213:214], null, v[211:212], v[211:212], v[209:210]
	v_div_scale_f64 v[219:220], vcc_lo, v[209:210], v[211:212], v[209:210]
	v_rcp_f64_e32 v[215:216], v[213:214]
	v_fma_f64 v[217:218], -v[213:214], v[215:216], 1.0
	v_fma_f64 v[215:216], v[215:216], v[217:218], v[215:216]
	v_fma_f64 v[217:218], -v[213:214], v[215:216], 1.0
	v_fma_f64 v[215:216], v[215:216], v[217:218], v[215:216]
	v_mul_f64 v[217:218], v[219:220], v[215:216]
	v_fma_f64 v[213:214], -v[213:214], v[217:218], v[219:220]
	v_div_fmas_f64 v[213:214], v[213:214], v[215:216], v[217:218]
	v_div_fixup_f64 v[213:214], v[213:214], v[211:212], v[209:210]
	v_fma_f64 v[209:210], v[209:210], v[213:214], v[211:212]
	v_div_scale_f64 v[211:212], null, v[209:210], v[209:210], 1.0
	v_rcp_f64_e32 v[215:216], v[211:212]
	v_fma_f64 v[217:218], -v[211:212], v[215:216], 1.0
	v_fma_f64 v[215:216], v[215:216], v[217:218], v[215:216]
	v_fma_f64 v[217:218], -v[211:212], v[215:216], 1.0
	v_fma_f64 v[215:216], v[215:216], v[217:218], v[215:216]
	v_div_scale_f64 v[217:218], vcc_lo, 1.0, v[209:210], 1.0
	v_mul_f64 v[219:220], v[217:218], v[215:216]
	v_fma_f64 v[211:212], -v[211:212], v[219:220], v[217:218]
	v_div_fmas_f64 v[211:212], v[211:212], v[215:216], v[219:220]
	v_div_fixup_f64 v[215:216], v[211:212], v[209:210], 1.0
                                        ; implicit-def: $vgpr209_vgpr210
	v_mul_f64 v[213:214], v[213:214], v[215:216]
	v_xor_b32_e32 v216, 0x80000000, v216
.LBB105_320:
	s_andn2_saveexec_b32 s1, s1
	s_cbranch_execz .LBB105_322
; %bb.321:
	v_div_scale_f64 v[213:214], null, v[209:210], v[209:210], v[211:212]
	v_div_scale_f64 v[219:220], vcc_lo, v[211:212], v[209:210], v[211:212]
	v_rcp_f64_e32 v[215:216], v[213:214]
	v_fma_f64 v[217:218], -v[213:214], v[215:216], 1.0
	v_fma_f64 v[215:216], v[215:216], v[217:218], v[215:216]
	v_fma_f64 v[217:218], -v[213:214], v[215:216], 1.0
	v_fma_f64 v[215:216], v[215:216], v[217:218], v[215:216]
	v_mul_f64 v[217:218], v[219:220], v[215:216]
	v_fma_f64 v[213:214], -v[213:214], v[217:218], v[219:220]
	v_div_fmas_f64 v[213:214], v[213:214], v[215:216], v[217:218]
	v_div_fixup_f64 v[215:216], v[213:214], v[209:210], v[211:212]
	v_fma_f64 v[209:210], v[211:212], v[215:216], v[209:210]
	v_div_scale_f64 v[211:212], null, v[209:210], v[209:210], 1.0
	v_rcp_f64_e32 v[213:214], v[211:212]
	v_fma_f64 v[217:218], -v[211:212], v[213:214], 1.0
	v_fma_f64 v[213:214], v[213:214], v[217:218], v[213:214]
	v_fma_f64 v[217:218], -v[211:212], v[213:214], 1.0
	v_fma_f64 v[213:214], v[213:214], v[217:218], v[213:214]
	v_div_scale_f64 v[217:218], vcc_lo, 1.0, v[209:210], 1.0
	v_mul_f64 v[219:220], v[217:218], v[213:214]
	v_fma_f64 v[211:212], -v[211:212], v[219:220], v[217:218]
	v_div_fmas_f64 v[211:212], v[211:212], v[213:214], v[219:220]
	v_div_fixup_f64 v[213:214], v[211:212], v[209:210], 1.0
	v_mul_f64 v[215:216], v[215:216], -v[213:214]
.LBB105_322:
	s_or_b32 exec_lo, exec_lo, s1
	ds_write2_b64 v255, v[213:214], v[215:216] offset1:1
.LBB105_323:
	s_or_b32 exec_lo, exec_lo, s2
	s_waitcnt lgkmcnt(0)
	s_barrier
	buffer_gl0_inv
	ds_read2_b64 v[183:186], v255 offset1:1
	s_mov_b32 s1, exec_lo
	s_waitcnt lgkmcnt(0)
	buffer_store_dword v183, off, s[16:19], 0 offset:952 ; 4-byte Folded Spill
	buffer_store_dword v184, off, s[16:19], 0 offset:956 ; 4-byte Folded Spill
	;; [unrolled: 1-line block ×4, first 2 shown]
	v_cmpx_lt_u32_e32 35, v0
	s_cbranch_execz .LBB105_325
; %bb.324:
	s_clause 0x3
	buffer_load_dword v183, off, s[16:19], 0 offset:952
	buffer_load_dword v184, off, s[16:19], 0 offset:956
	;; [unrolled: 1-line block ×4, first 2 shown]
	ds_read2_b64 v[211:214], v253 offset0:72 offset1:73
	s_waitcnt vmcnt(0)
	v_mul_f64 v[209:210], v[185:186], v[71:72]
	v_mul_f64 v[71:72], v[183:184], v[71:72]
	v_fma_f64 v[209:210], v[183:184], v[69:70], -v[209:210]
	v_fma_f64 v[71:72], v[185:186], v[69:70], v[71:72]
	s_waitcnt lgkmcnt(0)
	v_mul_f64 v[69:70], v[213:214], v[71:72]
	v_fma_f64 v[69:70], v[211:212], v[209:210], -v[69:70]
	v_mul_f64 v[211:212], v[211:212], v[71:72]
	v_add_f64 v[65:66], v[65:66], -v[69:70]
	v_fma_f64 v[211:212], v[213:214], v[209:210], v[211:212]
	v_add_f64 v[67:68], v[67:68], -v[211:212]
	ds_read2_b64 v[211:214], v253 offset0:74 offset1:75
	s_waitcnt lgkmcnt(0)
	v_mul_f64 v[69:70], v[213:214], v[71:72]
	v_fma_f64 v[69:70], v[211:212], v[209:210], -v[69:70]
	v_mul_f64 v[211:212], v[211:212], v[71:72]
	v_add_f64 v[61:62], v[61:62], -v[69:70]
	v_fma_f64 v[211:212], v[213:214], v[209:210], v[211:212]
	v_add_f64 v[63:64], v[63:64], -v[211:212]
	ds_read2_b64 v[211:214], v253 offset0:76 offset1:77
	;; [unrolled: 8-line block ×16, first 2 shown]
	s_waitcnt lgkmcnt(0)
	v_mul_f64 v[69:70], v[213:214], v[71:72]
	v_fma_f64 v[69:70], v[211:212], v[209:210], -v[69:70]
	v_mul_f64 v[211:212], v[211:212], v[71:72]
	v_add_f64 v[1:2], v[1:2], -v[69:70]
	v_fma_f64 v[211:212], v[213:214], v[209:210], v[211:212]
	v_mov_b32_e32 v69, v209
	v_mov_b32_e32 v70, v210
	v_add_f64 v[3:4], v[3:4], -v[211:212]
.LBB105_325:
	s_or_b32 exec_lo, exec_lo, s1
	s_mov_b32 s2, exec_lo
	s_waitcnt_vscnt null, 0x0
	s_barrier
	buffer_gl0_inv
	v_cmpx_eq_u32_e32 36, v0
	s_cbranch_execz .LBB105_332
; %bb.326:
	ds_write2_b64 v255, v[65:66], v[67:68] offset1:1
	ds_write2_b64 v253, v[61:62], v[63:64] offset0:74 offset1:75
	ds_write2_b64 v253, v[57:58], v[59:60] offset0:76 offset1:77
	;; [unrolled: 1-line block ×16, first 2 shown]
	ds_read2_b64 v[209:212], v255 offset1:1
	s_waitcnt lgkmcnt(0)
	v_cmp_neq_f64_e32 vcc_lo, 0, v[209:210]
	v_cmp_neq_f64_e64 s1, 0, v[211:212]
	s_or_b32 s1, vcc_lo, s1
	s_and_b32 exec_lo, exec_lo, s1
	s_cbranch_execz .LBB105_332
; %bb.327:
	v_cmp_ngt_f64_e64 s1, |v[209:210]|, |v[211:212]|
                                        ; implicit-def: $vgpr213_vgpr214
	s_and_saveexec_b32 s3, s1
	s_xor_b32 s1, exec_lo, s3
                                        ; implicit-def: $vgpr215_vgpr216
	s_cbranch_execz .LBB105_329
; %bb.328:
	v_div_scale_f64 v[213:214], null, v[211:212], v[211:212], v[209:210]
	v_div_scale_f64 v[219:220], vcc_lo, v[209:210], v[211:212], v[209:210]
	v_rcp_f64_e32 v[215:216], v[213:214]
	v_fma_f64 v[217:218], -v[213:214], v[215:216], 1.0
	v_fma_f64 v[215:216], v[215:216], v[217:218], v[215:216]
	v_fma_f64 v[217:218], -v[213:214], v[215:216], 1.0
	v_fma_f64 v[215:216], v[215:216], v[217:218], v[215:216]
	v_mul_f64 v[217:218], v[219:220], v[215:216]
	v_fma_f64 v[213:214], -v[213:214], v[217:218], v[219:220]
	v_div_fmas_f64 v[213:214], v[213:214], v[215:216], v[217:218]
	v_div_fixup_f64 v[213:214], v[213:214], v[211:212], v[209:210]
	v_fma_f64 v[209:210], v[209:210], v[213:214], v[211:212]
	v_div_scale_f64 v[211:212], null, v[209:210], v[209:210], 1.0
	v_rcp_f64_e32 v[215:216], v[211:212]
	v_fma_f64 v[217:218], -v[211:212], v[215:216], 1.0
	v_fma_f64 v[215:216], v[215:216], v[217:218], v[215:216]
	v_fma_f64 v[217:218], -v[211:212], v[215:216], 1.0
	v_fma_f64 v[215:216], v[215:216], v[217:218], v[215:216]
	v_div_scale_f64 v[217:218], vcc_lo, 1.0, v[209:210], 1.0
	v_mul_f64 v[219:220], v[217:218], v[215:216]
	v_fma_f64 v[211:212], -v[211:212], v[219:220], v[217:218]
	v_div_fmas_f64 v[211:212], v[211:212], v[215:216], v[219:220]
	v_div_fixup_f64 v[215:216], v[211:212], v[209:210], 1.0
                                        ; implicit-def: $vgpr209_vgpr210
	v_mul_f64 v[213:214], v[213:214], v[215:216]
	v_xor_b32_e32 v216, 0x80000000, v216
.LBB105_329:
	s_andn2_saveexec_b32 s1, s1
	s_cbranch_execz .LBB105_331
; %bb.330:
	v_div_scale_f64 v[213:214], null, v[209:210], v[209:210], v[211:212]
	v_div_scale_f64 v[219:220], vcc_lo, v[211:212], v[209:210], v[211:212]
	v_rcp_f64_e32 v[215:216], v[213:214]
	v_fma_f64 v[217:218], -v[213:214], v[215:216], 1.0
	v_fma_f64 v[215:216], v[215:216], v[217:218], v[215:216]
	v_fma_f64 v[217:218], -v[213:214], v[215:216], 1.0
	v_fma_f64 v[215:216], v[215:216], v[217:218], v[215:216]
	v_mul_f64 v[217:218], v[219:220], v[215:216]
	v_fma_f64 v[213:214], -v[213:214], v[217:218], v[219:220]
	v_div_fmas_f64 v[213:214], v[213:214], v[215:216], v[217:218]
	v_div_fixup_f64 v[215:216], v[213:214], v[209:210], v[211:212]
	v_fma_f64 v[209:210], v[211:212], v[215:216], v[209:210]
	v_div_scale_f64 v[211:212], null, v[209:210], v[209:210], 1.0
	v_rcp_f64_e32 v[213:214], v[211:212]
	v_fma_f64 v[217:218], -v[211:212], v[213:214], 1.0
	v_fma_f64 v[213:214], v[213:214], v[217:218], v[213:214]
	v_fma_f64 v[217:218], -v[211:212], v[213:214], 1.0
	v_fma_f64 v[213:214], v[213:214], v[217:218], v[213:214]
	v_div_scale_f64 v[217:218], vcc_lo, 1.0, v[209:210], 1.0
	v_mul_f64 v[219:220], v[217:218], v[213:214]
	v_fma_f64 v[211:212], -v[211:212], v[219:220], v[217:218]
	v_div_fmas_f64 v[211:212], v[211:212], v[213:214], v[219:220]
	v_div_fixup_f64 v[213:214], v[211:212], v[209:210], 1.0
	v_mul_f64 v[215:216], v[215:216], -v[213:214]
.LBB105_331:
	s_or_b32 exec_lo, exec_lo, s1
	ds_write2_b64 v255, v[213:214], v[215:216] offset1:1
.LBB105_332:
	s_or_b32 exec_lo, exec_lo, s2
	s_waitcnt lgkmcnt(0)
	s_barrier
	buffer_gl0_inv
	ds_read2_b64 v[183:186], v255 offset1:1
	s_mov_b32 s1, exec_lo
	s_waitcnt lgkmcnt(0)
	buffer_store_dword v183, off, s[16:19], 0 offset:968 ; 4-byte Folded Spill
	buffer_store_dword v184, off, s[16:19], 0 offset:972 ; 4-byte Folded Spill
	;; [unrolled: 1-line block ×4, first 2 shown]
	v_cmpx_lt_u32_e32 36, v0
	s_cbranch_execz .LBB105_334
; %bb.333:
	s_clause 0x3
	buffer_load_dword v183, off, s[16:19], 0 offset:968
	buffer_load_dword v184, off, s[16:19], 0 offset:972
	;; [unrolled: 1-line block ×4, first 2 shown]
	ds_read2_b64 v[211:214], v253 offset0:74 offset1:75
	s_waitcnt vmcnt(2)
	v_mul_f64 v[209:210], v[183:184], v[67:68]
	s_waitcnt vmcnt(0)
	v_mul_f64 v[67:68], v[185:186], v[67:68]
	v_fma_f64 v[209:210], v[185:186], v[65:66], v[209:210]
	v_fma_f64 v[65:66], v[183:184], v[65:66], -v[67:68]
	s_waitcnt lgkmcnt(0)
	v_mul_f64 v[67:68], v[213:214], v[209:210]
	v_fma_f64 v[67:68], v[211:212], v[65:66], -v[67:68]
	v_mul_f64 v[211:212], v[211:212], v[209:210]
	v_add_f64 v[61:62], v[61:62], -v[67:68]
	v_fma_f64 v[211:212], v[213:214], v[65:66], v[211:212]
	v_add_f64 v[63:64], v[63:64], -v[211:212]
	ds_read2_b64 v[211:214], v253 offset0:76 offset1:77
	s_waitcnt lgkmcnt(0)
	v_mul_f64 v[67:68], v[213:214], v[209:210]
	v_fma_f64 v[67:68], v[211:212], v[65:66], -v[67:68]
	v_mul_f64 v[211:212], v[211:212], v[209:210]
	v_add_f64 v[57:58], v[57:58], -v[67:68]
	v_fma_f64 v[211:212], v[213:214], v[65:66], v[211:212]
	v_add_f64 v[59:60], v[59:60], -v[211:212]
	ds_read2_b64 v[211:214], v253 offset0:78 offset1:79
	;; [unrolled: 8-line block ×15, first 2 shown]
	s_waitcnt lgkmcnt(0)
	v_mul_f64 v[67:68], v[213:214], v[209:210]
	v_fma_f64 v[67:68], v[211:212], v[65:66], -v[67:68]
	v_mul_f64 v[211:212], v[211:212], v[209:210]
	v_add_f64 v[1:2], v[1:2], -v[67:68]
	v_fma_f64 v[211:212], v[213:214], v[65:66], v[211:212]
	v_mov_b32_e32 v67, v209
	v_mov_b32_e32 v68, v210
	v_add_f64 v[3:4], v[3:4], -v[211:212]
.LBB105_334:
	s_or_b32 exec_lo, exec_lo, s1
	s_mov_b32 s2, exec_lo
	s_waitcnt_vscnt null, 0x0
	s_barrier
	buffer_gl0_inv
	v_cmpx_eq_u32_e32 37, v0
	s_cbranch_execz .LBB105_341
; %bb.335:
	ds_write2_b64 v255, v[61:62], v[63:64] offset1:1
	ds_write2_b64 v253, v[57:58], v[59:60] offset0:76 offset1:77
	ds_write2_b64 v253, v[53:54], v[55:56] offset0:78 offset1:79
	;; [unrolled: 1-line block ×15, first 2 shown]
	ds_read2_b64 v[209:212], v255 offset1:1
	s_waitcnt lgkmcnt(0)
	v_cmp_neq_f64_e32 vcc_lo, 0, v[209:210]
	v_cmp_neq_f64_e64 s1, 0, v[211:212]
	s_or_b32 s1, vcc_lo, s1
	s_and_b32 exec_lo, exec_lo, s1
	s_cbranch_execz .LBB105_341
; %bb.336:
	v_cmp_ngt_f64_e64 s1, |v[209:210]|, |v[211:212]|
                                        ; implicit-def: $vgpr213_vgpr214
	s_and_saveexec_b32 s3, s1
	s_xor_b32 s1, exec_lo, s3
                                        ; implicit-def: $vgpr215_vgpr216
	s_cbranch_execz .LBB105_338
; %bb.337:
	v_div_scale_f64 v[213:214], null, v[211:212], v[211:212], v[209:210]
	v_div_scale_f64 v[219:220], vcc_lo, v[209:210], v[211:212], v[209:210]
	v_rcp_f64_e32 v[215:216], v[213:214]
	v_fma_f64 v[217:218], -v[213:214], v[215:216], 1.0
	v_fma_f64 v[215:216], v[215:216], v[217:218], v[215:216]
	v_fma_f64 v[217:218], -v[213:214], v[215:216], 1.0
	v_fma_f64 v[215:216], v[215:216], v[217:218], v[215:216]
	v_mul_f64 v[217:218], v[219:220], v[215:216]
	v_fma_f64 v[213:214], -v[213:214], v[217:218], v[219:220]
	v_div_fmas_f64 v[213:214], v[213:214], v[215:216], v[217:218]
	v_div_fixup_f64 v[213:214], v[213:214], v[211:212], v[209:210]
	v_fma_f64 v[209:210], v[209:210], v[213:214], v[211:212]
	v_div_scale_f64 v[211:212], null, v[209:210], v[209:210], 1.0
	v_rcp_f64_e32 v[215:216], v[211:212]
	v_fma_f64 v[217:218], -v[211:212], v[215:216], 1.0
	v_fma_f64 v[215:216], v[215:216], v[217:218], v[215:216]
	v_fma_f64 v[217:218], -v[211:212], v[215:216], 1.0
	v_fma_f64 v[215:216], v[215:216], v[217:218], v[215:216]
	v_div_scale_f64 v[217:218], vcc_lo, 1.0, v[209:210], 1.0
	v_mul_f64 v[219:220], v[217:218], v[215:216]
	v_fma_f64 v[211:212], -v[211:212], v[219:220], v[217:218]
	v_div_fmas_f64 v[211:212], v[211:212], v[215:216], v[219:220]
	v_div_fixup_f64 v[215:216], v[211:212], v[209:210], 1.0
                                        ; implicit-def: $vgpr209_vgpr210
	v_mul_f64 v[213:214], v[213:214], v[215:216]
	v_xor_b32_e32 v216, 0x80000000, v216
.LBB105_338:
	s_andn2_saveexec_b32 s1, s1
	s_cbranch_execz .LBB105_340
; %bb.339:
	v_div_scale_f64 v[213:214], null, v[209:210], v[209:210], v[211:212]
	v_div_scale_f64 v[219:220], vcc_lo, v[211:212], v[209:210], v[211:212]
	v_rcp_f64_e32 v[215:216], v[213:214]
	v_fma_f64 v[217:218], -v[213:214], v[215:216], 1.0
	v_fma_f64 v[215:216], v[215:216], v[217:218], v[215:216]
	v_fma_f64 v[217:218], -v[213:214], v[215:216], 1.0
	v_fma_f64 v[215:216], v[215:216], v[217:218], v[215:216]
	v_mul_f64 v[217:218], v[219:220], v[215:216]
	v_fma_f64 v[213:214], -v[213:214], v[217:218], v[219:220]
	v_div_fmas_f64 v[213:214], v[213:214], v[215:216], v[217:218]
	v_div_fixup_f64 v[215:216], v[213:214], v[209:210], v[211:212]
	v_fma_f64 v[209:210], v[211:212], v[215:216], v[209:210]
	v_div_scale_f64 v[211:212], null, v[209:210], v[209:210], 1.0
	v_rcp_f64_e32 v[213:214], v[211:212]
	v_fma_f64 v[217:218], -v[211:212], v[213:214], 1.0
	v_fma_f64 v[213:214], v[213:214], v[217:218], v[213:214]
	v_fma_f64 v[217:218], -v[211:212], v[213:214], 1.0
	v_fma_f64 v[213:214], v[213:214], v[217:218], v[213:214]
	v_div_scale_f64 v[217:218], vcc_lo, 1.0, v[209:210], 1.0
	v_mul_f64 v[219:220], v[217:218], v[213:214]
	v_fma_f64 v[211:212], -v[211:212], v[219:220], v[217:218]
	v_div_fmas_f64 v[211:212], v[211:212], v[213:214], v[219:220]
	v_div_fixup_f64 v[213:214], v[211:212], v[209:210], 1.0
	v_mul_f64 v[215:216], v[215:216], -v[213:214]
.LBB105_340:
	s_or_b32 exec_lo, exec_lo, s1
	ds_write2_b64 v255, v[213:214], v[215:216] offset1:1
.LBB105_341:
	s_or_b32 exec_lo, exec_lo, s2
	s_waitcnt lgkmcnt(0)
	s_barrier
	buffer_gl0_inv
	ds_read2_b64 v[183:186], v255 offset1:1
	s_mov_b32 s1, exec_lo
	s_waitcnt lgkmcnt(0)
	buffer_store_dword v183, off, s[16:19], 0 offset:984 ; 4-byte Folded Spill
	buffer_store_dword v184, off, s[16:19], 0 offset:988 ; 4-byte Folded Spill
	;; [unrolled: 1-line block ×4, first 2 shown]
	v_cmpx_lt_u32_e32 37, v0
	s_cbranch_execz .LBB105_343
; %bb.342:
	s_clause 0x3
	buffer_load_dword v183, off, s[16:19], 0 offset:984
	buffer_load_dword v184, off, s[16:19], 0 offset:988
	;; [unrolled: 1-line block ×4, first 2 shown]
	ds_read2_b64 v[211:214], v253 offset0:76 offset1:77
	s_waitcnt vmcnt(2)
	v_mul_f64 v[209:210], v[183:184], v[63:64]
	s_waitcnt vmcnt(0)
	v_mul_f64 v[63:64], v[185:186], v[63:64]
	v_fma_f64 v[209:210], v[185:186], v[61:62], v[209:210]
	v_fma_f64 v[61:62], v[183:184], v[61:62], -v[63:64]
	s_waitcnt lgkmcnt(0)
	v_mul_f64 v[63:64], v[213:214], v[209:210]
	v_fma_f64 v[63:64], v[211:212], v[61:62], -v[63:64]
	v_mul_f64 v[211:212], v[211:212], v[209:210]
	v_add_f64 v[57:58], v[57:58], -v[63:64]
	v_fma_f64 v[211:212], v[213:214], v[61:62], v[211:212]
	v_add_f64 v[59:60], v[59:60], -v[211:212]
	ds_read2_b64 v[211:214], v253 offset0:78 offset1:79
	s_waitcnt lgkmcnt(0)
	v_mul_f64 v[63:64], v[213:214], v[209:210]
	v_fma_f64 v[63:64], v[211:212], v[61:62], -v[63:64]
	v_mul_f64 v[211:212], v[211:212], v[209:210]
	v_add_f64 v[53:54], v[53:54], -v[63:64]
	v_fma_f64 v[211:212], v[213:214], v[61:62], v[211:212]
	v_add_f64 v[55:56], v[55:56], -v[211:212]
	ds_read2_b64 v[211:214], v253 offset0:80 offset1:81
	s_waitcnt lgkmcnt(0)
	v_mul_f64 v[63:64], v[213:214], v[209:210]
	v_fma_f64 v[63:64], v[211:212], v[61:62], -v[63:64]
	v_mul_f64 v[211:212], v[211:212], v[209:210]
	v_add_f64 v[49:50], v[49:50], -v[63:64]
	v_fma_f64 v[211:212], v[213:214], v[61:62], v[211:212]
	v_add_f64 v[51:52], v[51:52], -v[211:212]
	ds_read2_b64 v[211:214], v253 offset0:82 offset1:83
	s_waitcnt lgkmcnt(0)
	v_mul_f64 v[63:64], v[213:214], v[209:210]
	v_fma_f64 v[63:64], v[211:212], v[61:62], -v[63:64]
	v_mul_f64 v[211:212], v[211:212], v[209:210]
	v_add_f64 v[45:46], v[45:46], -v[63:64]
	v_fma_f64 v[211:212], v[213:214], v[61:62], v[211:212]
	v_add_f64 v[47:48], v[47:48], -v[211:212]
	ds_read2_b64 v[211:214], v253 offset0:84 offset1:85
	s_waitcnt lgkmcnt(0)
	v_mul_f64 v[63:64], v[213:214], v[209:210]
	v_fma_f64 v[63:64], v[211:212], v[61:62], -v[63:64]
	v_mul_f64 v[211:212], v[211:212], v[209:210]
	v_add_f64 v[41:42], v[41:42], -v[63:64]
	v_fma_f64 v[211:212], v[213:214], v[61:62], v[211:212]
	v_add_f64 v[43:44], v[43:44], -v[211:212]
	ds_read2_b64 v[211:214], v253 offset0:86 offset1:87
	s_waitcnt lgkmcnt(0)
	v_mul_f64 v[63:64], v[213:214], v[209:210]
	v_fma_f64 v[63:64], v[211:212], v[61:62], -v[63:64]
	v_mul_f64 v[211:212], v[211:212], v[209:210]
	v_add_f64 v[37:38], v[37:38], -v[63:64]
	v_fma_f64 v[211:212], v[213:214], v[61:62], v[211:212]
	v_add_f64 v[39:40], v[39:40], -v[211:212]
	ds_read2_b64 v[211:214], v253 offset0:88 offset1:89
	s_waitcnt lgkmcnt(0)
	v_mul_f64 v[63:64], v[213:214], v[209:210]
	v_fma_f64 v[63:64], v[211:212], v[61:62], -v[63:64]
	v_mul_f64 v[211:212], v[211:212], v[209:210]
	v_add_f64 v[33:34], v[33:34], -v[63:64]
	v_fma_f64 v[211:212], v[213:214], v[61:62], v[211:212]
	v_add_f64 v[35:36], v[35:36], -v[211:212]
	ds_read2_b64 v[211:214], v253 offset0:90 offset1:91
	s_waitcnt lgkmcnt(0)
	v_mul_f64 v[63:64], v[213:214], v[209:210]
	v_fma_f64 v[63:64], v[211:212], v[61:62], -v[63:64]
	v_mul_f64 v[211:212], v[211:212], v[209:210]
	v_add_f64 v[29:30], v[29:30], -v[63:64]
	v_fma_f64 v[211:212], v[213:214], v[61:62], v[211:212]
	v_add_f64 v[31:32], v[31:32], -v[211:212]
	ds_read2_b64 v[211:214], v253 offset0:92 offset1:93
	s_waitcnt lgkmcnt(0)
	v_mul_f64 v[63:64], v[213:214], v[209:210]
	v_fma_f64 v[63:64], v[211:212], v[61:62], -v[63:64]
	v_mul_f64 v[211:212], v[211:212], v[209:210]
	v_add_f64 v[25:26], v[25:26], -v[63:64]
	v_fma_f64 v[211:212], v[213:214], v[61:62], v[211:212]
	v_add_f64 v[27:28], v[27:28], -v[211:212]
	ds_read2_b64 v[211:214], v253 offset0:94 offset1:95
	s_waitcnt lgkmcnt(0)
	v_mul_f64 v[63:64], v[213:214], v[209:210]
	v_fma_f64 v[63:64], v[211:212], v[61:62], -v[63:64]
	v_mul_f64 v[211:212], v[211:212], v[209:210]
	v_add_f64 v[21:22], v[21:22], -v[63:64]
	v_fma_f64 v[211:212], v[213:214], v[61:62], v[211:212]
	v_add_f64 v[23:24], v[23:24], -v[211:212]
	ds_read2_b64 v[211:214], v253 offset0:96 offset1:97
	s_waitcnt lgkmcnt(0)
	v_mul_f64 v[63:64], v[213:214], v[209:210]
	v_fma_f64 v[63:64], v[211:212], v[61:62], -v[63:64]
	v_mul_f64 v[211:212], v[211:212], v[209:210]
	v_add_f64 v[17:18], v[17:18], -v[63:64]
	v_fma_f64 v[211:212], v[213:214], v[61:62], v[211:212]
	v_add_f64 v[19:20], v[19:20], -v[211:212]
	ds_read2_b64 v[211:214], v253 offset0:98 offset1:99
	s_waitcnt lgkmcnt(0)
	v_mul_f64 v[63:64], v[213:214], v[209:210]
	v_fma_f64 v[63:64], v[211:212], v[61:62], -v[63:64]
	v_mul_f64 v[211:212], v[211:212], v[209:210]
	v_add_f64 v[13:14], v[13:14], -v[63:64]
	v_fma_f64 v[211:212], v[213:214], v[61:62], v[211:212]
	v_add_f64 v[15:16], v[15:16], -v[211:212]
	ds_read2_b64 v[211:214], v253 offset0:100 offset1:101
	s_waitcnt lgkmcnt(0)
	v_mul_f64 v[63:64], v[213:214], v[209:210]
	v_fma_f64 v[63:64], v[211:212], v[61:62], -v[63:64]
	v_mul_f64 v[211:212], v[211:212], v[209:210]
	v_add_f64 v[9:10], v[9:10], -v[63:64]
	v_fma_f64 v[211:212], v[213:214], v[61:62], v[211:212]
	v_add_f64 v[11:12], v[11:12], -v[211:212]
	ds_read2_b64 v[211:214], v253 offset0:102 offset1:103
	s_waitcnt lgkmcnt(0)
	v_mul_f64 v[63:64], v[213:214], v[209:210]
	v_fma_f64 v[63:64], v[211:212], v[61:62], -v[63:64]
	v_mul_f64 v[211:212], v[211:212], v[209:210]
	v_add_f64 v[5:6], v[5:6], -v[63:64]
	v_fma_f64 v[211:212], v[213:214], v[61:62], v[211:212]
	v_add_f64 v[7:8], v[7:8], -v[211:212]
	ds_read2_b64 v[211:214], v253 offset0:104 offset1:105
	s_waitcnt lgkmcnt(0)
	v_mul_f64 v[63:64], v[213:214], v[209:210]
	v_fma_f64 v[63:64], v[211:212], v[61:62], -v[63:64]
	v_mul_f64 v[211:212], v[211:212], v[209:210]
	v_add_f64 v[1:2], v[1:2], -v[63:64]
	v_fma_f64 v[211:212], v[213:214], v[61:62], v[211:212]
	v_mov_b32_e32 v63, v209
	v_mov_b32_e32 v64, v210
	v_add_f64 v[3:4], v[3:4], -v[211:212]
.LBB105_343:
	s_or_b32 exec_lo, exec_lo, s1
	s_mov_b32 s2, exec_lo
	s_waitcnt_vscnt null, 0x0
	s_barrier
	buffer_gl0_inv
	v_cmpx_eq_u32_e32 38, v0
	s_cbranch_execz .LBB105_350
; %bb.344:
	ds_write2_b64 v255, v[57:58], v[59:60] offset1:1
	ds_write2_b64 v253, v[53:54], v[55:56] offset0:78 offset1:79
	ds_write2_b64 v253, v[49:50], v[51:52] offset0:80 offset1:81
	;; [unrolled: 1-line block ×14, first 2 shown]
	ds_read2_b64 v[209:212], v255 offset1:1
	s_waitcnt lgkmcnt(0)
	v_cmp_neq_f64_e32 vcc_lo, 0, v[209:210]
	v_cmp_neq_f64_e64 s1, 0, v[211:212]
	s_or_b32 s1, vcc_lo, s1
	s_and_b32 exec_lo, exec_lo, s1
	s_cbranch_execz .LBB105_350
; %bb.345:
	v_cmp_ngt_f64_e64 s1, |v[209:210]|, |v[211:212]|
                                        ; implicit-def: $vgpr213_vgpr214
	s_and_saveexec_b32 s3, s1
	s_xor_b32 s1, exec_lo, s3
                                        ; implicit-def: $vgpr215_vgpr216
	s_cbranch_execz .LBB105_347
; %bb.346:
	v_div_scale_f64 v[213:214], null, v[211:212], v[211:212], v[209:210]
	v_div_scale_f64 v[219:220], vcc_lo, v[209:210], v[211:212], v[209:210]
	v_rcp_f64_e32 v[215:216], v[213:214]
	v_fma_f64 v[217:218], -v[213:214], v[215:216], 1.0
	v_fma_f64 v[215:216], v[215:216], v[217:218], v[215:216]
	v_fma_f64 v[217:218], -v[213:214], v[215:216], 1.0
	v_fma_f64 v[215:216], v[215:216], v[217:218], v[215:216]
	v_mul_f64 v[217:218], v[219:220], v[215:216]
	v_fma_f64 v[213:214], -v[213:214], v[217:218], v[219:220]
	v_div_fmas_f64 v[213:214], v[213:214], v[215:216], v[217:218]
	v_div_fixup_f64 v[213:214], v[213:214], v[211:212], v[209:210]
	v_fma_f64 v[209:210], v[209:210], v[213:214], v[211:212]
	v_div_scale_f64 v[211:212], null, v[209:210], v[209:210], 1.0
	v_rcp_f64_e32 v[215:216], v[211:212]
	v_fma_f64 v[217:218], -v[211:212], v[215:216], 1.0
	v_fma_f64 v[215:216], v[215:216], v[217:218], v[215:216]
	v_fma_f64 v[217:218], -v[211:212], v[215:216], 1.0
	v_fma_f64 v[215:216], v[215:216], v[217:218], v[215:216]
	v_div_scale_f64 v[217:218], vcc_lo, 1.0, v[209:210], 1.0
	v_mul_f64 v[219:220], v[217:218], v[215:216]
	v_fma_f64 v[211:212], -v[211:212], v[219:220], v[217:218]
	v_div_fmas_f64 v[211:212], v[211:212], v[215:216], v[219:220]
	v_div_fixup_f64 v[215:216], v[211:212], v[209:210], 1.0
                                        ; implicit-def: $vgpr209_vgpr210
	v_mul_f64 v[213:214], v[213:214], v[215:216]
	v_xor_b32_e32 v216, 0x80000000, v216
.LBB105_347:
	s_andn2_saveexec_b32 s1, s1
	s_cbranch_execz .LBB105_349
; %bb.348:
	v_div_scale_f64 v[213:214], null, v[209:210], v[209:210], v[211:212]
	v_div_scale_f64 v[219:220], vcc_lo, v[211:212], v[209:210], v[211:212]
	v_rcp_f64_e32 v[215:216], v[213:214]
	v_fma_f64 v[217:218], -v[213:214], v[215:216], 1.0
	v_fma_f64 v[215:216], v[215:216], v[217:218], v[215:216]
	v_fma_f64 v[217:218], -v[213:214], v[215:216], 1.0
	v_fma_f64 v[215:216], v[215:216], v[217:218], v[215:216]
	v_mul_f64 v[217:218], v[219:220], v[215:216]
	v_fma_f64 v[213:214], -v[213:214], v[217:218], v[219:220]
	v_div_fmas_f64 v[213:214], v[213:214], v[215:216], v[217:218]
	v_div_fixup_f64 v[215:216], v[213:214], v[209:210], v[211:212]
	v_fma_f64 v[209:210], v[211:212], v[215:216], v[209:210]
	v_div_scale_f64 v[211:212], null, v[209:210], v[209:210], 1.0
	v_rcp_f64_e32 v[213:214], v[211:212]
	v_fma_f64 v[217:218], -v[211:212], v[213:214], 1.0
	v_fma_f64 v[213:214], v[213:214], v[217:218], v[213:214]
	v_fma_f64 v[217:218], -v[211:212], v[213:214], 1.0
	v_fma_f64 v[213:214], v[213:214], v[217:218], v[213:214]
	v_div_scale_f64 v[217:218], vcc_lo, 1.0, v[209:210], 1.0
	v_mul_f64 v[219:220], v[217:218], v[213:214]
	v_fma_f64 v[211:212], -v[211:212], v[219:220], v[217:218]
	v_div_fmas_f64 v[211:212], v[211:212], v[213:214], v[219:220]
	v_div_fixup_f64 v[213:214], v[211:212], v[209:210], 1.0
	v_mul_f64 v[215:216], v[215:216], -v[213:214]
.LBB105_349:
	s_or_b32 exec_lo, exec_lo, s1
	ds_write2_b64 v255, v[213:214], v[215:216] offset1:1
.LBB105_350:
	s_or_b32 exec_lo, exec_lo, s2
	s_waitcnt lgkmcnt(0)
	s_barrier
	buffer_gl0_inv
	ds_read2_b64 v[183:186], v255 offset1:1
	s_mov_b32 s1, exec_lo
	s_waitcnt lgkmcnt(0)
	buffer_store_dword v183, off, s[16:19], 0 offset:1000 ; 4-byte Folded Spill
	buffer_store_dword v184, off, s[16:19], 0 offset:1004 ; 4-byte Folded Spill
	;; [unrolled: 1-line block ×4, first 2 shown]
	v_cmpx_lt_u32_e32 38, v0
	s_cbranch_execz .LBB105_352
; %bb.351:
	s_clause 0x3
	buffer_load_dword v183, off, s[16:19], 0 offset:1000
	buffer_load_dword v184, off, s[16:19], 0 offset:1004
	;; [unrolled: 1-line block ×4, first 2 shown]
	ds_read2_b64 v[211:214], v253 offset0:78 offset1:79
	s_waitcnt vmcnt(2)
	v_mul_f64 v[209:210], v[183:184], v[59:60]
	s_waitcnt vmcnt(0)
	v_mul_f64 v[59:60], v[185:186], v[59:60]
	v_fma_f64 v[209:210], v[185:186], v[57:58], v[209:210]
	v_fma_f64 v[57:58], v[183:184], v[57:58], -v[59:60]
	s_waitcnt lgkmcnt(0)
	v_mul_f64 v[59:60], v[213:214], v[209:210]
	v_fma_f64 v[59:60], v[211:212], v[57:58], -v[59:60]
	v_mul_f64 v[211:212], v[211:212], v[209:210]
	v_add_f64 v[53:54], v[53:54], -v[59:60]
	v_fma_f64 v[211:212], v[213:214], v[57:58], v[211:212]
	v_add_f64 v[55:56], v[55:56], -v[211:212]
	ds_read2_b64 v[211:214], v253 offset0:80 offset1:81
	s_waitcnt lgkmcnt(0)
	v_mul_f64 v[59:60], v[213:214], v[209:210]
	v_fma_f64 v[59:60], v[211:212], v[57:58], -v[59:60]
	v_mul_f64 v[211:212], v[211:212], v[209:210]
	v_add_f64 v[49:50], v[49:50], -v[59:60]
	v_fma_f64 v[211:212], v[213:214], v[57:58], v[211:212]
	v_add_f64 v[51:52], v[51:52], -v[211:212]
	ds_read2_b64 v[211:214], v253 offset0:82 offset1:83
	s_waitcnt lgkmcnt(0)
	v_mul_f64 v[59:60], v[213:214], v[209:210]
	v_fma_f64 v[59:60], v[211:212], v[57:58], -v[59:60]
	v_mul_f64 v[211:212], v[211:212], v[209:210]
	v_add_f64 v[45:46], v[45:46], -v[59:60]
	v_fma_f64 v[211:212], v[213:214], v[57:58], v[211:212]
	v_add_f64 v[47:48], v[47:48], -v[211:212]
	ds_read2_b64 v[211:214], v253 offset0:84 offset1:85
	s_waitcnt lgkmcnt(0)
	v_mul_f64 v[59:60], v[213:214], v[209:210]
	v_fma_f64 v[59:60], v[211:212], v[57:58], -v[59:60]
	v_mul_f64 v[211:212], v[211:212], v[209:210]
	v_add_f64 v[41:42], v[41:42], -v[59:60]
	v_fma_f64 v[211:212], v[213:214], v[57:58], v[211:212]
	v_add_f64 v[43:44], v[43:44], -v[211:212]
	ds_read2_b64 v[211:214], v253 offset0:86 offset1:87
	s_waitcnt lgkmcnt(0)
	v_mul_f64 v[59:60], v[213:214], v[209:210]
	v_fma_f64 v[59:60], v[211:212], v[57:58], -v[59:60]
	v_mul_f64 v[211:212], v[211:212], v[209:210]
	v_add_f64 v[37:38], v[37:38], -v[59:60]
	v_fma_f64 v[211:212], v[213:214], v[57:58], v[211:212]
	v_add_f64 v[39:40], v[39:40], -v[211:212]
	ds_read2_b64 v[211:214], v253 offset0:88 offset1:89
	s_waitcnt lgkmcnt(0)
	v_mul_f64 v[59:60], v[213:214], v[209:210]
	v_fma_f64 v[59:60], v[211:212], v[57:58], -v[59:60]
	v_mul_f64 v[211:212], v[211:212], v[209:210]
	v_add_f64 v[33:34], v[33:34], -v[59:60]
	v_fma_f64 v[211:212], v[213:214], v[57:58], v[211:212]
	v_add_f64 v[35:36], v[35:36], -v[211:212]
	ds_read2_b64 v[211:214], v253 offset0:90 offset1:91
	s_waitcnt lgkmcnt(0)
	v_mul_f64 v[59:60], v[213:214], v[209:210]
	v_fma_f64 v[59:60], v[211:212], v[57:58], -v[59:60]
	v_mul_f64 v[211:212], v[211:212], v[209:210]
	v_add_f64 v[29:30], v[29:30], -v[59:60]
	v_fma_f64 v[211:212], v[213:214], v[57:58], v[211:212]
	v_add_f64 v[31:32], v[31:32], -v[211:212]
	ds_read2_b64 v[211:214], v253 offset0:92 offset1:93
	s_waitcnt lgkmcnt(0)
	v_mul_f64 v[59:60], v[213:214], v[209:210]
	v_fma_f64 v[59:60], v[211:212], v[57:58], -v[59:60]
	v_mul_f64 v[211:212], v[211:212], v[209:210]
	v_add_f64 v[25:26], v[25:26], -v[59:60]
	v_fma_f64 v[211:212], v[213:214], v[57:58], v[211:212]
	v_add_f64 v[27:28], v[27:28], -v[211:212]
	ds_read2_b64 v[211:214], v253 offset0:94 offset1:95
	s_waitcnt lgkmcnt(0)
	v_mul_f64 v[59:60], v[213:214], v[209:210]
	v_fma_f64 v[59:60], v[211:212], v[57:58], -v[59:60]
	v_mul_f64 v[211:212], v[211:212], v[209:210]
	v_add_f64 v[21:22], v[21:22], -v[59:60]
	v_fma_f64 v[211:212], v[213:214], v[57:58], v[211:212]
	v_add_f64 v[23:24], v[23:24], -v[211:212]
	ds_read2_b64 v[211:214], v253 offset0:96 offset1:97
	s_waitcnt lgkmcnt(0)
	v_mul_f64 v[59:60], v[213:214], v[209:210]
	v_fma_f64 v[59:60], v[211:212], v[57:58], -v[59:60]
	v_mul_f64 v[211:212], v[211:212], v[209:210]
	v_add_f64 v[17:18], v[17:18], -v[59:60]
	v_fma_f64 v[211:212], v[213:214], v[57:58], v[211:212]
	v_add_f64 v[19:20], v[19:20], -v[211:212]
	ds_read2_b64 v[211:214], v253 offset0:98 offset1:99
	s_waitcnt lgkmcnt(0)
	v_mul_f64 v[59:60], v[213:214], v[209:210]
	v_fma_f64 v[59:60], v[211:212], v[57:58], -v[59:60]
	v_mul_f64 v[211:212], v[211:212], v[209:210]
	v_add_f64 v[13:14], v[13:14], -v[59:60]
	v_fma_f64 v[211:212], v[213:214], v[57:58], v[211:212]
	v_add_f64 v[15:16], v[15:16], -v[211:212]
	ds_read2_b64 v[211:214], v253 offset0:100 offset1:101
	s_waitcnt lgkmcnt(0)
	v_mul_f64 v[59:60], v[213:214], v[209:210]
	v_fma_f64 v[59:60], v[211:212], v[57:58], -v[59:60]
	v_mul_f64 v[211:212], v[211:212], v[209:210]
	v_add_f64 v[9:10], v[9:10], -v[59:60]
	v_fma_f64 v[211:212], v[213:214], v[57:58], v[211:212]
	v_add_f64 v[11:12], v[11:12], -v[211:212]
	ds_read2_b64 v[211:214], v253 offset0:102 offset1:103
	s_waitcnt lgkmcnt(0)
	v_mul_f64 v[59:60], v[213:214], v[209:210]
	v_fma_f64 v[59:60], v[211:212], v[57:58], -v[59:60]
	v_mul_f64 v[211:212], v[211:212], v[209:210]
	v_add_f64 v[5:6], v[5:6], -v[59:60]
	v_fma_f64 v[211:212], v[213:214], v[57:58], v[211:212]
	v_add_f64 v[7:8], v[7:8], -v[211:212]
	ds_read2_b64 v[211:214], v253 offset0:104 offset1:105
	s_waitcnt lgkmcnt(0)
	v_mul_f64 v[59:60], v[213:214], v[209:210]
	v_fma_f64 v[59:60], v[211:212], v[57:58], -v[59:60]
	v_mul_f64 v[211:212], v[211:212], v[209:210]
	v_add_f64 v[1:2], v[1:2], -v[59:60]
	v_fma_f64 v[211:212], v[213:214], v[57:58], v[211:212]
	v_mov_b32_e32 v59, v209
	v_mov_b32_e32 v60, v210
	v_add_f64 v[3:4], v[3:4], -v[211:212]
.LBB105_352:
	s_or_b32 exec_lo, exec_lo, s1
	s_mov_b32 s2, exec_lo
	s_waitcnt_vscnt null, 0x0
	s_barrier
	buffer_gl0_inv
	v_cmpx_eq_u32_e32 39, v0
	s_cbranch_execz .LBB105_359
; %bb.353:
	ds_write2_b64 v255, v[53:54], v[55:56] offset1:1
	ds_write2_b64 v253, v[49:50], v[51:52] offset0:80 offset1:81
	ds_write2_b64 v253, v[45:46], v[47:48] offset0:82 offset1:83
	;; [unrolled: 1-line block ×13, first 2 shown]
	ds_read2_b64 v[209:212], v255 offset1:1
	s_waitcnt lgkmcnt(0)
	v_cmp_neq_f64_e32 vcc_lo, 0, v[209:210]
	v_cmp_neq_f64_e64 s1, 0, v[211:212]
	s_or_b32 s1, vcc_lo, s1
	s_and_b32 exec_lo, exec_lo, s1
	s_cbranch_execz .LBB105_359
; %bb.354:
	v_cmp_ngt_f64_e64 s1, |v[209:210]|, |v[211:212]|
                                        ; implicit-def: $vgpr213_vgpr214
	s_and_saveexec_b32 s3, s1
	s_xor_b32 s1, exec_lo, s3
                                        ; implicit-def: $vgpr215_vgpr216
	s_cbranch_execz .LBB105_356
; %bb.355:
	v_div_scale_f64 v[213:214], null, v[211:212], v[211:212], v[209:210]
	v_div_scale_f64 v[219:220], vcc_lo, v[209:210], v[211:212], v[209:210]
	v_rcp_f64_e32 v[215:216], v[213:214]
	v_fma_f64 v[217:218], -v[213:214], v[215:216], 1.0
	v_fma_f64 v[215:216], v[215:216], v[217:218], v[215:216]
	v_fma_f64 v[217:218], -v[213:214], v[215:216], 1.0
	v_fma_f64 v[215:216], v[215:216], v[217:218], v[215:216]
	v_mul_f64 v[217:218], v[219:220], v[215:216]
	v_fma_f64 v[213:214], -v[213:214], v[217:218], v[219:220]
	v_div_fmas_f64 v[213:214], v[213:214], v[215:216], v[217:218]
	v_div_fixup_f64 v[213:214], v[213:214], v[211:212], v[209:210]
	v_fma_f64 v[209:210], v[209:210], v[213:214], v[211:212]
	v_div_scale_f64 v[211:212], null, v[209:210], v[209:210], 1.0
	v_rcp_f64_e32 v[215:216], v[211:212]
	v_fma_f64 v[217:218], -v[211:212], v[215:216], 1.0
	v_fma_f64 v[215:216], v[215:216], v[217:218], v[215:216]
	v_fma_f64 v[217:218], -v[211:212], v[215:216], 1.0
	v_fma_f64 v[215:216], v[215:216], v[217:218], v[215:216]
	v_div_scale_f64 v[217:218], vcc_lo, 1.0, v[209:210], 1.0
	v_mul_f64 v[219:220], v[217:218], v[215:216]
	v_fma_f64 v[211:212], -v[211:212], v[219:220], v[217:218]
	v_div_fmas_f64 v[211:212], v[211:212], v[215:216], v[219:220]
	v_div_fixup_f64 v[215:216], v[211:212], v[209:210], 1.0
                                        ; implicit-def: $vgpr209_vgpr210
	v_mul_f64 v[213:214], v[213:214], v[215:216]
	v_xor_b32_e32 v216, 0x80000000, v216
.LBB105_356:
	s_andn2_saveexec_b32 s1, s1
	s_cbranch_execz .LBB105_358
; %bb.357:
	v_div_scale_f64 v[213:214], null, v[209:210], v[209:210], v[211:212]
	v_div_scale_f64 v[219:220], vcc_lo, v[211:212], v[209:210], v[211:212]
	v_rcp_f64_e32 v[215:216], v[213:214]
	v_fma_f64 v[217:218], -v[213:214], v[215:216], 1.0
	v_fma_f64 v[215:216], v[215:216], v[217:218], v[215:216]
	v_fma_f64 v[217:218], -v[213:214], v[215:216], 1.0
	v_fma_f64 v[215:216], v[215:216], v[217:218], v[215:216]
	v_mul_f64 v[217:218], v[219:220], v[215:216]
	v_fma_f64 v[213:214], -v[213:214], v[217:218], v[219:220]
	v_div_fmas_f64 v[213:214], v[213:214], v[215:216], v[217:218]
	v_div_fixup_f64 v[215:216], v[213:214], v[209:210], v[211:212]
	v_fma_f64 v[209:210], v[211:212], v[215:216], v[209:210]
	v_div_scale_f64 v[211:212], null, v[209:210], v[209:210], 1.0
	v_rcp_f64_e32 v[213:214], v[211:212]
	v_fma_f64 v[217:218], -v[211:212], v[213:214], 1.0
	v_fma_f64 v[213:214], v[213:214], v[217:218], v[213:214]
	v_fma_f64 v[217:218], -v[211:212], v[213:214], 1.0
	v_fma_f64 v[213:214], v[213:214], v[217:218], v[213:214]
	v_div_scale_f64 v[217:218], vcc_lo, 1.0, v[209:210], 1.0
	v_mul_f64 v[219:220], v[217:218], v[213:214]
	v_fma_f64 v[211:212], -v[211:212], v[219:220], v[217:218]
	v_div_fmas_f64 v[211:212], v[211:212], v[213:214], v[219:220]
	v_div_fixup_f64 v[213:214], v[211:212], v[209:210], 1.0
	v_mul_f64 v[215:216], v[215:216], -v[213:214]
.LBB105_358:
	s_or_b32 exec_lo, exec_lo, s1
	ds_write2_b64 v255, v[213:214], v[215:216] offset1:1
.LBB105_359:
	s_or_b32 exec_lo, exec_lo, s2
	s_waitcnt lgkmcnt(0)
	s_barrier
	buffer_gl0_inv
	ds_read2_b64 v[183:186], v255 offset1:1
	s_mov_b32 s1, exec_lo
	s_waitcnt lgkmcnt(0)
	buffer_store_dword v183, off, s[16:19], 0 offset:1016 ; 4-byte Folded Spill
	buffer_store_dword v184, off, s[16:19], 0 offset:1020 ; 4-byte Folded Spill
	;; [unrolled: 1-line block ×4, first 2 shown]
	v_cmpx_lt_u32_e32 39, v0
	s_cbranch_execz .LBB105_361
; %bb.360:
	s_clause 0x3
	buffer_load_dword v183, off, s[16:19], 0 offset:1016
	buffer_load_dword v184, off, s[16:19], 0 offset:1020
	;; [unrolled: 1-line block ×4, first 2 shown]
	ds_read2_b64 v[211:214], v253 offset0:80 offset1:81
	s_waitcnt vmcnt(2)
	v_mul_f64 v[209:210], v[183:184], v[55:56]
	s_waitcnt vmcnt(0)
	v_mul_f64 v[55:56], v[185:186], v[55:56]
	v_fma_f64 v[209:210], v[185:186], v[53:54], v[209:210]
	v_fma_f64 v[53:54], v[183:184], v[53:54], -v[55:56]
	s_waitcnt lgkmcnt(0)
	v_mul_f64 v[55:56], v[213:214], v[209:210]
	v_fma_f64 v[55:56], v[211:212], v[53:54], -v[55:56]
	v_mul_f64 v[211:212], v[211:212], v[209:210]
	v_add_f64 v[49:50], v[49:50], -v[55:56]
	v_fma_f64 v[211:212], v[213:214], v[53:54], v[211:212]
	v_add_f64 v[51:52], v[51:52], -v[211:212]
	ds_read2_b64 v[211:214], v253 offset0:82 offset1:83
	s_waitcnt lgkmcnt(0)
	v_mul_f64 v[55:56], v[213:214], v[209:210]
	v_fma_f64 v[55:56], v[211:212], v[53:54], -v[55:56]
	v_mul_f64 v[211:212], v[211:212], v[209:210]
	v_add_f64 v[45:46], v[45:46], -v[55:56]
	v_fma_f64 v[211:212], v[213:214], v[53:54], v[211:212]
	v_add_f64 v[47:48], v[47:48], -v[211:212]
	ds_read2_b64 v[211:214], v253 offset0:84 offset1:85
	;; [unrolled: 8-line block ×12, first 2 shown]
	s_waitcnt lgkmcnt(0)
	v_mul_f64 v[55:56], v[213:214], v[209:210]
	v_fma_f64 v[55:56], v[211:212], v[53:54], -v[55:56]
	v_mul_f64 v[211:212], v[211:212], v[209:210]
	v_add_f64 v[1:2], v[1:2], -v[55:56]
	v_fma_f64 v[211:212], v[213:214], v[53:54], v[211:212]
	v_mov_b32_e32 v55, v209
	v_mov_b32_e32 v56, v210
	v_add_f64 v[3:4], v[3:4], -v[211:212]
.LBB105_361:
	s_or_b32 exec_lo, exec_lo, s1
	s_mov_b32 s2, exec_lo
	s_waitcnt_vscnt null, 0x0
	s_barrier
	buffer_gl0_inv
	v_cmpx_eq_u32_e32 40, v0
	s_cbranch_execz .LBB105_368
; %bb.362:
	ds_write2_b64 v255, v[49:50], v[51:52] offset1:1
	ds_write2_b64 v253, v[45:46], v[47:48] offset0:82 offset1:83
	ds_write2_b64 v253, v[41:42], v[43:44] offset0:84 offset1:85
	;; [unrolled: 1-line block ×12, first 2 shown]
	ds_read2_b64 v[209:212], v255 offset1:1
	s_waitcnt lgkmcnt(0)
	v_cmp_neq_f64_e32 vcc_lo, 0, v[209:210]
	v_cmp_neq_f64_e64 s1, 0, v[211:212]
	s_or_b32 s1, vcc_lo, s1
	s_and_b32 exec_lo, exec_lo, s1
	s_cbranch_execz .LBB105_368
; %bb.363:
	v_cmp_ngt_f64_e64 s1, |v[209:210]|, |v[211:212]|
                                        ; implicit-def: $vgpr213_vgpr214
	s_and_saveexec_b32 s3, s1
	s_xor_b32 s1, exec_lo, s3
                                        ; implicit-def: $vgpr215_vgpr216
	s_cbranch_execz .LBB105_365
; %bb.364:
	v_div_scale_f64 v[213:214], null, v[211:212], v[211:212], v[209:210]
	v_div_scale_f64 v[219:220], vcc_lo, v[209:210], v[211:212], v[209:210]
	v_rcp_f64_e32 v[215:216], v[213:214]
	v_fma_f64 v[217:218], -v[213:214], v[215:216], 1.0
	v_fma_f64 v[215:216], v[215:216], v[217:218], v[215:216]
	v_fma_f64 v[217:218], -v[213:214], v[215:216], 1.0
	v_fma_f64 v[215:216], v[215:216], v[217:218], v[215:216]
	v_mul_f64 v[217:218], v[219:220], v[215:216]
	v_fma_f64 v[213:214], -v[213:214], v[217:218], v[219:220]
	v_div_fmas_f64 v[213:214], v[213:214], v[215:216], v[217:218]
	v_div_fixup_f64 v[213:214], v[213:214], v[211:212], v[209:210]
	v_fma_f64 v[209:210], v[209:210], v[213:214], v[211:212]
	v_div_scale_f64 v[211:212], null, v[209:210], v[209:210], 1.0
	v_rcp_f64_e32 v[215:216], v[211:212]
	v_fma_f64 v[217:218], -v[211:212], v[215:216], 1.0
	v_fma_f64 v[215:216], v[215:216], v[217:218], v[215:216]
	v_fma_f64 v[217:218], -v[211:212], v[215:216], 1.0
	v_fma_f64 v[215:216], v[215:216], v[217:218], v[215:216]
	v_div_scale_f64 v[217:218], vcc_lo, 1.0, v[209:210], 1.0
	v_mul_f64 v[219:220], v[217:218], v[215:216]
	v_fma_f64 v[211:212], -v[211:212], v[219:220], v[217:218]
	v_div_fmas_f64 v[211:212], v[211:212], v[215:216], v[219:220]
	v_div_fixup_f64 v[215:216], v[211:212], v[209:210], 1.0
                                        ; implicit-def: $vgpr209_vgpr210
	v_mul_f64 v[213:214], v[213:214], v[215:216]
	v_xor_b32_e32 v216, 0x80000000, v216
.LBB105_365:
	s_andn2_saveexec_b32 s1, s1
	s_cbranch_execz .LBB105_367
; %bb.366:
	v_div_scale_f64 v[213:214], null, v[209:210], v[209:210], v[211:212]
	v_div_scale_f64 v[219:220], vcc_lo, v[211:212], v[209:210], v[211:212]
	v_rcp_f64_e32 v[215:216], v[213:214]
	v_fma_f64 v[217:218], -v[213:214], v[215:216], 1.0
	v_fma_f64 v[215:216], v[215:216], v[217:218], v[215:216]
	v_fma_f64 v[217:218], -v[213:214], v[215:216], 1.0
	v_fma_f64 v[215:216], v[215:216], v[217:218], v[215:216]
	v_mul_f64 v[217:218], v[219:220], v[215:216]
	v_fma_f64 v[213:214], -v[213:214], v[217:218], v[219:220]
	v_div_fmas_f64 v[213:214], v[213:214], v[215:216], v[217:218]
	v_div_fixup_f64 v[215:216], v[213:214], v[209:210], v[211:212]
	v_fma_f64 v[209:210], v[211:212], v[215:216], v[209:210]
	v_div_scale_f64 v[211:212], null, v[209:210], v[209:210], 1.0
	v_rcp_f64_e32 v[213:214], v[211:212]
	v_fma_f64 v[217:218], -v[211:212], v[213:214], 1.0
	v_fma_f64 v[213:214], v[213:214], v[217:218], v[213:214]
	v_fma_f64 v[217:218], -v[211:212], v[213:214], 1.0
	v_fma_f64 v[213:214], v[213:214], v[217:218], v[213:214]
	v_div_scale_f64 v[217:218], vcc_lo, 1.0, v[209:210], 1.0
	v_mul_f64 v[219:220], v[217:218], v[213:214]
	v_fma_f64 v[211:212], -v[211:212], v[219:220], v[217:218]
	v_div_fmas_f64 v[211:212], v[211:212], v[213:214], v[219:220]
	v_div_fixup_f64 v[213:214], v[211:212], v[209:210], 1.0
	v_mul_f64 v[215:216], v[215:216], -v[213:214]
.LBB105_367:
	s_or_b32 exec_lo, exec_lo, s1
	ds_write2_b64 v255, v[213:214], v[215:216] offset1:1
.LBB105_368:
	s_or_b32 exec_lo, exec_lo, s2
	s_waitcnt lgkmcnt(0)
	s_barrier
	buffer_gl0_inv
	ds_read2_b64 v[183:186], v255 offset1:1
	s_mov_b32 s1, exec_lo
	s_waitcnt lgkmcnt(0)
	buffer_store_dword v183, off, s[16:19], 0 offset:1032 ; 4-byte Folded Spill
	buffer_store_dword v184, off, s[16:19], 0 offset:1036 ; 4-byte Folded Spill
	;; [unrolled: 1-line block ×4, first 2 shown]
	v_cmpx_lt_u32_e32 40, v0
	s_cbranch_execz .LBB105_370
; %bb.369:
	s_clause 0x3
	buffer_load_dword v183, off, s[16:19], 0 offset:1032
	buffer_load_dword v184, off, s[16:19], 0 offset:1036
	;; [unrolled: 1-line block ×4, first 2 shown]
	ds_read2_b64 v[211:214], v253 offset0:82 offset1:83
	s_waitcnt vmcnt(2)
	v_mul_f64 v[209:210], v[183:184], v[51:52]
	s_waitcnt vmcnt(0)
	v_mul_f64 v[51:52], v[185:186], v[51:52]
	v_fma_f64 v[209:210], v[185:186], v[49:50], v[209:210]
	v_fma_f64 v[49:50], v[183:184], v[49:50], -v[51:52]
	s_waitcnt lgkmcnt(0)
	v_mul_f64 v[51:52], v[213:214], v[209:210]
	v_fma_f64 v[51:52], v[211:212], v[49:50], -v[51:52]
	v_mul_f64 v[211:212], v[211:212], v[209:210]
	v_add_f64 v[45:46], v[45:46], -v[51:52]
	v_fma_f64 v[211:212], v[213:214], v[49:50], v[211:212]
	v_add_f64 v[47:48], v[47:48], -v[211:212]
	ds_read2_b64 v[211:214], v253 offset0:84 offset1:85
	s_waitcnt lgkmcnt(0)
	v_mul_f64 v[51:52], v[213:214], v[209:210]
	v_fma_f64 v[51:52], v[211:212], v[49:50], -v[51:52]
	v_mul_f64 v[211:212], v[211:212], v[209:210]
	v_add_f64 v[41:42], v[41:42], -v[51:52]
	v_fma_f64 v[211:212], v[213:214], v[49:50], v[211:212]
	v_add_f64 v[43:44], v[43:44], -v[211:212]
	ds_read2_b64 v[211:214], v253 offset0:86 offset1:87
	;; [unrolled: 8-line block ×11, first 2 shown]
	s_waitcnt lgkmcnt(0)
	v_mul_f64 v[51:52], v[213:214], v[209:210]
	v_fma_f64 v[51:52], v[211:212], v[49:50], -v[51:52]
	v_mul_f64 v[211:212], v[211:212], v[209:210]
	v_add_f64 v[1:2], v[1:2], -v[51:52]
	v_fma_f64 v[211:212], v[213:214], v[49:50], v[211:212]
	v_mov_b32_e32 v51, v209
	v_mov_b32_e32 v52, v210
	v_add_f64 v[3:4], v[3:4], -v[211:212]
.LBB105_370:
	s_or_b32 exec_lo, exec_lo, s1
	s_mov_b32 s2, exec_lo
	s_waitcnt_vscnt null, 0x0
	s_barrier
	buffer_gl0_inv
	v_cmpx_eq_u32_e32 41, v0
	s_cbranch_execz .LBB105_377
; %bb.371:
	ds_write2_b64 v255, v[45:46], v[47:48] offset1:1
	ds_write2_b64 v253, v[41:42], v[43:44] offset0:84 offset1:85
	ds_write2_b64 v253, v[37:38], v[39:40] offset0:86 offset1:87
	;; [unrolled: 1-line block ×11, first 2 shown]
	ds_read2_b64 v[209:212], v255 offset1:1
	s_waitcnt lgkmcnt(0)
	v_cmp_neq_f64_e32 vcc_lo, 0, v[209:210]
	v_cmp_neq_f64_e64 s1, 0, v[211:212]
	s_or_b32 s1, vcc_lo, s1
	s_and_b32 exec_lo, exec_lo, s1
	s_cbranch_execz .LBB105_377
; %bb.372:
	v_cmp_ngt_f64_e64 s1, |v[209:210]|, |v[211:212]|
                                        ; implicit-def: $vgpr213_vgpr214
	s_and_saveexec_b32 s3, s1
	s_xor_b32 s1, exec_lo, s3
                                        ; implicit-def: $vgpr215_vgpr216
	s_cbranch_execz .LBB105_374
; %bb.373:
	v_div_scale_f64 v[213:214], null, v[211:212], v[211:212], v[209:210]
	v_div_scale_f64 v[219:220], vcc_lo, v[209:210], v[211:212], v[209:210]
	v_rcp_f64_e32 v[215:216], v[213:214]
	v_fma_f64 v[217:218], -v[213:214], v[215:216], 1.0
	v_fma_f64 v[215:216], v[215:216], v[217:218], v[215:216]
	v_fma_f64 v[217:218], -v[213:214], v[215:216], 1.0
	v_fma_f64 v[215:216], v[215:216], v[217:218], v[215:216]
	v_mul_f64 v[217:218], v[219:220], v[215:216]
	v_fma_f64 v[213:214], -v[213:214], v[217:218], v[219:220]
	v_div_fmas_f64 v[213:214], v[213:214], v[215:216], v[217:218]
	v_div_fixup_f64 v[213:214], v[213:214], v[211:212], v[209:210]
	v_fma_f64 v[209:210], v[209:210], v[213:214], v[211:212]
	v_div_scale_f64 v[211:212], null, v[209:210], v[209:210], 1.0
	v_rcp_f64_e32 v[215:216], v[211:212]
	v_fma_f64 v[217:218], -v[211:212], v[215:216], 1.0
	v_fma_f64 v[215:216], v[215:216], v[217:218], v[215:216]
	v_fma_f64 v[217:218], -v[211:212], v[215:216], 1.0
	v_fma_f64 v[215:216], v[215:216], v[217:218], v[215:216]
	v_div_scale_f64 v[217:218], vcc_lo, 1.0, v[209:210], 1.0
	v_mul_f64 v[219:220], v[217:218], v[215:216]
	v_fma_f64 v[211:212], -v[211:212], v[219:220], v[217:218]
	v_div_fmas_f64 v[211:212], v[211:212], v[215:216], v[219:220]
	v_div_fixup_f64 v[215:216], v[211:212], v[209:210], 1.0
                                        ; implicit-def: $vgpr209_vgpr210
	v_mul_f64 v[213:214], v[213:214], v[215:216]
	v_xor_b32_e32 v216, 0x80000000, v216
.LBB105_374:
	s_andn2_saveexec_b32 s1, s1
	s_cbranch_execz .LBB105_376
; %bb.375:
	v_div_scale_f64 v[213:214], null, v[209:210], v[209:210], v[211:212]
	v_div_scale_f64 v[219:220], vcc_lo, v[211:212], v[209:210], v[211:212]
	v_rcp_f64_e32 v[215:216], v[213:214]
	v_fma_f64 v[217:218], -v[213:214], v[215:216], 1.0
	v_fma_f64 v[215:216], v[215:216], v[217:218], v[215:216]
	v_fma_f64 v[217:218], -v[213:214], v[215:216], 1.0
	v_fma_f64 v[215:216], v[215:216], v[217:218], v[215:216]
	v_mul_f64 v[217:218], v[219:220], v[215:216]
	v_fma_f64 v[213:214], -v[213:214], v[217:218], v[219:220]
	v_div_fmas_f64 v[213:214], v[213:214], v[215:216], v[217:218]
	v_div_fixup_f64 v[215:216], v[213:214], v[209:210], v[211:212]
	v_fma_f64 v[209:210], v[211:212], v[215:216], v[209:210]
	v_div_scale_f64 v[211:212], null, v[209:210], v[209:210], 1.0
	v_rcp_f64_e32 v[213:214], v[211:212]
	v_fma_f64 v[217:218], -v[211:212], v[213:214], 1.0
	v_fma_f64 v[213:214], v[213:214], v[217:218], v[213:214]
	v_fma_f64 v[217:218], -v[211:212], v[213:214], 1.0
	v_fma_f64 v[213:214], v[213:214], v[217:218], v[213:214]
	v_div_scale_f64 v[217:218], vcc_lo, 1.0, v[209:210], 1.0
	v_mul_f64 v[219:220], v[217:218], v[213:214]
	v_fma_f64 v[211:212], -v[211:212], v[219:220], v[217:218]
	v_div_fmas_f64 v[211:212], v[211:212], v[213:214], v[219:220]
	v_div_fixup_f64 v[213:214], v[211:212], v[209:210], 1.0
	v_mul_f64 v[215:216], v[215:216], -v[213:214]
.LBB105_376:
	s_or_b32 exec_lo, exec_lo, s1
	ds_write2_b64 v255, v[213:214], v[215:216] offset1:1
.LBB105_377:
	s_or_b32 exec_lo, exec_lo, s2
	s_waitcnt lgkmcnt(0)
	s_barrier
	buffer_gl0_inv
	ds_read2_b64 v[183:186], v255 offset1:1
	s_mov_b32 s1, exec_lo
	s_waitcnt lgkmcnt(0)
	buffer_store_dword v183, off, s[16:19], 0 offset:1048 ; 4-byte Folded Spill
	buffer_store_dword v184, off, s[16:19], 0 offset:1052 ; 4-byte Folded Spill
	buffer_store_dword v185, off, s[16:19], 0 offset:1056 ; 4-byte Folded Spill
	buffer_store_dword v186, off, s[16:19], 0 offset:1060 ; 4-byte Folded Spill
	v_cmpx_lt_u32_e32 41, v0
	s_cbranch_execz .LBB105_379
; %bb.378:
	s_clause 0x3
	buffer_load_dword v183, off, s[16:19], 0 offset:1048
	buffer_load_dword v184, off, s[16:19], 0 offset:1052
	;; [unrolled: 1-line block ×4, first 2 shown]
	ds_read2_b64 v[211:214], v253 offset0:84 offset1:85
	s_waitcnt vmcnt(2)
	v_mul_f64 v[209:210], v[183:184], v[47:48]
	s_waitcnt vmcnt(0)
	v_mul_f64 v[47:48], v[185:186], v[47:48]
	v_fma_f64 v[209:210], v[185:186], v[45:46], v[209:210]
	v_fma_f64 v[45:46], v[183:184], v[45:46], -v[47:48]
	s_waitcnt lgkmcnt(0)
	v_mul_f64 v[47:48], v[213:214], v[209:210]
	v_fma_f64 v[47:48], v[211:212], v[45:46], -v[47:48]
	v_mul_f64 v[211:212], v[211:212], v[209:210]
	v_add_f64 v[41:42], v[41:42], -v[47:48]
	v_fma_f64 v[211:212], v[213:214], v[45:46], v[211:212]
	v_add_f64 v[43:44], v[43:44], -v[211:212]
	ds_read2_b64 v[211:214], v253 offset0:86 offset1:87
	s_waitcnt lgkmcnt(0)
	v_mul_f64 v[47:48], v[213:214], v[209:210]
	v_fma_f64 v[47:48], v[211:212], v[45:46], -v[47:48]
	v_mul_f64 v[211:212], v[211:212], v[209:210]
	v_add_f64 v[37:38], v[37:38], -v[47:48]
	v_fma_f64 v[211:212], v[213:214], v[45:46], v[211:212]
	v_add_f64 v[39:40], v[39:40], -v[211:212]
	ds_read2_b64 v[211:214], v253 offset0:88 offset1:89
	;; [unrolled: 8-line block ×10, first 2 shown]
	s_waitcnt lgkmcnt(0)
	v_mul_f64 v[47:48], v[213:214], v[209:210]
	v_fma_f64 v[47:48], v[211:212], v[45:46], -v[47:48]
	v_mul_f64 v[211:212], v[211:212], v[209:210]
	v_add_f64 v[1:2], v[1:2], -v[47:48]
	v_fma_f64 v[211:212], v[213:214], v[45:46], v[211:212]
	v_mov_b32_e32 v47, v209
	v_mov_b32_e32 v48, v210
	v_add_f64 v[3:4], v[3:4], -v[211:212]
.LBB105_379:
	s_or_b32 exec_lo, exec_lo, s1
	s_mov_b32 s2, exec_lo
	s_waitcnt_vscnt null, 0x0
	s_barrier
	buffer_gl0_inv
	v_cmpx_eq_u32_e32 42, v0
	s_cbranch_execz .LBB105_386
; %bb.380:
	ds_write2_b64 v255, v[41:42], v[43:44] offset1:1
	ds_write2_b64 v253, v[37:38], v[39:40] offset0:86 offset1:87
	ds_write2_b64 v253, v[33:34], v[35:36] offset0:88 offset1:89
	;; [unrolled: 1-line block ×10, first 2 shown]
	ds_read2_b64 v[209:212], v255 offset1:1
	s_waitcnt lgkmcnt(0)
	v_cmp_neq_f64_e32 vcc_lo, 0, v[209:210]
	v_cmp_neq_f64_e64 s1, 0, v[211:212]
	s_or_b32 s1, vcc_lo, s1
	s_and_b32 exec_lo, exec_lo, s1
	s_cbranch_execz .LBB105_386
; %bb.381:
	v_cmp_ngt_f64_e64 s1, |v[209:210]|, |v[211:212]|
                                        ; implicit-def: $vgpr213_vgpr214
	s_and_saveexec_b32 s3, s1
	s_xor_b32 s1, exec_lo, s3
                                        ; implicit-def: $vgpr215_vgpr216
	s_cbranch_execz .LBB105_383
; %bb.382:
	v_div_scale_f64 v[213:214], null, v[211:212], v[211:212], v[209:210]
	v_div_scale_f64 v[219:220], vcc_lo, v[209:210], v[211:212], v[209:210]
	v_rcp_f64_e32 v[215:216], v[213:214]
	v_fma_f64 v[217:218], -v[213:214], v[215:216], 1.0
	v_fma_f64 v[215:216], v[215:216], v[217:218], v[215:216]
	v_fma_f64 v[217:218], -v[213:214], v[215:216], 1.0
	v_fma_f64 v[215:216], v[215:216], v[217:218], v[215:216]
	v_mul_f64 v[217:218], v[219:220], v[215:216]
	v_fma_f64 v[213:214], -v[213:214], v[217:218], v[219:220]
	v_div_fmas_f64 v[213:214], v[213:214], v[215:216], v[217:218]
	v_div_fixup_f64 v[213:214], v[213:214], v[211:212], v[209:210]
	v_fma_f64 v[209:210], v[209:210], v[213:214], v[211:212]
	v_div_scale_f64 v[211:212], null, v[209:210], v[209:210], 1.0
	v_rcp_f64_e32 v[215:216], v[211:212]
	v_fma_f64 v[217:218], -v[211:212], v[215:216], 1.0
	v_fma_f64 v[215:216], v[215:216], v[217:218], v[215:216]
	v_fma_f64 v[217:218], -v[211:212], v[215:216], 1.0
	v_fma_f64 v[215:216], v[215:216], v[217:218], v[215:216]
	v_div_scale_f64 v[217:218], vcc_lo, 1.0, v[209:210], 1.0
	v_mul_f64 v[219:220], v[217:218], v[215:216]
	v_fma_f64 v[211:212], -v[211:212], v[219:220], v[217:218]
	v_div_fmas_f64 v[211:212], v[211:212], v[215:216], v[219:220]
	v_div_fixup_f64 v[215:216], v[211:212], v[209:210], 1.0
                                        ; implicit-def: $vgpr209_vgpr210
	v_mul_f64 v[213:214], v[213:214], v[215:216]
	v_xor_b32_e32 v216, 0x80000000, v216
.LBB105_383:
	s_andn2_saveexec_b32 s1, s1
	s_cbranch_execz .LBB105_385
; %bb.384:
	v_div_scale_f64 v[213:214], null, v[209:210], v[209:210], v[211:212]
	v_div_scale_f64 v[219:220], vcc_lo, v[211:212], v[209:210], v[211:212]
	v_rcp_f64_e32 v[215:216], v[213:214]
	v_fma_f64 v[217:218], -v[213:214], v[215:216], 1.0
	v_fma_f64 v[215:216], v[215:216], v[217:218], v[215:216]
	v_fma_f64 v[217:218], -v[213:214], v[215:216], 1.0
	v_fma_f64 v[215:216], v[215:216], v[217:218], v[215:216]
	v_mul_f64 v[217:218], v[219:220], v[215:216]
	v_fma_f64 v[213:214], -v[213:214], v[217:218], v[219:220]
	v_div_fmas_f64 v[213:214], v[213:214], v[215:216], v[217:218]
	v_div_fixup_f64 v[215:216], v[213:214], v[209:210], v[211:212]
	v_fma_f64 v[209:210], v[211:212], v[215:216], v[209:210]
	v_div_scale_f64 v[211:212], null, v[209:210], v[209:210], 1.0
	v_rcp_f64_e32 v[213:214], v[211:212]
	v_fma_f64 v[217:218], -v[211:212], v[213:214], 1.0
	v_fma_f64 v[213:214], v[213:214], v[217:218], v[213:214]
	v_fma_f64 v[217:218], -v[211:212], v[213:214], 1.0
	v_fma_f64 v[213:214], v[213:214], v[217:218], v[213:214]
	v_div_scale_f64 v[217:218], vcc_lo, 1.0, v[209:210], 1.0
	v_mul_f64 v[219:220], v[217:218], v[213:214]
	v_fma_f64 v[211:212], -v[211:212], v[219:220], v[217:218]
	v_div_fmas_f64 v[211:212], v[211:212], v[213:214], v[219:220]
	v_div_fixup_f64 v[213:214], v[211:212], v[209:210], 1.0
	v_mul_f64 v[215:216], v[215:216], -v[213:214]
.LBB105_385:
	s_or_b32 exec_lo, exec_lo, s1
	ds_write2_b64 v255, v[213:214], v[215:216] offset1:1
.LBB105_386:
	s_or_b32 exec_lo, exec_lo, s2
	s_waitcnt lgkmcnt(0)
	s_barrier
	buffer_gl0_inv
	ds_read2_b64 v[183:186], v255 offset1:1
	s_mov_b32 s1, exec_lo
	s_waitcnt lgkmcnt(0)
	buffer_store_dword v183, off, s[16:19], 0 offset:1064 ; 4-byte Folded Spill
	buffer_store_dword v184, off, s[16:19], 0 offset:1068 ; 4-byte Folded Spill
	;; [unrolled: 1-line block ×4, first 2 shown]
	v_cmpx_lt_u32_e32 42, v0
	s_cbranch_execz .LBB105_388
; %bb.387:
	s_clause 0x3
	buffer_load_dword v183, off, s[16:19], 0 offset:1064
	buffer_load_dword v184, off, s[16:19], 0 offset:1068
	;; [unrolled: 1-line block ×4, first 2 shown]
	s_waitcnt vmcnt(2)
	v_mul_f64 v[209:210], v[183:184], v[43:44]
	s_waitcnt vmcnt(0)
	v_mul_f64 v[43:44], v[185:186], v[43:44]
	v_fma_f64 v[213:214], v[185:186], v[41:42], v[209:210]
	ds_read2_b64 v[209:212], v253 offset0:86 offset1:87
	v_fma_f64 v[41:42], v[183:184], v[41:42], -v[43:44]
	s_waitcnt lgkmcnt(0)
	v_mul_f64 v[43:44], v[211:212], v[213:214]
	v_fma_f64 v[43:44], v[209:210], v[41:42], -v[43:44]
	v_mul_f64 v[209:210], v[209:210], v[213:214]
	v_add_f64 v[37:38], v[37:38], -v[43:44]
	v_fma_f64 v[209:210], v[211:212], v[41:42], v[209:210]
	v_add_f64 v[39:40], v[39:40], -v[209:210]
	ds_read2_b64 v[209:212], v253 offset0:88 offset1:89
	s_waitcnt lgkmcnt(0)
	v_mul_f64 v[43:44], v[211:212], v[213:214]
	v_fma_f64 v[43:44], v[209:210], v[41:42], -v[43:44]
	v_mul_f64 v[209:210], v[209:210], v[213:214]
	v_add_f64 v[33:34], v[33:34], -v[43:44]
	v_fma_f64 v[209:210], v[211:212], v[41:42], v[209:210]
	v_add_f64 v[35:36], v[35:36], -v[209:210]
	ds_read2_b64 v[209:212], v253 offset0:90 offset1:91
	;; [unrolled: 8-line block ×9, first 2 shown]
	s_waitcnt lgkmcnt(0)
	v_mul_f64 v[43:44], v[211:212], v[213:214]
	v_fma_f64 v[43:44], v[209:210], v[41:42], -v[43:44]
	v_mul_f64 v[209:210], v[209:210], v[213:214]
	v_add_f64 v[1:2], v[1:2], -v[43:44]
	v_fma_f64 v[209:210], v[211:212], v[41:42], v[209:210]
	v_mov_b32_e32 v43, v213
	v_mov_b32_e32 v44, v214
	v_add_f64 v[3:4], v[3:4], -v[209:210]
.LBB105_388:
	s_or_b32 exec_lo, exec_lo, s1
	s_mov_b32 s2, exec_lo
	s_waitcnt_vscnt null, 0x0
	s_barrier
	buffer_gl0_inv
	v_cmpx_eq_u32_e32 43, v0
	s_cbranch_execz .LBB105_395
; %bb.389:
	ds_write2_b64 v255, v[37:38], v[39:40] offset1:1
	ds_write2_b64 v253, v[33:34], v[35:36] offset0:88 offset1:89
	ds_write2_b64 v253, v[29:30], v[31:32] offset0:90 offset1:91
	;; [unrolled: 1-line block ×9, first 2 shown]
	ds_read2_b64 v[209:212], v255 offset1:1
	s_waitcnt lgkmcnt(0)
	v_cmp_neq_f64_e32 vcc_lo, 0, v[209:210]
	v_cmp_neq_f64_e64 s1, 0, v[211:212]
	s_or_b32 s1, vcc_lo, s1
	s_and_b32 exec_lo, exec_lo, s1
	s_cbranch_execz .LBB105_395
; %bb.390:
	v_cmp_ngt_f64_e64 s1, |v[209:210]|, |v[211:212]|
                                        ; implicit-def: $vgpr213_vgpr214
	s_and_saveexec_b32 s3, s1
	s_xor_b32 s1, exec_lo, s3
                                        ; implicit-def: $vgpr215_vgpr216
	s_cbranch_execz .LBB105_392
; %bb.391:
	v_div_scale_f64 v[213:214], null, v[211:212], v[211:212], v[209:210]
	v_div_scale_f64 v[219:220], vcc_lo, v[209:210], v[211:212], v[209:210]
	v_rcp_f64_e32 v[215:216], v[213:214]
	v_fma_f64 v[217:218], -v[213:214], v[215:216], 1.0
	v_fma_f64 v[215:216], v[215:216], v[217:218], v[215:216]
	v_fma_f64 v[217:218], -v[213:214], v[215:216], 1.0
	v_fma_f64 v[215:216], v[215:216], v[217:218], v[215:216]
	v_mul_f64 v[217:218], v[219:220], v[215:216]
	v_fma_f64 v[213:214], -v[213:214], v[217:218], v[219:220]
	v_div_fmas_f64 v[213:214], v[213:214], v[215:216], v[217:218]
	v_div_fixup_f64 v[213:214], v[213:214], v[211:212], v[209:210]
	v_fma_f64 v[209:210], v[209:210], v[213:214], v[211:212]
	v_div_scale_f64 v[211:212], null, v[209:210], v[209:210], 1.0
	v_rcp_f64_e32 v[215:216], v[211:212]
	v_fma_f64 v[217:218], -v[211:212], v[215:216], 1.0
	v_fma_f64 v[215:216], v[215:216], v[217:218], v[215:216]
	v_fma_f64 v[217:218], -v[211:212], v[215:216], 1.0
	v_fma_f64 v[215:216], v[215:216], v[217:218], v[215:216]
	v_div_scale_f64 v[217:218], vcc_lo, 1.0, v[209:210], 1.0
	v_mul_f64 v[219:220], v[217:218], v[215:216]
	v_fma_f64 v[211:212], -v[211:212], v[219:220], v[217:218]
	v_div_fmas_f64 v[211:212], v[211:212], v[215:216], v[219:220]
	v_div_fixup_f64 v[215:216], v[211:212], v[209:210], 1.0
                                        ; implicit-def: $vgpr209_vgpr210
	v_mul_f64 v[213:214], v[213:214], v[215:216]
	v_xor_b32_e32 v216, 0x80000000, v216
.LBB105_392:
	s_andn2_saveexec_b32 s1, s1
	s_cbranch_execz .LBB105_394
; %bb.393:
	v_div_scale_f64 v[213:214], null, v[209:210], v[209:210], v[211:212]
	v_div_scale_f64 v[219:220], vcc_lo, v[211:212], v[209:210], v[211:212]
	v_rcp_f64_e32 v[215:216], v[213:214]
	v_fma_f64 v[217:218], -v[213:214], v[215:216], 1.0
	v_fma_f64 v[215:216], v[215:216], v[217:218], v[215:216]
	v_fma_f64 v[217:218], -v[213:214], v[215:216], 1.0
	v_fma_f64 v[215:216], v[215:216], v[217:218], v[215:216]
	v_mul_f64 v[217:218], v[219:220], v[215:216]
	v_fma_f64 v[213:214], -v[213:214], v[217:218], v[219:220]
	v_div_fmas_f64 v[213:214], v[213:214], v[215:216], v[217:218]
	v_div_fixup_f64 v[215:216], v[213:214], v[209:210], v[211:212]
	v_fma_f64 v[209:210], v[211:212], v[215:216], v[209:210]
	v_div_scale_f64 v[211:212], null, v[209:210], v[209:210], 1.0
	v_rcp_f64_e32 v[213:214], v[211:212]
	v_fma_f64 v[217:218], -v[211:212], v[213:214], 1.0
	v_fma_f64 v[213:214], v[213:214], v[217:218], v[213:214]
	v_fma_f64 v[217:218], -v[211:212], v[213:214], 1.0
	v_fma_f64 v[213:214], v[213:214], v[217:218], v[213:214]
	v_div_scale_f64 v[217:218], vcc_lo, 1.0, v[209:210], 1.0
	v_mul_f64 v[219:220], v[217:218], v[213:214]
	v_fma_f64 v[211:212], -v[211:212], v[219:220], v[217:218]
	v_div_fmas_f64 v[211:212], v[211:212], v[213:214], v[219:220]
	v_div_fixup_f64 v[213:214], v[211:212], v[209:210], 1.0
	v_mul_f64 v[215:216], v[215:216], -v[213:214]
.LBB105_394:
	s_or_b32 exec_lo, exec_lo, s1
	ds_write2_b64 v255, v[213:214], v[215:216] offset1:1
.LBB105_395:
	s_or_b32 exec_lo, exec_lo, s2
	s_waitcnt lgkmcnt(0)
	s_barrier
	buffer_gl0_inv
	ds_read2_b64 v[183:186], v255 offset1:1
	s_mov_b32 s1, exec_lo
	s_waitcnt lgkmcnt(0)
	buffer_store_dword v183, off, s[16:19], 0 offset:1080 ; 4-byte Folded Spill
	buffer_store_dword v184, off, s[16:19], 0 offset:1084 ; 4-byte Folded Spill
	;; [unrolled: 1-line block ×4, first 2 shown]
	v_cmpx_lt_u32_e32 43, v0
	s_cbranch_execz .LBB105_397
; %bb.396:
	s_clause 0x3
	buffer_load_dword v183, off, s[16:19], 0 offset:1080
	buffer_load_dword v184, off, s[16:19], 0 offset:1084
	;; [unrolled: 1-line block ×4, first 2 shown]
	s_waitcnt vmcnt(2)
	v_mul_f64 v[209:210], v[183:184], v[39:40]
	s_waitcnt vmcnt(0)
	v_mul_f64 v[39:40], v[185:186], v[39:40]
	v_fma_f64 v[213:214], v[185:186], v[37:38], v[209:210]
	ds_read2_b64 v[209:212], v253 offset0:88 offset1:89
	v_fma_f64 v[37:38], v[183:184], v[37:38], -v[39:40]
	s_waitcnt lgkmcnt(0)
	v_mul_f64 v[39:40], v[211:212], v[213:214]
	v_fma_f64 v[39:40], v[209:210], v[37:38], -v[39:40]
	v_mul_f64 v[209:210], v[209:210], v[213:214]
	v_add_f64 v[33:34], v[33:34], -v[39:40]
	v_fma_f64 v[209:210], v[211:212], v[37:38], v[209:210]
	v_add_f64 v[35:36], v[35:36], -v[209:210]
	ds_read2_b64 v[209:212], v253 offset0:90 offset1:91
	s_waitcnt lgkmcnt(0)
	v_mul_f64 v[39:40], v[211:212], v[213:214]
	v_fma_f64 v[39:40], v[209:210], v[37:38], -v[39:40]
	v_mul_f64 v[209:210], v[209:210], v[213:214]
	v_add_f64 v[29:30], v[29:30], -v[39:40]
	v_fma_f64 v[209:210], v[211:212], v[37:38], v[209:210]
	v_add_f64 v[31:32], v[31:32], -v[209:210]
	ds_read2_b64 v[209:212], v253 offset0:92 offset1:93
	;; [unrolled: 8-line block ×8, first 2 shown]
	s_waitcnt lgkmcnt(0)
	v_mul_f64 v[39:40], v[211:212], v[213:214]
	v_fma_f64 v[39:40], v[209:210], v[37:38], -v[39:40]
	v_mul_f64 v[209:210], v[209:210], v[213:214]
	v_add_f64 v[1:2], v[1:2], -v[39:40]
	v_fma_f64 v[209:210], v[211:212], v[37:38], v[209:210]
	v_mov_b32_e32 v39, v213
	v_mov_b32_e32 v40, v214
	v_add_f64 v[3:4], v[3:4], -v[209:210]
.LBB105_397:
	s_or_b32 exec_lo, exec_lo, s1
	s_mov_b32 s2, exec_lo
	s_waitcnt_vscnt null, 0x0
	s_barrier
	buffer_gl0_inv
	v_cmpx_eq_u32_e32 44, v0
	s_cbranch_execz .LBB105_404
; %bb.398:
	ds_write2_b64 v255, v[33:34], v[35:36] offset1:1
	ds_write2_b64 v253, v[29:30], v[31:32] offset0:90 offset1:91
	ds_write2_b64 v253, v[25:26], v[27:28] offset0:92 offset1:93
	;; [unrolled: 1-line block ×8, first 2 shown]
	ds_read2_b64 v[209:212], v255 offset1:1
	s_waitcnt lgkmcnt(0)
	v_cmp_neq_f64_e32 vcc_lo, 0, v[209:210]
	v_cmp_neq_f64_e64 s1, 0, v[211:212]
	s_or_b32 s1, vcc_lo, s1
	s_and_b32 exec_lo, exec_lo, s1
	s_cbranch_execz .LBB105_404
; %bb.399:
	v_cmp_ngt_f64_e64 s1, |v[209:210]|, |v[211:212]|
                                        ; implicit-def: $vgpr213_vgpr214
	s_and_saveexec_b32 s3, s1
	s_xor_b32 s1, exec_lo, s3
                                        ; implicit-def: $vgpr215_vgpr216
	s_cbranch_execz .LBB105_401
; %bb.400:
	v_div_scale_f64 v[213:214], null, v[211:212], v[211:212], v[209:210]
	v_div_scale_f64 v[219:220], vcc_lo, v[209:210], v[211:212], v[209:210]
	v_rcp_f64_e32 v[215:216], v[213:214]
	v_fma_f64 v[217:218], -v[213:214], v[215:216], 1.0
	v_fma_f64 v[215:216], v[215:216], v[217:218], v[215:216]
	v_fma_f64 v[217:218], -v[213:214], v[215:216], 1.0
	v_fma_f64 v[215:216], v[215:216], v[217:218], v[215:216]
	v_mul_f64 v[217:218], v[219:220], v[215:216]
	v_fma_f64 v[213:214], -v[213:214], v[217:218], v[219:220]
	v_div_fmas_f64 v[213:214], v[213:214], v[215:216], v[217:218]
	v_div_fixup_f64 v[213:214], v[213:214], v[211:212], v[209:210]
	v_fma_f64 v[209:210], v[209:210], v[213:214], v[211:212]
	v_div_scale_f64 v[211:212], null, v[209:210], v[209:210], 1.0
	v_rcp_f64_e32 v[215:216], v[211:212]
	v_fma_f64 v[217:218], -v[211:212], v[215:216], 1.0
	v_fma_f64 v[215:216], v[215:216], v[217:218], v[215:216]
	v_fma_f64 v[217:218], -v[211:212], v[215:216], 1.0
	v_fma_f64 v[215:216], v[215:216], v[217:218], v[215:216]
	v_div_scale_f64 v[217:218], vcc_lo, 1.0, v[209:210], 1.0
	v_mul_f64 v[219:220], v[217:218], v[215:216]
	v_fma_f64 v[211:212], -v[211:212], v[219:220], v[217:218]
	v_div_fmas_f64 v[211:212], v[211:212], v[215:216], v[219:220]
	v_div_fixup_f64 v[215:216], v[211:212], v[209:210], 1.0
                                        ; implicit-def: $vgpr209_vgpr210
	v_mul_f64 v[213:214], v[213:214], v[215:216]
	v_xor_b32_e32 v216, 0x80000000, v216
.LBB105_401:
	s_andn2_saveexec_b32 s1, s1
	s_cbranch_execz .LBB105_403
; %bb.402:
	v_div_scale_f64 v[213:214], null, v[209:210], v[209:210], v[211:212]
	v_div_scale_f64 v[219:220], vcc_lo, v[211:212], v[209:210], v[211:212]
	v_rcp_f64_e32 v[215:216], v[213:214]
	v_fma_f64 v[217:218], -v[213:214], v[215:216], 1.0
	v_fma_f64 v[215:216], v[215:216], v[217:218], v[215:216]
	v_fma_f64 v[217:218], -v[213:214], v[215:216], 1.0
	v_fma_f64 v[215:216], v[215:216], v[217:218], v[215:216]
	v_mul_f64 v[217:218], v[219:220], v[215:216]
	v_fma_f64 v[213:214], -v[213:214], v[217:218], v[219:220]
	v_div_fmas_f64 v[213:214], v[213:214], v[215:216], v[217:218]
	v_div_fixup_f64 v[215:216], v[213:214], v[209:210], v[211:212]
	v_fma_f64 v[209:210], v[211:212], v[215:216], v[209:210]
	v_div_scale_f64 v[211:212], null, v[209:210], v[209:210], 1.0
	v_rcp_f64_e32 v[213:214], v[211:212]
	v_fma_f64 v[217:218], -v[211:212], v[213:214], 1.0
	v_fma_f64 v[213:214], v[213:214], v[217:218], v[213:214]
	v_fma_f64 v[217:218], -v[211:212], v[213:214], 1.0
	v_fma_f64 v[213:214], v[213:214], v[217:218], v[213:214]
	v_div_scale_f64 v[217:218], vcc_lo, 1.0, v[209:210], 1.0
	v_mul_f64 v[219:220], v[217:218], v[213:214]
	v_fma_f64 v[211:212], -v[211:212], v[219:220], v[217:218]
	v_div_fmas_f64 v[211:212], v[211:212], v[213:214], v[219:220]
	v_div_fixup_f64 v[213:214], v[211:212], v[209:210], 1.0
	v_mul_f64 v[215:216], v[215:216], -v[213:214]
.LBB105_403:
	s_or_b32 exec_lo, exec_lo, s1
	ds_write2_b64 v255, v[213:214], v[215:216] offset1:1
.LBB105_404:
	s_or_b32 exec_lo, exec_lo, s2
	s_waitcnt lgkmcnt(0)
	s_barrier
	buffer_gl0_inv
	ds_read2_b64 v[183:186], v255 offset1:1
	s_mov_b32 s1, exec_lo
	s_waitcnt lgkmcnt(0)
	buffer_store_dword v183, off, s[16:19], 0 offset:1096 ; 4-byte Folded Spill
	buffer_store_dword v184, off, s[16:19], 0 offset:1100 ; 4-byte Folded Spill
	;; [unrolled: 1-line block ×4, first 2 shown]
	v_cmpx_lt_u32_e32 44, v0
	s_cbranch_execz .LBB105_406
; %bb.405:
	s_clause 0x3
	buffer_load_dword v183, off, s[16:19], 0 offset:1096
	buffer_load_dword v184, off, s[16:19], 0 offset:1100
	;; [unrolled: 1-line block ×4, first 2 shown]
	s_waitcnt vmcnt(2)
	v_mul_f64 v[209:210], v[183:184], v[35:36]
	s_waitcnt vmcnt(0)
	v_mul_f64 v[35:36], v[185:186], v[35:36]
	v_fma_f64 v[213:214], v[185:186], v[33:34], v[209:210]
	ds_read2_b64 v[209:212], v253 offset0:90 offset1:91
	v_fma_f64 v[33:34], v[183:184], v[33:34], -v[35:36]
	s_waitcnt lgkmcnt(0)
	v_mul_f64 v[35:36], v[211:212], v[213:214]
	v_fma_f64 v[35:36], v[209:210], v[33:34], -v[35:36]
	v_mul_f64 v[209:210], v[209:210], v[213:214]
	v_add_f64 v[29:30], v[29:30], -v[35:36]
	v_fma_f64 v[209:210], v[211:212], v[33:34], v[209:210]
	v_add_f64 v[31:32], v[31:32], -v[209:210]
	ds_read2_b64 v[209:212], v253 offset0:92 offset1:93
	s_waitcnt lgkmcnt(0)
	v_mul_f64 v[35:36], v[211:212], v[213:214]
	v_fma_f64 v[35:36], v[209:210], v[33:34], -v[35:36]
	v_mul_f64 v[209:210], v[209:210], v[213:214]
	v_add_f64 v[25:26], v[25:26], -v[35:36]
	v_fma_f64 v[209:210], v[211:212], v[33:34], v[209:210]
	v_add_f64 v[27:28], v[27:28], -v[209:210]
	ds_read2_b64 v[209:212], v253 offset0:94 offset1:95
	;; [unrolled: 8-line block ×7, first 2 shown]
	s_waitcnt lgkmcnt(0)
	v_mul_f64 v[35:36], v[211:212], v[213:214]
	v_fma_f64 v[35:36], v[209:210], v[33:34], -v[35:36]
	v_mul_f64 v[209:210], v[209:210], v[213:214]
	v_add_f64 v[1:2], v[1:2], -v[35:36]
	v_fma_f64 v[209:210], v[211:212], v[33:34], v[209:210]
	v_mov_b32_e32 v35, v213
	v_mov_b32_e32 v36, v214
	v_add_f64 v[3:4], v[3:4], -v[209:210]
.LBB105_406:
	s_or_b32 exec_lo, exec_lo, s1
	s_mov_b32 s2, exec_lo
	s_waitcnt_vscnt null, 0x0
	s_barrier
	buffer_gl0_inv
	v_cmpx_eq_u32_e32 45, v0
	s_cbranch_execz .LBB105_413
; %bb.407:
	ds_write2_b64 v255, v[29:30], v[31:32] offset1:1
	ds_write2_b64 v253, v[25:26], v[27:28] offset0:92 offset1:93
	ds_write2_b64 v253, v[21:22], v[23:24] offset0:94 offset1:95
	;; [unrolled: 1-line block ×7, first 2 shown]
	ds_read2_b64 v[209:212], v255 offset1:1
	s_waitcnt lgkmcnt(0)
	v_cmp_neq_f64_e32 vcc_lo, 0, v[209:210]
	v_cmp_neq_f64_e64 s1, 0, v[211:212]
	s_or_b32 s1, vcc_lo, s1
	s_and_b32 exec_lo, exec_lo, s1
	s_cbranch_execz .LBB105_413
; %bb.408:
	v_cmp_ngt_f64_e64 s1, |v[209:210]|, |v[211:212]|
                                        ; implicit-def: $vgpr213_vgpr214
	s_and_saveexec_b32 s3, s1
	s_xor_b32 s1, exec_lo, s3
                                        ; implicit-def: $vgpr215_vgpr216
	s_cbranch_execz .LBB105_410
; %bb.409:
	v_div_scale_f64 v[213:214], null, v[211:212], v[211:212], v[209:210]
	v_div_scale_f64 v[219:220], vcc_lo, v[209:210], v[211:212], v[209:210]
	v_rcp_f64_e32 v[215:216], v[213:214]
	v_fma_f64 v[217:218], -v[213:214], v[215:216], 1.0
	v_fma_f64 v[215:216], v[215:216], v[217:218], v[215:216]
	v_fma_f64 v[217:218], -v[213:214], v[215:216], 1.0
	v_fma_f64 v[215:216], v[215:216], v[217:218], v[215:216]
	v_mul_f64 v[217:218], v[219:220], v[215:216]
	v_fma_f64 v[213:214], -v[213:214], v[217:218], v[219:220]
	v_div_fmas_f64 v[213:214], v[213:214], v[215:216], v[217:218]
	v_div_fixup_f64 v[213:214], v[213:214], v[211:212], v[209:210]
	v_fma_f64 v[209:210], v[209:210], v[213:214], v[211:212]
	v_div_scale_f64 v[211:212], null, v[209:210], v[209:210], 1.0
	v_rcp_f64_e32 v[215:216], v[211:212]
	v_fma_f64 v[217:218], -v[211:212], v[215:216], 1.0
	v_fma_f64 v[215:216], v[215:216], v[217:218], v[215:216]
	v_fma_f64 v[217:218], -v[211:212], v[215:216], 1.0
	v_fma_f64 v[215:216], v[215:216], v[217:218], v[215:216]
	v_div_scale_f64 v[217:218], vcc_lo, 1.0, v[209:210], 1.0
	v_mul_f64 v[219:220], v[217:218], v[215:216]
	v_fma_f64 v[211:212], -v[211:212], v[219:220], v[217:218]
	v_div_fmas_f64 v[211:212], v[211:212], v[215:216], v[219:220]
	v_div_fixup_f64 v[215:216], v[211:212], v[209:210], 1.0
                                        ; implicit-def: $vgpr209_vgpr210
	v_mul_f64 v[213:214], v[213:214], v[215:216]
	v_xor_b32_e32 v216, 0x80000000, v216
.LBB105_410:
	s_andn2_saveexec_b32 s1, s1
	s_cbranch_execz .LBB105_412
; %bb.411:
	v_div_scale_f64 v[213:214], null, v[209:210], v[209:210], v[211:212]
	v_div_scale_f64 v[219:220], vcc_lo, v[211:212], v[209:210], v[211:212]
	v_rcp_f64_e32 v[215:216], v[213:214]
	v_fma_f64 v[217:218], -v[213:214], v[215:216], 1.0
	v_fma_f64 v[215:216], v[215:216], v[217:218], v[215:216]
	v_fma_f64 v[217:218], -v[213:214], v[215:216], 1.0
	v_fma_f64 v[215:216], v[215:216], v[217:218], v[215:216]
	v_mul_f64 v[217:218], v[219:220], v[215:216]
	v_fma_f64 v[213:214], -v[213:214], v[217:218], v[219:220]
	v_div_fmas_f64 v[213:214], v[213:214], v[215:216], v[217:218]
	v_div_fixup_f64 v[215:216], v[213:214], v[209:210], v[211:212]
	v_fma_f64 v[209:210], v[211:212], v[215:216], v[209:210]
	v_div_scale_f64 v[211:212], null, v[209:210], v[209:210], 1.0
	v_rcp_f64_e32 v[213:214], v[211:212]
	v_fma_f64 v[217:218], -v[211:212], v[213:214], 1.0
	v_fma_f64 v[213:214], v[213:214], v[217:218], v[213:214]
	v_fma_f64 v[217:218], -v[211:212], v[213:214], 1.0
	v_fma_f64 v[213:214], v[213:214], v[217:218], v[213:214]
	v_div_scale_f64 v[217:218], vcc_lo, 1.0, v[209:210], 1.0
	v_mul_f64 v[219:220], v[217:218], v[213:214]
	v_fma_f64 v[211:212], -v[211:212], v[219:220], v[217:218]
	v_div_fmas_f64 v[211:212], v[211:212], v[213:214], v[219:220]
	v_div_fixup_f64 v[213:214], v[211:212], v[209:210], 1.0
	v_mul_f64 v[215:216], v[215:216], -v[213:214]
.LBB105_412:
	s_or_b32 exec_lo, exec_lo, s1
	ds_write2_b64 v255, v[213:214], v[215:216] offset1:1
.LBB105_413:
	s_or_b32 exec_lo, exec_lo, s2
	s_waitcnt lgkmcnt(0)
	s_barrier
	buffer_gl0_inv
	ds_read2_b64 v[183:186], v255 offset1:1
	s_mov_b32 s1, exec_lo
	s_waitcnt lgkmcnt(0)
	buffer_store_dword v183, off, s[16:19], 0 offset:1112 ; 4-byte Folded Spill
	buffer_store_dword v184, off, s[16:19], 0 offset:1116 ; 4-byte Folded Spill
	;; [unrolled: 1-line block ×4, first 2 shown]
	v_cmpx_lt_u32_e32 45, v0
	s_cbranch_execz .LBB105_415
; %bb.414:
	s_clause 0x3
	buffer_load_dword v183, off, s[16:19], 0 offset:1112
	buffer_load_dword v184, off, s[16:19], 0 offset:1116
	buffer_load_dword v185, off, s[16:19], 0 offset:1120
	buffer_load_dword v186, off, s[16:19], 0 offset:1124
	s_waitcnt vmcnt(2)
	v_mul_f64 v[209:210], v[183:184], v[31:32]
	s_waitcnt vmcnt(0)
	v_mul_f64 v[31:32], v[185:186], v[31:32]
	v_fma_f64 v[213:214], v[185:186], v[29:30], v[209:210]
	ds_read2_b64 v[209:212], v253 offset0:92 offset1:93
	v_fma_f64 v[29:30], v[183:184], v[29:30], -v[31:32]
	s_waitcnt lgkmcnt(0)
	v_mul_f64 v[31:32], v[211:212], v[213:214]
	v_fma_f64 v[31:32], v[209:210], v[29:30], -v[31:32]
	v_mul_f64 v[209:210], v[209:210], v[213:214]
	v_add_f64 v[25:26], v[25:26], -v[31:32]
	v_fma_f64 v[209:210], v[211:212], v[29:30], v[209:210]
	v_add_f64 v[27:28], v[27:28], -v[209:210]
	ds_read2_b64 v[209:212], v253 offset0:94 offset1:95
	s_waitcnt lgkmcnt(0)
	v_mul_f64 v[31:32], v[211:212], v[213:214]
	v_fma_f64 v[31:32], v[209:210], v[29:30], -v[31:32]
	v_mul_f64 v[209:210], v[209:210], v[213:214]
	v_add_f64 v[21:22], v[21:22], -v[31:32]
	v_fma_f64 v[209:210], v[211:212], v[29:30], v[209:210]
	v_add_f64 v[23:24], v[23:24], -v[209:210]
	ds_read2_b64 v[209:212], v253 offset0:96 offset1:97
	;; [unrolled: 8-line block ×6, first 2 shown]
	s_waitcnt lgkmcnt(0)
	v_mul_f64 v[31:32], v[211:212], v[213:214]
	v_fma_f64 v[31:32], v[209:210], v[29:30], -v[31:32]
	v_mul_f64 v[209:210], v[209:210], v[213:214]
	v_add_f64 v[1:2], v[1:2], -v[31:32]
	v_fma_f64 v[209:210], v[211:212], v[29:30], v[209:210]
	v_mov_b32_e32 v31, v213
	v_mov_b32_e32 v32, v214
	v_add_f64 v[3:4], v[3:4], -v[209:210]
.LBB105_415:
	s_or_b32 exec_lo, exec_lo, s1
	s_mov_b32 s2, exec_lo
	s_waitcnt_vscnt null, 0x0
	s_barrier
	buffer_gl0_inv
	v_cmpx_eq_u32_e32 46, v0
	s_cbranch_execz .LBB105_422
; %bb.416:
	ds_write2_b64 v255, v[25:26], v[27:28] offset1:1
	ds_write2_b64 v253, v[21:22], v[23:24] offset0:94 offset1:95
	ds_write2_b64 v253, v[17:18], v[19:20] offset0:96 offset1:97
	;; [unrolled: 1-line block ×6, first 2 shown]
	ds_read2_b64 v[209:212], v255 offset1:1
	s_waitcnt lgkmcnt(0)
	v_cmp_neq_f64_e32 vcc_lo, 0, v[209:210]
	v_cmp_neq_f64_e64 s1, 0, v[211:212]
	s_or_b32 s1, vcc_lo, s1
	s_and_b32 exec_lo, exec_lo, s1
	s_cbranch_execz .LBB105_422
; %bb.417:
	v_cmp_ngt_f64_e64 s1, |v[209:210]|, |v[211:212]|
                                        ; implicit-def: $vgpr213_vgpr214
	s_and_saveexec_b32 s3, s1
	s_xor_b32 s1, exec_lo, s3
                                        ; implicit-def: $vgpr215_vgpr216
	s_cbranch_execz .LBB105_419
; %bb.418:
	v_div_scale_f64 v[213:214], null, v[211:212], v[211:212], v[209:210]
	v_div_scale_f64 v[219:220], vcc_lo, v[209:210], v[211:212], v[209:210]
	v_rcp_f64_e32 v[215:216], v[213:214]
	v_fma_f64 v[217:218], -v[213:214], v[215:216], 1.0
	v_fma_f64 v[215:216], v[215:216], v[217:218], v[215:216]
	v_fma_f64 v[217:218], -v[213:214], v[215:216], 1.0
	v_fma_f64 v[215:216], v[215:216], v[217:218], v[215:216]
	v_mul_f64 v[217:218], v[219:220], v[215:216]
	v_fma_f64 v[213:214], -v[213:214], v[217:218], v[219:220]
	v_div_fmas_f64 v[213:214], v[213:214], v[215:216], v[217:218]
	v_div_fixup_f64 v[213:214], v[213:214], v[211:212], v[209:210]
	v_fma_f64 v[209:210], v[209:210], v[213:214], v[211:212]
	v_div_scale_f64 v[211:212], null, v[209:210], v[209:210], 1.0
	v_rcp_f64_e32 v[215:216], v[211:212]
	v_fma_f64 v[217:218], -v[211:212], v[215:216], 1.0
	v_fma_f64 v[215:216], v[215:216], v[217:218], v[215:216]
	v_fma_f64 v[217:218], -v[211:212], v[215:216], 1.0
	v_fma_f64 v[215:216], v[215:216], v[217:218], v[215:216]
	v_div_scale_f64 v[217:218], vcc_lo, 1.0, v[209:210], 1.0
	v_mul_f64 v[219:220], v[217:218], v[215:216]
	v_fma_f64 v[211:212], -v[211:212], v[219:220], v[217:218]
	v_div_fmas_f64 v[211:212], v[211:212], v[215:216], v[219:220]
	v_div_fixup_f64 v[215:216], v[211:212], v[209:210], 1.0
                                        ; implicit-def: $vgpr209_vgpr210
	v_mul_f64 v[213:214], v[213:214], v[215:216]
	v_xor_b32_e32 v216, 0x80000000, v216
.LBB105_419:
	s_andn2_saveexec_b32 s1, s1
	s_cbranch_execz .LBB105_421
; %bb.420:
	v_div_scale_f64 v[213:214], null, v[209:210], v[209:210], v[211:212]
	v_div_scale_f64 v[219:220], vcc_lo, v[211:212], v[209:210], v[211:212]
	v_rcp_f64_e32 v[215:216], v[213:214]
	v_fma_f64 v[217:218], -v[213:214], v[215:216], 1.0
	v_fma_f64 v[215:216], v[215:216], v[217:218], v[215:216]
	v_fma_f64 v[217:218], -v[213:214], v[215:216], 1.0
	v_fma_f64 v[215:216], v[215:216], v[217:218], v[215:216]
	v_mul_f64 v[217:218], v[219:220], v[215:216]
	v_fma_f64 v[213:214], -v[213:214], v[217:218], v[219:220]
	v_div_fmas_f64 v[213:214], v[213:214], v[215:216], v[217:218]
	v_div_fixup_f64 v[215:216], v[213:214], v[209:210], v[211:212]
	v_fma_f64 v[209:210], v[211:212], v[215:216], v[209:210]
	v_div_scale_f64 v[211:212], null, v[209:210], v[209:210], 1.0
	v_rcp_f64_e32 v[213:214], v[211:212]
	v_fma_f64 v[217:218], -v[211:212], v[213:214], 1.0
	v_fma_f64 v[213:214], v[213:214], v[217:218], v[213:214]
	v_fma_f64 v[217:218], -v[211:212], v[213:214], 1.0
	v_fma_f64 v[213:214], v[213:214], v[217:218], v[213:214]
	v_div_scale_f64 v[217:218], vcc_lo, 1.0, v[209:210], 1.0
	v_mul_f64 v[219:220], v[217:218], v[213:214]
	v_fma_f64 v[211:212], -v[211:212], v[219:220], v[217:218]
	v_div_fmas_f64 v[211:212], v[211:212], v[213:214], v[219:220]
	v_div_fixup_f64 v[213:214], v[211:212], v[209:210], 1.0
	v_mul_f64 v[215:216], v[215:216], -v[213:214]
.LBB105_421:
	s_or_b32 exec_lo, exec_lo, s1
	ds_write2_b64 v255, v[213:214], v[215:216] offset1:1
.LBB105_422:
	s_or_b32 exec_lo, exec_lo, s2
	s_waitcnt lgkmcnt(0)
	s_barrier
	buffer_gl0_inv
	ds_read2_b64 v[183:186], v255 offset1:1
	s_mov_b32 s1, exec_lo
	s_waitcnt lgkmcnt(0)
	buffer_store_dword v183, off, s[16:19], 0 offset:1128 ; 4-byte Folded Spill
	buffer_store_dword v184, off, s[16:19], 0 offset:1132 ; 4-byte Folded Spill
	;; [unrolled: 1-line block ×4, first 2 shown]
	v_cmpx_lt_u32_e32 46, v0
	s_cbranch_execz .LBB105_424
; %bb.423:
	s_clause 0x3
	buffer_load_dword v183, off, s[16:19], 0 offset:1128
	buffer_load_dword v184, off, s[16:19], 0 offset:1132
	buffer_load_dword v185, off, s[16:19], 0 offset:1136
	buffer_load_dword v186, off, s[16:19], 0 offset:1140
	s_waitcnt vmcnt(2)
	v_mul_f64 v[209:210], v[183:184], v[27:28]
	s_waitcnt vmcnt(0)
	v_mul_f64 v[27:28], v[185:186], v[27:28]
	v_fma_f64 v[213:214], v[185:186], v[25:26], v[209:210]
	ds_read2_b64 v[209:212], v253 offset0:94 offset1:95
	v_fma_f64 v[25:26], v[183:184], v[25:26], -v[27:28]
	s_waitcnt lgkmcnt(0)
	v_mul_f64 v[27:28], v[211:212], v[213:214]
	v_fma_f64 v[27:28], v[209:210], v[25:26], -v[27:28]
	v_mul_f64 v[209:210], v[209:210], v[213:214]
	v_add_f64 v[21:22], v[21:22], -v[27:28]
	v_fma_f64 v[209:210], v[211:212], v[25:26], v[209:210]
	v_add_f64 v[23:24], v[23:24], -v[209:210]
	ds_read2_b64 v[209:212], v253 offset0:96 offset1:97
	s_waitcnt lgkmcnt(0)
	v_mul_f64 v[27:28], v[211:212], v[213:214]
	v_fma_f64 v[27:28], v[209:210], v[25:26], -v[27:28]
	v_mul_f64 v[209:210], v[209:210], v[213:214]
	v_add_f64 v[17:18], v[17:18], -v[27:28]
	v_fma_f64 v[209:210], v[211:212], v[25:26], v[209:210]
	v_add_f64 v[19:20], v[19:20], -v[209:210]
	ds_read2_b64 v[209:212], v253 offset0:98 offset1:99
	;; [unrolled: 8-line block ×5, first 2 shown]
	s_waitcnt lgkmcnt(0)
	v_mul_f64 v[27:28], v[211:212], v[213:214]
	v_fma_f64 v[27:28], v[209:210], v[25:26], -v[27:28]
	v_mul_f64 v[209:210], v[209:210], v[213:214]
	v_add_f64 v[1:2], v[1:2], -v[27:28]
	v_fma_f64 v[209:210], v[211:212], v[25:26], v[209:210]
	v_mov_b32_e32 v27, v213
	v_mov_b32_e32 v28, v214
	v_add_f64 v[3:4], v[3:4], -v[209:210]
.LBB105_424:
	s_or_b32 exec_lo, exec_lo, s1
	s_mov_b32 s2, exec_lo
	s_waitcnt_vscnt null, 0x0
	s_barrier
	buffer_gl0_inv
	v_cmpx_eq_u32_e32 47, v0
	s_cbranch_execz .LBB105_431
; %bb.425:
	ds_write2_b64 v255, v[21:22], v[23:24] offset1:1
	ds_write2_b64 v253, v[17:18], v[19:20] offset0:96 offset1:97
	ds_write2_b64 v253, v[13:14], v[15:16] offset0:98 offset1:99
	;; [unrolled: 1-line block ×5, first 2 shown]
	ds_read2_b64 v[209:212], v255 offset1:1
	s_waitcnt lgkmcnt(0)
	v_cmp_neq_f64_e32 vcc_lo, 0, v[209:210]
	v_cmp_neq_f64_e64 s1, 0, v[211:212]
	s_or_b32 s1, vcc_lo, s1
	s_and_b32 exec_lo, exec_lo, s1
	s_cbranch_execz .LBB105_431
; %bb.426:
	v_cmp_ngt_f64_e64 s1, |v[209:210]|, |v[211:212]|
                                        ; implicit-def: $vgpr213_vgpr214
	s_and_saveexec_b32 s3, s1
	s_xor_b32 s1, exec_lo, s3
                                        ; implicit-def: $vgpr215_vgpr216
	s_cbranch_execz .LBB105_428
; %bb.427:
	v_div_scale_f64 v[213:214], null, v[211:212], v[211:212], v[209:210]
	v_div_scale_f64 v[219:220], vcc_lo, v[209:210], v[211:212], v[209:210]
	v_rcp_f64_e32 v[215:216], v[213:214]
	v_fma_f64 v[217:218], -v[213:214], v[215:216], 1.0
	v_fma_f64 v[215:216], v[215:216], v[217:218], v[215:216]
	v_fma_f64 v[217:218], -v[213:214], v[215:216], 1.0
	v_fma_f64 v[215:216], v[215:216], v[217:218], v[215:216]
	v_mul_f64 v[217:218], v[219:220], v[215:216]
	v_fma_f64 v[213:214], -v[213:214], v[217:218], v[219:220]
	v_div_fmas_f64 v[213:214], v[213:214], v[215:216], v[217:218]
	v_div_fixup_f64 v[213:214], v[213:214], v[211:212], v[209:210]
	v_fma_f64 v[209:210], v[209:210], v[213:214], v[211:212]
	v_div_scale_f64 v[211:212], null, v[209:210], v[209:210], 1.0
	v_rcp_f64_e32 v[215:216], v[211:212]
	v_fma_f64 v[217:218], -v[211:212], v[215:216], 1.0
	v_fma_f64 v[215:216], v[215:216], v[217:218], v[215:216]
	v_fma_f64 v[217:218], -v[211:212], v[215:216], 1.0
	v_fma_f64 v[215:216], v[215:216], v[217:218], v[215:216]
	v_div_scale_f64 v[217:218], vcc_lo, 1.0, v[209:210], 1.0
	v_mul_f64 v[219:220], v[217:218], v[215:216]
	v_fma_f64 v[211:212], -v[211:212], v[219:220], v[217:218]
	v_div_fmas_f64 v[211:212], v[211:212], v[215:216], v[219:220]
	v_div_fixup_f64 v[215:216], v[211:212], v[209:210], 1.0
                                        ; implicit-def: $vgpr209_vgpr210
	v_mul_f64 v[213:214], v[213:214], v[215:216]
	v_xor_b32_e32 v216, 0x80000000, v216
.LBB105_428:
	s_andn2_saveexec_b32 s1, s1
	s_cbranch_execz .LBB105_430
; %bb.429:
	v_div_scale_f64 v[213:214], null, v[209:210], v[209:210], v[211:212]
	v_div_scale_f64 v[219:220], vcc_lo, v[211:212], v[209:210], v[211:212]
	v_rcp_f64_e32 v[215:216], v[213:214]
	v_fma_f64 v[217:218], -v[213:214], v[215:216], 1.0
	v_fma_f64 v[215:216], v[215:216], v[217:218], v[215:216]
	v_fma_f64 v[217:218], -v[213:214], v[215:216], 1.0
	v_fma_f64 v[215:216], v[215:216], v[217:218], v[215:216]
	v_mul_f64 v[217:218], v[219:220], v[215:216]
	v_fma_f64 v[213:214], -v[213:214], v[217:218], v[219:220]
	v_div_fmas_f64 v[213:214], v[213:214], v[215:216], v[217:218]
	v_div_fixup_f64 v[215:216], v[213:214], v[209:210], v[211:212]
	v_fma_f64 v[209:210], v[211:212], v[215:216], v[209:210]
	v_div_scale_f64 v[211:212], null, v[209:210], v[209:210], 1.0
	v_rcp_f64_e32 v[213:214], v[211:212]
	v_fma_f64 v[217:218], -v[211:212], v[213:214], 1.0
	v_fma_f64 v[213:214], v[213:214], v[217:218], v[213:214]
	v_fma_f64 v[217:218], -v[211:212], v[213:214], 1.0
	v_fma_f64 v[213:214], v[213:214], v[217:218], v[213:214]
	v_div_scale_f64 v[217:218], vcc_lo, 1.0, v[209:210], 1.0
	v_mul_f64 v[219:220], v[217:218], v[213:214]
	v_fma_f64 v[211:212], -v[211:212], v[219:220], v[217:218]
	v_div_fmas_f64 v[211:212], v[211:212], v[213:214], v[219:220]
	v_div_fixup_f64 v[213:214], v[211:212], v[209:210], 1.0
	v_mul_f64 v[215:216], v[215:216], -v[213:214]
.LBB105_430:
	s_or_b32 exec_lo, exec_lo, s1
	ds_write2_b64 v255, v[213:214], v[215:216] offset1:1
.LBB105_431:
	s_or_b32 exec_lo, exec_lo, s2
	s_waitcnt lgkmcnt(0)
	s_barrier
	buffer_gl0_inv
	ds_read2_b64 v[183:186], v255 offset1:1
	s_mov_b32 s1, exec_lo
	s_waitcnt lgkmcnt(0)
	buffer_store_dword v183, off, s[16:19], 0 offset:1144 ; 4-byte Folded Spill
	buffer_store_dword v184, off, s[16:19], 0 offset:1148 ; 4-byte Folded Spill
	buffer_store_dword v185, off, s[16:19], 0 offset:1152 ; 4-byte Folded Spill
	buffer_store_dword v186, off, s[16:19], 0 offset:1156 ; 4-byte Folded Spill
	v_cmpx_lt_u32_e32 47, v0
	s_cbranch_execz .LBB105_433
; %bb.432:
	s_clause 0x3
	buffer_load_dword v183, off, s[16:19], 0 offset:1144
	buffer_load_dword v184, off, s[16:19], 0 offset:1148
	;; [unrolled: 1-line block ×4, first 2 shown]
	s_waitcnt vmcnt(2)
	v_mul_f64 v[209:210], v[183:184], v[23:24]
	s_waitcnt vmcnt(0)
	v_mul_f64 v[23:24], v[185:186], v[23:24]
	v_fma_f64 v[213:214], v[185:186], v[21:22], v[209:210]
	ds_read2_b64 v[209:212], v253 offset0:96 offset1:97
	v_fma_f64 v[21:22], v[183:184], v[21:22], -v[23:24]
	s_waitcnt lgkmcnt(0)
	v_mul_f64 v[23:24], v[211:212], v[213:214]
	v_fma_f64 v[23:24], v[209:210], v[21:22], -v[23:24]
	v_mul_f64 v[209:210], v[209:210], v[213:214]
	v_add_f64 v[17:18], v[17:18], -v[23:24]
	v_fma_f64 v[209:210], v[211:212], v[21:22], v[209:210]
	v_add_f64 v[19:20], v[19:20], -v[209:210]
	ds_read2_b64 v[209:212], v253 offset0:98 offset1:99
	s_waitcnt lgkmcnt(0)
	v_mul_f64 v[23:24], v[211:212], v[213:214]
	v_fma_f64 v[23:24], v[209:210], v[21:22], -v[23:24]
	v_mul_f64 v[209:210], v[209:210], v[213:214]
	v_add_f64 v[13:14], v[13:14], -v[23:24]
	v_fma_f64 v[209:210], v[211:212], v[21:22], v[209:210]
	v_add_f64 v[15:16], v[15:16], -v[209:210]
	ds_read2_b64 v[209:212], v253 offset0:100 offset1:101
	;; [unrolled: 8-line block ×4, first 2 shown]
	s_waitcnt lgkmcnt(0)
	v_mul_f64 v[23:24], v[211:212], v[213:214]
	v_fma_f64 v[23:24], v[209:210], v[21:22], -v[23:24]
	v_mul_f64 v[209:210], v[209:210], v[213:214]
	v_add_f64 v[1:2], v[1:2], -v[23:24]
	v_fma_f64 v[209:210], v[211:212], v[21:22], v[209:210]
	v_mov_b32_e32 v23, v213
	v_mov_b32_e32 v24, v214
	v_add_f64 v[3:4], v[3:4], -v[209:210]
.LBB105_433:
	s_or_b32 exec_lo, exec_lo, s1
	s_mov_b32 s2, exec_lo
	s_waitcnt_vscnt null, 0x0
	s_barrier
	buffer_gl0_inv
	v_cmpx_eq_u32_e32 48, v0
	s_cbranch_execz .LBB105_440
; %bb.434:
	ds_write2_b64 v255, v[17:18], v[19:20] offset1:1
	ds_write2_b64 v253, v[13:14], v[15:16] offset0:98 offset1:99
	ds_write2_b64 v253, v[9:10], v[11:12] offset0:100 offset1:101
	;; [unrolled: 1-line block ×4, first 2 shown]
	ds_read2_b64 v[209:212], v255 offset1:1
	s_waitcnt lgkmcnt(0)
	v_cmp_neq_f64_e32 vcc_lo, 0, v[209:210]
	v_cmp_neq_f64_e64 s1, 0, v[211:212]
	s_or_b32 s1, vcc_lo, s1
	s_and_b32 exec_lo, exec_lo, s1
	s_cbranch_execz .LBB105_440
; %bb.435:
	v_cmp_ngt_f64_e64 s1, |v[209:210]|, |v[211:212]|
                                        ; implicit-def: $vgpr213_vgpr214
	s_and_saveexec_b32 s3, s1
	s_xor_b32 s1, exec_lo, s3
                                        ; implicit-def: $vgpr215_vgpr216
	s_cbranch_execz .LBB105_437
; %bb.436:
	v_div_scale_f64 v[213:214], null, v[211:212], v[211:212], v[209:210]
	v_div_scale_f64 v[219:220], vcc_lo, v[209:210], v[211:212], v[209:210]
	v_rcp_f64_e32 v[215:216], v[213:214]
	v_fma_f64 v[217:218], -v[213:214], v[215:216], 1.0
	v_fma_f64 v[215:216], v[215:216], v[217:218], v[215:216]
	v_fma_f64 v[217:218], -v[213:214], v[215:216], 1.0
	v_fma_f64 v[215:216], v[215:216], v[217:218], v[215:216]
	v_mul_f64 v[217:218], v[219:220], v[215:216]
	v_fma_f64 v[213:214], -v[213:214], v[217:218], v[219:220]
	v_div_fmas_f64 v[213:214], v[213:214], v[215:216], v[217:218]
	v_div_fixup_f64 v[213:214], v[213:214], v[211:212], v[209:210]
	v_fma_f64 v[209:210], v[209:210], v[213:214], v[211:212]
	v_div_scale_f64 v[211:212], null, v[209:210], v[209:210], 1.0
	v_rcp_f64_e32 v[215:216], v[211:212]
	v_fma_f64 v[217:218], -v[211:212], v[215:216], 1.0
	v_fma_f64 v[215:216], v[215:216], v[217:218], v[215:216]
	v_fma_f64 v[217:218], -v[211:212], v[215:216], 1.0
	v_fma_f64 v[215:216], v[215:216], v[217:218], v[215:216]
	v_div_scale_f64 v[217:218], vcc_lo, 1.0, v[209:210], 1.0
	v_mul_f64 v[219:220], v[217:218], v[215:216]
	v_fma_f64 v[211:212], -v[211:212], v[219:220], v[217:218]
	v_div_fmas_f64 v[211:212], v[211:212], v[215:216], v[219:220]
	v_div_fixup_f64 v[215:216], v[211:212], v[209:210], 1.0
                                        ; implicit-def: $vgpr209_vgpr210
	v_mul_f64 v[213:214], v[213:214], v[215:216]
	v_xor_b32_e32 v216, 0x80000000, v216
.LBB105_437:
	s_andn2_saveexec_b32 s1, s1
	s_cbranch_execz .LBB105_439
; %bb.438:
	v_div_scale_f64 v[213:214], null, v[209:210], v[209:210], v[211:212]
	v_div_scale_f64 v[219:220], vcc_lo, v[211:212], v[209:210], v[211:212]
	v_rcp_f64_e32 v[215:216], v[213:214]
	v_fma_f64 v[217:218], -v[213:214], v[215:216], 1.0
	v_fma_f64 v[215:216], v[215:216], v[217:218], v[215:216]
	v_fma_f64 v[217:218], -v[213:214], v[215:216], 1.0
	v_fma_f64 v[215:216], v[215:216], v[217:218], v[215:216]
	v_mul_f64 v[217:218], v[219:220], v[215:216]
	v_fma_f64 v[213:214], -v[213:214], v[217:218], v[219:220]
	v_div_fmas_f64 v[213:214], v[213:214], v[215:216], v[217:218]
	v_div_fixup_f64 v[215:216], v[213:214], v[209:210], v[211:212]
	v_fma_f64 v[209:210], v[211:212], v[215:216], v[209:210]
	v_div_scale_f64 v[211:212], null, v[209:210], v[209:210], 1.0
	v_rcp_f64_e32 v[213:214], v[211:212]
	v_fma_f64 v[217:218], -v[211:212], v[213:214], 1.0
	v_fma_f64 v[213:214], v[213:214], v[217:218], v[213:214]
	v_fma_f64 v[217:218], -v[211:212], v[213:214], 1.0
	v_fma_f64 v[213:214], v[213:214], v[217:218], v[213:214]
	v_div_scale_f64 v[217:218], vcc_lo, 1.0, v[209:210], 1.0
	v_mul_f64 v[219:220], v[217:218], v[213:214]
	v_fma_f64 v[211:212], -v[211:212], v[219:220], v[217:218]
	v_div_fmas_f64 v[211:212], v[211:212], v[213:214], v[219:220]
	v_div_fixup_f64 v[213:214], v[211:212], v[209:210], 1.0
	v_mul_f64 v[215:216], v[215:216], -v[213:214]
.LBB105_439:
	s_or_b32 exec_lo, exec_lo, s1
	ds_write2_b64 v255, v[213:214], v[215:216] offset1:1
.LBB105_440:
	s_or_b32 exec_lo, exec_lo, s2
	s_waitcnt lgkmcnt(0)
	s_barrier
	buffer_gl0_inv
	ds_read2_b64 v[183:186], v255 offset1:1
	s_mov_b32 s1, exec_lo
	s_waitcnt lgkmcnt(0)
	buffer_store_dword v183, off, s[16:19], 0 offset:1160 ; 4-byte Folded Spill
	buffer_store_dword v184, off, s[16:19], 0 offset:1164 ; 4-byte Folded Spill
	;; [unrolled: 1-line block ×4, first 2 shown]
	v_cmpx_lt_u32_e32 48, v0
	s_cbranch_execz .LBB105_442
; %bb.441:
	s_clause 0x3
	buffer_load_dword v183, off, s[16:19], 0 offset:1160
	buffer_load_dword v184, off, s[16:19], 0 offset:1164
	;; [unrolled: 1-line block ×4, first 2 shown]
	s_waitcnt vmcnt(2)
	v_mul_f64 v[209:210], v[183:184], v[19:20]
	s_waitcnt vmcnt(0)
	v_mul_f64 v[19:20], v[185:186], v[19:20]
	v_fma_f64 v[213:214], v[185:186], v[17:18], v[209:210]
	ds_read2_b64 v[209:212], v253 offset0:98 offset1:99
	v_fma_f64 v[17:18], v[183:184], v[17:18], -v[19:20]
	s_waitcnt lgkmcnt(0)
	v_mul_f64 v[19:20], v[211:212], v[213:214]
	v_fma_f64 v[19:20], v[209:210], v[17:18], -v[19:20]
	v_mul_f64 v[209:210], v[209:210], v[213:214]
	v_add_f64 v[13:14], v[13:14], -v[19:20]
	v_fma_f64 v[209:210], v[211:212], v[17:18], v[209:210]
	v_add_f64 v[15:16], v[15:16], -v[209:210]
	ds_read2_b64 v[209:212], v253 offset0:100 offset1:101
	s_waitcnt lgkmcnt(0)
	v_mul_f64 v[19:20], v[211:212], v[213:214]
	v_fma_f64 v[19:20], v[209:210], v[17:18], -v[19:20]
	v_mul_f64 v[209:210], v[209:210], v[213:214]
	v_add_f64 v[9:10], v[9:10], -v[19:20]
	v_fma_f64 v[209:210], v[211:212], v[17:18], v[209:210]
	v_add_f64 v[11:12], v[11:12], -v[209:210]
	ds_read2_b64 v[209:212], v253 offset0:102 offset1:103
	;; [unrolled: 8-line block ×3, first 2 shown]
	s_waitcnt lgkmcnt(0)
	v_mul_f64 v[19:20], v[211:212], v[213:214]
	v_fma_f64 v[19:20], v[209:210], v[17:18], -v[19:20]
	v_mul_f64 v[209:210], v[209:210], v[213:214]
	v_add_f64 v[1:2], v[1:2], -v[19:20]
	v_fma_f64 v[209:210], v[211:212], v[17:18], v[209:210]
	v_mov_b32_e32 v19, v213
	v_mov_b32_e32 v20, v214
	v_add_f64 v[3:4], v[3:4], -v[209:210]
.LBB105_442:
	s_or_b32 exec_lo, exec_lo, s1
	s_mov_b32 s2, exec_lo
	s_waitcnt_vscnt null, 0x0
	s_barrier
	buffer_gl0_inv
	v_cmpx_eq_u32_e32 49, v0
	s_cbranch_execz .LBB105_449
; %bb.443:
	ds_write2_b64 v255, v[13:14], v[15:16] offset1:1
	ds_write2_b64 v253, v[9:10], v[11:12] offset0:100 offset1:101
	ds_write2_b64 v253, v[5:6], v[7:8] offset0:102 offset1:103
	;; [unrolled: 1-line block ×3, first 2 shown]
	ds_read2_b64 v[209:212], v255 offset1:1
	s_waitcnt lgkmcnt(0)
	v_cmp_neq_f64_e32 vcc_lo, 0, v[209:210]
	v_cmp_neq_f64_e64 s1, 0, v[211:212]
	s_or_b32 s1, vcc_lo, s1
	s_and_b32 exec_lo, exec_lo, s1
	s_cbranch_execz .LBB105_449
; %bb.444:
	v_cmp_ngt_f64_e64 s1, |v[209:210]|, |v[211:212]|
                                        ; implicit-def: $vgpr213_vgpr214
	s_and_saveexec_b32 s3, s1
	s_xor_b32 s1, exec_lo, s3
                                        ; implicit-def: $vgpr215_vgpr216
	s_cbranch_execz .LBB105_446
; %bb.445:
	v_div_scale_f64 v[213:214], null, v[211:212], v[211:212], v[209:210]
	v_div_scale_f64 v[219:220], vcc_lo, v[209:210], v[211:212], v[209:210]
	v_rcp_f64_e32 v[215:216], v[213:214]
	v_fma_f64 v[217:218], -v[213:214], v[215:216], 1.0
	v_fma_f64 v[215:216], v[215:216], v[217:218], v[215:216]
	v_fma_f64 v[217:218], -v[213:214], v[215:216], 1.0
	v_fma_f64 v[215:216], v[215:216], v[217:218], v[215:216]
	v_mul_f64 v[217:218], v[219:220], v[215:216]
	v_fma_f64 v[213:214], -v[213:214], v[217:218], v[219:220]
	v_div_fmas_f64 v[213:214], v[213:214], v[215:216], v[217:218]
	v_div_fixup_f64 v[213:214], v[213:214], v[211:212], v[209:210]
	v_fma_f64 v[209:210], v[209:210], v[213:214], v[211:212]
	v_div_scale_f64 v[211:212], null, v[209:210], v[209:210], 1.0
	v_rcp_f64_e32 v[215:216], v[211:212]
	v_fma_f64 v[217:218], -v[211:212], v[215:216], 1.0
	v_fma_f64 v[215:216], v[215:216], v[217:218], v[215:216]
	v_fma_f64 v[217:218], -v[211:212], v[215:216], 1.0
	v_fma_f64 v[215:216], v[215:216], v[217:218], v[215:216]
	v_div_scale_f64 v[217:218], vcc_lo, 1.0, v[209:210], 1.0
	v_mul_f64 v[219:220], v[217:218], v[215:216]
	v_fma_f64 v[211:212], -v[211:212], v[219:220], v[217:218]
	v_div_fmas_f64 v[211:212], v[211:212], v[215:216], v[219:220]
	v_div_fixup_f64 v[215:216], v[211:212], v[209:210], 1.0
                                        ; implicit-def: $vgpr209_vgpr210
	v_mul_f64 v[213:214], v[213:214], v[215:216]
	v_xor_b32_e32 v216, 0x80000000, v216
.LBB105_446:
	s_andn2_saveexec_b32 s1, s1
	s_cbranch_execz .LBB105_448
; %bb.447:
	v_div_scale_f64 v[213:214], null, v[209:210], v[209:210], v[211:212]
	v_div_scale_f64 v[219:220], vcc_lo, v[211:212], v[209:210], v[211:212]
	v_rcp_f64_e32 v[215:216], v[213:214]
	v_fma_f64 v[217:218], -v[213:214], v[215:216], 1.0
	v_fma_f64 v[215:216], v[215:216], v[217:218], v[215:216]
	v_fma_f64 v[217:218], -v[213:214], v[215:216], 1.0
	v_fma_f64 v[215:216], v[215:216], v[217:218], v[215:216]
	v_mul_f64 v[217:218], v[219:220], v[215:216]
	v_fma_f64 v[213:214], -v[213:214], v[217:218], v[219:220]
	v_div_fmas_f64 v[213:214], v[213:214], v[215:216], v[217:218]
	v_div_fixup_f64 v[215:216], v[213:214], v[209:210], v[211:212]
	v_fma_f64 v[209:210], v[211:212], v[215:216], v[209:210]
	v_div_scale_f64 v[211:212], null, v[209:210], v[209:210], 1.0
	v_rcp_f64_e32 v[213:214], v[211:212]
	v_fma_f64 v[217:218], -v[211:212], v[213:214], 1.0
	v_fma_f64 v[213:214], v[213:214], v[217:218], v[213:214]
	v_fma_f64 v[217:218], -v[211:212], v[213:214], 1.0
	v_fma_f64 v[213:214], v[213:214], v[217:218], v[213:214]
	v_div_scale_f64 v[217:218], vcc_lo, 1.0, v[209:210], 1.0
	v_mul_f64 v[219:220], v[217:218], v[213:214]
	v_fma_f64 v[211:212], -v[211:212], v[219:220], v[217:218]
	v_div_fmas_f64 v[211:212], v[211:212], v[213:214], v[219:220]
	v_div_fixup_f64 v[213:214], v[211:212], v[209:210], 1.0
	v_mul_f64 v[215:216], v[215:216], -v[213:214]
.LBB105_448:
	s_or_b32 exec_lo, exec_lo, s1
	ds_write2_b64 v255, v[213:214], v[215:216] offset1:1
.LBB105_449:
	s_or_b32 exec_lo, exec_lo, s2
	s_waitcnt lgkmcnt(0)
	s_barrier
	buffer_gl0_inv
	ds_read2_b64 v[183:186], v255 offset1:1
	s_mov_b32 s1, exec_lo
	s_waitcnt lgkmcnt(0)
	buffer_store_dword v183, off, s[16:19], 0 offset:1176 ; 4-byte Folded Spill
	buffer_store_dword v184, off, s[16:19], 0 offset:1180 ; 4-byte Folded Spill
	;; [unrolled: 1-line block ×4, first 2 shown]
	v_cmpx_lt_u32_e32 49, v0
	s_cbranch_execz .LBB105_451
; %bb.450:
	s_clause 0x3
	buffer_load_dword v183, off, s[16:19], 0 offset:1176
	buffer_load_dword v184, off, s[16:19], 0 offset:1180
	;; [unrolled: 1-line block ×4, first 2 shown]
	s_waitcnt vmcnt(2)
	v_mul_f64 v[209:210], v[183:184], v[15:16]
	s_waitcnt vmcnt(0)
	v_mul_f64 v[15:16], v[185:186], v[15:16]
	v_fma_f64 v[213:214], v[185:186], v[13:14], v[209:210]
	ds_read2_b64 v[209:212], v253 offset0:100 offset1:101
	v_fma_f64 v[13:14], v[183:184], v[13:14], -v[15:16]
	s_waitcnt lgkmcnt(0)
	v_mul_f64 v[15:16], v[211:212], v[213:214]
	v_fma_f64 v[15:16], v[209:210], v[13:14], -v[15:16]
	v_mul_f64 v[209:210], v[209:210], v[213:214]
	v_add_f64 v[9:10], v[9:10], -v[15:16]
	v_fma_f64 v[209:210], v[211:212], v[13:14], v[209:210]
	v_add_f64 v[11:12], v[11:12], -v[209:210]
	ds_read2_b64 v[209:212], v253 offset0:102 offset1:103
	s_waitcnt lgkmcnt(0)
	v_mul_f64 v[15:16], v[211:212], v[213:214]
	v_fma_f64 v[15:16], v[209:210], v[13:14], -v[15:16]
	v_mul_f64 v[209:210], v[209:210], v[213:214]
	v_add_f64 v[5:6], v[5:6], -v[15:16]
	v_fma_f64 v[209:210], v[211:212], v[13:14], v[209:210]
	v_add_f64 v[7:8], v[7:8], -v[209:210]
	ds_read2_b64 v[209:212], v253 offset0:104 offset1:105
	s_waitcnt lgkmcnt(0)
	v_mul_f64 v[15:16], v[211:212], v[213:214]
	v_fma_f64 v[15:16], v[209:210], v[13:14], -v[15:16]
	v_mul_f64 v[209:210], v[209:210], v[213:214]
	v_add_f64 v[1:2], v[1:2], -v[15:16]
	v_fma_f64 v[209:210], v[211:212], v[13:14], v[209:210]
	v_mov_b32_e32 v15, v213
	v_mov_b32_e32 v16, v214
	v_add_f64 v[3:4], v[3:4], -v[209:210]
.LBB105_451:
	s_or_b32 exec_lo, exec_lo, s1
	s_mov_b32 s2, exec_lo
	s_waitcnt_vscnt null, 0x0
	s_barrier
	buffer_gl0_inv
	v_cmpx_eq_u32_e32 50, v0
	s_cbranch_execz .LBB105_458
; %bb.452:
	ds_write2_b64 v255, v[9:10], v[11:12] offset1:1
	ds_write2_b64 v253, v[5:6], v[7:8] offset0:102 offset1:103
	ds_write2_b64 v253, v[1:2], v[3:4] offset0:104 offset1:105
	ds_read2_b64 v[209:212], v255 offset1:1
	s_waitcnt lgkmcnt(0)
	v_cmp_neq_f64_e32 vcc_lo, 0, v[209:210]
	v_cmp_neq_f64_e64 s1, 0, v[211:212]
	s_or_b32 s1, vcc_lo, s1
	s_and_b32 exec_lo, exec_lo, s1
	s_cbranch_execz .LBB105_458
; %bb.453:
	v_cmp_ngt_f64_e64 s1, |v[209:210]|, |v[211:212]|
                                        ; implicit-def: $vgpr213_vgpr214
	s_and_saveexec_b32 s3, s1
	s_xor_b32 s1, exec_lo, s3
                                        ; implicit-def: $vgpr215_vgpr216
	s_cbranch_execz .LBB105_455
; %bb.454:
	v_div_scale_f64 v[213:214], null, v[211:212], v[211:212], v[209:210]
	v_div_scale_f64 v[219:220], vcc_lo, v[209:210], v[211:212], v[209:210]
	v_rcp_f64_e32 v[215:216], v[213:214]
	v_fma_f64 v[217:218], -v[213:214], v[215:216], 1.0
	v_fma_f64 v[215:216], v[215:216], v[217:218], v[215:216]
	v_fma_f64 v[217:218], -v[213:214], v[215:216], 1.0
	v_fma_f64 v[215:216], v[215:216], v[217:218], v[215:216]
	v_mul_f64 v[217:218], v[219:220], v[215:216]
	v_fma_f64 v[213:214], -v[213:214], v[217:218], v[219:220]
	v_div_fmas_f64 v[213:214], v[213:214], v[215:216], v[217:218]
	v_div_fixup_f64 v[213:214], v[213:214], v[211:212], v[209:210]
	v_fma_f64 v[209:210], v[209:210], v[213:214], v[211:212]
	v_div_scale_f64 v[211:212], null, v[209:210], v[209:210], 1.0
	v_rcp_f64_e32 v[215:216], v[211:212]
	v_fma_f64 v[217:218], -v[211:212], v[215:216], 1.0
	v_fma_f64 v[215:216], v[215:216], v[217:218], v[215:216]
	v_fma_f64 v[217:218], -v[211:212], v[215:216], 1.0
	v_fma_f64 v[215:216], v[215:216], v[217:218], v[215:216]
	v_div_scale_f64 v[217:218], vcc_lo, 1.0, v[209:210], 1.0
	v_mul_f64 v[219:220], v[217:218], v[215:216]
	v_fma_f64 v[211:212], -v[211:212], v[219:220], v[217:218]
	v_div_fmas_f64 v[211:212], v[211:212], v[215:216], v[219:220]
	v_div_fixup_f64 v[215:216], v[211:212], v[209:210], 1.0
                                        ; implicit-def: $vgpr209_vgpr210
	v_mul_f64 v[213:214], v[213:214], v[215:216]
	v_xor_b32_e32 v216, 0x80000000, v216
.LBB105_455:
	s_andn2_saveexec_b32 s1, s1
	s_cbranch_execz .LBB105_457
; %bb.456:
	v_div_scale_f64 v[213:214], null, v[209:210], v[209:210], v[211:212]
	v_div_scale_f64 v[219:220], vcc_lo, v[211:212], v[209:210], v[211:212]
	v_rcp_f64_e32 v[215:216], v[213:214]
	v_fma_f64 v[217:218], -v[213:214], v[215:216], 1.0
	v_fma_f64 v[215:216], v[215:216], v[217:218], v[215:216]
	v_fma_f64 v[217:218], -v[213:214], v[215:216], 1.0
	v_fma_f64 v[215:216], v[215:216], v[217:218], v[215:216]
	v_mul_f64 v[217:218], v[219:220], v[215:216]
	v_fma_f64 v[213:214], -v[213:214], v[217:218], v[219:220]
	v_div_fmas_f64 v[213:214], v[213:214], v[215:216], v[217:218]
	v_div_fixup_f64 v[215:216], v[213:214], v[209:210], v[211:212]
	v_fma_f64 v[209:210], v[211:212], v[215:216], v[209:210]
	v_div_scale_f64 v[211:212], null, v[209:210], v[209:210], 1.0
	v_rcp_f64_e32 v[213:214], v[211:212]
	v_fma_f64 v[217:218], -v[211:212], v[213:214], 1.0
	v_fma_f64 v[213:214], v[213:214], v[217:218], v[213:214]
	v_fma_f64 v[217:218], -v[211:212], v[213:214], 1.0
	v_fma_f64 v[213:214], v[213:214], v[217:218], v[213:214]
	v_div_scale_f64 v[217:218], vcc_lo, 1.0, v[209:210], 1.0
	v_mul_f64 v[219:220], v[217:218], v[213:214]
	v_fma_f64 v[211:212], -v[211:212], v[219:220], v[217:218]
	v_div_fmas_f64 v[211:212], v[211:212], v[213:214], v[219:220]
	v_div_fixup_f64 v[213:214], v[211:212], v[209:210], 1.0
	v_mul_f64 v[215:216], v[215:216], -v[213:214]
.LBB105_457:
	s_or_b32 exec_lo, exec_lo, s1
	ds_write2_b64 v255, v[213:214], v[215:216] offset1:1
.LBB105_458:
	s_or_b32 exec_lo, exec_lo, s2
	s_waitcnt lgkmcnt(0)
	s_barrier
	buffer_gl0_inv
	ds_read2_b64 v[213:216], v255 offset1:1
	s_mov_b32 s1, exec_lo
	v_cmpx_lt_u32_e32 50, v0
	s_cbranch_execz .LBB105_460
; %bb.459:
	s_waitcnt lgkmcnt(0)
	v_mul_f64 v[209:210], v[213:214], v[11:12]
	v_mul_f64 v[11:12], v[215:216], v[11:12]
	v_fma_f64 v[217:218], v[215:216], v[9:10], v[209:210]
	ds_read2_b64 v[209:212], v253 offset0:102 offset1:103
	v_fma_f64 v[9:10], v[213:214], v[9:10], -v[11:12]
	s_waitcnt lgkmcnt(0)
	v_mul_f64 v[11:12], v[211:212], v[217:218]
	v_fma_f64 v[11:12], v[209:210], v[9:10], -v[11:12]
	v_mul_f64 v[209:210], v[209:210], v[217:218]
	v_add_f64 v[5:6], v[5:6], -v[11:12]
	v_fma_f64 v[209:210], v[211:212], v[9:10], v[209:210]
	v_add_f64 v[7:8], v[7:8], -v[209:210]
	ds_read2_b64 v[209:212], v253 offset0:104 offset1:105
	s_waitcnt lgkmcnt(0)
	v_mul_f64 v[11:12], v[211:212], v[217:218]
	v_fma_f64 v[11:12], v[209:210], v[9:10], -v[11:12]
	v_mul_f64 v[209:210], v[209:210], v[217:218]
	v_add_f64 v[1:2], v[1:2], -v[11:12]
	v_fma_f64 v[209:210], v[211:212], v[9:10], v[209:210]
	v_mov_b32_e32 v11, v217
	v_mov_b32_e32 v12, v218
	v_add_f64 v[3:4], v[3:4], -v[209:210]
.LBB105_460:
	s_or_b32 exec_lo, exec_lo, s1
	s_mov_b32 s2, exec_lo
	s_waitcnt lgkmcnt(0)
	s_barrier
	buffer_gl0_inv
	v_cmpx_eq_u32_e32 51, v0
	s_cbranch_execz .LBB105_467
; %bb.461:
	ds_write2_b64 v255, v[5:6], v[7:8] offset1:1
	ds_write2_b64 v253, v[1:2], v[3:4] offset0:104 offset1:105
	ds_read2_b64 v[209:212], v255 offset1:1
	s_waitcnt lgkmcnt(0)
	v_cmp_neq_f64_e32 vcc_lo, 0, v[209:210]
	v_cmp_neq_f64_e64 s1, 0, v[211:212]
	s_or_b32 s1, vcc_lo, s1
	s_and_b32 exec_lo, exec_lo, s1
	s_cbranch_execz .LBB105_467
; %bb.462:
	v_cmp_ngt_f64_e64 s1, |v[209:210]|, |v[211:212]|
                                        ; implicit-def: $vgpr217_vgpr218
	s_and_saveexec_b32 s3, s1
	s_xor_b32 s1, exec_lo, s3
                                        ; implicit-def: $vgpr219_vgpr220
	s_cbranch_execz .LBB105_464
; %bb.463:
	v_div_scale_f64 v[217:218], null, v[211:212], v[211:212], v[209:210]
	v_div_scale_f64 v[223:224], vcc_lo, v[209:210], v[211:212], v[209:210]
	v_rcp_f64_e32 v[219:220], v[217:218]
	v_fma_f64 v[221:222], -v[217:218], v[219:220], 1.0
	v_fma_f64 v[219:220], v[219:220], v[221:222], v[219:220]
	v_fma_f64 v[221:222], -v[217:218], v[219:220], 1.0
	v_fma_f64 v[219:220], v[219:220], v[221:222], v[219:220]
	v_mul_f64 v[221:222], v[223:224], v[219:220]
	v_fma_f64 v[217:218], -v[217:218], v[221:222], v[223:224]
	v_div_fmas_f64 v[217:218], v[217:218], v[219:220], v[221:222]
	v_div_fixup_f64 v[217:218], v[217:218], v[211:212], v[209:210]
	v_fma_f64 v[209:210], v[209:210], v[217:218], v[211:212]
	v_div_scale_f64 v[211:212], null, v[209:210], v[209:210], 1.0
	v_rcp_f64_e32 v[219:220], v[211:212]
	v_fma_f64 v[221:222], -v[211:212], v[219:220], 1.0
	v_fma_f64 v[219:220], v[219:220], v[221:222], v[219:220]
	v_fma_f64 v[221:222], -v[211:212], v[219:220], 1.0
	v_fma_f64 v[219:220], v[219:220], v[221:222], v[219:220]
	v_div_scale_f64 v[221:222], vcc_lo, 1.0, v[209:210], 1.0
	v_mul_f64 v[223:224], v[221:222], v[219:220]
	v_fma_f64 v[211:212], -v[211:212], v[223:224], v[221:222]
	v_div_fmas_f64 v[211:212], v[211:212], v[219:220], v[223:224]
	v_div_fixup_f64 v[219:220], v[211:212], v[209:210], 1.0
                                        ; implicit-def: $vgpr209_vgpr210
	v_mul_f64 v[217:218], v[217:218], v[219:220]
	v_xor_b32_e32 v220, 0x80000000, v220
.LBB105_464:
	s_andn2_saveexec_b32 s1, s1
	s_cbranch_execz .LBB105_466
; %bb.465:
	v_div_scale_f64 v[217:218], null, v[209:210], v[209:210], v[211:212]
	v_div_scale_f64 v[223:224], vcc_lo, v[211:212], v[209:210], v[211:212]
	v_rcp_f64_e32 v[219:220], v[217:218]
	v_fma_f64 v[221:222], -v[217:218], v[219:220], 1.0
	v_fma_f64 v[219:220], v[219:220], v[221:222], v[219:220]
	v_fma_f64 v[221:222], -v[217:218], v[219:220], 1.0
	v_fma_f64 v[219:220], v[219:220], v[221:222], v[219:220]
	v_mul_f64 v[221:222], v[223:224], v[219:220]
	v_fma_f64 v[217:218], -v[217:218], v[221:222], v[223:224]
	v_div_fmas_f64 v[217:218], v[217:218], v[219:220], v[221:222]
	v_div_fixup_f64 v[219:220], v[217:218], v[209:210], v[211:212]
	v_fma_f64 v[209:210], v[211:212], v[219:220], v[209:210]
	v_div_scale_f64 v[211:212], null, v[209:210], v[209:210], 1.0
	v_rcp_f64_e32 v[217:218], v[211:212]
	v_fma_f64 v[221:222], -v[211:212], v[217:218], 1.0
	v_fma_f64 v[217:218], v[217:218], v[221:222], v[217:218]
	v_fma_f64 v[221:222], -v[211:212], v[217:218], 1.0
	v_fma_f64 v[217:218], v[217:218], v[221:222], v[217:218]
	v_div_scale_f64 v[221:222], vcc_lo, 1.0, v[209:210], 1.0
	v_mul_f64 v[223:224], v[221:222], v[217:218]
	v_fma_f64 v[211:212], -v[211:212], v[223:224], v[221:222]
	v_div_fmas_f64 v[211:212], v[211:212], v[217:218], v[223:224]
	v_div_fixup_f64 v[217:218], v[211:212], v[209:210], 1.0
	v_mul_f64 v[219:220], v[219:220], -v[217:218]
.LBB105_466:
	s_or_b32 exec_lo, exec_lo, s1
	ds_write2_b64 v255, v[217:218], v[219:220] offset1:1
.LBB105_467:
	s_or_b32 exec_lo, exec_lo, s2
	s_waitcnt lgkmcnt(0)
	s_barrier
	buffer_gl0_inv
	ds_read2_b64 v[217:220], v255 offset1:1
	s_mov_b32 s1, exec_lo
	v_cmpx_lt_u32_e32 51, v0
	s_cbranch_execz .LBB105_469
; %bb.468:
	s_waitcnt lgkmcnt(0)
	v_mul_f64 v[209:210], v[217:218], v[7:8]
	v_mul_f64 v[7:8], v[219:220], v[7:8]
	v_fma_f64 v[221:222], v[219:220], v[5:6], v[209:210]
	ds_read2_b64 v[209:212], v253 offset0:104 offset1:105
	v_fma_f64 v[5:6], v[217:218], v[5:6], -v[7:8]
	s_waitcnt lgkmcnt(0)
	v_mul_f64 v[7:8], v[211:212], v[221:222]
	v_fma_f64 v[7:8], v[209:210], v[5:6], -v[7:8]
	v_mul_f64 v[209:210], v[209:210], v[221:222]
	v_add_f64 v[1:2], v[1:2], -v[7:8]
	v_fma_f64 v[209:210], v[211:212], v[5:6], v[209:210]
	v_mov_b32_e32 v7, v221
	v_mov_b32_e32 v8, v222
	v_add_f64 v[3:4], v[3:4], -v[209:210]
.LBB105_469:
	s_or_b32 exec_lo, exec_lo, s1
	s_mov_b32 s2, exec_lo
	s_waitcnt lgkmcnt(0)
	s_barrier
	buffer_gl0_inv
	v_cmpx_eq_u32_e32 52, v0
	s_cbranch_execz .LBB105_476
; %bb.470:
	v_cmp_neq_f64_e32 vcc_lo, 0, v[1:2]
	v_cmp_neq_f64_e64 s1, 0, v[3:4]
	ds_write2_b64 v255, v[1:2], v[3:4] offset1:1
	s_or_b32 s1, vcc_lo, s1
	s_and_b32 exec_lo, exec_lo, s1
	s_cbranch_execz .LBB105_476
; %bb.471:
	v_cmp_ngt_f64_e64 s1, |v[1:2]|, |v[3:4]|
                                        ; implicit-def: $vgpr209_vgpr210
	s_and_saveexec_b32 s3, s1
	s_xor_b32 s1, exec_lo, s3
                                        ; implicit-def: $vgpr211_vgpr212
	s_cbranch_execz .LBB105_473
; %bb.472:
	v_div_scale_f64 v[209:210], null, v[3:4], v[3:4], v[1:2]
	v_div_scale_f64 v[223:224], vcc_lo, v[1:2], v[3:4], v[1:2]
	v_mov_b32_e32 v186, v172
	v_mov_b32_e32 v185, v171
	;; [unrolled: 1-line block ×18, first 2 shown]
	v_rcp_f64_e32 v[211:212], v[209:210]
	v_mov_b32_e32 v246, v2
	v_mov_b32_e32 v245, v1
	;; [unrolled: 1-line block ×4, first 2 shown]
	v_fma_f64 v[221:222], -v[209:210], v[211:212], 1.0
	v_fma_f64 v[211:212], v[211:212], v[221:222], v[211:212]
	v_fma_f64 v[221:222], -v[209:210], v[211:212], 1.0
	v_fma_f64 v[211:212], v[211:212], v[221:222], v[211:212]
	v_mul_f64 v[221:222], v[223:224], v[211:212]
	v_fma_f64 v[209:210], -v[209:210], v[221:222], v[223:224]
	v_div_fmas_f64 v[209:210], v[209:210], v[211:212], v[221:222]
	v_div_fixup_f64 v[209:210], v[209:210], v[3:4], v[1:2]
	v_fma_f64 v[211:212], v[1:2], v[209:210], v[3:4]
	v_mov_b32_e32 v1, v241
	v_mov_b32_e32 v2, v242
	;; [unrolled: 1-line block ×21, first 2 shown]
	v_div_scale_f64 v[221:222], null, v[211:212], v[211:212], 1.0
	v_mov_b32_e32 v18, v22
	v_mov_b32_e32 v19, v23
	;; [unrolled: 1-line block ×20, first 2 shown]
	v_rcp_f64_e32 v[223:224], v[221:222]
	v_mov_b32_e32 v38, v42
	v_mov_b32_e32 v39, v43
	v_mov_b32_e32 v40, v44
	v_mov_b32_e32 v41, v45
	v_mov_b32_e32 v42, v46
	v_mov_b32_e32 v43, v47
	v_mov_b32_e32 v44, v48
	v_mov_b32_e32 v45, v49
	v_mov_b32_e32 v46, v50
	v_mov_b32_e32 v47, v51
	v_mov_b32_e32 v48, v52
	v_mov_b32_e32 v49, v53
	v_mov_b32_e32 v50, v54
	v_mov_b32_e32 v51, v55
	v_mov_b32_e32 v52, v56
	v_mov_b32_e32 v53, v57
	v_mov_b32_e32 v54, v58
	v_mov_b32_e32 v55, v59
	v_mov_b32_e32 v56, v60
	v_mov_b32_e32 v57, v61
	v_mov_b32_e32 v58, v62
	v_mov_b32_e32 v59, v63
	v_mov_b32_e32 v60, v64
	v_fma_f64 v[253:254], -v[221:222], v[223:224], 1.0
	v_mov_b32_e32 v61, v237
	v_mov_b32_e32 v62, v238
	;; [unrolled: 1-line block ×21, first 2 shown]
	v_fma_f64 v[223:224], v[223:224], v[253:254], v[223:224]
	v_mov_b32_e32 v78, v82
	v_mov_b32_e32 v79, v83
	v_mov_b32_e32 v80, v84
	v_mov_b32_e32 v81, v85
	v_mov_b32_e32 v82, v86
	v_mov_b32_e32 v83, v87
	v_mov_b32_e32 v84, v88
	v_mov_b32_e32 v85, v89
	v_mov_b32_e32 v86, v90
	v_mov_b32_e32 v87, v91
	v_mov_b32_e32 v88, v92
	v_mov_b32_e32 v89, v93
	v_mov_b32_e32 v90, v94
	v_mov_b32_e32 v91, v95
	v_mov_b32_e32 v92, v96
	v_mov_b32_e32 v93, v97
	v_mov_b32_e32 v94, v98
	v_mov_b32_e32 v95, v99
	v_mov_b32_e32 v96, v100
	v_mov_b32_e32 v97, v101
	v_mov_b32_e32 v98, v102
	v_fma_f64 v[253:254], -v[221:222], v[223:224], 1.0
	v_mov_b32_e32 v99, v103
	v_mov_b32_e32 v100, v104
	;; [unrolled: 1-line block ×21, first 2 shown]
	v_fma_f64 v[223:224], v[223:224], v[253:254], v[223:224]
	v_div_scale_f64 v[253:254], vcc_lo, 1.0, v[211:212], 1.0
	v_mov_b32_e32 v233, v117
	v_mov_b32_e32 v117, v121
	;; [unrolled: 1-line block ×20, first 2 shown]
	v_mul_f64 v[205:206], v[253:254], v[223:224]
	v_mov_b32_e32 v136, v140
	v_mov_b32_e32 v137, v141
	;; [unrolled: 1-line block ×21, first 2 shown]
	v_fma_f64 v[207:208], -v[221:222], v[205:206], v[253:254]
	v_mov_b32_e32 v153, v157
	v_mov_b32_e32 v154, v158
	;; [unrolled: 1-line block ×20, first 2 shown]
	v_div_fmas_f64 v[205:206], v[207:208], v[223:224], v[205:206]
	v_mov_b32_e32 v168, v164
	v_mov_b32_e32 v166, v162
	;; [unrolled: 1-line block ×53, first 2 shown]
	v_div_fixup_f64 v[211:212], v[205:206], v[211:212], 1.0
	v_mov_b32_e32 v127, v123
	v_mov_b32_e32 v126, v122
	;; [unrolled: 1-line block ×88, first 2 shown]
	v_mul_f64 v[209:210], v[209:210], v[211:212]
	v_mov_b32_e32 v47, v43
	v_mov_b32_e32 v46, v42
	;; [unrolled: 1-line block ×69, first 2 shown]
	v_xor_b32_e32 v212, 0x80000000, v212
.LBB105_473:
	s_andn2_saveexec_b32 s1, s1
	s_cbranch_execz .LBB105_475
; %bb.474:
	v_div_scale_f64 v[205:206], null, v[1:2], v[1:2], v[3:4]
	v_mov_b32_e32 v254, v208
	v_mov_b32_e32 v253, v207
	v_div_scale_f64 v[211:212], vcc_lo, v[3:4], v[1:2], v[3:4]
	v_rcp_f64_e32 v[207:208], v[205:206]
	v_fma_f64 v[209:210], -v[205:206], v[207:208], 1.0
	v_fma_f64 v[207:208], v[207:208], v[209:210], v[207:208]
	v_fma_f64 v[209:210], -v[205:206], v[207:208], 1.0
	v_fma_f64 v[207:208], v[207:208], v[209:210], v[207:208]
	v_mul_f64 v[209:210], v[211:212], v[207:208]
	v_fma_f64 v[205:206], -v[205:206], v[209:210], v[211:212]
	v_div_fmas_f64 v[205:206], v[205:206], v[207:208], v[209:210]
	v_div_fixup_f64 v[205:206], v[205:206], v[1:2], v[3:4]
	v_fma_f64 v[207:208], v[3:4], v[205:206], v[1:2]
	v_div_scale_f64 v[209:210], null, v[207:208], v[207:208], 1.0
	v_rcp_f64_e32 v[211:212], v[209:210]
	v_fma_f64 v[221:222], -v[209:210], v[211:212], 1.0
	v_fma_f64 v[211:212], v[211:212], v[221:222], v[211:212]
	v_fma_f64 v[221:222], -v[209:210], v[211:212], 1.0
	v_fma_f64 v[211:212], v[211:212], v[221:222], v[211:212]
	v_div_scale_f64 v[221:222], vcc_lo, 1.0, v[207:208], 1.0
	v_mul_f64 v[223:224], v[221:222], v[211:212]
	v_fma_f64 v[209:210], -v[209:210], v[223:224], v[221:222]
	v_div_fmas_f64 v[209:210], v[209:210], v[211:212], v[223:224]
	v_div_fixup_f64 v[209:210], v[209:210], v[207:208], 1.0
	v_mov_b32_e32 v207, v253
	v_mov_b32_e32 v208, v254
	v_mul_f64 v[211:212], v[205:206], -v[209:210]
.LBB105_475:
	s_or_b32 exec_lo, exec_lo, s1
	ds_write2_b64 v255, v[209:210], v[211:212] offset1:1
.LBB105_476:
	s_or_b32 exec_lo, exec_lo, s2
	s_waitcnt lgkmcnt(0)
	s_barrier
	buffer_gl0_inv
	ds_read2_b64 v[209:212], v255 offset1:1
	s_mov_b32 s1, exec_lo
	v_cmpx_lt_u32_e32 52, v0
	s_cbranch_execz .LBB105_478
; %bb.477:
	s_waitcnt lgkmcnt(0)
	v_mul_f64 v[205:206], v[211:212], v[3:4]
	v_mul_f64 v[3:4], v[209:210], v[3:4]
	v_fma_f64 v[205:206], v[209:210], v[1:2], -v[205:206]
	v_fma_f64 v[3:4], v[211:212], v[1:2], v[3:4]
	v_mov_b32_e32 v1, v205
	v_mov_b32_e32 v2, v206
.LBB105_478:
	s_or_b32 exec_lo, exec_lo, s1
	v_mov_b32_e32 v186, v164
	v_mov_b32_e32 v194, v168
	;; [unrolled: 1-line block ×12, first 2 shown]
	s_waitcnt lgkmcnt(0)
	s_barrier
	buffer_gl0_inv
	s_and_saveexec_b32 s8, s0
	s_cbranch_execz .LBB105_481
; %bb.479:
	v_mov_b32_e32 v168, v160
	v_mov_b32_e32 v169, v173
	;; [unrolled: 1-line block ×9, first 2 shown]
	s_clause 0x3
	buffer_load_dword v173, off, s[16:19], 0 offset:680
	buffer_load_dword v174, off, s[16:19], 0 offset:684
	;; [unrolled: 1-line block ×4, first 2 shown]
	v_mov_b32_e32 v158, v178
	v_mov_b32_e32 v159, v179
	;; [unrolled: 1-line block ×3, first 2 shown]
	s_clause 0x3
	buffer_load_dword v177, off, s[16:19], 0 offset:664
	buffer_load_dword v178, off, s[16:19], 0 offset:668
	;; [unrolled: 1-line block ×4, first 2 shown]
	v_mov_b32_e32 v161, v225
	v_mov_b32_e32 v162, v226
	v_mov_b32_e32 v163, v227
	v_mov_b32_e32 v164, v228
	s_clause 0x3
	buffer_load_dword v225, off, s[16:19], 0 offset:464
	buffer_load_dword v226, off, s[16:19], 0 offset:468
	buffer_load_dword v227, off, s[16:19], 0 offset:472
	buffer_load_dword v228, off, s[16:19], 0 offset:476
	v_lshlrev_b64 v[205:206], 2, v[189:190]
	s_waitcnt vmcnt(6)
	v_cmp_neq_f64_e64 s1, 0, v[177:178]
	s_waitcnt vmcnt(4)
	v_cmp_neq_f64_e64 s2, 0, v[179:180]
	s_clause 0x3
	buffer_load_dword v177, off, s[16:19], 0 offset:504
	buffer_load_dword v178, off, s[16:19], 0 offset:508
	;; [unrolled: 1-line block ×4, first 2 shown]
	s_waitcnt vmcnt(6)
	v_cmp_eq_f64_e32 vcc_lo, 0, v[225:226]
	s_waitcnt vmcnt(4)
	v_cmp_eq_f64_e64 s0, 0, v[227:228]
	s_or_b32 s1, s1, s2
	s_and_b32 s0, vcc_lo, s0
	v_cndmask_b32_e64 v0, 0, 1, s0
	s_or_b32 s0, s1, s0
	v_cndmask_b32_e64 v0, 2, v0, s0
	v_cmp_eq_u32_e64 s0, 0, v0
	s_waitcnt vmcnt(2)
	v_cmp_eq_f64_e64 s3, 0, v[177:178]
	s_waitcnt vmcnt(0)
	v_cmp_eq_f64_e64 s4, 0, v[179:180]
	s_clause 0x3
	buffer_load_dword v177, off, s[16:19], 0 offset:520
	buffer_load_dword v178, off, s[16:19], 0 offset:524
	buffer_load_dword v179, off, s[16:19], 0 offset:528
	buffer_load_dword v180, off, s[16:19], 0 offset:532
	s_and_b32 s3, s3, s4
	s_and_b32 s0, s3, s0
	v_cndmask_b32_e64 v0, v0, 3, s0
	v_cmp_eq_u32_e64 s0, 0, v0
	s_waitcnt vmcnt(2)
	v_cmp_eq_f64_e64 s5, 0, v[177:178]
	s_waitcnt vmcnt(0)
	v_cmp_eq_f64_e32 vcc_lo, 0, v[179:180]
	s_clause 0x3
	buffer_load_dword v177, off, s[16:19], 0 offset:536
	buffer_load_dword v178, off, s[16:19], 0 offset:540
	buffer_load_dword v179, off, s[16:19], 0 offset:544
	buffer_load_dword v180, off, s[16:19], 0 offset:548
	s_and_b32 s5, s5, vcc_lo
	s_and_b32 s0, s5, s0
	v_cndmask_b32_e64 v0, v0, 4, s0
	v_cmp_eq_u32_e32 vcc_lo, 0, v0
	s_waitcnt vmcnt(2)
	v_cmp_eq_f64_e64 s1, 0, v[177:178]
	s_waitcnt vmcnt(0)
	v_cmp_eq_f64_e64 s2, 0, v[179:180]
	s_clause 0x3
	buffer_load_dword v177, off, s[16:19], 0 offset:552
	buffer_load_dword v178, off, s[16:19], 0 offset:556
	;; [unrolled: 1-line block ×4, first 2 shown]
	s_and_b32 s1, s1, s2
	s_and_b32 s1, s1, vcc_lo
	v_cndmask_b32_e64 v0, v0, 5, s1
	v_cmp_eq_u32_e32 vcc_lo, 0, v0
	s_waitcnt vmcnt(2)
	v_cmp_eq_f64_e64 s3, 0, v[177:178]
	s_waitcnt vmcnt(0)
	v_cmp_eq_f64_e64 s4, 0, v[179:180]
	s_clause 0x3
	buffer_load_dword v177, off, s[16:19], 0 offset:568
	buffer_load_dword v178, off, s[16:19], 0 offset:572
	;; [unrolled: 1-line block ×4, first 2 shown]
	s_and_b32 s3, s3, s4
	s_and_b32 s3, s3, vcc_lo
	v_cndmask_b32_e64 v0, v0, 6, s3
	v_cmp_eq_u32_e32 vcc_lo, 0, v0
	s_waitcnt vmcnt(2)
	v_cmp_eq_f64_e64 s0, 0, v[177:178]
	s_waitcnt vmcnt(0)
	v_cmp_eq_f64_e64 s5, 0, v[179:180]
	s_clause 0x3
	buffer_load_dword v177, off, s[16:19], 0 offset:584
	buffer_load_dword v178, off, s[16:19], 0 offset:588
	;; [unrolled: 1-line block ×4, first 2 shown]
	s_and_b32 s0, s0, s5
	v_cmp_eq_f64_e64 s5, 0, v[175:176]
	s_and_b32 s0, s0, vcc_lo
	v_cndmask_b32_e64 v0, v0, 7, s0
	v_cmp_eq_f64_e64 s0, 0, v[173:174]
	v_cmp_eq_u32_e32 vcc_lo, 0, v0
	s_and_b32 s0, s0, s5
	v_cmp_eq_f64_e64 s5, 0, v[231:232]
	s_waitcnt vmcnt(2)
	v_cmp_eq_f64_e64 s1, 0, v[177:178]
	s_waitcnt vmcnt(0)
	v_cmp_eq_f64_e64 s2, 0, v[179:180]
	s_clause 0x3
	buffer_load_dword v177, off, s[16:19], 0 offset:600
	buffer_load_dword v178, off, s[16:19], 0 offset:604
	;; [unrolled: 1-line block ×4, first 2 shown]
	s_and_b32 s1, s1, s2
	v_cmp_eq_f64_e64 s2, 0, v[163:164]
	s_and_b32 s1, s1, vcc_lo
	v_cndmask_b32_e64 v0, v0, 8, s1
	v_cmp_eq_f64_e64 s1, 0, v[161:162]
	s_clause 0x3
	buffer_load_dword v161, off, s[16:19], 0 offset:696
	buffer_load_dword v162, off, s[16:19], 0 offset:700
	;; [unrolled: 1-line block ×4, first 2 shown]
	v_cmp_eq_u32_e32 vcc_lo, 0, v0
	s_and_b32 s1, s1, s2
	v_cmp_eq_f64_e64 s2, 0, v[235:236]
	s_waitcnt vmcnt(6)
	v_cmp_eq_f64_e64 s3, 0, v[177:178]
	s_waitcnt vmcnt(4)
	v_cmp_eq_f64_e64 s4, 0, v[179:180]
	s_and_b32 s3, s3, s4
	v_cmp_eq_f64_e64 s4, 0, v[159:160]
	s_and_b32 s3, s3, vcc_lo
	v_cndmask_b32_e64 v0, v0, 9, s3
	v_cmp_eq_f64_e64 s3, 0, v[157:158]
	v_mov_b32_e32 v157, v165
	v_mov_b32_e32 v158, v166
	;; [unrolled: 1-line block ×3, first 2 shown]
	v_cmp_eq_u32_e32 vcc_lo, 0, v0
	v_mov_b32_e32 v160, v168
	s_and_b32 s0, s0, vcc_lo
	v_cndmask_b32_e64 v0, v0, 10, s0
	v_cmp_eq_f64_e64 s0, 0, v[229:230]
	v_cmp_eq_u32_e32 vcc_lo, 0, v0
	s_and_b32 s1, s1, vcc_lo
	s_and_b32 s3, s3, s4
	v_cndmask_b32_e64 v0, v0, 11, s1
	v_cmp_eq_f64_e64 s1, 0, v[233:234]
	v_cmp_eq_f64_e64 s4, 0, v[239:240]
	v_cmp_eq_u32_e32 vcc_lo, 0, v0
	s_and_b32 s3, s3, vcc_lo
	s_and_b32 s0, s0, s5
	v_cndmask_b32_e64 v0, v0, 12, s3
	v_cmp_eq_f64_e64 s3, 0, v[237:238]
	;; [unrolled: 6-line block ×5, first 2 shown]
	v_cmp_eq_f64_e64 s5, 0, v[171:172]
	v_cmp_eq_u32_e32 vcc_lo, 0, v0
	s_and_b32 s0, s0, vcc_lo
	s_and_b32 s1, s1, s2
	v_cndmask_b32_e64 v0, v0, 16, s0
	s_waitcnt vmcnt(0)
	v_cmp_eq_f64_e64 s2, 0, v[163:164]
	v_cmp_eq_f64_e64 s0, 0, v[169:170]
	v_cmp_eq_u32_e32 vcc_lo, 0, v0
	s_and_b32 s1, s1, vcc_lo
	s_and_b32 s3, s3, s4
	v_cndmask_b32_e64 v0, v0, 17, s1
	v_cmp_eq_f64_e64 s1, 0, v[161:162]
	s_clause 0x3
	buffer_load_dword v161, off, s[16:19], 0 offset:712
	buffer_load_dword v162, off, s[16:19], 0 offset:716
	;; [unrolled: 1-line block ×4, first 2 shown]
	v_cmp_eq_u32_e32 vcc_lo, 0, v0
	s_and_b32 s3, s3, vcc_lo
	v_cndmask_b32_e64 v0, v0, 18, s3
	s_and_b32 s0, s0, s5
	v_cmp_eq_u32_e32 vcc_lo, 0, v0
	s_and_b32 s0, s0, vcc_lo
	s_and_b32 s1, s1, s2
	v_cndmask_b32_e64 v0, v0, 19, s0
	v_cmp_eq_u32_e32 vcc_lo, 0, v0
	s_and_b32 s1, s1, vcc_lo
	v_cndmask_b32_e64 v0, v0, 20, s1
	v_cmp_eq_u32_e32 vcc_lo, 0, v0
	s_waitcnt vmcnt(2)
	v_cmp_eq_f64_e64 s3, 0, v[161:162]
	s_waitcnt vmcnt(0)
	v_cmp_eq_f64_e64 s4, 0, v[163:164]
	s_clause 0x3
	buffer_load_dword v161, off, s[16:19], 0 offset:728
	buffer_load_dword v162, off, s[16:19], 0 offset:732
	buffer_load_dword v163, off, s[16:19], 0 offset:736
	buffer_load_dword v164, off, s[16:19], 0 offset:740
	s_and_b32 s1, s3, s4
	s_and_b32 s1, s1, vcc_lo
	v_cndmask_b32_e64 v0, v0, 21, s1
	v_cmp_eq_u32_e32 vcc_lo, 0, v0
	s_waitcnt vmcnt(2)
	v_cmp_eq_f64_e64 s0, 0, v[161:162]
	s_waitcnt vmcnt(0)
	v_cmp_eq_f64_e64 s5, 0, v[163:164]
	s_clause 0x3
	buffer_load_dword v161, off, s[16:19], 0 offset:744
	buffer_load_dword v162, off, s[16:19], 0 offset:748
	buffer_load_dword v163, off, s[16:19], 0 offset:752
	buffer_load_dword v164, off, s[16:19], 0 offset:756
	s_and_b32 s0, s0, s5
	;; [unrolled: 13-line block ×3, first 2 shown]
	s_and_b32 s0, s0, vcc_lo
	v_cndmask_b32_e64 v0, v0, 23, s0
	s_waitcnt vmcnt(2)
	v_cmp_eq_f64_e64 s3, 0, v[161:162]
	s_waitcnt vmcnt(0)
	v_cmp_eq_f64_e64 s4, 0, v[163:164]
	s_clause 0x3
	buffer_load_dword v161, off, s[16:19], 0 offset:776
	buffer_load_dword v162, off, s[16:19], 0 offset:780
	;; [unrolled: 1-line block ×4, first 2 shown]
	s_and_b32 s5, s3, s4
	v_add_co_u32 v253, s4, s10, v205
	v_add_co_ci_u32_e64 v254, null, s11, v206, s4
	v_cmp_eq_u32_e64 s3, 0, v0
	s_and_b32 s3, s5, s3
	v_cndmask_b32_e64 v0, v0, 24, s3
	v_cmp_eq_u32_e64 s3, 0, v0
	s_waitcnt vmcnt(2)
	v_cmp_eq_f64_e64 s1, 0, v[161:162]
	s_waitcnt vmcnt(0)
	v_cmp_eq_f64_e64 s2, 0, v[163:164]
	s_clause 0x3
	buffer_load_dword v161, off, s[16:19], 0 offset:792
	buffer_load_dword v162, off, s[16:19], 0 offset:796
	;; [unrolled: 1-line block ×4, first 2 shown]
	global_load_dword v205, v[253:254], off
	s_and_b32 s1, s1, s2
	s_and_b32 s1, s1, s3
	v_cndmask_b32_e64 v0, v0, 25, s1
	v_cmp_eq_u32_e64 s1, 0, v0
	s_waitcnt vmcnt(3)
	v_cmp_eq_f64_e32 vcc_lo, 0, v[161:162]
	s_waitcnt vmcnt(1)
	v_cmp_eq_f64_e64 s0, 0, v[163:164]
	s_clause 0x3
	buffer_load_dword v161, off, s[16:19], 0 offset:808
	buffer_load_dword v162, off, s[16:19], 0 offset:812
	buffer_load_dword v163, off, s[16:19], 0 offset:816
	buffer_load_dword v164, off, s[16:19], 0 offset:820
	s_and_b32 s0, vcc_lo, s0
	s_and_b32 s0, s0, s1
	v_cndmask_b32_e64 v0, v0, 26, s0
	v_cmp_eq_u32_e32 vcc_lo, 0, v0
	s_waitcnt vmcnt(2)
	v_cmp_eq_f64_e64 s4, 0, v[161:162]
	s_waitcnt vmcnt(0)
	v_cmp_eq_f64_e64 s5, 0, v[163:164]
	s_clause 0x3
	buffer_load_dword v161, off, s[16:19], 0 offset:824
	buffer_load_dword v162, off, s[16:19], 0 offset:828
	buffer_load_dword v163, off, s[16:19], 0 offset:832
	buffer_load_dword v164, off, s[16:19], 0 offset:836
	s_and_b32 s4, s4, s5
	s_and_b32 s4, s4, vcc_lo
	v_cndmask_b32_e64 v0, v0, 27, s4
	v_cmp_eq_u32_e32 vcc_lo, 0, v0
	s_waitcnt vmcnt(2)
	v_cmp_eq_f64_e64 s2, 0, v[161:162]
	s_waitcnt vmcnt(0)
	v_cmp_eq_f64_e64 s3, 0, v[163:164]
	s_clause 0x3
	buffer_load_dword v161, off, s[16:19], 0 offset:840
	buffer_load_dword v162, off, s[16:19], 0 offset:844
	buffer_load_dword v163, off, s[16:19], 0 offset:848
	buffer_load_dword v164, off, s[16:19], 0 offset:852
	s_and_b32 s2, s2, s3
	s_and_b32 s2, s2, vcc_lo
	;; [unrolled: 13-line block ×21, first 2 shown]
	v_cndmask_b32_e64 v0, v0, 47, s0
	v_cmp_eq_u32_e32 vcc_lo, 0, v0
	s_waitcnt vmcnt(2)
	v_cmp_eq_f64_e64 s4, 0, v[161:162]
	s_waitcnt vmcnt(0)
	v_cmp_eq_f64_e64 s5, 0, v[163:164]
	s_clause 0x3
	buffer_load_dword v161, off, s[16:19], 0 offset:1160
	buffer_load_dword v162, off, s[16:19], 0 offset:1164
	buffer_load_dword v163, off, s[16:19], 0 offset:1168
	buffer_load_dword v164, off, s[16:19], 0 offset:1172
	s_and_b32 s4, s4, s5
	v_cmp_eq_f64_e64 s5, 0, v[215:216]
	s_and_b32 s4, s4, vcc_lo
	v_cndmask_b32_e64 v0, v0, 48, s4
	v_cmp_eq_f64_e64 s4, 0, v[213:214]
	v_cmp_eq_u32_e32 vcc_lo, 0, v0
	s_and_b32 s4, s4, s5
	s_waitcnt vmcnt(2)
	v_cmp_eq_f64_e64 s2, 0, v[161:162]
	s_waitcnt vmcnt(0)
	v_cmp_eq_f64_e64 s3, 0, v[163:164]
	s_clause 0x3
	buffer_load_dword v161, off, s[16:19], 0 offset:1176
	buffer_load_dword v162, off, s[16:19], 0 offset:1180
	;; [unrolled: 1-line block ×4, first 2 shown]
	s_and_b32 s2, s2, s3
	v_cmp_eq_f64_e64 s3, 0, v[219:220]
	s_and_b32 s2, s2, vcc_lo
	v_cndmask_b32_e64 v0, v0, 49, s2
	v_cmp_eq_f64_e64 s2, 0, v[217:218]
	v_cmp_eq_u32_e32 vcc_lo, 0, v0
	s_and_b32 s2, s2, s3
	s_waitcnt vmcnt(2)
	v_cmp_eq_f64_e64 s0, 0, v[161:162]
	s_waitcnt vmcnt(0)
	v_cmp_eq_f64_e64 s1, 0, v[163:164]
	s_and_b32 s0, s0, s1
	v_cmp_eq_f64_e64 s1, 0, v[211:212]
	s_and_b32 s0, s0, vcc_lo
	v_cndmask_b32_e64 v0, v0, 50, s0
	v_cmp_eq_f64_e64 s0, 0, v[209:210]
	v_cmp_eq_u32_e32 vcc_lo, 0, v0
	s_and_b32 s4, s4, vcc_lo
	v_cndmask_b32_e64 v0, v0, 51, s4
	v_cmp_eq_u32_e32 vcc_lo, 0, v0
	s_and_b32 s2, s2, vcc_lo
	s_and_b32 s0, s0, s1
	v_cndmask_b32_e64 v0, v0, 52, s2
	v_cmp_eq_u32_e32 vcc_lo, 0, v0
	s_and_b32 s0, s0, vcc_lo
	v_cmp_eq_u32_e32 vcc_lo, 0, v205
	v_cndmask_b32_e64 v0, v0, 53, s0
	v_cmp_ne_u32_e64 s0, 0, v0
	s_and_b32 s0, vcc_lo, s0
	s_and_b32 exec_lo, exec_lo, s0
	s_cbranch_execz .LBB105_481
; %bb.480:
	v_add_nc_u32_e32 v0, s13, v0
	global_store_dword v[253:254], v0, off
.LBB105_481:
	s_or_b32 exec_lo, exec_lo, s8
	s_clause 0x5
	buffer_load_dword v177, off, s[16:19], 0 offset:448
	buffer_load_dword v178, off, s[16:19], 0 offset:452
	;; [unrolled: 1-line block ×6, first 2 shown]
	s_waitcnt vmcnt(0)
	global_store_dwordx4 v[177:178], v[209:212], off
	s_clause 0x5
	buffer_load_dword v177, off, s[16:19], 0 offset:456
	buffer_load_dword v178, off, s[16:19], 0 offset:460
	;; [unrolled: 1-line block ×6, first 2 shown]
	s_waitcnt vmcnt(0)
	global_store_dwordx4 v[177:178], v[209:212], off
	s_clause 0x3
	buffer_load_dword v209, off, s[16:19], 0 offset:112
	buffer_load_dword v210, off, s[16:19], 0 offset:116
	buffer_load_dword v211, off, s[16:19], 0 offset:120
	buffer_load_dword v212, off, s[16:19], 0 offset:124
	s_waitcnt vmcnt(0)
	global_store_dwordx4 v[201:202], v[209:212], off
	s_clause 0x5
	buffer_load_dword v201, off, s[16:19], 0 offset:160
	buffer_load_dword v202, off, s[16:19], 0 offset:164
	buffer_load_dword v209, off, s[16:19], 0 offset:96
	buffer_load_dword v210, off, s[16:19], 0 offset:100
	buffer_load_dword v211, off, s[16:19], 0 offset:104
	buffer_load_dword v212, off, s[16:19], 0 offset:108
	s_waitcnt vmcnt(0)
	global_store_dwordx4 v[201:202], v[209:212], off
	s_clause 0x5
	buffer_load_dword v209, off, s[16:19], 0 offset:80
	buffer_load_dword v210, off, s[16:19], 0 offset:84
	;; [unrolled: 9-line block ×3, first 2 shown]
	buffer_load_dword v211, off, s[16:19], 0 offset:72
	buffer_load_dword v212, off, s[16:19], 0 offset:76
	s_waitcnt vmcnt(0)
	global_store_dwordx4 v[203:204], v[209:212], off
	s_clause 0x5
	buffer_load_dword v189, off, s[16:19], 0 offset:168
	buffer_load_dword v190, off, s[16:19], 0 offset:172
	;; [unrolled: 1-line block ×6, first 2 shown]
	s_waitcnt vmcnt(0)
	global_store_dwordx4 v[189:190], v[201:204], off
	s_clause 0x3
	buffer_load_dword v201, off, s[16:19], 0 offset:32
	buffer_load_dword v202, off, s[16:19], 0 offset:36
	;; [unrolled: 1-line block ×4, first 2 shown]
	s_waitcnt vmcnt(0)
	global_store_dwordx4 v[207:208], v[201:204], off
	s_clause 0x5
	buffer_load_dword v201, off, s[16:19], 0 offset:16
	buffer_load_dword v202, off, s[16:19], 0 offset:20
	;; [unrolled: 1-line block ×6, first 2 shown]
	s_waitcnt vmcnt(0)
	global_store_dwordx4 v[165:166], v[201:204], off
	s_clause 0x5
	buffer_load_dword v177, off, s[16:19], 0 offset:176
	buffer_load_dword v178, off, s[16:19], 0 offset:180
	buffer_load_dword v161, off, s[16:19], 0
	buffer_load_dword v162, off, s[16:19], 0 offset:4
	buffer_load_dword v163, off, s[16:19], 0 offset:8
	;; [unrolled: 1-line block ×3, first 2 shown]
	s_waitcnt vmcnt(0)
	global_store_dwordx4 v[177:178], v[161:164], off
	global_store_dwordx4 v[195:196], v[197:200], off
	s_clause 0x1
	buffer_load_dword v161, off, s[16:19], 0 offset:640
	buffer_load_dword v162, off, s[16:19], 0 offset:644
	s_waitcnt vmcnt(0)
	global_store_dwordx4 v[161:162], v[191:194], off
	s_clause 0x1
	buffer_load_dword v165, off, s[16:19], 0 offset:272
	buffer_load_dword v166, off, s[16:19], 0 offset:276
	s_waitcnt vmcnt(0)
	;; [unrolled: 5-line block ×15, first 2 shown]
	global_store_dwordx4 v[113:114], v[109:112], off
	global_store_dwordx4 v[187:188], v[105:108], off
	s_clause 0x1
	buffer_load_dword v105, off, s[16:19], 0 offset:656
	buffer_load_dword v106, off, s[16:19], 0 offset:660
	s_waitcnt vmcnt(0)
	global_store_dwordx4 v[105:106], v[101:104], off
	s_clause 0x1
	buffer_load_dword v101, off, s[16:19], 0 offset:488
	buffer_load_dword v102, off, s[16:19], 0 offset:492
	s_waitcnt vmcnt(0)
	;; [unrolled: 5-line block ×4, first 2 shown]
	global_store_dwordx4 v[93:94], v[89:92], off
	global_store_dwordx4 v[181:182], v[85:88], off
	s_clause 0x1
	buffer_load_dword v85, off, s[16:19], 0 offset:648
	buffer_load_dword v86, off, s[16:19], 0 offset:652
	s_waitcnt vmcnt(0)
	global_store_dwordx4 v[85:86], v[81:84], off
	s_clause 0x1
	buffer_load_dword v81, off, s[16:19], 0 offset:496
	buffer_load_dword v82, off, s[16:19], 0 offset:500
	s_waitcnt vmcnt(0)
	;; [unrolled: 5-line block ×21, first 2 shown]
	global_store_dwordx4 v[5:6], v[1:4], off
.LBB105_482:
	s_endpgm
	.section	.rodata,"a",@progbits
	.p2align	6, 0x0
	.amdhsa_kernel _ZN9rocsolver6v33100L23getf2_npvt_small_kernelILi53E19rocblas_complex_numIdEiiPS3_EEvT1_T3_lS5_lPT2_S5_S5_
		.amdhsa_group_segment_fixed_size 0
		.amdhsa_private_segment_fixed_size 1196
		.amdhsa_kernarg_size 312
		.amdhsa_user_sgpr_count 6
		.amdhsa_user_sgpr_private_segment_buffer 1
		.amdhsa_user_sgpr_dispatch_ptr 0
		.amdhsa_user_sgpr_queue_ptr 0
		.amdhsa_user_sgpr_kernarg_segment_ptr 1
		.amdhsa_user_sgpr_dispatch_id 0
		.amdhsa_user_sgpr_flat_scratch_init 0
		.amdhsa_user_sgpr_private_segment_size 0
		.amdhsa_wavefront_size32 1
		.amdhsa_uses_dynamic_stack 0
		.amdhsa_system_sgpr_private_segment_wavefront_offset 1
		.amdhsa_system_sgpr_workgroup_id_x 1
		.amdhsa_system_sgpr_workgroup_id_y 1
		.amdhsa_system_sgpr_workgroup_id_z 0
		.amdhsa_system_sgpr_workgroup_info 0
		.amdhsa_system_vgpr_workitem_id 1
		.amdhsa_next_free_vgpr 256
		.amdhsa_next_free_sgpr 22
		.amdhsa_reserve_vcc 1
		.amdhsa_reserve_flat_scratch 0
		.amdhsa_float_round_mode_32 0
		.amdhsa_float_round_mode_16_64 0
		.amdhsa_float_denorm_mode_32 3
		.amdhsa_float_denorm_mode_16_64 3
		.amdhsa_dx10_clamp 1
		.amdhsa_ieee_mode 1
		.amdhsa_fp16_overflow 0
		.amdhsa_workgroup_processor_mode 1
		.amdhsa_memory_ordered 1
		.amdhsa_forward_progress 1
		.amdhsa_shared_vgpr_count 0
		.amdhsa_exception_fp_ieee_invalid_op 0
		.amdhsa_exception_fp_denorm_src 0
		.amdhsa_exception_fp_ieee_div_zero 0
		.amdhsa_exception_fp_ieee_overflow 0
		.amdhsa_exception_fp_ieee_underflow 0
		.amdhsa_exception_fp_ieee_inexact 0
		.amdhsa_exception_int_div_zero 0
	.end_amdhsa_kernel
	.section	.text._ZN9rocsolver6v33100L23getf2_npvt_small_kernelILi53E19rocblas_complex_numIdEiiPS3_EEvT1_T3_lS5_lPT2_S5_S5_,"axG",@progbits,_ZN9rocsolver6v33100L23getf2_npvt_small_kernelILi53E19rocblas_complex_numIdEiiPS3_EEvT1_T3_lS5_lPT2_S5_S5_,comdat
.Lfunc_end105:
	.size	_ZN9rocsolver6v33100L23getf2_npvt_small_kernelILi53E19rocblas_complex_numIdEiiPS3_EEvT1_T3_lS5_lPT2_S5_S5_, .Lfunc_end105-_ZN9rocsolver6v33100L23getf2_npvt_small_kernelILi53E19rocblas_complex_numIdEiiPS3_EEvT1_T3_lS5_lPT2_S5_S5_
                                        ; -- End function
	.set _ZN9rocsolver6v33100L23getf2_npvt_small_kernelILi53E19rocblas_complex_numIdEiiPS3_EEvT1_T3_lS5_lPT2_S5_S5_.num_vgpr, 256
	.set _ZN9rocsolver6v33100L23getf2_npvt_small_kernelILi53E19rocblas_complex_numIdEiiPS3_EEvT1_T3_lS5_lPT2_S5_S5_.num_agpr, 0
	.set _ZN9rocsolver6v33100L23getf2_npvt_small_kernelILi53E19rocblas_complex_numIdEiiPS3_EEvT1_T3_lS5_lPT2_S5_S5_.numbered_sgpr, 22
	.set _ZN9rocsolver6v33100L23getf2_npvt_small_kernelILi53E19rocblas_complex_numIdEiiPS3_EEvT1_T3_lS5_lPT2_S5_S5_.num_named_barrier, 0
	.set _ZN9rocsolver6v33100L23getf2_npvt_small_kernelILi53E19rocblas_complex_numIdEiiPS3_EEvT1_T3_lS5_lPT2_S5_S5_.private_seg_size, 1196
	.set _ZN9rocsolver6v33100L23getf2_npvt_small_kernelILi53E19rocblas_complex_numIdEiiPS3_EEvT1_T3_lS5_lPT2_S5_S5_.uses_vcc, 1
	.set _ZN9rocsolver6v33100L23getf2_npvt_small_kernelILi53E19rocblas_complex_numIdEiiPS3_EEvT1_T3_lS5_lPT2_S5_S5_.uses_flat_scratch, 0
	.set _ZN9rocsolver6v33100L23getf2_npvt_small_kernelILi53E19rocblas_complex_numIdEiiPS3_EEvT1_T3_lS5_lPT2_S5_S5_.has_dyn_sized_stack, 0
	.set _ZN9rocsolver6v33100L23getf2_npvt_small_kernelILi53E19rocblas_complex_numIdEiiPS3_EEvT1_T3_lS5_lPT2_S5_S5_.has_recursion, 0
	.set _ZN9rocsolver6v33100L23getf2_npvt_small_kernelILi53E19rocblas_complex_numIdEiiPS3_EEvT1_T3_lS5_lPT2_S5_S5_.has_indirect_call, 0
	.section	.AMDGPU.csdata,"",@progbits
; Kernel info:
; codeLenInByte = 144600
; TotalNumSgprs: 24
; NumVgprs: 256
; ScratchSize: 1196
; MemoryBound: 1
; FloatMode: 240
; IeeeMode: 1
; LDSByteSize: 0 bytes/workgroup (compile time only)
; SGPRBlocks: 0
; VGPRBlocks: 31
; NumSGPRsForWavesPerEU: 24
; NumVGPRsForWavesPerEU: 256
; Occupancy: 4
; WaveLimiterHint : 0
; COMPUTE_PGM_RSRC2:SCRATCH_EN: 1
; COMPUTE_PGM_RSRC2:USER_SGPR: 6
; COMPUTE_PGM_RSRC2:TRAP_HANDLER: 0
; COMPUTE_PGM_RSRC2:TGID_X_EN: 1
; COMPUTE_PGM_RSRC2:TGID_Y_EN: 1
; COMPUTE_PGM_RSRC2:TGID_Z_EN: 0
; COMPUTE_PGM_RSRC2:TIDIG_COMP_CNT: 1
	.section	.text._ZN9rocsolver6v33100L18getf2_small_kernelILi54E19rocblas_complex_numIdEiiPS3_EEvT1_T3_lS5_lPS5_llPT2_S5_S5_S7_l,"axG",@progbits,_ZN9rocsolver6v33100L18getf2_small_kernelILi54E19rocblas_complex_numIdEiiPS3_EEvT1_T3_lS5_lPS5_llPT2_S5_S5_S7_l,comdat
	.globl	_ZN9rocsolver6v33100L18getf2_small_kernelILi54E19rocblas_complex_numIdEiiPS3_EEvT1_T3_lS5_lPS5_llPT2_S5_S5_S7_l ; -- Begin function _ZN9rocsolver6v33100L18getf2_small_kernelILi54E19rocblas_complex_numIdEiiPS3_EEvT1_T3_lS5_lPS5_llPT2_S5_S5_S7_l
	.p2align	8
	.type	_ZN9rocsolver6v33100L18getf2_small_kernelILi54E19rocblas_complex_numIdEiiPS3_EEvT1_T3_lS5_lPS5_llPT2_S5_S5_S7_l,@function
_ZN9rocsolver6v33100L18getf2_small_kernelILi54E19rocblas_complex_numIdEiiPS3_EEvT1_T3_lS5_lPS5_llPT2_S5_S5_S7_l: ; @_ZN9rocsolver6v33100L18getf2_small_kernelILi54E19rocblas_complex_numIdEiiPS3_EEvT1_T3_lS5_lPS5_llPT2_S5_S5_S7_l
; %bb.0:
	s_mov_b64 s[22:23], s[2:3]
	s_mov_b64 s[20:21], s[0:1]
	s_clause 0x1
	s_load_dword s0, s[4:5], 0x6c
	s_load_dwordx2 s[16:17], s[4:5], 0x48
	s_add_u32 s20, s20, s8
	s_addc_u32 s21, s21, 0
	s_waitcnt lgkmcnt(0)
	s_lshr_b32 s0, s0, 16
	v_mad_u64_u32 v[8:9], null, s7, s0, v[1:2]
	s_mov_b32 s0, exec_lo
	v_cmpx_gt_i32_e64 s16, v8
	s_cbranch_execnz .LBB106_1
; %bb.1138:
	s_getpc_b64 s[18:19]
.Lpost_getpc8:
	s_add_u32 s18, s18, (.LBB106_1137-.Lpost_getpc8)&4294967295
	s_addc_u32 s19, s19, (.LBB106_1137-.Lpost_getpc8)>>32
	s_setpc_b64 s[18:19]
.LBB106_1:
	s_load_dwordx4 s[0:3], s[4:5], 0x50
	v_mov_b32_e32 v2, 0
	v_ashrrev_i32_e32 v9, 31, v8
	v_mov_b32_e32 v3, 0
	buffer_store_dword v2, off, s[20:23], 0 ; 4-byte Folded Spill
	buffer_store_dword v3, off, s[20:23], 0 offset:4 ; 4-byte Folded Spill
	s_waitcnt lgkmcnt(0)
	s_cmp_eq_u64 s[0:1], 0
	s_cselect_b32 s16, -1, 0
	s_and_b32 vcc_lo, exec_lo, s16
	s_cbranch_vccnz .LBB106_3
; %bb.2:
	v_mul_lo_u32 v4, s3, v8
	v_mul_lo_u32 v5, s2, v9
	v_mad_u64_u32 v[2:3], null, s2, v8, 0
	v_add3_u32 v3, v3, v5, v4
	v_lshlrev_b64 v[2:3], 2, v[2:3]
	v_add_co_u32 v2, vcc_lo, s0, v2
	v_add_co_ci_u32_e64 v3, null, s1, v3, vcc_lo
	buffer_store_dword v2, off, s[20:23], 0 ; 4-byte Folded Spill
	buffer_store_dword v3, off, s[20:23], 0 offset:4 ; 4-byte Folded Spill
.LBB106_3:
	s_clause 0x2
	s_load_dwordx8 s[8:15], s[4:5], 0x20
	s_load_dword s6, s[4:5], 0x18
	s_load_dwordx4 s[0:3], s[4:5], 0x8
	v_mov_b32_e32 v230, v9
	v_mov_b32_e32 v229, v8
	v_lshlrev_b32_e32 v228, 4, v0
	s_waitcnt lgkmcnt(0)
	v_mul_lo_u32 v5, s9, v8
	v_mul_lo_u32 v7, s8, v9
	v_mad_u64_u32 v[2:3], null, s8, v8, 0
	v_add3_u32 v4, s6, s6, v0
	s_lshl_b64 s[2:3], s[2:3], 4
	s_ashr_i32 s7, s6, 31
	s_clause 0x1
	s_load_dword s8, s[4:5], 0x0
	s_load_dwordx2 s[4:5], s[4:5], 0x40
	v_add_nc_u32_e32 v6, s6, v4
	v_add3_u32 v3, v3, v7, v5
	v_ashrrev_i32_e32 v5, 31, v4
	v_add_nc_u32_e32 v8, s6, v6
	v_lshlrev_b64 v[2:3], 4, v[2:3]
	v_ashrrev_i32_e32 v7, 31, v6
	v_lshlrev_b64 v[4:5], 4, v[4:5]
	v_ashrrev_i32_e32 v9, 31, v8
	v_add_nc_u32_e32 v10, s6, v8
	v_add_co_u32 v12, vcc_lo, s0, v2
	v_add_co_ci_u32_e64 v13, null, s1, v3, vcc_lo
	v_lshlrev_b64 v[2:3], 4, v[8:9]
	v_add_nc_u32_e32 v8, s6, v10
	v_add_co_u32 v255, vcc_lo, v12, s2
	v_ashrrev_i32_e32 v11, 31, v10
	v_lshlrev_b64 v[6:7], 4, v[6:7]
	v_add_nc_u32_e32 v12, s6, v8
	v_add_co_ci_u32_e64 v82, null, s3, v13, vcc_lo
	v_ashrrev_i32_e32 v9, 31, v8
	v_lshlrev_b64 v[10:11], 4, v[10:11]
	v_add_nc_u32_e32 v14, s6, v12
	v_ashrrev_i32_e32 v13, 31, v12
	v_add_co_u32 v4, vcc_lo, v255, v4
	v_add_co_ci_u32_e64 v5, null, v82, v5, vcc_lo
	v_add_nc_u32_e32 v16, s6, v14
	v_add_co_u32 v6, vcc_lo, v255, v6
	v_lshlrev_b64 v[8:9], 4, v[8:9]
	v_ashrrev_i32_e32 v15, 31, v14
	v_add_nc_u32_e32 v18, s6, v16
	v_add_co_ci_u32_e64 v7, null, v82, v7, vcc_lo
	v_add_co_u32 v2, vcc_lo, v255, v2
	v_add_nc_u32_e32 v20, s6, v18
	v_lshlrev_b64 v[12:13], 4, v[12:13]
	v_ashrrev_i32_e32 v17, 31, v16
	v_add_co_ci_u32_e64 v3, null, v82, v3, vcc_lo
	v_add_nc_u32_e32 v24, s6, v20
	v_add_co_u32 v10, vcc_lo, v255, v10
	v_ashrrev_i32_e32 v19, 31, v18
	v_add_co_ci_u32_e64 v11, null, v82, v11, vcc_lo
	v_add_nc_u32_e32 v26, s6, v24
	v_add_co_u32 v8, vcc_lo, v255, v8
	v_lshlrev_b64 v[14:15], 4, v[14:15]
	v_ashrrev_i32_e32 v21, 31, v20
	v_add_nc_u32_e32 v28, s6, v26
	v_add_co_ci_u32_e64 v9, null, v82, v9, vcc_lo
	v_add_co_u32 v12, vcc_lo, v255, v12
	v_add_nc_u32_e32 v30, s6, v28
	v_lshlrev_b64 v[16:17], 4, v[16:17]
	v_ashrrev_i32_e32 v25, 31, v24
	v_add_co_ci_u32_e64 v13, null, v82, v13, vcc_lo
	v_add_nc_u32_e32 v32, s6, v30
	v_add_co_u32 v22, vcc_lo, v255, v228
	v_lshlrev_b64 v[18:19], 4, v[18:19]
	v_ashrrev_i32_e32 v27, 31, v26
	v_add_nc_u32_e32 v34, s6, v32
	v_add_co_ci_u32_e64 v23, null, 0, v82, vcc_lo
	v_add_co_u32 v14, vcc_lo, v255, v14
	v_add_nc_u32_e32 v36, s6, v34
	v_lshlrev_b64 v[20:21], 4, v[20:21]
	;; [unrolled: 11-line block ×6, first 2 shown]
	v_ashrrev_i32_e32 v45, 31, v44
	v_add_co_ci_u32_e64 v33, null, v82, v33, vcc_lo
	v_add_nc_u32_e32 v62, s6, v60
	v_add_co_u32 v34, vcc_lo, v255, v34
	v_lshlrev_b64 v[40:41], 4, v[40:41]
	v_ashrrev_i32_e32 v47, 31, v46
	v_add_nc_u32_e32 v64, s6, v62
	v_add_co_ci_u32_e64 v35, null, v82, v35, vcc_lo
	v_add_co_u32 v36, vcc_lo, v255, v36
	v_lshlrev_b64 v[42:43], 4, v[42:43]
	v_add_nc_u32_e32 v66, s6, v64
	v_ashrrev_i32_e32 v49, 31, v48
	v_add_co_ci_u32_e64 v37, null, v82, v37, vcc_lo
	v_add_co_u32 v38, vcc_lo, v255, v38
	v_lshlrev_b64 v[44:45], 4, v[44:45]
	v_ashrrev_i32_e32 v51, 31, v50
	v_add_co_ci_u32_e64 v39, null, v82, v39, vcc_lo
	v_add_co_u32 v40, vcc_lo, v255, v40
	v_lshlrev_b64 v[46:47], 4, v[46:47]
	v_ashrrev_i32_e32 v53, 31, v52
	v_add_nc_u32_e32 v68, s6, v66
	v_add_co_ci_u32_e64 v41, null, v82, v41, vcc_lo
	v_add_co_u32 v42, vcc_lo, v255, v42
	v_lshlrev_b64 v[48:49], 4, v[48:49]
	v_ashrrev_i32_e32 v55, 31, v54
	v_add_co_ci_u32_e64 v43, null, v82, v43, vcc_lo
	v_add_co_u32 v44, vcc_lo, v255, v44
	v_lshlrev_b64 v[50:51], 4, v[50:51]
	v_ashrrev_i32_e32 v57, 31, v56
	v_add_co_ci_u32_e64 v45, null, v82, v45, vcc_lo
	v_add_co_u32 v46, vcc_lo, v255, v46
	v_lshlrev_b64 v[52:53], 4, v[52:53]
	v_add_nc_u32_e32 v70, s6, v68
	v_ashrrev_i32_e32 v59, 31, v58
	v_add_co_ci_u32_e64 v47, null, v82, v47, vcc_lo
	v_add_co_u32 v48, vcc_lo, v255, v48
	v_lshlrev_b64 v[54:55], 4, v[54:55]
	v_ashrrev_i32_e32 v61, 31, v60
	v_add_co_ci_u32_e64 v49, null, v82, v49, vcc_lo
	v_add_co_u32 v50, vcc_lo, v255, v50
	v_lshlrev_b64 v[56:57], 4, v[56:57]
	v_ashrrev_i32_e32 v63, 31, v62
	v_add_nc_u32_e32 v72, s6, v70
	v_add_co_ci_u32_e64 v51, null, v82, v51, vcc_lo
	v_add_co_u32 v52, vcc_lo, v255, v52
	v_lshlrev_b64 v[58:59], 4, v[58:59]
	v_ashrrev_i32_e32 v65, 31, v64
	v_add_co_ci_u32_e64 v53, null, v82, v53, vcc_lo
	v_add_co_u32 v54, vcc_lo, v255, v54
	v_lshlrev_b64 v[60:61], 4, v[60:61]
	v_ashrrev_i32_e32 v67, 31, v66
	v_add_co_ci_u32_e64 v55, null, v82, v55, vcc_lo
	v_add_co_u32 v56, vcc_lo, v255, v56
	v_lshlrev_b64 v[62:63], 4, v[62:63]
	v_add_nc_u32_e32 v74, s6, v72
	v_ashrrev_i32_e32 v69, 31, v68
	v_add_co_ci_u32_e64 v57, null, v82, v57, vcc_lo
	v_add_co_u32 v58, vcc_lo, v255, v58
	v_lshlrev_b64 v[64:65], 4, v[64:65]
	v_ashrrev_i32_e32 v71, 31, v70
	v_add_co_ci_u32_e64 v59, null, v82, v59, vcc_lo
	v_add_co_u32 v60, vcc_lo, v255, v60
	v_lshlrev_b64 v[66:67], 4, v[66:67]
	v_ashrrev_i32_e32 v73, 31, v72
	v_add_nc_u32_e32 v76, s6, v74
	v_add_co_ci_u32_e64 v61, null, v82, v61, vcc_lo
	v_add_co_u32 v62, vcc_lo, v255, v62
	v_lshlrev_b64 v[68:69], 4, v[68:69]
	v_ashrrev_i32_e32 v75, 31, v74
	v_add_co_ci_u32_e64 v63, null, v82, v63, vcc_lo
	v_add_co_u32 v64, vcc_lo, v255, v64
	v_lshlrev_b64 v[70:71], 4, v[70:71]
	v_add_co_ci_u32_e64 v65, null, v82, v65, vcc_lo
	v_add_co_u32 v66, vcc_lo, v255, v66
	v_lshlrev_b64 v[72:73], 4, v[72:73]
	v_add_nc_u32_e32 v78, s6, v76
	v_add_co_ci_u32_e64 v67, null, v82, v67, vcc_lo
	v_add_co_u32 v68, vcc_lo, v255, v68
	v_lshlrev_b64 v[74:75], 4, v[74:75]
	v_ashrrev_i32_e32 v77, 31, v76
	v_add_co_ci_u32_e64 v69, null, v82, v69, vcc_lo
	v_add_co_u32 v70, vcc_lo, v255, v70
	v_ashrrev_i32_e32 v79, 31, v78
	v_add_nc_u32_e32 v80, s6, v78
	v_add_co_ci_u32_e64 v71, null, v82, v71, vcc_lo
	v_add_co_u32 v72, vcc_lo, v255, v72
	v_lshlrev_b64 v[76:77], 4, v[76:77]
	v_add_co_ci_u32_e64 v73, null, v82, v73, vcc_lo
	v_add_co_u32 v218, vcc_lo, v255, v74
	v_add_co_ci_u32_e64 v219, null, v82, v75, vcc_lo
	v_lshlrev_b64 v[74:75], 4, v[78:79]
	v_ashrrev_i32_e32 v81, 31, v80
	v_add_nc_u32_e32 v78, s6, v80
	v_add_co_u32 v220, vcc_lo, v255, v76
	v_add_co_ci_u32_e64 v221, null, v82, v77, vcc_lo
	v_lshlrev_b64 v[76:77], 4, v[80:81]
	v_ashrrev_i32_e32 v79, 31, v78
	v_add_nc_u32_e32 v80, s6, v78
	;; [unrolled: 5-line block ×9, first 2 shown]
	v_add_co_u32 v243, vcc_lo, v255, v76
	v_add_co_ci_u32_e64 v244, null, v82, v77, vcc_lo
	v_lshlrev_b64 v[76:77], 4, v[80:81]
	v_add_nc_u32_e32 v80, s6, v78
	v_ashrrev_i32_e32 v79, 31, v78
	v_add_co_u32 v245, vcc_lo, v255, v74
	v_add_co_ci_u32_e64 v246, null, v82, v75, vcc_lo
	v_ashrrev_i32_e32 v81, 31, v80
	v_lshlrev_b64 v[74:75], 4, v[78:79]
	v_add_nc_u32_e32 v78, s6, v80
	v_add_co_u32 v247, vcc_lo, v255, v76
	v_add_co_ci_u32_e64 v248, null, v82, v77, vcc_lo
	v_lshlrev_b64 v[76:77], 4, v[80:81]
	v_add_nc_u32_e32 v80, s6, v78
	v_ashrrev_i32_e32 v79, 31, v78
	v_add_co_u32 v249, vcc_lo, v255, v74
	v_add_co_ci_u32_e64 v250, null, v82, v75, vcc_lo
	v_add_co_u32 v251, vcc_lo, v255, v76
	v_add_nc_u32_e32 v76, s6, v80
	v_ashrrev_i32_e32 v81, 31, v80
	v_lshlrev_b64 v[74:75], 4, v[78:79]
	v_add_co_ci_u32_e64 v252, null, v82, v77, vcc_lo
	v_ashrrev_i32_e32 v77, 31, v76
	v_lshlrev_b64 v[78:79], 4, v[80:81]
	s_lshl_b64 s[2:3], s[6:7], 4
	v_add_co_u32 v253, vcc_lo, v255, v74
	v_add_co_ci_u32_e64 v254, null, v82, v75, vcc_lo
	v_lshlrev_b64 v[74:75], 4, v[76:77]
	v_add_co_u32 v222, vcc_lo, v255, v78
	v_add_co_ci_u32_e64 v223, null, v82, v79, vcc_lo
	v_add_co_u32 v76, vcc_lo, v22, s2
	v_add_co_ci_u32_e64 v77, null, s3, v23, vcc_lo
	;; [unrolled: 2-line block ×3, first 2 shown]
	buffer_store_dword v82, off, s[20:23], 0 offset:8 ; 4-byte Folded Spill
	s_clause 0x35
	global_load_dwordx4 v[210:213], v[22:23], off
	global_load_dwordx4 v[206:209], v[76:77], off
	;; [unrolled: 1-line block ×54, first 2 shown]
	s_waitcnt lgkmcnt(0)
	s_max_i32 s0, s8, 54
	v_mov_b32_e32 v226, 0
	v_mul_lo_u32 v222, s0, v1
	s_cmp_lt_i32 s8, 2
	v_lshl_add_u32 v1, v222, 4, 0
	v_add_nc_u32_e32 v218, v1, v228
	v_lshlrev_b32_e32 v228, 4, v222
	s_waitcnt vmcnt(53)
	v_mov_b32_e32 v252, v213
	v_mov_b32_e32 v251, v212
	;; [unrolled: 1-line block ×4, first 2 shown]
	ds_write2_b64 v218, v[249:250], v[251:252] offset1:1
	s_waitcnt vmcnt(0) lgkmcnt(0)
	s_waitcnt_vscnt null, 0x0
	s_barrier
	buffer_gl0_inv
	ds_read2_b64 v[218:221], v1 offset1:1
	s_cbranch_scc1 .LBB106_6
; %bb.4:
	v_add3_u32 v227, v228, 0, 16
	v_mov_b32_e32 v226, 0
	s_mov_b32 s1, 1
	s_inst_prefetch 0x1
	.p2align	6
.LBB106_5:                              ; =>This Inner Loop Header: Depth=1
	s_waitcnt lgkmcnt(0)
	v_cmp_gt_f64_e32 vcc_lo, 0, v[220:221]
	v_cmp_gt_f64_e64 s0, 0, v[218:219]
	ds_read2_b64 v[231:234], v227 offset1:1
	v_xor_b32_e32 v223, 0x80000000, v219
	v_xor_b32_e32 v225, 0x80000000, v221
	v_mov_b32_e32 v222, v218
	v_mov_b32_e32 v224, v220
	v_add_nc_u32_e32 v227, 16, v227
	s_waitcnt lgkmcnt(0)
	v_xor_b32_e32 v236, 0x80000000, v234
	v_cndmask_b32_e64 v223, v219, v223, s0
	v_cndmask_b32_e32 v225, v221, v225, vcc_lo
	v_cmp_gt_f64_e32 vcc_lo, 0, v[233:234]
	v_cmp_gt_f64_e64 s0, 0, v[231:232]
	v_mov_b32_e32 v235, v233
	v_add_f64 v[222:223], v[222:223], v[224:225]
	v_xor_b32_e32 v225, 0x80000000, v232
	v_mov_b32_e32 v224, v231
	v_cndmask_b32_e32 v236, v234, v236, vcc_lo
	v_cndmask_b32_e64 v225, v232, v225, s0
	v_add_f64 v[224:225], v[224:225], v[235:236]
	v_cmp_lt_f64_e32 vcc_lo, v[222:223], v[224:225]
	v_cndmask_b32_e32 v219, v219, v232, vcc_lo
	v_cndmask_b32_e32 v218, v218, v231, vcc_lo
	v_cndmask_b32_e32 v221, v221, v234, vcc_lo
	v_cndmask_b32_e32 v220, v220, v233, vcc_lo
	v_cndmask_b32_e64 v226, v226, s1, vcc_lo
	s_add_i32 s1, s1, 1
	s_cmp_eq_u32 s8, s1
	s_cbranch_scc0 .LBB106_5
.LBB106_6:
	s_inst_prefetch 0x2
	s_waitcnt lgkmcnt(0)
	v_cmp_neq_f64_e32 vcc_lo, 0, v[218:219]
	v_cmp_neq_f64_e64 s0, 0, v[220:221]
	v_mov_b32_e32 v213, v209
	v_mov_b32_e32 v212, v208
	;; [unrolled: 1-line block ×10, first 2 shown]
	s_or_b32 s1, vcc_lo, s0
	s_mov_b32 s0, exec_lo
	v_mov_b32_e32 v202, v214
	v_mov_b32_e32 v203, v215
	;; [unrolled: 1-line block ×4, first 2 shown]
	s_and_b32 s1, s0, s1
	s_mov_b32 exec_lo, s1
	s_cbranch_execz .LBB106_12
; %bb.7:
	v_cmp_ngt_f64_e64 s1, |v[218:219]|, |v[220:221]|
	s_and_saveexec_b32 s7, s1
	s_xor_b32 s1, exec_lo, s7
	s_cbranch_execz .LBB106_9
; %bb.8:
	v_div_scale_f64 v[222:223], null, v[220:221], v[220:221], v[218:219]
	v_div_scale_f64 v[233:234], vcc_lo, v[218:219], v[220:221], v[218:219]
	v_rcp_f64_e32 v[224:225], v[222:223]
	v_fma_f64 v[231:232], -v[222:223], v[224:225], 1.0
	v_fma_f64 v[224:225], v[224:225], v[231:232], v[224:225]
	v_fma_f64 v[231:232], -v[222:223], v[224:225], 1.0
	v_fma_f64 v[224:225], v[224:225], v[231:232], v[224:225]
	v_mul_f64 v[231:232], v[233:234], v[224:225]
	v_fma_f64 v[222:223], -v[222:223], v[231:232], v[233:234]
	v_div_fmas_f64 v[222:223], v[222:223], v[224:225], v[231:232]
	v_div_fixup_f64 v[222:223], v[222:223], v[220:221], v[218:219]
	v_fma_f64 v[218:219], v[218:219], v[222:223], v[220:221]
	v_div_scale_f64 v[220:221], null, v[218:219], v[218:219], 1.0
	v_rcp_f64_e32 v[224:225], v[220:221]
	v_fma_f64 v[231:232], -v[220:221], v[224:225], 1.0
	v_fma_f64 v[224:225], v[224:225], v[231:232], v[224:225]
	v_fma_f64 v[231:232], -v[220:221], v[224:225], 1.0
	v_fma_f64 v[224:225], v[224:225], v[231:232], v[224:225]
	v_div_scale_f64 v[231:232], vcc_lo, 1.0, v[218:219], 1.0
	v_mul_f64 v[233:234], v[231:232], v[224:225]
	v_fma_f64 v[220:221], -v[220:221], v[233:234], v[231:232]
	v_div_fmas_f64 v[220:221], v[220:221], v[224:225], v[233:234]
	v_div_fixup_f64 v[220:221], v[220:221], v[218:219], 1.0
	v_mul_f64 v[218:219], v[222:223], v[220:221]
	v_xor_b32_e32 v221, 0x80000000, v221
.LBB106_9:
	s_andn2_saveexec_b32 s1, s1
	s_cbranch_execz .LBB106_11
; %bb.10:
	v_div_scale_f64 v[222:223], null, v[218:219], v[218:219], v[220:221]
	v_div_scale_f64 v[233:234], vcc_lo, v[220:221], v[218:219], v[220:221]
	v_rcp_f64_e32 v[224:225], v[222:223]
	v_fma_f64 v[231:232], -v[222:223], v[224:225], 1.0
	v_fma_f64 v[224:225], v[224:225], v[231:232], v[224:225]
	v_fma_f64 v[231:232], -v[222:223], v[224:225], 1.0
	v_fma_f64 v[224:225], v[224:225], v[231:232], v[224:225]
	v_mul_f64 v[231:232], v[233:234], v[224:225]
	v_fma_f64 v[222:223], -v[222:223], v[231:232], v[233:234]
	v_div_fmas_f64 v[222:223], v[222:223], v[224:225], v[231:232]
	v_div_fixup_f64 v[222:223], v[222:223], v[218:219], v[220:221]
	v_fma_f64 v[218:219], v[220:221], v[222:223], v[218:219]
	v_div_scale_f64 v[220:221], null, v[218:219], v[218:219], 1.0
	v_rcp_f64_e32 v[224:225], v[220:221]
	v_fma_f64 v[231:232], -v[220:221], v[224:225], 1.0
	v_fma_f64 v[224:225], v[224:225], v[231:232], v[224:225]
	v_fma_f64 v[231:232], -v[220:221], v[224:225], 1.0
	v_fma_f64 v[224:225], v[224:225], v[231:232], v[224:225]
	v_div_scale_f64 v[231:232], vcc_lo, 1.0, v[218:219], 1.0
	v_mul_f64 v[233:234], v[231:232], v[224:225]
	v_fma_f64 v[220:221], -v[220:221], v[233:234], v[231:232]
	v_div_fmas_f64 v[220:221], v[220:221], v[224:225], v[233:234]
	v_div_fixup_f64 v[218:219], v[220:221], v[218:219], 1.0
	v_mul_f64 v[220:221], v[222:223], -v[218:219]
.LBB106_11:
	s_or_b32 exec_lo, exec_lo, s1
	v_mov_b32_e32 v233, 0
	v_mov_b32_e32 v231, 2
.LBB106_12:
	s_or_b32 exec_lo, exec_lo, s0
	s_mov_b32 s0, exec_lo
	v_cmpx_ne_u32_e64 v0, v226
	s_xor_b32 s0, exec_lo, s0
	s_cbranch_execz .LBB106_18
; %bb.13:
	s_mov_b32 s1, exec_lo
	v_cmpx_eq_u32_e32 0, v0
	s_cbranch_execz .LBB106_17
; %bb.14:
	v_cmp_ne_u32_e32 vcc_lo, 0, v226
	s_xor_b32 s7, s16, -1
	s_and_b32 s9, s7, vcc_lo
	s_and_saveexec_b32 s7, s9
	s_cbranch_execz .LBB106_16
; %bb.15:
	s_clause 0x1
	buffer_load_dword v214, off, s[20:23], 0
	buffer_load_dword v215, off, s[20:23], 0 offset:4
	v_ashrrev_i32_e32 v227, 31, v226
	v_lshlrev_b64 v[222:223], 2, v[226:227]
	s_waitcnt vmcnt(1)
	v_add_co_u32 v222, vcc_lo, v214, v222
	s_waitcnt vmcnt(0)
	v_add_co_ci_u32_e64 v223, null, v215, v223, vcc_lo
	s_clause 0x1
	global_load_dword v0, v[222:223], off
	global_load_dword v224, v[214:215], off
	s_waitcnt vmcnt(1)
	global_store_dword v[214:215], v0, off
	s_waitcnt vmcnt(0)
	global_store_dword v[222:223], v224, off
.LBB106_16:
	s_or_b32 exec_lo, exec_lo, s7
	v_mov_b32_e32 v0, v226
.LBB106_17:
	s_or_b32 exec_lo, exec_lo, s1
.LBB106_18:
	s_or_saveexec_b32 s0, s0
	v_mov_b32_e32 v232, v0
	s_xor_b32 exec_lo, exec_lo, s0
	s_cbranch_execz .LBB106_20
; %bb.19:
	v_mov_b32_e32 v232, 0
	ds_write2_b64 v1, v[210:211], v[212:213] offset0:2 offset1:3
	ds_write2_b64 v1, v[206:207], v[208:209] offset0:4 offset1:5
	ds_write2_b64 v1, v[202:203], v[204:205] offset0:6 offset1:7
	ds_write2_b64 v1, v[198:199], v[200:201] offset0:8 offset1:9
	ds_write2_b64 v1, v[194:195], v[196:197] offset0:10 offset1:11
	ds_write2_b64 v1, v[190:191], v[192:193] offset0:12 offset1:13
	ds_write2_b64 v1, v[186:187], v[188:189] offset0:14 offset1:15
	ds_write2_b64 v1, v[182:183], v[184:185] offset0:16 offset1:17
	ds_write2_b64 v1, v[178:179], v[180:181] offset0:18 offset1:19
	ds_write2_b64 v1, v[174:175], v[176:177] offset0:20 offset1:21
	ds_write2_b64 v1, v[170:171], v[172:173] offset0:22 offset1:23
	ds_write2_b64 v1, v[166:167], v[168:169] offset0:24 offset1:25
	ds_write2_b64 v1, v[162:163], v[164:165] offset0:26 offset1:27
	ds_write2_b64 v1, v[158:159], v[160:161] offset0:28 offset1:29
	ds_write2_b64 v1, v[154:155], v[156:157] offset0:30 offset1:31
	ds_write2_b64 v1, v[150:151], v[152:153] offset0:32 offset1:33
	ds_write2_b64 v1, v[146:147], v[148:149] offset0:34 offset1:35
	ds_write2_b64 v1, v[142:143], v[144:145] offset0:36 offset1:37
	ds_write2_b64 v1, v[138:139], v[140:141] offset0:38 offset1:39
	ds_write2_b64 v1, v[134:135], v[136:137] offset0:40 offset1:41
	ds_write2_b64 v1, v[130:131], v[132:133] offset0:42 offset1:43
	ds_write2_b64 v1, v[126:127], v[128:129] offset0:44 offset1:45
	ds_write2_b64 v1, v[122:123], v[124:125] offset0:46 offset1:47
	ds_write2_b64 v1, v[118:119], v[120:121] offset0:48 offset1:49
	ds_write2_b64 v1, v[114:115], v[116:117] offset0:50 offset1:51
	ds_write2_b64 v1, v[110:111], v[112:113] offset0:52 offset1:53
	ds_write2_b64 v1, v[106:107], v[108:109] offset0:54 offset1:55
	ds_write2_b64 v1, v[102:103], v[104:105] offset0:56 offset1:57
	ds_write2_b64 v1, v[98:99], v[100:101] offset0:58 offset1:59
	ds_write2_b64 v1, v[94:95], v[96:97] offset0:60 offset1:61
	ds_write2_b64 v1, v[90:91], v[92:93] offset0:62 offset1:63
	ds_write2_b64 v1, v[86:87], v[88:89] offset0:64 offset1:65
	ds_write2_b64 v1, v[82:83], v[84:85] offset0:66 offset1:67
	ds_write2_b64 v1, v[78:79], v[80:81] offset0:68 offset1:69
	ds_write2_b64 v1, v[74:75], v[76:77] offset0:70 offset1:71
	ds_write2_b64 v1, v[70:71], v[72:73] offset0:72 offset1:73
	ds_write2_b64 v1, v[66:67], v[68:69] offset0:74 offset1:75
	ds_write2_b64 v1, v[62:63], v[64:65] offset0:76 offset1:77
	ds_write2_b64 v1, v[58:59], v[60:61] offset0:78 offset1:79
	ds_write2_b64 v1, v[54:55], v[56:57] offset0:80 offset1:81
	ds_write2_b64 v1, v[50:51], v[52:53] offset0:82 offset1:83
	ds_write2_b64 v1, v[46:47], v[48:49] offset0:84 offset1:85
	ds_write2_b64 v1, v[42:43], v[44:45] offset0:86 offset1:87
	ds_write2_b64 v1, v[38:39], v[40:41] offset0:88 offset1:89
	ds_write2_b64 v1, v[34:35], v[36:37] offset0:90 offset1:91
	ds_write2_b64 v1, v[30:31], v[32:33] offset0:92 offset1:93
	ds_write2_b64 v1, v[26:27], v[28:29] offset0:94 offset1:95
	ds_write2_b64 v1, v[22:23], v[24:25] offset0:96 offset1:97
	ds_write2_b64 v1, v[18:19], v[20:21] offset0:98 offset1:99
	ds_write2_b64 v1, v[14:15], v[16:17] offset0:100 offset1:101
	ds_write2_b64 v1, v[10:11], v[12:13] offset0:102 offset1:103
	ds_write2_b64 v1, v[6:7], v[8:9] offset0:104 offset1:105
	ds_write2_b64 v1, v[2:3], v[4:5] offset0:106 offset1:107
.LBB106_20:
	s_or_b32 exec_lo, exec_lo, s0
	s_mov_b32 s0, exec_lo
	s_waitcnt lgkmcnt(0)
	s_waitcnt_vscnt null, 0x0
	s_barrier
	buffer_gl0_inv
	v_cmpx_lt_i32_e32 0, v232
	s_cbranch_execz .LBB106_22
; %bb.21:
	v_mul_f64 v[216:217], v[218:219], v[251:252]
	v_mul_f64 v[222:223], v[220:221], v[251:252]
	v_fma_f64 v[251:252], v[220:221], v[249:250], v[216:217]
	v_fma_f64 v[226:227], v[218:219], v[249:250], -v[222:223]
	ds_read2_b64 v[218:221], v1 offset0:2 offset1:3
	s_waitcnt lgkmcnt(0)
	v_mul_f64 v[214:215], v[220:221], v[251:252]
	v_mov_b32_e32 v250, v227
	v_mov_b32_e32 v249, v226
	v_fma_f64 v[214:215], v[218:219], v[226:227], -v[214:215]
	v_mul_f64 v[218:219], v[218:219], v[251:252]
	v_add_f64 v[210:211], v[210:211], -v[214:215]
	v_fma_f64 v[218:219], v[220:221], v[226:227], v[218:219]
	v_add_f64 v[212:213], v[212:213], -v[218:219]
	ds_read2_b64 v[218:221], v1 offset0:4 offset1:5
	s_waitcnt lgkmcnt(0)
	v_mul_f64 v[214:215], v[220:221], v[251:252]
	v_fma_f64 v[214:215], v[218:219], v[226:227], -v[214:215]
	v_mul_f64 v[218:219], v[218:219], v[251:252]
	v_add_f64 v[206:207], v[206:207], -v[214:215]
	v_fma_f64 v[218:219], v[220:221], v[226:227], v[218:219]
	v_add_f64 v[208:209], v[208:209], -v[218:219]
	ds_read2_b64 v[218:221], v1 offset0:6 offset1:7
	s_waitcnt lgkmcnt(0)
	v_mul_f64 v[214:215], v[220:221], v[251:252]
	;; [unrolled: 8-line block ×52, first 2 shown]
	v_fma_f64 v[214:215], v[218:219], v[226:227], -v[214:215]
	v_mul_f64 v[218:219], v[218:219], v[251:252]
	v_add_f64 v[2:3], v[2:3], -v[214:215]
	v_fma_f64 v[218:219], v[220:221], v[226:227], v[218:219]
	v_add_f64 v[4:5], v[4:5], -v[218:219]
.LBB106_22:
	s_or_b32 exec_lo, exec_lo, s0
	v_lshl_add_u32 v218, v232, 4, v1
	s_barrier
	buffer_gl0_inv
	v_mov_b32_e32 v226, 1
	ds_write2_b64 v218, v[210:211], v[212:213] offset1:1
	s_waitcnt lgkmcnt(0)
	s_barrier
	buffer_gl0_inv
	ds_read2_b64 v[218:221], v1 offset0:2 offset1:3
	s_cmp_lt_i32 s8, 3
	s_cbranch_scc1 .LBB106_25
; %bb.23:
	v_add3_u32 v227, v228, 0, 32
	v_mov_b32_e32 v226, 1
	s_mov_b32 s1, 2
	s_inst_prefetch 0x1
	.p2align	6
.LBB106_24:                             ; =>This Inner Loop Header: Depth=1
	s_waitcnt lgkmcnt(0)
	v_cmp_gt_f64_e32 vcc_lo, 0, v[220:221]
	v_cmp_gt_f64_e64 s0, 0, v[218:219]
	ds_read2_b64 v[234:237], v227 offset1:1
	v_xor_b32_e32 v223, 0x80000000, v219
	v_xor_b32_e32 v225, 0x80000000, v221
	v_mov_b32_e32 v222, v218
	v_mov_b32_e32 v224, v220
	v_add_nc_u32_e32 v227, 16, v227
	s_waitcnt lgkmcnt(0)
	v_xor_b32_e32 v239, 0x80000000, v237
	v_cndmask_b32_e64 v223, v219, v223, s0
	v_cndmask_b32_e32 v225, v221, v225, vcc_lo
	v_cmp_gt_f64_e32 vcc_lo, 0, v[236:237]
	v_cmp_gt_f64_e64 s0, 0, v[234:235]
	v_mov_b32_e32 v238, v236
	v_add_f64 v[222:223], v[222:223], v[224:225]
	v_xor_b32_e32 v225, 0x80000000, v235
	v_mov_b32_e32 v224, v234
	v_cndmask_b32_e32 v239, v237, v239, vcc_lo
	v_cndmask_b32_e64 v225, v235, v225, s0
	v_add_f64 v[224:225], v[224:225], v[238:239]
	v_cmp_lt_f64_e32 vcc_lo, v[222:223], v[224:225]
	v_cndmask_b32_e32 v219, v219, v235, vcc_lo
	v_cndmask_b32_e32 v218, v218, v234, vcc_lo
	;; [unrolled: 1-line block ×4, first 2 shown]
	v_cndmask_b32_e64 v226, v226, s1, vcc_lo
	s_add_i32 s1, s1, 1
	s_cmp_lg_u32 s8, s1
	s_cbranch_scc1 .LBB106_24
.LBB106_25:
	s_inst_prefetch 0x2
	s_waitcnt lgkmcnt(0)
	v_cmp_neq_f64_e32 vcc_lo, 0, v[218:219]
	v_cmp_neq_f64_e64 s0, 0, v[220:221]
	s_or_b32 s1, vcc_lo, s0
	s_and_saveexec_b32 s0, s1
	s_cbranch_execz .LBB106_31
; %bb.26:
	v_cmp_ngt_f64_e64 s1, |v[218:219]|, |v[220:221]|
	s_and_saveexec_b32 s7, s1
	s_xor_b32 s1, exec_lo, s7
	s_cbranch_execz .LBB106_28
; %bb.27:
	v_div_scale_f64 v[222:223], null, v[220:221], v[220:221], v[218:219]
	v_div_scale_f64 v[236:237], vcc_lo, v[218:219], v[220:221], v[218:219]
	v_rcp_f64_e32 v[224:225], v[222:223]
	v_fma_f64 v[234:235], -v[222:223], v[224:225], 1.0
	v_fma_f64 v[224:225], v[224:225], v[234:235], v[224:225]
	v_fma_f64 v[234:235], -v[222:223], v[224:225], 1.0
	v_fma_f64 v[224:225], v[224:225], v[234:235], v[224:225]
	v_mul_f64 v[234:235], v[236:237], v[224:225]
	v_fma_f64 v[222:223], -v[222:223], v[234:235], v[236:237]
	v_div_fmas_f64 v[222:223], v[222:223], v[224:225], v[234:235]
	v_div_fixup_f64 v[222:223], v[222:223], v[220:221], v[218:219]
	v_fma_f64 v[218:219], v[218:219], v[222:223], v[220:221]
	v_div_scale_f64 v[220:221], null, v[218:219], v[218:219], 1.0
	v_rcp_f64_e32 v[224:225], v[220:221]
	v_fma_f64 v[234:235], -v[220:221], v[224:225], 1.0
	v_fma_f64 v[224:225], v[224:225], v[234:235], v[224:225]
	v_fma_f64 v[234:235], -v[220:221], v[224:225], 1.0
	v_fma_f64 v[224:225], v[224:225], v[234:235], v[224:225]
	v_div_scale_f64 v[234:235], vcc_lo, 1.0, v[218:219], 1.0
	v_mul_f64 v[236:237], v[234:235], v[224:225]
	v_fma_f64 v[220:221], -v[220:221], v[236:237], v[234:235]
	v_div_fmas_f64 v[220:221], v[220:221], v[224:225], v[236:237]
	v_div_fixup_f64 v[220:221], v[220:221], v[218:219], 1.0
	v_mul_f64 v[218:219], v[222:223], v[220:221]
	v_xor_b32_e32 v221, 0x80000000, v221
.LBB106_28:
	s_andn2_saveexec_b32 s1, s1
	s_cbranch_execz .LBB106_30
; %bb.29:
	v_div_scale_f64 v[222:223], null, v[218:219], v[218:219], v[220:221]
	v_div_scale_f64 v[236:237], vcc_lo, v[220:221], v[218:219], v[220:221]
	v_rcp_f64_e32 v[224:225], v[222:223]
	v_fma_f64 v[234:235], -v[222:223], v[224:225], 1.0
	v_fma_f64 v[224:225], v[224:225], v[234:235], v[224:225]
	v_fma_f64 v[234:235], -v[222:223], v[224:225], 1.0
	v_fma_f64 v[224:225], v[224:225], v[234:235], v[224:225]
	v_mul_f64 v[234:235], v[236:237], v[224:225]
	v_fma_f64 v[222:223], -v[222:223], v[234:235], v[236:237]
	v_div_fmas_f64 v[222:223], v[222:223], v[224:225], v[234:235]
	v_div_fixup_f64 v[222:223], v[222:223], v[218:219], v[220:221]
	v_fma_f64 v[218:219], v[220:221], v[222:223], v[218:219]
	v_div_scale_f64 v[220:221], null, v[218:219], v[218:219], 1.0
	v_rcp_f64_e32 v[224:225], v[220:221]
	v_fma_f64 v[234:235], -v[220:221], v[224:225], 1.0
	v_fma_f64 v[224:225], v[224:225], v[234:235], v[224:225]
	v_fma_f64 v[234:235], -v[220:221], v[224:225], 1.0
	v_fma_f64 v[224:225], v[224:225], v[234:235], v[224:225]
	v_div_scale_f64 v[234:235], vcc_lo, 1.0, v[218:219], 1.0
	v_mul_f64 v[236:237], v[234:235], v[224:225]
	v_fma_f64 v[220:221], -v[220:221], v[236:237], v[234:235]
	v_div_fmas_f64 v[220:221], v[220:221], v[224:225], v[236:237]
	v_div_fixup_f64 v[218:219], v[220:221], v[218:219], 1.0
	v_mul_f64 v[220:221], v[222:223], -v[218:219]
.LBB106_30:
	s_or_b32 exec_lo, exec_lo, s1
	v_mov_b32_e32 v231, v233
.LBB106_31:
	s_or_b32 exec_lo, exec_lo, s0
	s_mov_b32 s0, exec_lo
	v_cmpx_ne_u32_e64 v232, v226
	s_xor_b32 s0, exec_lo, s0
	s_cbranch_execz .LBB106_37
; %bb.32:
	s_mov_b32 s1, exec_lo
	v_cmpx_eq_u32_e32 1, v232
	s_cbranch_execz .LBB106_36
; %bb.33:
	v_cmp_ne_u32_e32 vcc_lo, 1, v226
	s_xor_b32 s7, s16, -1
	s_and_b32 s9, s7, vcc_lo
	s_and_saveexec_b32 s7, s9
	s_cbranch_execz .LBB106_35
; %bb.34:
	s_clause 0x1
	buffer_load_dword v214, off, s[20:23], 0
	buffer_load_dword v215, off, s[20:23], 0 offset:4
	v_ashrrev_i32_e32 v227, 31, v226
	v_lshlrev_b64 v[222:223], 2, v[226:227]
	s_waitcnt vmcnt(1)
	v_add_co_u32 v222, vcc_lo, v214, v222
	s_waitcnt vmcnt(0)
	v_add_co_ci_u32_e64 v223, null, v215, v223, vcc_lo
	s_clause 0x1
	global_load_dword v0, v[222:223], off
	global_load_dword v224, v[214:215], off offset:4
	s_waitcnt vmcnt(1)
	global_store_dword v[214:215], v0, off offset:4
	s_waitcnt vmcnt(0)
	global_store_dword v[222:223], v224, off
.LBB106_35:
	s_or_b32 exec_lo, exec_lo, s7
	v_mov_b32_e32 v232, v226
	v_mov_b32_e32 v0, v226
.LBB106_36:
	s_or_b32 exec_lo, exec_lo, s1
.LBB106_37:
	s_andn2_saveexec_b32 s0, s0
	s_cbranch_execz .LBB106_39
; %bb.38:
	v_mov_b32_e32 v232, 1
	ds_write2_b64 v1, v[206:207], v[208:209] offset0:4 offset1:5
	ds_write2_b64 v1, v[202:203], v[204:205] offset0:6 offset1:7
	;; [unrolled: 1-line block ×52, first 2 shown]
.LBB106_39:
	s_or_b32 exec_lo, exec_lo, s0
	s_mov_b32 s0, exec_lo
	s_waitcnt lgkmcnt(0)
	s_waitcnt_vscnt null, 0x0
	s_barrier
	buffer_gl0_inv
	v_cmpx_lt_i32_e32 1, v232
	s_cbranch_execz .LBB106_41
; %bb.40:
	v_mul_f64 v[222:223], v[220:221], v[212:213]
	v_mul_f64 v[212:213], v[218:219], v[212:213]
	v_fma_f64 v[226:227], v[218:219], v[210:211], -v[222:223]
	v_fma_f64 v[212:213], v[220:221], v[210:211], v[212:213]
	ds_read2_b64 v[218:221], v1 offset0:4 offset1:5
	s_waitcnt lgkmcnt(0)
	v_mul_f64 v[210:211], v[220:221], v[212:213]
	v_fma_f64 v[210:211], v[218:219], v[226:227], -v[210:211]
	v_mul_f64 v[218:219], v[218:219], v[212:213]
	v_add_f64 v[206:207], v[206:207], -v[210:211]
	v_fma_f64 v[218:219], v[220:221], v[226:227], v[218:219]
	v_add_f64 v[208:209], v[208:209], -v[218:219]
	ds_read2_b64 v[218:221], v1 offset0:6 offset1:7
	s_waitcnt lgkmcnt(0)
	v_mul_f64 v[210:211], v[220:221], v[212:213]
	v_fma_f64 v[210:211], v[218:219], v[226:227], -v[210:211]
	v_mul_f64 v[218:219], v[218:219], v[212:213]
	v_add_f64 v[202:203], v[202:203], -v[210:211]
	v_fma_f64 v[218:219], v[220:221], v[226:227], v[218:219]
	v_add_f64 v[204:205], v[204:205], -v[218:219]
	ds_read2_b64 v[218:221], v1 offset0:8 offset1:9
	s_waitcnt lgkmcnt(0)
	v_mul_f64 v[210:211], v[220:221], v[212:213]
	v_fma_f64 v[210:211], v[218:219], v[226:227], -v[210:211]
	v_mul_f64 v[218:219], v[218:219], v[212:213]
	v_add_f64 v[198:199], v[198:199], -v[210:211]
	v_fma_f64 v[218:219], v[220:221], v[226:227], v[218:219]
	v_add_f64 v[200:201], v[200:201], -v[218:219]
	ds_read2_b64 v[218:221], v1 offset0:10 offset1:11
	s_waitcnt lgkmcnt(0)
	v_mul_f64 v[210:211], v[220:221], v[212:213]
	v_fma_f64 v[210:211], v[218:219], v[226:227], -v[210:211]
	v_mul_f64 v[218:219], v[218:219], v[212:213]
	v_add_f64 v[194:195], v[194:195], -v[210:211]
	v_fma_f64 v[218:219], v[220:221], v[226:227], v[218:219]
	v_add_f64 v[196:197], v[196:197], -v[218:219]
	ds_read2_b64 v[218:221], v1 offset0:12 offset1:13
	s_waitcnt lgkmcnt(0)
	v_mul_f64 v[210:211], v[220:221], v[212:213]
	v_fma_f64 v[210:211], v[218:219], v[226:227], -v[210:211]
	v_mul_f64 v[218:219], v[218:219], v[212:213]
	v_add_f64 v[190:191], v[190:191], -v[210:211]
	v_fma_f64 v[218:219], v[220:221], v[226:227], v[218:219]
	v_add_f64 v[192:193], v[192:193], -v[218:219]
	ds_read2_b64 v[218:221], v1 offset0:14 offset1:15
	s_waitcnt lgkmcnt(0)
	v_mul_f64 v[210:211], v[220:221], v[212:213]
	v_fma_f64 v[210:211], v[218:219], v[226:227], -v[210:211]
	v_mul_f64 v[218:219], v[218:219], v[212:213]
	v_add_f64 v[186:187], v[186:187], -v[210:211]
	v_fma_f64 v[218:219], v[220:221], v[226:227], v[218:219]
	v_add_f64 v[188:189], v[188:189], -v[218:219]
	ds_read2_b64 v[218:221], v1 offset0:16 offset1:17
	s_waitcnt lgkmcnt(0)
	v_mul_f64 v[210:211], v[220:221], v[212:213]
	v_fma_f64 v[210:211], v[218:219], v[226:227], -v[210:211]
	v_mul_f64 v[218:219], v[218:219], v[212:213]
	v_add_f64 v[182:183], v[182:183], -v[210:211]
	v_fma_f64 v[218:219], v[220:221], v[226:227], v[218:219]
	v_add_f64 v[184:185], v[184:185], -v[218:219]
	ds_read2_b64 v[218:221], v1 offset0:18 offset1:19
	s_waitcnt lgkmcnt(0)
	v_mul_f64 v[210:211], v[220:221], v[212:213]
	v_fma_f64 v[210:211], v[218:219], v[226:227], -v[210:211]
	v_mul_f64 v[218:219], v[218:219], v[212:213]
	v_add_f64 v[178:179], v[178:179], -v[210:211]
	v_fma_f64 v[218:219], v[220:221], v[226:227], v[218:219]
	v_add_f64 v[180:181], v[180:181], -v[218:219]
	ds_read2_b64 v[218:221], v1 offset0:20 offset1:21
	s_waitcnt lgkmcnt(0)
	v_mul_f64 v[210:211], v[220:221], v[212:213]
	v_fma_f64 v[210:211], v[218:219], v[226:227], -v[210:211]
	v_mul_f64 v[218:219], v[218:219], v[212:213]
	v_add_f64 v[174:175], v[174:175], -v[210:211]
	v_fma_f64 v[218:219], v[220:221], v[226:227], v[218:219]
	v_add_f64 v[176:177], v[176:177], -v[218:219]
	ds_read2_b64 v[218:221], v1 offset0:22 offset1:23
	s_waitcnt lgkmcnt(0)
	v_mul_f64 v[210:211], v[220:221], v[212:213]
	v_fma_f64 v[210:211], v[218:219], v[226:227], -v[210:211]
	v_mul_f64 v[218:219], v[218:219], v[212:213]
	v_add_f64 v[170:171], v[170:171], -v[210:211]
	v_fma_f64 v[218:219], v[220:221], v[226:227], v[218:219]
	v_add_f64 v[172:173], v[172:173], -v[218:219]
	ds_read2_b64 v[218:221], v1 offset0:24 offset1:25
	s_waitcnt lgkmcnt(0)
	v_mul_f64 v[210:211], v[220:221], v[212:213]
	v_fma_f64 v[210:211], v[218:219], v[226:227], -v[210:211]
	v_mul_f64 v[218:219], v[218:219], v[212:213]
	v_add_f64 v[166:167], v[166:167], -v[210:211]
	v_fma_f64 v[218:219], v[220:221], v[226:227], v[218:219]
	v_add_f64 v[168:169], v[168:169], -v[218:219]
	ds_read2_b64 v[218:221], v1 offset0:26 offset1:27
	s_waitcnt lgkmcnt(0)
	v_mul_f64 v[210:211], v[220:221], v[212:213]
	v_fma_f64 v[210:211], v[218:219], v[226:227], -v[210:211]
	v_mul_f64 v[218:219], v[218:219], v[212:213]
	v_add_f64 v[162:163], v[162:163], -v[210:211]
	v_fma_f64 v[218:219], v[220:221], v[226:227], v[218:219]
	v_add_f64 v[164:165], v[164:165], -v[218:219]
	ds_read2_b64 v[218:221], v1 offset0:28 offset1:29
	s_waitcnt lgkmcnt(0)
	v_mul_f64 v[210:211], v[220:221], v[212:213]
	v_fma_f64 v[210:211], v[218:219], v[226:227], -v[210:211]
	v_mul_f64 v[218:219], v[218:219], v[212:213]
	v_add_f64 v[158:159], v[158:159], -v[210:211]
	v_fma_f64 v[218:219], v[220:221], v[226:227], v[218:219]
	v_add_f64 v[160:161], v[160:161], -v[218:219]
	ds_read2_b64 v[218:221], v1 offset0:30 offset1:31
	s_waitcnt lgkmcnt(0)
	v_mul_f64 v[210:211], v[220:221], v[212:213]
	v_fma_f64 v[210:211], v[218:219], v[226:227], -v[210:211]
	v_mul_f64 v[218:219], v[218:219], v[212:213]
	v_add_f64 v[154:155], v[154:155], -v[210:211]
	v_fma_f64 v[218:219], v[220:221], v[226:227], v[218:219]
	v_add_f64 v[156:157], v[156:157], -v[218:219]
	ds_read2_b64 v[218:221], v1 offset0:32 offset1:33
	s_waitcnt lgkmcnt(0)
	v_mul_f64 v[210:211], v[220:221], v[212:213]
	v_fma_f64 v[210:211], v[218:219], v[226:227], -v[210:211]
	v_mul_f64 v[218:219], v[218:219], v[212:213]
	v_add_f64 v[150:151], v[150:151], -v[210:211]
	v_fma_f64 v[218:219], v[220:221], v[226:227], v[218:219]
	v_add_f64 v[152:153], v[152:153], -v[218:219]
	ds_read2_b64 v[218:221], v1 offset0:34 offset1:35
	s_waitcnt lgkmcnt(0)
	v_mul_f64 v[210:211], v[220:221], v[212:213]
	v_fma_f64 v[210:211], v[218:219], v[226:227], -v[210:211]
	v_mul_f64 v[218:219], v[218:219], v[212:213]
	v_add_f64 v[146:147], v[146:147], -v[210:211]
	v_fma_f64 v[218:219], v[220:221], v[226:227], v[218:219]
	v_add_f64 v[148:149], v[148:149], -v[218:219]
	ds_read2_b64 v[218:221], v1 offset0:36 offset1:37
	s_waitcnt lgkmcnt(0)
	v_mul_f64 v[210:211], v[220:221], v[212:213]
	v_fma_f64 v[210:211], v[218:219], v[226:227], -v[210:211]
	v_mul_f64 v[218:219], v[218:219], v[212:213]
	v_add_f64 v[142:143], v[142:143], -v[210:211]
	v_fma_f64 v[218:219], v[220:221], v[226:227], v[218:219]
	v_add_f64 v[144:145], v[144:145], -v[218:219]
	ds_read2_b64 v[218:221], v1 offset0:38 offset1:39
	s_waitcnt lgkmcnt(0)
	v_mul_f64 v[210:211], v[220:221], v[212:213]
	v_fma_f64 v[210:211], v[218:219], v[226:227], -v[210:211]
	v_mul_f64 v[218:219], v[218:219], v[212:213]
	v_add_f64 v[138:139], v[138:139], -v[210:211]
	v_fma_f64 v[218:219], v[220:221], v[226:227], v[218:219]
	v_add_f64 v[140:141], v[140:141], -v[218:219]
	ds_read2_b64 v[218:221], v1 offset0:40 offset1:41
	s_waitcnt lgkmcnt(0)
	v_mul_f64 v[210:211], v[220:221], v[212:213]
	v_fma_f64 v[210:211], v[218:219], v[226:227], -v[210:211]
	v_mul_f64 v[218:219], v[218:219], v[212:213]
	v_add_f64 v[134:135], v[134:135], -v[210:211]
	v_fma_f64 v[218:219], v[220:221], v[226:227], v[218:219]
	v_add_f64 v[136:137], v[136:137], -v[218:219]
	ds_read2_b64 v[218:221], v1 offset0:42 offset1:43
	s_waitcnt lgkmcnt(0)
	v_mul_f64 v[210:211], v[220:221], v[212:213]
	v_fma_f64 v[210:211], v[218:219], v[226:227], -v[210:211]
	v_mul_f64 v[218:219], v[218:219], v[212:213]
	v_add_f64 v[130:131], v[130:131], -v[210:211]
	v_fma_f64 v[218:219], v[220:221], v[226:227], v[218:219]
	v_add_f64 v[132:133], v[132:133], -v[218:219]
	ds_read2_b64 v[218:221], v1 offset0:44 offset1:45
	s_waitcnt lgkmcnt(0)
	v_mul_f64 v[210:211], v[220:221], v[212:213]
	v_fma_f64 v[210:211], v[218:219], v[226:227], -v[210:211]
	v_mul_f64 v[218:219], v[218:219], v[212:213]
	v_add_f64 v[126:127], v[126:127], -v[210:211]
	v_fma_f64 v[218:219], v[220:221], v[226:227], v[218:219]
	v_add_f64 v[128:129], v[128:129], -v[218:219]
	ds_read2_b64 v[218:221], v1 offset0:46 offset1:47
	s_waitcnt lgkmcnt(0)
	v_mul_f64 v[210:211], v[220:221], v[212:213]
	v_fma_f64 v[210:211], v[218:219], v[226:227], -v[210:211]
	v_mul_f64 v[218:219], v[218:219], v[212:213]
	v_add_f64 v[122:123], v[122:123], -v[210:211]
	v_fma_f64 v[218:219], v[220:221], v[226:227], v[218:219]
	v_add_f64 v[124:125], v[124:125], -v[218:219]
	ds_read2_b64 v[218:221], v1 offset0:48 offset1:49
	s_waitcnt lgkmcnt(0)
	v_mul_f64 v[210:211], v[220:221], v[212:213]
	v_fma_f64 v[210:211], v[218:219], v[226:227], -v[210:211]
	v_mul_f64 v[218:219], v[218:219], v[212:213]
	v_add_f64 v[118:119], v[118:119], -v[210:211]
	v_fma_f64 v[218:219], v[220:221], v[226:227], v[218:219]
	v_add_f64 v[120:121], v[120:121], -v[218:219]
	ds_read2_b64 v[218:221], v1 offset0:50 offset1:51
	s_waitcnt lgkmcnt(0)
	v_mul_f64 v[210:211], v[220:221], v[212:213]
	v_fma_f64 v[210:211], v[218:219], v[226:227], -v[210:211]
	v_mul_f64 v[218:219], v[218:219], v[212:213]
	v_add_f64 v[114:115], v[114:115], -v[210:211]
	v_fma_f64 v[218:219], v[220:221], v[226:227], v[218:219]
	v_add_f64 v[116:117], v[116:117], -v[218:219]
	ds_read2_b64 v[218:221], v1 offset0:52 offset1:53
	s_waitcnt lgkmcnt(0)
	v_mul_f64 v[210:211], v[220:221], v[212:213]
	v_fma_f64 v[210:211], v[218:219], v[226:227], -v[210:211]
	v_mul_f64 v[218:219], v[218:219], v[212:213]
	v_add_f64 v[110:111], v[110:111], -v[210:211]
	v_fma_f64 v[218:219], v[220:221], v[226:227], v[218:219]
	v_add_f64 v[112:113], v[112:113], -v[218:219]
	ds_read2_b64 v[218:221], v1 offset0:54 offset1:55
	s_waitcnt lgkmcnt(0)
	v_mul_f64 v[210:211], v[220:221], v[212:213]
	v_fma_f64 v[210:211], v[218:219], v[226:227], -v[210:211]
	v_mul_f64 v[218:219], v[218:219], v[212:213]
	v_add_f64 v[106:107], v[106:107], -v[210:211]
	v_fma_f64 v[218:219], v[220:221], v[226:227], v[218:219]
	v_add_f64 v[108:109], v[108:109], -v[218:219]
	ds_read2_b64 v[218:221], v1 offset0:56 offset1:57
	s_waitcnt lgkmcnt(0)
	v_mul_f64 v[210:211], v[220:221], v[212:213]
	v_fma_f64 v[210:211], v[218:219], v[226:227], -v[210:211]
	v_mul_f64 v[218:219], v[218:219], v[212:213]
	v_add_f64 v[102:103], v[102:103], -v[210:211]
	v_fma_f64 v[218:219], v[220:221], v[226:227], v[218:219]
	v_add_f64 v[104:105], v[104:105], -v[218:219]
	ds_read2_b64 v[218:221], v1 offset0:58 offset1:59
	s_waitcnt lgkmcnt(0)
	v_mul_f64 v[210:211], v[220:221], v[212:213]
	v_fma_f64 v[210:211], v[218:219], v[226:227], -v[210:211]
	v_mul_f64 v[218:219], v[218:219], v[212:213]
	v_add_f64 v[98:99], v[98:99], -v[210:211]
	v_fma_f64 v[218:219], v[220:221], v[226:227], v[218:219]
	v_add_f64 v[100:101], v[100:101], -v[218:219]
	ds_read2_b64 v[218:221], v1 offset0:60 offset1:61
	s_waitcnt lgkmcnt(0)
	v_mul_f64 v[210:211], v[220:221], v[212:213]
	v_fma_f64 v[210:211], v[218:219], v[226:227], -v[210:211]
	v_mul_f64 v[218:219], v[218:219], v[212:213]
	v_add_f64 v[94:95], v[94:95], -v[210:211]
	v_fma_f64 v[218:219], v[220:221], v[226:227], v[218:219]
	v_add_f64 v[96:97], v[96:97], -v[218:219]
	ds_read2_b64 v[218:221], v1 offset0:62 offset1:63
	s_waitcnt lgkmcnt(0)
	v_mul_f64 v[210:211], v[220:221], v[212:213]
	v_fma_f64 v[210:211], v[218:219], v[226:227], -v[210:211]
	v_mul_f64 v[218:219], v[218:219], v[212:213]
	v_add_f64 v[90:91], v[90:91], -v[210:211]
	v_fma_f64 v[218:219], v[220:221], v[226:227], v[218:219]
	v_add_f64 v[92:93], v[92:93], -v[218:219]
	ds_read2_b64 v[218:221], v1 offset0:64 offset1:65
	s_waitcnt lgkmcnt(0)
	v_mul_f64 v[210:211], v[220:221], v[212:213]
	v_fma_f64 v[210:211], v[218:219], v[226:227], -v[210:211]
	v_mul_f64 v[218:219], v[218:219], v[212:213]
	v_add_f64 v[86:87], v[86:87], -v[210:211]
	v_fma_f64 v[218:219], v[220:221], v[226:227], v[218:219]
	v_add_f64 v[88:89], v[88:89], -v[218:219]
	ds_read2_b64 v[218:221], v1 offset0:66 offset1:67
	s_waitcnt lgkmcnt(0)
	v_mul_f64 v[210:211], v[220:221], v[212:213]
	v_fma_f64 v[210:211], v[218:219], v[226:227], -v[210:211]
	v_mul_f64 v[218:219], v[218:219], v[212:213]
	v_add_f64 v[82:83], v[82:83], -v[210:211]
	v_fma_f64 v[218:219], v[220:221], v[226:227], v[218:219]
	v_add_f64 v[84:85], v[84:85], -v[218:219]
	ds_read2_b64 v[218:221], v1 offset0:68 offset1:69
	s_waitcnt lgkmcnt(0)
	v_mul_f64 v[210:211], v[220:221], v[212:213]
	v_fma_f64 v[210:211], v[218:219], v[226:227], -v[210:211]
	v_mul_f64 v[218:219], v[218:219], v[212:213]
	v_add_f64 v[78:79], v[78:79], -v[210:211]
	v_fma_f64 v[218:219], v[220:221], v[226:227], v[218:219]
	v_add_f64 v[80:81], v[80:81], -v[218:219]
	ds_read2_b64 v[218:221], v1 offset0:70 offset1:71
	s_waitcnt lgkmcnt(0)
	v_mul_f64 v[210:211], v[220:221], v[212:213]
	v_fma_f64 v[210:211], v[218:219], v[226:227], -v[210:211]
	v_mul_f64 v[218:219], v[218:219], v[212:213]
	v_add_f64 v[74:75], v[74:75], -v[210:211]
	v_fma_f64 v[218:219], v[220:221], v[226:227], v[218:219]
	v_add_f64 v[76:77], v[76:77], -v[218:219]
	ds_read2_b64 v[218:221], v1 offset0:72 offset1:73
	s_waitcnt lgkmcnt(0)
	v_mul_f64 v[210:211], v[220:221], v[212:213]
	v_fma_f64 v[210:211], v[218:219], v[226:227], -v[210:211]
	v_mul_f64 v[218:219], v[218:219], v[212:213]
	v_add_f64 v[70:71], v[70:71], -v[210:211]
	v_fma_f64 v[218:219], v[220:221], v[226:227], v[218:219]
	v_add_f64 v[72:73], v[72:73], -v[218:219]
	ds_read2_b64 v[218:221], v1 offset0:74 offset1:75
	s_waitcnt lgkmcnt(0)
	v_mul_f64 v[210:211], v[220:221], v[212:213]
	v_fma_f64 v[210:211], v[218:219], v[226:227], -v[210:211]
	v_mul_f64 v[218:219], v[218:219], v[212:213]
	v_add_f64 v[66:67], v[66:67], -v[210:211]
	v_fma_f64 v[218:219], v[220:221], v[226:227], v[218:219]
	v_add_f64 v[68:69], v[68:69], -v[218:219]
	ds_read2_b64 v[218:221], v1 offset0:76 offset1:77
	s_waitcnt lgkmcnt(0)
	v_mul_f64 v[210:211], v[220:221], v[212:213]
	v_fma_f64 v[210:211], v[218:219], v[226:227], -v[210:211]
	v_mul_f64 v[218:219], v[218:219], v[212:213]
	v_add_f64 v[62:63], v[62:63], -v[210:211]
	v_fma_f64 v[218:219], v[220:221], v[226:227], v[218:219]
	v_add_f64 v[64:65], v[64:65], -v[218:219]
	ds_read2_b64 v[218:221], v1 offset0:78 offset1:79
	s_waitcnt lgkmcnt(0)
	v_mul_f64 v[210:211], v[220:221], v[212:213]
	v_fma_f64 v[210:211], v[218:219], v[226:227], -v[210:211]
	v_mul_f64 v[218:219], v[218:219], v[212:213]
	v_add_f64 v[58:59], v[58:59], -v[210:211]
	v_fma_f64 v[218:219], v[220:221], v[226:227], v[218:219]
	v_add_f64 v[60:61], v[60:61], -v[218:219]
	ds_read2_b64 v[218:221], v1 offset0:80 offset1:81
	s_waitcnt lgkmcnt(0)
	v_mul_f64 v[210:211], v[220:221], v[212:213]
	v_fma_f64 v[210:211], v[218:219], v[226:227], -v[210:211]
	v_mul_f64 v[218:219], v[218:219], v[212:213]
	v_add_f64 v[54:55], v[54:55], -v[210:211]
	v_fma_f64 v[218:219], v[220:221], v[226:227], v[218:219]
	v_add_f64 v[56:57], v[56:57], -v[218:219]
	ds_read2_b64 v[218:221], v1 offset0:82 offset1:83
	s_waitcnt lgkmcnt(0)
	v_mul_f64 v[210:211], v[220:221], v[212:213]
	v_fma_f64 v[210:211], v[218:219], v[226:227], -v[210:211]
	v_mul_f64 v[218:219], v[218:219], v[212:213]
	v_add_f64 v[50:51], v[50:51], -v[210:211]
	v_fma_f64 v[218:219], v[220:221], v[226:227], v[218:219]
	v_add_f64 v[52:53], v[52:53], -v[218:219]
	ds_read2_b64 v[218:221], v1 offset0:84 offset1:85
	s_waitcnt lgkmcnt(0)
	v_mul_f64 v[210:211], v[220:221], v[212:213]
	v_fma_f64 v[210:211], v[218:219], v[226:227], -v[210:211]
	v_mul_f64 v[218:219], v[218:219], v[212:213]
	v_add_f64 v[46:47], v[46:47], -v[210:211]
	v_fma_f64 v[218:219], v[220:221], v[226:227], v[218:219]
	v_add_f64 v[48:49], v[48:49], -v[218:219]
	ds_read2_b64 v[218:221], v1 offset0:86 offset1:87
	s_waitcnt lgkmcnt(0)
	v_mul_f64 v[210:211], v[220:221], v[212:213]
	v_fma_f64 v[210:211], v[218:219], v[226:227], -v[210:211]
	v_mul_f64 v[218:219], v[218:219], v[212:213]
	v_add_f64 v[42:43], v[42:43], -v[210:211]
	v_fma_f64 v[218:219], v[220:221], v[226:227], v[218:219]
	v_add_f64 v[44:45], v[44:45], -v[218:219]
	ds_read2_b64 v[218:221], v1 offset0:88 offset1:89
	s_waitcnt lgkmcnt(0)
	v_mul_f64 v[210:211], v[220:221], v[212:213]
	v_fma_f64 v[210:211], v[218:219], v[226:227], -v[210:211]
	v_mul_f64 v[218:219], v[218:219], v[212:213]
	v_add_f64 v[38:39], v[38:39], -v[210:211]
	v_fma_f64 v[218:219], v[220:221], v[226:227], v[218:219]
	v_add_f64 v[40:41], v[40:41], -v[218:219]
	ds_read2_b64 v[218:221], v1 offset0:90 offset1:91
	s_waitcnt lgkmcnt(0)
	v_mul_f64 v[210:211], v[220:221], v[212:213]
	v_fma_f64 v[210:211], v[218:219], v[226:227], -v[210:211]
	v_mul_f64 v[218:219], v[218:219], v[212:213]
	v_add_f64 v[34:35], v[34:35], -v[210:211]
	v_fma_f64 v[218:219], v[220:221], v[226:227], v[218:219]
	v_add_f64 v[36:37], v[36:37], -v[218:219]
	ds_read2_b64 v[218:221], v1 offset0:92 offset1:93
	s_waitcnt lgkmcnt(0)
	v_mul_f64 v[210:211], v[220:221], v[212:213]
	v_fma_f64 v[210:211], v[218:219], v[226:227], -v[210:211]
	v_mul_f64 v[218:219], v[218:219], v[212:213]
	v_add_f64 v[30:31], v[30:31], -v[210:211]
	v_fma_f64 v[218:219], v[220:221], v[226:227], v[218:219]
	v_add_f64 v[32:33], v[32:33], -v[218:219]
	ds_read2_b64 v[218:221], v1 offset0:94 offset1:95
	s_waitcnt lgkmcnt(0)
	v_mul_f64 v[210:211], v[220:221], v[212:213]
	v_fma_f64 v[210:211], v[218:219], v[226:227], -v[210:211]
	v_mul_f64 v[218:219], v[218:219], v[212:213]
	v_add_f64 v[26:27], v[26:27], -v[210:211]
	v_fma_f64 v[218:219], v[220:221], v[226:227], v[218:219]
	v_add_f64 v[28:29], v[28:29], -v[218:219]
	ds_read2_b64 v[218:221], v1 offset0:96 offset1:97
	s_waitcnt lgkmcnt(0)
	v_mul_f64 v[210:211], v[220:221], v[212:213]
	v_fma_f64 v[210:211], v[218:219], v[226:227], -v[210:211]
	v_mul_f64 v[218:219], v[218:219], v[212:213]
	v_add_f64 v[22:23], v[22:23], -v[210:211]
	v_fma_f64 v[218:219], v[220:221], v[226:227], v[218:219]
	v_add_f64 v[24:25], v[24:25], -v[218:219]
	ds_read2_b64 v[218:221], v1 offset0:98 offset1:99
	s_waitcnt lgkmcnt(0)
	v_mul_f64 v[210:211], v[220:221], v[212:213]
	v_fma_f64 v[210:211], v[218:219], v[226:227], -v[210:211]
	v_mul_f64 v[218:219], v[218:219], v[212:213]
	v_add_f64 v[18:19], v[18:19], -v[210:211]
	v_fma_f64 v[218:219], v[220:221], v[226:227], v[218:219]
	v_add_f64 v[20:21], v[20:21], -v[218:219]
	ds_read2_b64 v[218:221], v1 offset0:100 offset1:101
	s_waitcnt lgkmcnt(0)
	v_mul_f64 v[210:211], v[220:221], v[212:213]
	v_fma_f64 v[210:211], v[218:219], v[226:227], -v[210:211]
	v_mul_f64 v[218:219], v[218:219], v[212:213]
	v_add_f64 v[14:15], v[14:15], -v[210:211]
	v_fma_f64 v[218:219], v[220:221], v[226:227], v[218:219]
	v_add_f64 v[16:17], v[16:17], -v[218:219]
	ds_read2_b64 v[218:221], v1 offset0:102 offset1:103
	s_waitcnt lgkmcnt(0)
	v_mul_f64 v[210:211], v[220:221], v[212:213]
	v_fma_f64 v[210:211], v[218:219], v[226:227], -v[210:211]
	v_mul_f64 v[218:219], v[218:219], v[212:213]
	v_add_f64 v[10:11], v[10:11], -v[210:211]
	v_fma_f64 v[218:219], v[220:221], v[226:227], v[218:219]
	v_add_f64 v[12:13], v[12:13], -v[218:219]
	ds_read2_b64 v[218:221], v1 offset0:104 offset1:105
	s_waitcnt lgkmcnt(0)
	v_mul_f64 v[210:211], v[220:221], v[212:213]
	v_fma_f64 v[210:211], v[218:219], v[226:227], -v[210:211]
	v_mul_f64 v[218:219], v[218:219], v[212:213]
	v_add_f64 v[6:7], v[6:7], -v[210:211]
	v_fma_f64 v[218:219], v[220:221], v[226:227], v[218:219]
	v_add_f64 v[8:9], v[8:9], -v[218:219]
	ds_read2_b64 v[218:221], v1 offset0:106 offset1:107
	s_waitcnt lgkmcnt(0)
	v_mul_f64 v[210:211], v[220:221], v[212:213]
	v_fma_f64 v[210:211], v[218:219], v[226:227], -v[210:211]
	v_mul_f64 v[218:219], v[218:219], v[212:213]
	v_add_f64 v[2:3], v[2:3], -v[210:211]
	v_fma_f64 v[218:219], v[220:221], v[226:227], v[218:219]
	v_mov_b32_e32 v210, v226
	v_mov_b32_e32 v211, v227
	v_add_f64 v[4:5], v[4:5], -v[218:219]
.LBB106_41:
	s_or_b32 exec_lo, exec_lo, s0
	v_lshl_add_u32 v218, v232, 4, v1
	s_barrier
	buffer_gl0_inv
	v_mov_b32_e32 v226, 2
	ds_write2_b64 v218, v[206:207], v[208:209] offset1:1
	s_waitcnt lgkmcnt(0)
	s_barrier
	buffer_gl0_inv
	ds_read2_b64 v[218:221], v1 offset0:4 offset1:5
	s_cmp_lt_i32 s8, 4
	s_cbranch_scc1 .LBB106_44
; %bb.42:
	v_add3_u32 v227, v228, 0, 48
	v_mov_b32_e32 v226, 2
	s_mov_b32 s1, 3
	s_inst_prefetch 0x1
	.p2align	6
.LBB106_43:                             ; =>This Inner Loop Header: Depth=1
	s_waitcnt lgkmcnt(0)
	v_cmp_gt_f64_e32 vcc_lo, 0, v[220:221]
	v_cmp_gt_f64_e64 s0, 0, v[218:219]
	ds_read2_b64 v[233:236], v227 offset1:1
	v_xor_b32_e32 v223, 0x80000000, v219
	v_xor_b32_e32 v225, 0x80000000, v221
	v_mov_b32_e32 v222, v218
	v_mov_b32_e32 v224, v220
	v_add_nc_u32_e32 v227, 16, v227
	s_waitcnt lgkmcnt(0)
	v_xor_b32_e32 v238, 0x80000000, v236
	v_cndmask_b32_e64 v223, v219, v223, s0
	v_cndmask_b32_e32 v225, v221, v225, vcc_lo
	v_cmp_gt_f64_e32 vcc_lo, 0, v[235:236]
	v_cmp_gt_f64_e64 s0, 0, v[233:234]
	v_mov_b32_e32 v237, v235
	v_add_f64 v[222:223], v[222:223], v[224:225]
	v_xor_b32_e32 v225, 0x80000000, v234
	v_mov_b32_e32 v224, v233
	v_cndmask_b32_e32 v238, v236, v238, vcc_lo
	v_cndmask_b32_e64 v225, v234, v225, s0
	v_add_f64 v[224:225], v[224:225], v[237:238]
	v_cmp_lt_f64_e32 vcc_lo, v[222:223], v[224:225]
	v_cndmask_b32_e32 v219, v219, v234, vcc_lo
	v_cndmask_b32_e32 v218, v218, v233, vcc_lo
	;; [unrolled: 1-line block ×4, first 2 shown]
	v_cndmask_b32_e64 v226, v226, s1, vcc_lo
	s_add_i32 s1, s1, 1
	s_cmp_lg_u32 s8, s1
	s_cbranch_scc1 .LBB106_43
.LBB106_44:
	s_inst_prefetch 0x2
	s_waitcnt lgkmcnt(0)
	v_cmp_eq_f64_e32 vcc_lo, 0, v[218:219]
	v_cmp_eq_f64_e64 s0, 0, v[220:221]
	s_and_b32 s0, vcc_lo, s0
	s_and_saveexec_b32 s1, s0
	s_xor_b32 s0, exec_lo, s1
; %bb.45:
	v_cmp_ne_u32_e32 vcc_lo, 0, v231
	v_cndmask_b32_e32 v231, 3, v231, vcc_lo
; %bb.46:
	s_andn2_saveexec_b32 s0, s0
	s_cbranch_execz .LBB106_52
; %bb.47:
	v_cmp_ngt_f64_e64 s1, |v[218:219]|, |v[220:221]|
	s_and_saveexec_b32 s7, s1
	s_xor_b32 s1, exec_lo, s7
	s_cbranch_execz .LBB106_49
; %bb.48:
	v_div_scale_f64 v[222:223], null, v[220:221], v[220:221], v[218:219]
	v_div_scale_f64 v[235:236], vcc_lo, v[218:219], v[220:221], v[218:219]
	v_rcp_f64_e32 v[224:225], v[222:223]
	v_fma_f64 v[233:234], -v[222:223], v[224:225], 1.0
	v_fma_f64 v[224:225], v[224:225], v[233:234], v[224:225]
	v_fma_f64 v[233:234], -v[222:223], v[224:225], 1.0
	v_fma_f64 v[224:225], v[224:225], v[233:234], v[224:225]
	v_mul_f64 v[233:234], v[235:236], v[224:225]
	v_fma_f64 v[222:223], -v[222:223], v[233:234], v[235:236]
	v_div_fmas_f64 v[222:223], v[222:223], v[224:225], v[233:234]
	v_div_fixup_f64 v[222:223], v[222:223], v[220:221], v[218:219]
	v_fma_f64 v[218:219], v[218:219], v[222:223], v[220:221]
	v_div_scale_f64 v[220:221], null, v[218:219], v[218:219], 1.0
	v_rcp_f64_e32 v[224:225], v[220:221]
	v_fma_f64 v[233:234], -v[220:221], v[224:225], 1.0
	v_fma_f64 v[224:225], v[224:225], v[233:234], v[224:225]
	v_fma_f64 v[233:234], -v[220:221], v[224:225], 1.0
	v_fma_f64 v[224:225], v[224:225], v[233:234], v[224:225]
	v_div_scale_f64 v[233:234], vcc_lo, 1.0, v[218:219], 1.0
	v_mul_f64 v[235:236], v[233:234], v[224:225]
	v_fma_f64 v[220:221], -v[220:221], v[235:236], v[233:234]
	v_div_fmas_f64 v[220:221], v[220:221], v[224:225], v[235:236]
	v_div_fixup_f64 v[220:221], v[220:221], v[218:219], 1.0
	v_mul_f64 v[218:219], v[222:223], v[220:221]
	v_xor_b32_e32 v221, 0x80000000, v221
.LBB106_49:
	s_andn2_saveexec_b32 s1, s1
	s_cbranch_execz .LBB106_51
; %bb.50:
	v_div_scale_f64 v[222:223], null, v[218:219], v[218:219], v[220:221]
	v_div_scale_f64 v[235:236], vcc_lo, v[220:221], v[218:219], v[220:221]
	v_rcp_f64_e32 v[224:225], v[222:223]
	v_fma_f64 v[233:234], -v[222:223], v[224:225], 1.0
	v_fma_f64 v[224:225], v[224:225], v[233:234], v[224:225]
	v_fma_f64 v[233:234], -v[222:223], v[224:225], 1.0
	v_fma_f64 v[224:225], v[224:225], v[233:234], v[224:225]
	v_mul_f64 v[233:234], v[235:236], v[224:225]
	v_fma_f64 v[222:223], -v[222:223], v[233:234], v[235:236]
	v_div_fmas_f64 v[222:223], v[222:223], v[224:225], v[233:234]
	v_div_fixup_f64 v[222:223], v[222:223], v[218:219], v[220:221]
	v_fma_f64 v[218:219], v[220:221], v[222:223], v[218:219]
	v_div_scale_f64 v[220:221], null, v[218:219], v[218:219], 1.0
	v_rcp_f64_e32 v[224:225], v[220:221]
	v_fma_f64 v[233:234], -v[220:221], v[224:225], 1.0
	v_fma_f64 v[224:225], v[224:225], v[233:234], v[224:225]
	v_fma_f64 v[233:234], -v[220:221], v[224:225], 1.0
	v_fma_f64 v[224:225], v[224:225], v[233:234], v[224:225]
	v_div_scale_f64 v[233:234], vcc_lo, 1.0, v[218:219], 1.0
	v_mul_f64 v[235:236], v[233:234], v[224:225]
	v_fma_f64 v[220:221], -v[220:221], v[235:236], v[233:234]
	v_div_fmas_f64 v[220:221], v[220:221], v[224:225], v[235:236]
	v_div_fixup_f64 v[218:219], v[220:221], v[218:219], 1.0
	v_mul_f64 v[220:221], v[222:223], -v[218:219]
.LBB106_51:
	s_or_b32 exec_lo, exec_lo, s1
.LBB106_52:
	s_or_b32 exec_lo, exec_lo, s0
	s_mov_b32 s0, exec_lo
	v_cmpx_ne_u32_e64 v232, v226
	s_xor_b32 s0, exec_lo, s0
	s_cbranch_execz .LBB106_58
; %bb.53:
	s_mov_b32 s1, exec_lo
	v_cmpx_eq_u32_e32 2, v232
	s_cbranch_execz .LBB106_57
; %bb.54:
	v_cmp_ne_u32_e32 vcc_lo, 2, v226
	s_xor_b32 s7, s16, -1
	s_and_b32 s9, s7, vcc_lo
	s_and_saveexec_b32 s7, s9
	s_cbranch_execz .LBB106_56
; %bb.55:
	s_clause 0x1
	buffer_load_dword v214, off, s[20:23], 0
	buffer_load_dword v215, off, s[20:23], 0 offset:4
	v_ashrrev_i32_e32 v227, 31, v226
	v_lshlrev_b64 v[222:223], 2, v[226:227]
	s_waitcnt vmcnt(1)
	v_add_co_u32 v222, vcc_lo, v214, v222
	s_waitcnt vmcnt(0)
	v_add_co_ci_u32_e64 v223, null, v215, v223, vcc_lo
	s_clause 0x1
	global_load_dword v0, v[222:223], off
	global_load_dword v224, v[214:215], off offset:8
	s_waitcnt vmcnt(1)
	global_store_dword v[214:215], v0, off offset:8
	s_waitcnt vmcnt(0)
	global_store_dword v[222:223], v224, off
.LBB106_56:
	s_or_b32 exec_lo, exec_lo, s7
	v_mov_b32_e32 v232, v226
	v_mov_b32_e32 v0, v226
.LBB106_57:
	s_or_b32 exec_lo, exec_lo, s1
.LBB106_58:
	s_andn2_saveexec_b32 s0, s0
	s_cbranch_execz .LBB106_60
; %bb.59:
	v_mov_b32_e32 v232, 2
	ds_write2_b64 v1, v[202:203], v[204:205] offset0:6 offset1:7
	ds_write2_b64 v1, v[198:199], v[200:201] offset0:8 offset1:9
	;; [unrolled: 1-line block ×51, first 2 shown]
.LBB106_60:
	s_or_b32 exec_lo, exec_lo, s0
	s_mov_b32 s0, exec_lo
	s_waitcnt lgkmcnt(0)
	s_waitcnt_vscnt null, 0x0
	s_barrier
	buffer_gl0_inv
	v_cmpx_lt_i32_e32 2, v232
	s_cbranch_execz .LBB106_62
; %bb.61:
	v_mul_f64 v[222:223], v[220:221], v[208:209]
	v_mul_f64 v[208:209], v[218:219], v[208:209]
	v_fma_f64 v[226:227], v[218:219], v[206:207], -v[222:223]
	v_fma_f64 v[208:209], v[220:221], v[206:207], v[208:209]
	ds_read2_b64 v[218:221], v1 offset0:6 offset1:7
	s_waitcnt lgkmcnt(0)
	v_mul_f64 v[206:207], v[220:221], v[208:209]
	v_fma_f64 v[206:207], v[218:219], v[226:227], -v[206:207]
	v_mul_f64 v[218:219], v[218:219], v[208:209]
	v_add_f64 v[202:203], v[202:203], -v[206:207]
	v_fma_f64 v[218:219], v[220:221], v[226:227], v[218:219]
	v_add_f64 v[204:205], v[204:205], -v[218:219]
	ds_read2_b64 v[218:221], v1 offset0:8 offset1:9
	s_waitcnt lgkmcnt(0)
	v_mul_f64 v[206:207], v[220:221], v[208:209]
	v_fma_f64 v[206:207], v[218:219], v[226:227], -v[206:207]
	v_mul_f64 v[218:219], v[218:219], v[208:209]
	v_add_f64 v[198:199], v[198:199], -v[206:207]
	v_fma_f64 v[218:219], v[220:221], v[226:227], v[218:219]
	v_add_f64 v[200:201], v[200:201], -v[218:219]
	;; [unrolled: 8-line block ×50, first 2 shown]
	ds_read2_b64 v[218:221], v1 offset0:106 offset1:107
	s_waitcnt lgkmcnt(0)
	v_mul_f64 v[206:207], v[220:221], v[208:209]
	v_fma_f64 v[206:207], v[218:219], v[226:227], -v[206:207]
	v_mul_f64 v[218:219], v[218:219], v[208:209]
	v_add_f64 v[2:3], v[2:3], -v[206:207]
	v_fma_f64 v[218:219], v[220:221], v[226:227], v[218:219]
	v_mov_b32_e32 v206, v226
	v_mov_b32_e32 v207, v227
	v_add_f64 v[4:5], v[4:5], -v[218:219]
.LBB106_62:
	s_or_b32 exec_lo, exec_lo, s0
	v_lshl_add_u32 v218, v232, 4, v1
	s_barrier
	buffer_gl0_inv
	v_mov_b32_e32 v226, 3
	ds_write2_b64 v218, v[202:203], v[204:205] offset1:1
	s_waitcnt lgkmcnt(0)
	s_barrier
	buffer_gl0_inv
	ds_read2_b64 v[218:221], v1 offset0:6 offset1:7
	s_cmp_lt_i32 s8, 5
	s_mov_b32 s1, 4
	s_cbranch_scc1 .LBB106_65
; %bb.63:
	v_add3_u32 v227, v228, 0, 64
	v_mov_b32_e32 v226, 3
	s_inst_prefetch 0x1
	.p2align	6
.LBB106_64:                             ; =>This Inner Loop Header: Depth=1
	s_waitcnt lgkmcnt(0)
	v_cmp_gt_f64_e32 vcc_lo, 0, v[220:221]
	v_cmp_gt_f64_e64 s0, 0, v[218:219]
	ds_read2_b64 v[233:236], v227 offset1:1
	v_xor_b32_e32 v223, 0x80000000, v219
	v_xor_b32_e32 v225, 0x80000000, v221
	v_mov_b32_e32 v222, v218
	v_mov_b32_e32 v224, v220
	v_add_nc_u32_e32 v227, 16, v227
	s_waitcnt lgkmcnt(0)
	v_xor_b32_e32 v238, 0x80000000, v236
	v_cndmask_b32_e64 v223, v219, v223, s0
	v_cndmask_b32_e32 v225, v221, v225, vcc_lo
	v_cmp_gt_f64_e32 vcc_lo, 0, v[235:236]
	v_cmp_gt_f64_e64 s0, 0, v[233:234]
	v_mov_b32_e32 v237, v235
	v_add_f64 v[222:223], v[222:223], v[224:225]
	v_xor_b32_e32 v225, 0x80000000, v234
	v_mov_b32_e32 v224, v233
	v_cndmask_b32_e32 v238, v236, v238, vcc_lo
	v_cndmask_b32_e64 v225, v234, v225, s0
	v_add_f64 v[224:225], v[224:225], v[237:238]
	v_cmp_lt_f64_e32 vcc_lo, v[222:223], v[224:225]
	v_cndmask_b32_e32 v219, v219, v234, vcc_lo
	v_cndmask_b32_e32 v218, v218, v233, vcc_lo
	;; [unrolled: 1-line block ×4, first 2 shown]
	v_cndmask_b32_e64 v226, v226, s1, vcc_lo
	s_add_i32 s1, s1, 1
	s_cmp_lg_u32 s8, s1
	s_cbranch_scc1 .LBB106_64
.LBB106_65:
	s_inst_prefetch 0x2
	s_waitcnt lgkmcnt(0)
	v_cmp_eq_f64_e32 vcc_lo, 0, v[218:219]
	v_cmp_eq_f64_e64 s0, 0, v[220:221]
	s_and_b32 s0, vcc_lo, s0
	s_and_saveexec_b32 s1, s0
	s_xor_b32 s0, exec_lo, s1
; %bb.66:
	v_cmp_ne_u32_e32 vcc_lo, 0, v231
	v_cndmask_b32_e32 v231, 4, v231, vcc_lo
; %bb.67:
	s_andn2_saveexec_b32 s0, s0
	s_cbranch_execz .LBB106_73
; %bb.68:
	v_cmp_ngt_f64_e64 s1, |v[218:219]|, |v[220:221]|
	s_and_saveexec_b32 s7, s1
	s_xor_b32 s1, exec_lo, s7
	s_cbranch_execz .LBB106_70
; %bb.69:
	v_div_scale_f64 v[222:223], null, v[220:221], v[220:221], v[218:219]
	v_div_scale_f64 v[235:236], vcc_lo, v[218:219], v[220:221], v[218:219]
	v_rcp_f64_e32 v[224:225], v[222:223]
	v_fma_f64 v[233:234], -v[222:223], v[224:225], 1.0
	v_fma_f64 v[224:225], v[224:225], v[233:234], v[224:225]
	v_fma_f64 v[233:234], -v[222:223], v[224:225], 1.0
	v_fma_f64 v[224:225], v[224:225], v[233:234], v[224:225]
	v_mul_f64 v[233:234], v[235:236], v[224:225]
	v_fma_f64 v[222:223], -v[222:223], v[233:234], v[235:236]
	v_div_fmas_f64 v[222:223], v[222:223], v[224:225], v[233:234]
	v_div_fixup_f64 v[222:223], v[222:223], v[220:221], v[218:219]
	v_fma_f64 v[218:219], v[218:219], v[222:223], v[220:221]
	v_div_scale_f64 v[220:221], null, v[218:219], v[218:219], 1.0
	v_rcp_f64_e32 v[224:225], v[220:221]
	v_fma_f64 v[233:234], -v[220:221], v[224:225], 1.0
	v_fma_f64 v[224:225], v[224:225], v[233:234], v[224:225]
	v_fma_f64 v[233:234], -v[220:221], v[224:225], 1.0
	v_fma_f64 v[224:225], v[224:225], v[233:234], v[224:225]
	v_div_scale_f64 v[233:234], vcc_lo, 1.0, v[218:219], 1.0
	v_mul_f64 v[235:236], v[233:234], v[224:225]
	v_fma_f64 v[220:221], -v[220:221], v[235:236], v[233:234]
	v_div_fmas_f64 v[220:221], v[220:221], v[224:225], v[235:236]
	v_div_fixup_f64 v[220:221], v[220:221], v[218:219], 1.0
	v_mul_f64 v[218:219], v[222:223], v[220:221]
	v_xor_b32_e32 v221, 0x80000000, v221
.LBB106_70:
	s_andn2_saveexec_b32 s1, s1
	s_cbranch_execz .LBB106_72
; %bb.71:
	v_div_scale_f64 v[222:223], null, v[218:219], v[218:219], v[220:221]
	v_div_scale_f64 v[235:236], vcc_lo, v[220:221], v[218:219], v[220:221]
	v_rcp_f64_e32 v[224:225], v[222:223]
	v_fma_f64 v[233:234], -v[222:223], v[224:225], 1.0
	v_fma_f64 v[224:225], v[224:225], v[233:234], v[224:225]
	v_fma_f64 v[233:234], -v[222:223], v[224:225], 1.0
	v_fma_f64 v[224:225], v[224:225], v[233:234], v[224:225]
	v_mul_f64 v[233:234], v[235:236], v[224:225]
	v_fma_f64 v[222:223], -v[222:223], v[233:234], v[235:236]
	v_div_fmas_f64 v[222:223], v[222:223], v[224:225], v[233:234]
	v_div_fixup_f64 v[222:223], v[222:223], v[218:219], v[220:221]
	v_fma_f64 v[218:219], v[220:221], v[222:223], v[218:219]
	v_div_scale_f64 v[220:221], null, v[218:219], v[218:219], 1.0
	v_rcp_f64_e32 v[224:225], v[220:221]
	v_fma_f64 v[233:234], -v[220:221], v[224:225], 1.0
	v_fma_f64 v[224:225], v[224:225], v[233:234], v[224:225]
	v_fma_f64 v[233:234], -v[220:221], v[224:225], 1.0
	v_fma_f64 v[224:225], v[224:225], v[233:234], v[224:225]
	v_div_scale_f64 v[233:234], vcc_lo, 1.0, v[218:219], 1.0
	v_mul_f64 v[235:236], v[233:234], v[224:225]
	v_fma_f64 v[220:221], -v[220:221], v[235:236], v[233:234]
	v_div_fmas_f64 v[220:221], v[220:221], v[224:225], v[235:236]
	v_div_fixup_f64 v[218:219], v[220:221], v[218:219], 1.0
	v_mul_f64 v[220:221], v[222:223], -v[218:219]
.LBB106_72:
	s_or_b32 exec_lo, exec_lo, s1
.LBB106_73:
	s_or_b32 exec_lo, exec_lo, s0
	s_mov_b32 s0, exec_lo
	v_cmpx_ne_u32_e64 v232, v226
	s_xor_b32 s0, exec_lo, s0
	s_cbranch_execz .LBB106_79
; %bb.74:
	s_mov_b32 s1, exec_lo
	v_cmpx_eq_u32_e32 3, v232
	s_cbranch_execz .LBB106_78
; %bb.75:
	v_cmp_ne_u32_e32 vcc_lo, 3, v226
	s_xor_b32 s7, s16, -1
	s_and_b32 s9, s7, vcc_lo
	s_and_saveexec_b32 s7, s9
	s_cbranch_execz .LBB106_77
; %bb.76:
	s_clause 0x1
	buffer_load_dword v214, off, s[20:23], 0
	buffer_load_dword v215, off, s[20:23], 0 offset:4
	v_ashrrev_i32_e32 v227, 31, v226
	v_lshlrev_b64 v[222:223], 2, v[226:227]
	s_waitcnt vmcnt(1)
	v_add_co_u32 v222, vcc_lo, v214, v222
	s_waitcnt vmcnt(0)
	v_add_co_ci_u32_e64 v223, null, v215, v223, vcc_lo
	s_clause 0x1
	global_load_dword v0, v[222:223], off
	global_load_dword v224, v[214:215], off offset:12
	s_waitcnt vmcnt(1)
	global_store_dword v[214:215], v0, off offset:12
	s_waitcnt vmcnt(0)
	global_store_dword v[222:223], v224, off
.LBB106_77:
	s_or_b32 exec_lo, exec_lo, s7
	v_mov_b32_e32 v232, v226
	v_mov_b32_e32 v0, v226
.LBB106_78:
	s_or_b32 exec_lo, exec_lo, s1
.LBB106_79:
	s_andn2_saveexec_b32 s0, s0
	s_cbranch_execz .LBB106_81
; %bb.80:
	v_mov_b32_e32 v232, 3
	ds_write2_b64 v1, v[198:199], v[200:201] offset0:8 offset1:9
	ds_write2_b64 v1, v[194:195], v[196:197] offset0:10 offset1:11
	;; [unrolled: 1-line block ×50, first 2 shown]
.LBB106_81:
	s_or_b32 exec_lo, exec_lo, s0
	s_mov_b32 s0, exec_lo
	s_waitcnt lgkmcnt(0)
	s_waitcnt_vscnt null, 0x0
	s_barrier
	buffer_gl0_inv
	v_cmpx_lt_i32_e32 3, v232
	s_cbranch_execz .LBB106_83
; %bb.82:
	v_mul_f64 v[222:223], v[220:221], v[204:205]
	v_mul_f64 v[204:205], v[218:219], v[204:205]
	v_fma_f64 v[226:227], v[218:219], v[202:203], -v[222:223]
	v_fma_f64 v[204:205], v[220:221], v[202:203], v[204:205]
	ds_read2_b64 v[218:221], v1 offset0:8 offset1:9
	s_waitcnt lgkmcnt(0)
	v_mul_f64 v[202:203], v[220:221], v[204:205]
	v_fma_f64 v[202:203], v[218:219], v[226:227], -v[202:203]
	v_mul_f64 v[218:219], v[218:219], v[204:205]
	v_add_f64 v[198:199], v[198:199], -v[202:203]
	v_fma_f64 v[218:219], v[220:221], v[226:227], v[218:219]
	v_add_f64 v[200:201], v[200:201], -v[218:219]
	ds_read2_b64 v[218:221], v1 offset0:10 offset1:11
	s_waitcnt lgkmcnt(0)
	v_mul_f64 v[202:203], v[220:221], v[204:205]
	v_fma_f64 v[202:203], v[218:219], v[226:227], -v[202:203]
	v_mul_f64 v[218:219], v[218:219], v[204:205]
	v_add_f64 v[194:195], v[194:195], -v[202:203]
	v_fma_f64 v[218:219], v[220:221], v[226:227], v[218:219]
	v_add_f64 v[196:197], v[196:197], -v[218:219]
	;; [unrolled: 8-line block ×49, first 2 shown]
	ds_read2_b64 v[218:221], v1 offset0:106 offset1:107
	s_waitcnt lgkmcnt(0)
	v_mul_f64 v[202:203], v[220:221], v[204:205]
	v_fma_f64 v[202:203], v[218:219], v[226:227], -v[202:203]
	v_mul_f64 v[218:219], v[218:219], v[204:205]
	v_add_f64 v[2:3], v[2:3], -v[202:203]
	v_fma_f64 v[218:219], v[220:221], v[226:227], v[218:219]
	v_mov_b32_e32 v202, v226
	v_mov_b32_e32 v203, v227
	v_add_f64 v[4:5], v[4:5], -v[218:219]
.LBB106_83:
	s_or_b32 exec_lo, exec_lo, s0
	v_lshl_add_u32 v218, v232, 4, v1
	s_barrier
	buffer_gl0_inv
	v_mov_b32_e32 v226, 4
	ds_write2_b64 v218, v[198:199], v[200:201] offset1:1
	s_waitcnt lgkmcnt(0)
	s_barrier
	buffer_gl0_inv
	ds_read2_b64 v[218:221], v1 offset0:8 offset1:9
	s_cmp_lt_i32 s8, 6
	s_cbranch_scc1 .LBB106_86
; %bb.84:
	v_mov_b32_e32 v226, 4
	v_add3_u32 v227, v228, 0, 0x50
	s_mov_b32 s1, 5
	s_inst_prefetch 0x1
	.p2align	6
.LBB106_85:                             ; =>This Inner Loop Header: Depth=1
	s_waitcnt lgkmcnt(0)
	v_cmp_gt_f64_e32 vcc_lo, 0, v[220:221]
	v_cmp_gt_f64_e64 s0, 0, v[218:219]
	ds_read2_b64 v[233:236], v227 offset1:1
	v_xor_b32_e32 v223, 0x80000000, v219
	v_xor_b32_e32 v225, 0x80000000, v221
	v_mov_b32_e32 v222, v218
	v_mov_b32_e32 v224, v220
	v_add_nc_u32_e32 v227, 16, v227
	s_waitcnt lgkmcnt(0)
	v_xor_b32_e32 v238, 0x80000000, v236
	v_cndmask_b32_e64 v223, v219, v223, s0
	v_cndmask_b32_e32 v225, v221, v225, vcc_lo
	v_cmp_gt_f64_e32 vcc_lo, 0, v[235:236]
	v_cmp_gt_f64_e64 s0, 0, v[233:234]
	v_mov_b32_e32 v237, v235
	v_add_f64 v[222:223], v[222:223], v[224:225]
	v_xor_b32_e32 v225, 0x80000000, v234
	v_mov_b32_e32 v224, v233
	v_cndmask_b32_e32 v238, v236, v238, vcc_lo
	v_cndmask_b32_e64 v225, v234, v225, s0
	v_add_f64 v[224:225], v[224:225], v[237:238]
	v_cmp_lt_f64_e32 vcc_lo, v[222:223], v[224:225]
	v_cndmask_b32_e32 v219, v219, v234, vcc_lo
	v_cndmask_b32_e32 v218, v218, v233, vcc_lo
	;; [unrolled: 1-line block ×4, first 2 shown]
	v_cndmask_b32_e64 v226, v226, s1, vcc_lo
	s_add_i32 s1, s1, 1
	s_cmp_lg_u32 s8, s1
	s_cbranch_scc1 .LBB106_85
.LBB106_86:
	s_inst_prefetch 0x2
	s_waitcnt lgkmcnt(0)
	v_cmp_eq_f64_e32 vcc_lo, 0, v[218:219]
	v_cmp_eq_f64_e64 s0, 0, v[220:221]
	s_and_b32 s0, vcc_lo, s0
	s_and_saveexec_b32 s1, s0
	s_xor_b32 s0, exec_lo, s1
; %bb.87:
	v_cmp_ne_u32_e32 vcc_lo, 0, v231
	v_cndmask_b32_e32 v231, 5, v231, vcc_lo
; %bb.88:
	s_andn2_saveexec_b32 s0, s0
	s_cbranch_execz .LBB106_94
; %bb.89:
	v_cmp_ngt_f64_e64 s1, |v[218:219]|, |v[220:221]|
	s_and_saveexec_b32 s7, s1
	s_xor_b32 s1, exec_lo, s7
	s_cbranch_execz .LBB106_91
; %bb.90:
	v_div_scale_f64 v[222:223], null, v[220:221], v[220:221], v[218:219]
	v_div_scale_f64 v[235:236], vcc_lo, v[218:219], v[220:221], v[218:219]
	v_rcp_f64_e32 v[224:225], v[222:223]
	v_fma_f64 v[233:234], -v[222:223], v[224:225], 1.0
	v_fma_f64 v[224:225], v[224:225], v[233:234], v[224:225]
	v_fma_f64 v[233:234], -v[222:223], v[224:225], 1.0
	v_fma_f64 v[224:225], v[224:225], v[233:234], v[224:225]
	v_mul_f64 v[233:234], v[235:236], v[224:225]
	v_fma_f64 v[222:223], -v[222:223], v[233:234], v[235:236]
	v_div_fmas_f64 v[222:223], v[222:223], v[224:225], v[233:234]
	v_div_fixup_f64 v[222:223], v[222:223], v[220:221], v[218:219]
	v_fma_f64 v[218:219], v[218:219], v[222:223], v[220:221]
	v_div_scale_f64 v[220:221], null, v[218:219], v[218:219], 1.0
	v_rcp_f64_e32 v[224:225], v[220:221]
	v_fma_f64 v[233:234], -v[220:221], v[224:225], 1.0
	v_fma_f64 v[224:225], v[224:225], v[233:234], v[224:225]
	v_fma_f64 v[233:234], -v[220:221], v[224:225], 1.0
	v_fma_f64 v[224:225], v[224:225], v[233:234], v[224:225]
	v_div_scale_f64 v[233:234], vcc_lo, 1.0, v[218:219], 1.0
	v_mul_f64 v[235:236], v[233:234], v[224:225]
	v_fma_f64 v[220:221], -v[220:221], v[235:236], v[233:234]
	v_div_fmas_f64 v[220:221], v[220:221], v[224:225], v[235:236]
	v_div_fixup_f64 v[220:221], v[220:221], v[218:219], 1.0
	v_mul_f64 v[218:219], v[222:223], v[220:221]
	v_xor_b32_e32 v221, 0x80000000, v221
.LBB106_91:
	s_andn2_saveexec_b32 s1, s1
	s_cbranch_execz .LBB106_93
; %bb.92:
	v_div_scale_f64 v[222:223], null, v[218:219], v[218:219], v[220:221]
	v_div_scale_f64 v[235:236], vcc_lo, v[220:221], v[218:219], v[220:221]
	v_rcp_f64_e32 v[224:225], v[222:223]
	v_fma_f64 v[233:234], -v[222:223], v[224:225], 1.0
	v_fma_f64 v[224:225], v[224:225], v[233:234], v[224:225]
	v_fma_f64 v[233:234], -v[222:223], v[224:225], 1.0
	v_fma_f64 v[224:225], v[224:225], v[233:234], v[224:225]
	v_mul_f64 v[233:234], v[235:236], v[224:225]
	v_fma_f64 v[222:223], -v[222:223], v[233:234], v[235:236]
	v_div_fmas_f64 v[222:223], v[222:223], v[224:225], v[233:234]
	v_div_fixup_f64 v[222:223], v[222:223], v[218:219], v[220:221]
	v_fma_f64 v[218:219], v[220:221], v[222:223], v[218:219]
	v_div_scale_f64 v[220:221], null, v[218:219], v[218:219], 1.0
	v_rcp_f64_e32 v[224:225], v[220:221]
	v_fma_f64 v[233:234], -v[220:221], v[224:225], 1.0
	v_fma_f64 v[224:225], v[224:225], v[233:234], v[224:225]
	v_fma_f64 v[233:234], -v[220:221], v[224:225], 1.0
	v_fma_f64 v[224:225], v[224:225], v[233:234], v[224:225]
	v_div_scale_f64 v[233:234], vcc_lo, 1.0, v[218:219], 1.0
	v_mul_f64 v[235:236], v[233:234], v[224:225]
	v_fma_f64 v[220:221], -v[220:221], v[235:236], v[233:234]
	v_div_fmas_f64 v[220:221], v[220:221], v[224:225], v[235:236]
	v_div_fixup_f64 v[218:219], v[220:221], v[218:219], 1.0
	v_mul_f64 v[220:221], v[222:223], -v[218:219]
.LBB106_93:
	s_or_b32 exec_lo, exec_lo, s1
.LBB106_94:
	s_or_b32 exec_lo, exec_lo, s0
	s_mov_b32 s0, exec_lo
	v_cmpx_ne_u32_e64 v232, v226
	s_xor_b32 s0, exec_lo, s0
	s_cbranch_execz .LBB106_100
; %bb.95:
	s_mov_b32 s1, exec_lo
	v_cmpx_eq_u32_e32 4, v232
	s_cbranch_execz .LBB106_99
; %bb.96:
	v_cmp_ne_u32_e32 vcc_lo, 4, v226
	s_xor_b32 s7, s16, -1
	s_and_b32 s9, s7, vcc_lo
	s_and_saveexec_b32 s7, s9
	s_cbranch_execz .LBB106_98
; %bb.97:
	s_clause 0x1
	buffer_load_dword v214, off, s[20:23], 0
	buffer_load_dword v215, off, s[20:23], 0 offset:4
	v_ashrrev_i32_e32 v227, 31, v226
	v_lshlrev_b64 v[222:223], 2, v[226:227]
	s_waitcnt vmcnt(1)
	v_add_co_u32 v222, vcc_lo, v214, v222
	s_waitcnt vmcnt(0)
	v_add_co_ci_u32_e64 v223, null, v215, v223, vcc_lo
	s_clause 0x1
	global_load_dword v0, v[222:223], off
	global_load_dword v224, v[214:215], off offset:16
	s_waitcnt vmcnt(1)
	global_store_dword v[214:215], v0, off offset:16
	s_waitcnt vmcnt(0)
	global_store_dword v[222:223], v224, off
.LBB106_98:
	s_or_b32 exec_lo, exec_lo, s7
	v_mov_b32_e32 v232, v226
	v_mov_b32_e32 v0, v226
.LBB106_99:
	s_or_b32 exec_lo, exec_lo, s1
.LBB106_100:
	s_andn2_saveexec_b32 s0, s0
	s_cbranch_execz .LBB106_102
; %bb.101:
	v_mov_b32_e32 v232, 4
	ds_write2_b64 v1, v[194:195], v[196:197] offset0:10 offset1:11
	ds_write2_b64 v1, v[190:191], v[192:193] offset0:12 offset1:13
	;; [unrolled: 1-line block ×49, first 2 shown]
.LBB106_102:
	s_or_b32 exec_lo, exec_lo, s0
	s_mov_b32 s0, exec_lo
	s_waitcnt lgkmcnt(0)
	s_waitcnt_vscnt null, 0x0
	s_barrier
	buffer_gl0_inv
	v_cmpx_lt_i32_e32 4, v232
	s_cbranch_execz .LBB106_104
; %bb.103:
	v_mul_f64 v[222:223], v[220:221], v[200:201]
	v_mul_f64 v[200:201], v[218:219], v[200:201]
	v_fma_f64 v[226:227], v[218:219], v[198:199], -v[222:223]
	v_fma_f64 v[200:201], v[220:221], v[198:199], v[200:201]
	ds_read2_b64 v[218:221], v1 offset0:10 offset1:11
	s_waitcnt lgkmcnt(0)
	v_mul_f64 v[198:199], v[220:221], v[200:201]
	v_fma_f64 v[198:199], v[218:219], v[226:227], -v[198:199]
	v_mul_f64 v[218:219], v[218:219], v[200:201]
	v_add_f64 v[194:195], v[194:195], -v[198:199]
	v_fma_f64 v[218:219], v[220:221], v[226:227], v[218:219]
	v_add_f64 v[196:197], v[196:197], -v[218:219]
	ds_read2_b64 v[218:221], v1 offset0:12 offset1:13
	s_waitcnt lgkmcnt(0)
	v_mul_f64 v[198:199], v[220:221], v[200:201]
	v_fma_f64 v[198:199], v[218:219], v[226:227], -v[198:199]
	v_mul_f64 v[218:219], v[218:219], v[200:201]
	v_add_f64 v[190:191], v[190:191], -v[198:199]
	v_fma_f64 v[218:219], v[220:221], v[226:227], v[218:219]
	v_add_f64 v[192:193], v[192:193], -v[218:219]
	;; [unrolled: 8-line block ×48, first 2 shown]
	ds_read2_b64 v[218:221], v1 offset0:106 offset1:107
	s_waitcnt lgkmcnt(0)
	v_mul_f64 v[198:199], v[220:221], v[200:201]
	v_fma_f64 v[198:199], v[218:219], v[226:227], -v[198:199]
	v_mul_f64 v[218:219], v[218:219], v[200:201]
	v_add_f64 v[2:3], v[2:3], -v[198:199]
	v_fma_f64 v[218:219], v[220:221], v[226:227], v[218:219]
	v_mov_b32_e32 v198, v226
	v_mov_b32_e32 v199, v227
	v_add_f64 v[4:5], v[4:5], -v[218:219]
.LBB106_104:
	s_or_b32 exec_lo, exec_lo, s0
	v_lshl_add_u32 v218, v232, 4, v1
	s_barrier
	buffer_gl0_inv
	v_mov_b32_e32 v226, 5
	ds_write2_b64 v218, v[194:195], v[196:197] offset1:1
	s_waitcnt lgkmcnt(0)
	s_barrier
	buffer_gl0_inv
	ds_read2_b64 v[218:221], v1 offset0:10 offset1:11
	s_cmp_lt_i32 s8, 7
	s_cbranch_scc1 .LBB106_107
; %bb.105:
	v_add3_u32 v227, v228, 0, 0x60
	v_mov_b32_e32 v226, 5
	s_mov_b32 s1, 6
	s_inst_prefetch 0x1
	.p2align	6
.LBB106_106:                            ; =>This Inner Loop Header: Depth=1
	s_waitcnt lgkmcnt(0)
	v_cmp_gt_f64_e32 vcc_lo, 0, v[220:221]
	v_cmp_gt_f64_e64 s0, 0, v[218:219]
	ds_read2_b64 v[233:236], v227 offset1:1
	v_xor_b32_e32 v223, 0x80000000, v219
	v_xor_b32_e32 v225, 0x80000000, v221
	v_mov_b32_e32 v222, v218
	v_mov_b32_e32 v224, v220
	v_add_nc_u32_e32 v227, 16, v227
	s_waitcnt lgkmcnt(0)
	v_xor_b32_e32 v238, 0x80000000, v236
	v_cndmask_b32_e64 v223, v219, v223, s0
	v_cndmask_b32_e32 v225, v221, v225, vcc_lo
	v_cmp_gt_f64_e32 vcc_lo, 0, v[235:236]
	v_cmp_gt_f64_e64 s0, 0, v[233:234]
	v_mov_b32_e32 v237, v235
	v_add_f64 v[222:223], v[222:223], v[224:225]
	v_xor_b32_e32 v225, 0x80000000, v234
	v_mov_b32_e32 v224, v233
	v_cndmask_b32_e32 v238, v236, v238, vcc_lo
	v_cndmask_b32_e64 v225, v234, v225, s0
	v_add_f64 v[224:225], v[224:225], v[237:238]
	v_cmp_lt_f64_e32 vcc_lo, v[222:223], v[224:225]
	v_cndmask_b32_e32 v219, v219, v234, vcc_lo
	v_cndmask_b32_e32 v218, v218, v233, vcc_lo
	;; [unrolled: 1-line block ×4, first 2 shown]
	v_cndmask_b32_e64 v226, v226, s1, vcc_lo
	s_add_i32 s1, s1, 1
	s_cmp_lg_u32 s8, s1
	s_cbranch_scc1 .LBB106_106
.LBB106_107:
	s_inst_prefetch 0x2
	s_waitcnt lgkmcnt(0)
	v_cmp_eq_f64_e32 vcc_lo, 0, v[218:219]
	v_cmp_eq_f64_e64 s0, 0, v[220:221]
	s_and_b32 s0, vcc_lo, s0
	s_and_saveexec_b32 s1, s0
	s_xor_b32 s0, exec_lo, s1
; %bb.108:
	v_cmp_ne_u32_e32 vcc_lo, 0, v231
	v_cndmask_b32_e32 v231, 6, v231, vcc_lo
; %bb.109:
	s_andn2_saveexec_b32 s0, s0
	s_cbranch_execz .LBB106_115
; %bb.110:
	v_cmp_ngt_f64_e64 s1, |v[218:219]|, |v[220:221]|
	s_and_saveexec_b32 s7, s1
	s_xor_b32 s1, exec_lo, s7
	s_cbranch_execz .LBB106_112
; %bb.111:
	v_div_scale_f64 v[222:223], null, v[220:221], v[220:221], v[218:219]
	v_div_scale_f64 v[235:236], vcc_lo, v[218:219], v[220:221], v[218:219]
	v_rcp_f64_e32 v[224:225], v[222:223]
	v_fma_f64 v[233:234], -v[222:223], v[224:225], 1.0
	v_fma_f64 v[224:225], v[224:225], v[233:234], v[224:225]
	v_fma_f64 v[233:234], -v[222:223], v[224:225], 1.0
	v_fma_f64 v[224:225], v[224:225], v[233:234], v[224:225]
	v_mul_f64 v[233:234], v[235:236], v[224:225]
	v_fma_f64 v[222:223], -v[222:223], v[233:234], v[235:236]
	v_div_fmas_f64 v[222:223], v[222:223], v[224:225], v[233:234]
	v_div_fixup_f64 v[222:223], v[222:223], v[220:221], v[218:219]
	v_fma_f64 v[218:219], v[218:219], v[222:223], v[220:221]
	v_div_scale_f64 v[220:221], null, v[218:219], v[218:219], 1.0
	v_rcp_f64_e32 v[224:225], v[220:221]
	v_fma_f64 v[233:234], -v[220:221], v[224:225], 1.0
	v_fma_f64 v[224:225], v[224:225], v[233:234], v[224:225]
	v_fma_f64 v[233:234], -v[220:221], v[224:225], 1.0
	v_fma_f64 v[224:225], v[224:225], v[233:234], v[224:225]
	v_div_scale_f64 v[233:234], vcc_lo, 1.0, v[218:219], 1.0
	v_mul_f64 v[235:236], v[233:234], v[224:225]
	v_fma_f64 v[220:221], -v[220:221], v[235:236], v[233:234]
	v_div_fmas_f64 v[220:221], v[220:221], v[224:225], v[235:236]
	v_div_fixup_f64 v[220:221], v[220:221], v[218:219], 1.0
	v_mul_f64 v[218:219], v[222:223], v[220:221]
	v_xor_b32_e32 v221, 0x80000000, v221
.LBB106_112:
	s_andn2_saveexec_b32 s1, s1
	s_cbranch_execz .LBB106_114
; %bb.113:
	v_div_scale_f64 v[222:223], null, v[218:219], v[218:219], v[220:221]
	v_div_scale_f64 v[235:236], vcc_lo, v[220:221], v[218:219], v[220:221]
	v_rcp_f64_e32 v[224:225], v[222:223]
	v_fma_f64 v[233:234], -v[222:223], v[224:225], 1.0
	v_fma_f64 v[224:225], v[224:225], v[233:234], v[224:225]
	v_fma_f64 v[233:234], -v[222:223], v[224:225], 1.0
	v_fma_f64 v[224:225], v[224:225], v[233:234], v[224:225]
	v_mul_f64 v[233:234], v[235:236], v[224:225]
	v_fma_f64 v[222:223], -v[222:223], v[233:234], v[235:236]
	v_div_fmas_f64 v[222:223], v[222:223], v[224:225], v[233:234]
	v_div_fixup_f64 v[222:223], v[222:223], v[218:219], v[220:221]
	v_fma_f64 v[218:219], v[220:221], v[222:223], v[218:219]
	v_div_scale_f64 v[220:221], null, v[218:219], v[218:219], 1.0
	v_rcp_f64_e32 v[224:225], v[220:221]
	v_fma_f64 v[233:234], -v[220:221], v[224:225], 1.0
	v_fma_f64 v[224:225], v[224:225], v[233:234], v[224:225]
	v_fma_f64 v[233:234], -v[220:221], v[224:225], 1.0
	v_fma_f64 v[224:225], v[224:225], v[233:234], v[224:225]
	v_div_scale_f64 v[233:234], vcc_lo, 1.0, v[218:219], 1.0
	v_mul_f64 v[235:236], v[233:234], v[224:225]
	v_fma_f64 v[220:221], -v[220:221], v[235:236], v[233:234]
	v_div_fmas_f64 v[220:221], v[220:221], v[224:225], v[235:236]
	v_div_fixup_f64 v[218:219], v[220:221], v[218:219], 1.0
	v_mul_f64 v[220:221], v[222:223], -v[218:219]
.LBB106_114:
	s_or_b32 exec_lo, exec_lo, s1
.LBB106_115:
	s_or_b32 exec_lo, exec_lo, s0
	s_mov_b32 s0, exec_lo
	v_cmpx_ne_u32_e64 v232, v226
	s_xor_b32 s0, exec_lo, s0
	s_cbranch_execz .LBB106_121
; %bb.116:
	s_mov_b32 s1, exec_lo
	v_cmpx_eq_u32_e32 5, v232
	s_cbranch_execz .LBB106_120
; %bb.117:
	v_cmp_ne_u32_e32 vcc_lo, 5, v226
	s_xor_b32 s7, s16, -1
	s_and_b32 s9, s7, vcc_lo
	s_and_saveexec_b32 s7, s9
	s_cbranch_execz .LBB106_119
; %bb.118:
	s_clause 0x1
	buffer_load_dword v214, off, s[20:23], 0
	buffer_load_dword v215, off, s[20:23], 0 offset:4
	v_ashrrev_i32_e32 v227, 31, v226
	v_lshlrev_b64 v[222:223], 2, v[226:227]
	s_waitcnt vmcnt(1)
	v_add_co_u32 v222, vcc_lo, v214, v222
	s_waitcnt vmcnt(0)
	v_add_co_ci_u32_e64 v223, null, v215, v223, vcc_lo
	s_clause 0x1
	global_load_dword v0, v[222:223], off
	global_load_dword v224, v[214:215], off offset:20
	s_waitcnt vmcnt(1)
	global_store_dword v[214:215], v0, off offset:20
	s_waitcnt vmcnt(0)
	global_store_dword v[222:223], v224, off
.LBB106_119:
	s_or_b32 exec_lo, exec_lo, s7
	v_mov_b32_e32 v232, v226
	v_mov_b32_e32 v0, v226
.LBB106_120:
	s_or_b32 exec_lo, exec_lo, s1
.LBB106_121:
	s_andn2_saveexec_b32 s0, s0
	s_cbranch_execz .LBB106_123
; %bb.122:
	v_mov_b32_e32 v232, 5
	ds_write2_b64 v1, v[190:191], v[192:193] offset0:12 offset1:13
	ds_write2_b64 v1, v[186:187], v[188:189] offset0:14 offset1:15
	;; [unrolled: 1-line block ×48, first 2 shown]
.LBB106_123:
	s_or_b32 exec_lo, exec_lo, s0
	s_mov_b32 s0, exec_lo
	s_waitcnt lgkmcnt(0)
	s_waitcnt_vscnt null, 0x0
	s_barrier
	buffer_gl0_inv
	v_cmpx_lt_i32_e32 5, v232
	s_cbranch_execz .LBB106_125
; %bb.124:
	v_mul_f64 v[222:223], v[220:221], v[196:197]
	v_mul_f64 v[196:197], v[218:219], v[196:197]
	v_fma_f64 v[226:227], v[218:219], v[194:195], -v[222:223]
	v_fma_f64 v[196:197], v[220:221], v[194:195], v[196:197]
	ds_read2_b64 v[218:221], v1 offset0:12 offset1:13
	s_waitcnt lgkmcnt(0)
	v_mul_f64 v[194:195], v[220:221], v[196:197]
	v_fma_f64 v[194:195], v[218:219], v[226:227], -v[194:195]
	v_mul_f64 v[218:219], v[218:219], v[196:197]
	v_add_f64 v[190:191], v[190:191], -v[194:195]
	v_fma_f64 v[218:219], v[220:221], v[226:227], v[218:219]
	v_add_f64 v[192:193], v[192:193], -v[218:219]
	ds_read2_b64 v[218:221], v1 offset0:14 offset1:15
	s_waitcnt lgkmcnt(0)
	v_mul_f64 v[194:195], v[220:221], v[196:197]
	v_fma_f64 v[194:195], v[218:219], v[226:227], -v[194:195]
	v_mul_f64 v[218:219], v[218:219], v[196:197]
	v_add_f64 v[186:187], v[186:187], -v[194:195]
	v_fma_f64 v[218:219], v[220:221], v[226:227], v[218:219]
	v_add_f64 v[188:189], v[188:189], -v[218:219]
	;; [unrolled: 8-line block ×47, first 2 shown]
	ds_read2_b64 v[218:221], v1 offset0:106 offset1:107
	s_waitcnt lgkmcnt(0)
	v_mul_f64 v[194:195], v[220:221], v[196:197]
	v_fma_f64 v[194:195], v[218:219], v[226:227], -v[194:195]
	v_mul_f64 v[218:219], v[218:219], v[196:197]
	v_add_f64 v[2:3], v[2:3], -v[194:195]
	v_fma_f64 v[218:219], v[220:221], v[226:227], v[218:219]
	v_mov_b32_e32 v194, v226
	v_mov_b32_e32 v195, v227
	v_add_f64 v[4:5], v[4:5], -v[218:219]
.LBB106_125:
	s_or_b32 exec_lo, exec_lo, s0
	v_lshl_add_u32 v218, v232, 4, v1
	s_barrier
	buffer_gl0_inv
	v_mov_b32_e32 v226, 6
	ds_write2_b64 v218, v[190:191], v[192:193] offset1:1
	s_waitcnt lgkmcnt(0)
	s_barrier
	buffer_gl0_inv
	ds_read2_b64 v[218:221], v1 offset0:12 offset1:13
	s_cmp_lt_i32 s8, 8
	s_cbranch_scc1 .LBB106_128
; %bb.126:
	v_add3_u32 v227, v228, 0, 0x70
	v_mov_b32_e32 v226, 6
	s_mov_b32 s1, 7
	s_inst_prefetch 0x1
	.p2align	6
.LBB106_127:                            ; =>This Inner Loop Header: Depth=1
	s_waitcnt lgkmcnt(0)
	v_cmp_gt_f64_e32 vcc_lo, 0, v[220:221]
	v_cmp_gt_f64_e64 s0, 0, v[218:219]
	ds_read2_b64 v[233:236], v227 offset1:1
	v_xor_b32_e32 v223, 0x80000000, v219
	v_xor_b32_e32 v225, 0x80000000, v221
	v_mov_b32_e32 v222, v218
	v_mov_b32_e32 v224, v220
	v_add_nc_u32_e32 v227, 16, v227
	s_waitcnt lgkmcnt(0)
	v_xor_b32_e32 v238, 0x80000000, v236
	v_cndmask_b32_e64 v223, v219, v223, s0
	v_cndmask_b32_e32 v225, v221, v225, vcc_lo
	v_cmp_gt_f64_e32 vcc_lo, 0, v[235:236]
	v_cmp_gt_f64_e64 s0, 0, v[233:234]
	v_mov_b32_e32 v237, v235
	v_add_f64 v[222:223], v[222:223], v[224:225]
	v_xor_b32_e32 v225, 0x80000000, v234
	v_mov_b32_e32 v224, v233
	v_cndmask_b32_e32 v238, v236, v238, vcc_lo
	v_cndmask_b32_e64 v225, v234, v225, s0
	v_add_f64 v[224:225], v[224:225], v[237:238]
	v_cmp_lt_f64_e32 vcc_lo, v[222:223], v[224:225]
	v_cndmask_b32_e32 v219, v219, v234, vcc_lo
	v_cndmask_b32_e32 v218, v218, v233, vcc_lo
	;; [unrolled: 1-line block ×4, first 2 shown]
	v_cndmask_b32_e64 v226, v226, s1, vcc_lo
	s_add_i32 s1, s1, 1
	s_cmp_lg_u32 s8, s1
	s_cbranch_scc1 .LBB106_127
.LBB106_128:
	s_inst_prefetch 0x2
	s_waitcnt lgkmcnt(0)
	v_cmp_eq_f64_e32 vcc_lo, 0, v[218:219]
	v_cmp_eq_f64_e64 s0, 0, v[220:221]
	s_and_b32 s0, vcc_lo, s0
	s_and_saveexec_b32 s1, s0
	s_xor_b32 s0, exec_lo, s1
; %bb.129:
	v_cmp_ne_u32_e32 vcc_lo, 0, v231
	v_cndmask_b32_e32 v231, 7, v231, vcc_lo
; %bb.130:
	s_andn2_saveexec_b32 s0, s0
	s_cbranch_execz .LBB106_136
; %bb.131:
	v_cmp_ngt_f64_e64 s1, |v[218:219]|, |v[220:221]|
	s_and_saveexec_b32 s7, s1
	s_xor_b32 s1, exec_lo, s7
	s_cbranch_execz .LBB106_133
; %bb.132:
	v_div_scale_f64 v[222:223], null, v[220:221], v[220:221], v[218:219]
	v_div_scale_f64 v[235:236], vcc_lo, v[218:219], v[220:221], v[218:219]
	v_rcp_f64_e32 v[224:225], v[222:223]
	v_fma_f64 v[233:234], -v[222:223], v[224:225], 1.0
	v_fma_f64 v[224:225], v[224:225], v[233:234], v[224:225]
	v_fma_f64 v[233:234], -v[222:223], v[224:225], 1.0
	v_fma_f64 v[224:225], v[224:225], v[233:234], v[224:225]
	v_mul_f64 v[233:234], v[235:236], v[224:225]
	v_fma_f64 v[222:223], -v[222:223], v[233:234], v[235:236]
	v_div_fmas_f64 v[222:223], v[222:223], v[224:225], v[233:234]
	v_div_fixup_f64 v[222:223], v[222:223], v[220:221], v[218:219]
	v_fma_f64 v[218:219], v[218:219], v[222:223], v[220:221]
	v_div_scale_f64 v[220:221], null, v[218:219], v[218:219], 1.0
	v_rcp_f64_e32 v[224:225], v[220:221]
	v_fma_f64 v[233:234], -v[220:221], v[224:225], 1.0
	v_fma_f64 v[224:225], v[224:225], v[233:234], v[224:225]
	v_fma_f64 v[233:234], -v[220:221], v[224:225], 1.0
	v_fma_f64 v[224:225], v[224:225], v[233:234], v[224:225]
	v_div_scale_f64 v[233:234], vcc_lo, 1.0, v[218:219], 1.0
	v_mul_f64 v[235:236], v[233:234], v[224:225]
	v_fma_f64 v[220:221], -v[220:221], v[235:236], v[233:234]
	v_div_fmas_f64 v[220:221], v[220:221], v[224:225], v[235:236]
	v_div_fixup_f64 v[220:221], v[220:221], v[218:219], 1.0
	v_mul_f64 v[218:219], v[222:223], v[220:221]
	v_xor_b32_e32 v221, 0x80000000, v221
.LBB106_133:
	s_andn2_saveexec_b32 s1, s1
	s_cbranch_execz .LBB106_135
; %bb.134:
	v_div_scale_f64 v[222:223], null, v[218:219], v[218:219], v[220:221]
	v_div_scale_f64 v[235:236], vcc_lo, v[220:221], v[218:219], v[220:221]
	v_rcp_f64_e32 v[224:225], v[222:223]
	v_fma_f64 v[233:234], -v[222:223], v[224:225], 1.0
	v_fma_f64 v[224:225], v[224:225], v[233:234], v[224:225]
	v_fma_f64 v[233:234], -v[222:223], v[224:225], 1.0
	v_fma_f64 v[224:225], v[224:225], v[233:234], v[224:225]
	v_mul_f64 v[233:234], v[235:236], v[224:225]
	v_fma_f64 v[222:223], -v[222:223], v[233:234], v[235:236]
	v_div_fmas_f64 v[222:223], v[222:223], v[224:225], v[233:234]
	v_div_fixup_f64 v[222:223], v[222:223], v[218:219], v[220:221]
	v_fma_f64 v[218:219], v[220:221], v[222:223], v[218:219]
	v_div_scale_f64 v[220:221], null, v[218:219], v[218:219], 1.0
	v_rcp_f64_e32 v[224:225], v[220:221]
	v_fma_f64 v[233:234], -v[220:221], v[224:225], 1.0
	v_fma_f64 v[224:225], v[224:225], v[233:234], v[224:225]
	v_fma_f64 v[233:234], -v[220:221], v[224:225], 1.0
	v_fma_f64 v[224:225], v[224:225], v[233:234], v[224:225]
	v_div_scale_f64 v[233:234], vcc_lo, 1.0, v[218:219], 1.0
	v_mul_f64 v[235:236], v[233:234], v[224:225]
	v_fma_f64 v[220:221], -v[220:221], v[235:236], v[233:234]
	v_div_fmas_f64 v[220:221], v[220:221], v[224:225], v[235:236]
	v_div_fixup_f64 v[218:219], v[220:221], v[218:219], 1.0
	v_mul_f64 v[220:221], v[222:223], -v[218:219]
.LBB106_135:
	s_or_b32 exec_lo, exec_lo, s1
.LBB106_136:
	s_or_b32 exec_lo, exec_lo, s0
	s_mov_b32 s0, exec_lo
	v_cmpx_ne_u32_e64 v232, v226
	s_xor_b32 s0, exec_lo, s0
	s_cbranch_execz .LBB106_142
; %bb.137:
	s_mov_b32 s1, exec_lo
	v_cmpx_eq_u32_e32 6, v232
	s_cbranch_execz .LBB106_141
; %bb.138:
	v_cmp_ne_u32_e32 vcc_lo, 6, v226
	s_xor_b32 s7, s16, -1
	s_and_b32 s9, s7, vcc_lo
	s_and_saveexec_b32 s7, s9
	s_cbranch_execz .LBB106_140
; %bb.139:
	s_clause 0x1
	buffer_load_dword v214, off, s[20:23], 0
	buffer_load_dword v215, off, s[20:23], 0 offset:4
	v_ashrrev_i32_e32 v227, 31, v226
	v_lshlrev_b64 v[222:223], 2, v[226:227]
	s_waitcnt vmcnt(1)
	v_add_co_u32 v222, vcc_lo, v214, v222
	s_waitcnt vmcnt(0)
	v_add_co_ci_u32_e64 v223, null, v215, v223, vcc_lo
	s_clause 0x1
	global_load_dword v0, v[222:223], off
	global_load_dword v224, v[214:215], off offset:24
	s_waitcnt vmcnt(1)
	global_store_dword v[214:215], v0, off offset:24
	s_waitcnt vmcnt(0)
	global_store_dword v[222:223], v224, off
.LBB106_140:
	s_or_b32 exec_lo, exec_lo, s7
	v_mov_b32_e32 v232, v226
	v_mov_b32_e32 v0, v226
.LBB106_141:
	s_or_b32 exec_lo, exec_lo, s1
.LBB106_142:
	s_andn2_saveexec_b32 s0, s0
	s_cbranch_execz .LBB106_144
; %bb.143:
	v_mov_b32_e32 v232, 6
	ds_write2_b64 v1, v[186:187], v[188:189] offset0:14 offset1:15
	ds_write2_b64 v1, v[182:183], v[184:185] offset0:16 offset1:17
	;; [unrolled: 1-line block ×47, first 2 shown]
.LBB106_144:
	s_or_b32 exec_lo, exec_lo, s0
	s_mov_b32 s0, exec_lo
	s_waitcnt lgkmcnt(0)
	s_waitcnt_vscnt null, 0x0
	s_barrier
	buffer_gl0_inv
	v_cmpx_lt_i32_e32 6, v232
	s_cbranch_execz .LBB106_146
; %bb.145:
	v_mul_f64 v[222:223], v[220:221], v[192:193]
	v_mul_f64 v[192:193], v[218:219], v[192:193]
	v_fma_f64 v[226:227], v[218:219], v[190:191], -v[222:223]
	v_fma_f64 v[192:193], v[220:221], v[190:191], v[192:193]
	ds_read2_b64 v[218:221], v1 offset0:14 offset1:15
	s_waitcnt lgkmcnt(0)
	v_mul_f64 v[190:191], v[220:221], v[192:193]
	v_fma_f64 v[190:191], v[218:219], v[226:227], -v[190:191]
	v_mul_f64 v[218:219], v[218:219], v[192:193]
	v_add_f64 v[186:187], v[186:187], -v[190:191]
	v_fma_f64 v[218:219], v[220:221], v[226:227], v[218:219]
	v_add_f64 v[188:189], v[188:189], -v[218:219]
	ds_read2_b64 v[218:221], v1 offset0:16 offset1:17
	s_waitcnt lgkmcnt(0)
	v_mul_f64 v[190:191], v[220:221], v[192:193]
	v_fma_f64 v[190:191], v[218:219], v[226:227], -v[190:191]
	v_mul_f64 v[218:219], v[218:219], v[192:193]
	v_add_f64 v[182:183], v[182:183], -v[190:191]
	v_fma_f64 v[218:219], v[220:221], v[226:227], v[218:219]
	v_add_f64 v[184:185], v[184:185], -v[218:219]
	;; [unrolled: 8-line block ×46, first 2 shown]
	ds_read2_b64 v[218:221], v1 offset0:106 offset1:107
	s_waitcnt lgkmcnt(0)
	v_mul_f64 v[190:191], v[220:221], v[192:193]
	v_fma_f64 v[190:191], v[218:219], v[226:227], -v[190:191]
	v_mul_f64 v[218:219], v[218:219], v[192:193]
	v_add_f64 v[2:3], v[2:3], -v[190:191]
	v_fma_f64 v[218:219], v[220:221], v[226:227], v[218:219]
	v_mov_b32_e32 v190, v226
	v_mov_b32_e32 v191, v227
	v_add_f64 v[4:5], v[4:5], -v[218:219]
.LBB106_146:
	s_or_b32 exec_lo, exec_lo, s0
	v_lshl_add_u32 v218, v232, 4, v1
	s_barrier
	buffer_gl0_inv
	v_mov_b32_e32 v226, 7
	ds_write2_b64 v218, v[186:187], v[188:189] offset1:1
	s_waitcnt lgkmcnt(0)
	s_barrier
	buffer_gl0_inv
	ds_read2_b64 v[218:221], v1 offset0:14 offset1:15
	s_cmp_lt_i32 s8, 9
	s_cbranch_scc1 .LBB106_149
; %bb.147:
	v_add3_u32 v227, v228, 0, 0x80
	v_mov_b32_e32 v226, 7
	s_mov_b32 s1, 8
	s_inst_prefetch 0x1
	.p2align	6
.LBB106_148:                            ; =>This Inner Loop Header: Depth=1
	s_waitcnt lgkmcnt(0)
	v_cmp_gt_f64_e32 vcc_lo, 0, v[220:221]
	v_cmp_gt_f64_e64 s0, 0, v[218:219]
	ds_read2_b64 v[233:236], v227 offset1:1
	v_xor_b32_e32 v223, 0x80000000, v219
	v_xor_b32_e32 v225, 0x80000000, v221
	v_mov_b32_e32 v222, v218
	v_mov_b32_e32 v224, v220
	v_add_nc_u32_e32 v227, 16, v227
	s_waitcnt lgkmcnt(0)
	v_xor_b32_e32 v238, 0x80000000, v236
	v_cndmask_b32_e64 v223, v219, v223, s0
	v_cndmask_b32_e32 v225, v221, v225, vcc_lo
	v_cmp_gt_f64_e32 vcc_lo, 0, v[235:236]
	v_cmp_gt_f64_e64 s0, 0, v[233:234]
	v_mov_b32_e32 v237, v235
	v_add_f64 v[222:223], v[222:223], v[224:225]
	v_xor_b32_e32 v225, 0x80000000, v234
	v_mov_b32_e32 v224, v233
	v_cndmask_b32_e32 v238, v236, v238, vcc_lo
	v_cndmask_b32_e64 v225, v234, v225, s0
	v_add_f64 v[224:225], v[224:225], v[237:238]
	v_cmp_lt_f64_e32 vcc_lo, v[222:223], v[224:225]
	v_cndmask_b32_e32 v219, v219, v234, vcc_lo
	v_cndmask_b32_e32 v218, v218, v233, vcc_lo
	;; [unrolled: 1-line block ×4, first 2 shown]
	v_cndmask_b32_e64 v226, v226, s1, vcc_lo
	s_add_i32 s1, s1, 1
	s_cmp_lg_u32 s8, s1
	s_cbranch_scc1 .LBB106_148
.LBB106_149:
	s_inst_prefetch 0x2
	s_waitcnt lgkmcnt(0)
	v_cmp_eq_f64_e32 vcc_lo, 0, v[218:219]
	v_cmp_eq_f64_e64 s0, 0, v[220:221]
	s_and_b32 s0, vcc_lo, s0
	s_and_saveexec_b32 s1, s0
	s_xor_b32 s0, exec_lo, s1
; %bb.150:
	v_cmp_ne_u32_e32 vcc_lo, 0, v231
	v_cndmask_b32_e32 v231, 8, v231, vcc_lo
; %bb.151:
	s_andn2_saveexec_b32 s0, s0
	s_cbranch_execz .LBB106_157
; %bb.152:
	v_cmp_ngt_f64_e64 s1, |v[218:219]|, |v[220:221]|
	s_and_saveexec_b32 s7, s1
	s_xor_b32 s1, exec_lo, s7
	s_cbranch_execz .LBB106_154
; %bb.153:
	v_div_scale_f64 v[222:223], null, v[220:221], v[220:221], v[218:219]
	v_div_scale_f64 v[235:236], vcc_lo, v[218:219], v[220:221], v[218:219]
	v_rcp_f64_e32 v[224:225], v[222:223]
	v_fma_f64 v[233:234], -v[222:223], v[224:225], 1.0
	v_fma_f64 v[224:225], v[224:225], v[233:234], v[224:225]
	v_fma_f64 v[233:234], -v[222:223], v[224:225], 1.0
	v_fma_f64 v[224:225], v[224:225], v[233:234], v[224:225]
	v_mul_f64 v[233:234], v[235:236], v[224:225]
	v_fma_f64 v[222:223], -v[222:223], v[233:234], v[235:236]
	v_div_fmas_f64 v[222:223], v[222:223], v[224:225], v[233:234]
	v_div_fixup_f64 v[222:223], v[222:223], v[220:221], v[218:219]
	v_fma_f64 v[218:219], v[218:219], v[222:223], v[220:221]
	v_div_scale_f64 v[220:221], null, v[218:219], v[218:219], 1.0
	v_rcp_f64_e32 v[224:225], v[220:221]
	v_fma_f64 v[233:234], -v[220:221], v[224:225], 1.0
	v_fma_f64 v[224:225], v[224:225], v[233:234], v[224:225]
	v_fma_f64 v[233:234], -v[220:221], v[224:225], 1.0
	v_fma_f64 v[224:225], v[224:225], v[233:234], v[224:225]
	v_div_scale_f64 v[233:234], vcc_lo, 1.0, v[218:219], 1.0
	v_mul_f64 v[235:236], v[233:234], v[224:225]
	v_fma_f64 v[220:221], -v[220:221], v[235:236], v[233:234]
	v_div_fmas_f64 v[220:221], v[220:221], v[224:225], v[235:236]
	v_div_fixup_f64 v[220:221], v[220:221], v[218:219], 1.0
	v_mul_f64 v[218:219], v[222:223], v[220:221]
	v_xor_b32_e32 v221, 0x80000000, v221
.LBB106_154:
	s_andn2_saveexec_b32 s1, s1
	s_cbranch_execz .LBB106_156
; %bb.155:
	v_div_scale_f64 v[222:223], null, v[218:219], v[218:219], v[220:221]
	v_div_scale_f64 v[235:236], vcc_lo, v[220:221], v[218:219], v[220:221]
	v_rcp_f64_e32 v[224:225], v[222:223]
	v_fma_f64 v[233:234], -v[222:223], v[224:225], 1.0
	v_fma_f64 v[224:225], v[224:225], v[233:234], v[224:225]
	v_fma_f64 v[233:234], -v[222:223], v[224:225], 1.0
	v_fma_f64 v[224:225], v[224:225], v[233:234], v[224:225]
	v_mul_f64 v[233:234], v[235:236], v[224:225]
	v_fma_f64 v[222:223], -v[222:223], v[233:234], v[235:236]
	v_div_fmas_f64 v[222:223], v[222:223], v[224:225], v[233:234]
	v_div_fixup_f64 v[222:223], v[222:223], v[218:219], v[220:221]
	v_fma_f64 v[218:219], v[220:221], v[222:223], v[218:219]
	v_div_scale_f64 v[220:221], null, v[218:219], v[218:219], 1.0
	v_rcp_f64_e32 v[224:225], v[220:221]
	v_fma_f64 v[233:234], -v[220:221], v[224:225], 1.0
	v_fma_f64 v[224:225], v[224:225], v[233:234], v[224:225]
	v_fma_f64 v[233:234], -v[220:221], v[224:225], 1.0
	v_fma_f64 v[224:225], v[224:225], v[233:234], v[224:225]
	v_div_scale_f64 v[233:234], vcc_lo, 1.0, v[218:219], 1.0
	v_mul_f64 v[235:236], v[233:234], v[224:225]
	v_fma_f64 v[220:221], -v[220:221], v[235:236], v[233:234]
	v_div_fmas_f64 v[220:221], v[220:221], v[224:225], v[235:236]
	v_div_fixup_f64 v[218:219], v[220:221], v[218:219], 1.0
	v_mul_f64 v[220:221], v[222:223], -v[218:219]
.LBB106_156:
	s_or_b32 exec_lo, exec_lo, s1
.LBB106_157:
	s_or_b32 exec_lo, exec_lo, s0
	s_mov_b32 s0, exec_lo
	v_cmpx_ne_u32_e64 v232, v226
	s_xor_b32 s0, exec_lo, s0
	s_cbranch_execz .LBB106_163
; %bb.158:
	s_mov_b32 s1, exec_lo
	v_cmpx_eq_u32_e32 7, v232
	s_cbranch_execz .LBB106_162
; %bb.159:
	v_cmp_ne_u32_e32 vcc_lo, 7, v226
	s_xor_b32 s7, s16, -1
	s_and_b32 s9, s7, vcc_lo
	s_and_saveexec_b32 s7, s9
	s_cbranch_execz .LBB106_161
; %bb.160:
	s_clause 0x1
	buffer_load_dword v214, off, s[20:23], 0
	buffer_load_dword v215, off, s[20:23], 0 offset:4
	v_ashrrev_i32_e32 v227, 31, v226
	v_lshlrev_b64 v[222:223], 2, v[226:227]
	s_waitcnt vmcnt(1)
	v_add_co_u32 v222, vcc_lo, v214, v222
	s_waitcnt vmcnt(0)
	v_add_co_ci_u32_e64 v223, null, v215, v223, vcc_lo
	s_clause 0x1
	global_load_dword v0, v[222:223], off
	global_load_dword v224, v[214:215], off offset:28
	s_waitcnt vmcnt(1)
	global_store_dword v[214:215], v0, off offset:28
	s_waitcnt vmcnt(0)
	global_store_dword v[222:223], v224, off
.LBB106_161:
	s_or_b32 exec_lo, exec_lo, s7
	v_mov_b32_e32 v232, v226
	v_mov_b32_e32 v0, v226
.LBB106_162:
	s_or_b32 exec_lo, exec_lo, s1
.LBB106_163:
	s_andn2_saveexec_b32 s0, s0
	s_cbranch_execz .LBB106_165
; %bb.164:
	v_mov_b32_e32 v232, 7
	ds_write2_b64 v1, v[182:183], v[184:185] offset0:16 offset1:17
	ds_write2_b64 v1, v[178:179], v[180:181] offset0:18 offset1:19
	;; [unrolled: 1-line block ×46, first 2 shown]
.LBB106_165:
	s_or_b32 exec_lo, exec_lo, s0
	s_mov_b32 s0, exec_lo
	s_waitcnt lgkmcnt(0)
	s_waitcnt_vscnt null, 0x0
	s_barrier
	buffer_gl0_inv
	v_cmpx_lt_i32_e32 7, v232
	s_cbranch_execz .LBB106_167
; %bb.166:
	v_mul_f64 v[222:223], v[220:221], v[188:189]
	v_mul_f64 v[188:189], v[218:219], v[188:189]
	v_fma_f64 v[226:227], v[218:219], v[186:187], -v[222:223]
	v_fma_f64 v[188:189], v[220:221], v[186:187], v[188:189]
	ds_read2_b64 v[218:221], v1 offset0:16 offset1:17
	s_waitcnt lgkmcnt(0)
	v_mul_f64 v[186:187], v[220:221], v[188:189]
	v_fma_f64 v[186:187], v[218:219], v[226:227], -v[186:187]
	v_mul_f64 v[218:219], v[218:219], v[188:189]
	v_add_f64 v[182:183], v[182:183], -v[186:187]
	v_fma_f64 v[218:219], v[220:221], v[226:227], v[218:219]
	v_add_f64 v[184:185], v[184:185], -v[218:219]
	ds_read2_b64 v[218:221], v1 offset0:18 offset1:19
	s_waitcnt lgkmcnt(0)
	v_mul_f64 v[186:187], v[220:221], v[188:189]
	v_fma_f64 v[186:187], v[218:219], v[226:227], -v[186:187]
	v_mul_f64 v[218:219], v[218:219], v[188:189]
	v_add_f64 v[178:179], v[178:179], -v[186:187]
	v_fma_f64 v[218:219], v[220:221], v[226:227], v[218:219]
	v_add_f64 v[180:181], v[180:181], -v[218:219]
	;; [unrolled: 8-line block ×45, first 2 shown]
	ds_read2_b64 v[218:221], v1 offset0:106 offset1:107
	s_waitcnt lgkmcnt(0)
	v_mul_f64 v[186:187], v[220:221], v[188:189]
	v_fma_f64 v[186:187], v[218:219], v[226:227], -v[186:187]
	v_mul_f64 v[218:219], v[218:219], v[188:189]
	v_add_f64 v[2:3], v[2:3], -v[186:187]
	v_fma_f64 v[218:219], v[220:221], v[226:227], v[218:219]
	v_mov_b32_e32 v186, v226
	v_mov_b32_e32 v187, v227
	v_add_f64 v[4:5], v[4:5], -v[218:219]
.LBB106_167:
	s_or_b32 exec_lo, exec_lo, s0
	v_lshl_add_u32 v218, v232, 4, v1
	s_barrier
	buffer_gl0_inv
	v_mov_b32_e32 v226, 8
	ds_write2_b64 v218, v[182:183], v[184:185] offset1:1
	s_waitcnt lgkmcnt(0)
	s_barrier
	buffer_gl0_inv
	ds_read2_b64 v[218:221], v1 offset0:16 offset1:17
	s_cmp_lt_i32 s8, 10
	s_cbranch_scc1 .LBB106_170
; %bb.168:
	v_add3_u32 v227, v228, 0, 0x90
	v_mov_b32_e32 v226, 8
	s_mov_b32 s1, 9
	s_inst_prefetch 0x1
	.p2align	6
.LBB106_169:                            ; =>This Inner Loop Header: Depth=1
	s_waitcnt lgkmcnt(0)
	v_cmp_gt_f64_e32 vcc_lo, 0, v[220:221]
	v_cmp_gt_f64_e64 s0, 0, v[218:219]
	ds_read2_b64 v[233:236], v227 offset1:1
	v_xor_b32_e32 v223, 0x80000000, v219
	v_xor_b32_e32 v225, 0x80000000, v221
	v_mov_b32_e32 v222, v218
	v_mov_b32_e32 v224, v220
	v_add_nc_u32_e32 v227, 16, v227
	s_waitcnt lgkmcnt(0)
	v_xor_b32_e32 v238, 0x80000000, v236
	v_cndmask_b32_e64 v223, v219, v223, s0
	v_cndmask_b32_e32 v225, v221, v225, vcc_lo
	v_cmp_gt_f64_e32 vcc_lo, 0, v[235:236]
	v_cmp_gt_f64_e64 s0, 0, v[233:234]
	v_mov_b32_e32 v237, v235
	v_add_f64 v[222:223], v[222:223], v[224:225]
	v_xor_b32_e32 v225, 0x80000000, v234
	v_mov_b32_e32 v224, v233
	v_cndmask_b32_e32 v238, v236, v238, vcc_lo
	v_cndmask_b32_e64 v225, v234, v225, s0
	v_add_f64 v[224:225], v[224:225], v[237:238]
	v_cmp_lt_f64_e32 vcc_lo, v[222:223], v[224:225]
	v_cndmask_b32_e32 v219, v219, v234, vcc_lo
	v_cndmask_b32_e32 v218, v218, v233, vcc_lo
	v_cndmask_b32_e32 v221, v221, v236, vcc_lo
	v_cndmask_b32_e32 v220, v220, v235, vcc_lo
	v_cndmask_b32_e64 v226, v226, s1, vcc_lo
	s_add_i32 s1, s1, 1
	s_cmp_lg_u32 s8, s1
	s_cbranch_scc1 .LBB106_169
.LBB106_170:
	s_inst_prefetch 0x2
	s_waitcnt lgkmcnt(0)
	v_cmp_eq_f64_e32 vcc_lo, 0, v[218:219]
	v_cmp_eq_f64_e64 s0, 0, v[220:221]
	s_and_b32 s0, vcc_lo, s0
	s_and_saveexec_b32 s1, s0
	s_xor_b32 s0, exec_lo, s1
; %bb.171:
	v_cmp_ne_u32_e32 vcc_lo, 0, v231
	v_cndmask_b32_e32 v231, 9, v231, vcc_lo
; %bb.172:
	s_andn2_saveexec_b32 s0, s0
	s_cbranch_execz .LBB106_178
; %bb.173:
	v_cmp_ngt_f64_e64 s1, |v[218:219]|, |v[220:221]|
	s_and_saveexec_b32 s7, s1
	s_xor_b32 s1, exec_lo, s7
	s_cbranch_execz .LBB106_175
; %bb.174:
	v_div_scale_f64 v[222:223], null, v[220:221], v[220:221], v[218:219]
	v_div_scale_f64 v[235:236], vcc_lo, v[218:219], v[220:221], v[218:219]
	v_rcp_f64_e32 v[224:225], v[222:223]
	v_fma_f64 v[233:234], -v[222:223], v[224:225], 1.0
	v_fma_f64 v[224:225], v[224:225], v[233:234], v[224:225]
	v_fma_f64 v[233:234], -v[222:223], v[224:225], 1.0
	v_fma_f64 v[224:225], v[224:225], v[233:234], v[224:225]
	v_mul_f64 v[233:234], v[235:236], v[224:225]
	v_fma_f64 v[222:223], -v[222:223], v[233:234], v[235:236]
	v_div_fmas_f64 v[222:223], v[222:223], v[224:225], v[233:234]
	v_div_fixup_f64 v[222:223], v[222:223], v[220:221], v[218:219]
	v_fma_f64 v[218:219], v[218:219], v[222:223], v[220:221]
	v_div_scale_f64 v[220:221], null, v[218:219], v[218:219], 1.0
	v_rcp_f64_e32 v[224:225], v[220:221]
	v_fma_f64 v[233:234], -v[220:221], v[224:225], 1.0
	v_fma_f64 v[224:225], v[224:225], v[233:234], v[224:225]
	v_fma_f64 v[233:234], -v[220:221], v[224:225], 1.0
	v_fma_f64 v[224:225], v[224:225], v[233:234], v[224:225]
	v_div_scale_f64 v[233:234], vcc_lo, 1.0, v[218:219], 1.0
	v_mul_f64 v[235:236], v[233:234], v[224:225]
	v_fma_f64 v[220:221], -v[220:221], v[235:236], v[233:234]
	v_div_fmas_f64 v[220:221], v[220:221], v[224:225], v[235:236]
	v_div_fixup_f64 v[220:221], v[220:221], v[218:219], 1.0
	v_mul_f64 v[218:219], v[222:223], v[220:221]
	v_xor_b32_e32 v221, 0x80000000, v221
.LBB106_175:
	s_andn2_saveexec_b32 s1, s1
	s_cbranch_execz .LBB106_177
; %bb.176:
	v_div_scale_f64 v[222:223], null, v[218:219], v[218:219], v[220:221]
	v_div_scale_f64 v[235:236], vcc_lo, v[220:221], v[218:219], v[220:221]
	v_rcp_f64_e32 v[224:225], v[222:223]
	v_fma_f64 v[233:234], -v[222:223], v[224:225], 1.0
	v_fma_f64 v[224:225], v[224:225], v[233:234], v[224:225]
	v_fma_f64 v[233:234], -v[222:223], v[224:225], 1.0
	v_fma_f64 v[224:225], v[224:225], v[233:234], v[224:225]
	v_mul_f64 v[233:234], v[235:236], v[224:225]
	v_fma_f64 v[222:223], -v[222:223], v[233:234], v[235:236]
	v_div_fmas_f64 v[222:223], v[222:223], v[224:225], v[233:234]
	v_div_fixup_f64 v[222:223], v[222:223], v[218:219], v[220:221]
	v_fma_f64 v[218:219], v[220:221], v[222:223], v[218:219]
	v_div_scale_f64 v[220:221], null, v[218:219], v[218:219], 1.0
	v_rcp_f64_e32 v[224:225], v[220:221]
	v_fma_f64 v[233:234], -v[220:221], v[224:225], 1.0
	v_fma_f64 v[224:225], v[224:225], v[233:234], v[224:225]
	v_fma_f64 v[233:234], -v[220:221], v[224:225], 1.0
	v_fma_f64 v[224:225], v[224:225], v[233:234], v[224:225]
	v_div_scale_f64 v[233:234], vcc_lo, 1.0, v[218:219], 1.0
	v_mul_f64 v[235:236], v[233:234], v[224:225]
	v_fma_f64 v[220:221], -v[220:221], v[235:236], v[233:234]
	v_div_fmas_f64 v[220:221], v[220:221], v[224:225], v[235:236]
	v_div_fixup_f64 v[218:219], v[220:221], v[218:219], 1.0
	v_mul_f64 v[220:221], v[222:223], -v[218:219]
.LBB106_177:
	s_or_b32 exec_lo, exec_lo, s1
.LBB106_178:
	s_or_b32 exec_lo, exec_lo, s0
	s_mov_b32 s0, exec_lo
	v_cmpx_ne_u32_e64 v232, v226
	s_xor_b32 s0, exec_lo, s0
	s_cbranch_execz .LBB106_184
; %bb.179:
	s_mov_b32 s1, exec_lo
	v_cmpx_eq_u32_e32 8, v232
	s_cbranch_execz .LBB106_183
; %bb.180:
	v_cmp_ne_u32_e32 vcc_lo, 8, v226
	s_xor_b32 s7, s16, -1
	s_and_b32 s9, s7, vcc_lo
	s_and_saveexec_b32 s7, s9
	s_cbranch_execz .LBB106_182
; %bb.181:
	s_clause 0x1
	buffer_load_dword v214, off, s[20:23], 0
	buffer_load_dword v215, off, s[20:23], 0 offset:4
	v_ashrrev_i32_e32 v227, 31, v226
	v_lshlrev_b64 v[222:223], 2, v[226:227]
	s_waitcnt vmcnt(1)
	v_add_co_u32 v222, vcc_lo, v214, v222
	s_waitcnt vmcnt(0)
	v_add_co_ci_u32_e64 v223, null, v215, v223, vcc_lo
	s_clause 0x1
	global_load_dword v0, v[222:223], off
	global_load_dword v224, v[214:215], off offset:32
	s_waitcnt vmcnt(1)
	global_store_dword v[214:215], v0, off offset:32
	s_waitcnt vmcnt(0)
	global_store_dword v[222:223], v224, off
.LBB106_182:
	s_or_b32 exec_lo, exec_lo, s7
	v_mov_b32_e32 v232, v226
	v_mov_b32_e32 v0, v226
.LBB106_183:
	s_or_b32 exec_lo, exec_lo, s1
.LBB106_184:
	s_andn2_saveexec_b32 s0, s0
	s_cbranch_execz .LBB106_186
; %bb.185:
	v_mov_b32_e32 v232, 8
	ds_write2_b64 v1, v[178:179], v[180:181] offset0:18 offset1:19
	ds_write2_b64 v1, v[174:175], v[176:177] offset0:20 offset1:21
	;; [unrolled: 1-line block ×45, first 2 shown]
.LBB106_186:
	s_or_b32 exec_lo, exec_lo, s0
	s_mov_b32 s0, exec_lo
	s_waitcnt lgkmcnt(0)
	s_waitcnt_vscnt null, 0x0
	s_barrier
	buffer_gl0_inv
	v_cmpx_lt_i32_e32 8, v232
	s_cbranch_execz .LBB106_188
; %bb.187:
	v_mul_f64 v[222:223], v[220:221], v[184:185]
	v_mul_f64 v[184:185], v[218:219], v[184:185]
	v_fma_f64 v[226:227], v[218:219], v[182:183], -v[222:223]
	v_fma_f64 v[184:185], v[220:221], v[182:183], v[184:185]
	ds_read2_b64 v[218:221], v1 offset0:18 offset1:19
	s_waitcnt lgkmcnt(0)
	v_mul_f64 v[182:183], v[220:221], v[184:185]
	v_fma_f64 v[182:183], v[218:219], v[226:227], -v[182:183]
	v_mul_f64 v[218:219], v[218:219], v[184:185]
	v_add_f64 v[178:179], v[178:179], -v[182:183]
	v_fma_f64 v[218:219], v[220:221], v[226:227], v[218:219]
	v_add_f64 v[180:181], v[180:181], -v[218:219]
	ds_read2_b64 v[218:221], v1 offset0:20 offset1:21
	s_waitcnt lgkmcnt(0)
	v_mul_f64 v[182:183], v[220:221], v[184:185]
	v_fma_f64 v[182:183], v[218:219], v[226:227], -v[182:183]
	v_mul_f64 v[218:219], v[218:219], v[184:185]
	v_add_f64 v[174:175], v[174:175], -v[182:183]
	v_fma_f64 v[218:219], v[220:221], v[226:227], v[218:219]
	v_add_f64 v[176:177], v[176:177], -v[218:219]
	;; [unrolled: 8-line block ×44, first 2 shown]
	ds_read2_b64 v[218:221], v1 offset0:106 offset1:107
	s_waitcnt lgkmcnt(0)
	v_mul_f64 v[182:183], v[220:221], v[184:185]
	v_fma_f64 v[182:183], v[218:219], v[226:227], -v[182:183]
	v_mul_f64 v[218:219], v[218:219], v[184:185]
	v_add_f64 v[2:3], v[2:3], -v[182:183]
	v_fma_f64 v[218:219], v[220:221], v[226:227], v[218:219]
	v_mov_b32_e32 v182, v226
	v_mov_b32_e32 v183, v227
	v_add_f64 v[4:5], v[4:5], -v[218:219]
.LBB106_188:
	s_or_b32 exec_lo, exec_lo, s0
	v_lshl_add_u32 v218, v232, 4, v1
	s_barrier
	buffer_gl0_inv
	v_mov_b32_e32 v226, 9
	ds_write2_b64 v218, v[178:179], v[180:181] offset1:1
	s_waitcnt lgkmcnt(0)
	s_barrier
	buffer_gl0_inv
	ds_read2_b64 v[218:221], v1 offset0:18 offset1:19
	s_cmp_lt_i32 s8, 11
	s_cbranch_scc1 .LBB106_191
; %bb.189:
	v_add3_u32 v227, v228, 0, 0xa0
	v_mov_b32_e32 v226, 9
	s_mov_b32 s1, 10
	s_inst_prefetch 0x1
	.p2align	6
.LBB106_190:                            ; =>This Inner Loop Header: Depth=1
	s_waitcnt lgkmcnt(0)
	v_cmp_gt_f64_e32 vcc_lo, 0, v[220:221]
	v_cmp_gt_f64_e64 s0, 0, v[218:219]
	ds_read2_b64 v[233:236], v227 offset1:1
	v_xor_b32_e32 v223, 0x80000000, v219
	v_xor_b32_e32 v225, 0x80000000, v221
	v_mov_b32_e32 v222, v218
	v_mov_b32_e32 v224, v220
	v_add_nc_u32_e32 v227, 16, v227
	s_waitcnt lgkmcnt(0)
	v_xor_b32_e32 v238, 0x80000000, v236
	v_cndmask_b32_e64 v223, v219, v223, s0
	v_cndmask_b32_e32 v225, v221, v225, vcc_lo
	v_cmp_gt_f64_e32 vcc_lo, 0, v[235:236]
	v_cmp_gt_f64_e64 s0, 0, v[233:234]
	v_mov_b32_e32 v237, v235
	v_add_f64 v[222:223], v[222:223], v[224:225]
	v_xor_b32_e32 v225, 0x80000000, v234
	v_mov_b32_e32 v224, v233
	v_cndmask_b32_e32 v238, v236, v238, vcc_lo
	v_cndmask_b32_e64 v225, v234, v225, s0
	v_add_f64 v[224:225], v[224:225], v[237:238]
	v_cmp_lt_f64_e32 vcc_lo, v[222:223], v[224:225]
	v_cndmask_b32_e32 v219, v219, v234, vcc_lo
	v_cndmask_b32_e32 v218, v218, v233, vcc_lo
	;; [unrolled: 1-line block ×4, first 2 shown]
	v_cndmask_b32_e64 v226, v226, s1, vcc_lo
	s_add_i32 s1, s1, 1
	s_cmp_lg_u32 s8, s1
	s_cbranch_scc1 .LBB106_190
.LBB106_191:
	s_inst_prefetch 0x2
	s_waitcnt lgkmcnt(0)
	v_cmp_eq_f64_e32 vcc_lo, 0, v[218:219]
	v_cmp_eq_f64_e64 s0, 0, v[220:221]
	s_and_b32 s0, vcc_lo, s0
	s_and_saveexec_b32 s1, s0
	s_xor_b32 s0, exec_lo, s1
; %bb.192:
	v_cmp_ne_u32_e32 vcc_lo, 0, v231
	v_cndmask_b32_e32 v231, 10, v231, vcc_lo
; %bb.193:
	s_andn2_saveexec_b32 s0, s0
	s_cbranch_execz .LBB106_199
; %bb.194:
	v_cmp_ngt_f64_e64 s1, |v[218:219]|, |v[220:221]|
	s_and_saveexec_b32 s7, s1
	s_xor_b32 s1, exec_lo, s7
	s_cbranch_execz .LBB106_196
; %bb.195:
	v_div_scale_f64 v[222:223], null, v[220:221], v[220:221], v[218:219]
	v_div_scale_f64 v[235:236], vcc_lo, v[218:219], v[220:221], v[218:219]
	v_rcp_f64_e32 v[224:225], v[222:223]
	v_fma_f64 v[233:234], -v[222:223], v[224:225], 1.0
	v_fma_f64 v[224:225], v[224:225], v[233:234], v[224:225]
	v_fma_f64 v[233:234], -v[222:223], v[224:225], 1.0
	v_fma_f64 v[224:225], v[224:225], v[233:234], v[224:225]
	v_mul_f64 v[233:234], v[235:236], v[224:225]
	v_fma_f64 v[222:223], -v[222:223], v[233:234], v[235:236]
	v_div_fmas_f64 v[222:223], v[222:223], v[224:225], v[233:234]
	v_div_fixup_f64 v[222:223], v[222:223], v[220:221], v[218:219]
	v_fma_f64 v[218:219], v[218:219], v[222:223], v[220:221]
	v_div_scale_f64 v[220:221], null, v[218:219], v[218:219], 1.0
	v_rcp_f64_e32 v[224:225], v[220:221]
	v_fma_f64 v[233:234], -v[220:221], v[224:225], 1.0
	v_fma_f64 v[224:225], v[224:225], v[233:234], v[224:225]
	v_fma_f64 v[233:234], -v[220:221], v[224:225], 1.0
	v_fma_f64 v[224:225], v[224:225], v[233:234], v[224:225]
	v_div_scale_f64 v[233:234], vcc_lo, 1.0, v[218:219], 1.0
	v_mul_f64 v[235:236], v[233:234], v[224:225]
	v_fma_f64 v[220:221], -v[220:221], v[235:236], v[233:234]
	v_div_fmas_f64 v[220:221], v[220:221], v[224:225], v[235:236]
	v_div_fixup_f64 v[220:221], v[220:221], v[218:219], 1.0
	v_mul_f64 v[218:219], v[222:223], v[220:221]
	v_xor_b32_e32 v221, 0x80000000, v221
.LBB106_196:
	s_andn2_saveexec_b32 s1, s1
	s_cbranch_execz .LBB106_198
; %bb.197:
	v_div_scale_f64 v[222:223], null, v[218:219], v[218:219], v[220:221]
	v_div_scale_f64 v[235:236], vcc_lo, v[220:221], v[218:219], v[220:221]
	v_rcp_f64_e32 v[224:225], v[222:223]
	v_fma_f64 v[233:234], -v[222:223], v[224:225], 1.0
	v_fma_f64 v[224:225], v[224:225], v[233:234], v[224:225]
	v_fma_f64 v[233:234], -v[222:223], v[224:225], 1.0
	v_fma_f64 v[224:225], v[224:225], v[233:234], v[224:225]
	v_mul_f64 v[233:234], v[235:236], v[224:225]
	v_fma_f64 v[222:223], -v[222:223], v[233:234], v[235:236]
	v_div_fmas_f64 v[222:223], v[222:223], v[224:225], v[233:234]
	v_div_fixup_f64 v[222:223], v[222:223], v[218:219], v[220:221]
	v_fma_f64 v[218:219], v[220:221], v[222:223], v[218:219]
	v_div_scale_f64 v[220:221], null, v[218:219], v[218:219], 1.0
	v_rcp_f64_e32 v[224:225], v[220:221]
	v_fma_f64 v[233:234], -v[220:221], v[224:225], 1.0
	v_fma_f64 v[224:225], v[224:225], v[233:234], v[224:225]
	v_fma_f64 v[233:234], -v[220:221], v[224:225], 1.0
	v_fma_f64 v[224:225], v[224:225], v[233:234], v[224:225]
	v_div_scale_f64 v[233:234], vcc_lo, 1.0, v[218:219], 1.0
	v_mul_f64 v[235:236], v[233:234], v[224:225]
	v_fma_f64 v[220:221], -v[220:221], v[235:236], v[233:234]
	v_div_fmas_f64 v[220:221], v[220:221], v[224:225], v[235:236]
	v_div_fixup_f64 v[218:219], v[220:221], v[218:219], 1.0
	v_mul_f64 v[220:221], v[222:223], -v[218:219]
.LBB106_198:
	s_or_b32 exec_lo, exec_lo, s1
.LBB106_199:
	s_or_b32 exec_lo, exec_lo, s0
	s_mov_b32 s0, exec_lo
	v_cmpx_ne_u32_e64 v232, v226
	s_xor_b32 s0, exec_lo, s0
	s_cbranch_execz .LBB106_205
; %bb.200:
	s_mov_b32 s1, exec_lo
	v_cmpx_eq_u32_e32 9, v232
	s_cbranch_execz .LBB106_204
; %bb.201:
	v_cmp_ne_u32_e32 vcc_lo, 9, v226
	s_xor_b32 s7, s16, -1
	s_and_b32 s9, s7, vcc_lo
	s_and_saveexec_b32 s7, s9
	s_cbranch_execz .LBB106_203
; %bb.202:
	s_clause 0x1
	buffer_load_dword v214, off, s[20:23], 0
	buffer_load_dword v215, off, s[20:23], 0 offset:4
	v_ashrrev_i32_e32 v227, 31, v226
	v_lshlrev_b64 v[222:223], 2, v[226:227]
	s_waitcnt vmcnt(1)
	v_add_co_u32 v222, vcc_lo, v214, v222
	s_waitcnt vmcnt(0)
	v_add_co_ci_u32_e64 v223, null, v215, v223, vcc_lo
	s_clause 0x1
	global_load_dword v0, v[222:223], off
	global_load_dword v224, v[214:215], off offset:36
	s_waitcnt vmcnt(1)
	global_store_dword v[214:215], v0, off offset:36
	s_waitcnt vmcnt(0)
	global_store_dword v[222:223], v224, off
.LBB106_203:
	s_or_b32 exec_lo, exec_lo, s7
	v_mov_b32_e32 v232, v226
	v_mov_b32_e32 v0, v226
.LBB106_204:
	s_or_b32 exec_lo, exec_lo, s1
.LBB106_205:
	s_andn2_saveexec_b32 s0, s0
	s_cbranch_execz .LBB106_207
; %bb.206:
	v_mov_b32_e32 v232, 9
	ds_write2_b64 v1, v[174:175], v[176:177] offset0:20 offset1:21
	ds_write2_b64 v1, v[170:171], v[172:173] offset0:22 offset1:23
	;; [unrolled: 1-line block ×44, first 2 shown]
.LBB106_207:
	s_or_b32 exec_lo, exec_lo, s0
	s_mov_b32 s0, exec_lo
	s_waitcnt lgkmcnt(0)
	s_waitcnt_vscnt null, 0x0
	s_barrier
	buffer_gl0_inv
	v_cmpx_lt_i32_e32 9, v232
	s_cbranch_execz .LBB106_209
; %bb.208:
	v_mul_f64 v[222:223], v[220:221], v[180:181]
	v_mul_f64 v[180:181], v[218:219], v[180:181]
	v_fma_f64 v[226:227], v[218:219], v[178:179], -v[222:223]
	v_fma_f64 v[180:181], v[220:221], v[178:179], v[180:181]
	ds_read2_b64 v[218:221], v1 offset0:20 offset1:21
	s_waitcnt lgkmcnt(0)
	v_mul_f64 v[178:179], v[220:221], v[180:181]
	v_fma_f64 v[178:179], v[218:219], v[226:227], -v[178:179]
	v_mul_f64 v[218:219], v[218:219], v[180:181]
	v_add_f64 v[174:175], v[174:175], -v[178:179]
	v_fma_f64 v[218:219], v[220:221], v[226:227], v[218:219]
	v_add_f64 v[176:177], v[176:177], -v[218:219]
	ds_read2_b64 v[218:221], v1 offset0:22 offset1:23
	s_waitcnt lgkmcnt(0)
	v_mul_f64 v[178:179], v[220:221], v[180:181]
	v_fma_f64 v[178:179], v[218:219], v[226:227], -v[178:179]
	v_mul_f64 v[218:219], v[218:219], v[180:181]
	v_add_f64 v[170:171], v[170:171], -v[178:179]
	v_fma_f64 v[218:219], v[220:221], v[226:227], v[218:219]
	v_add_f64 v[172:173], v[172:173], -v[218:219]
	;; [unrolled: 8-line block ×43, first 2 shown]
	ds_read2_b64 v[218:221], v1 offset0:106 offset1:107
	s_waitcnt lgkmcnt(0)
	v_mul_f64 v[178:179], v[220:221], v[180:181]
	v_fma_f64 v[178:179], v[218:219], v[226:227], -v[178:179]
	v_mul_f64 v[218:219], v[218:219], v[180:181]
	v_add_f64 v[2:3], v[2:3], -v[178:179]
	v_fma_f64 v[218:219], v[220:221], v[226:227], v[218:219]
	v_mov_b32_e32 v178, v226
	v_mov_b32_e32 v179, v227
	v_add_f64 v[4:5], v[4:5], -v[218:219]
.LBB106_209:
	s_or_b32 exec_lo, exec_lo, s0
	v_lshl_add_u32 v218, v232, 4, v1
	s_barrier
	buffer_gl0_inv
	v_mov_b32_e32 v226, 10
	ds_write2_b64 v218, v[174:175], v[176:177] offset1:1
	s_waitcnt lgkmcnt(0)
	s_barrier
	buffer_gl0_inv
	ds_read2_b64 v[218:221], v1 offset0:20 offset1:21
	s_cmp_lt_i32 s8, 12
	s_cbranch_scc1 .LBB106_212
; %bb.210:
	v_add3_u32 v227, v228, 0, 0xb0
	v_mov_b32_e32 v226, 10
	s_mov_b32 s1, 11
	s_inst_prefetch 0x1
	.p2align	6
.LBB106_211:                            ; =>This Inner Loop Header: Depth=1
	s_waitcnt lgkmcnt(0)
	v_cmp_gt_f64_e32 vcc_lo, 0, v[220:221]
	v_cmp_gt_f64_e64 s0, 0, v[218:219]
	ds_read2_b64 v[233:236], v227 offset1:1
	v_xor_b32_e32 v223, 0x80000000, v219
	v_xor_b32_e32 v225, 0x80000000, v221
	v_mov_b32_e32 v222, v218
	v_mov_b32_e32 v224, v220
	v_add_nc_u32_e32 v227, 16, v227
	s_waitcnt lgkmcnt(0)
	v_xor_b32_e32 v238, 0x80000000, v236
	v_cndmask_b32_e64 v223, v219, v223, s0
	v_cndmask_b32_e32 v225, v221, v225, vcc_lo
	v_cmp_gt_f64_e32 vcc_lo, 0, v[235:236]
	v_cmp_gt_f64_e64 s0, 0, v[233:234]
	v_mov_b32_e32 v237, v235
	v_add_f64 v[222:223], v[222:223], v[224:225]
	v_xor_b32_e32 v225, 0x80000000, v234
	v_mov_b32_e32 v224, v233
	v_cndmask_b32_e32 v238, v236, v238, vcc_lo
	v_cndmask_b32_e64 v225, v234, v225, s0
	v_add_f64 v[224:225], v[224:225], v[237:238]
	v_cmp_lt_f64_e32 vcc_lo, v[222:223], v[224:225]
	v_cndmask_b32_e32 v219, v219, v234, vcc_lo
	v_cndmask_b32_e32 v218, v218, v233, vcc_lo
	;; [unrolled: 1-line block ×4, first 2 shown]
	v_cndmask_b32_e64 v226, v226, s1, vcc_lo
	s_add_i32 s1, s1, 1
	s_cmp_lg_u32 s8, s1
	s_cbranch_scc1 .LBB106_211
.LBB106_212:
	s_inst_prefetch 0x2
	s_waitcnt lgkmcnt(0)
	v_cmp_eq_f64_e32 vcc_lo, 0, v[218:219]
	v_cmp_eq_f64_e64 s0, 0, v[220:221]
	s_and_b32 s0, vcc_lo, s0
	s_and_saveexec_b32 s1, s0
	s_xor_b32 s0, exec_lo, s1
; %bb.213:
	v_cmp_ne_u32_e32 vcc_lo, 0, v231
	v_cndmask_b32_e32 v231, 11, v231, vcc_lo
; %bb.214:
	s_andn2_saveexec_b32 s0, s0
	s_cbranch_execz .LBB106_220
; %bb.215:
	v_cmp_ngt_f64_e64 s1, |v[218:219]|, |v[220:221]|
	s_and_saveexec_b32 s7, s1
	s_xor_b32 s1, exec_lo, s7
	s_cbranch_execz .LBB106_217
; %bb.216:
	v_div_scale_f64 v[222:223], null, v[220:221], v[220:221], v[218:219]
	v_div_scale_f64 v[235:236], vcc_lo, v[218:219], v[220:221], v[218:219]
	v_rcp_f64_e32 v[224:225], v[222:223]
	v_fma_f64 v[233:234], -v[222:223], v[224:225], 1.0
	v_fma_f64 v[224:225], v[224:225], v[233:234], v[224:225]
	v_fma_f64 v[233:234], -v[222:223], v[224:225], 1.0
	v_fma_f64 v[224:225], v[224:225], v[233:234], v[224:225]
	v_mul_f64 v[233:234], v[235:236], v[224:225]
	v_fma_f64 v[222:223], -v[222:223], v[233:234], v[235:236]
	v_div_fmas_f64 v[222:223], v[222:223], v[224:225], v[233:234]
	v_div_fixup_f64 v[222:223], v[222:223], v[220:221], v[218:219]
	v_fma_f64 v[218:219], v[218:219], v[222:223], v[220:221]
	v_div_scale_f64 v[220:221], null, v[218:219], v[218:219], 1.0
	v_rcp_f64_e32 v[224:225], v[220:221]
	v_fma_f64 v[233:234], -v[220:221], v[224:225], 1.0
	v_fma_f64 v[224:225], v[224:225], v[233:234], v[224:225]
	v_fma_f64 v[233:234], -v[220:221], v[224:225], 1.0
	v_fma_f64 v[224:225], v[224:225], v[233:234], v[224:225]
	v_div_scale_f64 v[233:234], vcc_lo, 1.0, v[218:219], 1.0
	v_mul_f64 v[235:236], v[233:234], v[224:225]
	v_fma_f64 v[220:221], -v[220:221], v[235:236], v[233:234]
	v_div_fmas_f64 v[220:221], v[220:221], v[224:225], v[235:236]
	v_div_fixup_f64 v[220:221], v[220:221], v[218:219], 1.0
	v_mul_f64 v[218:219], v[222:223], v[220:221]
	v_xor_b32_e32 v221, 0x80000000, v221
.LBB106_217:
	s_andn2_saveexec_b32 s1, s1
	s_cbranch_execz .LBB106_219
; %bb.218:
	v_div_scale_f64 v[222:223], null, v[218:219], v[218:219], v[220:221]
	v_div_scale_f64 v[235:236], vcc_lo, v[220:221], v[218:219], v[220:221]
	v_rcp_f64_e32 v[224:225], v[222:223]
	v_fma_f64 v[233:234], -v[222:223], v[224:225], 1.0
	v_fma_f64 v[224:225], v[224:225], v[233:234], v[224:225]
	v_fma_f64 v[233:234], -v[222:223], v[224:225], 1.0
	v_fma_f64 v[224:225], v[224:225], v[233:234], v[224:225]
	v_mul_f64 v[233:234], v[235:236], v[224:225]
	v_fma_f64 v[222:223], -v[222:223], v[233:234], v[235:236]
	v_div_fmas_f64 v[222:223], v[222:223], v[224:225], v[233:234]
	v_div_fixup_f64 v[222:223], v[222:223], v[218:219], v[220:221]
	v_fma_f64 v[218:219], v[220:221], v[222:223], v[218:219]
	v_div_scale_f64 v[220:221], null, v[218:219], v[218:219], 1.0
	v_rcp_f64_e32 v[224:225], v[220:221]
	v_fma_f64 v[233:234], -v[220:221], v[224:225], 1.0
	v_fma_f64 v[224:225], v[224:225], v[233:234], v[224:225]
	v_fma_f64 v[233:234], -v[220:221], v[224:225], 1.0
	v_fma_f64 v[224:225], v[224:225], v[233:234], v[224:225]
	v_div_scale_f64 v[233:234], vcc_lo, 1.0, v[218:219], 1.0
	v_mul_f64 v[235:236], v[233:234], v[224:225]
	v_fma_f64 v[220:221], -v[220:221], v[235:236], v[233:234]
	v_div_fmas_f64 v[220:221], v[220:221], v[224:225], v[235:236]
	v_div_fixup_f64 v[218:219], v[220:221], v[218:219], 1.0
	v_mul_f64 v[220:221], v[222:223], -v[218:219]
.LBB106_219:
	s_or_b32 exec_lo, exec_lo, s1
.LBB106_220:
	s_or_b32 exec_lo, exec_lo, s0
	s_mov_b32 s0, exec_lo
	v_cmpx_ne_u32_e64 v232, v226
	s_xor_b32 s0, exec_lo, s0
	s_cbranch_execz .LBB106_226
; %bb.221:
	s_mov_b32 s1, exec_lo
	v_cmpx_eq_u32_e32 10, v232
	s_cbranch_execz .LBB106_225
; %bb.222:
	v_cmp_ne_u32_e32 vcc_lo, 10, v226
	s_xor_b32 s7, s16, -1
	s_and_b32 s9, s7, vcc_lo
	s_and_saveexec_b32 s7, s9
	s_cbranch_execz .LBB106_224
; %bb.223:
	s_clause 0x1
	buffer_load_dword v214, off, s[20:23], 0
	buffer_load_dword v215, off, s[20:23], 0 offset:4
	v_ashrrev_i32_e32 v227, 31, v226
	v_lshlrev_b64 v[222:223], 2, v[226:227]
	s_waitcnt vmcnt(1)
	v_add_co_u32 v222, vcc_lo, v214, v222
	s_waitcnt vmcnt(0)
	v_add_co_ci_u32_e64 v223, null, v215, v223, vcc_lo
	s_clause 0x1
	global_load_dword v0, v[222:223], off
	global_load_dword v224, v[214:215], off offset:40
	s_waitcnt vmcnt(1)
	global_store_dword v[214:215], v0, off offset:40
	s_waitcnt vmcnt(0)
	global_store_dword v[222:223], v224, off
.LBB106_224:
	s_or_b32 exec_lo, exec_lo, s7
	v_mov_b32_e32 v232, v226
	v_mov_b32_e32 v0, v226
.LBB106_225:
	s_or_b32 exec_lo, exec_lo, s1
.LBB106_226:
	s_andn2_saveexec_b32 s0, s0
	s_cbranch_execz .LBB106_228
; %bb.227:
	v_mov_b32_e32 v232, 10
	ds_write2_b64 v1, v[170:171], v[172:173] offset0:22 offset1:23
	ds_write2_b64 v1, v[166:167], v[168:169] offset0:24 offset1:25
	;; [unrolled: 1-line block ×43, first 2 shown]
.LBB106_228:
	s_or_b32 exec_lo, exec_lo, s0
	s_mov_b32 s0, exec_lo
	s_waitcnt lgkmcnt(0)
	s_waitcnt_vscnt null, 0x0
	s_barrier
	buffer_gl0_inv
	v_cmpx_lt_i32_e32 10, v232
	s_cbranch_execz .LBB106_230
; %bb.229:
	v_mul_f64 v[222:223], v[220:221], v[176:177]
	v_mul_f64 v[176:177], v[218:219], v[176:177]
	v_fma_f64 v[226:227], v[218:219], v[174:175], -v[222:223]
	v_fma_f64 v[176:177], v[220:221], v[174:175], v[176:177]
	ds_read2_b64 v[218:221], v1 offset0:22 offset1:23
	s_waitcnt lgkmcnt(0)
	v_mul_f64 v[174:175], v[220:221], v[176:177]
	v_fma_f64 v[174:175], v[218:219], v[226:227], -v[174:175]
	v_mul_f64 v[218:219], v[218:219], v[176:177]
	v_add_f64 v[170:171], v[170:171], -v[174:175]
	v_fma_f64 v[218:219], v[220:221], v[226:227], v[218:219]
	v_add_f64 v[172:173], v[172:173], -v[218:219]
	ds_read2_b64 v[218:221], v1 offset0:24 offset1:25
	s_waitcnt lgkmcnt(0)
	v_mul_f64 v[174:175], v[220:221], v[176:177]
	v_fma_f64 v[174:175], v[218:219], v[226:227], -v[174:175]
	v_mul_f64 v[218:219], v[218:219], v[176:177]
	v_add_f64 v[166:167], v[166:167], -v[174:175]
	v_fma_f64 v[218:219], v[220:221], v[226:227], v[218:219]
	v_add_f64 v[168:169], v[168:169], -v[218:219]
	;; [unrolled: 8-line block ×42, first 2 shown]
	ds_read2_b64 v[218:221], v1 offset0:106 offset1:107
	s_waitcnt lgkmcnt(0)
	v_mul_f64 v[174:175], v[220:221], v[176:177]
	v_fma_f64 v[174:175], v[218:219], v[226:227], -v[174:175]
	v_mul_f64 v[218:219], v[218:219], v[176:177]
	v_add_f64 v[2:3], v[2:3], -v[174:175]
	v_fma_f64 v[218:219], v[220:221], v[226:227], v[218:219]
	v_mov_b32_e32 v174, v226
	v_mov_b32_e32 v175, v227
	v_add_f64 v[4:5], v[4:5], -v[218:219]
.LBB106_230:
	s_or_b32 exec_lo, exec_lo, s0
	v_lshl_add_u32 v218, v232, 4, v1
	s_barrier
	buffer_gl0_inv
	v_mov_b32_e32 v226, 11
	ds_write2_b64 v218, v[170:171], v[172:173] offset1:1
	s_waitcnt lgkmcnt(0)
	s_barrier
	buffer_gl0_inv
	ds_read2_b64 v[218:221], v1 offset0:22 offset1:23
	s_cmp_lt_i32 s8, 13
	s_cbranch_scc1 .LBB106_233
; %bb.231:
	v_add3_u32 v227, v228, 0, 0xc0
	v_mov_b32_e32 v226, 11
	s_mov_b32 s1, 12
	s_inst_prefetch 0x1
	.p2align	6
.LBB106_232:                            ; =>This Inner Loop Header: Depth=1
	s_waitcnt lgkmcnt(0)
	v_cmp_gt_f64_e32 vcc_lo, 0, v[220:221]
	v_cmp_gt_f64_e64 s0, 0, v[218:219]
	ds_read2_b64 v[233:236], v227 offset1:1
	v_xor_b32_e32 v223, 0x80000000, v219
	v_xor_b32_e32 v225, 0x80000000, v221
	v_mov_b32_e32 v222, v218
	v_mov_b32_e32 v224, v220
	v_add_nc_u32_e32 v227, 16, v227
	s_waitcnt lgkmcnt(0)
	v_xor_b32_e32 v238, 0x80000000, v236
	v_cndmask_b32_e64 v223, v219, v223, s0
	v_cndmask_b32_e32 v225, v221, v225, vcc_lo
	v_cmp_gt_f64_e32 vcc_lo, 0, v[235:236]
	v_cmp_gt_f64_e64 s0, 0, v[233:234]
	v_mov_b32_e32 v237, v235
	v_add_f64 v[222:223], v[222:223], v[224:225]
	v_xor_b32_e32 v225, 0x80000000, v234
	v_mov_b32_e32 v224, v233
	v_cndmask_b32_e32 v238, v236, v238, vcc_lo
	v_cndmask_b32_e64 v225, v234, v225, s0
	v_add_f64 v[224:225], v[224:225], v[237:238]
	v_cmp_lt_f64_e32 vcc_lo, v[222:223], v[224:225]
	v_cndmask_b32_e32 v219, v219, v234, vcc_lo
	v_cndmask_b32_e32 v218, v218, v233, vcc_lo
	;; [unrolled: 1-line block ×4, first 2 shown]
	v_cndmask_b32_e64 v226, v226, s1, vcc_lo
	s_add_i32 s1, s1, 1
	s_cmp_lg_u32 s8, s1
	s_cbranch_scc1 .LBB106_232
.LBB106_233:
	s_inst_prefetch 0x2
	s_waitcnt lgkmcnt(0)
	v_cmp_eq_f64_e32 vcc_lo, 0, v[218:219]
	v_cmp_eq_f64_e64 s0, 0, v[220:221]
	s_and_b32 s0, vcc_lo, s0
	s_and_saveexec_b32 s1, s0
	s_xor_b32 s0, exec_lo, s1
; %bb.234:
	v_cmp_ne_u32_e32 vcc_lo, 0, v231
	v_cndmask_b32_e32 v231, 12, v231, vcc_lo
; %bb.235:
	s_andn2_saveexec_b32 s0, s0
	s_cbranch_execz .LBB106_241
; %bb.236:
	v_cmp_ngt_f64_e64 s1, |v[218:219]|, |v[220:221]|
	s_and_saveexec_b32 s7, s1
	s_xor_b32 s1, exec_lo, s7
	s_cbranch_execz .LBB106_238
; %bb.237:
	v_div_scale_f64 v[222:223], null, v[220:221], v[220:221], v[218:219]
	v_div_scale_f64 v[235:236], vcc_lo, v[218:219], v[220:221], v[218:219]
	v_rcp_f64_e32 v[224:225], v[222:223]
	v_fma_f64 v[233:234], -v[222:223], v[224:225], 1.0
	v_fma_f64 v[224:225], v[224:225], v[233:234], v[224:225]
	v_fma_f64 v[233:234], -v[222:223], v[224:225], 1.0
	v_fma_f64 v[224:225], v[224:225], v[233:234], v[224:225]
	v_mul_f64 v[233:234], v[235:236], v[224:225]
	v_fma_f64 v[222:223], -v[222:223], v[233:234], v[235:236]
	v_div_fmas_f64 v[222:223], v[222:223], v[224:225], v[233:234]
	v_div_fixup_f64 v[222:223], v[222:223], v[220:221], v[218:219]
	v_fma_f64 v[218:219], v[218:219], v[222:223], v[220:221]
	v_div_scale_f64 v[220:221], null, v[218:219], v[218:219], 1.0
	v_rcp_f64_e32 v[224:225], v[220:221]
	v_fma_f64 v[233:234], -v[220:221], v[224:225], 1.0
	v_fma_f64 v[224:225], v[224:225], v[233:234], v[224:225]
	v_fma_f64 v[233:234], -v[220:221], v[224:225], 1.0
	v_fma_f64 v[224:225], v[224:225], v[233:234], v[224:225]
	v_div_scale_f64 v[233:234], vcc_lo, 1.0, v[218:219], 1.0
	v_mul_f64 v[235:236], v[233:234], v[224:225]
	v_fma_f64 v[220:221], -v[220:221], v[235:236], v[233:234]
	v_div_fmas_f64 v[220:221], v[220:221], v[224:225], v[235:236]
	v_div_fixup_f64 v[220:221], v[220:221], v[218:219], 1.0
	v_mul_f64 v[218:219], v[222:223], v[220:221]
	v_xor_b32_e32 v221, 0x80000000, v221
.LBB106_238:
	s_andn2_saveexec_b32 s1, s1
	s_cbranch_execz .LBB106_240
; %bb.239:
	v_div_scale_f64 v[222:223], null, v[218:219], v[218:219], v[220:221]
	v_div_scale_f64 v[235:236], vcc_lo, v[220:221], v[218:219], v[220:221]
	v_rcp_f64_e32 v[224:225], v[222:223]
	v_fma_f64 v[233:234], -v[222:223], v[224:225], 1.0
	v_fma_f64 v[224:225], v[224:225], v[233:234], v[224:225]
	v_fma_f64 v[233:234], -v[222:223], v[224:225], 1.0
	v_fma_f64 v[224:225], v[224:225], v[233:234], v[224:225]
	v_mul_f64 v[233:234], v[235:236], v[224:225]
	v_fma_f64 v[222:223], -v[222:223], v[233:234], v[235:236]
	v_div_fmas_f64 v[222:223], v[222:223], v[224:225], v[233:234]
	v_div_fixup_f64 v[222:223], v[222:223], v[218:219], v[220:221]
	v_fma_f64 v[218:219], v[220:221], v[222:223], v[218:219]
	v_div_scale_f64 v[220:221], null, v[218:219], v[218:219], 1.0
	v_rcp_f64_e32 v[224:225], v[220:221]
	v_fma_f64 v[233:234], -v[220:221], v[224:225], 1.0
	v_fma_f64 v[224:225], v[224:225], v[233:234], v[224:225]
	v_fma_f64 v[233:234], -v[220:221], v[224:225], 1.0
	v_fma_f64 v[224:225], v[224:225], v[233:234], v[224:225]
	v_div_scale_f64 v[233:234], vcc_lo, 1.0, v[218:219], 1.0
	v_mul_f64 v[235:236], v[233:234], v[224:225]
	v_fma_f64 v[220:221], -v[220:221], v[235:236], v[233:234]
	v_div_fmas_f64 v[220:221], v[220:221], v[224:225], v[235:236]
	v_div_fixup_f64 v[218:219], v[220:221], v[218:219], 1.0
	v_mul_f64 v[220:221], v[222:223], -v[218:219]
.LBB106_240:
	s_or_b32 exec_lo, exec_lo, s1
.LBB106_241:
	s_or_b32 exec_lo, exec_lo, s0
	s_mov_b32 s0, exec_lo
	v_cmpx_ne_u32_e64 v232, v226
	s_xor_b32 s0, exec_lo, s0
	s_cbranch_execz .LBB106_247
; %bb.242:
	s_mov_b32 s1, exec_lo
	v_cmpx_eq_u32_e32 11, v232
	s_cbranch_execz .LBB106_246
; %bb.243:
	v_cmp_ne_u32_e32 vcc_lo, 11, v226
	s_xor_b32 s7, s16, -1
	s_and_b32 s9, s7, vcc_lo
	s_and_saveexec_b32 s7, s9
	s_cbranch_execz .LBB106_245
; %bb.244:
	s_clause 0x1
	buffer_load_dword v214, off, s[20:23], 0
	buffer_load_dword v215, off, s[20:23], 0 offset:4
	v_ashrrev_i32_e32 v227, 31, v226
	v_lshlrev_b64 v[222:223], 2, v[226:227]
	s_waitcnt vmcnt(1)
	v_add_co_u32 v222, vcc_lo, v214, v222
	s_waitcnt vmcnt(0)
	v_add_co_ci_u32_e64 v223, null, v215, v223, vcc_lo
	s_clause 0x1
	global_load_dword v0, v[222:223], off
	global_load_dword v224, v[214:215], off offset:44
	s_waitcnt vmcnt(1)
	global_store_dword v[214:215], v0, off offset:44
	s_waitcnt vmcnt(0)
	global_store_dword v[222:223], v224, off
.LBB106_245:
	s_or_b32 exec_lo, exec_lo, s7
	v_mov_b32_e32 v232, v226
	v_mov_b32_e32 v0, v226
.LBB106_246:
	s_or_b32 exec_lo, exec_lo, s1
.LBB106_247:
	s_andn2_saveexec_b32 s0, s0
	s_cbranch_execz .LBB106_249
; %bb.248:
	v_mov_b32_e32 v232, 11
	ds_write2_b64 v1, v[166:167], v[168:169] offset0:24 offset1:25
	ds_write2_b64 v1, v[162:163], v[164:165] offset0:26 offset1:27
	;; [unrolled: 1-line block ×42, first 2 shown]
.LBB106_249:
	s_or_b32 exec_lo, exec_lo, s0
	s_mov_b32 s0, exec_lo
	s_waitcnt lgkmcnt(0)
	s_waitcnt_vscnt null, 0x0
	s_barrier
	buffer_gl0_inv
	v_cmpx_lt_i32_e32 11, v232
	s_cbranch_execz .LBB106_251
; %bb.250:
	v_mul_f64 v[222:223], v[220:221], v[172:173]
	v_mul_f64 v[172:173], v[218:219], v[172:173]
	v_fma_f64 v[226:227], v[218:219], v[170:171], -v[222:223]
	v_fma_f64 v[172:173], v[220:221], v[170:171], v[172:173]
	ds_read2_b64 v[218:221], v1 offset0:24 offset1:25
	s_waitcnt lgkmcnt(0)
	v_mul_f64 v[170:171], v[220:221], v[172:173]
	v_fma_f64 v[170:171], v[218:219], v[226:227], -v[170:171]
	v_mul_f64 v[218:219], v[218:219], v[172:173]
	v_add_f64 v[166:167], v[166:167], -v[170:171]
	v_fma_f64 v[218:219], v[220:221], v[226:227], v[218:219]
	v_add_f64 v[168:169], v[168:169], -v[218:219]
	ds_read2_b64 v[218:221], v1 offset0:26 offset1:27
	s_waitcnt lgkmcnt(0)
	v_mul_f64 v[170:171], v[220:221], v[172:173]
	v_fma_f64 v[170:171], v[218:219], v[226:227], -v[170:171]
	v_mul_f64 v[218:219], v[218:219], v[172:173]
	v_add_f64 v[162:163], v[162:163], -v[170:171]
	v_fma_f64 v[218:219], v[220:221], v[226:227], v[218:219]
	v_add_f64 v[164:165], v[164:165], -v[218:219]
	;; [unrolled: 8-line block ×41, first 2 shown]
	ds_read2_b64 v[218:221], v1 offset0:106 offset1:107
	s_waitcnt lgkmcnt(0)
	v_mul_f64 v[170:171], v[220:221], v[172:173]
	v_fma_f64 v[170:171], v[218:219], v[226:227], -v[170:171]
	v_mul_f64 v[218:219], v[218:219], v[172:173]
	v_add_f64 v[2:3], v[2:3], -v[170:171]
	v_fma_f64 v[218:219], v[220:221], v[226:227], v[218:219]
	v_mov_b32_e32 v170, v226
	v_mov_b32_e32 v171, v227
	v_add_f64 v[4:5], v[4:5], -v[218:219]
.LBB106_251:
	s_or_b32 exec_lo, exec_lo, s0
	v_lshl_add_u32 v218, v232, 4, v1
	s_barrier
	buffer_gl0_inv
	v_mov_b32_e32 v226, 12
	ds_write2_b64 v218, v[166:167], v[168:169] offset1:1
	s_waitcnt lgkmcnt(0)
	s_barrier
	buffer_gl0_inv
	ds_read2_b64 v[218:221], v1 offset0:24 offset1:25
	s_cmp_lt_i32 s8, 14
	s_cbranch_scc1 .LBB106_254
; %bb.252:
	v_add3_u32 v227, v228, 0, 0xd0
	v_mov_b32_e32 v226, 12
	s_mov_b32 s1, 13
	s_inst_prefetch 0x1
	.p2align	6
.LBB106_253:                            ; =>This Inner Loop Header: Depth=1
	s_waitcnt lgkmcnt(0)
	v_cmp_gt_f64_e32 vcc_lo, 0, v[220:221]
	v_cmp_gt_f64_e64 s0, 0, v[218:219]
	ds_read2_b64 v[233:236], v227 offset1:1
	v_xor_b32_e32 v223, 0x80000000, v219
	v_xor_b32_e32 v225, 0x80000000, v221
	v_mov_b32_e32 v222, v218
	v_mov_b32_e32 v224, v220
	v_add_nc_u32_e32 v227, 16, v227
	s_waitcnt lgkmcnt(0)
	v_xor_b32_e32 v238, 0x80000000, v236
	v_cndmask_b32_e64 v223, v219, v223, s0
	v_cndmask_b32_e32 v225, v221, v225, vcc_lo
	v_cmp_gt_f64_e32 vcc_lo, 0, v[235:236]
	v_cmp_gt_f64_e64 s0, 0, v[233:234]
	v_mov_b32_e32 v237, v235
	v_add_f64 v[222:223], v[222:223], v[224:225]
	v_xor_b32_e32 v225, 0x80000000, v234
	v_mov_b32_e32 v224, v233
	v_cndmask_b32_e32 v238, v236, v238, vcc_lo
	v_cndmask_b32_e64 v225, v234, v225, s0
	v_add_f64 v[224:225], v[224:225], v[237:238]
	v_cmp_lt_f64_e32 vcc_lo, v[222:223], v[224:225]
	v_cndmask_b32_e32 v219, v219, v234, vcc_lo
	v_cndmask_b32_e32 v218, v218, v233, vcc_lo
	;; [unrolled: 1-line block ×4, first 2 shown]
	v_cndmask_b32_e64 v226, v226, s1, vcc_lo
	s_add_i32 s1, s1, 1
	s_cmp_lg_u32 s8, s1
	s_cbranch_scc1 .LBB106_253
.LBB106_254:
	s_inst_prefetch 0x2
	s_waitcnt lgkmcnt(0)
	v_cmp_eq_f64_e32 vcc_lo, 0, v[218:219]
	v_cmp_eq_f64_e64 s0, 0, v[220:221]
	s_and_b32 s0, vcc_lo, s0
	s_and_saveexec_b32 s1, s0
	s_xor_b32 s0, exec_lo, s1
; %bb.255:
	v_cmp_ne_u32_e32 vcc_lo, 0, v231
	v_cndmask_b32_e32 v231, 13, v231, vcc_lo
; %bb.256:
	s_andn2_saveexec_b32 s0, s0
	s_cbranch_execz .LBB106_262
; %bb.257:
	v_cmp_ngt_f64_e64 s1, |v[218:219]|, |v[220:221]|
	s_and_saveexec_b32 s7, s1
	s_xor_b32 s1, exec_lo, s7
	s_cbranch_execz .LBB106_259
; %bb.258:
	v_div_scale_f64 v[222:223], null, v[220:221], v[220:221], v[218:219]
	v_div_scale_f64 v[235:236], vcc_lo, v[218:219], v[220:221], v[218:219]
	v_rcp_f64_e32 v[224:225], v[222:223]
	v_fma_f64 v[233:234], -v[222:223], v[224:225], 1.0
	v_fma_f64 v[224:225], v[224:225], v[233:234], v[224:225]
	v_fma_f64 v[233:234], -v[222:223], v[224:225], 1.0
	v_fma_f64 v[224:225], v[224:225], v[233:234], v[224:225]
	v_mul_f64 v[233:234], v[235:236], v[224:225]
	v_fma_f64 v[222:223], -v[222:223], v[233:234], v[235:236]
	v_div_fmas_f64 v[222:223], v[222:223], v[224:225], v[233:234]
	v_div_fixup_f64 v[222:223], v[222:223], v[220:221], v[218:219]
	v_fma_f64 v[218:219], v[218:219], v[222:223], v[220:221]
	v_div_scale_f64 v[220:221], null, v[218:219], v[218:219], 1.0
	v_rcp_f64_e32 v[224:225], v[220:221]
	v_fma_f64 v[233:234], -v[220:221], v[224:225], 1.0
	v_fma_f64 v[224:225], v[224:225], v[233:234], v[224:225]
	v_fma_f64 v[233:234], -v[220:221], v[224:225], 1.0
	v_fma_f64 v[224:225], v[224:225], v[233:234], v[224:225]
	v_div_scale_f64 v[233:234], vcc_lo, 1.0, v[218:219], 1.0
	v_mul_f64 v[235:236], v[233:234], v[224:225]
	v_fma_f64 v[220:221], -v[220:221], v[235:236], v[233:234]
	v_div_fmas_f64 v[220:221], v[220:221], v[224:225], v[235:236]
	v_div_fixup_f64 v[220:221], v[220:221], v[218:219], 1.0
	v_mul_f64 v[218:219], v[222:223], v[220:221]
	v_xor_b32_e32 v221, 0x80000000, v221
.LBB106_259:
	s_andn2_saveexec_b32 s1, s1
	s_cbranch_execz .LBB106_261
; %bb.260:
	v_div_scale_f64 v[222:223], null, v[218:219], v[218:219], v[220:221]
	v_div_scale_f64 v[235:236], vcc_lo, v[220:221], v[218:219], v[220:221]
	v_rcp_f64_e32 v[224:225], v[222:223]
	v_fma_f64 v[233:234], -v[222:223], v[224:225], 1.0
	v_fma_f64 v[224:225], v[224:225], v[233:234], v[224:225]
	v_fma_f64 v[233:234], -v[222:223], v[224:225], 1.0
	v_fma_f64 v[224:225], v[224:225], v[233:234], v[224:225]
	v_mul_f64 v[233:234], v[235:236], v[224:225]
	v_fma_f64 v[222:223], -v[222:223], v[233:234], v[235:236]
	v_div_fmas_f64 v[222:223], v[222:223], v[224:225], v[233:234]
	v_div_fixup_f64 v[222:223], v[222:223], v[218:219], v[220:221]
	v_fma_f64 v[218:219], v[220:221], v[222:223], v[218:219]
	v_div_scale_f64 v[220:221], null, v[218:219], v[218:219], 1.0
	v_rcp_f64_e32 v[224:225], v[220:221]
	v_fma_f64 v[233:234], -v[220:221], v[224:225], 1.0
	v_fma_f64 v[224:225], v[224:225], v[233:234], v[224:225]
	v_fma_f64 v[233:234], -v[220:221], v[224:225], 1.0
	v_fma_f64 v[224:225], v[224:225], v[233:234], v[224:225]
	v_div_scale_f64 v[233:234], vcc_lo, 1.0, v[218:219], 1.0
	v_mul_f64 v[235:236], v[233:234], v[224:225]
	v_fma_f64 v[220:221], -v[220:221], v[235:236], v[233:234]
	v_div_fmas_f64 v[220:221], v[220:221], v[224:225], v[235:236]
	v_div_fixup_f64 v[218:219], v[220:221], v[218:219], 1.0
	v_mul_f64 v[220:221], v[222:223], -v[218:219]
.LBB106_261:
	s_or_b32 exec_lo, exec_lo, s1
.LBB106_262:
	s_or_b32 exec_lo, exec_lo, s0
	s_mov_b32 s0, exec_lo
	v_cmpx_ne_u32_e64 v232, v226
	s_xor_b32 s0, exec_lo, s0
	s_cbranch_execz .LBB106_268
; %bb.263:
	s_mov_b32 s1, exec_lo
	v_cmpx_eq_u32_e32 12, v232
	s_cbranch_execz .LBB106_267
; %bb.264:
	v_cmp_ne_u32_e32 vcc_lo, 12, v226
	s_xor_b32 s7, s16, -1
	s_and_b32 s9, s7, vcc_lo
	s_and_saveexec_b32 s7, s9
	s_cbranch_execz .LBB106_266
; %bb.265:
	s_clause 0x1
	buffer_load_dword v214, off, s[20:23], 0
	buffer_load_dword v215, off, s[20:23], 0 offset:4
	v_ashrrev_i32_e32 v227, 31, v226
	v_lshlrev_b64 v[222:223], 2, v[226:227]
	s_waitcnt vmcnt(1)
	v_add_co_u32 v222, vcc_lo, v214, v222
	s_waitcnt vmcnt(0)
	v_add_co_ci_u32_e64 v223, null, v215, v223, vcc_lo
	s_clause 0x1
	global_load_dword v0, v[222:223], off
	global_load_dword v224, v[214:215], off offset:48
	s_waitcnt vmcnt(1)
	global_store_dword v[214:215], v0, off offset:48
	s_waitcnt vmcnt(0)
	global_store_dword v[222:223], v224, off
.LBB106_266:
	s_or_b32 exec_lo, exec_lo, s7
	v_mov_b32_e32 v232, v226
	v_mov_b32_e32 v0, v226
.LBB106_267:
	s_or_b32 exec_lo, exec_lo, s1
.LBB106_268:
	s_andn2_saveexec_b32 s0, s0
	s_cbranch_execz .LBB106_270
; %bb.269:
	v_mov_b32_e32 v232, 12
	ds_write2_b64 v1, v[162:163], v[164:165] offset0:26 offset1:27
	ds_write2_b64 v1, v[158:159], v[160:161] offset0:28 offset1:29
	;; [unrolled: 1-line block ×41, first 2 shown]
.LBB106_270:
	s_or_b32 exec_lo, exec_lo, s0
	s_mov_b32 s0, exec_lo
	s_waitcnt lgkmcnt(0)
	s_waitcnt_vscnt null, 0x0
	s_barrier
	buffer_gl0_inv
	v_cmpx_lt_i32_e32 12, v232
	s_cbranch_execz .LBB106_272
; %bb.271:
	v_mul_f64 v[222:223], v[220:221], v[168:169]
	v_mul_f64 v[168:169], v[218:219], v[168:169]
	v_fma_f64 v[226:227], v[218:219], v[166:167], -v[222:223]
	v_fma_f64 v[168:169], v[220:221], v[166:167], v[168:169]
	ds_read2_b64 v[218:221], v1 offset0:26 offset1:27
	s_waitcnt lgkmcnt(0)
	v_mul_f64 v[166:167], v[220:221], v[168:169]
	v_fma_f64 v[166:167], v[218:219], v[226:227], -v[166:167]
	v_mul_f64 v[218:219], v[218:219], v[168:169]
	v_add_f64 v[162:163], v[162:163], -v[166:167]
	v_fma_f64 v[218:219], v[220:221], v[226:227], v[218:219]
	v_add_f64 v[164:165], v[164:165], -v[218:219]
	ds_read2_b64 v[218:221], v1 offset0:28 offset1:29
	s_waitcnt lgkmcnt(0)
	v_mul_f64 v[166:167], v[220:221], v[168:169]
	v_fma_f64 v[166:167], v[218:219], v[226:227], -v[166:167]
	v_mul_f64 v[218:219], v[218:219], v[168:169]
	v_add_f64 v[158:159], v[158:159], -v[166:167]
	v_fma_f64 v[218:219], v[220:221], v[226:227], v[218:219]
	v_add_f64 v[160:161], v[160:161], -v[218:219]
	;; [unrolled: 8-line block ×40, first 2 shown]
	ds_read2_b64 v[218:221], v1 offset0:106 offset1:107
	s_waitcnt lgkmcnt(0)
	v_mul_f64 v[166:167], v[220:221], v[168:169]
	v_fma_f64 v[166:167], v[218:219], v[226:227], -v[166:167]
	v_mul_f64 v[218:219], v[218:219], v[168:169]
	v_add_f64 v[2:3], v[2:3], -v[166:167]
	v_fma_f64 v[218:219], v[220:221], v[226:227], v[218:219]
	v_mov_b32_e32 v166, v226
	v_mov_b32_e32 v167, v227
	v_add_f64 v[4:5], v[4:5], -v[218:219]
.LBB106_272:
	s_or_b32 exec_lo, exec_lo, s0
	v_lshl_add_u32 v218, v232, 4, v1
	s_barrier
	buffer_gl0_inv
	v_mov_b32_e32 v226, 13
	ds_write2_b64 v218, v[162:163], v[164:165] offset1:1
	s_waitcnt lgkmcnt(0)
	s_barrier
	buffer_gl0_inv
	ds_read2_b64 v[218:221], v1 offset0:26 offset1:27
	s_cmp_lt_i32 s8, 15
	s_cbranch_scc1 .LBB106_275
; %bb.273:
	v_add3_u32 v227, v228, 0, 0xe0
	v_mov_b32_e32 v226, 13
	s_mov_b32 s1, 14
	s_inst_prefetch 0x1
	.p2align	6
.LBB106_274:                            ; =>This Inner Loop Header: Depth=1
	s_waitcnt lgkmcnt(0)
	v_cmp_gt_f64_e32 vcc_lo, 0, v[220:221]
	v_cmp_gt_f64_e64 s0, 0, v[218:219]
	ds_read2_b64 v[233:236], v227 offset1:1
	v_xor_b32_e32 v223, 0x80000000, v219
	v_xor_b32_e32 v225, 0x80000000, v221
	v_mov_b32_e32 v222, v218
	v_mov_b32_e32 v224, v220
	v_add_nc_u32_e32 v227, 16, v227
	s_waitcnt lgkmcnt(0)
	v_xor_b32_e32 v238, 0x80000000, v236
	v_cndmask_b32_e64 v223, v219, v223, s0
	v_cndmask_b32_e32 v225, v221, v225, vcc_lo
	v_cmp_gt_f64_e32 vcc_lo, 0, v[235:236]
	v_cmp_gt_f64_e64 s0, 0, v[233:234]
	v_mov_b32_e32 v237, v235
	v_add_f64 v[222:223], v[222:223], v[224:225]
	v_xor_b32_e32 v225, 0x80000000, v234
	v_mov_b32_e32 v224, v233
	v_cndmask_b32_e32 v238, v236, v238, vcc_lo
	v_cndmask_b32_e64 v225, v234, v225, s0
	v_add_f64 v[224:225], v[224:225], v[237:238]
	v_cmp_lt_f64_e32 vcc_lo, v[222:223], v[224:225]
	v_cndmask_b32_e32 v219, v219, v234, vcc_lo
	v_cndmask_b32_e32 v218, v218, v233, vcc_lo
	;; [unrolled: 1-line block ×4, first 2 shown]
	v_cndmask_b32_e64 v226, v226, s1, vcc_lo
	s_add_i32 s1, s1, 1
	s_cmp_lg_u32 s8, s1
	s_cbranch_scc1 .LBB106_274
.LBB106_275:
	s_inst_prefetch 0x2
	s_waitcnt lgkmcnt(0)
	v_cmp_eq_f64_e32 vcc_lo, 0, v[218:219]
	v_cmp_eq_f64_e64 s0, 0, v[220:221]
	s_and_b32 s0, vcc_lo, s0
	s_and_saveexec_b32 s1, s0
	s_xor_b32 s0, exec_lo, s1
; %bb.276:
	v_cmp_ne_u32_e32 vcc_lo, 0, v231
	v_cndmask_b32_e32 v231, 14, v231, vcc_lo
; %bb.277:
	s_andn2_saveexec_b32 s0, s0
	s_cbranch_execz .LBB106_283
; %bb.278:
	v_cmp_ngt_f64_e64 s1, |v[218:219]|, |v[220:221]|
	s_and_saveexec_b32 s7, s1
	s_xor_b32 s1, exec_lo, s7
	s_cbranch_execz .LBB106_280
; %bb.279:
	v_div_scale_f64 v[222:223], null, v[220:221], v[220:221], v[218:219]
	v_div_scale_f64 v[235:236], vcc_lo, v[218:219], v[220:221], v[218:219]
	v_rcp_f64_e32 v[224:225], v[222:223]
	v_fma_f64 v[233:234], -v[222:223], v[224:225], 1.0
	v_fma_f64 v[224:225], v[224:225], v[233:234], v[224:225]
	v_fma_f64 v[233:234], -v[222:223], v[224:225], 1.0
	v_fma_f64 v[224:225], v[224:225], v[233:234], v[224:225]
	v_mul_f64 v[233:234], v[235:236], v[224:225]
	v_fma_f64 v[222:223], -v[222:223], v[233:234], v[235:236]
	v_div_fmas_f64 v[222:223], v[222:223], v[224:225], v[233:234]
	v_div_fixup_f64 v[222:223], v[222:223], v[220:221], v[218:219]
	v_fma_f64 v[218:219], v[218:219], v[222:223], v[220:221]
	v_div_scale_f64 v[220:221], null, v[218:219], v[218:219], 1.0
	v_rcp_f64_e32 v[224:225], v[220:221]
	v_fma_f64 v[233:234], -v[220:221], v[224:225], 1.0
	v_fma_f64 v[224:225], v[224:225], v[233:234], v[224:225]
	v_fma_f64 v[233:234], -v[220:221], v[224:225], 1.0
	v_fma_f64 v[224:225], v[224:225], v[233:234], v[224:225]
	v_div_scale_f64 v[233:234], vcc_lo, 1.0, v[218:219], 1.0
	v_mul_f64 v[235:236], v[233:234], v[224:225]
	v_fma_f64 v[220:221], -v[220:221], v[235:236], v[233:234]
	v_div_fmas_f64 v[220:221], v[220:221], v[224:225], v[235:236]
	v_div_fixup_f64 v[220:221], v[220:221], v[218:219], 1.0
	v_mul_f64 v[218:219], v[222:223], v[220:221]
	v_xor_b32_e32 v221, 0x80000000, v221
.LBB106_280:
	s_andn2_saveexec_b32 s1, s1
	s_cbranch_execz .LBB106_282
; %bb.281:
	v_div_scale_f64 v[222:223], null, v[218:219], v[218:219], v[220:221]
	v_div_scale_f64 v[235:236], vcc_lo, v[220:221], v[218:219], v[220:221]
	v_rcp_f64_e32 v[224:225], v[222:223]
	v_fma_f64 v[233:234], -v[222:223], v[224:225], 1.0
	v_fma_f64 v[224:225], v[224:225], v[233:234], v[224:225]
	v_fma_f64 v[233:234], -v[222:223], v[224:225], 1.0
	v_fma_f64 v[224:225], v[224:225], v[233:234], v[224:225]
	v_mul_f64 v[233:234], v[235:236], v[224:225]
	v_fma_f64 v[222:223], -v[222:223], v[233:234], v[235:236]
	v_div_fmas_f64 v[222:223], v[222:223], v[224:225], v[233:234]
	v_div_fixup_f64 v[222:223], v[222:223], v[218:219], v[220:221]
	v_fma_f64 v[218:219], v[220:221], v[222:223], v[218:219]
	v_div_scale_f64 v[220:221], null, v[218:219], v[218:219], 1.0
	v_rcp_f64_e32 v[224:225], v[220:221]
	v_fma_f64 v[233:234], -v[220:221], v[224:225], 1.0
	v_fma_f64 v[224:225], v[224:225], v[233:234], v[224:225]
	v_fma_f64 v[233:234], -v[220:221], v[224:225], 1.0
	v_fma_f64 v[224:225], v[224:225], v[233:234], v[224:225]
	v_div_scale_f64 v[233:234], vcc_lo, 1.0, v[218:219], 1.0
	v_mul_f64 v[235:236], v[233:234], v[224:225]
	v_fma_f64 v[220:221], -v[220:221], v[235:236], v[233:234]
	v_div_fmas_f64 v[220:221], v[220:221], v[224:225], v[235:236]
	v_div_fixup_f64 v[218:219], v[220:221], v[218:219], 1.0
	v_mul_f64 v[220:221], v[222:223], -v[218:219]
.LBB106_282:
	s_or_b32 exec_lo, exec_lo, s1
.LBB106_283:
	s_or_b32 exec_lo, exec_lo, s0
	s_mov_b32 s0, exec_lo
	v_cmpx_ne_u32_e64 v232, v226
	s_xor_b32 s0, exec_lo, s0
	s_cbranch_execz .LBB106_289
; %bb.284:
	s_mov_b32 s1, exec_lo
	v_cmpx_eq_u32_e32 13, v232
	s_cbranch_execz .LBB106_288
; %bb.285:
	v_cmp_ne_u32_e32 vcc_lo, 13, v226
	s_xor_b32 s7, s16, -1
	s_and_b32 s9, s7, vcc_lo
	s_and_saveexec_b32 s7, s9
	s_cbranch_execz .LBB106_287
; %bb.286:
	s_clause 0x1
	buffer_load_dword v214, off, s[20:23], 0
	buffer_load_dword v215, off, s[20:23], 0 offset:4
	v_ashrrev_i32_e32 v227, 31, v226
	v_lshlrev_b64 v[222:223], 2, v[226:227]
	s_waitcnt vmcnt(1)
	v_add_co_u32 v222, vcc_lo, v214, v222
	s_waitcnt vmcnt(0)
	v_add_co_ci_u32_e64 v223, null, v215, v223, vcc_lo
	s_clause 0x1
	global_load_dword v0, v[222:223], off
	global_load_dword v224, v[214:215], off offset:52
	s_waitcnt vmcnt(1)
	global_store_dword v[214:215], v0, off offset:52
	s_waitcnt vmcnt(0)
	global_store_dword v[222:223], v224, off
.LBB106_287:
	s_or_b32 exec_lo, exec_lo, s7
	v_mov_b32_e32 v232, v226
	v_mov_b32_e32 v0, v226
.LBB106_288:
	s_or_b32 exec_lo, exec_lo, s1
.LBB106_289:
	s_andn2_saveexec_b32 s0, s0
	s_cbranch_execz .LBB106_291
; %bb.290:
	v_mov_b32_e32 v232, 13
	ds_write2_b64 v1, v[158:159], v[160:161] offset0:28 offset1:29
	ds_write2_b64 v1, v[154:155], v[156:157] offset0:30 offset1:31
	;; [unrolled: 1-line block ×40, first 2 shown]
.LBB106_291:
	s_or_b32 exec_lo, exec_lo, s0
	s_mov_b32 s0, exec_lo
	s_waitcnt lgkmcnt(0)
	s_waitcnt_vscnt null, 0x0
	s_barrier
	buffer_gl0_inv
	v_cmpx_lt_i32_e32 13, v232
	s_cbranch_execz .LBB106_293
; %bb.292:
	v_mul_f64 v[222:223], v[220:221], v[164:165]
	v_mul_f64 v[164:165], v[218:219], v[164:165]
	v_fma_f64 v[226:227], v[218:219], v[162:163], -v[222:223]
	v_fma_f64 v[164:165], v[220:221], v[162:163], v[164:165]
	ds_read2_b64 v[218:221], v1 offset0:28 offset1:29
	s_waitcnt lgkmcnt(0)
	v_mul_f64 v[162:163], v[220:221], v[164:165]
	v_fma_f64 v[162:163], v[218:219], v[226:227], -v[162:163]
	v_mul_f64 v[218:219], v[218:219], v[164:165]
	v_add_f64 v[158:159], v[158:159], -v[162:163]
	v_fma_f64 v[218:219], v[220:221], v[226:227], v[218:219]
	v_add_f64 v[160:161], v[160:161], -v[218:219]
	ds_read2_b64 v[218:221], v1 offset0:30 offset1:31
	s_waitcnt lgkmcnt(0)
	v_mul_f64 v[162:163], v[220:221], v[164:165]
	v_fma_f64 v[162:163], v[218:219], v[226:227], -v[162:163]
	v_mul_f64 v[218:219], v[218:219], v[164:165]
	v_add_f64 v[154:155], v[154:155], -v[162:163]
	v_fma_f64 v[218:219], v[220:221], v[226:227], v[218:219]
	v_add_f64 v[156:157], v[156:157], -v[218:219]
	;; [unrolled: 8-line block ×39, first 2 shown]
	ds_read2_b64 v[218:221], v1 offset0:106 offset1:107
	s_waitcnt lgkmcnt(0)
	v_mul_f64 v[162:163], v[220:221], v[164:165]
	v_fma_f64 v[162:163], v[218:219], v[226:227], -v[162:163]
	v_mul_f64 v[218:219], v[218:219], v[164:165]
	v_add_f64 v[2:3], v[2:3], -v[162:163]
	v_fma_f64 v[218:219], v[220:221], v[226:227], v[218:219]
	v_mov_b32_e32 v162, v226
	v_mov_b32_e32 v163, v227
	v_add_f64 v[4:5], v[4:5], -v[218:219]
.LBB106_293:
	s_or_b32 exec_lo, exec_lo, s0
	v_lshl_add_u32 v218, v232, 4, v1
	s_barrier
	buffer_gl0_inv
	v_mov_b32_e32 v226, 14
	ds_write2_b64 v218, v[158:159], v[160:161] offset1:1
	s_waitcnt lgkmcnt(0)
	s_barrier
	buffer_gl0_inv
	ds_read2_b64 v[218:221], v1 offset0:28 offset1:29
	s_cmp_lt_i32 s8, 16
	s_cbranch_scc1 .LBB106_296
; %bb.294:
	v_add3_u32 v227, v228, 0, 0xf0
	v_mov_b32_e32 v226, 14
	s_mov_b32 s1, 15
	s_inst_prefetch 0x1
	.p2align	6
.LBB106_295:                            ; =>This Inner Loop Header: Depth=1
	s_waitcnt lgkmcnt(0)
	v_cmp_gt_f64_e32 vcc_lo, 0, v[220:221]
	v_cmp_gt_f64_e64 s0, 0, v[218:219]
	ds_read2_b64 v[233:236], v227 offset1:1
	v_xor_b32_e32 v223, 0x80000000, v219
	v_xor_b32_e32 v225, 0x80000000, v221
	v_mov_b32_e32 v222, v218
	v_mov_b32_e32 v224, v220
	v_add_nc_u32_e32 v227, 16, v227
	s_waitcnt lgkmcnt(0)
	v_xor_b32_e32 v238, 0x80000000, v236
	v_cndmask_b32_e64 v223, v219, v223, s0
	v_cndmask_b32_e32 v225, v221, v225, vcc_lo
	v_cmp_gt_f64_e32 vcc_lo, 0, v[235:236]
	v_cmp_gt_f64_e64 s0, 0, v[233:234]
	v_mov_b32_e32 v237, v235
	v_add_f64 v[222:223], v[222:223], v[224:225]
	v_xor_b32_e32 v225, 0x80000000, v234
	v_mov_b32_e32 v224, v233
	v_cndmask_b32_e32 v238, v236, v238, vcc_lo
	v_cndmask_b32_e64 v225, v234, v225, s0
	v_add_f64 v[224:225], v[224:225], v[237:238]
	v_cmp_lt_f64_e32 vcc_lo, v[222:223], v[224:225]
	v_cndmask_b32_e32 v219, v219, v234, vcc_lo
	v_cndmask_b32_e32 v218, v218, v233, vcc_lo
	;; [unrolled: 1-line block ×4, first 2 shown]
	v_cndmask_b32_e64 v226, v226, s1, vcc_lo
	s_add_i32 s1, s1, 1
	s_cmp_lg_u32 s8, s1
	s_cbranch_scc1 .LBB106_295
.LBB106_296:
	s_inst_prefetch 0x2
	s_waitcnt lgkmcnt(0)
	v_cmp_eq_f64_e32 vcc_lo, 0, v[218:219]
	v_cmp_eq_f64_e64 s0, 0, v[220:221]
	s_and_b32 s0, vcc_lo, s0
	s_and_saveexec_b32 s1, s0
	s_xor_b32 s0, exec_lo, s1
; %bb.297:
	v_cmp_ne_u32_e32 vcc_lo, 0, v231
	v_cndmask_b32_e32 v231, 15, v231, vcc_lo
; %bb.298:
	s_andn2_saveexec_b32 s0, s0
	s_cbranch_execz .LBB106_304
; %bb.299:
	v_cmp_ngt_f64_e64 s1, |v[218:219]|, |v[220:221]|
	s_and_saveexec_b32 s7, s1
	s_xor_b32 s1, exec_lo, s7
	s_cbranch_execz .LBB106_301
; %bb.300:
	v_div_scale_f64 v[222:223], null, v[220:221], v[220:221], v[218:219]
	v_div_scale_f64 v[235:236], vcc_lo, v[218:219], v[220:221], v[218:219]
	v_rcp_f64_e32 v[224:225], v[222:223]
	v_fma_f64 v[233:234], -v[222:223], v[224:225], 1.0
	v_fma_f64 v[224:225], v[224:225], v[233:234], v[224:225]
	v_fma_f64 v[233:234], -v[222:223], v[224:225], 1.0
	v_fma_f64 v[224:225], v[224:225], v[233:234], v[224:225]
	v_mul_f64 v[233:234], v[235:236], v[224:225]
	v_fma_f64 v[222:223], -v[222:223], v[233:234], v[235:236]
	v_div_fmas_f64 v[222:223], v[222:223], v[224:225], v[233:234]
	v_div_fixup_f64 v[222:223], v[222:223], v[220:221], v[218:219]
	v_fma_f64 v[218:219], v[218:219], v[222:223], v[220:221]
	v_div_scale_f64 v[220:221], null, v[218:219], v[218:219], 1.0
	v_rcp_f64_e32 v[224:225], v[220:221]
	v_fma_f64 v[233:234], -v[220:221], v[224:225], 1.0
	v_fma_f64 v[224:225], v[224:225], v[233:234], v[224:225]
	v_fma_f64 v[233:234], -v[220:221], v[224:225], 1.0
	v_fma_f64 v[224:225], v[224:225], v[233:234], v[224:225]
	v_div_scale_f64 v[233:234], vcc_lo, 1.0, v[218:219], 1.0
	v_mul_f64 v[235:236], v[233:234], v[224:225]
	v_fma_f64 v[220:221], -v[220:221], v[235:236], v[233:234]
	v_div_fmas_f64 v[220:221], v[220:221], v[224:225], v[235:236]
	v_div_fixup_f64 v[220:221], v[220:221], v[218:219], 1.0
	v_mul_f64 v[218:219], v[222:223], v[220:221]
	v_xor_b32_e32 v221, 0x80000000, v221
.LBB106_301:
	s_andn2_saveexec_b32 s1, s1
	s_cbranch_execz .LBB106_303
; %bb.302:
	v_div_scale_f64 v[222:223], null, v[218:219], v[218:219], v[220:221]
	v_div_scale_f64 v[235:236], vcc_lo, v[220:221], v[218:219], v[220:221]
	v_rcp_f64_e32 v[224:225], v[222:223]
	v_fma_f64 v[233:234], -v[222:223], v[224:225], 1.0
	v_fma_f64 v[224:225], v[224:225], v[233:234], v[224:225]
	v_fma_f64 v[233:234], -v[222:223], v[224:225], 1.0
	v_fma_f64 v[224:225], v[224:225], v[233:234], v[224:225]
	v_mul_f64 v[233:234], v[235:236], v[224:225]
	v_fma_f64 v[222:223], -v[222:223], v[233:234], v[235:236]
	v_div_fmas_f64 v[222:223], v[222:223], v[224:225], v[233:234]
	v_div_fixup_f64 v[222:223], v[222:223], v[218:219], v[220:221]
	v_fma_f64 v[218:219], v[220:221], v[222:223], v[218:219]
	v_div_scale_f64 v[220:221], null, v[218:219], v[218:219], 1.0
	v_rcp_f64_e32 v[224:225], v[220:221]
	v_fma_f64 v[233:234], -v[220:221], v[224:225], 1.0
	v_fma_f64 v[224:225], v[224:225], v[233:234], v[224:225]
	v_fma_f64 v[233:234], -v[220:221], v[224:225], 1.0
	v_fma_f64 v[224:225], v[224:225], v[233:234], v[224:225]
	v_div_scale_f64 v[233:234], vcc_lo, 1.0, v[218:219], 1.0
	v_mul_f64 v[235:236], v[233:234], v[224:225]
	v_fma_f64 v[220:221], -v[220:221], v[235:236], v[233:234]
	v_div_fmas_f64 v[220:221], v[220:221], v[224:225], v[235:236]
	v_div_fixup_f64 v[218:219], v[220:221], v[218:219], 1.0
	v_mul_f64 v[220:221], v[222:223], -v[218:219]
.LBB106_303:
	s_or_b32 exec_lo, exec_lo, s1
.LBB106_304:
	s_or_b32 exec_lo, exec_lo, s0
	s_mov_b32 s0, exec_lo
	v_cmpx_ne_u32_e64 v232, v226
	s_xor_b32 s0, exec_lo, s0
	s_cbranch_execz .LBB106_310
; %bb.305:
	s_mov_b32 s1, exec_lo
	v_cmpx_eq_u32_e32 14, v232
	s_cbranch_execz .LBB106_309
; %bb.306:
	v_cmp_ne_u32_e32 vcc_lo, 14, v226
	s_xor_b32 s7, s16, -1
	s_and_b32 s9, s7, vcc_lo
	s_and_saveexec_b32 s7, s9
	s_cbranch_execz .LBB106_308
; %bb.307:
	s_clause 0x1
	buffer_load_dword v214, off, s[20:23], 0
	buffer_load_dword v215, off, s[20:23], 0 offset:4
	v_ashrrev_i32_e32 v227, 31, v226
	v_lshlrev_b64 v[222:223], 2, v[226:227]
	s_waitcnt vmcnt(1)
	v_add_co_u32 v222, vcc_lo, v214, v222
	s_waitcnt vmcnt(0)
	v_add_co_ci_u32_e64 v223, null, v215, v223, vcc_lo
	s_clause 0x1
	global_load_dword v0, v[222:223], off
	global_load_dword v224, v[214:215], off offset:56
	s_waitcnt vmcnt(1)
	global_store_dword v[214:215], v0, off offset:56
	s_waitcnt vmcnt(0)
	global_store_dword v[222:223], v224, off
.LBB106_308:
	s_or_b32 exec_lo, exec_lo, s7
	v_mov_b32_e32 v232, v226
	v_mov_b32_e32 v0, v226
.LBB106_309:
	s_or_b32 exec_lo, exec_lo, s1
.LBB106_310:
	s_andn2_saveexec_b32 s0, s0
	s_cbranch_execz .LBB106_312
; %bb.311:
	v_mov_b32_e32 v232, 14
	ds_write2_b64 v1, v[154:155], v[156:157] offset0:30 offset1:31
	ds_write2_b64 v1, v[150:151], v[152:153] offset0:32 offset1:33
	;; [unrolled: 1-line block ×39, first 2 shown]
.LBB106_312:
	s_or_b32 exec_lo, exec_lo, s0
	s_mov_b32 s0, exec_lo
	s_waitcnt lgkmcnt(0)
	s_waitcnt_vscnt null, 0x0
	s_barrier
	buffer_gl0_inv
	v_cmpx_lt_i32_e32 14, v232
	s_cbranch_execz .LBB106_314
; %bb.313:
	v_mul_f64 v[222:223], v[220:221], v[160:161]
	v_mul_f64 v[160:161], v[218:219], v[160:161]
	v_fma_f64 v[226:227], v[218:219], v[158:159], -v[222:223]
	v_fma_f64 v[160:161], v[220:221], v[158:159], v[160:161]
	ds_read2_b64 v[218:221], v1 offset0:30 offset1:31
	s_waitcnt lgkmcnt(0)
	v_mul_f64 v[158:159], v[220:221], v[160:161]
	v_fma_f64 v[158:159], v[218:219], v[226:227], -v[158:159]
	v_mul_f64 v[218:219], v[218:219], v[160:161]
	v_add_f64 v[154:155], v[154:155], -v[158:159]
	v_fma_f64 v[218:219], v[220:221], v[226:227], v[218:219]
	v_add_f64 v[156:157], v[156:157], -v[218:219]
	ds_read2_b64 v[218:221], v1 offset0:32 offset1:33
	s_waitcnt lgkmcnt(0)
	v_mul_f64 v[158:159], v[220:221], v[160:161]
	v_fma_f64 v[158:159], v[218:219], v[226:227], -v[158:159]
	v_mul_f64 v[218:219], v[218:219], v[160:161]
	v_add_f64 v[150:151], v[150:151], -v[158:159]
	v_fma_f64 v[218:219], v[220:221], v[226:227], v[218:219]
	v_add_f64 v[152:153], v[152:153], -v[218:219]
	;; [unrolled: 8-line block ×38, first 2 shown]
	ds_read2_b64 v[218:221], v1 offset0:106 offset1:107
	s_waitcnt lgkmcnt(0)
	v_mul_f64 v[158:159], v[220:221], v[160:161]
	v_fma_f64 v[158:159], v[218:219], v[226:227], -v[158:159]
	v_mul_f64 v[218:219], v[218:219], v[160:161]
	v_add_f64 v[2:3], v[2:3], -v[158:159]
	v_fma_f64 v[218:219], v[220:221], v[226:227], v[218:219]
	v_mov_b32_e32 v158, v226
	v_mov_b32_e32 v159, v227
	v_add_f64 v[4:5], v[4:5], -v[218:219]
.LBB106_314:
	s_or_b32 exec_lo, exec_lo, s0
	v_lshl_add_u32 v218, v232, 4, v1
	s_barrier
	buffer_gl0_inv
	v_mov_b32_e32 v226, 15
	ds_write2_b64 v218, v[154:155], v[156:157] offset1:1
	s_waitcnt lgkmcnt(0)
	s_barrier
	buffer_gl0_inv
	ds_read2_b64 v[218:221], v1 offset0:30 offset1:31
	s_cmp_lt_i32 s8, 17
	s_cbranch_scc1 .LBB106_317
; %bb.315:
	v_add3_u32 v227, v228, 0, 0x100
	v_mov_b32_e32 v226, 15
	s_mov_b32 s1, 16
	s_inst_prefetch 0x1
	.p2align	6
.LBB106_316:                            ; =>This Inner Loop Header: Depth=1
	s_waitcnt lgkmcnt(0)
	v_cmp_gt_f64_e32 vcc_lo, 0, v[220:221]
	v_cmp_gt_f64_e64 s0, 0, v[218:219]
	ds_read2_b64 v[233:236], v227 offset1:1
	v_xor_b32_e32 v223, 0x80000000, v219
	v_xor_b32_e32 v225, 0x80000000, v221
	v_mov_b32_e32 v222, v218
	v_mov_b32_e32 v224, v220
	v_add_nc_u32_e32 v227, 16, v227
	s_waitcnt lgkmcnt(0)
	v_xor_b32_e32 v238, 0x80000000, v236
	v_cndmask_b32_e64 v223, v219, v223, s0
	v_cndmask_b32_e32 v225, v221, v225, vcc_lo
	v_cmp_gt_f64_e32 vcc_lo, 0, v[235:236]
	v_cmp_gt_f64_e64 s0, 0, v[233:234]
	v_mov_b32_e32 v237, v235
	v_add_f64 v[222:223], v[222:223], v[224:225]
	v_xor_b32_e32 v225, 0x80000000, v234
	v_mov_b32_e32 v224, v233
	v_cndmask_b32_e32 v238, v236, v238, vcc_lo
	v_cndmask_b32_e64 v225, v234, v225, s0
	v_add_f64 v[224:225], v[224:225], v[237:238]
	v_cmp_lt_f64_e32 vcc_lo, v[222:223], v[224:225]
	v_cndmask_b32_e32 v219, v219, v234, vcc_lo
	v_cndmask_b32_e32 v218, v218, v233, vcc_lo
	;; [unrolled: 1-line block ×4, first 2 shown]
	v_cndmask_b32_e64 v226, v226, s1, vcc_lo
	s_add_i32 s1, s1, 1
	s_cmp_lg_u32 s8, s1
	s_cbranch_scc1 .LBB106_316
.LBB106_317:
	s_inst_prefetch 0x2
	s_waitcnt lgkmcnt(0)
	v_cmp_eq_f64_e32 vcc_lo, 0, v[218:219]
	v_cmp_eq_f64_e64 s0, 0, v[220:221]
	s_and_b32 s0, vcc_lo, s0
	s_and_saveexec_b32 s1, s0
	s_xor_b32 s0, exec_lo, s1
; %bb.318:
	v_cmp_ne_u32_e32 vcc_lo, 0, v231
	v_cndmask_b32_e32 v231, 16, v231, vcc_lo
; %bb.319:
	s_andn2_saveexec_b32 s0, s0
	s_cbranch_execz .LBB106_325
; %bb.320:
	v_cmp_ngt_f64_e64 s1, |v[218:219]|, |v[220:221]|
	s_and_saveexec_b32 s7, s1
	s_xor_b32 s1, exec_lo, s7
	s_cbranch_execz .LBB106_322
; %bb.321:
	v_div_scale_f64 v[222:223], null, v[220:221], v[220:221], v[218:219]
	v_div_scale_f64 v[235:236], vcc_lo, v[218:219], v[220:221], v[218:219]
	v_rcp_f64_e32 v[224:225], v[222:223]
	v_fma_f64 v[233:234], -v[222:223], v[224:225], 1.0
	v_fma_f64 v[224:225], v[224:225], v[233:234], v[224:225]
	v_fma_f64 v[233:234], -v[222:223], v[224:225], 1.0
	v_fma_f64 v[224:225], v[224:225], v[233:234], v[224:225]
	v_mul_f64 v[233:234], v[235:236], v[224:225]
	v_fma_f64 v[222:223], -v[222:223], v[233:234], v[235:236]
	v_div_fmas_f64 v[222:223], v[222:223], v[224:225], v[233:234]
	v_div_fixup_f64 v[222:223], v[222:223], v[220:221], v[218:219]
	v_fma_f64 v[218:219], v[218:219], v[222:223], v[220:221]
	v_div_scale_f64 v[220:221], null, v[218:219], v[218:219], 1.0
	v_rcp_f64_e32 v[224:225], v[220:221]
	v_fma_f64 v[233:234], -v[220:221], v[224:225], 1.0
	v_fma_f64 v[224:225], v[224:225], v[233:234], v[224:225]
	v_fma_f64 v[233:234], -v[220:221], v[224:225], 1.0
	v_fma_f64 v[224:225], v[224:225], v[233:234], v[224:225]
	v_div_scale_f64 v[233:234], vcc_lo, 1.0, v[218:219], 1.0
	v_mul_f64 v[235:236], v[233:234], v[224:225]
	v_fma_f64 v[220:221], -v[220:221], v[235:236], v[233:234]
	v_div_fmas_f64 v[220:221], v[220:221], v[224:225], v[235:236]
	v_div_fixup_f64 v[220:221], v[220:221], v[218:219], 1.0
	v_mul_f64 v[218:219], v[222:223], v[220:221]
	v_xor_b32_e32 v221, 0x80000000, v221
.LBB106_322:
	s_andn2_saveexec_b32 s1, s1
	s_cbranch_execz .LBB106_324
; %bb.323:
	v_div_scale_f64 v[222:223], null, v[218:219], v[218:219], v[220:221]
	v_div_scale_f64 v[235:236], vcc_lo, v[220:221], v[218:219], v[220:221]
	v_rcp_f64_e32 v[224:225], v[222:223]
	v_fma_f64 v[233:234], -v[222:223], v[224:225], 1.0
	v_fma_f64 v[224:225], v[224:225], v[233:234], v[224:225]
	v_fma_f64 v[233:234], -v[222:223], v[224:225], 1.0
	v_fma_f64 v[224:225], v[224:225], v[233:234], v[224:225]
	v_mul_f64 v[233:234], v[235:236], v[224:225]
	v_fma_f64 v[222:223], -v[222:223], v[233:234], v[235:236]
	v_div_fmas_f64 v[222:223], v[222:223], v[224:225], v[233:234]
	v_div_fixup_f64 v[222:223], v[222:223], v[218:219], v[220:221]
	v_fma_f64 v[218:219], v[220:221], v[222:223], v[218:219]
	v_div_scale_f64 v[220:221], null, v[218:219], v[218:219], 1.0
	v_rcp_f64_e32 v[224:225], v[220:221]
	v_fma_f64 v[233:234], -v[220:221], v[224:225], 1.0
	v_fma_f64 v[224:225], v[224:225], v[233:234], v[224:225]
	v_fma_f64 v[233:234], -v[220:221], v[224:225], 1.0
	v_fma_f64 v[224:225], v[224:225], v[233:234], v[224:225]
	v_div_scale_f64 v[233:234], vcc_lo, 1.0, v[218:219], 1.0
	v_mul_f64 v[235:236], v[233:234], v[224:225]
	v_fma_f64 v[220:221], -v[220:221], v[235:236], v[233:234]
	v_div_fmas_f64 v[220:221], v[220:221], v[224:225], v[235:236]
	v_div_fixup_f64 v[218:219], v[220:221], v[218:219], 1.0
	v_mul_f64 v[220:221], v[222:223], -v[218:219]
.LBB106_324:
	s_or_b32 exec_lo, exec_lo, s1
.LBB106_325:
	s_or_b32 exec_lo, exec_lo, s0
	s_mov_b32 s0, exec_lo
	v_cmpx_ne_u32_e64 v232, v226
	s_xor_b32 s0, exec_lo, s0
	s_cbranch_execz .LBB106_331
; %bb.326:
	s_mov_b32 s1, exec_lo
	v_cmpx_eq_u32_e32 15, v232
	s_cbranch_execz .LBB106_330
; %bb.327:
	v_cmp_ne_u32_e32 vcc_lo, 15, v226
	s_xor_b32 s7, s16, -1
	s_and_b32 s9, s7, vcc_lo
	s_and_saveexec_b32 s7, s9
	s_cbranch_execz .LBB106_329
; %bb.328:
	s_clause 0x1
	buffer_load_dword v214, off, s[20:23], 0
	buffer_load_dword v215, off, s[20:23], 0 offset:4
	v_ashrrev_i32_e32 v227, 31, v226
	v_lshlrev_b64 v[222:223], 2, v[226:227]
	s_waitcnt vmcnt(1)
	v_add_co_u32 v222, vcc_lo, v214, v222
	s_waitcnt vmcnt(0)
	v_add_co_ci_u32_e64 v223, null, v215, v223, vcc_lo
	s_clause 0x1
	global_load_dword v0, v[222:223], off
	global_load_dword v224, v[214:215], off offset:60
	s_waitcnt vmcnt(1)
	global_store_dword v[214:215], v0, off offset:60
	s_waitcnt vmcnt(0)
	global_store_dword v[222:223], v224, off
.LBB106_329:
	s_or_b32 exec_lo, exec_lo, s7
	v_mov_b32_e32 v232, v226
	v_mov_b32_e32 v0, v226
.LBB106_330:
	s_or_b32 exec_lo, exec_lo, s1
.LBB106_331:
	s_andn2_saveexec_b32 s0, s0
	s_cbranch_execz .LBB106_333
; %bb.332:
	v_mov_b32_e32 v232, 15
	ds_write2_b64 v1, v[150:151], v[152:153] offset0:32 offset1:33
	ds_write2_b64 v1, v[146:147], v[148:149] offset0:34 offset1:35
	;; [unrolled: 1-line block ×38, first 2 shown]
.LBB106_333:
	s_or_b32 exec_lo, exec_lo, s0
	s_mov_b32 s0, exec_lo
	s_waitcnt lgkmcnt(0)
	s_waitcnt_vscnt null, 0x0
	s_barrier
	buffer_gl0_inv
	v_cmpx_lt_i32_e32 15, v232
	s_cbranch_execz .LBB106_335
; %bb.334:
	v_mul_f64 v[222:223], v[220:221], v[156:157]
	v_mul_f64 v[156:157], v[218:219], v[156:157]
	v_fma_f64 v[226:227], v[218:219], v[154:155], -v[222:223]
	v_fma_f64 v[156:157], v[220:221], v[154:155], v[156:157]
	ds_read2_b64 v[218:221], v1 offset0:32 offset1:33
	s_waitcnt lgkmcnt(0)
	v_mul_f64 v[154:155], v[220:221], v[156:157]
	v_fma_f64 v[154:155], v[218:219], v[226:227], -v[154:155]
	v_mul_f64 v[218:219], v[218:219], v[156:157]
	v_add_f64 v[150:151], v[150:151], -v[154:155]
	v_fma_f64 v[218:219], v[220:221], v[226:227], v[218:219]
	v_add_f64 v[152:153], v[152:153], -v[218:219]
	ds_read2_b64 v[218:221], v1 offset0:34 offset1:35
	s_waitcnt lgkmcnt(0)
	v_mul_f64 v[154:155], v[220:221], v[156:157]
	v_fma_f64 v[154:155], v[218:219], v[226:227], -v[154:155]
	v_mul_f64 v[218:219], v[218:219], v[156:157]
	v_add_f64 v[146:147], v[146:147], -v[154:155]
	v_fma_f64 v[218:219], v[220:221], v[226:227], v[218:219]
	v_add_f64 v[148:149], v[148:149], -v[218:219]
	;; [unrolled: 8-line block ×37, first 2 shown]
	ds_read2_b64 v[218:221], v1 offset0:106 offset1:107
	s_waitcnt lgkmcnt(0)
	v_mul_f64 v[154:155], v[220:221], v[156:157]
	v_fma_f64 v[154:155], v[218:219], v[226:227], -v[154:155]
	v_mul_f64 v[218:219], v[218:219], v[156:157]
	v_add_f64 v[2:3], v[2:3], -v[154:155]
	v_fma_f64 v[218:219], v[220:221], v[226:227], v[218:219]
	v_mov_b32_e32 v154, v226
	v_mov_b32_e32 v155, v227
	v_add_f64 v[4:5], v[4:5], -v[218:219]
.LBB106_335:
	s_or_b32 exec_lo, exec_lo, s0
	v_lshl_add_u32 v218, v232, 4, v1
	s_barrier
	buffer_gl0_inv
	v_mov_b32_e32 v226, 16
	ds_write2_b64 v218, v[150:151], v[152:153] offset1:1
	s_waitcnt lgkmcnt(0)
	s_barrier
	buffer_gl0_inv
	ds_read2_b64 v[218:221], v1 offset0:32 offset1:33
	s_cmp_lt_i32 s8, 18
	s_cbranch_scc1 .LBB106_338
; %bb.336:
	v_add3_u32 v227, v228, 0, 0x110
	v_mov_b32_e32 v226, 16
	s_mov_b32 s1, 17
	s_inst_prefetch 0x1
	.p2align	6
.LBB106_337:                            ; =>This Inner Loop Header: Depth=1
	s_waitcnt lgkmcnt(0)
	v_cmp_gt_f64_e32 vcc_lo, 0, v[220:221]
	v_cmp_gt_f64_e64 s0, 0, v[218:219]
	ds_read2_b64 v[233:236], v227 offset1:1
	v_xor_b32_e32 v223, 0x80000000, v219
	v_xor_b32_e32 v225, 0x80000000, v221
	v_mov_b32_e32 v222, v218
	v_mov_b32_e32 v224, v220
	v_add_nc_u32_e32 v227, 16, v227
	s_waitcnt lgkmcnt(0)
	v_xor_b32_e32 v238, 0x80000000, v236
	v_cndmask_b32_e64 v223, v219, v223, s0
	v_cndmask_b32_e32 v225, v221, v225, vcc_lo
	v_cmp_gt_f64_e32 vcc_lo, 0, v[235:236]
	v_cmp_gt_f64_e64 s0, 0, v[233:234]
	v_mov_b32_e32 v237, v235
	v_add_f64 v[222:223], v[222:223], v[224:225]
	v_xor_b32_e32 v225, 0x80000000, v234
	v_mov_b32_e32 v224, v233
	v_cndmask_b32_e32 v238, v236, v238, vcc_lo
	v_cndmask_b32_e64 v225, v234, v225, s0
	v_add_f64 v[224:225], v[224:225], v[237:238]
	v_cmp_lt_f64_e32 vcc_lo, v[222:223], v[224:225]
	v_cndmask_b32_e32 v219, v219, v234, vcc_lo
	v_cndmask_b32_e32 v218, v218, v233, vcc_lo
	;; [unrolled: 1-line block ×4, first 2 shown]
	v_cndmask_b32_e64 v226, v226, s1, vcc_lo
	s_add_i32 s1, s1, 1
	s_cmp_lg_u32 s8, s1
	s_cbranch_scc1 .LBB106_337
.LBB106_338:
	s_inst_prefetch 0x2
	s_waitcnt lgkmcnt(0)
	v_cmp_eq_f64_e32 vcc_lo, 0, v[218:219]
	v_cmp_eq_f64_e64 s0, 0, v[220:221]
	s_and_b32 s0, vcc_lo, s0
	s_and_saveexec_b32 s1, s0
	s_xor_b32 s0, exec_lo, s1
; %bb.339:
	v_cmp_ne_u32_e32 vcc_lo, 0, v231
	v_cndmask_b32_e32 v231, 17, v231, vcc_lo
; %bb.340:
	s_andn2_saveexec_b32 s0, s0
	s_cbranch_execz .LBB106_346
; %bb.341:
	v_cmp_ngt_f64_e64 s1, |v[218:219]|, |v[220:221]|
	s_and_saveexec_b32 s7, s1
	s_xor_b32 s1, exec_lo, s7
	s_cbranch_execz .LBB106_343
; %bb.342:
	v_div_scale_f64 v[222:223], null, v[220:221], v[220:221], v[218:219]
	v_div_scale_f64 v[235:236], vcc_lo, v[218:219], v[220:221], v[218:219]
	v_rcp_f64_e32 v[224:225], v[222:223]
	v_fma_f64 v[233:234], -v[222:223], v[224:225], 1.0
	v_fma_f64 v[224:225], v[224:225], v[233:234], v[224:225]
	v_fma_f64 v[233:234], -v[222:223], v[224:225], 1.0
	v_fma_f64 v[224:225], v[224:225], v[233:234], v[224:225]
	v_mul_f64 v[233:234], v[235:236], v[224:225]
	v_fma_f64 v[222:223], -v[222:223], v[233:234], v[235:236]
	v_div_fmas_f64 v[222:223], v[222:223], v[224:225], v[233:234]
	v_div_fixup_f64 v[222:223], v[222:223], v[220:221], v[218:219]
	v_fma_f64 v[218:219], v[218:219], v[222:223], v[220:221]
	v_div_scale_f64 v[220:221], null, v[218:219], v[218:219], 1.0
	v_rcp_f64_e32 v[224:225], v[220:221]
	v_fma_f64 v[233:234], -v[220:221], v[224:225], 1.0
	v_fma_f64 v[224:225], v[224:225], v[233:234], v[224:225]
	v_fma_f64 v[233:234], -v[220:221], v[224:225], 1.0
	v_fma_f64 v[224:225], v[224:225], v[233:234], v[224:225]
	v_div_scale_f64 v[233:234], vcc_lo, 1.0, v[218:219], 1.0
	v_mul_f64 v[235:236], v[233:234], v[224:225]
	v_fma_f64 v[220:221], -v[220:221], v[235:236], v[233:234]
	v_div_fmas_f64 v[220:221], v[220:221], v[224:225], v[235:236]
	v_div_fixup_f64 v[220:221], v[220:221], v[218:219], 1.0
	v_mul_f64 v[218:219], v[222:223], v[220:221]
	v_xor_b32_e32 v221, 0x80000000, v221
.LBB106_343:
	s_andn2_saveexec_b32 s1, s1
	s_cbranch_execz .LBB106_345
; %bb.344:
	v_div_scale_f64 v[222:223], null, v[218:219], v[218:219], v[220:221]
	v_div_scale_f64 v[235:236], vcc_lo, v[220:221], v[218:219], v[220:221]
	v_rcp_f64_e32 v[224:225], v[222:223]
	v_fma_f64 v[233:234], -v[222:223], v[224:225], 1.0
	v_fma_f64 v[224:225], v[224:225], v[233:234], v[224:225]
	v_fma_f64 v[233:234], -v[222:223], v[224:225], 1.0
	v_fma_f64 v[224:225], v[224:225], v[233:234], v[224:225]
	v_mul_f64 v[233:234], v[235:236], v[224:225]
	v_fma_f64 v[222:223], -v[222:223], v[233:234], v[235:236]
	v_div_fmas_f64 v[222:223], v[222:223], v[224:225], v[233:234]
	v_div_fixup_f64 v[222:223], v[222:223], v[218:219], v[220:221]
	v_fma_f64 v[218:219], v[220:221], v[222:223], v[218:219]
	v_div_scale_f64 v[220:221], null, v[218:219], v[218:219], 1.0
	v_rcp_f64_e32 v[224:225], v[220:221]
	v_fma_f64 v[233:234], -v[220:221], v[224:225], 1.0
	v_fma_f64 v[224:225], v[224:225], v[233:234], v[224:225]
	v_fma_f64 v[233:234], -v[220:221], v[224:225], 1.0
	v_fma_f64 v[224:225], v[224:225], v[233:234], v[224:225]
	v_div_scale_f64 v[233:234], vcc_lo, 1.0, v[218:219], 1.0
	v_mul_f64 v[235:236], v[233:234], v[224:225]
	v_fma_f64 v[220:221], -v[220:221], v[235:236], v[233:234]
	v_div_fmas_f64 v[220:221], v[220:221], v[224:225], v[235:236]
	v_div_fixup_f64 v[218:219], v[220:221], v[218:219], 1.0
	v_mul_f64 v[220:221], v[222:223], -v[218:219]
.LBB106_345:
	s_or_b32 exec_lo, exec_lo, s1
.LBB106_346:
	s_or_b32 exec_lo, exec_lo, s0
	s_mov_b32 s0, exec_lo
	v_cmpx_ne_u32_e64 v232, v226
	s_xor_b32 s0, exec_lo, s0
	s_cbranch_execz .LBB106_352
; %bb.347:
	s_mov_b32 s1, exec_lo
	v_cmpx_eq_u32_e32 16, v232
	s_cbranch_execz .LBB106_351
; %bb.348:
	v_cmp_ne_u32_e32 vcc_lo, 16, v226
	s_xor_b32 s7, s16, -1
	s_and_b32 s9, s7, vcc_lo
	s_and_saveexec_b32 s7, s9
	s_cbranch_execz .LBB106_350
; %bb.349:
	s_clause 0x1
	buffer_load_dword v214, off, s[20:23], 0
	buffer_load_dword v215, off, s[20:23], 0 offset:4
	v_ashrrev_i32_e32 v227, 31, v226
	v_lshlrev_b64 v[222:223], 2, v[226:227]
	s_waitcnt vmcnt(1)
	v_add_co_u32 v222, vcc_lo, v214, v222
	s_waitcnt vmcnt(0)
	v_add_co_ci_u32_e64 v223, null, v215, v223, vcc_lo
	s_clause 0x1
	global_load_dword v0, v[222:223], off
	global_load_dword v224, v[214:215], off offset:64
	s_waitcnt vmcnt(1)
	global_store_dword v[214:215], v0, off offset:64
	s_waitcnt vmcnt(0)
	global_store_dword v[222:223], v224, off
.LBB106_350:
	s_or_b32 exec_lo, exec_lo, s7
	v_mov_b32_e32 v232, v226
	v_mov_b32_e32 v0, v226
.LBB106_351:
	s_or_b32 exec_lo, exec_lo, s1
.LBB106_352:
	s_andn2_saveexec_b32 s0, s0
	s_cbranch_execz .LBB106_354
; %bb.353:
	v_mov_b32_e32 v232, 16
	ds_write2_b64 v1, v[146:147], v[148:149] offset0:34 offset1:35
	ds_write2_b64 v1, v[142:143], v[144:145] offset0:36 offset1:37
	;; [unrolled: 1-line block ×37, first 2 shown]
.LBB106_354:
	s_or_b32 exec_lo, exec_lo, s0
	s_mov_b32 s0, exec_lo
	s_waitcnt lgkmcnt(0)
	s_waitcnt_vscnt null, 0x0
	s_barrier
	buffer_gl0_inv
	v_cmpx_lt_i32_e32 16, v232
	s_cbranch_execz .LBB106_356
; %bb.355:
	v_mul_f64 v[222:223], v[220:221], v[152:153]
	v_mul_f64 v[152:153], v[218:219], v[152:153]
	v_fma_f64 v[226:227], v[218:219], v[150:151], -v[222:223]
	v_fma_f64 v[152:153], v[220:221], v[150:151], v[152:153]
	ds_read2_b64 v[218:221], v1 offset0:34 offset1:35
	s_waitcnt lgkmcnt(0)
	v_mul_f64 v[150:151], v[220:221], v[152:153]
	v_fma_f64 v[150:151], v[218:219], v[226:227], -v[150:151]
	v_mul_f64 v[218:219], v[218:219], v[152:153]
	v_add_f64 v[146:147], v[146:147], -v[150:151]
	v_fma_f64 v[218:219], v[220:221], v[226:227], v[218:219]
	v_add_f64 v[148:149], v[148:149], -v[218:219]
	ds_read2_b64 v[218:221], v1 offset0:36 offset1:37
	s_waitcnt lgkmcnt(0)
	v_mul_f64 v[150:151], v[220:221], v[152:153]
	v_fma_f64 v[150:151], v[218:219], v[226:227], -v[150:151]
	v_mul_f64 v[218:219], v[218:219], v[152:153]
	v_add_f64 v[142:143], v[142:143], -v[150:151]
	v_fma_f64 v[218:219], v[220:221], v[226:227], v[218:219]
	v_add_f64 v[144:145], v[144:145], -v[218:219]
	;; [unrolled: 8-line block ×36, first 2 shown]
	ds_read2_b64 v[218:221], v1 offset0:106 offset1:107
	s_waitcnt lgkmcnt(0)
	v_mul_f64 v[150:151], v[220:221], v[152:153]
	v_fma_f64 v[150:151], v[218:219], v[226:227], -v[150:151]
	v_mul_f64 v[218:219], v[218:219], v[152:153]
	v_add_f64 v[2:3], v[2:3], -v[150:151]
	v_fma_f64 v[218:219], v[220:221], v[226:227], v[218:219]
	v_mov_b32_e32 v150, v226
	v_mov_b32_e32 v151, v227
	v_add_f64 v[4:5], v[4:5], -v[218:219]
.LBB106_356:
	s_or_b32 exec_lo, exec_lo, s0
	v_lshl_add_u32 v218, v232, 4, v1
	s_barrier
	buffer_gl0_inv
	v_mov_b32_e32 v226, 17
	ds_write2_b64 v218, v[146:147], v[148:149] offset1:1
	s_waitcnt lgkmcnt(0)
	s_barrier
	buffer_gl0_inv
	ds_read2_b64 v[218:221], v1 offset0:34 offset1:35
	s_cmp_lt_i32 s8, 19
	s_cbranch_scc1 .LBB106_359
; %bb.357:
	v_add3_u32 v227, v228, 0, 0x120
	v_mov_b32_e32 v226, 17
	s_mov_b32 s1, 18
	s_inst_prefetch 0x1
	.p2align	6
.LBB106_358:                            ; =>This Inner Loop Header: Depth=1
	s_waitcnt lgkmcnt(0)
	v_cmp_gt_f64_e32 vcc_lo, 0, v[220:221]
	v_cmp_gt_f64_e64 s0, 0, v[218:219]
	ds_read2_b64 v[233:236], v227 offset1:1
	v_xor_b32_e32 v223, 0x80000000, v219
	v_xor_b32_e32 v225, 0x80000000, v221
	v_mov_b32_e32 v222, v218
	v_mov_b32_e32 v224, v220
	v_add_nc_u32_e32 v227, 16, v227
	s_waitcnt lgkmcnt(0)
	v_xor_b32_e32 v238, 0x80000000, v236
	v_cndmask_b32_e64 v223, v219, v223, s0
	v_cndmask_b32_e32 v225, v221, v225, vcc_lo
	v_cmp_gt_f64_e32 vcc_lo, 0, v[235:236]
	v_cmp_gt_f64_e64 s0, 0, v[233:234]
	v_mov_b32_e32 v237, v235
	v_add_f64 v[222:223], v[222:223], v[224:225]
	v_xor_b32_e32 v225, 0x80000000, v234
	v_mov_b32_e32 v224, v233
	v_cndmask_b32_e32 v238, v236, v238, vcc_lo
	v_cndmask_b32_e64 v225, v234, v225, s0
	v_add_f64 v[224:225], v[224:225], v[237:238]
	v_cmp_lt_f64_e32 vcc_lo, v[222:223], v[224:225]
	v_cndmask_b32_e32 v219, v219, v234, vcc_lo
	v_cndmask_b32_e32 v218, v218, v233, vcc_lo
	;; [unrolled: 1-line block ×4, first 2 shown]
	v_cndmask_b32_e64 v226, v226, s1, vcc_lo
	s_add_i32 s1, s1, 1
	s_cmp_lg_u32 s8, s1
	s_cbranch_scc1 .LBB106_358
.LBB106_359:
	s_inst_prefetch 0x2
	s_waitcnt lgkmcnt(0)
	v_cmp_eq_f64_e32 vcc_lo, 0, v[218:219]
	v_cmp_eq_f64_e64 s0, 0, v[220:221]
	s_and_b32 s0, vcc_lo, s0
	s_and_saveexec_b32 s1, s0
	s_xor_b32 s0, exec_lo, s1
; %bb.360:
	v_cmp_ne_u32_e32 vcc_lo, 0, v231
	v_cndmask_b32_e32 v231, 18, v231, vcc_lo
; %bb.361:
	s_andn2_saveexec_b32 s0, s0
	s_cbranch_execz .LBB106_367
; %bb.362:
	v_cmp_ngt_f64_e64 s1, |v[218:219]|, |v[220:221]|
	s_and_saveexec_b32 s7, s1
	s_xor_b32 s1, exec_lo, s7
	s_cbranch_execz .LBB106_364
; %bb.363:
	v_div_scale_f64 v[222:223], null, v[220:221], v[220:221], v[218:219]
	v_div_scale_f64 v[235:236], vcc_lo, v[218:219], v[220:221], v[218:219]
	v_rcp_f64_e32 v[224:225], v[222:223]
	v_fma_f64 v[233:234], -v[222:223], v[224:225], 1.0
	v_fma_f64 v[224:225], v[224:225], v[233:234], v[224:225]
	v_fma_f64 v[233:234], -v[222:223], v[224:225], 1.0
	v_fma_f64 v[224:225], v[224:225], v[233:234], v[224:225]
	v_mul_f64 v[233:234], v[235:236], v[224:225]
	v_fma_f64 v[222:223], -v[222:223], v[233:234], v[235:236]
	v_div_fmas_f64 v[222:223], v[222:223], v[224:225], v[233:234]
	v_div_fixup_f64 v[222:223], v[222:223], v[220:221], v[218:219]
	v_fma_f64 v[218:219], v[218:219], v[222:223], v[220:221]
	v_div_scale_f64 v[220:221], null, v[218:219], v[218:219], 1.0
	v_rcp_f64_e32 v[224:225], v[220:221]
	v_fma_f64 v[233:234], -v[220:221], v[224:225], 1.0
	v_fma_f64 v[224:225], v[224:225], v[233:234], v[224:225]
	v_fma_f64 v[233:234], -v[220:221], v[224:225], 1.0
	v_fma_f64 v[224:225], v[224:225], v[233:234], v[224:225]
	v_div_scale_f64 v[233:234], vcc_lo, 1.0, v[218:219], 1.0
	v_mul_f64 v[235:236], v[233:234], v[224:225]
	v_fma_f64 v[220:221], -v[220:221], v[235:236], v[233:234]
	v_div_fmas_f64 v[220:221], v[220:221], v[224:225], v[235:236]
	v_div_fixup_f64 v[220:221], v[220:221], v[218:219], 1.0
	v_mul_f64 v[218:219], v[222:223], v[220:221]
	v_xor_b32_e32 v221, 0x80000000, v221
.LBB106_364:
	s_andn2_saveexec_b32 s1, s1
	s_cbranch_execz .LBB106_366
; %bb.365:
	v_div_scale_f64 v[222:223], null, v[218:219], v[218:219], v[220:221]
	v_div_scale_f64 v[235:236], vcc_lo, v[220:221], v[218:219], v[220:221]
	v_rcp_f64_e32 v[224:225], v[222:223]
	v_fma_f64 v[233:234], -v[222:223], v[224:225], 1.0
	v_fma_f64 v[224:225], v[224:225], v[233:234], v[224:225]
	v_fma_f64 v[233:234], -v[222:223], v[224:225], 1.0
	v_fma_f64 v[224:225], v[224:225], v[233:234], v[224:225]
	v_mul_f64 v[233:234], v[235:236], v[224:225]
	v_fma_f64 v[222:223], -v[222:223], v[233:234], v[235:236]
	v_div_fmas_f64 v[222:223], v[222:223], v[224:225], v[233:234]
	v_div_fixup_f64 v[222:223], v[222:223], v[218:219], v[220:221]
	v_fma_f64 v[218:219], v[220:221], v[222:223], v[218:219]
	v_div_scale_f64 v[220:221], null, v[218:219], v[218:219], 1.0
	v_rcp_f64_e32 v[224:225], v[220:221]
	v_fma_f64 v[233:234], -v[220:221], v[224:225], 1.0
	v_fma_f64 v[224:225], v[224:225], v[233:234], v[224:225]
	v_fma_f64 v[233:234], -v[220:221], v[224:225], 1.0
	v_fma_f64 v[224:225], v[224:225], v[233:234], v[224:225]
	v_div_scale_f64 v[233:234], vcc_lo, 1.0, v[218:219], 1.0
	v_mul_f64 v[235:236], v[233:234], v[224:225]
	v_fma_f64 v[220:221], -v[220:221], v[235:236], v[233:234]
	v_div_fmas_f64 v[220:221], v[220:221], v[224:225], v[235:236]
	v_div_fixup_f64 v[218:219], v[220:221], v[218:219], 1.0
	v_mul_f64 v[220:221], v[222:223], -v[218:219]
.LBB106_366:
	s_or_b32 exec_lo, exec_lo, s1
.LBB106_367:
	s_or_b32 exec_lo, exec_lo, s0
	s_mov_b32 s0, exec_lo
	v_cmpx_ne_u32_e64 v232, v226
	s_xor_b32 s0, exec_lo, s0
	s_cbranch_execz .LBB106_373
; %bb.368:
	s_mov_b32 s1, exec_lo
	v_cmpx_eq_u32_e32 17, v232
	s_cbranch_execz .LBB106_372
; %bb.369:
	v_cmp_ne_u32_e32 vcc_lo, 17, v226
	s_xor_b32 s7, s16, -1
	s_and_b32 s9, s7, vcc_lo
	s_and_saveexec_b32 s7, s9
	s_cbranch_execz .LBB106_371
; %bb.370:
	s_clause 0x1
	buffer_load_dword v214, off, s[20:23], 0
	buffer_load_dword v215, off, s[20:23], 0 offset:4
	v_ashrrev_i32_e32 v227, 31, v226
	v_lshlrev_b64 v[222:223], 2, v[226:227]
	s_waitcnt vmcnt(1)
	v_add_co_u32 v222, vcc_lo, v214, v222
	s_waitcnt vmcnt(0)
	v_add_co_ci_u32_e64 v223, null, v215, v223, vcc_lo
	s_clause 0x1
	global_load_dword v0, v[222:223], off
	global_load_dword v224, v[214:215], off offset:68
	s_waitcnt vmcnt(1)
	global_store_dword v[214:215], v0, off offset:68
	s_waitcnt vmcnt(0)
	global_store_dword v[222:223], v224, off
.LBB106_371:
	s_or_b32 exec_lo, exec_lo, s7
	v_mov_b32_e32 v232, v226
	v_mov_b32_e32 v0, v226
.LBB106_372:
	s_or_b32 exec_lo, exec_lo, s1
.LBB106_373:
	s_andn2_saveexec_b32 s0, s0
	s_cbranch_execz .LBB106_375
; %bb.374:
	v_mov_b32_e32 v232, 17
	ds_write2_b64 v1, v[142:143], v[144:145] offset0:36 offset1:37
	ds_write2_b64 v1, v[138:139], v[140:141] offset0:38 offset1:39
	;; [unrolled: 1-line block ×36, first 2 shown]
.LBB106_375:
	s_or_b32 exec_lo, exec_lo, s0
	s_mov_b32 s0, exec_lo
	s_waitcnt lgkmcnt(0)
	s_waitcnt_vscnt null, 0x0
	s_barrier
	buffer_gl0_inv
	v_cmpx_lt_i32_e32 17, v232
	s_cbranch_execz .LBB106_377
; %bb.376:
	v_mul_f64 v[222:223], v[220:221], v[148:149]
	v_mul_f64 v[148:149], v[218:219], v[148:149]
	v_fma_f64 v[226:227], v[218:219], v[146:147], -v[222:223]
	v_fma_f64 v[148:149], v[220:221], v[146:147], v[148:149]
	ds_read2_b64 v[218:221], v1 offset0:36 offset1:37
	s_waitcnt lgkmcnt(0)
	v_mul_f64 v[146:147], v[220:221], v[148:149]
	v_fma_f64 v[146:147], v[218:219], v[226:227], -v[146:147]
	v_mul_f64 v[218:219], v[218:219], v[148:149]
	v_add_f64 v[142:143], v[142:143], -v[146:147]
	v_fma_f64 v[218:219], v[220:221], v[226:227], v[218:219]
	v_add_f64 v[144:145], v[144:145], -v[218:219]
	ds_read2_b64 v[218:221], v1 offset0:38 offset1:39
	s_waitcnt lgkmcnt(0)
	v_mul_f64 v[146:147], v[220:221], v[148:149]
	v_fma_f64 v[146:147], v[218:219], v[226:227], -v[146:147]
	v_mul_f64 v[218:219], v[218:219], v[148:149]
	v_add_f64 v[138:139], v[138:139], -v[146:147]
	v_fma_f64 v[218:219], v[220:221], v[226:227], v[218:219]
	v_add_f64 v[140:141], v[140:141], -v[218:219]
	;; [unrolled: 8-line block ×35, first 2 shown]
	ds_read2_b64 v[218:221], v1 offset0:106 offset1:107
	s_waitcnt lgkmcnt(0)
	v_mul_f64 v[146:147], v[220:221], v[148:149]
	v_fma_f64 v[146:147], v[218:219], v[226:227], -v[146:147]
	v_mul_f64 v[218:219], v[218:219], v[148:149]
	v_add_f64 v[2:3], v[2:3], -v[146:147]
	v_fma_f64 v[218:219], v[220:221], v[226:227], v[218:219]
	v_mov_b32_e32 v146, v226
	v_mov_b32_e32 v147, v227
	v_add_f64 v[4:5], v[4:5], -v[218:219]
.LBB106_377:
	s_or_b32 exec_lo, exec_lo, s0
	v_lshl_add_u32 v218, v232, 4, v1
	s_barrier
	buffer_gl0_inv
	v_mov_b32_e32 v226, 18
	ds_write2_b64 v218, v[142:143], v[144:145] offset1:1
	s_waitcnt lgkmcnt(0)
	s_barrier
	buffer_gl0_inv
	ds_read2_b64 v[218:221], v1 offset0:36 offset1:37
	s_cmp_lt_i32 s8, 20
	s_cbranch_scc1 .LBB106_380
; %bb.378:
	v_add3_u32 v227, v228, 0, 0x130
	v_mov_b32_e32 v226, 18
	s_mov_b32 s1, 19
	s_inst_prefetch 0x1
	.p2align	6
.LBB106_379:                            ; =>This Inner Loop Header: Depth=1
	s_waitcnt lgkmcnt(0)
	v_cmp_gt_f64_e32 vcc_lo, 0, v[220:221]
	v_cmp_gt_f64_e64 s0, 0, v[218:219]
	ds_read2_b64 v[233:236], v227 offset1:1
	v_xor_b32_e32 v223, 0x80000000, v219
	v_xor_b32_e32 v225, 0x80000000, v221
	v_mov_b32_e32 v222, v218
	v_mov_b32_e32 v224, v220
	v_add_nc_u32_e32 v227, 16, v227
	s_waitcnt lgkmcnt(0)
	v_xor_b32_e32 v238, 0x80000000, v236
	v_cndmask_b32_e64 v223, v219, v223, s0
	v_cndmask_b32_e32 v225, v221, v225, vcc_lo
	v_cmp_gt_f64_e32 vcc_lo, 0, v[235:236]
	v_cmp_gt_f64_e64 s0, 0, v[233:234]
	v_mov_b32_e32 v237, v235
	v_add_f64 v[222:223], v[222:223], v[224:225]
	v_xor_b32_e32 v225, 0x80000000, v234
	v_mov_b32_e32 v224, v233
	v_cndmask_b32_e32 v238, v236, v238, vcc_lo
	v_cndmask_b32_e64 v225, v234, v225, s0
	v_add_f64 v[224:225], v[224:225], v[237:238]
	v_cmp_lt_f64_e32 vcc_lo, v[222:223], v[224:225]
	v_cndmask_b32_e32 v219, v219, v234, vcc_lo
	v_cndmask_b32_e32 v218, v218, v233, vcc_lo
	;; [unrolled: 1-line block ×4, first 2 shown]
	v_cndmask_b32_e64 v226, v226, s1, vcc_lo
	s_add_i32 s1, s1, 1
	s_cmp_lg_u32 s8, s1
	s_cbranch_scc1 .LBB106_379
.LBB106_380:
	s_inst_prefetch 0x2
	s_waitcnt lgkmcnt(0)
	v_cmp_eq_f64_e32 vcc_lo, 0, v[218:219]
	v_cmp_eq_f64_e64 s0, 0, v[220:221]
	s_and_b32 s0, vcc_lo, s0
	s_and_saveexec_b32 s1, s0
	s_xor_b32 s0, exec_lo, s1
; %bb.381:
	v_cmp_ne_u32_e32 vcc_lo, 0, v231
	v_cndmask_b32_e32 v231, 19, v231, vcc_lo
; %bb.382:
	s_andn2_saveexec_b32 s0, s0
	s_cbranch_execz .LBB106_388
; %bb.383:
	v_cmp_ngt_f64_e64 s1, |v[218:219]|, |v[220:221]|
	s_and_saveexec_b32 s7, s1
	s_xor_b32 s1, exec_lo, s7
	s_cbranch_execz .LBB106_385
; %bb.384:
	v_div_scale_f64 v[222:223], null, v[220:221], v[220:221], v[218:219]
	v_div_scale_f64 v[235:236], vcc_lo, v[218:219], v[220:221], v[218:219]
	v_rcp_f64_e32 v[224:225], v[222:223]
	v_fma_f64 v[233:234], -v[222:223], v[224:225], 1.0
	v_fma_f64 v[224:225], v[224:225], v[233:234], v[224:225]
	v_fma_f64 v[233:234], -v[222:223], v[224:225], 1.0
	v_fma_f64 v[224:225], v[224:225], v[233:234], v[224:225]
	v_mul_f64 v[233:234], v[235:236], v[224:225]
	v_fma_f64 v[222:223], -v[222:223], v[233:234], v[235:236]
	v_div_fmas_f64 v[222:223], v[222:223], v[224:225], v[233:234]
	v_div_fixup_f64 v[222:223], v[222:223], v[220:221], v[218:219]
	v_fma_f64 v[218:219], v[218:219], v[222:223], v[220:221]
	v_div_scale_f64 v[220:221], null, v[218:219], v[218:219], 1.0
	v_rcp_f64_e32 v[224:225], v[220:221]
	v_fma_f64 v[233:234], -v[220:221], v[224:225], 1.0
	v_fma_f64 v[224:225], v[224:225], v[233:234], v[224:225]
	v_fma_f64 v[233:234], -v[220:221], v[224:225], 1.0
	v_fma_f64 v[224:225], v[224:225], v[233:234], v[224:225]
	v_div_scale_f64 v[233:234], vcc_lo, 1.0, v[218:219], 1.0
	v_mul_f64 v[235:236], v[233:234], v[224:225]
	v_fma_f64 v[220:221], -v[220:221], v[235:236], v[233:234]
	v_div_fmas_f64 v[220:221], v[220:221], v[224:225], v[235:236]
	v_div_fixup_f64 v[220:221], v[220:221], v[218:219], 1.0
	v_mul_f64 v[218:219], v[222:223], v[220:221]
	v_xor_b32_e32 v221, 0x80000000, v221
.LBB106_385:
	s_andn2_saveexec_b32 s1, s1
	s_cbranch_execz .LBB106_387
; %bb.386:
	v_div_scale_f64 v[222:223], null, v[218:219], v[218:219], v[220:221]
	v_div_scale_f64 v[235:236], vcc_lo, v[220:221], v[218:219], v[220:221]
	v_rcp_f64_e32 v[224:225], v[222:223]
	v_fma_f64 v[233:234], -v[222:223], v[224:225], 1.0
	v_fma_f64 v[224:225], v[224:225], v[233:234], v[224:225]
	v_fma_f64 v[233:234], -v[222:223], v[224:225], 1.0
	v_fma_f64 v[224:225], v[224:225], v[233:234], v[224:225]
	v_mul_f64 v[233:234], v[235:236], v[224:225]
	v_fma_f64 v[222:223], -v[222:223], v[233:234], v[235:236]
	v_div_fmas_f64 v[222:223], v[222:223], v[224:225], v[233:234]
	v_div_fixup_f64 v[222:223], v[222:223], v[218:219], v[220:221]
	v_fma_f64 v[218:219], v[220:221], v[222:223], v[218:219]
	v_div_scale_f64 v[220:221], null, v[218:219], v[218:219], 1.0
	v_rcp_f64_e32 v[224:225], v[220:221]
	v_fma_f64 v[233:234], -v[220:221], v[224:225], 1.0
	v_fma_f64 v[224:225], v[224:225], v[233:234], v[224:225]
	v_fma_f64 v[233:234], -v[220:221], v[224:225], 1.0
	v_fma_f64 v[224:225], v[224:225], v[233:234], v[224:225]
	v_div_scale_f64 v[233:234], vcc_lo, 1.0, v[218:219], 1.0
	v_mul_f64 v[235:236], v[233:234], v[224:225]
	v_fma_f64 v[220:221], -v[220:221], v[235:236], v[233:234]
	v_div_fmas_f64 v[220:221], v[220:221], v[224:225], v[235:236]
	v_div_fixup_f64 v[218:219], v[220:221], v[218:219], 1.0
	v_mul_f64 v[220:221], v[222:223], -v[218:219]
.LBB106_387:
	s_or_b32 exec_lo, exec_lo, s1
.LBB106_388:
	s_or_b32 exec_lo, exec_lo, s0
	s_mov_b32 s0, exec_lo
	v_cmpx_ne_u32_e64 v232, v226
	s_xor_b32 s0, exec_lo, s0
	s_cbranch_execz .LBB106_394
; %bb.389:
	s_mov_b32 s1, exec_lo
	v_cmpx_eq_u32_e32 18, v232
	s_cbranch_execz .LBB106_393
; %bb.390:
	v_cmp_ne_u32_e32 vcc_lo, 18, v226
	s_xor_b32 s7, s16, -1
	s_and_b32 s9, s7, vcc_lo
	s_and_saveexec_b32 s7, s9
	s_cbranch_execz .LBB106_392
; %bb.391:
	s_clause 0x1
	buffer_load_dword v214, off, s[20:23], 0
	buffer_load_dword v215, off, s[20:23], 0 offset:4
	v_ashrrev_i32_e32 v227, 31, v226
	v_lshlrev_b64 v[222:223], 2, v[226:227]
	s_waitcnt vmcnt(1)
	v_add_co_u32 v222, vcc_lo, v214, v222
	s_waitcnt vmcnt(0)
	v_add_co_ci_u32_e64 v223, null, v215, v223, vcc_lo
	s_clause 0x1
	global_load_dword v0, v[222:223], off
	global_load_dword v224, v[214:215], off offset:72
	s_waitcnt vmcnt(1)
	global_store_dword v[214:215], v0, off offset:72
	s_waitcnt vmcnt(0)
	global_store_dword v[222:223], v224, off
.LBB106_392:
	s_or_b32 exec_lo, exec_lo, s7
	v_mov_b32_e32 v232, v226
	v_mov_b32_e32 v0, v226
.LBB106_393:
	s_or_b32 exec_lo, exec_lo, s1
.LBB106_394:
	s_andn2_saveexec_b32 s0, s0
	s_cbranch_execz .LBB106_396
; %bb.395:
	v_mov_b32_e32 v232, 18
	ds_write2_b64 v1, v[138:139], v[140:141] offset0:38 offset1:39
	ds_write2_b64 v1, v[134:135], v[136:137] offset0:40 offset1:41
	;; [unrolled: 1-line block ×35, first 2 shown]
.LBB106_396:
	s_or_b32 exec_lo, exec_lo, s0
	s_mov_b32 s0, exec_lo
	s_waitcnt lgkmcnt(0)
	s_waitcnt_vscnt null, 0x0
	s_barrier
	buffer_gl0_inv
	v_cmpx_lt_i32_e32 18, v232
	s_cbranch_execz .LBB106_398
; %bb.397:
	v_mul_f64 v[222:223], v[220:221], v[144:145]
	v_mul_f64 v[144:145], v[218:219], v[144:145]
	v_fma_f64 v[226:227], v[218:219], v[142:143], -v[222:223]
	v_fma_f64 v[144:145], v[220:221], v[142:143], v[144:145]
	ds_read2_b64 v[218:221], v1 offset0:38 offset1:39
	s_waitcnt lgkmcnt(0)
	v_mul_f64 v[142:143], v[220:221], v[144:145]
	v_fma_f64 v[142:143], v[218:219], v[226:227], -v[142:143]
	v_mul_f64 v[218:219], v[218:219], v[144:145]
	v_add_f64 v[138:139], v[138:139], -v[142:143]
	v_fma_f64 v[218:219], v[220:221], v[226:227], v[218:219]
	v_add_f64 v[140:141], v[140:141], -v[218:219]
	ds_read2_b64 v[218:221], v1 offset0:40 offset1:41
	s_waitcnt lgkmcnt(0)
	v_mul_f64 v[142:143], v[220:221], v[144:145]
	v_fma_f64 v[142:143], v[218:219], v[226:227], -v[142:143]
	v_mul_f64 v[218:219], v[218:219], v[144:145]
	v_add_f64 v[134:135], v[134:135], -v[142:143]
	v_fma_f64 v[218:219], v[220:221], v[226:227], v[218:219]
	v_add_f64 v[136:137], v[136:137], -v[218:219]
	;; [unrolled: 8-line block ×34, first 2 shown]
	ds_read2_b64 v[218:221], v1 offset0:106 offset1:107
	s_waitcnt lgkmcnt(0)
	v_mul_f64 v[142:143], v[220:221], v[144:145]
	v_fma_f64 v[142:143], v[218:219], v[226:227], -v[142:143]
	v_mul_f64 v[218:219], v[218:219], v[144:145]
	v_add_f64 v[2:3], v[2:3], -v[142:143]
	v_fma_f64 v[218:219], v[220:221], v[226:227], v[218:219]
	v_mov_b32_e32 v142, v226
	v_mov_b32_e32 v143, v227
	v_add_f64 v[4:5], v[4:5], -v[218:219]
.LBB106_398:
	s_or_b32 exec_lo, exec_lo, s0
	v_lshl_add_u32 v218, v232, 4, v1
	s_barrier
	buffer_gl0_inv
	v_mov_b32_e32 v226, 19
	ds_write2_b64 v218, v[138:139], v[140:141] offset1:1
	s_waitcnt lgkmcnt(0)
	s_barrier
	buffer_gl0_inv
	ds_read2_b64 v[218:221], v1 offset0:38 offset1:39
	s_cmp_lt_i32 s8, 21
	s_cbranch_scc1 .LBB106_401
; %bb.399:
	v_add3_u32 v227, v228, 0, 0x140
	v_mov_b32_e32 v226, 19
	s_mov_b32 s1, 20
	s_inst_prefetch 0x1
	.p2align	6
.LBB106_400:                            ; =>This Inner Loop Header: Depth=1
	s_waitcnt lgkmcnt(0)
	v_cmp_gt_f64_e32 vcc_lo, 0, v[220:221]
	v_cmp_gt_f64_e64 s0, 0, v[218:219]
	ds_read2_b64 v[233:236], v227 offset1:1
	v_xor_b32_e32 v223, 0x80000000, v219
	v_xor_b32_e32 v225, 0x80000000, v221
	v_mov_b32_e32 v222, v218
	v_mov_b32_e32 v224, v220
	v_add_nc_u32_e32 v227, 16, v227
	s_waitcnt lgkmcnt(0)
	v_xor_b32_e32 v238, 0x80000000, v236
	v_cndmask_b32_e64 v223, v219, v223, s0
	v_cndmask_b32_e32 v225, v221, v225, vcc_lo
	v_cmp_gt_f64_e32 vcc_lo, 0, v[235:236]
	v_cmp_gt_f64_e64 s0, 0, v[233:234]
	v_mov_b32_e32 v237, v235
	v_add_f64 v[222:223], v[222:223], v[224:225]
	v_xor_b32_e32 v225, 0x80000000, v234
	v_mov_b32_e32 v224, v233
	v_cndmask_b32_e32 v238, v236, v238, vcc_lo
	v_cndmask_b32_e64 v225, v234, v225, s0
	v_add_f64 v[224:225], v[224:225], v[237:238]
	v_cmp_lt_f64_e32 vcc_lo, v[222:223], v[224:225]
	v_cndmask_b32_e32 v219, v219, v234, vcc_lo
	v_cndmask_b32_e32 v218, v218, v233, vcc_lo
	;; [unrolled: 1-line block ×4, first 2 shown]
	v_cndmask_b32_e64 v226, v226, s1, vcc_lo
	s_add_i32 s1, s1, 1
	s_cmp_lg_u32 s8, s1
	s_cbranch_scc1 .LBB106_400
.LBB106_401:
	s_inst_prefetch 0x2
	s_waitcnt lgkmcnt(0)
	v_cmp_eq_f64_e32 vcc_lo, 0, v[218:219]
	v_cmp_eq_f64_e64 s0, 0, v[220:221]
	s_and_b32 s0, vcc_lo, s0
	s_and_saveexec_b32 s1, s0
	s_xor_b32 s0, exec_lo, s1
; %bb.402:
	v_cmp_ne_u32_e32 vcc_lo, 0, v231
	v_cndmask_b32_e32 v231, 20, v231, vcc_lo
; %bb.403:
	s_andn2_saveexec_b32 s0, s0
	s_cbranch_execz .LBB106_409
; %bb.404:
	v_cmp_ngt_f64_e64 s1, |v[218:219]|, |v[220:221]|
	s_and_saveexec_b32 s7, s1
	s_xor_b32 s1, exec_lo, s7
	s_cbranch_execz .LBB106_406
; %bb.405:
	v_div_scale_f64 v[222:223], null, v[220:221], v[220:221], v[218:219]
	v_div_scale_f64 v[235:236], vcc_lo, v[218:219], v[220:221], v[218:219]
	v_rcp_f64_e32 v[224:225], v[222:223]
	v_fma_f64 v[233:234], -v[222:223], v[224:225], 1.0
	v_fma_f64 v[224:225], v[224:225], v[233:234], v[224:225]
	v_fma_f64 v[233:234], -v[222:223], v[224:225], 1.0
	v_fma_f64 v[224:225], v[224:225], v[233:234], v[224:225]
	v_mul_f64 v[233:234], v[235:236], v[224:225]
	v_fma_f64 v[222:223], -v[222:223], v[233:234], v[235:236]
	v_div_fmas_f64 v[222:223], v[222:223], v[224:225], v[233:234]
	v_div_fixup_f64 v[222:223], v[222:223], v[220:221], v[218:219]
	v_fma_f64 v[218:219], v[218:219], v[222:223], v[220:221]
	v_div_scale_f64 v[220:221], null, v[218:219], v[218:219], 1.0
	v_rcp_f64_e32 v[224:225], v[220:221]
	v_fma_f64 v[233:234], -v[220:221], v[224:225], 1.0
	v_fma_f64 v[224:225], v[224:225], v[233:234], v[224:225]
	v_fma_f64 v[233:234], -v[220:221], v[224:225], 1.0
	v_fma_f64 v[224:225], v[224:225], v[233:234], v[224:225]
	v_div_scale_f64 v[233:234], vcc_lo, 1.0, v[218:219], 1.0
	v_mul_f64 v[235:236], v[233:234], v[224:225]
	v_fma_f64 v[220:221], -v[220:221], v[235:236], v[233:234]
	v_div_fmas_f64 v[220:221], v[220:221], v[224:225], v[235:236]
	v_div_fixup_f64 v[220:221], v[220:221], v[218:219], 1.0
	v_mul_f64 v[218:219], v[222:223], v[220:221]
	v_xor_b32_e32 v221, 0x80000000, v221
.LBB106_406:
	s_andn2_saveexec_b32 s1, s1
	s_cbranch_execz .LBB106_408
; %bb.407:
	v_div_scale_f64 v[222:223], null, v[218:219], v[218:219], v[220:221]
	v_div_scale_f64 v[235:236], vcc_lo, v[220:221], v[218:219], v[220:221]
	v_rcp_f64_e32 v[224:225], v[222:223]
	v_fma_f64 v[233:234], -v[222:223], v[224:225], 1.0
	v_fma_f64 v[224:225], v[224:225], v[233:234], v[224:225]
	v_fma_f64 v[233:234], -v[222:223], v[224:225], 1.0
	v_fma_f64 v[224:225], v[224:225], v[233:234], v[224:225]
	v_mul_f64 v[233:234], v[235:236], v[224:225]
	v_fma_f64 v[222:223], -v[222:223], v[233:234], v[235:236]
	v_div_fmas_f64 v[222:223], v[222:223], v[224:225], v[233:234]
	v_div_fixup_f64 v[222:223], v[222:223], v[218:219], v[220:221]
	v_fma_f64 v[218:219], v[220:221], v[222:223], v[218:219]
	v_div_scale_f64 v[220:221], null, v[218:219], v[218:219], 1.0
	v_rcp_f64_e32 v[224:225], v[220:221]
	v_fma_f64 v[233:234], -v[220:221], v[224:225], 1.0
	v_fma_f64 v[224:225], v[224:225], v[233:234], v[224:225]
	v_fma_f64 v[233:234], -v[220:221], v[224:225], 1.0
	v_fma_f64 v[224:225], v[224:225], v[233:234], v[224:225]
	v_div_scale_f64 v[233:234], vcc_lo, 1.0, v[218:219], 1.0
	v_mul_f64 v[235:236], v[233:234], v[224:225]
	v_fma_f64 v[220:221], -v[220:221], v[235:236], v[233:234]
	v_div_fmas_f64 v[220:221], v[220:221], v[224:225], v[235:236]
	v_div_fixup_f64 v[218:219], v[220:221], v[218:219], 1.0
	v_mul_f64 v[220:221], v[222:223], -v[218:219]
.LBB106_408:
	s_or_b32 exec_lo, exec_lo, s1
.LBB106_409:
	s_or_b32 exec_lo, exec_lo, s0
	s_mov_b32 s0, exec_lo
	v_cmpx_ne_u32_e64 v232, v226
	s_xor_b32 s0, exec_lo, s0
	s_cbranch_execz .LBB106_415
; %bb.410:
	s_mov_b32 s1, exec_lo
	v_cmpx_eq_u32_e32 19, v232
	s_cbranch_execz .LBB106_414
; %bb.411:
	v_cmp_ne_u32_e32 vcc_lo, 19, v226
	s_xor_b32 s7, s16, -1
	s_and_b32 s9, s7, vcc_lo
	s_and_saveexec_b32 s7, s9
	s_cbranch_execz .LBB106_413
; %bb.412:
	s_clause 0x1
	buffer_load_dword v214, off, s[20:23], 0
	buffer_load_dword v215, off, s[20:23], 0 offset:4
	v_ashrrev_i32_e32 v227, 31, v226
	v_lshlrev_b64 v[222:223], 2, v[226:227]
	s_waitcnt vmcnt(1)
	v_add_co_u32 v222, vcc_lo, v214, v222
	s_waitcnt vmcnt(0)
	v_add_co_ci_u32_e64 v223, null, v215, v223, vcc_lo
	s_clause 0x1
	global_load_dword v0, v[222:223], off
	global_load_dword v224, v[214:215], off offset:76
	s_waitcnt vmcnt(1)
	global_store_dword v[214:215], v0, off offset:76
	s_waitcnt vmcnt(0)
	global_store_dword v[222:223], v224, off
.LBB106_413:
	s_or_b32 exec_lo, exec_lo, s7
	v_mov_b32_e32 v232, v226
	v_mov_b32_e32 v0, v226
.LBB106_414:
	s_or_b32 exec_lo, exec_lo, s1
.LBB106_415:
	s_andn2_saveexec_b32 s0, s0
	s_cbranch_execz .LBB106_417
; %bb.416:
	v_mov_b32_e32 v232, 19
	ds_write2_b64 v1, v[134:135], v[136:137] offset0:40 offset1:41
	ds_write2_b64 v1, v[130:131], v[132:133] offset0:42 offset1:43
	;; [unrolled: 1-line block ×34, first 2 shown]
.LBB106_417:
	s_or_b32 exec_lo, exec_lo, s0
	s_mov_b32 s0, exec_lo
	s_waitcnt lgkmcnt(0)
	s_waitcnt_vscnt null, 0x0
	s_barrier
	buffer_gl0_inv
	v_cmpx_lt_i32_e32 19, v232
	s_cbranch_execz .LBB106_419
; %bb.418:
	v_mul_f64 v[222:223], v[220:221], v[140:141]
	v_mul_f64 v[140:141], v[218:219], v[140:141]
	v_fma_f64 v[226:227], v[218:219], v[138:139], -v[222:223]
	v_fma_f64 v[140:141], v[220:221], v[138:139], v[140:141]
	ds_read2_b64 v[218:221], v1 offset0:40 offset1:41
	s_waitcnt lgkmcnt(0)
	v_mul_f64 v[138:139], v[220:221], v[140:141]
	v_fma_f64 v[138:139], v[218:219], v[226:227], -v[138:139]
	v_mul_f64 v[218:219], v[218:219], v[140:141]
	v_add_f64 v[134:135], v[134:135], -v[138:139]
	v_fma_f64 v[218:219], v[220:221], v[226:227], v[218:219]
	v_add_f64 v[136:137], v[136:137], -v[218:219]
	ds_read2_b64 v[218:221], v1 offset0:42 offset1:43
	s_waitcnt lgkmcnt(0)
	v_mul_f64 v[138:139], v[220:221], v[140:141]
	v_fma_f64 v[138:139], v[218:219], v[226:227], -v[138:139]
	v_mul_f64 v[218:219], v[218:219], v[140:141]
	v_add_f64 v[130:131], v[130:131], -v[138:139]
	v_fma_f64 v[218:219], v[220:221], v[226:227], v[218:219]
	v_add_f64 v[132:133], v[132:133], -v[218:219]
	;; [unrolled: 8-line block ×33, first 2 shown]
	ds_read2_b64 v[218:221], v1 offset0:106 offset1:107
	s_waitcnt lgkmcnt(0)
	v_mul_f64 v[138:139], v[220:221], v[140:141]
	v_fma_f64 v[138:139], v[218:219], v[226:227], -v[138:139]
	v_mul_f64 v[218:219], v[218:219], v[140:141]
	v_add_f64 v[2:3], v[2:3], -v[138:139]
	v_fma_f64 v[218:219], v[220:221], v[226:227], v[218:219]
	v_mov_b32_e32 v138, v226
	v_mov_b32_e32 v139, v227
	v_add_f64 v[4:5], v[4:5], -v[218:219]
.LBB106_419:
	s_or_b32 exec_lo, exec_lo, s0
	v_lshl_add_u32 v218, v232, 4, v1
	s_barrier
	buffer_gl0_inv
	v_mov_b32_e32 v226, 20
	ds_write2_b64 v218, v[134:135], v[136:137] offset1:1
	s_waitcnt lgkmcnt(0)
	s_barrier
	buffer_gl0_inv
	ds_read2_b64 v[218:221], v1 offset0:40 offset1:41
	s_cmp_lt_i32 s8, 22
	s_cbranch_scc1 .LBB106_422
; %bb.420:
	v_add3_u32 v227, v228, 0, 0x150
	v_mov_b32_e32 v226, 20
	s_mov_b32 s1, 21
	s_inst_prefetch 0x1
	.p2align	6
.LBB106_421:                            ; =>This Inner Loop Header: Depth=1
	s_waitcnt lgkmcnt(0)
	v_cmp_gt_f64_e32 vcc_lo, 0, v[220:221]
	v_cmp_gt_f64_e64 s0, 0, v[218:219]
	ds_read2_b64 v[233:236], v227 offset1:1
	v_xor_b32_e32 v223, 0x80000000, v219
	v_xor_b32_e32 v225, 0x80000000, v221
	v_mov_b32_e32 v222, v218
	v_mov_b32_e32 v224, v220
	v_add_nc_u32_e32 v227, 16, v227
	s_waitcnt lgkmcnt(0)
	v_xor_b32_e32 v238, 0x80000000, v236
	v_cndmask_b32_e64 v223, v219, v223, s0
	v_cndmask_b32_e32 v225, v221, v225, vcc_lo
	v_cmp_gt_f64_e32 vcc_lo, 0, v[235:236]
	v_cmp_gt_f64_e64 s0, 0, v[233:234]
	v_mov_b32_e32 v237, v235
	v_add_f64 v[222:223], v[222:223], v[224:225]
	v_xor_b32_e32 v225, 0x80000000, v234
	v_mov_b32_e32 v224, v233
	v_cndmask_b32_e32 v238, v236, v238, vcc_lo
	v_cndmask_b32_e64 v225, v234, v225, s0
	v_add_f64 v[224:225], v[224:225], v[237:238]
	v_cmp_lt_f64_e32 vcc_lo, v[222:223], v[224:225]
	v_cndmask_b32_e32 v219, v219, v234, vcc_lo
	v_cndmask_b32_e32 v218, v218, v233, vcc_lo
	;; [unrolled: 1-line block ×4, first 2 shown]
	v_cndmask_b32_e64 v226, v226, s1, vcc_lo
	s_add_i32 s1, s1, 1
	s_cmp_lg_u32 s8, s1
	s_cbranch_scc1 .LBB106_421
.LBB106_422:
	s_inst_prefetch 0x2
	s_waitcnt lgkmcnt(0)
	v_cmp_eq_f64_e32 vcc_lo, 0, v[218:219]
	v_cmp_eq_f64_e64 s0, 0, v[220:221]
	s_and_b32 s0, vcc_lo, s0
	s_and_saveexec_b32 s1, s0
	s_xor_b32 s0, exec_lo, s1
; %bb.423:
	v_cmp_ne_u32_e32 vcc_lo, 0, v231
	v_cndmask_b32_e32 v231, 21, v231, vcc_lo
; %bb.424:
	s_andn2_saveexec_b32 s0, s0
	s_cbranch_execz .LBB106_430
; %bb.425:
	v_cmp_ngt_f64_e64 s1, |v[218:219]|, |v[220:221]|
	s_and_saveexec_b32 s7, s1
	s_xor_b32 s1, exec_lo, s7
	s_cbranch_execz .LBB106_427
; %bb.426:
	v_div_scale_f64 v[222:223], null, v[220:221], v[220:221], v[218:219]
	v_div_scale_f64 v[235:236], vcc_lo, v[218:219], v[220:221], v[218:219]
	v_rcp_f64_e32 v[224:225], v[222:223]
	v_fma_f64 v[233:234], -v[222:223], v[224:225], 1.0
	v_fma_f64 v[224:225], v[224:225], v[233:234], v[224:225]
	v_fma_f64 v[233:234], -v[222:223], v[224:225], 1.0
	v_fma_f64 v[224:225], v[224:225], v[233:234], v[224:225]
	v_mul_f64 v[233:234], v[235:236], v[224:225]
	v_fma_f64 v[222:223], -v[222:223], v[233:234], v[235:236]
	v_div_fmas_f64 v[222:223], v[222:223], v[224:225], v[233:234]
	v_div_fixup_f64 v[222:223], v[222:223], v[220:221], v[218:219]
	v_fma_f64 v[218:219], v[218:219], v[222:223], v[220:221]
	v_div_scale_f64 v[220:221], null, v[218:219], v[218:219], 1.0
	v_rcp_f64_e32 v[224:225], v[220:221]
	v_fma_f64 v[233:234], -v[220:221], v[224:225], 1.0
	v_fma_f64 v[224:225], v[224:225], v[233:234], v[224:225]
	v_fma_f64 v[233:234], -v[220:221], v[224:225], 1.0
	v_fma_f64 v[224:225], v[224:225], v[233:234], v[224:225]
	v_div_scale_f64 v[233:234], vcc_lo, 1.0, v[218:219], 1.0
	v_mul_f64 v[235:236], v[233:234], v[224:225]
	v_fma_f64 v[220:221], -v[220:221], v[235:236], v[233:234]
	v_div_fmas_f64 v[220:221], v[220:221], v[224:225], v[235:236]
	v_div_fixup_f64 v[220:221], v[220:221], v[218:219], 1.0
	v_mul_f64 v[218:219], v[222:223], v[220:221]
	v_xor_b32_e32 v221, 0x80000000, v221
.LBB106_427:
	s_andn2_saveexec_b32 s1, s1
	s_cbranch_execz .LBB106_429
; %bb.428:
	v_div_scale_f64 v[222:223], null, v[218:219], v[218:219], v[220:221]
	v_div_scale_f64 v[235:236], vcc_lo, v[220:221], v[218:219], v[220:221]
	v_rcp_f64_e32 v[224:225], v[222:223]
	v_fma_f64 v[233:234], -v[222:223], v[224:225], 1.0
	v_fma_f64 v[224:225], v[224:225], v[233:234], v[224:225]
	v_fma_f64 v[233:234], -v[222:223], v[224:225], 1.0
	v_fma_f64 v[224:225], v[224:225], v[233:234], v[224:225]
	v_mul_f64 v[233:234], v[235:236], v[224:225]
	v_fma_f64 v[222:223], -v[222:223], v[233:234], v[235:236]
	v_div_fmas_f64 v[222:223], v[222:223], v[224:225], v[233:234]
	v_div_fixup_f64 v[222:223], v[222:223], v[218:219], v[220:221]
	v_fma_f64 v[218:219], v[220:221], v[222:223], v[218:219]
	v_div_scale_f64 v[220:221], null, v[218:219], v[218:219], 1.0
	v_rcp_f64_e32 v[224:225], v[220:221]
	v_fma_f64 v[233:234], -v[220:221], v[224:225], 1.0
	v_fma_f64 v[224:225], v[224:225], v[233:234], v[224:225]
	v_fma_f64 v[233:234], -v[220:221], v[224:225], 1.0
	v_fma_f64 v[224:225], v[224:225], v[233:234], v[224:225]
	v_div_scale_f64 v[233:234], vcc_lo, 1.0, v[218:219], 1.0
	v_mul_f64 v[235:236], v[233:234], v[224:225]
	v_fma_f64 v[220:221], -v[220:221], v[235:236], v[233:234]
	v_div_fmas_f64 v[220:221], v[220:221], v[224:225], v[235:236]
	v_div_fixup_f64 v[218:219], v[220:221], v[218:219], 1.0
	v_mul_f64 v[220:221], v[222:223], -v[218:219]
.LBB106_429:
	s_or_b32 exec_lo, exec_lo, s1
.LBB106_430:
	s_or_b32 exec_lo, exec_lo, s0
	s_mov_b32 s0, exec_lo
	v_cmpx_ne_u32_e64 v232, v226
	s_xor_b32 s0, exec_lo, s0
	s_cbranch_execz .LBB106_436
; %bb.431:
	s_mov_b32 s1, exec_lo
	v_cmpx_eq_u32_e32 20, v232
	s_cbranch_execz .LBB106_435
; %bb.432:
	v_cmp_ne_u32_e32 vcc_lo, 20, v226
	s_xor_b32 s7, s16, -1
	s_and_b32 s9, s7, vcc_lo
	s_and_saveexec_b32 s7, s9
	s_cbranch_execz .LBB106_434
; %bb.433:
	s_clause 0x1
	buffer_load_dword v214, off, s[20:23], 0
	buffer_load_dword v215, off, s[20:23], 0 offset:4
	v_ashrrev_i32_e32 v227, 31, v226
	v_lshlrev_b64 v[222:223], 2, v[226:227]
	s_waitcnt vmcnt(1)
	v_add_co_u32 v222, vcc_lo, v214, v222
	s_waitcnt vmcnt(0)
	v_add_co_ci_u32_e64 v223, null, v215, v223, vcc_lo
	s_clause 0x1
	global_load_dword v0, v[222:223], off
	global_load_dword v224, v[214:215], off offset:80
	s_waitcnt vmcnt(1)
	global_store_dword v[214:215], v0, off offset:80
	s_waitcnt vmcnt(0)
	global_store_dword v[222:223], v224, off
.LBB106_434:
	s_or_b32 exec_lo, exec_lo, s7
	v_mov_b32_e32 v232, v226
	v_mov_b32_e32 v0, v226
.LBB106_435:
	s_or_b32 exec_lo, exec_lo, s1
.LBB106_436:
	s_andn2_saveexec_b32 s0, s0
	s_cbranch_execz .LBB106_438
; %bb.437:
	v_mov_b32_e32 v232, 20
	ds_write2_b64 v1, v[130:131], v[132:133] offset0:42 offset1:43
	ds_write2_b64 v1, v[126:127], v[128:129] offset0:44 offset1:45
	;; [unrolled: 1-line block ×33, first 2 shown]
.LBB106_438:
	s_or_b32 exec_lo, exec_lo, s0
	s_mov_b32 s0, exec_lo
	s_waitcnt lgkmcnt(0)
	s_waitcnt_vscnt null, 0x0
	s_barrier
	buffer_gl0_inv
	v_cmpx_lt_i32_e32 20, v232
	s_cbranch_execz .LBB106_440
; %bb.439:
	v_mul_f64 v[222:223], v[220:221], v[136:137]
	v_mul_f64 v[136:137], v[218:219], v[136:137]
	v_fma_f64 v[226:227], v[218:219], v[134:135], -v[222:223]
	v_fma_f64 v[136:137], v[220:221], v[134:135], v[136:137]
	ds_read2_b64 v[218:221], v1 offset0:42 offset1:43
	s_waitcnt lgkmcnt(0)
	v_mul_f64 v[134:135], v[220:221], v[136:137]
	v_fma_f64 v[134:135], v[218:219], v[226:227], -v[134:135]
	v_mul_f64 v[218:219], v[218:219], v[136:137]
	v_add_f64 v[130:131], v[130:131], -v[134:135]
	v_fma_f64 v[218:219], v[220:221], v[226:227], v[218:219]
	v_add_f64 v[132:133], v[132:133], -v[218:219]
	ds_read2_b64 v[218:221], v1 offset0:44 offset1:45
	s_waitcnt lgkmcnt(0)
	v_mul_f64 v[134:135], v[220:221], v[136:137]
	v_fma_f64 v[134:135], v[218:219], v[226:227], -v[134:135]
	v_mul_f64 v[218:219], v[218:219], v[136:137]
	v_add_f64 v[126:127], v[126:127], -v[134:135]
	v_fma_f64 v[218:219], v[220:221], v[226:227], v[218:219]
	v_add_f64 v[128:129], v[128:129], -v[218:219]
	;; [unrolled: 8-line block ×32, first 2 shown]
	ds_read2_b64 v[218:221], v1 offset0:106 offset1:107
	s_waitcnt lgkmcnt(0)
	v_mul_f64 v[134:135], v[220:221], v[136:137]
	v_fma_f64 v[134:135], v[218:219], v[226:227], -v[134:135]
	v_mul_f64 v[218:219], v[218:219], v[136:137]
	v_add_f64 v[2:3], v[2:3], -v[134:135]
	v_fma_f64 v[218:219], v[220:221], v[226:227], v[218:219]
	v_mov_b32_e32 v134, v226
	v_mov_b32_e32 v135, v227
	v_add_f64 v[4:5], v[4:5], -v[218:219]
.LBB106_440:
	s_or_b32 exec_lo, exec_lo, s0
	v_lshl_add_u32 v218, v232, 4, v1
	s_barrier
	buffer_gl0_inv
	v_mov_b32_e32 v226, 21
	ds_write2_b64 v218, v[130:131], v[132:133] offset1:1
	s_waitcnt lgkmcnt(0)
	s_barrier
	buffer_gl0_inv
	ds_read2_b64 v[218:221], v1 offset0:42 offset1:43
	s_cmp_lt_i32 s8, 23
	s_cbranch_scc1 .LBB106_443
; %bb.441:
	v_add3_u32 v227, v228, 0, 0x160
	v_mov_b32_e32 v226, 21
	s_mov_b32 s1, 22
	s_inst_prefetch 0x1
	.p2align	6
.LBB106_442:                            ; =>This Inner Loop Header: Depth=1
	s_waitcnt lgkmcnt(0)
	v_cmp_gt_f64_e32 vcc_lo, 0, v[220:221]
	v_cmp_gt_f64_e64 s0, 0, v[218:219]
	ds_read2_b64 v[233:236], v227 offset1:1
	v_xor_b32_e32 v223, 0x80000000, v219
	v_xor_b32_e32 v225, 0x80000000, v221
	v_mov_b32_e32 v222, v218
	v_mov_b32_e32 v224, v220
	v_add_nc_u32_e32 v227, 16, v227
	s_waitcnt lgkmcnt(0)
	v_xor_b32_e32 v238, 0x80000000, v236
	v_cndmask_b32_e64 v223, v219, v223, s0
	v_cndmask_b32_e32 v225, v221, v225, vcc_lo
	v_cmp_gt_f64_e32 vcc_lo, 0, v[235:236]
	v_cmp_gt_f64_e64 s0, 0, v[233:234]
	v_mov_b32_e32 v237, v235
	v_add_f64 v[222:223], v[222:223], v[224:225]
	v_xor_b32_e32 v225, 0x80000000, v234
	v_mov_b32_e32 v224, v233
	v_cndmask_b32_e32 v238, v236, v238, vcc_lo
	v_cndmask_b32_e64 v225, v234, v225, s0
	v_add_f64 v[224:225], v[224:225], v[237:238]
	v_cmp_lt_f64_e32 vcc_lo, v[222:223], v[224:225]
	v_cndmask_b32_e32 v219, v219, v234, vcc_lo
	v_cndmask_b32_e32 v218, v218, v233, vcc_lo
	;; [unrolled: 1-line block ×4, first 2 shown]
	v_cndmask_b32_e64 v226, v226, s1, vcc_lo
	s_add_i32 s1, s1, 1
	s_cmp_lg_u32 s8, s1
	s_cbranch_scc1 .LBB106_442
.LBB106_443:
	s_inst_prefetch 0x2
	s_waitcnt lgkmcnt(0)
	v_cmp_eq_f64_e32 vcc_lo, 0, v[218:219]
	v_cmp_eq_f64_e64 s0, 0, v[220:221]
	s_and_b32 s0, vcc_lo, s0
	s_and_saveexec_b32 s1, s0
	s_xor_b32 s0, exec_lo, s1
; %bb.444:
	v_cmp_ne_u32_e32 vcc_lo, 0, v231
	v_cndmask_b32_e32 v231, 22, v231, vcc_lo
; %bb.445:
	s_andn2_saveexec_b32 s0, s0
	s_cbranch_execz .LBB106_451
; %bb.446:
	v_cmp_ngt_f64_e64 s1, |v[218:219]|, |v[220:221]|
	s_and_saveexec_b32 s7, s1
	s_xor_b32 s1, exec_lo, s7
	s_cbranch_execz .LBB106_448
; %bb.447:
	v_div_scale_f64 v[222:223], null, v[220:221], v[220:221], v[218:219]
	v_div_scale_f64 v[235:236], vcc_lo, v[218:219], v[220:221], v[218:219]
	v_rcp_f64_e32 v[224:225], v[222:223]
	v_fma_f64 v[233:234], -v[222:223], v[224:225], 1.0
	v_fma_f64 v[224:225], v[224:225], v[233:234], v[224:225]
	v_fma_f64 v[233:234], -v[222:223], v[224:225], 1.0
	v_fma_f64 v[224:225], v[224:225], v[233:234], v[224:225]
	v_mul_f64 v[233:234], v[235:236], v[224:225]
	v_fma_f64 v[222:223], -v[222:223], v[233:234], v[235:236]
	v_div_fmas_f64 v[222:223], v[222:223], v[224:225], v[233:234]
	v_div_fixup_f64 v[222:223], v[222:223], v[220:221], v[218:219]
	v_fma_f64 v[218:219], v[218:219], v[222:223], v[220:221]
	v_div_scale_f64 v[220:221], null, v[218:219], v[218:219], 1.0
	v_rcp_f64_e32 v[224:225], v[220:221]
	v_fma_f64 v[233:234], -v[220:221], v[224:225], 1.0
	v_fma_f64 v[224:225], v[224:225], v[233:234], v[224:225]
	v_fma_f64 v[233:234], -v[220:221], v[224:225], 1.0
	v_fma_f64 v[224:225], v[224:225], v[233:234], v[224:225]
	v_div_scale_f64 v[233:234], vcc_lo, 1.0, v[218:219], 1.0
	v_mul_f64 v[235:236], v[233:234], v[224:225]
	v_fma_f64 v[220:221], -v[220:221], v[235:236], v[233:234]
	v_div_fmas_f64 v[220:221], v[220:221], v[224:225], v[235:236]
	v_div_fixup_f64 v[220:221], v[220:221], v[218:219], 1.0
	v_mul_f64 v[218:219], v[222:223], v[220:221]
	v_xor_b32_e32 v221, 0x80000000, v221
.LBB106_448:
	s_andn2_saveexec_b32 s1, s1
	s_cbranch_execz .LBB106_450
; %bb.449:
	v_div_scale_f64 v[222:223], null, v[218:219], v[218:219], v[220:221]
	v_div_scale_f64 v[235:236], vcc_lo, v[220:221], v[218:219], v[220:221]
	v_rcp_f64_e32 v[224:225], v[222:223]
	v_fma_f64 v[233:234], -v[222:223], v[224:225], 1.0
	v_fma_f64 v[224:225], v[224:225], v[233:234], v[224:225]
	v_fma_f64 v[233:234], -v[222:223], v[224:225], 1.0
	v_fma_f64 v[224:225], v[224:225], v[233:234], v[224:225]
	v_mul_f64 v[233:234], v[235:236], v[224:225]
	v_fma_f64 v[222:223], -v[222:223], v[233:234], v[235:236]
	v_div_fmas_f64 v[222:223], v[222:223], v[224:225], v[233:234]
	v_div_fixup_f64 v[222:223], v[222:223], v[218:219], v[220:221]
	v_fma_f64 v[218:219], v[220:221], v[222:223], v[218:219]
	v_div_scale_f64 v[220:221], null, v[218:219], v[218:219], 1.0
	v_rcp_f64_e32 v[224:225], v[220:221]
	v_fma_f64 v[233:234], -v[220:221], v[224:225], 1.0
	v_fma_f64 v[224:225], v[224:225], v[233:234], v[224:225]
	v_fma_f64 v[233:234], -v[220:221], v[224:225], 1.0
	v_fma_f64 v[224:225], v[224:225], v[233:234], v[224:225]
	v_div_scale_f64 v[233:234], vcc_lo, 1.0, v[218:219], 1.0
	v_mul_f64 v[235:236], v[233:234], v[224:225]
	v_fma_f64 v[220:221], -v[220:221], v[235:236], v[233:234]
	v_div_fmas_f64 v[220:221], v[220:221], v[224:225], v[235:236]
	v_div_fixup_f64 v[218:219], v[220:221], v[218:219], 1.0
	v_mul_f64 v[220:221], v[222:223], -v[218:219]
.LBB106_450:
	s_or_b32 exec_lo, exec_lo, s1
.LBB106_451:
	s_or_b32 exec_lo, exec_lo, s0
	s_mov_b32 s0, exec_lo
	v_cmpx_ne_u32_e64 v232, v226
	s_xor_b32 s0, exec_lo, s0
	s_cbranch_execz .LBB106_457
; %bb.452:
	s_mov_b32 s1, exec_lo
	v_cmpx_eq_u32_e32 21, v232
	s_cbranch_execz .LBB106_456
; %bb.453:
	v_cmp_ne_u32_e32 vcc_lo, 21, v226
	s_xor_b32 s7, s16, -1
	s_and_b32 s9, s7, vcc_lo
	s_and_saveexec_b32 s7, s9
	s_cbranch_execz .LBB106_455
; %bb.454:
	s_clause 0x1
	buffer_load_dword v214, off, s[20:23], 0
	buffer_load_dword v215, off, s[20:23], 0 offset:4
	v_ashrrev_i32_e32 v227, 31, v226
	v_lshlrev_b64 v[222:223], 2, v[226:227]
	s_waitcnt vmcnt(1)
	v_add_co_u32 v222, vcc_lo, v214, v222
	s_waitcnt vmcnt(0)
	v_add_co_ci_u32_e64 v223, null, v215, v223, vcc_lo
	s_clause 0x1
	global_load_dword v0, v[222:223], off
	global_load_dword v224, v[214:215], off offset:84
	s_waitcnt vmcnt(1)
	global_store_dword v[214:215], v0, off offset:84
	s_waitcnt vmcnt(0)
	global_store_dword v[222:223], v224, off
.LBB106_455:
	s_or_b32 exec_lo, exec_lo, s7
	v_mov_b32_e32 v232, v226
	v_mov_b32_e32 v0, v226
.LBB106_456:
	s_or_b32 exec_lo, exec_lo, s1
.LBB106_457:
	s_andn2_saveexec_b32 s0, s0
	s_cbranch_execz .LBB106_459
; %bb.458:
	v_mov_b32_e32 v232, 21
	ds_write2_b64 v1, v[126:127], v[128:129] offset0:44 offset1:45
	ds_write2_b64 v1, v[122:123], v[124:125] offset0:46 offset1:47
	;; [unrolled: 1-line block ×32, first 2 shown]
.LBB106_459:
	s_or_b32 exec_lo, exec_lo, s0
	s_mov_b32 s0, exec_lo
	s_waitcnt lgkmcnt(0)
	s_waitcnt_vscnt null, 0x0
	s_barrier
	buffer_gl0_inv
	v_cmpx_lt_i32_e32 21, v232
	s_cbranch_execz .LBB106_461
; %bb.460:
	v_mul_f64 v[222:223], v[220:221], v[132:133]
	v_mul_f64 v[132:133], v[218:219], v[132:133]
	v_fma_f64 v[226:227], v[218:219], v[130:131], -v[222:223]
	v_fma_f64 v[132:133], v[220:221], v[130:131], v[132:133]
	ds_read2_b64 v[218:221], v1 offset0:44 offset1:45
	s_waitcnt lgkmcnt(0)
	v_mul_f64 v[130:131], v[220:221], v[132:133]
	v_fma_f64 v[130:131], v[218:219], v[226:227], -v[130:131]
	v_mul_f64 v[218:219], v[218:219], v[132:133]
	v_add_f64 v[126:127], v[126:127], -v[130:131]
	v_fma_f64 v[218:219], v[220:221], v[226:227], v[218:219]
	v_add_f64 v[128:129], v[128:129], -v[218:219]
	ds_read2_b64 v[218:221], v1 offset0:46 offset1:47
	s_waitcnt lgkmcnt(0)
	v_mul_f64 v[130:131], v[220:221], v[132:133]
	v_fma_f64 v[130:131], v[218:219], v[226:227], -v[130:131]
	v_mul_f64 v[218:219], v[218:219], v[132:133]
	v_add_f64 v[122:123], v[122:123], -v[130:131]
	v_fma_f64 v[218:219], v[220:221], v[226:227], v[218:219]
	v_add_f64 v[124:125], v[124:125], -v[218:219]
	;; [unrolled: 8-line block ×31, first 2 shown]
	ds_read2_b64 v[218:221], v1 offset0:106 offset1:107
	s_waitcnt lgkmcnt(0)
	v_mul_f64 v[130:131], v[220:221], v[132:133]
	v_fma_f64 v[130:131], v[218:219], v[226:227], -v[130:131]
	v_mul_f64 v[218:219], v[218:219], v[132:133]
	v_add_f64 v[2:3], v[2:3], -v[130:131]
	v_fma_f64 v[218:219], v[220:221], v[226:227], v[218:219]
	v_mov_b32_e32 v130, v226
	v_mov_b32_e32 v131, v227
	v_add_f64 v[4:5], v[4:5], -v[218:219]
.LBB106_461:
	s_or_b32 exec_lo, exec_lo, s0
	v_lshl_add_u32 v218, v232, 4, v1
	s_barrier
	buffer_gl0_inv
	v_mov_b32_e32 v226, 22
	ds_write2_b64 v218, v[126:127], v[128:129] offset1:1
	s_waitcnt lgkmcnt(0)
	s_barrier
	buffer_gl0_inv
	ds_read2_b64 v[218:221], v1 offset0:44 offset1:45
	s_cmp_lt_i32 s8, 24
	s_cbranch_scc1 .LBB106_464
; %bb.462:
	v_add3_u32 v227, v228, 0, 0x170
	v_mov_b32_e32 v226, 22
	s_mov_b32 s1, 23
	s_inst_prefetch 0x1
	.p2align	6
.LBB106_463:                            ; =>This Inner Loop Header: Depth=1
	s_waitcnt lgkmcnt(0)
	v_cmp_gt_f64_e32 vcc_lo, 0, v[220:221]
	v_cmp_gt_f64_e64 s0, 0, v[218:219]
	ds_read2_b64 v[233:236], v227 offset1:1
	v_xor_b32_e32 v223, 0x80000000, v219
	v_xor_b32_e32 v225, 0x80000000, v221
	v_mov_b32_e32 v222, v218
	v_mov_b32_e32 v224, v220
	v_add_nc_u32_e32 v227, 16, v227
	s_waitcnt lgkmcnt(0)
	v_xor_b32_e32 v238, 0x80000000, v236
	v_cndmask_b32_e64 v223, v219, v223, s0
	v_cndmask_b32_e32 v225, v221, v225, vcc_lo
	v_cmp_gt_f64_e32 vcc_lo, 0, v[235:236]
	v_cmp_gt_f64_e64 s0, 0, v[233:234]
	v_mov_b32_e32 v237, v235
	v_add_f64 v[222:223], v[222:223], v[224:225]
	v_xor_b32_e32 v225, 0x80000000, v234
	v_mov_b32_e32 v224, v233
	v_cndmask_b32_e32 v238, v236, v238, vcc_lo
	v_cndmask_b32_e64 v225, v234, v225, s0
	v_add_f64 v[224:225], v[224:225], v[237:238]
	v_cmp_lt_f64_e32 vcc_lo, v[222:223], v[224:225]
	v_cndmask_b32_e32 v219, v219, v234, vcc_lo
	v_cndmask_b32_e32 v218, v218, v233, vcc_lo
	;; [unrolled: 1-line block ×4, first 2 shown]
	v_cndmask_b32_e64 v226, v226, s1, vcc_lo
	s_add_i32 s1, s1, 1
	s_cmp_lg_u32 s8, s1
	s_cbranch_scc1 .LBB106_463
.LBB106_464:
	s_inst_prefetch 0x2
	s_waitcnt lgkmcnt(0)
	v_cmp_eq_f64_e32 vcc_lo, 0, v[218:219]
	v_cmp_eq_f64_e64 s0, 0, v[220:221]
	s_and_b32 s0, vcc_lo, s0
	s_and_saveexec_b32 s1, s0
	s_xor_b32 s0, exec_lo, s1
; %bb.465:
	v_cmp_ne_u32_e32 vcc_lo, 0, v231
	v_cndmask_b32_e32 v231, 23, v231, vcc_lo
; %bb.466:
	s_andn2_saveexec_b32 s0, s0
	s_cbranch_execz .LBB106_472
; %bb.467:
	v_cmp_ngt_f64_e64 s1, |v[218:219]|, |v[220:221]|
	s_and_saveexec_b32 s7, s1
	s_xor_b32 s1, exec_lo, s7
	s_cbranch_execz .LBB106_469
; %bb.468:
	v_div_scale_f64 v[222:223], null, v[220:221], v[220:221], v[218:219]
	v_div_scale_f64 v[235:236], vcc_lo, v[218:219], v[220:221], v[218:219]
	v_rcp_f64_e32 v[224:225], v[222:223]
	v_fma_f64 v[233:234], -v[222:223], v[224:225], 1.0
	v_fma_f64 v[224:225], v[224:225], v[233:234], v[224:225]
	v_fma_f64 v[233:234], -v[222:223], v[224:225], 1.0
	v_fma_f64 v[224:225], v[224:225], v[233:234], v[224:225]
	v_mul_f64 v[233:234], v[235:236], v[224:225]
	v_fma_f64 v[222:223], -v[222:223], v[233:234], v[235:236]
	v_div_fmas_f64 v[222:223], v[222:223], v[224:225], v[233:234]
	v_div_fixup_f64 v[222:223], v[222:223], v[220:221], v[218:219]
	v_fma_f64 v[218:219], v[218:219], v[222:223], v[220:221]
	v_div_scale_f64 v[220:221], null, v[218:219], v[218:219], 1.0
	v_rcp_f64_e32 v[224:225], v[220:221]
	v_fma_f64 v[233:234], -v[220:221], v[224:225], 1.0
	v_fma_f64 v[224:225], v[224:225], v[233:234], v[224:225]
	v_fma_f64 v[233:234], -v[220:221], v[224:225], 1.0
	v_fma_f64 v[224:225], v[224:225], v[233:234], v[224:225]
	v_div_scale_f64 v[233:234], vcc_lo, 1.0, v[218:219], 1.0
	v_mul_f64 v[235:236], v[233:234], v[224:225]
	v_fma_f64 v[220:221], -v[220:221], v[235:236], v[233:234]
	v_div_fmas_f64 v[220:221], v[220:221], v[224:225], v[235:236]
	v_div_fixup_f64 v[220:221], v[220:221], v[218:219], 1.0
	v_mul_f64 v[218:219], v[222:223], v[220:221]
	v_xor_b32_e32 v221, 0x80000000, v221
.LBB106_469:
	s_andn2_saveexec_b32 s1, s1
	s_cbranch_execz .LBB106_471
; %bb.470:
	v_div_scale_f64 v[222:223], null, v[218:219], v[218:219], v[220:221]
	v_div_scale_f64 v[235:236], vcc_lo, v[220:221], v[218:219], v[220:221]
	v_rcp_f64_e32 v[224:225], v[222:223]
	v_fma_f64 v[233:234], -v[222:223], v[224:225], 1.0
	v_fma_f64 v[224:225], v[224:225], v[233:234], v[224:225]
	v_fma_f64 v[233:234], -v[222:223], v[224:225], 1.0
	v_fma_f64 v[224:225], v[224:225], v[233:234], v[224:225]
	v_mul_f64 v[233:234], v[235:236], v[224:225]
	v_fma_f64 v[222:223], -v[222:223], v[233:234], v[235:236]
	v_div_fmas_f64 v[222:223], v[222:223], v[224:225], v[233:234]
	v_div_fixup_f64 v[222:223], v[222:223], v[218:219], v[220:221]
	v_fma_f64 v[218:219], v[220:221], v[222:223], v[218:219]
	v_div_scale_f64 v[220:221], null, v[218:219], v[218:219], 1.0
	v_rcp_f64_e32 v[224:225], v[220:221]
	v_fma_f64 v[233:234], -v[220:221], v[224:225], 1.0
	v_fma_f64 v[224:225], v[224:225], v[233:234], v[224:225]
	v_fma_f64 v[233:234], -v[220:221], v[224:225], 1.0
	v_fma_f64 v[224:225], v[224:225], v[233:234], v[224:225]
	v_div_scale_f64 v[233:234], vcc_lo, 1.0, v[218:219], 1.0
	v_mul_f64 v[235:236], v[233:234], v[224:225]
	v_fma_f64 v[220:221], -v[220:221], v[235:236], v[233:234]
	v_div_fmas_f64 v[220:221], v[220:221], v[224:225], v[235:236]
	v_div_fixup_f64 v[218:219], v[220:221], v[218:219], 1.0
	v_mul_f64 v[220:221], v[222:223], -v[218:219]
.LBB106_471:
	s_or_b32 exec_lo, exec_lo, s1
.LBB106_472:
	s_or_b32 exec_lo, exec_lo, s0
	s_mov_b32 s0, exec_lo
	v_cmpx_ne_u32_e64 v232, v226
	s_xor_b32 s0, exec_lo, s0
	s_cbranch_execz .LBB106_478
; %bb.473:
	s_mov_b32 s1, exec_lo
	v_cmpx_eq_u32_e32 22, v232
	s_cbranch_execz .LBB106_477
; %bb.474:
	v_cmp_ne_u32_e32 vcc_lo, 22, v226
	s_xor_b32 s7, s16, -1
	s_and_b32 s9, s7, vcc_lo
	s_and_saveexec_b32 s7, s9
	s_cbranch_execz .LBB106_476
; %bb.475:
	s_clause 0x1
	buffer_load_dword v214, off, s[20:23], 0
	buffer_load_dword v215, off, s[20:23], 0 offset:4
	v_ashrrev_i32_e32 v227, 31, v226
	v_lshlrev_b64 v[222:223], 2, v[226:227]
	s_waitcnt vmcnt(1)
	v_add_co_u32 v222, vcc_lo, v214, v222
	s_waitcnt vmcnt(0)
	v_add_co_ci_u32_e64 v223, null, v215, v223, vcc_lo
	s_clause 0x1
	global_load_dword v0, v[222:223], off
	global_load_dword v224, v[214:215], off offset:88
	s_waitcnt vmcnt(1)
	global_store_dword v[214:215], v0, off offset:88
	s_waitcnt vmcnt(0)
	global_store_dword v[222:223], v224, off
.LBB106_476:
	s_or_b32 exec_lo, exec_lo, s7
	v_mov_b32_e32 v232, v226
	v_mov_b32_e32 v0, v226
.LBB106_477:
	s_or_b32 exec_lo, exec_lo, s1
.LBB106_478:
	s_andn2_saveexec_b32 s0, s0
	s_cbranch_execz .LBB106_480
; %bb.479:
	v_mov_b32_e32 v232, 22
	ds_write2_b64 v1, v[122:123], v[124:125] offset0:46 offset1:47
	ds_write2_b64 v1, v[118:119], v[120:121] offset0:48 offset1:49
	;; [unrolled: 1-line block ×31, first 2 shown]
.LBB106_480:
	s_or_b32 exec_lo, exec_lo, s0
	s_mov_b32 s0, exec_lo
	s_waitcnt lgkmcnt(0)
	s_waitcnt_vscnt null, 0x0
	s_barrier
	buffer_gl0_inv
	v_cmpx_lt_i32_e32 22, v232
	s_cbranch_execz .LBB106_482
; %bb.481:
	v_mul_f64 v[222:223], v[220:221], v[128:129]
	v_mul_f64 v[128:129], v[218:219], v[128:129]
	v_fma_f64 v[226:227], v[218:219], v[126:127], -v[222:223]
	v_fma_f64 v[128:129], v[220:221], v[126:127], v[128:129]
	ds_read2_b64 v[218:221], v1 offset0:46 offset1:47
	s_waitcnt lgkmcnt(0)
	v_mul_f64 v[126:127], v[220:221], v[128:129]
	v_fma_f64 v[126:127], v[218:219], v[226:227], -v[126:127]
	v_mul_f64 v[218:219], v[218:219], v[128:129]
	v_add_f64 v[122:123], v[122:123], -v[126:127]
	v_fma_f64 v[218:219], v[220:221], v[226:227], v[218:219]
	v_add_f64 v[124:125], v[124:125], -v[218:219]
	ds_read2_b64 v[218:221], v1 offset0:48 offset1:49
	s_waitcnt lgkmcnt(0)
	v_mul_f64 v[126:127], v[220:221], v[128:129]
	v_fma_f64 v[126:127], v[218:219], v[226:227], -v[126:127]
	v_mul_f64 v[218:219], v[218:219], v[128:129]
	v_add_f64 v[118:119], v[118:119], -v[126:127]
	v_fma_f64 v[218:219], v[220:221], v[226:227], v[218:219]
	v_add_f64 v[120:121], v[120:121], -v[218:219]
	;; [unrolled: 8-line block ×30, first 2 shown]
	ds_read2_b64 v[218:221], v1 offset0:106 offset1:107
	s_waitcnt lgkmcnt(0)
	v_mul_f64 v[126:127], v[220:221], v[128:129]
	v_fma_f64 v[126:127], v[218:219], v[226:227], -v[126:127]
	v_mul_f64 v[218:219], v[218:219], v[128:129]
	v_add_f64 v[2:3], v[2:3], -v[126:127]
	v_fma_f64 v[218:219], v[220:221], v[226:227], v[218:219]
	v_mov_b32_e32 v126, v226
	v_mov_b32_e32 v127, v227
	v_add_f64 v[4:5], v[4:5], -v[218:219]
.LBB106_482:
	s_or_b32 exec_lo, exec_lo, s0
	v_lshl_add_u32 v218, v232, 4, v1
	s_barrier
	buffer_gl0_inv
	v_mov_b32_e32 v226, 23
	ds_write2_b64 v218, v[122:123], v[124:125] offset1:1
	s_waitcnt lgkmcnt(0)
	s_barrier
	buffer_gl0_inv
	ds_read2_b64 v[218:221], v1 offset0:46 offset1:47
	s_cmp_lt_i32 s8, 25
	s_cbranch_scc1 .LBB106_485
; %bb.483:
	v_add3_u32 v227, v228, 0, 0x180
	v_mov_b32_e32 v226, 23
	s_mov_b32 s1, 24
	s_inst_prefetch 0x1
	.p2align	6
.LBB106_484:                            ; =>This Inner Loop Header: Depth=1
	s_waitcnt lgkmcnt(0)
	v_cmp_gt_f64_e32 vcc_lo, 0, v[220:221]
	v_cmp_gt_f64_e64 s0, 0, v[218:219]
	ds_read2_b64 v[233:236], v227 offset1:1
	v_xor_b32_e32 v223, 0x80000000, v219
	v_xor_b32_e32 v225, 0x80000000, v221
	v_mov_b32_e32 v222, v218
	v_mov_b32_e32 v224, v220
	v_add_nc_u32_e32 v227, 16, v227
	s_waitcnt lgkmcnt(0)
	v_xor_b32_e32 v238, 0x80000000, v236
	v_cndmask_b32_e64 v223, v219, v223, s0
	v_cndmask_b32_e32 v225, v221, v225, vcc_lo
	v_cmp_gt_f64_e32 vcc_lo, 0, v[235:236]
	v_cmp_gt_f64_e64 s0, 0, v[233:234]
	v_mov_b32_e32 v237, v235
	v_add_f64 v[222:223], v[222:223], v[224:225]
	v_xor_b32_e32 v225, 0x80000000, v234
	v_mov_b32_e32 v224, v233
	v_cndmask_b32_e32 v238, v236, v238, vcc_lo
	v_cndmask_b32_e64 v225, v234, v225, s0
	v_add_f64 v[224:225], v[224:225], v[237:238]
	v_cmp_lt_f64_e32 vcc_lo, v[222:223], v[224:225]
	v_cndmask_b32_e32 v219, v219, v234, vcc_lo
	v_cndmask_b32_e32 v218, v218, v233, vcc_lo
	;; [unrolled: 1-line block ×4, first 2 shown]
	v_cndmask_b32_e64 v226, v226, s1, vcc_lo
	s_add_i32 s1, s1, 1
	s_cmp_lg_u32 s8, s1
	s_cbranch_scc1 .LBB106_484
.LBB106_485:
	s_inst_prefetch 0x2
	s_waitcnt lgkmcnt(0)
	v_cmp_eq_f64_e32 vcc_lo, 0, v[218:219]
	v_cmp_eq_f64_e64 s0, 0, v[220:221]
	s_and_b32 s0, vcc_lo, s0
	s_and_saveexec_b32 s1, s0
	s_xor_b32 s0, exec_lo, s1
; %bb.486:
	v_cmp_ne_u32_e32 vcc_lo, 0, v231
	v_cndmask_b32_e32 v231, 24, v231, vcc_lo
; %bb.487:
	s_andn2_saveexec_b32 s0, s0
	s_cbranch_execz .LBB106_493
; %bb.488:
	v_cmp_ngt_f64_e64 s1, |v[218:219]|, |v[220:221]|
	s_and_saveexec_b32 s7, s1
	s_xor_b32 s1, exec_lo, s7
	s_cbranch_execz .LBB106_490
; %bb.489:
	v_div_scale_f64 v[222:223], null, v[220:221], v[220:221], v[218:219]
	v_div_scale_f64 v[235:236], vcc_lo, v[218:219], v[220:221], v[218:219]
	v_rcp_f64_e32 v[224:225], v[222:223]
	v_fma_f64 v[233:234], -v[222:223], v[224:225], 1.0
	v_fma_f64 v[224:225], v[224:225], v[233:234], v[224:225]
	v_fma_f64 v[233:234], -v[222:223], v[224:225], 1.0
	v_fma_f64 v[224:225], v[224:225], v[233:234], v[224:225]
	v_mul_f64 v[233:234], v[235:236], v[224:225]
	v_fma_f64 v[222:223], -v[222:223], v[233:234], v[235:236]
	v_div_fmas_f64 v[222:223], v[222:223], v[224:225], v[233:234]
	v_div_fixup_f64 v[222:223], v[222:223], v[220:221], v[218:219]
	v_fma_f64 v[218:219], v[218:219], v[222:223], v[220:221]
	v_div_scale_f64 v[220:221], null, v[218:219], v[218:219], 1.0
	v_rcp_f64_e32 v[224:225], v[220:221]
	v_fma_f64 v[233:234], -v[220:221], v[224:225], 1.0
	v_fma_f64 v[224:225], v[224:225], v[233:234], v[224:225]
	v_fma_f64 v[233:234], -v[220:221], v[224:225], 1.0
	v_fma_f64 v[224:225], v[224:225], v[233:234], v[224:225]
	v_div_scale_f64 v[233:234], vcc_lo, 1.0, v[218:219], 1.0
	v_mul_f64 v[235:236], v[233:234], v[224:225]
	v_fma_f64 v[220:221], -v[220:221], v[235:236], v[233:234]
	v_div_fmas_f64 v[220:221], v[220:221], v[224:225], v[235:236]
	v_div_fixup_f64 v[220:221], v[220:221], v[218:219], 1.0
	v_mul_f64 v[218:219], v[222:223], v[220:221]
	v_xor_b32_e32 v221, 0x80000000, v221
.LBB106_490:
	s_andn2_saveexec_b32 s1, s1
	s_cbranch_execz .LBB106_492
; %bb.491:
	v_div_scale_f64 v[222:223], null, v[218:219], v[218:219], v[220:221]
	v_div_scale_f64 v[235:236], vcc_lo, v[220:221], v[218:219], v[220:221]
	v_rcp_f64_e32 v[224:225], v[222:223]
	v_fma_f64 v[233:234], -v[222:223], v[224:225], 1.0
	v_fma_f64 v[224:225], v[224:225], v[233:234], v[224:225]
	v_fma_f64 v[233:234], -v[222:223], v[224:225], 1.0
	v_fma_f64 v[224:225], v[224:225], v[233:234], v[224:225]
	v_mul_f64 v[233:234], v[235:236], v[224:225]
	v_fma_f64 v[222:223], -v[222:223], v[233:234], v[235:236]
	v_div_fmas_f64 v[222:223], v[222:223], v[224:225], v[233:234]
	v_div_fixup_f64 v[222:223], v[222:223], v[218:219], v[220:221]
	v_fma_f64 v[218:219], v[220:221], v[222:223], v[218:219]
	v_div_scale_f64 v[220:221], null, v[218:219], v[218:219], 1.0
	v_rcp_f64_e32 v[224:225], v[220:221]
	v_fma_f64 v[233:234], -v[220:221], v[224:225], 1.0
	v_fma_f64 v[224:225], v[224:225], v[233:234], v[224:225]
	v_fma_f64 v[233:234], -v[220:221], v[224:225], 1.0
	v_fma_f64 v[224:225], v[224:225], v[233:234], v[224:225]
	v_div_scale_f64 v[233:234], vcc_lo, 1.0, v[218:219], 1.0
	v_mul_f64 v[235:236], v[233:234], v[224:225]
	v_fma_f64 v[220:221], -v[220:221], v[235:236], v[233:234]
	v_div_fmas_f64 v[220:221], v[220:221], v[224:225], v[235:236]
	v_div_fixup_f64 v[218:219], v[220:221], v[218:219], 1.0
	v_mul_f64 v[220:221], v[222:223], -v[218:219]
.LBB106_492:
	s_or_b32 exec_lo, exec_lo, s1
.LBB106_493:
	s_or_b32 exec_lo, exec_lo, s0
	s_mov_b32 s0, exec_lo
	v_cmpx_ne_u32_e64 v232, v226
	s_xor_b32 s0, exec_lo, s0
	s_cbranch_execz .LBB106_499
; %bb.494:
	s_mov_b32 s1, exec_lo
	v_cmpx_eq_u32_e32 23, v232
	s_cbranch_execz .LBB106_498
; %bb.495:
	v_cmp_ne_u32_e32 vcc_lo, 23, v226
	s_xor_b32 s7, s16, -1
	s_and_b32 s9, s7, vcc_lo
	s_and_saveexec_b32 s7, s9
	s_cbranch_execz .LBB106_497
; %bb.496:
	s_clause 0x1
	buffer_load_dword v214, off, s[20:23], 0
	buffer_load_dword v215, off, s[20:23], 0 offset:4
	v_ashrrev_i32_e32 v227, 31, v226
	v_lshlrev_b64 v[222:223], 2, v[226:227]
	s_waitcnt vmcnt(1)
	v_add_co_u32 v222, vcc_lo, v214, v222
	s_waitcnt vmcnt(0)
	v_add_co_ci_u32_e64 v223, null, v215, v223, vcc_lo
	s_clause 0x1
	global_load_dword v0, v[222:223], off
	global_load_dword v224, v[214:215], off offset:92
	s_waitcnt vmcnt(1)
	global_store_dword v[214:215], v0, off offset:92
	s_waitcnt vmcnt(0)
	global_store_dword v[222:223], v224, off
.LBB106_497:
	s_or_b32 exec_lo, exec_lo, s7
	v_mov_b32_e32 v232, v226
	v_mov_b32_e32 v0, v226
.LBB106_498:
	s_or_b32 exec_lo, exec_lo, s1
.LBB106_499:
	s_andn2_saveexec_b32 s0, s0
	s_cbranch_execz .LBB106_501
; %bb.500:
	v_mov_b32_e32 v232, 23
	ds_write2_b64 v1, v[118:119], v[120:121] offset0:48 offset1:49
	ds_write2_b64 v1, v[114:115], v[116:117] offset0:50 offset1:51
	;; [unrolled: 1-line block ×30, first 2 shown]
.LBB106_501:
	s_or_b32 exec_lo, exec_lo, s0
	s_mov_b32 s0, exec_lo
	s_waitcnt lgkmcnt(0)
	s_waitcnt_vscnt null, 0x0
	s_barrier
	buffer_gl0_inv
	v_cmpx_lt_i32_e32 23, v232
	s_cbranch_execz .LBB106_503
; %bb.502:
	v_mul_f64 v[222:223], v[220:221], v[124:125]
	v_mul_f64 v[124:125], v[218:219], v[124:125]
	v_fma_f64 v[226:227], v[218:219], v[122:123], -v[222:223]
	v_fma_f64 v[124:125], v[220:221], v[122:123], v[124:125]
	ds_read2_b64 v[218:221], v1 offset0:48 offset1:49
	s_waitcnt lgkmcnt(0)
	v_mul_f64 v[122:123], v[220:221], v[124:125]
	v_fma_f64 v[122:123], v[218:219], v[226:227], -v[122:123]
	v_mul_f64 v[218:219], v[218:219], v[124:125]
	v_add_f64 v[118:119], v[118:119], -v[122:123]
	v_fma_f64 v[218:219], v[220:221], v[226:227], v[218:219]
	v_add_f64 v[120:121], v[120:121], -v[218:219]
	ds_read2_b64 v[218:221], v1 offset0:50 offset1:51
	s_waitcnt lgkmcnt(0)
	v_mul_f64 v[122:123], v[220:221], v[124:125]
	v_fma_f64 v[122:123], v[218:219], v[226:227], -v[122:123]
	v_mul_f64 v[218:219], v[218:219], v[124:125]
	v_add_f64 v[114:115], v[114:115], -v[122:123]
	v_fma_f64 v[218:219], v[220:221], v[226:227], v[218:219]
	v_add_f64 v[116:117], v[116:117], -v[218:219]
	;; [unrolled: 8-line block ×29, first 2 shown]
	ds_read2_b64 v[218:221], v1 offset0:106 offset1:107
	s_waitcnt lgkmcnt(0)
	v_mul_f64 v[122:123], v[220:221], v[124:125]
	v_fma_f64 v[122:123], v[218:219], v[226:227], -v[122:123]
	v_mul_f64 v[218:219], v[218:219], v[124:125]
	v_add_f64 v[2:3], v[2:3], -v[122:123]
	v_fma_f64 v[218:219], v[220:221], v[226:227], v[218:219]
	v_mov_b32_e32 v122, v226
	v_mov_b32_e32 v123, v227
	v_add_f64 v[4:5], v[4:5], -v[218:219]
.LBB106_503:
	s_or_b32 exec_lo, exec_lo, s0
	v_lshl_add_u32 v218, v232, 4, v1
	s_barrier
	buffer_gl0_inv
	v_mov_b32_e32 v226, 24
	ds_write2_b64 v218, v[118:119], v[120:121] offset1:1
	s_waitcnt lgkmcnt(0)
	s_barrier
	buffer_gl0_inv
	ds_read2_b64 v[218:221], v1 offset0:48 offset1:49
	s_cmp_lt_i32 s8, 26
	s_cbranch_scc1 .LBB106_506
; %bb.504:
	v_add3_u32 v227, v228, 0, 0x190
	v_mov_b32_e32 v226, 24
	s_mov_b32 s1, 25
	s_inst_prefetch 0x1
	.p2align	6
.LBB106_505:                            ; =>This Inner Loop Header: Depth=1
	s_waitcnt lgkmcnt(0)
	v_cmp_gt_f64_e32 vcc_lo, 0, v[220:221]
	v_cmp_gt_f64_e64 s0, 0, v[218:219]
	ds_read2_b64 v[233:236], v227 offset1:1
	v_xor_b32_e32 v223, 0x80000000, v219
	v_xor_b32_e32 v225, 0x80000000, v221
	v_mov_b32_e32 v222, v218
	v_mov_b32_e32 v224, v220
	v_add_nc_u32_e32 v227, 16, v227
	s_waitcnt lgkmcnt(0)
	v_xor_b32_e32 v238, 0x80000000, v236
	v_cndmask_b32_e64 v223, v219, v223, s0
	v_cndmask_b32_e32 v225, v221, v225, vcc_lo
	v_cmp_gt_f64_e32 vcc_lo, 0, v[235:236]
	v_cmp_gt_f64_e64 s0, 0, v[233:234]
	v_mov_b32_e32 v237, v235
	v_add_f64 v[222:223], v[222:223], v[224:225]
	v_xor_b32_e32 v225, 0x80000000, v234
	v_mov_b32_e32 v224, v233
	v_cndmask_b32_e32 v238, v236, v238, vcc_lo
	v_cndmask_b32_e64 v225, v234, v225, s0
	v_add_f64 v[224:225], v[224:225], v[237:238]
	v_cmp_lt_f64_e32 vcc_lo, v[222:223], v[224:225]
	v_cndmask_b32_e32 v219, v219, v234, vcc_lo
	v_cndmask_b32_e32 v218, v218, v233, vcc_lo
	;; [unrolled: 1-line block ×4, first 2 shown]
	v_cndmask_b32_e64 v226, v226, s1, vcc_lo
	s_add_i32 s1, s1, 1
	s_cmp_lg_u32 s8, s1
	s_cbranch_scc1 .LBB106_505
.LBB106_506:
	s_inst_prefetch 0x2
	s_waitcnt lgkmcnt(0)
	v_cmp_eq_f64_e32 vcc_lo, 0, v[218:219]
	v_cmp_eq_f64_e64 s0, 0, v[220:221]
	s_and_b32 s0, vcc_lo, s0
	s_and_saveexec_b32 s1, s0
	s_xor_b32 s0, exec_lo, s1
; %bb.507:
	v_cmp_ne_u32_e32 vcc_lo, 0, v231
	v_cndmask_b32_e32 v231, 25, v231, vcc_lo
; %bb.508:
	s_andn2_saveexec_b32 s0, s0
	s_cbranch_execz .LBB106_514
; %bb.509:
	v_cmp_ngt_f64_e64 s1, |v[218:219]|, |v[220:221]|
	s_and_saveexec_b32 s7, s1
	s_xor_b32 s1, exec_lo, s7
	s_cbranch_execz .LBB106_511
; %bb.510:
	v_div_scale_f64 v[222:223], null, v[220:221], v[220:221], v[218:219]
	v_div_scale_f64 v[235:236], vcc_lo, v[218:219], v[220:221], v[218:219]
	v_rcp_f64_e32 v[224:225], v[222:223]
	v_fma_f64 v[233:234], -v[222:223], v[224:225], 1.0
	v_fma_f64 v[224:225], v[224:225], v[233:234], v[224:225]
	v_fma_f64 v[233:234], -v[222:223], v[224:225], 1.0
	v_fma_f64 v[224:225], v[224:225], v[233:234], v[224:225]
	v_mul_f64 v[233:234], v[235:236], v[224:225]
	v_fma_f64 v[222:223], -v[222:223], v[233:234], v[235:236]
	v_div_fmas_f64 v[222:223], v[222:223], v[224:225], v[233:234]
	v_div_fixup_f64 v[222:223], v[222:223], v[220:221], v[218:219]
	v_fma_f64 v[218:219], v[218:219], v[222:223], v[220:221]
	v_div_scale_f64 v[220:221], null, v[218:219], v[218:219], 1.0
	v_rcp_f64_e32 v[224:225], v[220:221]
	v_fma_f64 v[233:234], -v[220:221], v[224:225], 1.0
	v_fma_f64 v[224:225], v[224:225], v[233:234], v[224:225]
	v_fma_f64 v[233:234], -v[220:221], v[224:225], 1.0
	v_fma_f64 v[224:225], v[224:225], v[233:234], v[224:225]
	v_div_scale_f64 v[233:234], vcc_lo, 1.0, v[218:219], 1.0
	v_mul_f64 v[235:236], v[233:234], v[224:225]
	v_fma_f64 v[220:221], -v[220:221], v[235:236], v[233:234]
	v_div_fmas_f64 v[220:221], v[220:221], v[224:225], v[235:236]
	v_div_fixup_f64 v[220:221], v[220:221], v[218:219], 1.0
	v_mul_f64 v[218:219], v[222:223], v[220:221]
	v_xor_b32_e32 v221, 0x80000000, v221
.LBB106_511:
	s_andn2_saveexec_b32 s1, s1
	s_cbranch_execz .LBB106_513
; %bb.512:
	v_div_scale_f64 v[222:223], null, v[218:219], v[218:219], v[220:221]
	v_div_scale_f64 v[235:236], vcc_lo, v[220:221], v[218:219], v[220:221]
	v_rcp_f64_e32 v[224:225], v[222:223]
	v_fma_f64 v[233:234], -v[222:223], v[224:225], 1.0
	v_fma_f64 v[224:225], v[224:225], v[233:234], v[224:225]
	v_fma_f64 v[233:234], -v[222:223], v[224:225], 1.0
	v_fma_f64 v[224:225], v[224:225], v[233:234], v[224:225]
	v_mul_f64 v[233:234], v[235:236], v[224:225]
	v_fma_f64 v[222:223], -v[222:223], v[233:234], v[235:236]
	v_div_fmas_f64 v[222:223], v[222:223], v[224:225], v[233:234]
	v_div_fixup_f64 v[222:223], v[222:223], v[218:219], v[220:221]
	v_fma_f64 v[218:219], v[220:221], v[222:223], v[218:219]
	v_div_scale_f64 v[220:221], null, v[218:219], v[218:219], 1.0
	v_rcp_f64_e32 v[224:225], v[220:221]
	v_fma_f64 v[233:234], -v[220:221], v[224:225], 1.0
	v_fma_f64 v[224:225], v[224:225], v[233:234], v[224:225]
	v_fma_f64 v[233:234], -v[220:221], v[224:225], 1.0
	v_fma_f64 v[224:225], v[224:225], v[233:234], v[224:225]
	v_div_scale_f64 v[233:234], vcc_lo, 1.0, v[218:219], 1.0
	v_mul_f64 v[235:236], v[233:234], v[224:225]
	v_fma_f64 v[220:221], -v[220:221], v[235:236], v[233:234]
	v_div_fmas_f64 v[220:221], v[220:221], v[224:225], v[235:236]
	v_div_fixup_f64 v[218:219], v[220:221], v[218:219], 1.0
	v_mul_f64 v[220:221], v[222:223], -v[218:219]
.LBB106_513:
	s_or_b32 exec_lo, exec_lo, s1
.LBB106_514:
	s_or_b32 exec_lo, exec_lo, s0
	s_mov_b32 s0, exec_lo
	v_cmpx_ne_u32_e64 v232, v226
	s_xor_b32 s0, exec_lo, s0
	s_cbranch_execz .LBB106_520
; %bb.515:
	s_mov_b32 s1, exec_lo
	v_cmpx_eq_u32_e32 24, v232
	s_cbranch_execz .LBB106_519
; %bb.516:
	v_cmp_ne_u32_e32 vcc_lo, 24, v226
	s_xor_b32 s7, s16, -1
	s_and_b32 s9, s7, vcc_lo
	s_and_saveexec_b32 s7, s9
	s_cbranch_execz .LBB106_518
; %bb.517:
	s_clause 0x1
	buffer_load_dword v214, off, s[20:23], 0
	buffer_load_dword v215, off, s[20:23], 0 offset:4
	v_ashrrev_i32_e32 v227, 31, v226
	v_lshlrev_b64 v[222:223], 2, v[226:227]
	s_waitcnt vmcnt(1)
	v_add_co_u32 v222, vcc_lo, v214, v222
	s_waitcnt vmcnt(0)
	v_add_co_ci_u32_e64 v223, null, v215, v223, vcc_lo
	s_clause 0x1
	global_load_dword v0, v[222:223], off
	global_load_dword v224, v[214:215], off offset:96
	s_waitcnt vmcnt(1)
	global_store_dword v[214:215], v0, off offset:96
	s_waitcnt vmcnt(0)
	global_store_dword v[222:223], v224, off
.LBB106_518:
	s_or_b32 exec_lo, exec_lo, s7
	v_mov_b32_e32 v232, v226
	v_mov_b32_e32 v0, v226
.LBB106_519:
	s_or_b32 exec_lo, exec_lo, s1
.LBB106_520:
	s_andn2_saveexec_b32 s0, s0
	s_cbranch_execz .LBB106_522
; %bb.521:
	v_mov_b32_e32 v232, 24
	ds_write2_b64 v1, v[114:115], v[116:117] offset0:50 offset1:51
	ds_write2_b64 v1, v[110:111], v[112:113] offset0:52 offset1:53
	;; [unrolled: 1-line block ×29, first 2 shown]
.LBB106_522:
	s_or_b32 exec_lo, exec_lo, s0
	s_mov_b32 s0, exec_lo
	s_waitcnt lgkmcnt(0)
	s_waitcnt_vscnt null, 0x0
	s_barrier
	buffer_gl0_inv
	v_cmpx_lt_i32_e32 24, v232
	s_cbranch_execz .LBB106_524
; %bb.523:
	v_mul_f64 v[222:223], v[220:221], v[120:121]
	v_mul_f64 v[120:121], v[218:219], v[120:121]
	v_fma_f64 v[226:227], v[218:219], v[118:119], -v[222:223]
	v_fma_f64 v[120:121], v[220:221], v[118:119], v[120:121]
	ds_read2_b64 v[218:221], v1 offset0:50 offset1:51
	s_waitcnt lgkmcnt(0)
	v_mul_f64 v[118:119], v[220:221], v[120:121]
	v_fma_f64 v[118:119], v[218:219], v[226:227], -v[118:119]
	v_mul_f64 v[218:219], v[218:219], v[120:121]
	v_add_f64 v[114:115], v[114:115], -v[118:119]
	v_fma_f64 v[218:219], v[220:221], v[226:227], v[218:219]
	v_add_f64 v[116:117], v[116:117], -v[218:219]
	ds_read2_b64 v[218:221], v1 offset0:52 offset1:53
	s_waitcnt lgkmcnt(0)
	v_mul_f64 v[118:119], v[220:221], v[120:121]
	v_fma_f64 v[118:119], v[218:219], v[226:227], -v[118:119]
	v_mul_f64 v[218:219], v[218:219], v[120:121]
	v_add_f64 v[110:111], v[110:111], -v[118:119]
	v_fma_f64 v[218:219], v[220:221], v[226:227], v[218:219]
	v_add_f64 v[112:113], v[112:113], -v[218:219]
	;; [unrolled: 8-line block ×28, first 2 shown]
	ds_read2_b64 v[218:221], v1 offset0:106 offset1:107
	s_waitcnt lgkmcnt(0)
	v_mul_f64 v[118:119], v[220:221], v[120:121]
	v_fma_f64 v[118:119], v[218:219], v[226:227], -v[118:119]
	v_mul_f64 v[218:219], v[218:219], v[120:121]
	v_add_f64 v[2:3], v[2:3], -v[118:119]
	v_fma_f64 v[218:219], v[220:221], v[226:227], v[218:219]
	v_mov_b32_e32 v118, v226
	v_mov_b32_e32 v119, v227
	v_add_f64 v[4:5], v[4:5], -v[218:219]
.LBB106_524:
	s_or_b32 exec_lo, exec_lo, s0
	v_lshl_add_u32 v218, v232, 4, v1
	s_barrier
	buffer_gl0_inv
	v_mov_b32_e32 v226, 25
	ds_write2_b64 v218, v[114:115], v[116:117] offset1:1
	s_waitcnt lgkmcnt(0)
	s_barrier
	buffer_gl0_inv
	ds_read2_b64 v[218:221], v1 offset0:50 offset1:51
	s_cmp_lt_i32 s8, 27
	s_cbranch_scc1 .LBB106_527
; %bb.525:
	v_add3_u32 v227, v228, 0, 0x1a0
	v_mov_b32_e32 v226, 25
	s_mov_b32 s1, 26
	s_inst_prefetch 0x1
	.p2align	6
.LBB106_526:                            ; =>This Inner Loop Header: Depth=1
	s_waitcnt lgkmcnt(0)
	v_cmp_gt_f64_e32 vcc_lo, 0, v[220:221]
	v_cmp_gt_f64_e64 s0, 0, v[218:219]
	ds_read2_b64 v[233:236], v227 offset1:1
	v_xor_b32_e32 v223, 0x80000000, v219
	v_xor_b32_e32 v225, 0x80000000, v221
	v_mov_b32_e32 v222, v218
	v_mov_b32_e32 v224, v220
	v_add_nc_u32_e32 v227, 16, v227
	s_waitcnt lgkmcnt(0)
	v_xor_b32_e32 v238, 0x80000000, v236
	v_cndmask_b32_e64 v223, v219, v223, s0
	v_cndmask_b32_e32 v225, v221, v225, vcc_lo
	v_cmp_gt_f64_e32 vcc_lo, 0, v[235:236]
	v_cmp_gt_f64_e64 s0, 0, v[233:234]
	v_mov_b32_e32 v237, v235
	v_add_f64 v[222:223], v[222:223], v[224:225]
	v_xor_b32_e32 v225, 0x80000000, v234
	v_mov_b32_e32 v224, v233
	v_cndmask_b32_e32 v238, v236, v238, vcc_lo
	v_cndmask_b32_e64 v225, v234, v225, s0
	v_add_f64 v[224:225], v[224:225], v[237:238]
	v_cmp_lt_f64_e32 vcc_lo, v[222:223], v[224:225]
	v_cndmask_b32_e32 v219, v219, v234, vcc_lo
	v_cndmask_b32_e32 v218, v218, v233, vcc_lo
	;; [unrolled: 1-line block ×4, first 2 shown]
	v_cndmask_b32_e64 v226, v226, s1, vcc_lo
	s_add_i32 s1, s1, 1
	s_cmp_lg_u32 s8, s1
	s_cbranch_scc1 .LBB106_526
.LBB106_527:
	s_inst_prefetch 0x2
	s_waitcnt lgkmcnt(0)
	v_cmp_eq_f64_e32 vcc_lo, 0, v[218:219]
	v_cmp_eq_f64_e64 s0, 0, v[220:221]
	s_and_b32 s0, vcc_lo, s0
	s_and_saveexec_b32 s1, s0
	s_xor_b32 s0, exec_lo, s1
; %bb.528:
	v_cmp_ne_u32_e32 vcc_lo, 0, v231
	v_cndmask_b32_e32 v231, 26, v231, vcc_lo
; %bb.529:
	s_andn2_saveexec_b32 s0, s0
	s_cbranch_execz .LBB106_535
; %bb.530:
	v_cmp_ngt_f64_e64 s1, |v[218:219]|, |v[220:221]|
	s_and_saveexec_b32 s7, s1
	s_xor_b32 s1, exec_lo, s7
	s_cbranch_execz .LBB106_532
; %bb.531:
	v_div_scale_f64 v[222:223], null, v[220:221], v[220:221], v[218:219]
	v_div_scale_f64 v[235:236], vcc_lo, v[218:219], v[220:221], v[218:219]
	v_rcp_f64_e32 v[224:225], v[222:223]
	v_fma_f64 v[233:234], -v[222:223], v[224:225], 1.0
	v_fma_f64 v[224:225], v[224:225], v[233:234], v[224:225]
	v_fma_f64 v[233:234], -v[222:223], v[224:225], 1.0
	v_fma_f64 v[224:225], v[224:225], v[233:234], v[224:225]
	v_mul_f64 v[233:234], v[235:236], v[224:225]
	v_fma_f64 v[222:223], -v[222:223], v[233:234], v[235:236]
	v_div_fmas_f64 v[222:223], v[222:223], v[224:225], v[233:234]
	v_div_fixup_f64 v[222:223], v[222:223], v[220:221], v[218:219]
	v_fma_f64 v[218:219], v[218:219], v[222:223], v[220:221]
	v_div_scale_f64 v[220:221], null, v[218:219], v[218:219], 1.0
	v_rcp_f64_e32 v[224:225], v[220:221]
	v_fma_f64 v[233:234], -v[220:221], v[224:225], 1.0
	v_fma_f64 v[224:225], v[224:225], v[233:234], v[224:225]
	v_fma_f64 v[233:234], -v[220:221], v[224:225], 1.0
	v_fma_f64 v[224:225], v[224:225], v[233:234], v[224:225]
	v_div_scale_f64 v[233:234], vcc_lo, 1.0, v[218:219], 1.0
	v_mul_f64 v[235:236], v[233:234], v[224:225]
	v_fma_f64 v[220:221], -v[220:221], v[235:236], v[233:234]
	v_div_fmas_f64 v[220:221], v[220:221], v[224:225], v[235:236]
	v_div_fixup_f64 v[220:221], v[220:221], v[218:219], 1.0
	v_mul_f64 v[218:219], v[222:223], v[220:221]
	v_xor_b32_e32 v221, 0x80000000, v221
.LBB106_532:
	s_andn2_saveexec_b32 s1, s1
	s_cbranch_execz .LBB106_534
; %bb.533:
	v_div_scale_f64 v[222:223], null, v[218:219], v[218:219], v[220:221]
	v_div_scale_f64 v[235:236], vcc_lo, v[220:221], v[218:219], v[220:221]
	v_rcp_f64_e32 v[224:225], v[222:223]
	v_fma_f64 v[233:234], -v[222:223], v[224:225], 1.0
	v_fma_f64 v[224:225], v[224:225], v[233:234], v[224:225]
	v_fma_f64 v[233:234], -v[222:223], v[224:225], 1.0
	v_fma_f64 v[224:225], v[224:225], v[233:234], v[224:225]
	v_mul_f64 v[233:234], v[235:236], v[224:225]
	v_fma_f64 v[222:223], -v[222:223], v[233:234], v[235:236]
	v_div_fmas_f64 v[222:223], v[222:223], v[224:225], v[233:234]
	v_div_fixup_f64 v[222:223], v[222:223], v[218:219], v[220:221]
	v_fma_f64 v[218:219], v[220:221], v[222:223], v[218:219]
	v_div_scale_f64 v[220:221], null, v[218:219], v[218:219], 1.0
	v_rcp_f64_e32 v[224:225], v[220:221]
	v_fma_f64 v[233:234], -v[220:221], v[224:225], 1.0
	v_fma_f64 v[224:225], v[224:225], v[233:234], v[224:225]
	v_fma_f64 v[233:234], -v[220:221], v[224:225], 1.0
	v_fma_f64 v[224:225], v[224:225], v[233:234], v[224:225]
	v_div_scale_f64 v[233:234], vcc_lo, 1.0, v[218:219], 1.0
	v_mul_f64 v[235:236], v[233:234], v[224:225]
	v_fma_f64 v[220:221], -v[220:221], v[235:236], v[233:234]
	v_div_fmas_f64 v[220:221], v[220:221], v[224:225], v[235:236]
	v_div_fixup_f64 v[218:219], v[220:221], v[218:219], 1.0
	v_mul_f64 v[220:221], v[222:223], -v[218:219]
.LBB106_534:
	s_or_b32 exec_lo, exec_lo, s1
.LBB106_535:
	s_or_b32 exec_lo, exec_lo, s0
	s_mov_b32 s0, exec_lo
	v_cmpx_ne_u32_e64 v232, v226
	s_xor_b32 s0, exec_lo, s0
	s_cbranch_execz .LBB106_541
; %bb.536:
	s_mov_b32 s1, exec_lo
	v_cmpx_eq_u32_e32 25, v232
	s_cbranch_execz .LBB106_540
; %bb.537:
	v_cmp_ne_u32_e32 vcc_lo, 25, v226
	s_xor_b32 s7, s16, -1
	s_and_b32 s9, s7, vcc_lo
	s_and_saveexec_b32 s7, s9
	s_cbranch_execz .LBB106_539
; %bb.538:
	s_clause 0x1
	buffer_load_dword v214, off, s[20:23], 0
	buffer_load_dword v215, off, s[20:23], 0 offset:4
	v_ashrrev_i32_e32 v227, 31, v226
	v_lshlrev_b64 v[222:223], 2, v[226:227]
	s_waitcnt vmcnt(1)
	v_add_co_u32 v222, vcc_lo, v214, v222
	s_waitcnt vmcnt(0)
	v_add_co_ci_u32_e64 v223, null, v215, v223, vcc_lo
	s_clause 0x1
	global_load_dword v0, v[222:223], off
	global_load_dword v224, v[214:215], off offset:100
	s_waitcnt vmcnt(1)
	global_store_dword v[214:215], v0, off offset:100
	s_waitcnt vmcnt(0)
	global_store_dword v[222:223], v224, off
.LBB106_539:
	s_or_b32 exec_lo, exec_lo, s7
	v_mov_b32_e32 v232, v226
	v_mov_b32_e32 v0, v226
.LBB106_540:
	s_or_b32 exec_lo, exec_lo, s1
.LBB106_541:
	s_andn2_saveexec_b32 s0, s0
	s_cbranch_execz .LBB106_543
; %bb.542:
	v_mov_b32_e32 v232, 25
	ds_write2_b64 v1, v[110:111], v[112:113] offset0:52 offset1:53
	ds_write2_b64 v1, v[106:107], v[108:109] offset0:54 offset1:55
	;; [unrolled: 1-line block ×28, first 2 shown]
.LBB106_543:
	s_or_b32 exec_lo, exec_lo, s0
	s_mov_b32 s0, exec_lo
	s_waitcnt lgkmcnt(0)
	s_waitcnt_vscnt null, 0x0
	s_barrier
	buffer_gl0_inv
	v_cmpx_lt_i32_e32 25, v232
	s_cbranch_execz .LBB106_545
; %bb.544:
	v_mul_f64 v[222:223], v[220:221], v[116:117]
	v_mul_f64 v[116:117], v[218:219], v[116:117]
	v_fma_f64 v[226:227], v[218:219], v[114:115], -v[222:223]
	v_fma_f64 v[116:117], v[220:221], v[114:115], v[116:117]
	ds_read2_b64 v[218:221], v1 offset0:52 offset1:53
	s_waitcnt lgkmcnt(0)
	v_mul_f64 v[114:115], v[220:221], v[116:117]
	v_fma_f64 v[114:115], v[218:219], v[226:227], -v[114:115]
	v_mul_f64 v[218:219], v[218:219], v[116:117]
	v_add_f64 v[110:111], v[110:111], -v[114:115]
	v_fma_f64 v[218:219], v[220:221], v[226:227], v[218:219]
	v_add_f64 v[112:113], v[112:113], -v[218:219]
	ds_read2_b64 v[218:221], v1 offset0:54 offset1:55
	s_waitcnt lgkmcnt(0)
	v_mul_f64 v[114:115], v[220:221], v[116:117]
	v_fma_f64 v[114:115], v[218:219], v[226:227], -v[114:115]
	v_mul_f64 v[218:219], v[218:219], v[116:117]
	v_add_f64 v[106:107], v[106:107], -v[114:115]
	v_fma_f64 v[218:219], v[220:221], v[226:227], v[218:219]
	v_add_f64 v[108:109], v[108:109], -v[218:219]
	;; [unrolled: 8-line block ×27, first 2 shown]
	ds_read2_b64 v[218:221], v1 offset0:106 offset1:107
	s_waitcnt lgkmcnt(0)
	v_mul_f64 v[114:115], v[220:221], v[116:117]
	v_fma_f64 v[114:115], v[218:219], v[226:227], -v[114:115]
	v_mul_f64 v[218:219], v[218:219], v[116:117]
	v_add_f64 v[2:3], v[2:3], -v[114:115]
	v_fma_f64 v[218:219], v[220:221], v[226:227], v[218:219]
	v_mov_b32_e32 v114, v226
	v_mov_b32_e32 v115, v227
	v_add_f64 v[4:5], v[4:5], -v[218:219]
.LBB106_545:
	s_or_b32 exec_lo, exec_lo, s0
	v_lshl_add_u32 v218, v232, 4, v1
	s_barrier
	buffer_gl0_inv
	v_mov_b32_e32 v226, 26
	ds_write2_b64 v218, v[110:111], v[112:113] offset1:1
	s_waitcnt lgkmcnt(0)
	s_barrier
	buffer_gl0_inv
	ds_read2_b64 v[218:221], v1 offset0:52 offset1:53
	s_cmp_lt_i32 s8, 28
	s_cbranch_scc1 .LBB106_548
; %bb.546:
	v_add3_u32 v227, v228, 0, 0x1b0
	v_mov_b32_e32 v226, 26
	s_mov_b32 s1, 27
	s_inst_prefetch 0x1
	.p2align	6
.LBB106_547:                            ; =>This Inner Loop Header: Depth=1
	s_waitcnt lgkmcnt(0)
	v_cmp_gt_f64_e32 vcc_lo, 0, v[220:221]
	v_cmp_gt_f64_e64 s0, 0, v[218:219]
	ds_read2_b64 v[233:236], v227 offset1:1
	v_xor_b32_e32 v223, 0x80000000, v219
	v_xor_b32_e32 v225, 0x80000000, v221
	v_mov_b32_e32 v222, v218
	v_mov_b32_e32 v224, v220
	v_add_nc_u32_e32 v227, 16, v227
	s_waitcnt lgkmcnt(0)
	v_xor_b32_e32 v238, 0x80000000, v236
	v_cndmask_b32_e64 v223, v219, v223, s0
	v_cndmask_b32_e32 v225, v221, v225, vcc_lo
	v_cmp_gt_f64_e32 vcc_lo, 0, v[235:236]
	v_cmp_gt_f64_e64 s0, 0, v[233:234]
	v_mov_b32_e32 v237, v235
	v_add_f64 v[222:223], v[222:223], v[224:225]
	v_xor_b32_e32 v225, 0x80000000, v234
	v_mov_b32_e32 v224, v233
	v_cndmask_b32_e32 v238, v236, v238, vcc_lo
	v_cndmask_b32_e64 v225, v234, v225, s0
	v_add_f64 v[224:225], v[224:225], v[237:238]
	v_cmp_lt_f64_e32 vcc_lo, v[222:223], v[224:225]
	v_cndmask_b32_e32 v219, v219, v234, vcc_lo
	v_cndmask_b32_e32 v218, v218, v233, vcc_lo
	;; [unrolled: 1-line block ×4, first 2 shown]
	v_cndmask_b32_e64 v226, v226, s1, vcc_lo
	s_add_i32 s1, s1, 1
	s_cmp_lg_u32 s8, s1
	s_cbranch_scc1 .LBB106_547
.LBB106_548:
	s_inst_prefetch 0x2
	s_waitcnt lgkmcnt(0)
	v_cmp_eq_f64_e32 vcc_lo, 0, v[218:219]
	v_cmp_eq_f64_e64 s0, 0, v[220:221]
	s_and_b32 s0, vcc_lo, s0
	s_and_saveexec_b32 s1, s0
	s_xor_b32 s0, exec_lo, s1
; %bb.549:
	v_cmp_ne_u32_e32 vcc_lo, 0, v231
	v_cndmask_b32_e32 v231, 27, v231, vcc_lo
; %bb.550:
	s_andn2_saveexec_b32 s0, s0
	s_cbranch_execz .LBB106_556
; %bb.551:
	v_cmp_ngt_f64_e64 s1, |v[218:219]|, |v[220:221]|
	s_and_saveexec_b32 s7, s1
	s_xor_b32 s1, exec_lo, s7
	s_cbranch_execz .LBB106_553
; %bb.552:
	v_div_scale_f64 v[222:223], null, v[220:221], v[220:221], v[218:219]
	v_div_scale_f64 v[235:236], vcc_lo, v[218:219], v[220:221], v[218:219]
	v_rcp_f64_e32 v[224:225], v[222:223]
	v_fma_f64 v[233:234], -v[222:223], v[224:225], 1.0
	v_fma_f64 v[224:225], v[224:225], v[233:234], v[224:225]
	v_fma_f64 v[233:234], -v[222:223], v[224:225], 1.0
	v_fma_f64 v[224:225], v[224:225], v[233:234], v[224:225]
	v_mul_f64 v[233:234], v[235:236], v[224:225]
	v_fma_f64 v[222:223], -v[222:223], v[233:234], v[235:236]
	v_div_fmas_f64 v[222:223], v[222:223], v[224:225], v[233:234]
	v_div_fixup_f64 v[222:223], v[222:223], v[220:221], v[218:219]
	v_fma_f64 v[218:219], v[218:219], v[222:223], v[220:221]
	v_div_scale_f64 v[220:221], null, v[218:219], v[218:219], 1.0
	v_rcp_f64_e32 v[224:225], v[220:221]
	v_fma_f64 v[233:234], -v[220:221], v[224:225], 1.0
	v_fma_f64 v[224:225], v[224:225], v[233:234], v[224:225]
	v_fma_f64 v[233:234], -v[220:221], v[224:225], 1.0
	v_fma_f64 v[224:225], v[224:225], v[233:234], v[224:225]
	v_div_scale_f64 v[233:234], vcc_lo, 1.0, v[218:219], 1.0
	v_mul_f64 v[235:236], v[233:234], v[224:225]
	v_fma_f64 v[220:221], -v[220:221], v[235:236], v[233:234]
	v_div_fmas_f64 v[220:221], v[220:221], v[224:225], v[235:236]
	v_div_fixup_f64 v[220:221], v[220:221], v[218:219], 1.0
	v_mul_f64 v[218:219], v[222:223], v[220:221]
	v_xor_b32_e32 v221, 0x80000000, v221
.LBB106_553:
	s_andn2_saveexec_b32 s1, s1
	s_cbranch_execz .LBB106_555
; %bb.554:
	v_div_scale_f64 v[222:223], null, v[218:219], v[218:219], v[220:221]
	v_div_scale_f64 v[235:236], vcc_lo, v[220:221], v[218:219], v[220:221]
	v_rcp_f64_e32 v[224:225], v[222:223]
	v_fma_f64 v[233:234], -v[222:223], v[224:225], 1.0
	v_fma_f64 v[224:225], v[224:225], v[233:234], v[224:225]
	v_fma_f64 v[233:234], -v[222:223], v[224:225], 1.0
	v_fma_f64 v[224:225], v[224:225], v[233:234], v[224:225]
	v_mul_f64 v[233:234], v[235:236], v[224:225]
	v_fma_f64 v[222:223], -v[222:223], v[233:234], v[235:236]
	v_div_fmas_f64 v[222:223], v[222:223], v[224:225], v[233:234]
	v_div_fixup_f64 v[222:223], v[222:223], v[218:219], v[220:221]
	v_fma_f64 v[218:219], v[220:221], v[222:223], v[218:219]
	v_div_scale_f64 v[220:221], null, v[218:219], v[218:219], 1.0
	v_rcp_f64_e32 v[224:225], v[220:221]
	v_fma_f64 v[233:234], -v[220:221], v[224:225], 1.0
	v_fma_f64 v[224:225], v[224:225], v[233:234], v[224:225]
	v_fma_f64 v[233:234], -v[220:221], v[224:225], 1.0
	v_fma_f64 v[224:225], v[224:225], v[233:234], v[224:225]
	v_div_scale_f64 v[233:234], vcc_lo, 1.0, v[218:219], 1.0
	v_mul_f64 v[235:236], v[233:234], v[224:225]
	v_fma_f64 v[220:221], -v[220:221], v[235:236], v[233:234]
	v_div_fmas_f64 v[220:221], v[220:221], v[224:225], v[235:236]
	v_div_fixup_f64 v[218:219], v[220:221], v[218:219], 1.0
	v_mul_f64 v[220:221], v[222:223], -v[218:219]
.LBB106_555:
	s_or_b32 exec_lo, exec_lo, s1
.LBB106_556:
	s_or_b32 exec_lo, exec_lo, s0
	s_mov_b32 s0, exec_lo
	v_cmpx_ne_u32_e64 v232, v226
	s_xor_b32 s0, exec_lo, s0
	s_cbranch_execz .LBB106_562
; %bb.557:
	s_mov_b32 s1, exec_lo
	v_cmpx_eq_u32_e32 26, v232
	s_cbranch_execz .LBB106_561
; %bb.558:
	v_cmp_ne_u32_e32 vcc_lo, 26, v226
	s_xor_b32 s7, s16, -1
	s_and_b32 s9, s7, vcc_lo
	s_and_saveexec_b32 s7, s9
	s_cbranch_execz .LBB106_560
; %bb.559:
	s_clause 0x1
	buffer_load_dword v214, off, s[20:23], 0
	buffer_load_dword v215, off, s[20:23], 0 offset:4
	v_ashrrev_i32_e32 v227, 31, v226
	v_lshlrev_b64 v[222:223], 2, v[226:227]
	s_waitcnt vmcnt(1)
	v_add_co_u32 v222, vcc_lo, v214, v222
	s_waitcnt vmcnt(0)
	v_add_co_ci_u32_e64 v223, null, v215, v223, vcc_lo
	s_clause 0x1
	global_load_dword v0, v[222:223], off
	global_load_dword v224, v[214:215], off offset:104
	s_waitcnt vmcnt(1)
	global_store_dword v[214:215], v0, off offset:104
	s_waitcnt vmcnt(0)
	global_store_dword v[222:223], v224, off
.LBB106_560:
	s_or_b32 exec_lo, exec_lo, s7
	v_mov_b32_e32 v232, v226
	v_mov_b32_e32 v0, v226
.LBB106_561:
	s_or_b32 exec_lo, exec_lo, s1
.LBB106_562:
	s_andn2_saveexec_b32 s0, s0
	s_cbranch_execz .LBB106_564
; %bb.563:
	v_mov_b32_e32 v232, 26
	ds_write2_b64 v1, v[106:107], v[108:109] offset0:54 offset1:55
	ds_write2_b64 v1, v[102:103], v[104:105] offset0:56 offset1:57
	ds_write2_b64 v1, v[98:99], v[100:101] offset0:58 offset1:59
	ds_write2_b64 v1, v[94:95], v[96:97] offset0:60 offset1:61
	ds_write2_b64 v1, v[90:91], v[92:93] offset0:62 offset1:63
	ds_write2_b64 v1, v[86:87], v[88:89] offset0:64 offset1:65
	ds_write2_b64 v1, v[82:83], v[84:85] offset0:66 offset1:67
	ds_write2_b64 v1, v[78:79], v[80:81] offset0:68 offset1:69
	ds_write2_b64 v1, v[74:75], v[76:77] offset0:70 offset1:71
	ds_write2_b64 v1, v[70:71], v[72:73] offset0:72 offset1:73
	ds_write2_b64 v1, v[66:67], v[68:69] offset0:74 offset1:75
	ds_write2_b64 v1, v[62:63], v[64:65] offset0:76 offset1:77
	ds_write2_b64 v1, v[58:59], v[60:61] offset0:78 offset1:79
	ds_write2_b64 v1, v[54:55], v[56:57] offset0:80 offset1:81
	ds_write2_b64 v1, v[50:51], v[52:53] offset0:82 offset1:83
	ds_write2_b64 v1, v[46:47], v[48:49] offset0:84 offset1:85
	ds_write2_b64 v1, v[42:43], v[44:45] offset0:86 offset1:87
	ds_write2_b64 v1, v[38:39], v[40:41] offset0:88 offset1:89
	ds_write2_b64 v1, v[34:35], v[36:37] offset0:90 offset1:91
	ds_write2_b64 v1, v[30:31], v[32:33] offset0:92 offset1:93
	ds_write2_b64 v1, v[26:27], v[28:29] offset0:94 offset1:95
	ds_write2_b64 v1, v[22:23], v[24:25] offset0:96 offset1:97
	ds_write2_b64 v1, v[18:19], v[20:21] offset0:98 offset1:99
	ds_write2_b64 v1, v[14:15], v[16:17] offset0:100 offset1:101
	ds_write2_b64 v1, v[10:11], v[12:13] offset0:102 offset1:103
	ds_write2_b64 v1, v[6:7], v[8:9] offset0:104 offset1:105
	ds_write2_b64 v1, v[2:3], v[4:5] offset0:106 offset1:107
.LBB106_564:
	s_or_b32 exec_lo, exec_lo, s0
	s_mov_b32 s0, exec_lo
	s_waitcnt lgkmcnt(0)
	s_waitcnt_vscnt null, 0x0
	s_barrier
	buffer_gl0_inv
	v_cmpx_lt_i32_e32 26, v232
	s_cbranch_execz .LBB106_566
; %bb.565:
	v_mul_f64 v[222:223], v[220:221], v[112:113]
	v_mul_f64 v[112:113], v[218:219], v[112:113]
	v_fma_f64 v[226:227], v[218:219], v[110:111], -v[222:223]
	v_fma_f64 v[112:113], v[220:221], v[110:111], v[112:113]
	ds_read2_b64 v[218:221], v1 offset0:54 offset1:55
	s_waitcnt lgkmcnt(0)
	v_mul_f64 v[110:111], v[220:221], v[112:113]
	v_fma_f64 v[110:111], v[218:219], v[226:227], -v[110:111]
	v_mul_f64 v[218:219], v[218:219], v[112:113]
	v_add_f64 v[106:107], v[106:107], -v[110:111]
	v_fma_f64 v[218:219], v[220:221], v[226:227], v[218:219]
	v_add_f64 v[108:109], v[108:109], -v[218:219]
	ds_read2_b64 v[218:221], v1 offset0:56 offset1:57
	s_waitcnt lgkmcnt(0)
	v_mul_f64 v[110:111], v[220:221], v[112:113]
	v_fma_f64 v[110:111], v[218:219], v[226:227], -v[110:111]
	v_mul_f64 v[218:219], v[218:219], v[112:113]
	v_add_f64 v[102:103], v[102:103], -v[110:111]
	v_fma_f64 v[218:219], v[220:221], v[226:227], v[218:219]
	v_add_f64 v[104:105], v[104:105], -v[218:219]
	;; [unrolled: 8-line block ×26, first 2 shown]
	ds_read2_b64 v[218:221], v1 offset0:106 offset1:107
	s_waitcnt lgkmcnt(0)
	v_mul_f64 v[110:111], v[220:221], v[112:113]
	v_fma_f64 v[110:111], v[218:219], v[226:227], -v[110:111]
	v_mul_f64 v[218:219], v[218:219], v[112:113]
	v_add_f64 v[2:3], v[2:3], -v[110:111]
	v_fma_f64 v[218:219], v[220:221], v[226:227], v[218:219]
	v_mov_b32_e32 v110, v226
	v_mov_b32_e32 v111, v227
	v_add_f64 v[4:5], v[4:5], -v[218:219]
.LBB106_566:
	s_or_b32 exec_lo, exec_lo, s0
	v_lshl_add_u32 v218, v232, 4, v1
	s_barrier
	buffer_gl0_inv
	v_mov_b32_e32 v226, 27
	ds_write2_b64 v218, v[106:107], v[108:109] offset1:1
	s_waitcnt lgkmcnt(0)
	s_barrier
	buffer_gl0_inv
	ds_read2_b64 v[218:221], v1 offset0:54 offset1:55
	s_cmp_lt_i32 s8, 29
	s_cbranch_scc1 .LBB106_569
; %bb.567:
	v_add3_u32 v227, v228, 0, 0x1c0
	v_mov_b32_e32 v226, 27
	s_mov_b32 s1, 28
	s_inst_prefetch 0x1
	.p2align	6
.LBB106_568:                            ; =>This Inner Loop Header: Depth=1
	s_waitcnt lgkmcnt(0)
	v_cmp_gt_f64_e32 vcc_lo, 0, v[220:221]
	v_cmp_gt_f64_e64 s0, 0, v[218:219]
	ds_read2_b64 v[233:236], v227 offset1:1
	v_xor_b32_e32 v223, 0x80000000, v219
	v_xor_b32_e32 v225, 0x80000000, v221
	v_mov_b32_e32 v222, v218
	v_mov_b32_e32 v224, v220
	v_add_nc_u32_e32 v227, 16, v227
	s_waitcnt lgkmcnt(0)
	v_xor_b32_e32 v238, 0x80000000, v236
	v_cndmask_b32_e64 v223, v219, v223, s0
	v_cndmask_b32_e32 v225, v221, v225, vcc_lo
	v_cmp_gt_f64_e32 vcc_lo, 0, v[235:236]
	v_cmp_gt_f64_e64 s0, 0, v[233:234]
	v_mov_b32_e32 v237, v235
	v_add_f64 v[222:223], v[222:223], v[224:225]
	v_xor_b32_e32 v225, 0x80000000, v234
	v_mov_b32_e32 v224, v233
	v_cndmask_b32_e32 v238, v236, v238, vcc_lo
	v_cndmask_b32_e64 v225, v234, v225, s0
	v_add_f64 v[224:225], v[224:225], v[237:238]
	v_cmp_lt_f64_e32 vcc_lo, v[222:223], v[224:225]
	v_cndmask_b32_e32 v219, v219, v234, vcc_lo
	v_cndmask_b32_e32 v218, v218, v233, vcc_lo
	;; [unrolled: 1-line block ×4, first 2 shown]
	v_cndmask_b32_e64 v226, v226, s1, vcc_lo
	s_add_i32 s1, s1, 1
	s_cmp_lg_u32 s8, s1
	s_cbranch_scc1 .LBB106_568
.LBB106_569:
	s_inst_prefetch 0x2
	s_waitcnt lgkmcnt(0)
	v_cmp_eq_f64_e32 vcc_lo, 0, v[218:219]
	v_cmp_eq_f64_e64 s0, 0, v[220:221]
	s_and_b32 s0, vcc_lo, s0
	s_and_saveexec_b32 s1, s0
	s_xor_b32 s0, exec_lo, s1
; %bb.570:
	v_cmp_ne_u32_e32 vcc_lo, 0, v231
	v_cndmask_b32_e32 v231, 28, v231, vcc_lo
; %bb.571:
	s_andn2_saveexec_b32 s0, s0
	s_cbranch_execz .LBB106_577
; %bb.572:
	v_cmp_ngt_f64_e64 s1, |v[218:219]|, |v[220:221]|
	s_and_saveexec_b32 s7, s1
	s_xor_b32 s1, exec_lo, s7
	s_cbranch_execz .LBB106_574
; %bb.573:
	v_div_scale_f64 v[222:223], null, v[220:221], v[220:221], v[218:219]
	v_div_scale_f64 v[235:236], vcc_lo, v[218:219], v[220:221], v[218:219]
	v_rcp_f64_e32 v[224:225], v[222:223]
	v_fma_f64 v[233:234], -v[222:223], v[224:225], 1.0
	v_fma_f64 v[224:225], v[224:225], v[233:234], v[224:225]
	v_fma_f64 v[233:234], -v[222:223], v[224:225], 1.0
	v_fma_f64 v[224:225], v[224:225], v[233:234], v[224:225]
	v_mul_f64 v[233:234], v[235:236], v[224:225]
	v_fma_f64 v[222:223], -v[222:223], v[233:234], v[235:236]
	v_div_fmas_f64 v[222:223], v[222:223], v[224:225], v[233:234]
	v_div_fixup_f64 v[222:223], v[222:223], v[220:221], v[218:219]
	v_fma_f64 v[218:219], v[218:219], v[222:223], v[220:221]
	v_div_scale_f64 v[220:221], null, v[218:219], v[218:219], 1.0
	v_rcp_f64_e32 v[224:225], v[220:221]
	v_fma_f64 v[233:234], -v[220:221], v[224:225], 1.0
	v_fma_f64 v[224:225], v[224:225], v[233:234], v[224:225]
	v_fma_f64 v[233:234], -v[220:221], v[224:225], 1.0
	v_fma_f64 v[224:225], v[224:225], v[233:234], v[224:225]
	v_div_scale_f64 v[233:234], vcc_lo, 1.0, v[218:219], 1.0
	v_mul_f64 v[235:236], v[233:234], v[224:225]
	v_fma_f64 v[220:221], -v[220:221], v[235:236], v[233:234]
	v_div_fmas_f64 v[220:221], v[220:221], v[224:225], v[235:236]
	v_div_fixup_f64 v[220:221], v[220:221], v[218:219], 1.0
	v_mul_f64 v[218:219], v[222:223], v[220:221]
	v_xor_b32_e32 v221, 0x80000000, v221
.LBB106_574:
	s_andn2_saveexec_b32 s1, s1
	s_cbranch_execz .LBB106_576
; %bb.575:
	v_div_scale_f64 v[222:223], null, v[218:219], v[218:219], v[220:221]
	v_div_scale_f64 v[235:236], vcc_lo, v[220:221], v[218:219], v[220:221]
	v_rcp_f64_e32 v[224:225], v[222:223]
	v_fma_f64 v[233:234], -v[222:223], v[224:225], 1.0
	v_fma_f64 v[224:225], v[224:225], v[233:234], v[224:225]
	v_fma_f64 v[233:234], -v[222:223], v[224:225], 1.0
	v_fma_f64 v[224:225], v[224:225], v[233:234], v[224:225]
	v_mul_f64 v[233:234], v[235:236], v[224:225]
	v_fma_f64 v[222:223], -v[222:223], v[233:234], v[235:236]
	v_div_fmas_f64 v[222:223], v[222:223], v[224:225], v[233:234]
	v_div_fixup_f64 v[222:223], v[222:223], v[218:219], v[220:221]
	v_fma_f64 v[218:219], v[220:221], v[222:223], v[218:219]
	v_div_scale_f64 v[220:221], null, v[218:219], v[218:219], 1.0
	v_rcp_f64_e32 v[224:225], v[220:221]
	v_fma_f64 v[233:234], -v[220:221], v[224:225], 1.0
	v_fma_f64 v[224:225], v[224:225], v[233:234], v[224:225]
	v_fma_f64 v[233:234], -v[220:221], v[224:225], 1.0
	v_fma_f64 v[224:225], v[224:225], v[233:234], v[224:225]
	v_div_scale_f64 v[233:234], vcc_lo, 1.0, v[218:219], 1.0
	v_mul_f64 v[235:236], v[233:234], v[224:225]
	v_fma_f64 v[220:221], -v[220:221], v[235:236], v[233:234]
	v_div_fmas_f64 v[220:221], v[220:221], v[224:225], v[235:236]
	v_div_fixup_f64 v[218:219], v[220:221], v[218:219], 1.0
	v_mul_f64 v[220:221], v[222:223], -v[218:219]
.LBB106_576:
	s_or_b32 exec_lo, exec_lo, s1
.LBB106_577:
	s_or_b32 exec_lo, exec_lo, s0
	s_mov_b32 s0, exec_lo
	v_cmpx_ne_u32_e64 v232, v226
	s_xor_b32 s0, exec_lo, s0
	s_cbranch_execz .LBB106_583
; %bb.578:
	s_mov_b32 s1, exec_lo
	v_cmpx_eq_u32_e32 27, v232
	s_cbranch_execz .LBB106_582
; %bb.579:
	v_cmp_ne_u32_e32 vcc_lo, 27, v226
	s_xor_b32 s7, s16, -1
	s_and_b32 s9, s7, vcc_lo
	s_and_saveexec_b32 s7, s9
	s_cbranch_execz .LBB106_581
; %bb.580:
	s_clause 0x1
	buffer_load_dword v214, off, s[20:23], 0
	buffer_load_dword v215, off, s[20:23], 0 offset:4
	v_ashrrev_i32_e32 v227, 31, v226
	v_lshlrev_b64 v[222:223], 2, v[226:227]
	s_waitcnt vmcnt(1)
	v_add_co_u32 v222, vcc_lo, v214, v222
	s_waitcnt vmcnt(0)
	v_add_co_ci_u32_e64 v223, null, v215, v223, vcc_lo
	s_clause 0x1
	global_load_dword v0, v[222:223], off
	global_load_dword v224, v[214:215], off offset:108
	s_waitcnt vmcnt(1)
	global_store_dword v[214:215], v0, off offset:108
	s_waitcnt vmcnt(0)
	global_store_dword v[222:223], v224, off
.LBB106_581:
	s_or_b32 exec_lo, exec_lo, s7
	v_mov_b32_e32 v232, v226
	v_mov_b32_e32 v0, v226
.LBB106_582:
	s_or_b32 exec_lo, exec_lo, s1
.LBB106_583:
	s_andn2_saveexec_b32 s0, s0
	s_cbranch_execz .LBB106_585
; %bb.584:
	v_mov_b32_e32 v232, 27
	ds_write2_b64 v1, v[102:103], v[104:105] offset0:56 offset1:57
	ds_write2_b64 v1, v[98:99], v[100:101] offset0:58 offset1:59
	;; [unrolled: 1-line block ×26, first 2 shown]
.LBB106_585:
	s_or_b32 exec_lo, exec_lo, s0
	s_mov_b32 s0, exec_lo
	s_waitcnt lgkmcnt(0)
	s_waitcnt_vscnt null, 0x0
	s_barrier
	buffer_gl0_inv
	v_cmpx_lt_i32_e32 27, v232
	s_cbranch_execz .LBB106_587
; %bb.586:
	v_mul_f64 v[222:223], v[220:221], v[108:109]
	v_mul_f64 v[108:109], v[218:219], v[108:109]
	v_fma_f64 v[226:227], v[218:219], v[106:107], -v[222:223]
	v_fma_f64 v[108:109], v[220:221], v[106:107], v[108:109]
	ds_read2_b64 v[218:221], v1 offset0:56 offset1:57
	s_waitcnt lgkmcnt(0)
	v_mul_f64 v[106:107], v[220:221], v[108:109]
	v_fma_f64 v[106:107], v[218:219], v[226:227], -v[106:107]
	v_mul_f64 v[218:219], v[218:219], v[108:109]
	v_add_f64 v[102:103], v[102:103], -v[106:107]
	v_fma_f64 v[218:219], v[220:221], v[226:227], v[218:219]
	v_add_f64 v[104:105], v[104:105], -v[218:219]
	ds_read2_b64 v[218:221], v1 offset0:58 offset1:59
	s_waitcnt lgkmcnt(0)
	v_mul_f64 v[106:107], v[220:221], v[108:109]
	v_fma_f64 v[106:107], v[218:219], v[226:227], -v[106:107]
	v_mul_f64 v[218:219], v[218:219], v[108:109]
	v_add_f64 v[98:99], v[98:99], -v[106:107]
	v_fma_f64 v[218:219], v[220:221], v[226:227], v[218:219]
	v_add_f64 v[100:101], v[100:101], -v[218:219]
	ds_read2_b64 v[218:221], v1 offset0:60 offset1:61
	s_waitcnt lgkmcnt(0)
	v_mul_f64 v[106:107], v[220:221], v[108:109]
	v_fma_f64 v[106:107], v[218:219], v[226:227], -v[106:107]
	v_mul_f64 v[218:219], v[218:219], v[108:109]
	v_add_f64 v[94:95], v[94:95], -v[106:107]
	v_fma_f64 v[218:219], v[220:221], v[226:227], v[218:219]
	v_add_f64 v[96:97], v[96:97], -v[218:219]
	ds_read2_b64 v[218:221], v1 offset0:62 offset1:63
	s_waitcnt lgkmcnt(0)
	v_mul_f64 v[106:107], v[220:221], v[108:109]
	v_fma_f64 v[106:107], v[218:219], v[226:227], -v[106:107]
	v_mul_f64 v[218:219], v[218:219], v[108:109]
	v_add_f64 v[90:91], v[90:91], -v[106:107]
	v_fma_f64 v[218:219], v[220:221], v[226:227], v[218:219]
	v_add_f64 v[92:93], v[92:93], -v[218:219]
	ds_read2_b64 v[218:221], v1 offset0:64 offset1:65
	s_waitcnt lgkmcnt(0)
	v_mul_f64 v[106:107], v[220:221], v[108:109]
	v_fma_f64 v[106:107], v[218:219], v[226:227], -v[106:107]
	v_mul_f64 v[218:219], v[218:219], v[108:109]
	v_add_f64 v[86:87], v[86:87], -v[106:107]
	v_fma_f64 v[218:219], v[220:221], v[226:227], v[218:219]
	v_add_f64 v[88:89], v[88:89], -v[218:219]
	ds_read2_b64 v[218:221], v1 offset0:66 offset1:67
	s_waitcnt lgkmcnt(0)
	v_mul_f64 v[106:107], v[220:221], v[108:109]
	v_fma_f64 v[106:107], v[218:219], v[226:227], -v[106:107]
	v_mul_f64 v[218:219], v[218:219], v[108:109]
	v_add_f64 v[82:83], v[82:83], -v[106:107]
	v_fma_f64 v[218:219], v[220:221], v[226:227], v[218:219]
	v_add_f64 v[84:85], v[84:85], -v[218:219]
	ds_read2_b64 v[218:221], v1 offset0:68 offset1:69
	s_waitcnt lgkmcnt(0)
	v_mul_f64 v[106:107], v[220:221], v[108:109]
	v_fma_f64 v[106:107], v[218:219], v[226:227], -v[106:107]
	v_mul_f64 v[218:219], v[218:219], v[108:109]
	v_add_f64 v[78:79], v[78:79], -v[106:107]
	v_fma_f64 v[218:219], v[220:221], v[226:227], v[218:219]
	v_add_f64 v[80:81], v[80:81], -v[218:219]
	ds_read2_b64 v[218:221], v1 offset0:70 offset1:71
	s_waitcnt lgkmcnt(0)
	v_mul_f64 v[106:107], v[220:221], v[108:109]
	v_fma_f64 v[106:107], v[218:219], v[226:227], -v[106:107]
	v_mul_f64 v[218:219], v[218:219], v[108:109]
	v_add_f64 v[74:75], v[74:75], -v[106:107]
	v_fma_f64 v[218:219], v[220:221], v[226:227], v[218:219]
	v_add_f64 v[76:77], v[76:77], -v[218:219]
	ds_read2_b64 v[218:221], v1 offset0:72 offset1:73
	s_waitcnt lgkmcnt(0)
	v_mul_f64 v[106:107], v[220:221], v[108:109]
	v_fma_f64 v[106:107], v[218:219], v[226:227], -v[106:107]
	v_mul_f64 v[218:219], v[218:219], v[108:109]
	v_add_f64 v[70:71], v[70:71], -v[106:107]
	v_fma_f64 v[218:219], v[220:221], v[226:227], v[218:219]
	v_add_f64 v[72:73], v[72:73], -v[218:219]
	ds_read2_b64 v[218:221], v1 offset0:74 offset1:75
	s_waitcnt lgkmcnt(0)
	v_mul_f64 v[106:107], v[220:221], v[108:109]
	v_fma_f64 v[106:107], v[218:219], v[226:227], -v[106:107]
	v_mul_f64 v[218:219], v[218:219], v[108:109]
	v_add_f64 v[66:67], v[66:67], -v[106:107]
	v_fma_f64 v[218:219], v[220:221], v[226:227], v[218:219]
	v_add_f64 v[68:69], v[68:69], -v[218:219]
	ds_read2_b64 v[218:221], v1 offset0:76 offset1:77
	s_waitcnt lgkmcnt(0)
	v_mul_f64 v[106:107], v[220:221], v[108:109]
	v_fma_f64 v[106:107], v[218:219], v[226:227], -v[106:107]
	v_mul_f64 v[218:219], v[218:219], v[108:109]
	v_add_f64 v[62:63], v[62:63], -v[106:107]
	v_fma_f64 v[218:219], v[220:221], v[226:227], v[218:219]
	v_add_f64 v[64:65], v[64:65], -v[218:219]
	ds_read2_b64 v[218:221], v1 offset0:78 offset1:79
	s_waitcnt lgkmcnt(0)
	v_mul_f64 v[106:107], v[220:221], v[108:109]
	v_fma_f64 v[106:107], v[218:219], v[226:227], -v[106:107]
	v_mul_f64 v[218:219], v[218:219], v[108:109]
	v_add_f64 v[58:59], v[58:59], -v[106:107]
	v_fma_f64 v[218:219], v[220:221], v[226:227], v[218:219]
	v_add_f64 v[60:61], v[60:61], -v[218:219]
	ds_read2_b64 v[218:221], v1 offset0:80 offset1:81
	s_waitcnt lgkmcnt(0)
	v_mul_f64 v[106:107], v[220:221], v[108:109]
	v_fma_f64 v[106:107], v[218:219], v[226:227], -v[106:107]
	v_mul_f64 v[218:219], v[218:219], v[108:109]
	v_add_f64 v[54:55], v[54:55], -v[106:107]
	v_fma_f64 v[218:219], v[220:221], v[226:227], v[218:219]
	v_add_f64 v[56:57], v[56:57], -v[218:219]
	ds_read2_b64 v[218:221], v1 offset0:82 offset1:83
	s_waitcnt lgkmcnt(0)
	v_mul_f64 v[106:107], v[220:221], v[108:109]
	v_fma_f64 v[106:107], v[218:219], v[226:227], -v[106:107]
	v_mul_f64 v[218:219], v[218:219], v[108:109]
	v_add_f64 v[50:51], v[50:51], -v[106:107]
	v_fma_f64 v[218:219], v[220:221], v[226:227], v[218:219]
	v_add_f64 v[52:53], v[52:53], -v[218:219]
	ds_read2_b64 v[218:221], v1 offset0:84 offset1:85
	s_waitcnt lgkmcnt(0)
	v_mul_f64 v[106:107], v[220:221], v[108:109]
	v_fma_f64 v[106:107], v[218:219], v[226:227], -v[106:107]
	v_mul_f64 v[218:219], v[218:219], v[108:109]
	v_add_f64 v[46:47], v[46:47], -v[106:107]
	v_fma_f64 v[218:219], v[220:221], v[226:227], v[218:219]
	v_add_f64 v[48:49], v[48:49], -v[218:219]
	ds_read2_b64 v[218:221], v1 offset0:86 offset1:87
	s_waitcnt lgkmcnt(0)
	v_mul_f64 v[106:107], v[220:221], v[108:109]
	v_fma_f64 v[106:107], v[218:219], v[226:227], -v[106:107]
	v_mul_f64 v[218:219], v[218:219], v[108:109]
	v_add_f64 v[42:43], v[42:43], -v[106:107]
	v_fma_f64 v[218:219], v[220:221], v[226:227], v[218:219]
	v_add_f64 v[44:45], v[44:45], -v[218:219]
	ds_read2_b64 v[218:221], v1 offset0:88 offset1:89
	s_waitcnt lgkmcnt(0)
	v_mul_f64 v[106:107], v[220:221], v[108:109]
	v_fma_f64 v[106:107], v[218:219], v[226:227], -v[106:107]
	v_mul_f64 v[218:219], v[218:219], v[108:109]
	v_add_f64 v[38:39], v[38:39], -v[106:107]
	v_fma_f64 v[218:219], v[220:221], v[226:227], v[218:219]
	v_add_f64 v[40:41], v[40:41], -v[218:219]
	ds_read2_b64 v[218:221], v1 offset0:90 offset1:91
	s_waitcnt lgkmcnt(0)
	v_mul_f64 v[106:107], v[220:221], v[108:109]
	v_fma_f64 v[106:107], v[218:219], v[226:227], -v[106:107]
	v_mul_f64 v[218:219], v[218:219], v[108:109]
	v_add_f64 v[34:35], v[34:35], -v[106:107]
	v_fma_f64 v[218:219], v[220:221], v[226:227], v[218:219]
	v_add_f64 v[36:37], v[36:37], -v[218:219]
	ds_read2_b64 v[218:221], v1 offset0:92 offset1:93
	s_waitcnt lgkmcnt(0)
	v_mul_f64 v[106:107], v[220:221], v[108:109]
	v_fma_f64 v[106:107], v[218:219], v[226:227], -v[106:107]
	v_mul_f64 v[218:219], v[218:219], v[108:109]
	v_add_f64 v[30:31], v[30:31], -v[106:107]
	v_fma_f64 v[218:219], v[220:221], v[226:227], v[218:219]
	v_add_f64 v[32:33], v[32:33], -v[218:219]
	ds_read2_b64 v[218:221], v1 offset0:94 offset1:95
	s_waitcnt lgkmcnt(0)
	v_mul_f64 v[106:107], v[220:221], v[108:109]
	v_fma_f64 v[106:107], v[218:219], v[226:227], -v[106:107]
	v_mul_f64 v[218:219], v[218:219], v[108:109]
	v_add_f64 v[26:27], v[26:27], -v[106:107]
	v_fma_f64 v[218:219], v[220:221], v[226:227], v[218:219]
	v_add_f64 v[28:29], v[28:29], -v[218:219]
	ds_read2_b64 v[218:221], v1 offset0:96 offset1:97
	s_waitcnt lgkmcnt(0)
	v_mul_f64 v[106:107], v[220:221], v[108:109]
	v_fma_f64 v[106:107], v[218:219], v[226:227], -v[106:107]
	v_mul_f64 v[218:219], v[218:219], v[108:109]
	v_add_f64 v[22:23], v[22:23], -v[106:107]
	v_fma_f64 v[218:219], v[220:221], v[226:227], v[218:219]
	v_add_f64 v[24:25], v[24:25], -v[218:219]
	ds_read2_b64 v[218:221], v1 offset0:98 offset1:99
	s_waitcnt lgkmcnt(0)
	v_mul_f64 v[106:107], v[220:221], v[108:109]
	v_fma_f64 v[106:107], v[218:219], v[226:227], -v[106:107]
	v_mul_f64 v[218:219], v[218:219], v[108:109]
	v_add_f64 v[18:19], v[18:19], -v[106:107]
	v_fma_f64 v[218:219], v[220:221], v[226:227], v[218:219]
	v_add_f64 v[20:21], v[20:21], -v[218:219]
	ds_read2_b64 v[218:221], v1 offset0:100 offset1:101
	s_waitcnt lgkmcnt(0)
	v_mul_f64 v[106:107], v[220:221], v[108:109]
	v_fma_f64 v[106:107], v[218:219], v[226:227], -v[106:107]
	v_mul_f64 v[218:219], v[218:219], v[108:109]
	v_add_f64 v[14:15], v[14:15], -v[106:107]
	v_fma_f64 v[218:219], v[220:221], v[226:227], v[218:219]
	v_add_f64 v[16:17], v[16:17], -v[218:219]
	ds_read2_b64 v[218:221], v1 offset0:102 offset1:103
	s_waitcnt lgkmcnt(0)
	v_mul_f64 v[106:107], v[220:221], v[108:109]
	v_fma_f64 v[106:107], v[218:219], v[226:227], -v[106:107]
	v_mul_f64 v[218:219], v[218:219], v[108:109]
	v_add_f64 v[10:11], v[10:11], -v[106:107]
	v_fma_f64 v[218:219], v[220:221], v[226:227], v[218:219]
	v_add_f64 v[12:13], v[12:13], -v[218:219]
	ds_read2_b64 v[218:221], v1 offset0:104 offset1:105
	s_waitcnt lgkmcnt(0)
	v_mul_f64 v[106:107], v[220:221], v[108:109]
	v_fma_f64 v[106:107], v[218:219], v[226:227], -v[106:107]
	v_mul_f64 v[218:219], v[218:219], v[108:109]
	v_add_f64 v[6:7], v[6:7], -v[106:107]
	v_fma_f64 v[218:219], v[220:221], v[226:227], v[218:219]
	v_add_f64 v[8:9], v[8:9], -v[218:219]
	ds_read2_b64 v[218:221], v1 offset0:106 offset1:107
	s_waitcnt lgkmcnt(0)
	v_mul_f64 v[106:107], v[220:221], v[108:109]
	v_fma_f64 v[106:107], v[218:219], v[226:227], -v[106:107]
	v_mul_f64 v[218:219], v[218:219], v[108:109]
	v_add_f64 v[2:3], v[2:3], -v[106:107]
	v_fma_f64 v[218:219], v[220:221], v[226:227], v[218:219]
	v_mov_b32_e32 v106, v226
	v_mov_b32_e32 v107, v227
	v_add_f64 v[4:5], v[4:5], -v[218:219]
.LBB106_587:
	s_or_b32 exec_lo, exec_lo, s0
	v_lshl_add_u32 v218, v232, 4, v1
	s_barrier
	buffer_gl0_inv
	v_mov_b32_e32 v226, 28
	ds_write2_b64 v218, v[102:103], v[104:105] offset1:1
	s_waitcnt lgkmcnt(0)
	s_barrier
	buffer_gl0_inv
	ds_read2_b64 v[218:221], v1 offset0:56 offset1:57
	s_cmp_lt_i32 s8, 30
	s_cbranch_scc1 .LBB106_590
; %bb.588:
	v_add3_u32 v227, v228, 0, 0x1d0
	v_mov_b32_e32 v226, 28
	s_mov_b32 s1, 29
	s_inst_prefetch 0x1
	.p2align	6
.LBB106_589:                            ; =>This Inner Loop Header: Depth=1
	s_waitcnt lgkmcnt(0)
	v_cmp_gt_f64_e32 vcc_lo, 0, v[220:221]
	v_cmp_gt_f64_e64 s0, 0, v[218:219]
	ds_read2_b64 v[233:236], v227 offset1:1
	v_xor_b32_e32 v223, 0x80000000, v219
	v_xor_b32_e32 v225, 0x80000000, v221
	v_mov_b32_e32 v222, v218
	v_mov_b32_e32 v224, v220
	v_add_nc_u32_e32 v227, 16, v227
	s_waitcnt lgkmcnt(0)
	v_xor_b32_e32 v238, 0x80000000, v236
	v_cndmask_b32_e64 v223, v219, v223, s0
	v_cndmask_b32_e32 v225, v221, v225, vcc_lo
	v_cmp_gt_f64_e32 vcc_lo, 0, v[235:236]
	v_cmp_gt_f64_e64 s0, 0, v[233:234]
	v_mov_b32_e32 v237, v235
	v_add_f64 v[222:223], v[222:223], v[224:225]
	v_xor_b32_e32 v225, 0x80000000, v234
	v_mov_b32_e32 v224, v233
	v_cndmask_b32_e32 v238, v236, v238, vcc_lo
	v_cndmask_b32_e64 v225, v234, v225, s0
	v_add_f64 v[224:225], v[224:225], v[237:238]
	v_cmp_lt_f64_e32 vcc_lo, v[222:223], v[224:225]
	v_cndmask_b32_e32 v219, v219, v234, vcc_lo
	v_cndmask_b32_e32 v218, v218, v233, vcc_lo
	;; [unrolled: 1-line block ×4, first 2 shown]
	v_cndmask_b32_e64 v226, v226, s1, vcc_lo
	s_add_i32 s1, s1, 1
	s_cmp_lg_u32 s8, s1
	s_cbranch_scc1 .LBB106_589
.LBB106_590:
	s_inst_prefetch 0x2
	s_waitcnt lgkmcnt(0)
	v_cmp_eq_f64_e32 vcc_lo, 0, v[218:219]
	v_cmp_eq_f64_e64 s0, 0, v[220:221]
	s_and_b32 s0, vcc_lo, s0
	s_and_saveexec_b32 s1, s0
	s_xor_b32 s0, exec_lo, s1
; %bb.591:
	v_cmp_ne_u32_e32 vcc_lo, 0, v231
	v_cndmask_b32_e32 v231, 29, v231, vcc_lo
; %bb.592:
	s_andn2_saveexec_b32 s0, s0
	s_cbranch_execz .LBB106_598
; %bb.593:
	v_cmp_ngt_f64_e64 s1, |v[218:219]|, |v[220:221]|
	s_and_saveexec_b32 s7, s1
	s_xor_b32 s1, exec_lo, s7
	s_cbranch_execz .LBB106_595
; %bb.594:
	v_div_scale_f64 v[222:223], null, v[220:221], v[220:221], v[218:219]
	v_div_scale_f64 v[235:236], vcc_lo, v[218:219], v[220:221], v[218:219]
	v_rcp_f64_e32 v[224:225], v[222:223]
	v_fma_f64 v[233:234], -v[222:223], v[224:225], 1.0
	v_fma_f64 v[224:225], v[224:225], v[233:234], v[224:225]
	v_fma_f64 v[233:234], -v[222:223], v[224:225], 1.0
	v_fma_f64 v[224:225], v[224:225], v[233:234], v[224:225]
	v_mul_f64 v[233:234], v[235:236], v[224:225]
	v_fma_f64 v[222:223], -v[222:223], v[233:234], v[235:236]
	v_div_fmas_f64 v[222:223], v[222:223], v[224:225], v[233:234]
	v_div_fixup_f64 v[222:223], v[222:223], v[220:221], v[218:219]
	v_fma_f64 v[218:219], v[218:219], v[222:223], v[220:221]
	v_div_scale_f64 v[220:221], null, v[218:219], v[218:219], 1.0
	v_rcp_f64_e32 v[224:225], v[220:221]
	v_fma_f64 v[233:234], -v[220:221], v[224:225], 1.0
	v_fma_f64 v[224:225], v[224:225], v[233:234], v[224:225]
	v_fma_f64 v[233:234], -v[220:221], v[224:225], 1.0
	v_fma_f64 v[224:225], v[224:225], v[233:234], v[224:225]
	v_div_scale_f64 v[233:234], vcc_lo, 1.0, v[218:219], 1.0
	v_mul_f64 v[235:236], v[233:234], v[224:225]
	v_fma_f64 v[220:221], -v[220:221], v[235:236], v[233:234]
	v_div_fmas_f64 v[220:221], v[220:221], v[224:225], v[235:236]
	v_div_fixup_f64 v[220:221], v[220:221], v[218:219], 1.0
	v_mul_f64 v[218:219], v[222:223], v[220:221]
	v_xor_b32_e32 v221, 0x80000000, v221
.LBB106_595:
	s_andn2_saveexec_b32 s1, s1
	s_cbranch_execz .LBB106_597
; %bb.596:
	v_div_scale_f64 v[222:223], null, v[218:219], v[218:219], v[220:221]
	v_div_scale_f64 v[235:236], vcc_lo, v[220:221], v[218:219], v[220:221]
	v_rcp_f64_e32 v[224:225], v[222:223]
	v_fma_f64 v[233:234], -v[222:223], v[224:225], 1.0
	v_fma_f64 v[224:225], v[224:225], v[233:234], v[224:225]
	v_fma_f64 v[233:234], -v[222:223], v[224:225], 1.0
	v_fma_f64 v[224:225], v[224:225], v[233:234], v[224:225]
	v_mul_f64 v[233:234], v[235:236], v[224:225]
	v_fma_f64 v[222:223], -v[222:223], v[233:234], v[235:236]
	v_div_fmas_f64 v[222:223], v[222:223], v[224:225], v[233:234]
	v_div_fixup_f64 v[222:223], v[222:223], v[218:219], v[220:221]
	v_fma_f64 v[218:219], v[220:221], v[222:223], v[218:219]
	v_div_scale_f64 v[220:221], null, v[218:219], v[218:219], 1.0
	v_rcp_f64_e32 v[224:225], v[220:221]
	v_fma_f64 v[233:234], -v[220:221], v[224:225], 1.0
	v_fma_f64 v[224:225], v[224:225], v[233:234], v[224:225]
	v_fma_f64 v[233:234], -v[220:221], v[224:225], 1.0
	v_fma_f64 v[224:225], v[224:225], v[233:234], v[224:225]
	v_div_scale_f64 v[233:234], vcc_lo, 1.0, v[218:219], 1.0
	v_mul_f64 v[235:236], v[233:234], v[224:225]
	v_fma_f64 v[220:221], -v[220:221], v[235:236], v[233:234]
	v_div_fmas_f64 v[220:221], v[220:221], v[224:225], v[235:236]
	v_div_fixup_f64 v[218:219], v[220:221], v[218:219], 1.0
	v_mul_f64 v[220:221], v[222:223], -v[218:219]
.LBB106_597:
	s_or_b32 exec_lo, exec_lo, s1
.LBB106_598:
	s_or_b32 exec_lo, exec_lo, s0
	s_mov_b32 s0, exec_lo
	v_cmpx_ne_u32_e64 v232, v226
	s_xor_b32 s0, exec_lo, s0
	s_cbranch_execz .LBB106_604
; %bb.599:
	s_mov_b32 s1, exec_lo
	v_cmpx_eq_u32_e32 28, v232
	s_cbranch_execz .LBB106_603
; %bb.600:
	v_cmp_ne_u32_e32 vcc_lo, 28, v226
	s_xor_b32 s7, s16, -1
	s_and_b32 s9, s7, vcc_lo
	s_and_saveexec_b32 s7, s9
	s_cbranch_execz .LBB106_602
; %bb.601:
	s_clause 0x1
	buffer_load_dword v214, off, s[20:23], 0
	buffer_load_dword v215, off, s[20:23], 0 offset:4
	v_ashrrev_i32_e32 v227, 31, v226
	v_lshlrev_b64 v[222:223], 2, v[226:227]
	s_waitcnt vmcnt(1)
	v_add_co_u32 v222, vcc_lo, v214, v222
	s_waitcnt vmcnt(0)
	v_add_co_ci_u32_e64 v223, null, v215, v223, vcc_lo
	s_clause 0x1
	global_load_dword v0, v[222:223], off
	global_load_dword v224, v[214:215], off offset:112
	s_waitcnt vmcnt(1)
	global_store_dword v[214:215], v0, off offset:112
	s_waitcnt vmcnt(0)
	global_store_dword v[222:223], v224, off
.LBB106_602:
	s_or_b32 exec_lo, exec_lo, s7
	v_mov_b32_e32 v232, v226
	v_mov_b32_e32 v0, v226
.LBB106_603:
	s_or_b32 exec_lo, exec_lo, s1
.LBB106_604:
	s_andn2_saveexec_b32 s0, s0
	s_cbranch_execz .LBB106_606
; %bb.605:
	v_mov_b32_e32 v232, 28
	ds_write2_b64 v1, v[98:99], v[100:101] offset0:58 offset1:59
	ds_write2_b64 v1, v[94:95], v[96:97] offset0:60 offset1:61
	;; [unrolled: 1-line block ×25, first 2 shown]
.LBB106_606:
	s_or_b32 exec_lo, exec_lo, s0
	s_mov_b32 s0, exec_lo
	s_waitcnt lgkmcnt(0)
	s_waitcnt_vscnt null, 0x0
	s_barrier
	buffer_gl0_inv
	v_cmpx_lt_i32_e32 28, v232
	s_cbranch_execz .LBB106_608
; %bb.607:
	v_mul_f64 v[222:223], v[220:221], v[104:105]
	v_mul_f64 v[104:105], v[218:219], v[104:105]
	v_fma_f64 v[226:227], v[218:219], v[102:103], -v[222:223]
	v_fma_f64 v[104:105], v[220:221], v[102:103], v[104:105]
	ds_read2_b64 v[218:221], v1 offset0:58 offset1:59
	s_waitcnt lgkmcnt(0)
	v_mul_f64 v[102:103], v[220:221], v[104:105]
	v_fma_f64 v[102:103], v[218:219], v[226:227], -v[102:103]
	v_mul_f64 v[218:219], v[218:219], v[104:105]
	v_add_f64 v[98:99], v[98:99], -v[102:103]
	v_fma_f64 v[218:219], v[220:221], v[226:227], v[218:219]
	v_add_f64 v[100:101], v[100:101], -v[218:219]
	ds_read2_b64 v[218:221], v1 offset0:60 offset1:61
	s_waitcnt lgkmcnt(0)
	v_mul_f64 v[102:103], v[220:221], v[104:105]
	v_fma_f64 v[102:103], v[218:219], v[226:227], -v[102:103]
	v_mul_f64 v[218:219], v[218:219], v[104:105]
	v_add_f64 v[94:95], v[94:95], -v[102:103]
	v_fma_f64 v[218:219], v[220:221], v[226:227], v[218:219]
	v_add_f64 v[96:97], v[96:97], -v[218:219]
	;; [unrolled: 8-line block ×24, first 2 shown]
	ds_read2_b64 v[218:221], v1 offset0:106 offset1:107
	s_waitcnt lgkmcnt(0)
	v_mul_f64 v[102:103], v[220:221], v[104:105]
	v_fma_f64 v[102:103], v[218:219], v[226:227], -v[102:103]
	v_mul_f64 v[218:219], v[218:219], v[104:105]
	v_add_f64 v[2:3], v[2:3], -v[102:103]
	v_fma_f64 v[218:219], v[220:221], v[226:227], v[218:219]
	v_mov_b32_e32 v102, v226
	v_mov_b32_e32 v103, v227
	v_add_f64 v[4:5], v[4:5], -v[218:219]
.LBB106_608:
	s_or_b32 exec_lo, exec_lo, s0
	v_lshl_add_u32 v218, v232, 4, v1
	s_barrier
	buffer_gl0_inv
	v_mov_b32_e32 v226, 29
	ds_write2_b64 v218, v[98:99], v[100:101] offset1:1
	s_waitcnt lgkmcnt(0)
	s_barrier
	buffer_gl0_inv
	ds_read2_b64 v[218:221], v1 offset0:58 offset1:59
	s_cmp_lt_i32 s8, 31
	s_cbranch_scc1 .LBB106_611
; %bb.609:
	v_add3_u32 v227, v228, 0, 0x1e0
	v_mov_b32_e32 v226, 29
	s_mov_b32 s1, 30
	s_inst_prefetch 0x1
	.p2align	6
.LBB106_610:                            ; =>This Inner Loop Header: Depth=1
	s_waitcnt lgkmcnt(0)
	v_cmp_gt_f64_e32 vcc_lo, 0, v[220:221]
	v_cmp_gt_f64_e64 s0, 0, v[218:219]
	ds_read2_b64 v[233:236], v227 offset1:1
	v_xor_b32_e32 v223, 0x80000000, v219
	v_xor_b32_e32 v225, 0x80000000, v221
	v_mov_b32_e32 v222, v218
	v_mov_b32_e32 v224, v220
	v_add_nc_u32_e32 v227, 16, v227
	s_waitcnt lgkmcnt(0)
	v_xor_b32_e32 v238, 0x80000000, v236
	v_cndmask_b32_e64 v223, v219, v223, s0
	v_cndmask_b32_e32 v225, v221, v225, vcc_lo
	v_cmp_gt_f64_e32 vcc_lo, 0, v[235:236]
	v_cmp_gt_f64_e64 s0, 0, v[233:234]
	v_mov_b32_e32 v237, v235
	v_add_f64 v[222:223], v[222:223], v[224:225]
	v_xor_b32_e32 v225, 0x80000000, v234
	v_mov_b32_e32 v224, v233
	v_cndmask_b32_e32 v238, v236, v238, vcc_lo
	v_cndmask_b32_e64 v225, v234, v225, s0
	v_add_f64 v[224:225], v[224:225], v[237:238]
	v_cmp_lt_f64_e32 vcc_lo, v[222:223], v[224:225]
	v_cndmask_b32_e32 v219, v219, v234, vcc_lo
	v_cndmask_b32_e32 v218, v218, v233, vcc_lo
	v_cndmask_b32_e32 v221, v221, v236, vcc_lo
	v_cndmask_b32_e32 v220, v220, v235, vcc_lo
	v_cndmask_b32_e64 v226, v226, s1, vcc_lo
	s_add_i32 s1, s1, 1
	s_cmp_lg_u32 s8, s1
	s_cbranch_scc1 .LBB106_610
.LBB106_611:
	s_inst_prefetch 0x2
	s_waitcnt lgkmcnt(0)
	v_cmp_eq_f64_e32 vcc_lo, 0, v[218:219]
	v_cmp_eq_f64_e64 s0, 0, v[220:221]
	s_and_b32 s0, vcc_lo, s0
	s_and_saveexec_b32 s1, s0
	s_xor_b32 s0, exec_lo, s1
; %bb.612:
	v_cmp_ne_u32_e32 vcc_lo, 0, v231
	v_cndmask_b32_e32 v231, 30, v231, vcc_lo
; %bb.613:
	s_andn2_saveexec_b32 s0, s0
	s_cbranch_execz .LBB106_619
; %bb.614:
	v_cmp_ngt_f64_e64 s1, |v[218:219]|, |v[220:221]|
	s_and_saveexec_b32 s7, s1
	s_xor_b32 s1, exec_lo, s7
	s_cbranch_execz .LBB106_616
; %bb.615:
	v_div_scale_f64 v[222:223], null, v[220:221], v[220:221], v[218:219]
	v_div_scale_f64 v[235:236], vcc_lo, v[218:219], v[220:221], v[218:219]
	v_rcp_f64_e32 v[224:225], v[222:223]
	v_fma_f64 v[233:234], -v[222:223], v[224:225], 1.0
	v_fma_f64 v[224:225], v[224:225], v[233:234], v[224:225]
	v_fma_f64 v[233:234], -v[222:223], v[224:225], 1.0
	v_fma_f64 v[224:225], v[224:225], v[233:234], v[224:225]
	v_mul_f64 v[233:234], v[235:236], v[224:225]
	v_fma_f64 v[222:223], -v[222:223], v[233:234], v[235:236]
	v_div_fmas_f64 v[222:223], v[222:223], v[224:225], v[233:234]
	v_div_fixup_f64 v[222:223], v[222:223], v[220:221], v[218:219]
	v_fma_f64 v[218:219], v[218:219], v[222:223], v[220:221]
	v_div_scale_f64 v[220:221], null, v[218:219], v[218:219], 1.0
	v_rcp_f64_e32 v[224:225], v[220:221]
	v_fma_f64 v[233:234], -v[220:221], v[224:225], 1.0
	v_fma_f64 v[224:225], v[224:225], v[233:234], v[224:225]
	v_fma_f64 v[233:234], -v[220:221], v[224:225], 1.0
	v_fma_f64 v[224:225], v[224:225], v[233:234], v[224:225]
	v_div_scale_f64 v[233:234], vcc_lo, 1.0, v[218:219], 1.0
	v_mul_f64 v[235:236], v[233:234], v[224:225]
	v_fma_f64 v[220:221], -v[220:221], v[235:236], v[233:234]
	v_div_fmas_f64 v[220:221], v[220:221], v[224:225], v[235:236]
	v_div_fixup_f64 v[220:221], v[220:221], v[218:219], 1.0
	v_mul_f64 v[218:219], v[222:223], v[220:221]
	v_xor_b32_e32 v221, 0x80000000, v221
.LBB106_616:
	s_andn2_saveexec_b32 s1, s1
	s_cbranch_execz .LBB106_618
; %bb.617:
	v_div_scale_f64 v[222:223], null, v[218:219], v[218:219], v[220:221]
	v_div_scale_f64 v[235:236], vcc_lo, v[220:221], v[218:219], v[220:221]
	v_rcp_f64_e32 v[224:225], v[222:223]
	v_fma_f64 v[233:234], -v[222:223], v[224:225], 1.0
	v_fma_f64 v[224:225], v[224:225], v[233:234], v[224:225]
	v_fma_f64 v[233:234], -v[222:223], v[224:225], 1.0
	v_fma_f64 v[224:225], v[224:225], v[233:234], v[224:225]
	v_mul_f64 v[233:234], v[235:236], v[224:225]
	v_fma_f64 v[222:223], -v[222:223], v[233:234], v[235:236]
	v_div_fmas_f64 v[222:223], v[222:223], v[224:225], v[233:234]
	v_div_fixup_f64 v[222:223], v[222:223], v[218:219], v[220:221]
	v_fma_f64 v[218:219], v[220:221], v[222:223], v[218:219]
	v_div_scale_f64 v[220:221], null, v[218:219], v[218:219], 1.0
	v_rcp_f64_e32 v[224:225], v[220:221]
	v_fma_f64 v[233:234], -v[220:221], v[224:225], 1.0
	v_fma_f64 v[224:225], v[224:225], v[233:234], v[224:225]
	v_fma_f64 v[233:234], -v[220:221], v[224:225], 1.0
	v_fma_f64 v[224:225], v[224:225], v[233:234], v[224:225]
	v_div_scale_f64 v[233:234], vcc_lo, 1.0, v[218:219], 1.0
	v_mul_f64 v[235:236], v[233:234], v[224:225]
	v_fma_f64 v[220:221], -v[220:221], v[235:236], v[233:234]
	v_div_fmas_f64 v[220:221], v[220:221], v[224:225], v[235:236]
	v_div_fixup_f64 v[218:219], v[220:221], v[218:219], 1.0
	v_mul_f64 v[220:221], v[222:223], -v[218:219]
.LBB106_618:
	s_or_b32 exec_lo, exec_lo, s1
.LBB106_619:
	s_or_b32 exec_lo, exec_lo, s0
	s_mov_b32 s0, exec_lo
	v_cmpx_ne_u32_e64 v232, v226
	s_xor_b32 s0, exec_lo, s0
	s_cbranch_execz .LBB106_625
; %bb.620:
	s_mov_b32 s1, exec_lo
	v_cmpx_eq_u32_e32 29, v232
	s_cbranch_execz .LBB106_624
; %bb.621:
	v_cmp_ne_u32_e32 vcc_lo, 29, v226
	s_xor_b32 s7, s16, -1
	s_and_b32 s9, s7, vcc_lo
	s_and_saveexec_b32 s7, s9
	s_cbranch_execz .LBB106_623
; %bb.622:
	s_clause 0x1
	buffer_load_dword v214, off, s[20:23], 0
	buffer_load_dword v215, off, s[20:23], 0 offset:4
	v_ashrrev_i32_e32 v227, 31, v226
	v_lshlrev_b64 v[222:223], 2, v[226:227]
	s_waitcnt vmcnt(1)
	v_add_co_u32 v222, vcc_lo, v214, v222
	s_waitcnt vmcnt(0)
	v_add_co_ci_u32_e64 v223, null, v215, v223, vcc_lo
	s_clause 0x1
	global_load_dword v0, v[222:223], off
	global_load_dword v224, v[214:215], off offset:116
	s_waitcnt vmcnt(1)
	global_store_dword v[214:215], v0, off offset:116
	s_waitcnt vmcnt(0)
	global_store_dword v[222:223], v224, off
.LBB106_623:
	s_or_b32 exec_lo, exec_lo, s7
	v_mov_b32_e32 v232, v226
	v_mov_b32_e32 v0, v226
.LBB106_624:
	s_or_b32 exec_lo, exec_lo, s1
.LBB106_625:
	s_andn2_saveexec_b32 s0, s0
	s_cbranch_execz .LBB106_627
; %bb.626:
	v_mov_b32_e32 v232, 29
	ds_write2_b64 v1, v[94:95], v[96:97] offset0:60 offset1:61
	ds_write2_b64 v1, v[90:91], v[92:93] offset0:62 offset1:63
	;; [unrolled: 1-line block ×24, first 2 shown]
.LBB106_627:
	s_or_b32 exec_lo, exec_lo, s0
	s_mov_b32 s0, exec_lo
	s_waitcnt lgkmcnt(0)
	s_waitcnt_vscnt null, 0x0
	s_barrier
	buffer_gl0_inv
	v_cmpx_lt_i32_e32 29, v232
	s_cbranch_execz .LBB106_629
; %bb.628:
	v_mul_f64 v[222:223], v[220:221], v[100:101]
	v_mul_f64 v[100:101], v[218:219], v[100:101]
	v_fma_f64 v[226:227], v[218:219], v[98:99], -v[222:223]
	v_fma_f64 v[100:101], v[220:221], v[98:99], v[100:101]
	ds_read2_b64 v[218:221], v1 offset0:60 offset1:61
	s_waitcnt lgkmcnt(0)
	v_mul_f64 v[98:99], v[220:221], v[100:101]
	v_fma_f64 v[98:99], v[218:219], v[226:227], -v[98:99]
	v_mul_f64 v[218:219], v[218:219], v[100:101]
	v_add_f64 v[94:95], v[94:95], -v[98:99]
	v_fma_f64 v[218:219], v[220:221], v[226:227], v[218:219]
	v_add_f64 v[96:97], v[96:97], -v[218:219]
	ds_read2_b64 v[218:221], v1 offset0:62 offset1:63
	s_waitcnt lgkmcnt(0)
	v_mul_f64 v[98:99], v[220:221], v[100:101]
	v_fma_f64 v[98:99], v[218:219], v[226:227], -v[98:99]
	v_mul_f64 v[218:219], v[218:219], v[100:101]
	v_add_f64 v[90:91], v[90:91], -v[98:99]
	v_fma_f64 v[218:219], v[220:221], v[226:227], v[218:219]
	v_add_f64 v[92:93], v[92:93], -v[218:219]
	;; [unrolled: 8-line block ×23, first 2 shown]
	ds_read2_b64 v[218:221], v1 offset0:106 offset1:107
	s_waitcnt lgkmcnt(0)
	v_mul_f64 v[98:99], v[220:221], v[100:101]
	v_fma_f64 v[98:99], v[218:219], v[226:227], -v[98:99]
	v_mul_f64 v[218:219], v[218:219], v[100:101]
	v_add_f64 v[2:3], v[2:3], -v[98:99]
	v_fma_f64 v[218:219], v[220:221], v[226:227], v[218:219]
	v_mov_b32_e32 v98, v226
	v_mov_b32_e32 v99, v227
	v_add_f64 v[4:5], v[4:5], -v[218:219]
.LBB106_629:
	s_or_b32 exec_lo, exec_lo, s0
	v_lshl_add_u32 v218, v232, 4, v1
	s_barrier
	buffer_gl0_inv
	v_mov_b32_e32 v226, 30
	ds_write2_b64 v218, v[94:95], v[96:97] offset1:1
	s_waitcnt lgkmcnt(0)
	s_barrier
	buffer_gl0_inv
	ds_read2_b64 v[218:221], v1 offset0:60 offset1:61
	s_cmp_lt_i32 s8, 32
	s_cbranch_scc1 .LBB106_632
; %bb.630:
	v_add3_u32 v227, v228, 0, 0x1f0
	v_mov_b32_e32 v226, 30
	s_mov_b32 s1, 31
	s_inst_prefetch 0x1
	.p2align	6
.LBB106_631:                            ; =>This Inner Loop Header: Depth=1
	s_waitcnt lgkmcnt(0)
	v_cmp_gt_f64_e32 vcc_lo, 0, v[220:221]
	v_cmp_gt_f64_e64 s0, 0, v[218:219]
	ds_read2_b64 v[233:236], v227 offset1:1
	v_xor_b32_e32 v223, 0x80000000, v219
	v_xor_b32_e32 v225, 0x80000000, v221
	v_mov_b32_e32 v222, v218
	v_mov_b32_e32 v224, v220
	v_add_nc_u32_e32 v227, 16, v227
	s_waitcnt lgkmcnt(0)
	v_xor_b32_e32 v238, 0x80000000, v236
	v_cndmask_b32_e64 v223, v219, v223, s0
	v_cndmask_b32_e32 v225, v221, v225, vcc_lo
	v_cmp_gt_f64_e32 vcc_lo, 0, v[235:236]
	v_cmp_gt_f64_e64 s0, 0, v[233:234]
	v_mov_b32_e32 v237, v235
	v_add_f64 v[222:223], v[222:223], v[224:225]
	v_xor_b32_e32 v225, 0x80000000, v234
	v_mov_b32_e32 v224, v233
	v_cndmask_b32_e32 v238, v236, v238, vcc_lo
	v_cndmask_b32_e64 v225, v234, v225, s0
	v_add_f64 v[224:225], v[224:225], v[237:238]
	v_cmp_lt_f64_e32 vcc_lo, v[222:223], v[224:225]
	v_cndmask_b32_e32 v219, v219, v234, vcc_lo
	v_cndmask_b32_e32 v218, v218, v233, vcc_lo
	;; [unrolled: 1-line block ×4, first 2 shown]
	v_cndmask_b32_e64 v226, v226, s1, vcc_lo
	s_add_i32 s1, s1, 1
	s_cmp_lg_u32 s8, s1
	s_cbranch_scc1 .LBB106_631
.LBB106_632:
	s_inst_prefetch 0x2
	s_waitcnt lgkmcnt(0)
	v_cmp_eq_f64_e32 vcc_lo, 0, v[218:219]
	v_cmp_eq_f64_e64 s0, 0, v[220:221]
	s_and_b32 s0, vcc_lo, s0
	s_and_saveexec_b32 s1, s0
	s_xor_b32 s0, exec_lo, s1
; %bb.633:
	v_cmp_ne_u32_e32 vcc_lo, 0, v231
	v_cndmask_b32_e32 v231, 31, v231, vcc_lo
; %bb.634:
	s_andn2_saveexec_b32 s0, s0
	s_cbranch_execz .LBB106_640
; %bb.635:
	v_cmp_ngt_f64_e64 s1, |v[218:219]|, |v[220:221]|
	s_and_saveexec_b32 s7, s1
	s_xor_b32 s1, exec_lo, s7
	s_cbranch_execz .LBB106_637
; %bb.636:
	v_div_scale_f64 v[222:223], null, v[220:221], v[220:221], v[218:219]
	v_div_scale_f64 v[235:236], vcc_lo, v[218:219], v[220:221], v[218:219]
	v_rcp_f64_e32 v[224:225], v[222:223]
	v_fma_f64 v[233:234], -v[222:223], v[224:225], 1.0
	v_fma_f64 v[224:225], v[224:225], v[233:234], v[224:225]
	v_fma_f64 v[233:234], -v[222:223], v[224:225], 1.0
	v_fma_f64 v[224:225], v[224:225], v[233:234], v[224:225]
	v_mul_f64 v[233:234], v[235:236], v[224:225]
	v_fma_f64 v[222:223], -v[222:223], v[233:234], v[235:236]
	v_div_fmas_f64 v[222:223], v[222:223], v[224:225], v[233:234]
	v_div_fixup_f64 v[222:223], v[222:223], v[220:221], v[218:219]
	v_fma_f64 v[218:219], v[218:219], v[222:223], v[220:221]
	v_div_scale_f64 v[220:221], null, v[218:219], v[218:219], 1.0
	v_rcp_f64_e32 v[224:225], v[220:221]
	v_fma_f64 v[233:234], -v[220:221], v[224:225], 1.0
	v_fma_f64 v[224:225], v[224:225], v[233:234], v[224:225]
	v_fma_f64 v[233:234], -v[220:221], v[224:225], 1.0
	v_fma_f64 v[224:225], v[224:225], v[233:234], v[224:225]
	v_div_scale_f64 v[233:234], vcc_lo, 1.0, v[218:219], 1.0
	v_mul_f64 v[235:236], v[233:234], v[224:225]
	v_fma_f64 v[220:221], -v[220:221], v[235:236], v[233:234]
	v_div_fmas_f64 v[220:221], v[220:221], v[224:225], v[235:236]
	v_div_fixup_f64 v[220:221], v[220:221], v[218:219], 1.0
	v_mul_f64 v[218:219], v[222:223], v[220:221]
	v_xor_b32_e32 v221, 0x80000000, v221
.LBB106_637:
	s_andn2_saveexec_b32 s1, s1
	s_cbranch_execz .LBB106_639
; %bb.638:
	v_div_scale_f64 v[222:223], null, v[218:219], v[218:219], v[220:221]
	v_div_scale_f64 v[235:236], vcc_lo, v[220:221], v[218:219], v[220:221]
	v_rcp_f64_e32 v[224:225], v[222:223]
	v_fma_f64 v[233:234], -v[222:223], v[224:225], 1.0
	v_fma_f64 v[224:225], v[224:225], v[233:234], v[224:225]
	v_fma_f64 v[233:234], -v[222:223], v[224:225], 1.0
	v_fma_f64 v[224:225], v[224:225], v[233:234], v[224:225]
	v_mul_f64 v[233:234], v[235:236], v[224:225]
	v_fma_f64 v[222:223], -v[222:223], v[233:234], v[235:236]
	v_div_fmas_f64 v[222:223], v[222:223], v[224:225], v[233:234]
	v_div_fixup_f64 v[222:223], v[222:223], v[218:219], v[220:221]
	v_fma_f64 v[218:219], v[220:221], v[222:223], v[218:219]
	v_div_scale_f64 v[220:221], null, v[218:219], v[218:219], 1.0
	v_rcp_f64_e32 v[224:225], v[220:221]
	v_fma_f64 v[233:234], -v[220:221], v[224:225], 1.0
	v_fma_f64 v[224:225], v[224:225], v[233:234], v[224:225]
	v_fma_f64 v[233:234], -v[220:221], v[224:225], 1.0
	v_fma_f64 v[224:225], v[224:225], v[233:234], v[224:225]
	v_div_scale_f64 v[233:234], vcc_lo, 1.0, v[218:219], 1.0
	v_mul_f64 v[235:236], v[233:234], v[224:225]
	v_fma_f64 v[220:221], -v[220:221], v[235:236], v[233:234]
	v_div_fmas_f64 v[220:221], v[220:221], v[224:225], v[235:236]
	v_div_fixup_f64 v[218:219], v[220:221], v[218:219], 1.0
	v_mul_f64 v[220:221], v[222:223], -v[218:219]
.LBB106_639:
	s_or_b32 exec_lo, exec_lo, s1
.LBB106_640:
	s_or_b32 exec_lo, exec_lo, s0
	s_mov_b32 s0, exec_lo
	v_cmpx_ne_u32_e64 v232, v226
	s_xor_b32 s0, exec_lo, s0
	s_cbranch_execz .LBB106_646
; %bb.641:
	s_mov_b32 s1, exec_lo
	v_cmpx_eq_u32_e32 30, v232
	s_cbranch_execz .LBB106_645
; %bb.642:
	v_cmp_ne_u32_e32 vcc_lo, 30, v226
	s_xor_b32 s7, s16, -1
	s_and_b32 s9, s7, vcc_lo
	s_and_saveexec_b32 s7, s9
	s_cbranch_execz .LBB106_644
; %bb.643:
	s_clause 0x1
	buffer_load_dword v214, off, s[20:23], 0
	buffer_load_dword v215, off, s[20:23], 0 offset:4
	v_ashrrev_i32_e32 v227, 31, v226
	v_lshlrev_b64 v[222:223], 2, v[226:227]
	s_waitcnt vmcnt(1)
	v_add_co_u32 v222, vcc_lo, v214, v222
	s_waitcnt vmcnt(0)
	v_add_co_ci_u32_e64 v223, null, v215, v223, vcc_lo
	s_clause 0x1
	global_load_dword v0, v[222:223], off
	global_load_dword v224, v[214:215], off offset:120
	s_waitcnt vmcnt(1)
	global_store_dword v[214:215], v0, off offset:120
	s_waitcnt vmcnt(0)
	global_store_dword v[222:223], v224, off
.LBB106_644:
	s_or_b32 exec_lo, exec_lo, s7
	v_mov_b32_e32 v232, v226
	v_mov_b32_e32 v0, v226
.LBB106_645:
	s_or_b32 exec_lo, exec_lo, s1
.LBB106_646:
	s_andn2_saveexec_b32 s0, s0
	s_cbranch_execz .LBB106_648
; %bb.647:
	v_mov_b32_e32 v232, 30
	ds_write2_b64 v1, v[90:91], v[92:93] offset0:62 offset1:63
	ds_write2_b64 v1, v[86:87], v[88:89] offset0:64 offset1:65
	;; [unrolled: 1-line block ×23, first 2 shown]
.LBB106_648:
	s_or_b32 exec_lo, exec_lo, s0
	s_mov_b32 s0, exec_lo
	s_waitcnt lgkmcnt(0)
	s_waitcnt_vscnt null, 0x0
	s_barrier
	buffer_gl0_inv
	v_cmpx_lt_i32_e32 30, v232
	s_cbranch_execz .LBB106_650
; %bb.649:
	v_mul_f64 v[222:223], v[220:221], v[96:97]
	v_mul_f64 v[96:97], v[218:219], v[96:97]
	v_fma_f64 v[226:227], v[218:219], v[94:95], -v[222:223]
	v_fma_f64 v[96:97], v[220:221], v[94:95], v[96:97]
	ds_read2_b64 v[218:221], v1 offset0:62 offset1:63
	s_waitcnt lgkmcnt(0)
	v_mul_f64 v[94:95], v[220:221], v[96:97]
	v_fma_f64 v[94:95], v[218:219], v[226:227], -v[94:95]
	v_mul_f64 v[218:219], v[218:219], v[96:97]
	v_add_f64 v[90:91], v[90:91], -v[94:95]
	v_fma_f64 v[218:219], v[220:221], v[226:227], v[218:219]
	v_add_f64 v[92:93], v[92:93], -v[218:219]
	ds_read2_b64 v[218:221], v1 offset0:64 offset1:65
	s_waitcnt lgkmcnt(0)
	v_mul_f64 v[94:95], v[220:221], v[96:97]
	v_fma_f64 v[94:95], v[218:219], v[226:227], -v[94:95]
	v_mul_f64 v[218:219], v[218:219], v[96:97]
	v_add_f64 v[86:87], v[86:87], -v[94:95]
	v_fma_f64 v[218:219], v[220:221], v[226:227], v[218:219]
	v_add_f64 v[88:89], v[88:89], -v[218:219]
	;; [unrolled: 8-line block ×22, first 2 shown]
	ds_read2_b64 v[218:221], v1 offset0:106 offset1:107
	s_waitcnt lgkmcnt(0)
	v_mul_f64 v[94:95], v[220:221], v[96:97]
	v_fma_f64 v[94:95], v[218:219], v[226:227], -v[94:95]
	v_mul_f64 v[218:219], v[218:219], v[96:97]
	v_add_f64 v[2:3], v[2:3], -v[94:95]
	v_fma_f64 v[218:219], v[220:221], v[226:227], v[218:219]
	v_mov_b32_e32 v94, v226
	v_mov_b32_e32 v95, v227
	v_add_f64 v[4:5], v[4:5], -v[218:219]
.LBB106_650:
	s_or_b32 exec_lo, exec_lo, s0
	v_lshl_add_u32 v218, v232, 4, v1
	s_barrier
	buffer_gl0_inv
	v_mov_b32_e32 v226, 31
	ds_write2_b64 v218, v[90:91], v[92:93] offset1:1
	s_waitcnt lgkmcnt(0)
	s_barrier
	buffer_gl0_inv
	ds_read2_b64 v[218:221], v1 offset0:62 offset1:63
	s_cmp_lt_i32 s8, 33
	s_cbranch_scc1 .LBB106_653
; %bb.651:
	v_add3_u32 v227, v228, 0, 0x200
	v_mov_b32_e32 v226, 31
	s_mov_b32 s1, 32
	s_inst_prefetch 0x1
	.p2align	6
.LBB106_652:                            ; =>This Inner Loop Header: Depth=1
	s_waitcnt lgkmcnt(0)
	v_cmp_gt_f64_e32 vcc_lo, 0, v[220:221]
	v_cmp_gt_f64_e64 s0, 0, v[218:219]
	ds_read2_b64 v[233:236], v227 offset1:1
	v_xor_b32_e32 v223, 0x80000000, v219
	v_xor_b32_e32 v225, 0x80000000, v221
	v_mov_b32_e32 v222, v218
	v_mov_b32_e32 v224, v220
	v_add_nc_u32_e32 v227, 16, v227
	s_waitcnt lgkmcnt(0)
	v_xor_b32_e32 v238, 0x80000000, v236
	v_cndmask_b32_e64 v223, v219, v223, s0
	v_cndmask_b32_e32 v225, v221, v225, vcc_lo
	v_cmp_gt_f64_e32 vcc_lo, 0, v[235:236]
	v_cmp_gt_f64_e64 s0, 0, v[233:234]
	v_mov_b32_e32 v237, v235
	v_add_f64 v[222:223], v[222:223], v[224:225]
	v_xor_b32_e32 v225, 0x80000000, v234
	v_mov_b32_e32 v224, v233
	v_cndmask_b32_e32 v238, v236, v238, vcc_lo
	v_cndmask_b32_e64 v225, v234, v225, s0
	v_add_f64 v[224:225], v[224:225], v[237:238]
	v_cmp_lt_f64_e32 vcc_lo, v[222:223], v[224:225]
	v_cndmask_b32_e32 v219, v219, v234, vcc_lo
	v_cndmask_b32_e32 v218, v218, v233, vcc_lo
	;; [unrolled: 1-line block ×4, first 2 shown]
	v_cndmask_b32_e64 v226, v226, s1, vcc_lo
	s_add_i32 s1, s1, 1
	s_cmp_lg_u32 s8, s1
	s_cbranch_scc1 .LBB106_652
.LBB106_653:
	s_inst_prefetch 0x2
	s_waitcnt lgkmcnt(0)
	v_cmp_eq_f64_e32 vcc_lo, 0, v[218:219]
	v_cmp_eq_f64_e64 s0, 0, v[220:221]
	s_and_b32 s0, vcc_lo, s0
	s_and_saveexec_b32 s1, s0
	s_xor_b32 s0, exec_lo, s1
; %bb.654:
	v_cmp_ne_u32_e32 vcc_lo, 0, v231
	v_cndmask_b32_e32 v231, 32, v231, vcc_lo
; %bb.655:
	s_andn2_saveexec_b32 s0, s0
	s_cbranch_execz .LBB106_661
; %bb.656:
	v_cmp_ngt_f64_e64 s1, |v[218:219]|, |v[220:221]|
	s_and_saveexec_b32 s7, s1
	s_xor_b32 s1, exec_lo, s7
	s_cbranch_execz .LBB106_658
; %bb.657:
	v_div_scale_f64 v[222:223], null, v[220:221], v[220:221], v[218:219]
	v_div_scale_f64 v[235:236], vcc_lo, v[218:219], v[220:221], v[218:219]
	v_rcp_f64_e32 v[224:225], v[222:223]
	v_fma_f64 v[233:234], -v[222:223], v[224:225], 1.0
	v_fma_f64 v[224:225], v[224:225], v[233:234], v[224:225]
	v_fma_f64 v[233:234], -v[222:223], v[224:225], 1.0
	v_fma_f64 v[224:225], v[224:225], v[233:234], v[224:225]
	v_mul_f64 v[233:234], v[235:236], v[224:225]
	v_fma_f64 v[222:223], -v[222:223], v[233:234], v[235:236]
	v_div_fmas_f64 v[222:223], v[222:223], v[224:225], v[233:234]
	v_div_fixup_f64 v[222:223], v[222:223], v[220:221], v[218:219]
	v_fma_f64 v[218:219], v[218:219], v[222:223], v[220:221]
	v_div_scale_f64 v[220:221], null, v[218:219], v[218:219], 1.0
	v_rcp_f64_e32 v[224:225], v[220:221]
	v_fma_f64 v[233:234], -v[220:221], v[224:225], 1.0
	v_fma_f64 v[224:225], v[224:225], v[233:234], v[224:225]
	v_fma_f64 v[233:234], -v[220:221], v[224:225], 1.0
	v_fma_f64 v[224:225], v[224:225], v[233:234], v[224:225]
	v_div_scale_f64 v[233:234], vcc_lo, 1.0, v[218:219], 1.0
	v_mul_f64 v[235:236], v[233:234], v[224:225]
	v_fma_f64 v[220:221], -v[220:221], v[235:236], v[233:234]
	v_div_fmas_f64 v[220:221], v[220:221], v[224:225], v[235:236]
	v_div_fixup_f64 v[220:221], v[220:221], v[218:219], 1.0
	v_mul_f64 v[218:219], v[222:223], v[220:221]
	v_xor_b32_e32 v221, 0x80000000, v221
.LBB106_658:
	s_andn2_saveexec_b32 s1, s1
	s_cbranch_execz .LBB106_660
; %bb.659:
	v_div_scale_f64 v[222:223], null, v[218:219], v[218:219], v[220:221]
	v_div_scale_f64 v[235:236], vcc_lo, v[220:221], v[218:219], v[220:221]
	v_rcp_f64_e32 v[224:225], v[222:223]
	v_fma_f64 v[233:234], -v[222:223], v[224:225], 1.0
	v_fma_f64 v[224:225], v[224:225], v[233:234], v[224:225]
	v_fma_f64 v[233:234], -v[222:223], v[224:225], 1.0
	v_fma_f64 v[224:225], v[224:225], v[233:234], v[224:225]
	v_mul_f64 v[233:234], v[235:236], v[224:225]
	v_fma_f64 v[222:223], -v[222:223], v[233:234], v[235:236]
	v_div_fmas_f64 v[222:223], v[222:223], v[224:225], v[233:234]
	v_div_fixup_f64 v[222:223], v[222:223], v[218:219], v[220:221]
	v_fma_f64 v[218:219], v[220:221], v[222:223], v[218:219]
	v_div_scale_f64 v[220:221], null, v[218:219], v[218:219], 1.0
	v_rcp_f64_e32 v[224:225], v[220:221]
	v_fma_f64 v[233:234], -v[220:221], v[224:225], 1.0
	v_fma_f64 v[224:225], v[224:225], v[233:234], v[224:225]
	v_fma_f64 v[233:234], -v[220:221], v[224:225], 1.0
	v_fma_f64 v[224:225], v[224:225], v[233:234], v[224:225]
	v_div_scale_f64 v[233:234], vcc_lo, 1.0, v[218:219], 1.0
	v_mul_f64 v[235:236], v[233:234], v[224:225]
	v_fma_f64 v[220:221], -v[220:221], v[235:236], v[233:234]
	v_div_fmas_f64 v[220:221], v[220:221], v[224:225], v[235:236]
	v_div_fixup_f64 v[218:219], v[220:221], v[218:219], 1.0
	v_mul_f64 v[220:221], v[222:223], -v[218:219]
.LBB106_660:
	s_or_b32 exec_lo, exec_lo, s1
.LBB106_661:
	s_or_b32 exec_lo, exec_lo, s0
	s_mov_b32 s0, exec_lo
	v_cmpx_ne_u32_e64 v232, v226
	s_xor_b32 s0, exec_lo, s0
	s_cbranch_execz .LBB106_667
; %bb.662:
	s_mov_b32 s1, exec_lo
	v_cmpx_eq_u32_e32 31, v232
	s_cbranch_execz .LBB106_666
; %bb.663:
	v_cmp_ne_u32_e32 vcc_lo, 31, v226
	s_xor_b32 s7, s16, -1
	s_and_b32 s9, s7, vcc_lo
	s_and_saveexec_b32 s7, s9
	s_cbranch_execz .LBB106_665
; %bb.664:
	s_clause 0x1
	buffer_load_dword v214, off, s[20:23], 0
	buffer_load_dword v215, off, s[20:23], 0 offset:4
	v_ashrrev_i32_e32 v227, 31, v226
	v_lshlrev_b64 v[222:223], 2, v[226:227]
	s_waitcnt vmcnt(1)
	v_add_co_u32 v222, vcc_lo, v214, v222
	s_waitcnt vmcnt(0)
	v_add_co_ci_u32_e64 v223, null, v215, v223, vcc_lo
	s_clause 0x1
	global_load_dword v0, v[222:223], off
	global_load_dword v224, v[214:215], off offset:124
	s_waitcnt vmcnt(1)
	global_store_dword v[214:215], v0, off offset:124
	s_waitcnt vmcnt(0)
	global_store_dword v[222:223], v224, off
.LBB106_665:
	s_or_b32 exec_lo, exec_lo, s7
	v_mov_b32_e32 v232, v226
	v_mov_b32_e32 v0, v226
.LBB106_666:
	s_or_b32 exec_lo, exec_lo, s1
.LBB106_667:
	s_andn2_saveexec_b32 s0, s0
	s_cbranch_execz .LBB106_669
; %bb.668:
	v_mov_b32_e32 v232, 31
	ds_write2_b64 v1, v[86:87], v[88:89] offset0:64 offset1:65
	ds_write2_b64 v1, v[82:83], v[84:85] offset0:66 offset1:67
	;; [unrolled: 1-line block ×22, first 2 shown]
.LBB106_669:
	s_or_b32 exec_lo, exec_lo, s0
	s_mov_b32 s0, exec_lo
	s_waitcnt lgkmcnt(0)
	s_waitcnt_vscnt null, 0x0
	s_barrier
	buffer_gl0_inv
	v_cmpx_lt_i32_e32 31, v232
	s_cbranch_execz .LBB106_671
; %bb.670:
	v_mul_f64 v[222:223], v[220:221], v[92:93]
	v_mul_f64 v[92:93], v[218:219], v[92:93]
	v_fma_f64 v[226:227], v[218:219], v[90:91], -v[222:223]
	v_fma_f64 v[92:93], v[220:221], v[90:91], v[92:93]
	ds_read2_b64 v[218:221], v1 offset0:64 offset1:65
	s_waitcnt lgkmcnt(0)
	v_mul_f64 v[90:91], v[220:221], v[92:93]
	v_fma_f64 v[90:91], v[218:219], v[226:227], -v[90:91]
	v_mul_f64 v[218:219], v[218:219], v[92:93]
	v_add_f64 v[86:87], v[86:87], -v[90:91]
	v_fma_f64 v[218:219], v[220:221], v[226:227], v[218:219]
	v_add_f64 v[88:89], v[88:89], -v[218:219]
	ds_read2_b64 v[218:221], v1 offset0:66 offset1:67
	s_waitcnt lgkmcnt(0)
	v_mul_f64 v[90:91], v[220:221], v[92:93]
	v_fma_f64 v[90:91], v[218:219], v[226:227], -v[90:91]
	v_mul_f64 v[218:219], v[218:219], v[92:93]
	v_add_f64 v[82:83], v[82:83], -v[90:91]
	v_fma_f64 v[218:219], v[220:221], v[226:227], v[218:219]
	v_add_f64 v[84:85], v[84:85], -v[218:219]
	;; [unrolled: 8-line block ×21, first 2 shown]
	ds_read2_b64 v[218:221], v1 offset0:106 offset1:107
	s_waitcnt lgkmcnt(0)
	v_mul_f64 v[90:91], v[220:221], v[92:93]
	v_fma_f64 v[90:91], v[218:219], v[226:227], -v[90:91]
	v_mul_f64 v[218:219], v[218:219], v[92:93]
	v_add_f64 v[2:3], v[2:3], -v[90:91]
	v_fma_f64 v[218:219], v[220:221], v[226:227], v[218:219]
	v_mov_b32_e32 v90, v226
	v_mov_b32_e32 v91, v227
	v_add_f64 v[4:5], v[4:5], -v[218:219]
.LBB106_671:
	s_or_b32 exec_lo, exec_lo, s0
	v_lshl_add_u32 v218, v232, 4, v1
	s_barrier
	buffer_gl0_inv
	v_mov_b32_e32 v226, 32
	ds_write2_b64 v218, v[86:87], v[88:89] offset1:1
	s_waitcnt lgkmcnt(0)
	s_barrier
	buffer_gl0_inv
	ds_read2_b64 v[218:221], v1 offset0:64 offset1:65
	s_cmp_lt_i32 s8, 34
	s_cbranch_scc1 .LBB106_674
; %bb.672:
	v_add3_u32 v227, v228, 0, 0x210
	v_mov_b32_e32 v226, 32
	s_mov_b32 s1, 33
	s_inst_prefetch 0x1
	.p2align	6
.LBB106_673:                            ; =>This Inner Loop Header: Depth=1
	s_waitcnt lgkmcnt(0)
	v_cmp_gt_f64_e32 vcc_lo, 0, v[220:221]
	v_cmp_gt_f64_e64 s0, 0, v[218:219]
	ds_read2_b64 v[233:236], v227 offset1:1
	v_xor_b32_e32 v223, 0x80000000, v219
	v_xor_b32_e32 v225, 0x80000000, v221
	v_mov_b32_e32 v222, v218
	v_mov_b32_e32 v224, v220
	v_add_nc_u32_e32 v227, 16, v227
	s_waitcnt lgkmcnt(0)
	v_xor_b32_e32 v238, 0x80000000, v236
	v_cndmask_b32_e64 v223, v219, v223, s0
	v_cndmask_b32_e32 v225, v221, v225, vcc_lo
	v_cmp_gt_f64_e32 vcc_lo, 0, v[235:236]
	v_cmp_gt_f64_e64 s0, 0, v[233:234]
	v_mov_b32_e32 v237, v235
	v_add_f64 v[222:223], v[222:223], v[224:225]
	v_xor_b32_e32 v225, 0x80000000, v234
	v_mov_b32_e32 v224, v233
	v_cndmask_b32_e32 v238, v236, v238, vcc_lo
	v_cndmask_b32_e64 v225, v234, v225, s0
	v_add_f64 v[224:225], v[224:225], v[237:238]
	v_cmp_lt_f64_e32 vcc_lo, v[222:223], v[224:225]
	v_cndmask_b32_e32 v219, v219, v234, vcc_lo
	v_cndmask_b32_e32 v218, v218, v233, vcc_lo
	;; [unrolled: 1-line block ×4, first 2 shown]
	v_cndmask_b32_e64 v226, v226, s1, vcc_lo
	s_add_i32 s1, s1, 1
	s_cmp_lg_u32 s8, s1
	s_cbranch_scc1 .LBB106_673
.LBB106_674:
	s_inst_prefetch 0x2
	s_waitcnt lgkmcnt(0)
	v_cmp_eq_f64_e32 vcc_lo, 0, v[218:219]
	v_cmp_eq_f64_e64 s0, 0, v[220:221]
	s_and_b32 s0, vcc_lo, s0
	s_and_saveexec_b32 s1, s0
	s_xor_b32 s0, exec_lo, s1
; %bb.675:
	v_cmp_ne_u32_e32 vcc_lo, 0, v231
	v_cndmask_b32_e32 v231, 33, v231, vcc_lo
; %bb.676:
	s_andn2_saveexec_b32 s0, s0
	s_cbranch_execz .LBB106_682
; %bb.677:
	v_cmp_ngt_f64_e64 s1, |v[218:219]|, |v[220:221]|
	s_and_saveexec_b32 s7, s1
	s_xor_b32 s1, exec_lo, s7
	s_cbranch_execz .LBB106_679
; %bb.678:
	v_div_scale_f64 v[222:223], null, v[220:221], v[220:221], v[218:219]
	v_div_scale_f64 v[235:236], vcc_lo, v[218:219], v[220:221], v[218:219]
	v_rcp_f64_e32 v[224:225], v[222:223]
	v_fma_f64 v[233:234], -v[222:223], v[224:225], 1.0
	v_fma_f64 v[224:225], v[224:225], v[233:234], v[224:225]
	v_fma_f64 v[233:234], -v[222:223], v[224:225], 1.0
	v_fma_f64 v[224:225], v[224:225], v[233:234], v[224:225]
	v_mul_f64 v[233:234], v[235:236], v[224:225]
	v_fma_f64 v[222:223], -v[222:223], v[233:234], v[235:236]
	v_div_fmas_f64 v[222:223], v[222:223], v[224:225], v[233:234]
	v_div_fixup_f64 v[222:223], v[222:223], v[220:221], v[218:219]
	v_fma_f64 v[218:219], v[218:219], v[222:223], v[220:221]
	v_div_scale_f64 v[220:221], null, v[218:219], v[218:219], 1.0
	v_rcp_f64_e32 v[224:225], v[220:221]
	v_fma_f64 v[233:234], -v[220:221], v[224:225], 1.0
	v_fma_f64 v[224:225], v[224:225], v[233:234], v[224:225]
	v_fma_f64 v[233:234], -v[220:221], v[224:225], 1.0
	v_fma_f64 v[224:225], v[224:225], v[233:234], v[224:225]
	v_div_scale_f64 v[233:234], vcc_lo, 1.0, v[218:219], 1.0
	v_mul_f64 v[235:236], v[233:234], v[224:225]
	v_fma_f64 v[220:221], -v[220:221], v[235:236], v[233:234]
	v_div_fmas_f64 v[220:221], v[220:221], v[224:225], v[235:236]
	v_div_fixup_f64 v[220:221], v[220:221], v[218:219], 1.0
	v_mul_f64 v[218:219], v[222:223], v[220:221]
	v_xor_b32_e32 v221, 0x80000000, v221
.LBB106_679:
	s_andn2_saveexec_b32 s1, s1
	s_cbranch_execz .LBB106_681
; %bb.680:
	v_div_scale_f64 v[222:223], null, v[218:219], v[218:219], v[220:221]
	v_div_scale_f64 v[235:236], vcc_lo, v[220:221], v[218:219], v[220:221]
	v_rcp_f64_e32 v[224:225], v[222:223]
	v_fma_f64 v[233:234], -v[222:223], v[224:225], 1.0
	v_fma_f64 v[224:225], v[224:225], v[233:234], v[224:225]
	v_fma_f64 v[233:234], -v[222:223], v[224:225], 1.0
	v_fma_f64 v[224:225], v[224:225], v[233:234], v[224:225]
	v_mul_f64 v[233:234], v[235:236], v[224:225]
	v_fma_f64 v[222:223], -v[222:223], v[233:234], v[235:236]
	v_div_fmas_f64 v[222:223], v[222:223], v[224:225], v[233:234]
	v_div_fixup_f64 v[222:223], v[222:223], v[218:219], v[220:221]
	v_fma_f64 v[218:219], v[220:221], v[222:223], v[218:219]
	v_div_scale_f64 v[220:221], null, v[218:219], v[218:219], 1.0
	v_rcp_f64_e32 v[224:225], v[220:221]
	v_fma_f64 v[233:234], -v[220:221], v[224:225], 1.0
	v_fma_f64 v[224:225], v[224:225], v[233:234], v[224:225]
	v_fma_f64 v[233:234], -v[220:221], v[224:225], 1.0
	v_fma_f64 v[224:225], v[224:225], v[233:234], v[224:225]
	v_div_scale_f64 v[233:234], vcc_lo, 1.0, v[218:219], 1.0
	v_mul_f64 v[235:236], v[233:234], v[224:225]
	v_fma_f64 v[220:221], -v[220:221], v[235:236], v[233:234]
	v_div_fmas_f64 v[220:221], v[220:221], v[224:225], v[235:236]
	v_div_fixup_f64 v[218:219], v[220:221], v[218:219], 1.0
	v_mul_f64 v[220:221], v[222:223], -v[218:219]
.LBB106_681:
	s_or_b32 exec_lo, exec_lo, s1
.LBB106_682:
	s_or_b32 exec_lo, exec_lo, s0
	s_mov_b32 s0, exec_lo
	v_cmpx_ne_u32_e64 v232, v226
	s_xor_b32 s0, exec_lo, s0
	s_cbranch_execz .LBB106_688
; %bb.683:
	s_mov_b32 s1, exec_lo
	v_cmpx_eq_u32_e32 32, v232
	s_cbranch_execz .LBB106_687
; %bb.684:
	v_cmp_ne_u32_e32 vcc_lo, 32, v226
	s_xor_b32 s7, s16, -1
	s_and_b32 s9, s7, vcc_lo
	s_and_saveexec_b32 s7, s9
	s_cbranch_execz .LBB106_686
; %bb.685:
	s_clause 0x1
	buffer_load_dword v214, off, s[20:23], 0
	buffer_load_dword v215, off, s[20:23], 0 offset:4
	v_ashrrev_i32_e32 v227, 31, v226
	v_lshlrev_b64 v[222:223], 2, v[226:227]
	s_waitcnt vmcnt(1)
	v_add_co_u32 v222, vcc_lo, v214, v222
	s_waitcnt vmcnt(0)
	v_add_co_ci_u32_e64 v223, null, v215, v223, vcc_lo
	s_clause 0x1
	global_load_dword v0, v[222:223], off
	global_load_dword v224, v[214:215], off offset:128
	s_waitcnt vmcnt(1)
	global_store_dword v[214:215], v0, off offset:128
	s_waitcnt vmcnt(0)
	global_store_dword v[222:223], v224, off
.LBB106_686:
	s_or_b32 exec_lo, exec_lo, s7
	v_mov_b32_e32 v232, v226
	v_mov_b32_e32 v0, v226
.LBB106_687:
	s_or_b32 exec_lo, exec_lo, s1
.LBB106_688:
	s_andn2_saveexec_b32 s0, s0
	s_cbranch_execz .LBB106_690
; %bb.689:
	v_mov_b32_e32 v232, 32
	ds_write2_b64 v1, v[82:83], v[84:85] offset0:66 offset1:67
	ds_write2_b64 v1, v[78:79], v[80:81] offset0:68 offset1:69
	;; [unrolled: 1-line block ×21, first 2 shown]
.LBB106_690:
	s_or_b32 exec_lo, exec_lo, s0
	s_mov_b32 s0, exec_lo
	s_waitcnt lgkmcnt(0)
	s_waitcnt_vscnt null, 0x0
	s_barrier
	buffer_gl0_inv
	v_cmpx_lt_i32_e32 32, v232
	s_cbranch_execz .LBB106_692
; %bb.691:
	v_mul_f64 v[222:223], v[220:221], v[88:89]
	v_mul_f64 v[88:89], v[218:219], v[88:89]
	v_fma_f64 v[226:227], v[218:219], v[86:87], -v[222:223]
	v_fma_f64 v[88:89], v[220:221], v[86:87], v[88:89]
	ds_read2_b64 v[218:221], v1 offset0:66 offset1:67
	s_waitcnt lgkmcnt(0)
	v_mul_f64 v[86:87], v[220:221], v[88:89]
	v_fma_f64 v[86:87], v[218:219], v[226:227], -v[86:87]
	v_mul_f64 v[218:219], v[218:219], v[88:89]
	v_add_f64 v[82:83], v[82:83], -v[86:87]
	v_fma_f64 v[218:219], v[220:221], v[226:227], v[218:219]
	v_add_f64 v[84:85], v[84:85], -v[218:219]
	ds_read2_b64 v[218:221], v1 offset0:68 offset1:69
	s_waitcnt lgkmcnt(0)
	v_mul_f64 v[86:87], v[220:221], v[88:89]
	v_fma_f64 v[86:87], v[218:219], v[226:227], -v[86:87]
	v_mul_f64 v[218:219], v[218:219], v[88:89]
	v_add_f64 v[78:79], v[78:79], -v[86:87]
	v_fma_f64 v[218:219], v[220:221], v[226:227], v[218:219]
	v_add_f64 v[80:81], v[80:81], -v[218:219]
	;; [unrolled: 8-line block ×20, first 2 shown]
	ds_read2_b64 v[218:221], v1 offset0:106 offset1:107
	s_waitcnt lgkmcnt(0)
	v_mul_f64 v[86:87], v[220:221], v[88:89]
	v_fma_f64 v[86:87], v[218:219], v[226:227], -v[86:87]
	v_mul_f64 v[218:219], v[218:219], v[88:89]
	v_add_f64 v[2:3], v[2:3], -v[86:87]
	v_fma_f64 v[218:219], v[220:221], v[226:227], v[218:219]
	v_mov_b32_e32 v86, v226
	v_mov_b32_e32 v87, v227
	v_add_f64 v[4:5], v[4:5], -v[218:219]
.LBB106_692:
	s_or_b32 exec_lo, exec_lo, s0
	v_lshl_add_u32 v218, v232, 4, v1
	s_barrier
	buffer_gl0_inv
	v_mov_b32_e32 v226, 33
	ds_write2_b64 v218, v[82:83], v[84:85] offset1:1
	s_waitcnt lgkmcnt(0)
	s_barrier
	buffer_gl0_inv
	ds_read2_b64 v[218:221], v1 offset0:66 offset1:67
	s_cmp_lt_i32 s8, 35
	s_cbranch_scc1 .LBB106_695
; %bb.693:
	v_add3_u32 v227, v228, 0, 0x220
	v_mov_b32_e32 v226, 33
	s_mov_b32 s1, 34
	s_inst_prefetch 0x1
	.p2align	6
.LBB106_694:                            ; =>This Inner Loop Header: Depth=1
	s_waitcnt lgkmcnt(0)
	v_cmp_gt_f64_e32 vcc_lo, 0, v[220:221]
	v_cmp_gt_f64_e64 s0, 0, v[218:219]
	ds_read2_b64 v[233:236], v227 offset1:1
	v_xor_b32_e32 v223, 0x80000000, v219
	v_xor_b32_e32 v225, 0x80000000, v221
	v_mov_b32_e32 v222, v218
	v_mov_b32_e32 v224, v220
	v_add_nc_u32_e32 v227, 16, v227
	s_waitcnt lgkmcnt(0)
	v_xor_b32_e32 v238, 0x80000000, v236
	v_cndmask_b32_e64 v223, v219, v223, s0
	v_cndmask_b32_e32 v225, v221, v225, vcc_lo
	v_cmp_gt_f64_e32 vcc_lo, 0, v[235:236]
	v_cmp_gt_f64_e64 s0, 0, v[233:234]
	v_mov_b32_e32 v237, v235
	v_add_f64 v[222:223], v[222:223], v[224:225]
	v_xor_b32_e32 v225, 0x80000000, v234
	v_mov_b32_e32 v224, v233
	v_cndmask_b32_e32 v238, v236, v238, vcc_lo
	v_cndmask_b32_e64 v225, v234, v225, s0
	v_add_f64 v[224:225], v[224:225], v[237:238]
	v_cmp_lt_f64_e32 vcc_lo, v[222:223], v[224:225]
	v_cndmask_b32_e32 v219, v219, v234, vcc_lo
	v_cndmask_b32_e32 v218, v218, v233, vcc_lo
	;; [unrolled: 1-line block ×4, first 2 shown]
	v_cndmask_b32_e64 v226, v226, s1, vcc_lo
	s_add_i32 s1, s1, 1
	s_cmp_lg_u32 s8, s1
	s_cbranch_scc1 .LBB106_694
.LBB106_695:
	s_inst_prefetch 0x2
	s_waitcnt lgkmcnt(0)
	v_cmp_eq_f64_e32 vcc_lo, 0, v[218:219]
	v_cmp_eq_f64_e64 s0, 0, v[220:221]
	s_and_b32 s0, vcc_lo, s0
	s_and_saveexec_b32 s1, s0
	s_xor_b32 s0, exec_lo, s1
; %bb.696:
	v_cmp_ne_u32_e32 vcc_lo, 0, v231
	v_cndmask_b32_e32 v231, 34, v231, vcc_lo
; %bb.697:
	s_andn2_saveexec_b32 s0, s0
	s_cbranch_execz .LBB106_703
; %bb.698:
	v_cmp_ngt_f64_e64 s1, |v[218:219]|, |v[220:221]|
	s_and_saveexec_b32 s7, s1
	s_xor_b32 s1, exec_lo, s7
	s_cbranch_execz .LBB106_700
; %bb.699:
	v_div_scale_f64 v[222:223], null, v[220:221], v[220:221], v[218:219]
	v_div_scale_f64 v[235:236], vcc_lo, v[218:219], v[220:221], v[218:219]
	v_rcp_f64_e32 v[224:225], v[222:223]
	v_fma_f64 v[233:234], -v[222:223], v[224:225], 1.0
	v_fma_f64 v[224:225], v[224:225], v[233:234], v[224:225]
	v_fma_f64 v[233:234], -v[222:223], v[224:225], 1.0
	v_fma_f64 v[224:225], v[224:225], v[233:234], v[224:225]
	v_mul_f64 v[233:234], v[235:236], v[224:225]
	v_fma_f64 v[222:223], -v[222:223], v[233:234], v[235:236]
	v_div_fmas_f64 v[222:223], v[222:223], v[224:225], v[233:234]
	v_div_fixup_f64 v[222:223], v[222:223], v[220:221], v[218:219]
	v_fma_f64 v[218:219], v[218:219], v[222:223], v[220:221]
	v_div_scale_f64 v[220:221], null, v[218:219], v[218:219], 1.0
	v_rcp_f64_e32 v[224:225], v[220:221]
	v_fma_f64 v[233:234], -v[220:221], v[224:225], 1.0
	v_fma_f64 v[224:225], v[224:225], v[233:234], v[224:225]
	v_fma_f64 v[233:234], -v[220:221], v[224:225], 1.0
	v_fma_f64 v[224:225], v[224:225], v[233:234], v[224:225]
	v_div_scale_f64 v[233:234], vcc_lo, 1.0, v[218:219], 1.0
	v_mul_f64 v[235:236], v[233:234], v[224:225]
	v_fma_f64 v[220:221], -v[220:221], v[235:236], v[233:234]
	v_div_fmas_f64 v[220:221], v[220:221], v[224:225], v[235:236]
	v_div_fixup_f64 v[220:221], v[220:221], v[218:219], 1.0
	v_mul_f64 v[218:219], v[222:223], v[220:221]
	v_xor_b32_e32 v221, 0x80000000, v221
.LBB106_700:
	s_andn2_saveexec_b32 s1, s1
	s_cbranch_execz .LBB106_702
; %bb.701:
	v_div_scale_f64 v[222:223], null, v[218:219], v[218:219], v[220:221]
	v_div_scale_f64 v[235:236], vcc_lo, v[220:221], v[218:219], v[220:221]
	v_rcp_f64_e32 v[224:225], v[222:223]
	v_fma_f64 v[233:234], -v[222:223], v[224:225], 1.0
	v_fma_f64 v[224:225], v[224:225], v[233:234], v[224:225]
	v_fma_f64 v[233:234], -v[222:223], v[224:225], 1.0
	v_fma_f64 v[224:225], v[224:225], v[233:234], v[224:225]
	v_mul_f64 v[233:234], v[235:236], v[224:225]
	v_fma_f64 v[222:223], -v[222:223], v[233:234], v[235:236]
	v_div_fmas_f64 v[222:223], v[222:223], v[224:225], v[233:234]
	v_div_fixup_f64 v[222:223], v[222:223], v[218:219], v[220:221]
	v_fma_f64 v[218:219], v[220:221], v[222:223], v[218:219]
	v_div_scale_f64 v[220:221], null, v[218:219], v[218:219], 1.0
	v_rcp_f64_e32 v[224:225], v[220:221]
	v_fma_f64 v[233:234], -v[220:221], v[224:225], 1.0
	v_fma_f64 v[224:225], v[224:225], v[233:234], v[224:225]
	v_fma_f64 v[233:234], -v[220:221], v[224:225], 1.0
	v_fma_f64 v[224:225], v[224:225], v[233:234], v[224:225]
	v_div_scale_f64 v[233:234], vcc_lo, 1.0, v[218:219], 1.0
	v_mul_f64 v[235:236], v[233:234], v[224:225]
	v_fma_f64 v[220:221], -v[220:221], v[235:236], v[233:234]
	v_div_fmas_f64 v[220:221], v[220:221], v[224:225], v[235:236]
	v_div_fixup_f64 v[218:219], v[220:221], v[218:219], 1.0
	v_mul_f64 v[220:221], v[222:223], -v[218:219]
.LBB106_702:
	s_or_b32 exec_lo, exec_lo, s1
.LBB106_703:
	s_or_b32 exec_lo, exec_lo, s0
	s_mov_b32 s0, exec_lo
	v_cmpx_ne_u32_e64 v232, v226
	s_xor_b32 s0, exec_lo, s0
	s_cbranch_execz .LBB106_709
; %bb.704:
	s_mov_b32 s1, exec_lo
	v_cmpx_eq_u32_e32 33, v232
	s_cbranch_execz .LBB106_708
; %bb.705:
	v_cmp_ne_u32_e32 vcc_lo, 33, v226
	s_xor_b32 s7, s16, -1
	s_and_b32 s9, s7, vcc_lo
	s_and_saveexec_b32 s7, s9
	s_cbranch_execz .LBB106_707
; %bb.706:
	s_clause 0x1
	buffer_load_dword v214, off, s[20:23], 0
	buffer_load_dword v215, off, s[20:23], 0 offset:4
	v_ashrrev_i32_e32 v227, 31, v226
	v_lshlrev_b64 v[222:223], 2, v[226:227]
	s_waitcnt vmcnt(1)
	v_add_co_u32 v222, vcc_lo, v214, v222
	s_waitcnt vmcnt(0)
	v_add_co_ci_u32_e64 v223, null, v215, v223, vcc_lo
	s_clause 0x1
	global_load_dword v0, v[222:223], off
	global_load_dword v224, v[214:215], off offset:132
	s_waitcnt vmcnt(1)
	global_store_dword v[214:215], v0, off offset:132
	s_waitcnt vmcnt(0)
	global_store_dword v[222:223], v224, off
.LBB106_707:
	s_or_b32 exec_lo, exec_lo, s7
	v_mov_b32_e32 v232, v226
	v_mov_b32_e32 v0, v226
.LBB106_708:
	s_or_b32 exec_lo, exec_lo, s1
.LBB106_709:
	s_andn2_saveexec_b32 s0, s0
	s_cbranch_execz .LBB106_711
; %bb.710:
	v_mov_b32_e32 v232, 33
	ds_write2_b64 v1, v[78:79], v[80:81] offset0:68 offset1:69
	ds_write2_b64 v1, v[74:75], v[76:77] offset0:70 offset1:71
	;; [unrolled: 1-line block ×20, first 2 shown]
.LBB106_711:
	s_or_b32 exec_lo, exec_lo, s0
	s_mov_b32 s0, exec_lo
	s_waitcnt lgkmcnt(0)
	s_waitcnt_vscnt null, 0x0
	s_barrier
	buffer_gl0_inv
	v_cmpx_lt_i32_e32 33, v232
	s_cbranch_execz .LBB106_713
; %bb.712:
	v_mul_f64 v[222:223], v[220:221], v[84:85]
	v_mul_f64 v[84:85], v[218:219], v[84:85]
	v_fma_f64 v[226:227], v[218:219], v[82:83], -v[222:223]
	v_fma_f64 v[84:85], v[220:221], v[82:83], v[84:85]
	ds_read2_b64 v[218:221], v1 offset0:68 offset1:69
	s_waitcnt lgkmcnt(0)
	v_mul_f64 v[82:83], v[220:221], v[84:85]
	v_fma_f64 v[82:83], v[218:219], v[226:227], -v[82:83]
	v_mul_f64 v[218:219], v[218:219], v[84:85]
	v_add_f64 v[78:79], v[78:79], -v[82:83]
	v_fma_f64 v[218:219], v[220:221], v[226:227], v[218:219]
	v_add_f64 v[80:81], v[80:81], -v[218:219]
	ds_read2_b64 v[218:221], v1 offset0:70 offset1:71
	s_waitcnt lgkmcnt(0)
	v_mul_f64 v[82:83], v[220:221], v[84:85]
	v_fma_f64 v[82:83], v[218:219], v[226:227], -v[82:83]
	v_mul_f64 v[218:219], v[218:219], v[84:85]
	v_add_f64 v[74:75], v[74:75], -v[82:83]
	v_fma_f64 v[218:219], v[220:221], v[226:227], v[218:219]
	v_add_f64 v[76:77], v[76:77], -v[218:219]
	;; [unrolled: 8-line block ×19, first 2 shown]
	ds_read2_b64 v[218:221], v1 offset0:106 offset1:107
	s_waitcnt lgkmcnt(0)
	v_mul_f64 v[82:83], v[220:221], v[84:85]
	v_fma_f64 v[82:83], v[218:219], v[226:227], -v[82:83]
	v_mul_f64 v[218:219], v[218:219], v[84:85]
	v_add_f64 v[2:3], v[2:3], -v[82:83]
	v_fma_f64 v[218:219], v[220:221], v[226:227], v[218:219]
	v_mov_b32_e32 v82, v226
	v_mov_b32_e32 v83, v227
	v_add_f64 v[4:5], v[4:5], -v[218:219]
.LBB106_713:
	s_or_b32 exec_lo, exec_lo, s0
	v_lshl_add_u32 v218, v232, 4, v1
	s_barrier
	buffer_gl0_inv
	v_mov_b32_e32 v226, 34
	ds_write2_b64 v218, v[78:79], v[80:81] offset1:1
	s_waitcnt lgkmcnt(0)
	s_barrier
	buffer_gl0_inv
	ds_read2_b64 v[218:221], v1 offset0:68 offset1:69
	s_cmp_lt_i32 s8, 36
	s_cbranch_scc1 .LBB106_716
; %bb.714:
	v_add3_u32 v227, v228, 0, 0x230
	v_mov_b32_e32 v226, 34
	s_mov_b32 s1, 35
	s_inst_prefetch 0x1
	.p2align	6
.LBB106_715:                            ; =>This Inner Loop Header: Depth=1
	s_waitcnt lgkmcnt(0)
	v_cmp_gt_f64_e32 vcc_lo, 0, v[220:221]
	v_cmp_gt_f64_e64 s0, 0, v[218:219]
	ds_read2_b64 v[233:236], v227 offset1:1
	v_xor_b32_e32 v223, 0x80000000, v219
	v_xor_b32_e32 v225, 0x80000000, v221
	v_mov_b32_e32 v222, v218
	v_mov_b32_e32 v224, v220
	v_add_nc_u32_e32 v227, 16, v227
	s_waitcnt lgkmcnt(0)
	v_xor_b32_e32 v238, 0x80000000, v236
	v_cndmask_b32_e64 v223, v219, v223, s0
	v_cndmask_b32_e32 v225, v221, v225, vcc_lo
	v_cmp_gt_f64_e32 vcc_lo, 0, v[235:236]
	v_cmp_gt_f64_e64 s0, 0, v[233:234]
	v_mov_b32_e32 v237, v235
	v_add_f64 v[222:223], v[222:223], v[224:225]
	v_xor_b32_e32 v225, 0x80000000, v234
	v_mov_b32_e32 v224, v233
	v_cndmask_b32_e32 v238, v236, v238, vcc_lo
	v_cndmask_b32_e64 v225, v234, v225, s0
	v_add_f64 v[224:225], v[224:225], v[237:238]
	v_cmp_lt_f64_e32 vcc_lo, v[222:223], v[224:225]
	v_cndmask_b32_e32 v219, v219, v234, vcc_lo
	v_cndmask_b32_e32 v218, v218, v233, vcc_lo
	;; [unrolled: 1-line block ×4, first 2 shown]
	v_cndmask_b32_e64 v226, v226, s1, vcc_lo
	s_add_i32 s1, s1, 1
	s_cmp_lg_u32 s8, s1
	s_cbranch_scc1 .LBB106_715
.LBB106_716:
	s_inst_prefetch 0x2
	s_waitcnt lgkmcnt(0)
	v_cmp_eq_f64_e32 vcc_lo, 0, v[218:219]
	v_cmp_eq_f64_e64 s0, 0, v[220:221]
	s_and_b32 s0, vcc_lo, s0
	s_and_saveexec_b32 s1, s0
	s_xor_b32 s0, exec_lo, s1
; %bb.717:
	v_cmp_ne_u32_e32 vcc_lo, 0, v231
	v_cndmask_b32_e32 v231, 35, v231, vcc_lo
; %bb.718:
	s_andn2_saveexec_b32 s0, s0
	s_cbranch_execz .LBB106_724
; %bb.719:
	v_cmp_ngt_f64_e64 s1, |v[218:219]|, |v[220:221]|
	s_and_saveexec_b32 s7, s1
	s_xor_b32 s1, exec_lo, s7
	s_cbranch_execz .LBB106_721
; %bb.720:
	v_div_scale_f64 v[222:223], null, v[220:221], v[220:221], v[218:219]
	v_div_scale_f64 v[235:236], vcc_lo, v[218:219], v[220:221], v[218:219]
	v_rcp_f64_e32 v[224:225], v[222:223]
	v_fma_f64 v[233:234], -v[222:223], v[224:225], 1.0
	v_fma_f64 v[224:225], v[224:225], v[233:234], v[224:225]
	v_fma_f64 v[233:234], -v[222:223], v[224:225], 1.0
	v_fma_f64 v[224:225], v[224:225], v[233:234], v[224:225]
	v_mul_f64 v[233:234], v[235:236], v[224:225]
	v_fma_f64 v[222:223], -v[222:223], v[233:234], v[235:236]
	v_div_fmas_f64 v[222:223], v[222:223], v[224:225], v[233:234]
	v_div_fixup_f64 v[222:223], v[222:223], v[220:221], v[218:219]
	v_fma_f64 v[218:219], v[218:219], v[222:223], v[220:221]
	v_div_scale_f64 v[220:221], null, v[218:219], v[218:219], 1.0
	v_rcp_f64_e32 v[224:225], v[220:221]
	v_fma_f64 v[233:234], -v[220:221], v[224:225], 1.0
	v_fma_f64 v[224:225], v[224:225], v[233:234], v[224:225]
	v_fma_f64 v[233:234], -v[220:221], v[224:225], 1.0
	v_fma_f64 v[224:225], v[224:225], v[233:234], v[224:225]
	v_div_scale_f64 v[233:234], vcc_lo, 1.0, v[218:219], 1.0
	v_mul_f64 v[235:236], v[233:234], v[224:225]
	v_fma_f64 v[220:221], -v[220:221], v[235:236], v[233:234]
	v_div_fmas_f64 v[220:221], v[220:221], v[224:225], v[235:236]
	v_div_fixup_f64 v[220:221], v[220:221], v[218:219], 1.0
	v_mul_f64 v[218:219], v[222:223], v[220:221]
	v_xor_b32_e32 v221, 0x80000000, v221
.LBB106_721:
	s_andn2_saveexec_b32 s1, s1
	s_cbranch_execz .LBB106_723
; %bb.722:
	v_div_scale_f64 v[222:223], null, v[218:219], v[218:219], v[220:221]
	v_div_scale_f64 v[235:236], vcc_lo, v[220:221], v[218:219], v[220:221]
	v_rcp_f64_e32 v[224:225], v[222:223]
	v_fma_f64 v[233:234], -v[222:223], v[224:225], 1.0
	v_fma_f64 v[224:225], v[224:225], v[233:234], v[224:225]
	v_fma_f64 v[233:234], -v[222:223], v[224:225], 1.0
	v_fma_f64 v[224:225], v[224:225], v[233:234], v[224:225]
	v_mul_f64 v[233:234], v[235:236], v[224:225]
	v_fma_f64 v[222:223], -v[222:223], v[233:234], v[235:236]
	v_div_fmas_f64 v[222:223], v[222:223], v[224:225], v[233:234]
	v_div_fixup_f64 v[222:223], v[222:223], v[218:219], v[220:221]
	v_fma_f64 v[218:219], v[220:221], v[222:223], v[218:219]
	v_div_scale_f64 v[220:221], null, v[218:219], v[218:219], 1.0
	v_rcp_f64_e32 v[224:225], v[220:221]
	v_fma_f64 v[233:234], -v[220:221], v[224:225], 1.0
	v_fma_f64 v[224:225], v[224:225], v[233:234], v[224:225]
	v_fma_f64 v[233:234], -v[220:221], v[224:225], 1.0
	v_fma_f64 v[224:225], v[224:225], v[233:234], v[224:225]
	v_div_scale_f64 v[233:234], vcc_lo, 1.0, v[218:219], 1.0
	v_mul_f64 v[235:236], v[233:234], v[224:225]
	v_fma_f64 v[220:221], -v[220:221], v[235:236], v[233:234]
	v_div_fmas_f64 v[220:221], v[220:221], v[224:225], v[235:236]
	v_div_fixup_f64 v[218:219], v[220:221], v[218:219], 1.0
	v_mul_f64 v[220:221], v[222:223], -v[218:219]
.LBB106_723:
	s_or_b32 exec_lo, exec_lo, s1
.LBB106_724:
	s_or_b32 exec_lo, exec_lo, s0
	s_mov_b32 s0, exec_lo
	v_cmpx_ne_u32_e64 v232, v226
	s_xor_b32 s0, exec_lo, s0
	s_cbranch_execz .LBB106_730
; %bb.725:
	s_mov_b32 s1, exec_lo
	v_cmpx_eq_u32_e32 34, v232
	s_cbranch_execz .LBB106_729
; %bb.726:
	v_cmp_ne_u32_e32 vcc_lo, 34, v226
	s_xor_b32 s7, s16, -1
	s_and_b32 s9, s7, vcc_lo
	s_and_saveexec_b32 s7, s9
	s_cbranch_execz .LBB106_728
; %bb.727:
	s_clause 0x1
	buffer_load_dword v214, off, s[20:23], 0
	buffer_load_dword v215, off, s[20:23], 0 offset:4
	v_ashrrev_i32_e32 v227, 31, v226
	v_lshlrev_b64 v[222:223], 2, v[226:227]
	s_waitcnt vmcnt(1)
	v_add_co_u32 v222, vcc_lo, v214, v222
	s_waitcnt vmcnt(0)
	v_add_co_ci_u32_e64 v223, null, v215, v223, vcc_lo
	s_clause 0x1
	global_load_dword v0, v[222:223], off
	global_load_dword v224, v[214:215], off offset:136
	s_waitcnt vmcnt(1)
	global_store_dword v[214:215], v0, off offset:136
	s_waitcnt vmcnt(0)
	global_store_dword v[222:223], v224, off
.LBB106_728:
	s_or_b32 exec_lo, exec_lo, s7
	v_mov_b32_e32 v232, v226
	v_mov_b32_e32 v0, v226
.LBB106_729:
	s_or_b32 exec_lo, exec_lo, s1
.LBB106_730:
	s_andn2_saveexec_b32 s0, s0
	s_cbranch_execz .LBB106_732
; %bb.731:
	v_mov_b32_e32 v232, 34
	ds_write2_b64 v1, v[74:75], v[76:77] offset0:70 offset1:71
	ds_write2_b64 v1, v[70:71], v[72:73] offset0:72 offset1:73
	ds_write2_b64 v1, v[66:67], v[68:69] offset0:74 offset1:75
	ds_write2_b64 v1, v[62:63], v[64:65] offset0:76 offset1:77
	ds_write2_b64 v1, v[58:59], v[60:61] offset0:78 offset1:79
	ds_write2_b64 v1, v[54:55], v[56:57] offset0:80 offset1:81
	ds_write2_b64 v1, v[50:51], v[52:53] offset0:82 offset1:83
	ds_write2_b64 v1, v[46:47], v[48:49] offset0:84 offset1:85
	ds_write2_b64 v1, v[42:43], v[44:45] offset0:86 offset1:87
	ds_write2_b64 v1, v[38:39], v[40:41] offset0:88 offset1:89
	ds_write2_b64 v1, v[34:35], v[36:37] offset0:90 offset1:91
	ds_write2_b64 v1, v[30:31], v[32:33] offset0:92 offset1:93
	ds_write2_b64 v1, v[26:27], v[28:29] offset0:94 offset1:95
	ds_write2_b64 v1, v[22:23], v[24:25] offset0:96 offset1:97
	ds_write2_b64 v1, v[18:19], v[20:21] offset0:98 offset1:99
	ds_write2_b64 v1, v[14:15], v[16:17] offset0:100 offset1:101
	ds_write2_b64 v1, v[10:11], v[12:13] offset0:102 offset1:103
	ds_write2_b64 v1, v[6:7], v[8:9] offset0:104 offset1:105
	ds_write2_b64 v1, v[2:3], v[4:5] offset0:106 offset1:107
.LBB106_732:
	s_or_b32 exec_lo, exec_lo, s0
	s_mov_b32 s0, exec_lo
	s_waitcnt lgkmcnt(0)
	s_waitcnt_vscnt null, 0x0
	s_barrier
	buffer_gl0_inv
	v_cmpx_lt_i32_e32 34, v232
	s_cbranch_execz .LBB106_734
; %bb.733:
	v_mul_f64 v[222:223], v[220:221], v[80:81]
	v_mul_f64 v[80:81], v[218:219], v[80:81]
	v_fma_f64 v[226:227], v[218:219], v[78:79], -v[222:223]
	v_fma_f64 v[80:81], v[220:221], v[78:79], v[80:81]
	ds_read2_b64 v[218:221], v1 offset0:70 offset1:71
	s_waitcnt lgkmcnt(0)
	v_mul_f64 v[78:79], v[220:221], v[80:81]
	v_fma_f64 v[78:79], v[218:219], v[226:227], -v[78:79]
	v_mul_f64 v[218:219], v[218:219], v[80:81]
	v_add_f64 v[74:75], v[74:75], -v[78:79]
	v_fma_f64 v[218:219], v[220:221], v[226:227], v[218:219]
	v_add_f64 v[76:77], v[76:77], -v[218:219]
	ds_read2_b64 v[218:221], v1 offset0:72 offset1:73
	s_waitcnt lgkmcnt(0)
	v_mul_f64 v[78:79], v[220:221], v[80:81]
	v_fma_f64 v[78:79], v[218:219], v[226:227], -v[78:79]
	v_mul_f64 v[218:219], v[218:219], v[80:81]
	v_add_f64 v[70:71], v[70:71], -v[78:79]
	v_fma_f64 v[218:219], v[220:221], v[226:227], v[218:219]
	v_add_f64 v[72:73], v[72:73], -v[218:219]
	;; [unrolled: 8-line block ×18, first 2 shown]
	ds_read2_b64 v[218:221], v1 offset0:106 offset1:107
	s_waitcnt lgkmcnt(0)
	v_mul_f64 v[78:79], v[220:221], v[80:81]
	v_fma_f64 v[78:79], v[218:219], v[226:227], -v[78:79]
	v_mul_f64 v[218:219], v[218:219], v[80:81]
	v_add_f64 v[2:3], v[2:3], -v[78:79]
	v_fma_f64 v[218:219], v[220:221], v[226:227], v[218:219]
	v_mov_b32_e32 v78, v226
	v_mov_b32_e32 v79, v227
	v_add_f64 v[4:5], v[4:5], -v[218:219]
.LBB106_734:
	s_or_b32 exec_lo, exec_lo, s0
	v_lshl_add_u32 v218, v232, 4, v1
	s_barrier
	buffer_gl0_inv
	v_mov_b32_e32 v226, 35
	ds_write2_b64 v218, v[74:75], v[76:77] offset1:1
	s_waitcnt lgkmcnt(0)
	s_barrier
	buffer_gl0_inv
	ds_read2_b64 v[218:221], v1 offset0:70 offset1:71
	s_cmp_lt_i32 s8, 37
	s_cbranch_scc1 .LBB106_737
; %bb.735:
	v_add3_u32 v227, v228, 0, 0x240
	v_mov_b32_e32 v226, 35
	s_mov_b32 s1, 36
	s_inst_prefetch 0x1
	.p2align	6
.LBB106_736:                            ; =>This Inner Loop Header: Depth=1
	s_waitcnt lgkmcnt(0)
	v_cmp_gt_f64_e32 vcc_lo, 0, v[220:221]
	v_cmp_gt_f64_e64 s0, 0, v[218:219]
	ds_read2_b64 v[233:236], v227 offset1:1
	v_xor_b32_e32 v223, 0x80000000, v219
	v_xor_b32_e32 v225, 0x80000000, v221
	v_mov_b32_e32 v222, v218
	v_mov_b32_e32 v224, v220
	v_add_nc_u32_e32 v227, 16, v227
	s_waitcnt lgkmcnt(0)
	v_xor_b32_e32 v238, 0x80000000, v236
	v_cndmask_b32_e64 v223, v219, v223, s0
	v_cndmask_b32_e32 v225, v221, v225, vcc_lo
	v_cmp_gt_f64_e32 vcc_lo, 0, v[235:236]
	v_cmp_gt_f64_e64 s0, 0, v[233:234]
	v_mov_b32_e32 v237, v235
	v_add_f64 v[222:223], v[222:223], v[224:225]
	v_xor_b32_e32 v225, 0x80000000, v234
	v_mov_b32_e32 v224, v233
	v_cndmask_b32_e32 v238, v236, v238, vcc_lo
	v_cndmask_b32_e64 v225, v234, v225, s0
	v_add_f64 v[224:225], v[224:225], v[237:238]
	v_cmp_lt_f64_e32 vcc_lo, v[222:223], v[224:225]
	v_cndmask_b32_e32 v219, v219, v234, vcc_lo
	v_cndmask_b32_e32 v218, v218, v233, vcc_lo
	;; [unrolled: 1-line block ×4, first 2 shown]
	v_cndmask_b32_e64 v226, v226, s1, vcc_lo
	s_add_i32 s1, s1, 1
	s_cmp_lg_u32 s8, s1
	s_cbranch_scc1 .LBB106_736
.LBB106_737:
	s_inst_prefetch 0x2
	s_waitcnt lgkmcnt(0)
	v_cmp_eq_f64_e32 vcc_lo, 0, v[218:219]
	v_cmp_eq_f64_e64 s0, 0, v[220:221]
	s_and_b32 s0, vcc_lo, s0
	s_and_saveexec_b32 s1, s0
	s_xor_b32 s0, exec_lo, s1
; %bb.738:
	v_cmp_ne_u32_e32 vcc_lo, 0, v231
	v_cndmask_b32_e32 v231, 36, v231, vcc_lo
; %bb.739:
	s_andn2_saveexec_b32 s0, s0
	s_cbranch_execz .LBB106_745
; %bb.740:
	v_cmp_ngt_f64_e64 s1, |v[218:219]|, |v[220:221]|
	s_and_saveexec_b32 s7, s1
	s_xor_b32 s1, exec_lo, s7
	s_cbranch_execz .LBB106_742
; %bb.741:
	v_div_scale_f64 v[222:223], null, v[220:221], v[220:221], v[218:219]
	v_div_scale_f64 v[235:236], vcc_lo, v[218:219], v[220:221], v[218:219]
	v_rcp_f64_e32 v[224:225], v[222:223]
	v_fma_f64 v[233:234], -v[222:223], v[224:225], 1.0
	v_fma_f64 v[224:225], v[224:225], v[233:234], v[224:225]
	v_fma_f64 v[233:234], -v[222:223], v[224:225], 1.0
	v_fma_f64 v[224:225], v[224:225], v[233:234], v[224:225]
	v_mul_f64 v[233:234], v[235:236], v[224:225]
	v_fma_f64 v[222:223], -v[222:223], v[233:234], v[235:236]
	v_div_fmas_f64 v[222:223], v[222:223], v[224:225], v[233:234]
	v_div_fixup_f64 v[222:223], v[222:223], v[220:221], v[218:219]
	v_fma_f64 v[218:219], v[218:219], v[222:223], v[220:221]
	v_div_scale_f64 v[220:221], null, v[218:219], v[218:219], 1.0
	v_rcp_f64_e32 v[224:225], v[220:221]
	v_fma_f64 v[233:234], -v[220:221], v[224:225], 1.0
	v_fma_f64 v[224:225], v[224:225], v[233:234], v[224:225]
	v_fma_f64 v[233:234], -v[220:221], v[224:225], 1.0
	v_fma_f64 v[224:225], v[224:225], v[233:234], v[224:225]
	v_div_scale_f64 v[233:234], vcc_lo, 1.0, v[218:219], 1.0
	v_mul_f64 v[235:236], v[233:234], v[224:225]
	v_fma_f64 v[220:221], -v[220:221], v[235:236], v[233:234]
	v_div_fmas_f64 v[220:221], v[220:221], v[224:225], v[235:236]
	v_div_fixup_f64 v[220:221], v[220:221], v[218:219], 1.0
	v_mul_f64 v[218:219], v[222:223], v[220:221]
	v_xor_b32_e32 v221, 0x80000000, v221
.LBB106_742:
	s_andn2_saveexec_b32 s1, s1
	s_cbranch_execz .LBB106_744
; %bb.743:
	v_div_scale_f64 v[222:223], null, v[218:219], v[218:219], v[220:221]
	v_div_scale_f64 v[235:236], vcc_lo, v[220:221], v[218:219], v[220:221]
	v_rcp_f64_e32 v[224:225], v[222:223]
	v_fma_f64 v[233:234], -v[222:223], v[224:225], 1.0
	v_fma_f64 v[224:225], v[224:225], v[233:234], v[224:225]
	v_fma_f64 v[233:234], -v[222:223], v[224:225], 1.0
	v_fma_f64 v[224:225], v[224:225], v[233:234], v[224:225]
	v_mul_f64 v[233:234], v[235:236], v[224:225]
	v_fma_f64 v[222:223], -v[222:223], v[233:234], v[235:236]
	v_div_fmas_f64 v[222:223], v[222:223], v[224:225], v[233:234]
	v_div_fixup_f64 v[222:223], v[222:223], v[218:219], v[220:221]
	v_fma_f64 v[218:219], v[220:221], v[222:223], v[218:219]
	v_div_scale_f64 v[220:221], null, v[218:219], v[218:219], 1.0
	v_rcp_f64_e32 v[224:225], v[220:221]
	v_fma_f64 v[233:234], -v[220:221], v[224:225], 1.0
	v_fma_f64 v[224:225], v[224:225], v[233:234], v[224:225]
	v_fma_f64 v[233:234], -v[220:221], v[224:225], 1.0
	v_fma_f64 v[224:225], v[224:225], v[233:234], v[224:225]
	v_div_scale_f64 v[233:234], vcc_lo, 1.0, v[218:219], 1.0
	v_mul_f64 v[235:236], v[233:234], v[224:225]
	v_fma_f64 v[220:221], -v[220:221], v[235:236], v[233:234]
	v_div_fmas_f64 v[220:221], v[220:221], v[224:225], v[235:236]
	v_div_fixup_f64 v[218:219], v[220:221], v[218:219], 1.0
	v_mul_f64 v[220:221], v[222:223], -v[218:219]
.LBB106_744:
	s_or_b32 exec_lo, exec_lo, s1
.LBB106_745:
	s_or_b32 exec_lo, exec_lo, s0
	s_mov_b32 s0, exec_lo
	v_cmpx_ne_u32_e64 v232, v226
	s_xor_b32 s0, exec_lo, s0
	s_cbranch_execz .LBB106_751
; %bb.746:
	s_mov_b32 s1, exec_lo
	v_cmpx_eq_u32_e32 35, v232
	s_cbranch_execz .LBB106_750
; %bb.747:
	v_cmp_ne_u32_e32 vcc_lo, 35, v226
	s_xor_b32 s7, s16, -1
	s_and_b32 s9, s7, vcc_lo
	s_and_saveexec_b32 s7, s9
	s_cbranch_execz .LBB106_749
; %bb.748:
	s_clause 0x1
	buffer_load_dword v214, off, s[20:23], 0
	buffer_load_dword v215, off, s[20:23], 0 offset:4
	v_ashrrev_i32_e32 v227, 31, v226
	v_lshlrev_b64 v[222:223], 2, v[226:227]
	s_waitcnt vmcnt(1)
	v_add_co_u32 v222, vcc_lo, v214, v222
	s_waitcnt vmcnt(0)
	v_add_co_ci_u32_e64 v223, null, v215, v223, vcc_lo
	s_clause 0x1
	global_load_dword v0, v[222:223], off
	global_load_dword v224, v[214:215], off offset:140
	s_waitcnt vmcnt(1)
	global_store_dword v[214:215], v0, off offset:140
	s_waitcnt vmcnt(0)
	global_store_dword v[222:223], v224, off
.LBB106_749:
	s_or_b32 exec_lo, exec_lo, s7
	v_mov_b32_e32 v232, v226
	v_mov_b32_e32 v0, v226
.LBB106_750:
	s_or_b32 exec_lo, exec_lo, s1
.LBB106_751:
	s_andn2_saveexec_b32 s0, s0
	s_cbranch_execz .LBB106_753
; %bb.752:
	v_mov_b32_e32 v232, 35
	ds_write2_b64 v1, v[70:71], v[72:73] offset0:72 offset1:73
	ds_write2_b64 v1, v[66:67], v[68:69] offset0:74 offset1:75
	;; [unrolled: 1-line block ×18, first 2 shown]
.LBB106_753:
	s_or_b32 exec_lo, exec_lo, s0
	s_mov_b32 s0, exec_lo
	s_waitcnt lgkmcnt(0)
	s_waitcnt_vscnt null, 0x0
	s_barrier
	buffer_gl0_inv
	v_cmpx_lt_i32_e32 35, v232
	s_cbranch_execz .LBB106_755
; %bb.754:
	v_mul_f64 v[222:223], v[220:221], v[76:77]
	v_mul_f64 v[76:77], v[218:219], v[76:77]
	v_fma_f64 v[226:227], v[218:219], v[74:75], -v[222:223]
	v_fma_f64 v[76:77], v[220:221], v[74:75], v[76:77]
	ds_read2_b64 v[218:221], v1 offset0:72 offset1:73
	s_waitcnt lgkmcnt(0)
	v_mul_f64 v[74:75], v[220:221], v[76:77]
	v_fma_f64 v[74:75], v[218:219], v[226:227], -v[74:75]
	v_mul_f64 v[218:219], v[218:219], v[76:77]
	v_add_f64 v[70:71], v[70:71], -v[74:75]
	v_fma_f64 v[218:219], v[220:221], v[226:227], v[218:219]
	v_add_f64 v[72:73], v[72:73], -v[218:219]
	ds_read2_b64 v[218:221], v1 offset0:74 offset1:75
	s_waitcnt lgkmcnt(0)
	v_mul_f64 v[74:75], v[220:221], v[76:77]
	v_fma_f64 v[74:75], v[218:219], v[226:227], -v[74:75]
	v_mul_f64 v[218:219], v[218:219], v[76:77]
	v_add_f64 v[66:67], v[66:67], -v[74:75]
	v_fma_f64 v[218:219], v[220:221], v[226:227], v[218:219]
	v_add_f64 v[68:69], v[68:69], -v[218:219]
	;; [unrolled: 8-line block ×17, first 2 shown]
	ds_read2_b64 v[218:221], v1 offset0:106 offset1:107
	s_waitcnt lgkmcnt(0)
	v_mul_f64 v[74:75], v[220:221], v[76:77]
	v_fma_f64 v[74:75], v[218:219], v[226:227], -v[74:75]
	v_mul_f64 v[218:219], v[218:219], v[76:77]
	v_add_f64 v[2:3], v[2:3], -v[74:75]
	v_fma_f64 v[218:219], v[220:221], v[226:227], v[218:219]
	v_mov_b32_e32 v74, v226
	v_mov_b32_e32 v75, v227
	v_add_f64 v[4:5], v[4:5], -v[218:219]
.LBB106_755:
	s_or_b32 exec_lo, exec_lo, s0
	v_lshl_add_u32 v218, v232, 4, v1
	s_barrier
	buffer_gl0_inv
	v_mov_b32_e32 v226, 36
	ds_write2_b64 v218, v[70:71], v[72:73] offset1:1
	s_waitcnt lgkmcnt(0)
	s_barrier
	buffer_gl0_inv
	ds_read2_b64 v[218:221], v1 offset0:72 offset1:73
	s_cmp_lt_i32 s8, 38
	s_cbranch_scc1 .LBB106_758
; %bb.756:
	v_add3_u32 v227, v228, 0, 0x250
	v_mov_b32_e32 v226, 36
	s_mov_b32 s1, 37
	s_inst_prefetch 0x1
	.p2align	6
.LBB106_757:                            ; =>This Inner Loop Header: Depth=1
	s_waitcnt lgkmcnt(0)
	v_cmp_gt_f64_e32 vcc_lo, 0, v[220:221]
	v_cmp_gt_f64_e64 s0, 0, v[218:219]
	ds_read2_b64 v[233:236], v227 offset1:1
	v_xor_b32_e32 v223, 0x80000000, v219
	v_xor_b32_e32 v225, 0x80000000, v221
	v_mov_b32_e32 v222, v218
	v_mov_b32_e32 v224, v220
	v_add_nc_u32_e32 v227, 16, v227
	s_waitcnt lgkmcnt(0)
	v_xor_b32_e32 v238, 0x80000000, v236
	v_cndmask_b32_e64 v223, v219, v223, s0
	v_cndmask_b32_e32 v225, v221, v225, vcc_lo
	v_cmp_gt_f64_e32 vcc_lo, 0, v[235:236]
	v_cmp_gt_f64_e64 s0, 0, v[233:234]
	v_mov_b32_e32 v237, v235
	v_add_f64 v[222:223], v[222:223], v[224:225]
	v_xor_b32_e32 v225, 0x80000000, v234
	v_mov_b32_e32 v224, v233
	v_cndmask_b32_e32 v238, v236, v238, vcc_lo
	v_cndmask_b32_e64 v225, v234, v225, s0
	v_add_f64 v[224:225], v[224:225], v[237:238]
	v_cmp_lt_f64_e32 vcc_lo, v[222:223], v[224:225]
	v_cndmask_b32_e32 v219, v219, v234, vcc_lo
	v_cndmask_b32_e32 v218, v218, v233, vcc_lo
	;; [unrolled: 1-line block ×4, first 2 shown]
	v_cndmask_b32_e64 v226, v226, s1, vcc_lo
	s_add_i32 s1, s1, 1
	s_cmp_lg_u32 s8, s1
	s_cbranch_scc1 .LBB106_757
.LBB106_758:
	s_inst_prefetch 0x2
	s_waitcnt lgkmcnt(0)
	v_cmp_eq_f64_e32 vcc_lo, 0, v[218:219]
	v_cmp_eq_f64_e64 s0, 0, v[220:221]
	s_and_b32 s0, vcc_lo, s0
	s_and_saveexec_b32 s1, s0
	s_xor_b32 s0, exec_lo, s1
; %bb.759:
	v_cmp_ne_u32_e32 vcc_lo, 0, v231
	v_cndmask_b32_e32 v231, 37, v231, vcc_lo
; %bb.760:
	s_andn2_saveexec_b32 s0, s0
	s_cbranch_execz .LBB106_766
; %bb.761:
	v_cmp_ngt_f64_e64 s1, |v[218:219]|, |v[220:221]|
	s_and_saveexec_b32 s7, s1
	s_xor_b32 s1, exec_lo, s7
	s_cbranch_execz .LBB106_763
; %bb.762:
	v_div_scale_f64 v[222:223], null, v[220:221], v[220:221], v[218:219]
	v_div_scale_f64 v[235:236], vcc_lo, v[218:219], v[220:221], v[218:219]
	v_rcp_f64_e32 v[224:225], v[222:223]
	v_fma_f64 v[233:234], -v[222:223], v[224:225], 1.0
	v_fma_f64 v[224:225], v[224:225], v[233:234], v[224:225]
	v_fma_f64 v[233:234], -v[222:223], v[224:225], 1.0
	v_fma_f64 v[224:225], v[224:225], v[233:234], v[224:225]
	v_mul_f64 v[233:234], v[235:236], v[224:225]
	v_fma_f64 v[222:223], -v[222:223], v[233:234], v[235:236]
	v_div_fmas_f64 v[222:223], v[222:223], v[224:225], v[233:234]
	v_div_fixup_f64 v[222:223], v[222:223], v[220:221], v[218:219]
	v_fma_f64 v[218:219], v[218:219], v[222:223], v[220:221]
	v_div_scale_f64 v[220:221], null, v[218:219], v[218:219], 1.0
	v_rcp_f64_e32 v[224:225], v[220:221]
	v_fma_f64 v[233:234], -v[220:221], v[224:225], 1.0
	v_fma_f64 v[224:225], v[224:225], v[233:234], v[224:225]
	v_fma_f64 v[233:234], -v[220:221], v[224:225], 1.0
	v_fma_f64 v[224:225], v[224:225], v[233:234], v[224:225]
	v_div_scale_f64 v[233:234], vcc_lo, 1.0, v[218:219], 1.0
	v_mul_f64 v[235:236], v[233:234], v[224:225]
	v_fma_f64 v[220:221], -v[220:221], v[235:236], v[233:234]
	v_div_fmas_f64 v[220:221], v[220:221], v[224:225], v[235:236]
	v_div_fixup_f64 v[220:221], v[220:221], v[218:219], 1.0
	v_mul_f64 v[218:219], v[222:223], v[220:221]
	v_xor_b32_e32 v221, 0x80000000, v221
.LBB106_763:
	s_andn2_saveexec_b32 s1, s1
	s_cbranch_execz .LBB106_765
; %bb.764:
	v_div_scale_f64 v[222:223], null, v[218:219], v[218:219], v[220:221]
	v_div_scale_f64 v[235:236], vcc_lo, v[220:221], v[218:219], v[220:221]
	v_rcp_f64_e32 v[224:225], v[222:223]
	v_fma_f64 v[233:234], -v[222:223], v[224:225], 1.0
	v_fma_f64 v[224:225], v[224:225], v[233:234], v[224:225]
	v_fma_f64 v[233:234], -v[222:223], v[224:225], 1.0
	v_fma_f64 v[224:225], v[224:225], v[233:234], v[224:225]
	v_mul_f64 v[233:234], v[235:236], v[224:225]
	v_fma_f64 v[222:223], -v[222:223], v[233:234], v[235:236]
	v_div_fmas_f64 v[222:223], v[222:223], v[224:225], v[233:234]
	v_div_fixup_f64 v[222:223], v[222:223], v[218:219], v[220:221]
	v_fma_f64 v[218:219], v[220:221], v[222:223], v[218:219]
	v_div_scale_f64 v[220:221], null, v[218:219], v[218:219], 1.0
	v_rcp_f64_e32 v[224:225], v[220:221]
	v_fma_f64 v[233:234], -v[220:221], v[224:225], 1.0
	v_fma_f64 v[224:225], v[224:225], v[233:234], v[224:225]
	v_fma_f64 v[233:234], -v[220:221], v[224:225], 1.0
	v_fma_f64 v[224:225], v[224:225], v[233:234], v[224:225]
	v_div_scale_f64 v[233:234], vcc_lo, 1.0, v[218:219], 1.0
	v_mul_f64 v[235:236], v[233:234], v[224:225]
	v_fma_f64 v[220:221], -v[220:221], v[235:236], v[233:234]
	v_div_fmas_f64 v[220:221], v[220:221], v[224:225], v[235:236]
	v_div_fixup_f64 v[218:219], v[220:221], v[218:219], 1.0
	v_mul_f64 v[220:221], v[222:223], -v[218:219]
.LBB106_765:
	s_or_b32 exec_lo, exec_lo, s1
.LBB106_766:
	s_or_b32 exec_lo, exec_lo, s0
	s_mov_b32 s0, exec_lo
	v_cmpx_ne_u32_e64 v232, v226
	s_xor_b32 s0, exec_lo, s0
	s_cbranch_execz .LBB106_772
; %bb.767:
	s_mov_b32 s1, exec_lo
	v_cmpx_eq_u32_e32 36, v232
	s_cbranch_execz .LBB106_771
; %bb.768:
	v_cmp_ne_u32_e32 vcc_lo, 36, v226
	s_xor_b32 s7, s16, -1
	s_and_b32 s9, s7, vcc_lo
	s_and_saveexec_b32 s7, s9
	s_cbranch_execz .LBB106_770
; %bb.769:
	s_clause 0x1
	buffer_load_dword v214, off, s[20:23], 0
	buffer_load_dword v215, off, s[20:23], 0 offset:4
	v_ashrrev_i32_e32 v227, 31, v226
	v_lshlrev_b64 v[222:223], 2, v[226:227]
	s_waitcnt vmcnt(1)
	v_add_co_u32 v222, vcc_lo, v214, v222
	s_waitcnt vmcnt(0)
	v_add_co_ci_u32_e64 v223, null, v215, v223, vcc_lo
	s_clause 0x1
	global_load_dword v0, v[222:223], off
	global_load_dword v224, v[214:215], off offset:144
	s_waitcnt vmcnt(1)
	global_store_dword v[214:215], v0, off offset:144
	s_waitcnt vmcnt(0)
	global_store_dword v[222:223], v224, off
.LBB106_770:
	s_or_b32 exec_lo, exec_lo, s7
	v_mov_b32_e32 v232, v226
	v_mov_b32_e32 v0, v226
.LBB106_771:
	s_or_b32 exec_lo, exec_lo, s1
.LBB106_772:
	s_andn2_saveexec_b32 s0, s0
	s_cbranch_execz .LBB106_774
; %bb.773:
	v_mov_b32_e32 v232, 36
	ds_write2_b64 v1, v[66:67], v[68:69] offset0:74 offset1:75
	ds_write2_b64 v1, v[62:63], v[64:65] offset0:76 offset1:77
	;; [unrolled: 1-line block ×17, first 2 shown]
.LBB106_774:
	s_or_b32 exec_lo, exec_lo, s0
	s_mov_b32 s0, exec_lo
	s_waitcnt lgkmcnt(0)
	s_waitcnt_vscnt null, 0x0
	s_barrier
	buffer_gl0_inv
	v_cmpx_lt_i32_e32 36, v232
	s_cbranch_execz .LBB106_776
; %bb.775:
	v_mul_f64 v[222:223], v[220:221], v[72:73]
	v_mul_f64 v[72:73], v[218:219], v[72:73]
	v_fma_f64 v[226:227], v[218:219], v[70:71], -v[222:223]
	v_fma_f64 v[72:73], v[220:221], v[70:71], v[72:73]
	ds_read2_b64 v[218:221], v1 offset0:74 offset1:75
	s_waitcnt lgkmcnt(0)
	v_mul_f64 v[70:71], v[220:221], v[72:73]
	v_fma_f64 v[70:71], v[218:219], v[226:227], -v[70:71]
	v_mul_f64 v[218:219], v[218:219], v[72:73]
	v_add_f64 v[66:67], v[66:67], -v[70:71]
	v_fma_f64 v[218:219], v[220:221], v[226:227], v[218:219]
	v_add_f64 v[68:69], v[68:69], -v[218:219]
	ds_read2_b64 v[218:221], v1 offset0:76 offset1:77
	s_waitcnt lgkmcnt(0)
	v_mul_f64 v[70:71], v[220:221], v[72:73]
	v_fma_f64 v[70:71], v[218:219], v[226:227], -v[70:71]
	v_mul_f64 v[218:219], v[218:219], v[72:73]
	v_add_f64 v[62:63], v[62:63], -v[70:71]
	v_fma_f64 v[218:219], v[220:221], v[226:227], v[218:219]
	v_add_f64 v[64:65], v[64:65], -v[218:219]
	;; [unrolled: 8-line block ×16, first 2 shown]
	ds_read2_b64 v[218:221], v1 offset0:106 offset1:107
	s_waitcnt lgkmcnt(0)
	v_mul_f64 v[70:71], v[220:221], v[72:73]
	v_fma_f64 v[70:71], v[218:219], v[226:227], -v[70:71]
	v_mul_f64 v[218:219], v[218:219], v[72:73]
	v_add_f64 v[2:3], v[2:3], -v[70:71]
	v_fma_f64 v[218:219], v[220:221], v[226:227], v[218:219]
	v_mov_b32_e32 v70, v226
	v_mov_b32_e32 v71, v227
	v_add_f64 v[4:5], v[4:5], -v[218:219]
.LBB106_776:
	s_or_b32 exec_lo, exec_lo, s0
	v_lshl_add_u32 v218, v232, 4, v1
	s_barrier
	buffer_gl0_inv
	v_mov_b32_e32 v226, 37
	ds_write2_b64 v218, v[66:67], v[68:69] offset1:1
	s_waitcnt lgkmcnt(0)
	s_barrier
	buffer_gl0_inv
	ds_read2_b64 v[218:221], v1 offset0:74 offset1:75
	s_cmp_lt_i32 s8, 39
	s_cbranch_scc1 .LBB106_779
; %bb.777:
	v_add3_u32 v227, v228, 0, 0x260
	v_mov_b32_e32 v226, 37
	s_mov_b32 s1, 38
	s_inst_prefetch 0x1
	.p2align	6
.LBB106_778:                            ; =>This Inner Loop Header: Depth=1
	s_waitcnt lgkmcnt(0)
	v_cmp_gt_f64_e32 vcc_lo, 0, v[220:221]
	v_cmp_gt_f64_e64 s0, 0, v[218:219]
	ds_read2_b64 v[233:236], v227 offset1:1
	v_xor_b32_e32 v223, 0x80000000, v219
	v_xor_b32_e32 v225, 0x80000000, v221
	v_mov_b32_e32 v222, v218
	v_mov_b32_e32 v224, v220
	v_add_nc_u32_e32 v227, 16, v227
	s_waitcnt lgkmcnt(0)
	v_xor_b32_e32 v238, 0x80000000, v236
	v_cndmask_b32_e64 v223, v219, v223, s0
	v_cndmask_b32_e32 v225, v221, v225, vcc_lo
	v_cmp_gt_f64_e32 vcc_lo, 0, v[235:236]
	v_cmp_gt_f64_e64 s0, 0, v[233:234]
	v_mov_b32_e32 v237, v235
	v_add_f64 v[222:223], v[222:223], v[224:225]
	v_xor_b32_e32 v225, 0x80000000, v234
	v_mov_b32_e32 v224, v233
	v_cndmask_b32_e32 v238, v236, v238, vcc_lo
	v_cndmask_b32_e64 v225, v234, v225, s0
	v_add_f64 v[224:225], v[224:225], v[237:238]
	v_cmp_lt_f64_e32 vcc_lo, v[222:223], v[224:225]
	v_cndmask_b32_e32 v219, v219, v234, vcc_lo
	v_cndmask_b32_e32 v218, v218, v233, vcc_lo
	;; [unrolled: 1-line block ×4, first 2 shown]
	v_cndmask_b32_e64 v226, v226, s1, vcc_lo
	s_add_i32 s1, s1, 1
	s_cmp_lg_u32 s8, s1
	s_cbranch_scc1 .LBB106_778
.LBB106_779:
	s_inst_prefetch 0x2
	s_waitcnt lgkmcnt(0)
	v_cmp_eq_f64_e32 vcc_lo, 0, v[218:219]
	v_cmp_eq_f64_e64 s0, 0, v[220:221]
	s_and_b32 s0, vcc_lo, s0
	s_and_saveexec_b32 s1, s0
	s_xor_b32 s0, exec_lo, s1
; %bb.780:
	v_cmp_ne_u32_e32 vcc_lo, 0, v231
	v_cndmask_b32_e32 v231, 38, v231, vcc_lo
; %bb.781:
	s_andn2_saveexec_b32 s0, s0
	s_cbranch_execz .LBB106_787
; %bb.782:
	v_cmp_ngt_f64_e64 s1, |v[218:219]|, |v[220:221]|
	s_and_saveexec_b32 s7, s1
	s_xor_b32 s1, exec_lo, s7
	s_cbranch_execz .LBB106_784
; %bb.783:
	v_div_scale_f64 v[222:223], null, v[220:221], v[220:221], v[218:219]
	v_div_scale_f64 v[235:236], vcc_lo, v[218:219], v[220:221], v[218:219]
	v_rcp_f64_e32 v[224:225], v[222:223]
	v_fma_f64 v[233:234], -v[222:223], v[224:225], 1.0
	v_fma_f64 v[224:225], v[224:225], v[233:234], v[224:225]
	v_fma_f64 v[233:234], -v[222:223], v[224:225], 1.0
	v_fma_f64 v[224:225], v[224:225], v[233:234], v[224:225]
	v_mul_f64 v[233:234], v[235:236], v[224:225]
	v_fma_f64 v[222:223], -v[222:223], v[233:234], v[235:236]
	v_div_fmas_f64 v[222:223], v[222:223], v[224:225], v[233:234]
	v_div_fixup_f64 v[222:223], v[222:223], v[220:221], v[218:219]
	v_fma_f64 v[218:219], v[218:219], v[222:223], v[220:221]
	v_div_scale_f64 v[220:221], null, v[218:219], v[218:219], 1.0
	v_rcp_f64_e32 v[224:225], v[220:221]
	v_fma_f64 v[233:234], -v[220:221], v[224:225], 1.0
	v_fma_f64 v[224:225], v[224:225], v[233:234], v[224:225]
	v_fma_f64 v[233:234], -v[220:221], v[224:225], 1.0
	v_fma_f64 v[224:225], v[224:225], v[233:234], v[224:225]
	v_div_scale_f64 v[233:234], vcc_lo, 1.0, v[218:219], 1.0
	v_mul_f64 v[235:236], v[233:234], v[224:225]
	v_fma_f64 v[220:221], -v[220:221], v[235:236], v[233:234]
	v_div_fmas_f64 v[220:221], v[220:221], v[224:225], v[235:236]
	v_div_fixup_f64 v[220:221], v[220:221], v[218:219], 1.0
	v_mul_f64 v[218:219], v[222:223], v[220:221]
	v_xor_b32_e32 v221, 0x80000000, v221
.LBB106_784:
	s_andn2_saveexec_b32 s1, s1
	s_cbranch_execz .LBB106_786
; %bb.785:
	v_div_scale_f64 v[222:223], null, v[218:219], v[218:219], v[220:221]
	v_div_scale_f64 v[235:236], vcc_lo, v[220:221], v[218:219], v[220:221]
	v_rcp_f64_e32 v[224:225], v[222:223]
	v_fma_f64 v[233:234], -v[222:223], v[224:225], 1.0
	v_fma_f64 v[224:225], v[224:225], v[233:234], v[224:225]
	v_fma_f64 v[233:234], -v[222:223], v[224:225], 1.0
	v_fma_f64 v[224:225], v[224:225], v[233:234], v[224:225]
	v_mul_f64 v[233:234], v[235:236], v[224:225]
	v_fma_f64 v[222:223], -v[222:223], v[233:234], v[235:236]
	v_div_fmas_f64 v[222:223], v[222:223], v[224:225], v[233:234]
	v_div_fixup_f64 v[222:223], v[222:223], v[218:219], v[220:221]
	v_fma_f64 v[218:219], v[220:221], v[222:223], v[218:219]
	v_div_scale_f64 v[220:221], null, v[218:219], v[218:219], 1.0
	v_rcp_f64_e32 v[224:225], v[220:221]
	v_fma_f64 v[233:234], -v[220:221], v[224:225], 1.0
	v_fma_f64 v[224:225], v[224:225], v[233:234], v[224:225]
	v_fma_f64 v[233:234], -v[220:221], v[224:225], 1.0
	v_fma_f64 v[224:225], v[224:225], v[233:234], v[224:225]
	v_div_scale_f64 v[233:234], vcc_lo, 1.0, v[218:219], 1.0
	v_mul_f64 v[235:236], v[233:234], v[224:225]
	v_fma_f64 v[220:221], -v[220:221], v[235:236], v[233:234]
	v_div_fmas_f64 v[220:221], v[220:221], v[224:225], v[235:236]
	v_div_fixup_f64 v[218:219], v[220:221], v[218:219], 1.0
	v_mul_f64 v[220:221], v[222:223], -v[218:219]
.LBB106_786:
	s_or_b32 exec_lo, exec_lo, s1
.LBB106_787:
	s_or_b32 exec_lo, exec_lo, s0
	s_mov_b32 s0, exec_lo
	v_cmpx_ne_u32_e64 v232, v226
	s_xor_b32 s0, exec_lo, s0
	s_cbranch_execz .LBB106_793
; %bb.788:
	s_mov_b32 s1, exec_lo
	v_cmpx_eq_u32_e32 37, v232
	s_cbranch_execz .LBB106_792
; %bb.789:
	v_cmp_ne_u32_e32 vcc_lo, 37, v226
	s_xor_b32 s7, s16, -1
	s_and_b32 s9, s7, vcc_lo
	s_and_saveexec_b32 s7, s9
	s_cbranch_execz .LBB106_791
; %bb.790:
	s_clause 0x1
	buffer_load_dword v214, off, s[20:23], 0
	buffer_load_dword v215, off, s[20:23], 0 offset:4
	v_ashrrev_i32_e32 v227, 31, v226
	v_lshlrev_b64 v[222:223], 2, v[226:227]
	s_waitcnt vmcnt(1)
	v_add_co_u32 v222, vcc_lo, v214, v222
	s_waitcnt vmcnt(0)
	v_add_co_ci_u32_e64 v223, null, v215, v223, vcc_lo
	s_clause 0x1
	global_load_dword v0, v[222:223], off
	global_load_dword v224, v[214:215], off offset:148
	s_waitcnt vmcnt(1)
	global_store_dword v[214:215], v0, off offset:148
	s_waitcnt vmcnt(0)
	global_store_dword v[222:223], v224, off
.LBB106_791:
	s_or_b32 exec_lo, exec_lo, s7
	v_mov_b32_e32 v232, v226
	v_mov_b32_e32 v0, v226
.LBB106_792:
	s_or_b32 exec_lo, exec_lo, s1
.LBB106_793:
	s_andn2_saveexec_b32 s0, s0
	s_cbranch_execz .LBB106_795
; %bb.794:
	v_mov_b32_e32 v232, 37
	ds_write2_b64 v1, v[62:63], v[64:65] offset0:76 offset1:77
	ds_write2_b64 v1, v[58:59], v[60:61] offset0:78 offset1:79
	;; [unrolled: 1-line block ×16, first 2 shown]
.LBB106_795:
	s_or_b32 exec_lo, exec_lo, s0
	s_mov_b32 s0, exec_lo
	s_waitcnt lgkmcnt(0)
	s_waitcnt_vscnt null, 0x0
	s_barrier
	buffer_gl0_inv
	v_cmpx_lt_i32_e32 37, v232
	s_cbranch_execz .LBB106_797
; %bb.796:
	v_mul_f64 v[222:223], v[218:219], v[68:69]
	v_mul_f64 v[68:69], v[220:221], v[68:69]
	v_fma_f64 v[226:227], v[220:221], v[66:67], v[222:223]
	v_fma_f64 v[66:67], v[218:219], v[66:67], -v[68:69]
	ds_read2_b64 v[218:221], v1 offset0:76 offset1:77
	s_waitcnt lgkmcnt(0)
	v_mul_f64 v[68:69], v[220:221], v[226:227]
	v_fma_f64 v[68:69], v[218:219], v[66:67], -v[68:69]
	v_mul_f64 v[218:219], v[218:219], v[226:227]
	v_add_f64 v[62:63], v[62:63], -v[68:69]
	v_fma_f64 v[218:219], v[220:221], v[66:67], v[218:219]
	v_add_f64 v[64:65], v[64:65], -v[218:219]
	ds_read2_b64 v[218:221], v1 offset0:78 offset1:79
	s_waitcnt lgkmcnt(0)
	v_mul_f64 v[68:69], v[220:221], v[226:227]
	v_fma_f64 v[68:69], v[218:219], v[66:67], -v[68:69]
	v_mul_f64 v[218:219], v[218:219], v[226:227]
	v_add_f64 v[58:59], v[58:59], -v[68:69]
	v_fma_f64 v[218:219], v[220:221], v[66:67], v[218:219]
	v_add_f64 v[60:61], v[60:61], -v[218:219]
	ds_read2_b64 v[218:221], v1 offset0:80 offset1:81
	s_waitcnt lgkmcnt(0)
	v_mul_f64 v[68:69], v[220:221], v[226:227]
	v_fma_f64 v[68:69], v[218:219], v[66:67], -v[68:69]
	v_mul_f64 v[218:219], v[218:219], v[226:227]
	v_add_f64 v[54:55], v[54:55], -v[68:69]
	v_fma_f64 v[218:219], v[220:221], v[66:67], v[218:219]
	v_add_f64 v[56:57], v[56:57], -v[218:219]
	ds_read2_b64 v[218:221], v1 offset0:82 offset1:83
	s_waitcnt lgkmcnt(0)
	v_mul_f64 v[68:69], v[220:221], v[226:227]
	v_fma_f64 v[68:69], v[218:219], v[66:67], -v[68:69]
	v_mul_f64 v[218:219], v[218:219], v[226:227]
	v_add_f64 v[50:51], v[50:51], -v[68:69]
	v_fma_f64 v[218:219], v[220:221], v[66:67], v[218:219]
	v_add_f64 v[52:53], v[52:53], -v[218:219]
	ds_read2_b64 v[218:221], v1 offset0:84 offset1:85
	s_waitcnt lgkmcnt(0)
	v_mul_f64 v[68:69], v[220:221], v[226:227]
	v_fma_f64 v[68:69], v[218:219], v[66:67], -v[68:69]
	v_mul_f64 v[218:219], v[218:219], v[226:227]
	v_add_f64 v[46:47], v[46:47], -v[68:69]
	v_fma_f64 v[218:219], v[220:221], v[66:67], v[218:219]
	v_add_f64 v[48:49], v[48:49], -v[218:219]
	ds_read2_b64 v[218:221], v1 offset0:86 offset1:87
	s_waitcnt lgkmcnt(0)
	v_mul_f64 v[68:69], v[220:221], v[226:227]
	v_fma_f64 v[68:69], v[218:219], v[66:67], -v[68:69]
	v_mul_f64 v[218:219], v[218:219], v[226:227]
	v_add_f64 v[42:43], v[42:43], -v[68:69]
	v_fma_f64 v[218:219], v[220:221], v[66:67], v[218:219]
	v_add_f64 v[44:45], v[44:45], -v[218:219]
	ds_read2_b64 v[218:221], v1 offset0:88 offset1:89
	s_waitcnt lgkmcnt(0)
	v_mul_f64 v[68:69], v[220:221], v[226:227]
	v_fma_f64 v[68:69], v[218:219], v[66:67], -v[68:69]
	v_mul_f64 v[218:219], v[218:219], v[226:227]
	v_add_f64 v[38:39], v[38:39], -v[68:69]
	v_fma_f64 v[218:219], v[220:221], v[66:67], v[218:219]
	v_add_f64 v[40:41], v[40:41], -v[218:219]
	ds_read2_b64 v[218:221], v1 offset0:90 offset1:91
	s_waitcnt lgkmcnt(0)
	v_mul_f64 v[68:69], v[220:221], v[226:227]
	v_fma_f64 v[68:69], v[218:219], v[66:67], -v[68:69]
	v_mul_f64 v[218:219], v[218:219], v[226:227]
	v_add_f64 v[34:35], v[34:35], -v[68:69]
	v_fma_f64 v[218:219], v[220:221], v[66:67], v[218:219]
	v_add_f64 v[36:37], v[36:37], -v[218:219]
	ds_read2_b64 v[218:221], v1 offset0:92 offset1:93
	s_waitcnt lgkmcnt(0)
	v_mul_f64 v[68:69], v[220:221], v[226:227]
	v_fma_f64 v[68:69], v[218:219], v[66:67], -v[68:69]
	v_mul_f64 v[218:219], v[218:219], v[226:227]
	v_add_f64 v[30:31], v[30:31], -v[68:69]
	v_fma_f64 v[218:219], v[220:221], v[66:67], v[218:219]
	v_add_f64 v[32:33], v[32:33], -v[218:219]
	ds_read2_b64 v[218:221], v1 offset0:94 offset1:95
	s_waitcnt lgkmcnt(0)
	v_mul_f64 v[68:69], v[220:221], v[226:227]
	v_fma_f64 v[68:69], v[218:219], v[66:67], -v[68:69]
	v_mul_f64 v[218:219], v[218:219], v[226:227]
	v_add_f64 v[26:27], v[26:27], -v[68:69]
	v_fma_f64 v[218:219], v[220:221], v[66:67], v[218:219]
	v_add_f64 v[28:29], v[28:29], -v[218:219]
	ds_read2_b64 v[218:221], v1 offset0:96 offset1:97
	s_waitcnt lgkmcnt(0)
	v_mul_f64 v[68:69], v[220:221], v[226:227]
	v_fma_f64 v[68:69], v[218:219], v[66:67], -v[68:69]
	v_mul_f64 v[218:219], v[218:219], v[226:227]
	v_add_f64 v[22:23], v[22:23], -v[68:69]
	v_fma_f64 v[218:219], v[220:221], v[66:67], v[218:219]
	v_add_f64 v[24:25], v[24:25], -v[218:219]
	ds_read2_b64 v[218:221], v1 offset0:98 offset1:99
	s_waitcnt lgkmcnt(0)
	v_mul_f64 v[68:69], v[220:221], v[226:227]
	v_fma_f64 v[68:69], v[218:219], v[66:67], -v[68:69]
	v_mul_f64 v[218:219], v[218:219], v[226:227]
	v_add_f64 v[18:19], v[18:19], -v[68:69]
	v_fma_f64 v[218:219], v[220:221], v[66:67], v[218:219]
	v_add_f64 v[20:21], v[20:21], -v[218:219]
	ds_read2_b64 v[218:221], v1 offset0:100 offset1:101
	s_waitcnt lgkmcnt(0)
	v_mul_f64 v[68:69], v[220:221], v[226:227]
	v_fma_f64 v[68:69], v[218:219], v[66:67], -v[68:69]
	v_mul_f64 v[218:219], v[218:219], v[226:227]
	v_add_f64 v[14:15], v[14:15], -v[68:69]
	v_fma_f64 v[218:219], v[220:221], v[66:67], v[218:219]
	v_add_f64 v[16:17], v[16:17], -v[218:219]
	ds_read2_b64 v[218:221], v1 offset0:102 offset1:103
	s_waitcnt lgkmcnt(0)
	v_mul_f64 v[68:69], v[220:221], v[226:227]
	v_fma_f64 v[68:69], v[218:219], v[66:67], -v[68:69]
	v_mul_f64 v[218:219], v[218:219], v[226:227]
	v_add_f64 v[10:11], v[10:11], -v[68:69]
	v_fma_f64 v[218:219], v[220:221], v[66:67], v[218:219]
	v_add_f64 v[12:13], v[12:13], -v[218:219]
	ds_read2_b64 v[218:221], v1 offset0:104 offset1:105
	s_waitcnt lgkmcnt(0)
	v_mul_f64 v[68:69], v[220:221], v[226:227]
	v_fma_f64 v[68:69], v[218:219], v[66:67], -v[68:69]
	v_mul_f64 v[218:219], v[218:219], v[226:227]
	v_add_f64 v[6:7], v[6:7], -v[68:69]
	v_fma_f64 v[218:219], v[220:221], v[66:67], v[218:219]
	v_add_f64 v[8:9], v[8:9], -v[218:219]
	ds_read2_b64 v[218:221], v1 offset0:106 offset1:107
	s_waitcnt lgkmcnt(0)
	v_mul_f64 v[68:69], v[220:221], v[226:227]
	v_fma_f64 v[68:69], v[218:219], v[66:67], -v[68:69]
	v_mul_f64 v[218:219], v[218:219], v[226:227]
	v_add_f64 v[2:3], v[2:3], -v[68:69]
	v_fma_f64 v[218:219], v[220:221], v[66:67], v[218:219]
	v_mov_b32_e32 v68, v226
	v_mov_b32_e32 v69, v227
	v_add_f64 v[4:5], v[4:5], -v[218:219]
.LBB106_797:
	s_or_b32 exec_lo, exec_lo, s0
	v_lshl_add_u32 v218, v232, 4, v1
	s_barrier
	buffer_gl0_inv
	v_mov_b32_e32 v226, 38
	ds_write2_b64 v218, v[62:63], v[64:65] offset1:1
	s_waitcnt lgkmcnt(0)
	s_barrier
	buffer_gl0_inv
	ds_read2_b64 v[218:221], v1 offset0:76 offset1:77
	s_cmp_lt_i32 s8, 40
	s_cbranch_scc1 .LBB106_800
; %bb.798:
	v_add3_u32 v227, v228, 0, 0x270
	v_mov_b32_e32 v226, 38
	s_mov_b32 s1, 39
	s_inst_prefetch 0x1
	.p2align	6
.LBB106_799:                            ; =>This Inner Loop Header: Depth=1
	s_waitcnt lgkmcnt(0)
	v_cmp_gt_f64_e32 vcc_lo, 0, v[220:221]
	v_cmp_gt_f64_e64 s0, 0, v[218:219]
	ds_read2_b64 v[233:236], v227 offset1:1
	v_xor_b32_e32 v223, 0x80000000, v219
	v_xor_b32_e32 v225, 0x80000000, v221
	v_mov_b32_e32 v222, v218
	v_mov_b32_e32 v224, v220
	v_add_nc_u32_e32 v227, 16, v227
	s_waitcnt lgkmcnt(0)
	v_xor_b32_e32 v238, 0x80000000, v236
	v_cndmask_b32_e64 v223, v219, v223, s0
	v_cndmask_b32_e32 v225, v221, v225, vcc_lo
	v_cmp_gt_f64_e32 vcc_lo, 0, v[235:236]
	v_cmp_gt_f64_e64 s0, 0, v[233:234]
	v_mov_b32_e32 v237, v235
	v_add_f64 v[222:223], v[222:223], v[224:225]
	v_xor_b32_e32 v225, 0x80000000, v234
	v_mov_b32_e32 v224, v233
	v_cndmask_b32_e32 v238, v236, v238, vcc_lo
	v_cndmask_b32_e64 v225, v234, v225, s0
	v_add_f64 v[224:225], v[224:225], v[237:238]
	v_cmp_lt_f64_e32 vcc_lo, v[222:223], v[224:225]
	v_cndmask_b32_e32 v219, v219, v234, vcc_lo
	v_cndmask_b32_e32 v218, v218, v233, vcc_lo
	;; [unrolled: 1-line block ×4, first 2 shown]
	v_cndmask_b32_e64 v226, v226, s1, vcc_lo
	s_add_i32 s1, s1, 1
	s_cmp_lg_u32 s8, s1
	s_cbranch_scc1 .LBB106_799
.LBB106_800:
	s_inst_prefetch 0x2
	s_waitcnt lgkmcnt(0)
	v_cmp_eq_f64_e32 vcc_lo, 0, v[218:219]
	v_cmp_eq_f64_e64 s0, 0, v[220:221]
	s_and_b32 s0, vcc_lo, s0
	s_and_saveexec_b32 s1, s0
	s_xor_b32 s0, exec_lo, s1
; %bb.801:
	v_cmp_ne_u32_e32 vcc_lo, 0, v231
	v_cndmask_b32_e32 v231, 39, v231, vcc_lo
; %bb.802:
	s_andn2_saveexec_b32 s0, s0
	s_cbranch_execz .LBB106_808
; %bb.803:
	v_cmp_ngt_f64_e64 s1, |v[218:219]|, |v[220:221]|
	s_and_saveexec_b32 s7, s1
	s_xor_b32 s1, exec_lo, s7
	s_cbranch_execz .LBB106_805
; %bb.804:
	v_div_scale_f64 v[222:223], null, v[220:221], v[220:221], v[218:219]
	v_div_scale_f64 v[235:236], vcc_lo, v[218:219], v[220:221], v[218:219]
	v_rcp_f64_e32 v[224:225], v[222:223]
	v_fma_f64 v[233:234], -v[222:223], v[224:225], 1.0
	v_fma_f64 v[224:225], v[224:225], v[233:234], v[224:225]
	v_fma_f64 v[233:234], -v[222:223], v[224:225], 1.0
	v_fma_f64 v[224:225], v[224:225], v[233:234], v[224:225]
	v_mul_f64 v[233:234], v[235:236], v[224:225]
	v_fma_f64 v[222:223], -v[222:223], v[233:234], v[235:236]
	v_div_fmas_f64 v[222:223], v[222:223], v[224:225], v[233:234]
	v_div_fixup_f64 v[222:223], v[222:223], v[220:221], v[218:219]
	v_fma_f64 v[218:219], v[218:219], v[222:223], v[220:221]
	v_div_scale_f64 v[220:221], null, v[218:219], v[218:219], 1.0
	v_rcp_f64_e32 v[224:225], v[220:221]
	v_fma_f64 v[233:234], -v[220:221], v[224:225], 1.0
	v_fma_f64 v[224:225], v[224:225], v[233:234], v[224:225]
	v_fma_f64 v[233:234], -v[220:221], v[224:225], 1.0
	v_fma_f64 v[224:225], v[224:225], v[233:234], v[224:225]
	v_div_scale_f64 v[233:234], vcc_lo, 1.0, v[218:219], 1.0
	v_mul_f64 v[235:236], v[233:234], v[224:225]
	v_fma_f64 v[220:221], -v[220:221], v[235:236], v[233:234]
	v_div_fmas_f64 v[220:221], v[220:221], v[224:225], v[235:236]
	v_div_fixup_f64 v[220:221], v[220:221], v[218:219], 1.0
	v_mul_f64 v[218:219], v[222:223], v[220:221]
	v_xor_b32_e32 v221, 0x80000000, v221
.LBB106_805:
	s_andn2_saveexec_b32 s1, s1
	s_cbranch_execz .LBB106_807
; %bb.806:
	v_div_scale_f64 v[222:223], null, v[218:219], v[218:219], v[220:221]
	v_div_scale_f64 v[235:236], vcc_lo, v[220:221], v[218:219], v[220:221]
	v_rcp_f64_e32 v[224:225], v[222:223]
	v_fma_f64 v[233:234], -v[222:223], v[224:225], 1.0
	v_fma_f64 v[224:225], v[224:225], v[233:234], v[224:225]
	v_fma_f64 v[233:234], -v[222:223], v[224:225], 1.0
	v_fma_f64 v[224:225], v[224:225], v[233:234], v[224:225]
	v_mul_f64 v[233:234], v[235:236], v[224:225]
	v_fma_f64 v[222:223], -v[222:223], v[233:234], v[235:236]
	v_div_fmas_f64 v[222:223], v[222:223], v[224:225], v[233:234]
	v_div_fixup_f64 v[222:223], v[222:223], v[218:219], v[220:221]
	v_fma_f64 v[218:219], v[220:221], v[222:223], v[218:219]
	v_div_scale_f64 v[220:221], null, v[218:219], v[218:219], 1.0
	v_rcp_f64_e32 v[224:225], v[220:221]
	v_fma_f64 v[233:234], -v[220:221], v[224:225], 1.0
	v_fma_f64 v[224:225], v[224:225], v[233:234], v[224:225]
	v_fma_f64 v[233:234], -v[220:221], v[224:225], 1.0
	v_fma_f64 v[224:225], v[224:225], v[233:234], v[224:225]
	v_div_scale_f64 v[233:234], vcc_lo, 1.0, v[218:219], 1.0
	v_mul_f64 v[235:236], v[233:234], v[224:225]
	v_fma_f64 v[220:221], -v[220:221], v[235:236], v[233:234]
	v_div_fmas_f64 v[220:221], v[220:221], v[224:225], v[235:236]
	v_div_fixup_f64 v[218:219], v[220:221], v[218:219], 1.0
	v_mul_f64 v[220:221], v[222:223], -v[218:219]
.LBB106_807:
	s_or_b32 exec_lo, exec_lo, s1
.LBB106_808:
	s_or_b32 exec_lo, exec_lo, s0
	s_mov_b32 s0, exec_lo
	v_cmpx_ne_u32_e64 v232, v226
	s_xor_b32 s0, exec_lo, s0
	s_cbranch_execz .LBB106_814
; %bb.809:
	s_mov_b32 s1, exec_lo
	v_cmpx_eq_u32_e32 38, v232
	s_cbranch_execz .LBB106_813
; %bb.810:
	v_cmp_ne_u32_e32 vcc_lo, 38, v226
	s_xor_b32 s7, s16, -1
	s_and_b32 s9, s7, vcc_lo
	s_and_saveexec_b32 s7, s9
	s_cbranch_execz .LBB106_812
; %bb.811:
	s_clause 0x1
	buffer_load_dword v214, off, s[20:23], 0
	buffer_load_dword v215, off, s[20:23], 0 offset:4
	v_ashrrev_i32_e32 v227, 31, v226
	v_lshlrev_b64 v[222:223], 2, v[226:227]
	s_waitcnt vmcnt(1)
	v_add_co_u32 v222, vcc_lo, v214, v222
	s_waitcnt vmcnt(0)
	v_add_co_ci_u32_e64 v223, null, v215, v223, vcc_lo
	s_clause 0x1
	global_load_dword v0, v[222:223], off
	global_load_dword v224, v[214:215], off offset:152
	s_waitcnt vmcnt(1)
	global_store_dword v[214:215], v0, off offset:152
	s_waitcnt vmcnt(0)
	global_store_dword v[222:223], v224, off
.LBB106_812:
	s_or_b32 exec_lo, exec_lo, s7
	v_mov_b32_e32 v232, v226
	v_mov_b32_e32 v0, v226
.LBB106_813:
	s_or_b32 exec_lo, exec_lo, s1
.LBB106_814:
	s_andn2_saveexec_b32 s0, s0
	s_cbranch_execz .LBB106_816
; %bb.815:
	v_mov_b32_e32 v232, 38
	ds_write2_b64 v1, v[58:59], v[60:61] offset0:78 offset1:79
	ds_write2_b64 v1, v[54:55], v[56:57] offset0:80 offset1:81
	;; [unrolled: 1-line block ×15, first 2 shown]
.LBB106_816:
	s_or_b32 exec_lo, exec_lo, s0
	s_mov_b32 s0, exec_lo
	s_waitcnt lgkmcnt(0)
	s_waitcnt_vscnt null, 0x0
	s_barrier
	buffer_gl0_inv
	v_cmpx_lt_i32_e32 38, v232
	s_cbranch_execz .LBB106_818
; %bb.817:
	v_mul_f64 v[222:223], v[218:219], v[64:65]
	v_mul_f64 v[64:65], v[220:221], v[64:65]
	v_fma_f64 v[226:227], v[220:221], v[62:63], v[222:223]
	v_fma_f64 v[62:63], v[218:219], v[62:63], -v[64:65]
	ds_read2_b64 v[218:221], v1 offset0:78 offset1:79
	s_waitcnt lgkmcnt(0)
	v_mul_f64 v[64:65], v[220:221], v[226:227]
	v_fma_f64 v[64:65], v[218:219], v[62:63], -v[64:65]
	v_mul_f64 v[218:219], v[218:219], v[226:227]
	v_add_f64 v[58:59], v[58:59], -v[64:65]
	v_fma_f64 v[218:219], v[220:221], v[62:63], v[218:219]
	v_add_f64 v[60:61], v[60:61], -v[218:219]
	ds_read2_b64 v[218:221], v1 offset0:80 offset1:81
	s_waitcnt lgkmcnt(0)
	v_mul_f64 v[64:65], v[220:221], v[226:227]
	v_fma_f64 v[64:65], v[218:219], v[62:63], -v[64:65]
	v_mul_f64 v[218:219], v[218:219], v[226:227]
	v_add_f64 v[54:55], v[54:55], -v[64:65]
	v_fma_f64 v[218:219], v[220:221], v[62:63], v[218:219]
	v_add_f64 v[56:57], v[56:57], -v[218:219]
	;; [unrolled: 8-line block ×14, first 2 shown]
	ds_read2_b64 v[218:221], v1 offset0:106 offset1:107
	s_waitcnt lgkmcnt(0)
	v_mul_f64 v[64:65], v[220:221], v[226:227]
	v_fma_f64 v[64:65], v[218:219], v[62:63], -v[64:65]
	v_mul_f64 v[218:219], v[218:219], v[226:227]
	v_add_f64 v[2:3], v[2:3], -v[64:65]
	v_fma_f64 v[218:219], v[220:221], v[62:63], v[218:219]
	v_mov_b32_e32 v64, v226
	v_mov_b32_e32 v65, v227
	v_add_f64 v[4:5], v[4:5], -v[218:219]
.LBB106_818:
	s_or_b32 exec_lo, exec_lo, s0
	v_lshl_add_u32 v218, v232, 4, v1
	s_barrier
	buffer_gl0_inv
	v_mov_b32_e32 v226, 39
	ds_write2_b64 v218, v[58:59], v[60:61] offset1:1
	s_waitcnt lgkmcnt(0)
	s_barrier
	buffer_gl0_inv
	ds_read2_b64 v[218:221], v1 offset0:78 offset1:79
	s_cmp_lt_i32 s8, 41
	s_cbranch_scc1 .LBB106_821
; %bb.819:
	v_add3_u32 v227, v228, 0, 0x280
	v_mov_b32_e32 v226, 39
	s_mov_b32 s1, 40
	s_inst_prefetch 0x1
	.p2align	6
.LBB106_820:                            ; =>This Inner Loop Header: Depth=1
	s_waitcnt lgkmcnt(0)
	v_cmp_gt_f64_e32 vcc_lo, 0, v[220:221]
	v_cmp_gt_f64_e64 s0, 0, v[218:219]
	ds_read2_b64 v[233:236], v227 offset1:1
	v_xor_b32_e32 v223, 0x80000000, v219
	v_xor_b32_e32 v225, 0x80000000, v221
	v_mov_b32_e32 v222, v218
	v_mov_b32_e32 v224, v220
	v_add_nc_u32_e32 v227, 16, v227
	s_waitcnt lgkmcnt(0)
	v_xor_b32_e32 v238, 0x80000000, v236
	v_cndmask_b32_e64 v223, v219, v223, s0
	v_cndmask_b32_e32 v225, v221, v225, vcc_lo
	v_cmp_gt_f64_e32 vcc_lo, 0, v[235:236]
	v_cmp_gt_f64_e64 s0, 0, v[233:234]
	v_mov_b32_e32 v237, v235
	v_add_f64 v[222:223], v[222:223], v[224:225]
	v_xor_b32_e32 v225, 0x80000000, v234
	v_mov_b32_e32 v224, v233
	v_cndmask_b32_e32 v238, v236, v238, vcc_lo
	v_cndmask_b32_e64 v225, v234, v225, s0
	v_add_f64 v[224:225], v[224:225], v[237:238]
	v_cmp_lt_f64_e32 vcc_lo, v[222:223], v[224:225]
	v_cndmask_b32_e32 v219, v219, v234, vcc_lo
	v_cndmask_b32_e32 v218, v218, v233, vcc_lo
	;; [unrolled: 1-line block ×4, first 2 shown]
	v_cndmask_b32_e64 v226, v226, s1, vcc_lo
	s_add_i32 s1, s1, 1
	s_cmp_lg_u32 s8, s1
	s_cbranch_scc1 .LBB106_820
.LBB106_821:
	s_inst_prefetch 0x2
	s_waitcnt lgkmcnt(0)
	v_cmp_eq_f64_e32 vcc_lo, 0, v[218:219]
	v_cmp_eq_f64_e64 s0, 0, v[220:221]
	s_and_b32 s0, vcc_lo, s0
	s_and_saveexec_b32 s1, s0
	s_xor_b32 s0, exec_lo, s1
; %bb.822:
	v_cmp_ne_u32_e32 vcc_lo, 0, v231
	v_cndmask_b32_e32 v231, 40, v231, vcc_lo
; %bb.823:
	s_andn2_saveexec_b32 s0, s0
	s_cbranch_execz .LBB106_829
; %bb.824:
	v_cmp_ngt_f64_e64 s1, |v[218:219]|, |v[220:221]|
	s_and_saveexec_b32 s7, s1
	s_xor_b32 s1, exec_lo, s7
	s_cbranch_execz .LBB106_826
; %bb.825:
	v_div_scale_f64 v[222:223], null, v[220:221], v[220:221], v[218:219]
	v_div_scale_f64 v[235:236], vcc_lo, v[218:219], v[220:221], v[218:219]
	v_rcp_f64_e32 v[224:225], v[222:223]
	v_fma_f64 v[233:234], -v[222:223], v[224:225], 1.0
	v_fma_f64 v[224:225], v[224:225], v[233:234], v[224:225]
	v_fma_f64 v[233:234], -v[222:223], v[224:225], 1.0
	v_fma_f64 v[224:225], v[224:225], v[233:234], v[224:225]
	v_mul_f64 v[233:234], v[235:236], v[224:225]
	v_fma_f64 v[222:223], -v[222:223], v[233:234], v[235:236]
	v_div_fmas_f64 v[222:223], v[222:223], v[224:225], v[233:234]
	v_div_fixup_f64 v[222:223], v[222:223], v[220:221], v[218:219]
	v_fma_f64 v[218:219], v[218:219], v[222:223], v[220:221]
	v_div_scale_f64 v[220:221], null, v[218:219], v[218:219], 1.0
	v_rcp_f64_e32 v[224:225], v[220:221]
	v_fma_f64 v[233:234], -v[220:221], v[224:225], 1.0
	v_fma_f64 v[224:225], v[224:225], v[233:234], v[224:225]
	v_fma_f64 v[233:234], -v[220:221], v[224:225], 1.0
	v_fma_f64 v[224:225], v[224:225], v[233:234], v[224:225]
	v_div_scale_f64 v[233:234], vcc_lo, 1.0, v[218:219], 1.0
	v_mul_f64 v[235:236], v[233:234], v[224:225]
	v_fma_f64 v[220:221], -v[220:221], v[235:236], v[233:234]
	v_div_fmas_f64 v[220:221], v[220:221], v[224:225], v[235:236]
	v_div_fixup_f64 v[220:221], v[220:221], v[218:219], 1.0
	v_mul_f64 v[218:219], v[222:223], v[220:221]
	v_xor_b32_e32 v221, 0x80000000, v221
.LBB106_826:
	s_andn2_saveexec_b32 s1, s1
	s_cbranch_execz .LBB106_828
; %bb.827:
	v_div_scale_f64 v[222:223], null, v[218:219], v[218:219], v[220:221]
	v_div_scale_f64 v[235:236], vcc_lo, v[220:221], v[218:219], v[220:221]
	v_rcp_f64_e32 v[224:225], v[222:223]
	v_fma_f64 v[233:234], -v[222:223], v[224:225], 1.0
	v_fma_f64 v[224:225], v[224:225], v[233:234], v[224:225]
	v_fma_f64 v[233:234], -v[222:223], v[224:225], 1.0
	v_fma_f64 v[224:225], v[224:225], v[233:234], v[224:225]
	v_mul_f64 v[233:234], v[235:236], v[224:225]
	v_fma_f64 v[222:223], -v[222:223], v[233:234], v[235:236]
	v_div_fmas_f64 v[222:223], v[222:223], v[224:225], v[233:234]
	v_div_fixup_f64 v[222:223], v[222:223], v[218:219], v[220:221]
	v_fma_f64 v[218:219], v[220:221], v[222:223], v[218:219]
	v_div_scale_f64 v[220:221], null, v[218:219], v[218:219], 1.0
	v_rcp_f64_e32 v[224:225], v[220:221]
	v_fma_f64 v[233:234], -v[220:221], v[224:225], 1.0
	v_fma_f64 v[224:225], v[224:225], v[233:234], v[224:225]
	v_fma_f64 v[233:234], -v[220:221], v[224:225], 1.0
	v_fma_f64 v[224:225], v[224:225], v[233:234], v[224:225]
	v_div_scale_f64 v[233:234], vcc_lo, 1.0, v[218:219], 1.0
	v_mul_f64 v[235:236], v[233:234], v[224:225]
	v_fma_f64 v[220:221], -v[220:221], v[235:236], v[233:234]
	v_div_fmas_f64 v[220:221], v[220:221], v[224:225], v[235:236]
	v_div_fixup_f64 v[218:219], v[220:221], v[218:219], 1.0
	v_mul_f64 v[220:221], v[222:223], -v[218:219]
.LBB106_828:
	s_or_b32 exec_lo, exec_lo, s1
.LBB106_829:
	s_or_b32 exec_lo, exec_lo, s0
	s_mov_b32 s0, exec_lo
	v_cmpx_ne_u32_e64 v232, v226
	s_xor_b32 s0, exec_lo, s0
	s_cbranch_execz .LBB106_835
; %bb.830:
	s_mov_b32 s1, exec_lo
	v_cmpx_eq_u32_e32 39, v232
	s_cbranch_execz .LBB106_834
; %bb.831:
	v_cmp_ne_u32_e32 vcc_lo, 39, v226
	s_xor_b32 s7, s16, -1
	s_and_b32 s9, s7, vcc_lo
	s_and_saveexec_b32 s7, s9
	s_cbranch_execz .LBB106_833
; %bb.832:
	s_clause 0x1
	buffer_load_dword v214, off, s[20:23], 0
	buffer_load_dword v215, off, s[20:23], 0 offset:4
	v_ashrrev_i32_e32 v227, 31, v226
	v_lshlrev_b64 v[222:223], 2, v[226:227]
	s_waitcnt vmcnt(1)
	v_add_co_u32 v222, vcc_lo, v214, v222
	s_waitcnt vmcnt(0)
	v_add_co_ci_u32_e64 v223, null, v215, v223, vcc_lo
	s_clause 0x1
	global_load_dword v0, v[222:223], off
	global_load_dword v224, v[214:215], off offset:156
	s_waitcnt vmcnt(1)
	global_store_dword v[214:215], v0, off offset:156
	s_waitcnt vmcnt(0)
	global_store_dword v[222:223], v224, off
.LBB106_833:
	s_or_b32 exec_lo, exec_lo, s7
	v_mov_b32_e32 v232, v226
	v_mov_b32_e32 v0, v226
.LBB106_834:
	s_or_b32 exec_lo, exec_lo, s1
.LBB106_835:
	s_andn2_saveexec_b32 s0, s0
	s_cbranch_execz .LBB106_837
; %bb.836:
	v_mov_b32_e32 v232, 39
	ds_write2_b64 v1, v[54:55], v[56:57] offset0:80 offset1:81
	ds_write2_b64 v1, v[50:51], v[52:53] offset0:82 offset1:83
	;; [unrolled: 1-line block ×14, first 2 shown]
.LBB106_837:
	s_or_b32 exec_lo, exec_lo, s0
	s_mov_b32 s0, exec_lo
	s_waitcnt lgkmcnt(0)
	s_waitcnt_vscnt null, 0x0
	s_barrier
	buffer_gl0_inv
	v_cmpx_lt_i32_e32 39, v232
	s_cbranch_execz .LBB106_839
; %bb.838:
	v_mul_f64 v[222:223], v[218:219], v[60:61]
	v_mul_f64 v[60:61], v[220:221], v[60:61]
	v_fma_f64 v[222:223], v[220:221], v[58:59], v[222:223]
	v_fma_f64 v[58:59], v[218:219], v[58:59], -v[60:61]
	ds_read2_b64 v[218:221], v1 offset0:80 offset1:81
	s_waitcnt lgkmcnt(0)
	v_mul_f64 v[60:61], v[220:221], v[222:223]
	v_fma_f64 v[60:61], v[218:219], v[58:59], -v[60:61]
	v_mul_f64 v[218:219], v[218:219], v[222:223]
	v_add_f64 v[54:55], v[54:55], -v[60:61]
	v_fma_f64 v[218:219], v[220:221], v[58:59], v[218:219]
	v_add_f64 v[56:57], v[56:57], -v[218:219]
	ds_read2_b64 v[218:221], v1 offset0:82 offset1:83
	s_waitcnt lgkmcnt(0)
	v_mul_f64 v[60:61], v[220:221], v[222:223]
	v_fma_f64 v[60:61], v[218:219], v[58:59], -v[60:61]
	v_mul_f64 v[218:219], v[218:219], v[222:223]
	v_add_f64 v[50:51], v[50:51], -v[60:61]
	v_fma_f64 v[218:219], v[220:221], v[58:59], v[218:219]
	v_add_f64 v[52:53], v[52:53], -v[218:219]
	ds_read2_b64 v[218:221], v1 offset0:84 offset1:85
	s_waitcnt lgkmcnt(0)
	v_mul_f64 v[60:61], v[220:221], v[222:223]
	v_fma_f64 v[60:61], v[218:219], v[58:59], -v[60:61]
	v_mul_f64 v[218:219], v[218:219], v[222:223]
	v_add_f64 v[46:47], v[46:47], -v[60:61]
	v_fma_f64 v[218:219], v[220:221], v[58:59], v[218:219]
	v_add_f64 v[48:49], v[48:49], -v[218:219]
	ds_read2_b64 v[218:221], v1 offset0:86 offset1:87
	s_waitcnt lgkmcnt(0)
	v_mul_f64 v[60:61], v[220:221], v[222:223]
	v_fma_f64 v[60:61], v[218:219], v[58:59], -v[60:61]
	v_mul_f64 v[218:219], v[218:219], v[222:223]
	v_add_f64 v[42:43], v[42:43], -v[60:61]
	v_fma_f64 v[218:219], v[220:221], v[58:59], v[218:219]
	v_add_f64 v[44:45], v[44:45], -v[218:219]
	ds_read2_b64 v[218:221], v1 offset0:88 offset1:89
	s_waitcnt lgkmcnt(0)
	v_mul_f64 v[60:61], v[220:221], v[222:223]
	v_fma_f64 v[60:61], v[218:219], v[58:59], -v[60:61]
	v_mul_f64 v[218:219], v[218:219], v[222:223]
	v_add_f64 v[38:39], v[38:39], -v[60:61]
	v_fma_f64 v[218:219], v[220:221], v[58:59], v[218:219]
	v_add_f64 v[40:41], v[40:41], -v[218:219]
	ds_read2_b64 v[218:221], v1 offset0:90 offset1:91
	s_waitcnt lgkmcnt(0)
	v_mul_f64 v[60:61], v[220:221], v[222:223]
	v_fma_f64 v[60:61], v[218:219], v[58:59], -v[60:61]
	v_mul_f64 v[218:219], v[218:219], v[222:223]
	v_add_f64 v[34:35], v[34:35], -v[60:61]
	v_fma_f64 v[218:219], v[220:221], v[58:59], v[218:219]
	v_add_f64 v[36:37], v[36:37], -v[218:219]
	ds_read2_b64 v[218:221], v1 offset0:92 offset1:93
	s_waitcnt lgkmcnt(0)
	v_mul_f64 v[60:61], v[220:221], v[222:223]
	v_fma_f64 v[60:61], v[218:219], v[58:59], -v[60:61]
	v_mul_f64 v[218:219], v[218:219], v[222:223]
	v_add_f64 v[30:31], v[30:31], -v[60:61]
	v_fma_f64 v[218:219], v[220:221], v[58:59], v[218:219]
	v_add_f64 v[32:33], v[32:33], -v[218:219]
	ds_read2_b64 v[218:221], v1 offset0:94 offset1:95
	s_waitcnt lgkmcnt(0)
	v_mul_f64 v[60:61], v[220:221], v[222:223]
	v_fma_f64 v[60:61], v[218:219], v[58:59], -v[60:61]
	v_mul_f64 v[218:219], v[218:219], v[222:223]
	v_add_f64 v[26:27], v[26:27], -v[60:61]
	v_fma_f64 v[218:219], v[220:221], v[58:59], v[218:219]
	v_add_f64 v[28:29], v[28:29], -v[218:219]
	ds_read2_b64 v[218:221], v1 offset0:96 offset1:97
	s_waitcnt lgkmcnt(0)
	v_mul_f64 v[60:61], v[220:221], v[222:223]
	v_fma_f64 v[60:61], v[218:219], v[58:59], -v[60:61]
	v_mul_f64 v[218:219], v[218:219], v[222:223]
	v_add_f64 v[22:23], v[22:23], -v[60:61]
	v_fma_f64 v[218:219], v[220:221], v[58:59], v[218:219]
	v_add_f64 v[24:25], v[24:25], -v[218:219]
	ds_read2_b64 v[218:221], v1 offset0:98 offset1:99
	s_waitcnt lgkmcnt(0)
	v_mul_f64 v[60:61], v[220:221], v[222:223]
	v_fma_f64 v[60:61], v[218:219], v[58:59], -v[60:61]
	v_mul_f64 v[218:219], v[218:219], v[222:223]
	v_add_f64 v[18:19], v[18:19], -v[60:61]
	v_fma_f64 v[218:219], v[220:221], v[58:59], v[218:219]
	v_add_f64 v[20:21], v[20:21], -v[218:219]
	ds_read2_b64 v[218:221], v1 offset0:100 offset1:101
	s_waitcnt lgkmcnt(0)
	v_mul_f64 v[60:61], v[220:221], v[222:223]
	v_fma_f64 v[60:61], v[218:219], v[58:59], -v[60:61]
	v_mul_f64 v[218:219], v[218:219], v[222:223]
	v_add_f64 v[14:15], v[14:15], -v[60:61]
	v_fma_f64 v[218:219], v[220:221], v[58:59], v[218:219]
	v_add_f64 v[16:17], v[16:17], -v[218:219]
	ds_read2_b64 v[218:221], v1 offset0:102 offset1:103
	s_waitcnt lgkmcnt(0)
	v_mul_f64 v[60:61], v[220:221], v[222:223]
	v_fma_f64 v[60:61], v[218:219], v[58:59], -v[60:61]
	v_mul_f64 v[218:219], v[218:219], v[222:223]
	v_add_f64 v[10:11], v[10:11], -v[60:61]
	v_fma_f64 v[218:219], v[220:221], v[58:59], v[218:219]
	v_add_f64 v[12:13], v[12:13], -v[218:219]
	ds_read2_b64 v[218:221], v1 offset0:104 offset1:105
	s_waitcnt lgkmcnt(0)
	v_mul_f64 v[60:61], v[220:221], v[222:223]
	v_fma_f64 v[60:61], v[218:219], v[58:59], -v[60:61]
	v_mul_f64 v[218:219], v[218:219], v[222:223]
	v_add_f64 v[6:7], v[6:7], -v[60:61]
	v_fma_f64 v[218:219], v[220:221], v[58:59], v[218:219]
	v_add_f64 v[8:9], v[8:9], -v[218:219]
	ds_read2_b64 v[218:221], v1 offset0:106 offset1:107
	s_waitcnt lgkmcnt(0)
	v_mul_f64 v[60:61], v[220:221], v[222:223]
	v_fma_f64 v[60:61], v[218:219], v[58:59], -v[60:61]
	v_mul_f64 v[218:219], v[218:219], v[222:223]
	v_add_f64 v[2:3], v[2:3], -v[60:61]
	v_fma_f64 v[218:219], v[220:221], v[58:59], v[218:219]
	v_mov_b32_e32 v60, v222
	v_mov_b32_e32 v61, v223
	v_add_f64 v[4:5], v[4:5], -v[218:219]
.LBB106_839:
	s_or_b32 exec_lo, exec_lo, s0
	v_lshl_add_u32 v218, v232, 4, v1
	s_barrier
	buffer_gl0_inv
	v_mov_b32_e32 v226, 40
	ds_write2_b64 v218, v[54:55], v[56:57] offset1:1
	s_waitcnt lgkmcnt(0)
	s_barrier
	buffer_gl0_inv
	ds_read2_b64 v[218:221], v1 offset0:80 offset1:81
	s_cmp_lt_i32 s8, 42
	s_cbranch_scc1 .LBB106_842
; %bb.840:
	v_add3_u32 v227, v228, 0, 0x290
	v_mov_b32_e32 v226, 40
	s_mov_b32 s1, 41
	s_inst_prefetch 0x1
	.p2align	6
.LBB106_841:                            ; =>This Inner Loop Header: Depth=1
	s_waitcnt lgkmcnt(0)
	v_cmp_gt_f64_e32 vcc_lo, 0, v[220:221]
	v_cmp_gt_f64_e64 s0, 0, v[218:219]
	ds_read2_b64 v[233:236], v227 offset1:1
	v_xor_b32_e32 v223, 0x80000000, v219
	v_xor_b32_e32 v225, 0x80000000, v221
	v_mov_b32_e32 v222, v218
	v_mov_b32_e32 v224, v220
	v_add_nc_u32_e32 v227, 16, v227
	s_waitcnt lgkmcnt(0)
	v_xor_b32_e32 v238, 0x80000000, v236
	v_cndmask_b32_e64 v223, v219, v223, s0
	v_cndmask_b32_e32 v225, v221, v225, vcc_lo
	v_cmp_gt_f64_e32 vcc_lo, 0, v[235:236]
	v_cmp_gt_f64_e64 s0, 0, v[233:234]
	v_mov_b32_e32 v237, v235
	v_add_f64 v[222:223], v[222:223], v[224:225]
	v_xor_b32_e32 v225, 0x80000000, v234
	v_mov_b32_e32 v224, v233
	v_cndmask_b32_e32 v238, v236, v238, vcc_lo
	v_cndmask_b32_e64 v225, v234, v225, s0
	v_add_f64 v[224:225], v[224:225], v[237:238]
	v_cmp_lt_f64_e32 vcc_lo, v[222:223], v[224:225]
	v_cndmask_b32_e32 v219, v219, v234, vcc_lo
	v_cndmask_b32_e32 v218, v218, v233, vcc_lo
	;; [unrolled: 1-line block ×4, first 2 shown]
	v_cndmask_b32_e64 v226, v226, s1, vcc_lo
	s_add_i32 s1, s1, 1
	s_cmp_lg_u32 s8, s1
	s_cbranch_scc1 .LBB106_841
.LBB106_842:
	s_inst_prefetch 0x2
	s_waitcnt lgkmcnt(0)
	v_cmp_eq_f64_e32 vcc_lo, 0, v[218:219]
	v_cmp_eq_f64_e64 s0, 0, v[220:221]
	s_and_b32 s0, vcc_lo, s0
	s_and_saveexec_b32 s1, s0
	s_xor_b32 s0, exec_lo, s1
; %bb.843:
	v_cmp_ne_u32_e32 vcc_lo, 0, v231
	v_cndmask_b32_e32 v231, 41, v231, vcc_lo
; %bb.844:
	s_andn2_saveexec_b32 s0, s0
	s_cbranch_execz .LBB106_850
; %bb.845:
	v_cmp_ngt_f64_e64 s1, |v[218:219]|, |v[220:221]|
	s_and_saveexec_b32 s7, s1
	s_xor_b32 s1, exec_lo, s7
	s_cbranch_execz .LBB106_847
; %bb.846:
	v_div_scale_f64 v[222:223], null, v[220:221], v[220:221], v[218:219]
	v_div_scale_f64 v[235:236], vcc_lo, v[218:219], v[220:221], v[218:219]
	v_rcp_f64_e32 v[224:225], v[222:223]
	v_fma_f64 v[233:234], -v[222:223], v[224:225], 1.0
	v_fma_f64 v[224:225], v[224:225], v[233:234], v[224:225]
	v_fma_f64 v[233:234], -v[222:223], v[224:225], 1.0
	v_fma_f64 v[224:225], v[224:225], v[233:234], v[224:225]
	v_mul_f64 v[233:234], v[235:236], v[224:225]
	v_fma_f64 v[222:223], -v[222:223], v[233:234], v[235:236]
	v_div_fmas_f64 v[222:223], v[222:223], v[224:225], v[233:234]
	v_div_fixup_f64 v[222:223], v[222:223], v[220:221], v[218:219]
	v_fma_f64 v[218:219], v[218:219], v[222:223], v[220:221]
	v_div_scale_f64 v[220:221], null, v[218:219], v[218:219], 1.0
	v_rcp_f64_e32 v[224:225], v[220:221]
	v_fma_f64 v[233:234], -v[220:221], v[224:225], 1.0
	v_fma_f64 v[224:225], v[224:225], v[233:234], v[224:225]
	v_fma_f64 v[233:234], -v[220:221], v[224:225], 1.0
	v_fma_f64 v[224:225], v[224:225], v[233:234], v[224:225]
	v_div_scale_f64 v[233:234], vcc_lo, 1.0, v[218:219], 1.0
	v_mul_f64 v[235:236], v[233:234], v[224:225]
	v_fma_f64 v[220:221], -v[220:221], v[235:236], v[233:234]
	v_div_fmas_f64 v[220:221], v[220:221], v[224:225], v[235:236]
	v_div_fixup_f64 v[220:221], v[220:221], v[218:219], 1.0
	v_mul_f64 v[218:219], v[222:223], v[220:221]
	v_xor_b32_e32 v221, 0x80000000, v221
.LBB106_847:
	s_andn2_saveexec_b32 s1, s1
	s_cbranch_execz .LBB106_849
; %bb.848:
	v_div_scale_f64 v[222:223], null, v[218:219], v[218:219], v[220:221]
	v_div_scale_f64 v[235:236], vcc_lo, v[220:221], v[218:219], v[220:221]
	v_rcp_f64_e32 v[224:225], v[222:223]
	v_fma_f64 v[233:234], -v[222:223], v[224:225], 1.0
	v_fma_f64 v[224:225], v[224:225], v[233:234], v[224:225]
	v_fma_f64 v[233:234], -v[222:223], v[224:225], 1.0
	v_fma_f64 v[224:225], v[224:225], v[233:234], v[224:225]
	v_mul_f64 v[233:234], v[235:236], v[224:225]
	v_fma_f64 v[222:223], -v[222:223], v[233:234], v[235:236]
	v_div_fmas_f64 v[222:223], v[222:223], v[224:225], v[233:234]
	v_div_fixup_f64 v[222:223], v[222:223], v[218:219], v[220:221]
	v_fma_f64 v[218:219], v[220:221], v[222:223], v[218:219]
	v_div_scale_f64 v[220:221], null, v[218:219], v[218:219], 1.0
	v_rcp_f64_e32 v[224:225], v[220:221]
	v_fma_f64 v[233:234], -v[220:221], v[224:225], 1.0
	v_fma_f64 v[224:225], v[224:225], v[233:234], v[224:225]
	v_fma_f64 v[233:234], -v[220:221], v[224:225], 1.0
	v_fma_f64 v[224:225], v[224:225], v[233:234], v[224:225]
	v_div_scale_f64 v[233:234], vcc_lo, 1.0, v[218:219], 1.0
	v_mul_f64 v[235:236], v[233:234], v[224:225]
	v_fma_f64 v[220:221], -v[220:221], v[235:236], v[233:234]
	v_div_fmas_f64 v[220:221], v[220:221], v[224:225], v[235:236]
	v_div_fixup_f64 v[218:219], v[220:221], v[218:219], 1.0
	v_mul_f64 v[220:221], v[222:223], -v[218:219]
.LBB106_849:
	s_or_b32 exec_lo, exec_lo, s1
.LBB106_850:
	s_or_b32 exec_lo, exec_lo, s0
	s_mov_b32 s0, exec_lo
	v_cmpx_ne_u32_e64 v232, v226
	s_xor_b32 s0, exec_lo, s0
	s_cbranch_execz .LBB106_856
; %bb.851:
	s_mov_b32 s1, exec_lo
	v_cmpx_eq_u32_e32 40, v232
	s_cbranch_execz .LBB106_855
; %bb.852:
	v_cmp_ne_u32_e32 vcc_lo, 40, v226
	s_xor_b32 s7, s16, -1
	s_and_b32 s9, s7, vcc_lo
	s_and_saveexec_b32 s7, s9
	s_cbranch_execz .LBB106_854
; %bb.853:
	s_clause 0x1
	buffer_load_dword v214, off, s[20:23], 0
	buffer_load_dword v215, off, s[20:23], 0 offset:4
	v_ashrrev_i32_e32 v227, 31, v226
	v_lshlrev_b64 v[222:223], 2, v[226:227]
	s_waitcnt vmcnt(1)
	v_add_co_u32 v222, vcc_lo, v214, v222
	s_waitcnt vmcnt(0)
	v_add_co_ci_u32_e64 v223, null, v215, v223, vcc_lo
	s_clause 0x1
	global_load_dword v0, v[222:223], off
	global_load_dword v224, v[214:215], off offset:160
	s_waitcnt vmcnt(1)
	global_store_dword v[214:215], v0, off offset:160
	s_waitcnt vmcnt(0)
	global_store_dword v[222:223], v224, off
.LBB106_854:
	s_or_b32 exec_lo, exec_lo, s7
	v_mov_b32_e32 v232, v226
	v_mov_b32_e32 v0, v226
.LBB106_855:
	s_or_b32 exec_lo, exec_lo, s1
.LBB106_856:
	s_andn2_saveexec_b32 s0, s0
	s_cbranch_execz .LBB106_858
; %bb.857:
	v_mov_b32_e32 v232, 40
	ds_write2_b64 v1, v[50:51], v[52:53] offset0:82 offset1:83
	ds_write2_b64 v1, v[46:47], v[48:49] offset0:84 offset1:85
	;; [unrolled: 1-line block ×13, first 2 shown]
.LBB106_858:
	s_or_b32 exec_lo, exec_lo, s0
	s_mov_b32 s0, exec_lo
	s_waitcnt lgkmcnt(0)
	s_waitcnt_vscnt null, 0x0
	s_barrier
	buffer_gl0_inv
	v_cmpx_lt_i32_e32 40, v232
	s_cbranch_execz .LBB106_860
; %bb.859:
	v_mul_f64 v[222:223], v[218:219], v[56:57]
	v_mul_f64 v[56:57], v[220:221], v[56:57]
	v_fma_f64 v[222:223], v[220:221], v[54:55], v[222:223]
	v_fma_f64 v[54:55], v[218:219], v[54:55], -v[56:57]
	ds_read2_b64 v[218:221], v1 offset0:82 offset1:83
	s_waitcnt lgkmcnt(0)
	v_mul_f64 v[56:57], v[220:221], v[222:223]
	v_fma_f64 v[56:57], v[218:219], v[54:55], -v[56:57]
	v_mul_f64 v[218:219], v[218:219], v[222:223]
	v_add_f64 v[50:51], v[50:51], -v[56:57]
	v_fma_f64 v[218:219], v[220:221], v[54:55], v[218:219]
	v_add_f64 v[52:53], v[52:53], -v[218:219]
	ds_read2_b64 v[218:221], v1 offset0:84 offset1:85
	s_waitcnt lgkmcnt(0)
	v_mul_f64 v[56:57], v[220:221], v[222:223]
	v_fma_f64 v[56:57], v[218:219], v[54:55], -v[56:57]
	v_mul_f64 v[218:219], v[218:219], v[222:223]
	v_add_f64 v[46:47], v[46:47], -v[56:57]
	v_fma_f64 v[218:219], v[220:221], v[54:55], v[218:219]
	v_add_f64 v[48:49], v[48:49], -v[218:219]
	ds_read2_b64 v[218:221], v1 offset0:86 offset1:87
	s_waitcnt lgkmcnt(0)
	v_mul_f64 v[56:57], v[220:221], v[222:223]
	v_fma_f64 v[56:57], v[218:219], v[54:55], -v[56:57]
	v_mul_f64 v[218:219], v[218:219], v[222:223]
	v_add_f64 v[42:43], v[42:43], -v[56:57]
	v_fma_f64 v[218:219], v[220:221], v[54:55], v[218:219]
	v_add_f64 v[44:45], v[44:45], -v[218:219]
	ds_read2_b64 v[218:221], v1 offset0:88 offset1:89
	s_waitcnt lgkmcnt(0)
	v_mul_f64 v[56:57], v[220:221], v[222:223]
	v_fma_f64 v[56:57], v[218:219], v[54:55], -v[56:57]
	v_mul_f64 v[218:219], v[218:219], v[222:223]
	v_add_f64 v[38:39], v[38:39], -v[56:57]
	v_fma_f64 v[218:219], v[220:221], v[54:55], v[218:219]
	v_add_f64 v[40:41], v[40:41], -v[218:219]
	ds_read2_b64 v[218:221], v1 offset0:90 offset1:91
	s_waitcnt lgkmcnt(0)
	v_mul_f64 v[56:57], v[220:221], v[222:223]
	v_fma_f64 v[56:57], v[218:219], v[54:55], -v[56:57]
	v_mul_f64 v[218:219], v[218:219], v[222:223]
	v_add_f64 v[34:35], v[34:35], -v[56:57]
	v_fma_f64 v[218:219], v[220:221], v[54:55], v[218:219]
	v_add_f64 v[36:37], v[36:37], -v[218:219]
	ds_read2_b64 v[218:221], v1 offset0:92 offset1:93
	s_waitcnt lgkmcnt(0)
	v_mul_f64 v[56:57], v[220:221], v[222:223]
	v_fma_f64 v[56:57], v[218:219], v[54:55], -v[56:57]
	v_mul_f64 v[218:219], v[218:219], v[222:223]
	v_add_f64 v[30:31], v[30:31], -v[56:57]
	v_fma_f64 v[218:219], v[220:221], v[54:55], v[218:219]
	v_add_f64 v[32:33], v[32:33], -v[218:219]
	ds_read2_b64 v[218:221], v1 offset0:94 offset1:95
	s_waitcnt lgkmcnt(0)
	v_mul_f64 v[56:57], v[220:221], v[222:223]
	v_fma_f64 v[56:57], v[218:219], v[54:55], -v[56:57]
	v_mul_f64 v[218:219], v[218:219], v[222:223]
	v_add_f64 v[26:27], v[26:27], -v[56:57]
	v_fma_f64 v[218:219], v[220:221], v[54:55], v[218:219]
	v_add_f64 v[28:29], v[28:29], -v[218:219]
	ds_read2_b64 v[218:221], v1 offset0:96 offset1:97
	s_waitcnt lgkmcnt(0)
	v_mul_f64 v[56:57], v[220:221], v[222:223]
	v_fma_f64 v[56:57], v[218:219], v[54:55], -v[56:57]
	v_mul_f64 v[218:219], v[218:219], v[222:223]
	v_add_f64 v[22:23], v[22:23], -v[56:57]
	v_fma_f64 v[218:219], v[220:221], v[54:55], v[218:219]
	v_add_f64 v[24:25], v[24:25], -v[218:219]
	ds_read2_b64 v[218:221], v1 offset0:98 offset1:99
	s_waitcnt lgkmcnt(0)
	v_mul_f64 v[56:57], v[220:221], v[222:223]
	v_fma_f64 v[56:57], v[218:219], v[54:55], -v[56:57]
	v_mul_f64 v[218:219], v[218:219], v[222:223]
	v_add_f64 v[18:19], v[18:19], -v[56:57]
	v_fma_f64 v[218:219], v[220:221], v[54:55], v[218:219]
	v_add_f64 v[20:21], v[20:21], -v[218:219]
	ds_read2_b64 v[218:221], v1 offset0:100 offset1:101
	s_waitcnt lgkmcnt(0)
	v_mul_f64 v[56:57], v[220:221], v[222:223]
	v_fma_f64 v[56:57], v[218:219], v[54:55], -v[56:57]
	v_mul_f64 v[218:219], v[218:219], v[222:223]
	v_add_f64 v[14:15], v[14:15], -v[56:57]
	v_fma_f64 v[218:219], v[220:221], v[54:55], v[218:219]
	v_add_f64 v[16:17], v[16:17], -v[218:219]
	ds_read2_b64 v[218:221], v1 offset0:102 offset1:103
	s_waitcnt lgkmcnt(0)
	v_mul_f64 v[56:57], v[220:221], v[222:223]
	v_fma_f64 v[56:57], v[218:219], v[54:55], -v[56:57]
	v_mul_f64 v[218:219], v[218:219], v[222:223]
	v_add_f64 v[10:11], v[10:11], -v[56:57]
	v_fma_f64 v[218:219], v[220:221], v[54:55], v[218:219]
	v_add_f64 v[12:13], v[12:13], -v[218:219]
	ds_read2_b64 v[218:221], v1 offset0:104 offset1:105
	s_waitcnt lgkmcnt(0)
	v_mul_f64 v[56:57], v[220:221], v[222:223]
	v_fma_f64 v[56:57], v[218:219], v[54:55], -v[56:57]
	v_mul_f64 v[218:219], v[218:219], v[222:223]
	v_add_f64 v[6:7], v[6:7], -v[56:57]
	v_fma_f64 v[218:219], v[220:221], v[54:55], v[218:219]
	v_add_f64 v[8:9], v[8:9], -v[218:219]
	ds_read2_b64 v[218:221], v1 offset0:106 offset1:107
	s_waitcnt lgkmcnt(0)
	v_mul_f64 v[56:57], v[220:221], v[222:223]
	v_fma_f64 v[56:57], v[218:219], v[54:55], -v[56:57]
	v_mul_f64 v[218:219], v[218:219], v[222:223]
	v_add_f64 v[2:3], v[2:3], -v[56:57]
	v_fma_f64 v[218:219], v[220:221], v[54:55], v[218:219]
	v_mov_b32_e32 v56, v222
	v_mov_b32_e32 v57, v223
	v_add_f64 v[4:5], v[4:5], -v[218:219]
.LBB106_860:
	s_or_b32 exec_lo, exec_lo, s0
	v_lshl_add_u32 v218, v232, 4, v1
	s_barrier
	buffer_gl0_inv
	v_mov_b32_e32 v226, 41
	ds_write2_b64 v218, v[50:51], v[52:53] offset1:1
	s_waitcnt lgkmcnt(0)
	s_barrier
	buffer_gl0_inv
	ds_read2_b64 v[218:221], v1 offset0:82 offset1:83
	s_cmp_lt_i32 s8, 43
	s_cbranch_scc1 .LBB106_863
; %bb.861:
	v_add3_u32 v227, v228, 0, 0x2a0
	v_mov_b32_e32 v226, 41
	s_mov_b32 s1, 42
	s_inst_prefetch 0x1
	.p2align	6
.LBB106_862:                            ; =>This Inner Loop Header: Depth=1
	s_waitcnt lgkmcnt(0)
	v_cmp_gt_f64_e32 vcc_lo, 0, v[220:221]
	v_cmp_gt_f64_e64 s0, 0, v[218:219]
	ds_read2_b64 v[233:236], v227 offset1:1
	v_xor_b32_e32 v223, 0x80000000, v219
	v_xor_b32_e32 v225, 0x80000000, v221
	v_mov_b32_e32 v222, v218
	v_mov_b32_e32 v224, v220
	v_add_nc_u32_e32 v227, 16, v227
	s_waitcnt lgkmcnt(0)
	v_xor_b32_e32 v238, 0x80000000, v236
	v_cndmask_b32_e64 v223, v219, v223, s0
	v_cndmask_b32_e32 v225, v221, v225, vcc_lo
	v_cmp_gt_f64_e32 vcc_lo, 0, v[235:236]
	v_cmp_gt_f64_e64 s0, 0, v[233:234]
	v_mov_b32_e32 v237, v235
	v_add_f64 v[222:223], v[222:223], v[224:225]
	v_xor_b32_e32 v225, 0x80000000, v234
	v_mov_b32_e32 v224, v233
	v_cndmask_b32_e32 v238, v236, v238, vcc_lo
	v_cndmask_b32_e64 v225, v234, v225, s0
	v_add_f64 v[224:225], v[224:225], v[237:238]
	v_cmp_lt_f64_e32 vcc_lo, v[222:223], v[224:225]
	v_cndmask_b32_e32 v219, v219, v234, vcc_lo
	v_cndmask_b32_e32 v218, v218, v233, vcc_lo
	;; [unrolled: 1-line block ×4, first 2 shown]
	v_cndmask_b32_e64 v226, v226, s1, vcc_lo
	s_add_i32 s1, s1, 1
	s_cmp_lg_u32 s8, s1
	s_cbranch_scc1 .LBB106_862
.LBB106_863:
	s_inst_prefetch 0x2
	s_waitcnt lgkmcnt(0)
	v_cmp_eq_f64_e32 vcc_lo, 0, v[218:219]
	v_cmp_eq_f64_e64 s0, 0, v[220:221]
	s_and_b32 s0, vcc_lo, s0
	s_and_saveexec_b32 s1, s0
	s_xor_b32 s0, exec_lo, s1
; %bb.864:
	v_cmp_ne_u32_e32 vcc_lo, 0, v231
	v_cndmask_b32_e32 v231, 42, v231, vcc_lo
; %bb.865:
	s_andn2_saveexec_b32 s0, s0
	s_cbranch_execz .LBB106_871
; %bb.866:
	v_cmp_ngt_f64_e64 s1, |v[218:219]|, |v[220:221]|
	s_and_saveexec_b32 s7, s1
	s_xor_b32 s1, exec_lo, s7
	s_cbranch_execz .LBB106_868
; %bb.867:
	v_div_scale_f64 v[222:223], null, v[220:221], v[220:221], v[218:219]
	v_div_scale_f64 v[235:236], vcc_lo, v[218:219], v[220:221], v[218:219]
	v_rcp_f64_e32 v[224:225], v[222:223]
	v_fma_f64 v[233:234], -v[222:223], v[224:225], 1.0
	v_fma_f64 v[224:225], v[224:225], v[233:234], v[224:225]
	v_fma_f64 v[233:234], -v[222:223], v[224:225], 1.0
	v_fma_f64 v[224:225], v[224:225], v[233:234], v[224:225]
	v_mul_f64 v[233:234], v[235:236], v[224:225]
	v_fma_f64 v[222:223], -v[222:223], v[233:234], v[235:236]
	v_div_fmas_f64 v[222:223], v[222:223], v[224:225], v[233:234]
	v_div_fixup_f64 v[222:223], v[222:223], v[220:221], v[218:219]
	v_fma_f64 v[218:219], v[218:219], v[222:223], v[220:221]
	v_div_scale_f64 v[220:221], null, v[218:219], v[218:219], 1.0
	v_rcp_f64_e32 v[224:225], v[220:221]
	v_fma_f64 v[233:234], -v[220:221], v[224:225], 1.0
	v_fma_f64 v[224:225], v[224:225], v[233:234], v[224:225]
	v_fma_f64 v[233:234], -v[220:221], v[224:225], 1.0
	v_fma_f64 v[224:225], v[224:225], v[233:234], v[224:225]
	v_div_scale_f64 v[233:234], vcc_lo, 1.0, v[218:219], 1.0
	v_mul_f64 v[235:236], v[233:234], v[224:225]
	v_fma_f64 v[220:221], -v[220:221], v[235:236], v[233:234]
	v_div_fmas_f64 v[220:221], v[220:221], v[224:225], v[235:236]
	v_div_fixup_f64 v[220:221], v[220:221], v[218:219], 1.0
	v_mul_f64 v[218:219], v[222:223], v[220:221]
	v_xor_b32_e32 v221, 0x80000000, v221
.LBB106_868:
	s_andn2_saveexec_b32 s1, s1
	s_cbranch_execz .LBB106_870
; %bb.869:
	v_div_scale_f64 v[222:223], null, v[218:219], v[218:219], v[220:221]
	v_div_scale_f64 v[235:236], vcc_lo, v[220:221], v[218:219], v[220:221]
	v_rcp_f64_e32 v[224:225], v[222:223]
	v_fma_f64 v[233:234], -v[222:223], v[224:225], 1.0
	v_fma_f64 v[224:225], v[224:225], v[233:234], v[224:225]
	v_fma_f64 v[233:234], -v[222:223], v[224:225], 1.0
	v_fma_f64 v[224:225], v[224:225], v[233:234], v[224:225]
	v_mul_f64 v[233:234], v[235:236], v[224:225]
	v_fma_f64 v[222:223], -v[222:223], v[233:234], v[235:236]
	v_div_fmas_f64 v[222:223], v[222:223], v[224:225], v[233:234]
	v_div_fixup_f64 v[222:223], v[222:223], v[218:219], v[220:221]
	v_fma_f64 v[218:219], v[220:221], v[222:223], v[218:219]
	v_div_scale_f64 v[220:221], null, v[218:219], v[218:219], 1.0
	v_rcp_f64_e32 v[224:225], v[220:221]
	v_fma_f64 v[233:234], -v[220:221], v[224:225], 1.0
	v_fma_f64 v[224:225], v[224:225], v[233:234], v[224:225]
	v_fma_f64 v[233:234], -v[220:221], v[224:225], 1.0
	v_fma_f64 v[224:225], v[224:225], v[233:234], v[224:225]
	v_div_scale_f64 v[233:234], vcc_lo, 1.0, v[218:219], 1.0
	v_mul_f64 v[235:236], v[233:234], v[224:225]
	v_fma_f64 v[220:221], -v[220:221], v[235:236], v[233:234]
	v_div_fmas_f64 v[220:221], v[220:221], v[224:225], v[235:236]
	v_div_fixup_f64 v[218:219], v[220:221], v[218:219], 1.0
	v_mul_f64 v[220:221], v[222:223], -v[218:219]
.LBB106_870:
	s_or_b32 exec_lo, exec_lo, s1
.LBB106_871:
	s_or_b32 exec_lo, exec_lo, s0
	s_mov_b32 s0, exec_lo
	v_cmpx_ne_u32_e64 v232, v226
	s_xor_b32 s0, exec_lo, s0
	s_cbranch_execz .LBB106_877
; %bb.872:
	s_mov_b32 s1, exec_lo
	v_cmpx_eq_u32_e32 41, v232
	s_cbranch_execz .LBB106_876
; %bb.873:
	v_cmp_ne_u32_e32 vcc_lo, 41, v226
	s_xor_b32 s7, s16, -1
	s_and_b32 s9, s7, vcc_lo
	s_and_saveexec_b32 s7, s9
	s_cbranch_execz .LBB106_875
; %bb.874:
	s_clause 0x1
	buffer_load_dword v214, off, s[20:23], 0
	buffer_load_dword v215, off, s[20:23], 0 offset:4
	v_ashrrev_i32_e32 v227, 31, v226
	v_lshlrev_b64 v[222:223], 2, v[226:227]
	s_waitcnt vmcnt(1)
	v_add_co_u32 v222, vcc_lo, v214, v222
	s_waitcnt vmcnt(0)
	v_add_co_ci_u32_e64 v223, null, v215, v223, vcc_lo
	s_clause 0x1
	global_load_dword v0, v[222:223], off
	global_load_dword v224, v[214:215], off offset:164
	s_waitcnt vmcnt(1)
	global_store_dword v[214:215], v0, off offset:164
	s_waitcnt vmcnt(0)
	global_store_dword v[222:223], v224, off
.LBB106_875:
	s_or_b32 exec_lo, exec_lo, s7
	v_mov_b32_e32 v232, v226
	v_mov_b32_e32 v0, v226
.LBB106_876:
	s_or_b32 exec_lo, exec_lo, s1
.LBB106_877:
	s_andn2_saveexec_b32 s0, s0
	s_cbranch_execz .LBB106_879
; %bb.878:
	v_mov_b32_e32 v232, 41
	ds_write2_b64 v1, v[46:47], v[48:49] offset0:84 offset1:85
	ds_write2_b64 v1, v[42:43], v[44:45] offset0:86 offset1:87
	;; [unrolled: 1-line block ×12, first 2 shown]
.LBB106_879:
	s_or_b32 exec_lo, exec_lo, s0
	s_mov_b32 s0, exec_lo
	s_waitcnt lgkmcnt(0)
	s_waitcnt_vscnt null, 0x0
	s_barrier
	buffer_gl0_inv
	v_cmpx_lt_i32_e32 41, v232
	s_cbranch_execz .LBB106_881
; %bb.880:
	v_mul_f64 v[222:223], v[218:219], v[52:53]
	v_mul_f64 v[52:53], v[220:221], v[52:53]
	v_fma_f64 v[222:223], v[220:221], v[50:51], v[222:223]
	v_fma_f64 v[50:51], v[218:219], v[50:51], -v[52:53]
	ds_read2_b64 v[218:221], v1 offset0:84 offset1:85
	s_waitcnt lgkmcnt(0)
	v_mul_f64 v[52:53], v[220:221], v[222:223]
	v_fma_f64 v[52:53], v[218:219], v[50:51], -v[52:53]
	v_mul_f64 v[218:219], v[218:219], v[222:223]
	v_add_f64 v[46:47], v[46:47], -v[52:53]
	v_fma_f64 v[218:219], v[220:221], v[50:51], v[218:219]
	v_add_f64 v[48:49], v[48:49], -v[218:219]
	ds_read2_b64 v[218:221], v1 offset0:86 offset1:87
	s_waitcnt lgkmcnt(0)
	v_mul_f64 v[52:53], v[220:221], v[222:223]
	v_fma_f64 v[52:53], v[218:219], v[50:51], -v[52:53]
	v_mul_f64 v[218:219], v[218:219], v[222:223]
	v_add_f64 v[42:43], v[42:43], -v[52:53]
	v_fma_f64 v[218:219], v[220:221], v[50:51], v[218:219]
	v_add_f64 v[44:45], v[44:45], -v[218:219]
	;; [unrolled: 8-line block ×11, first 2 shown]
	ds_read2_b64 v[218:221], v1 offset0:106 offset1:107
	s_waitcnt lgkmcnt(0)
	v_mul_f64 v[52:53], v[220:221], v[222:223]
	v_fma_f64 v[52:53], v[218:219], v[50:51], -v[52:53]
	v_mul_f64 v[218:219], v[218:219], v[222:223]
	v_add_f64 v[2:3], v[2:3], -v[52:53]
	v_fma_f64 v[218:219], v[220:221], v[50:51], v[218:219]
	v_mov_b32_e32 v52, v222
	v_mov_b32_e32 v53, v223
	v_add_f64 v[4:5], v[4:5], -v[218:219]
.LBB106_881:
	s_or_b32 exec_lo, exec_lo, s0
	v_lshl_add_u32 v218, v232, 4, v1
	s_barrier
	buffer_gl0_inv
	v_mov_b32_e32 v226, 42
	ds_write2_b64 v218, v[46:47], v[48:49] offset1:1
	s_waitcnt lgkmcnt(0)
	s_barrier
	buffer_gl0_inv
	ds_read2_b64 v[218:221], v1 offset0:84 offset1:85
	s_cmp_lt_i32 s8, 44
	s_cbranch_scc1 .LBB106_884
; %bb.882:
	v_add3_u32 v227, v228, 0, 0x2b0
	v_mov_b32_e32 v226, 42
	s_mov_b32 s1, 43
	s_inst_prefetch 0x1
	.p2align	6
.LBB106_883:                            ; =>This Inner Loop Header: Depth=1
	s_waitcnt lgkmcnt(0)
	v_cmp_gt_f64_e32 vcc_lo, 0, v[220:221]
	v_cmp_gt_f64_e64 s0, 0, v[218:219]
	ds_read2_b64 v[233:236], v227 offset1:1
	v_xor_b32_e32 v223, 0x80000000, v219
	v_xor_b32_e32 v225, 0x80000000, v221
	v_mov_b32_e32 v222, v218
	v_mov_b32_e32 v224, v220
	v_add_nc_u32_e32 v227, 16, v227
	s_waitcnt lgkmcnt(0)
	v_xor_b32_e32 v238, 0x80000000, v236
	v_cndmask_b32_e64 v223, v219, v223, s0
	v_cndmask_b32_e32 v225, v221, v225, vcc_lo
	v_cmp_gt_f64_e32 vcc_lo, 0, v[235:236]
	v_cmp_gt_f64_e64 s0, 0, v[233:234]
	v_mov_b32_e32 v237, v235
	v_add_f64 v[222:223], v[222:223], v[224:225]
	v_xor_b32_e32 v225, 0x80000000, v234
	v_mov_b32_e32 v224, v233
	v_cndmask_b32_e32 v238, v236, v238, vcc_lo
	v_cndmask_b32_e64 v225, v234, v225, s0
	v_add_f64 v[224:225], v[224:225], v[237:238]
	v_cmp_lt_f64_e32 vcc_lo, v[222:223], v[224:225]
	v_cndmask_b32_e32 v219, v219, v234, vcc_lo
	v_cndmask_b32_e32 v218, v218, v233, vcc_lo
	;; [unrolled: 1-line block ×4, first 2 shown]
	v_cndmask_b32_e64 v226, v226, s1, vcc_lo
	s_add_i32 s1, s1, 1
	s_cmp_lg_u32 s8, s1
	s_cbranch_scc1 .LBB106_883
.LBB106_884:
	s_inst_prefetch 0x2
	s_waitcnt lgkmcnt(0)
	v_cmp_eq_f64_e32 vcc_lo, 0, v[218:219]
	v_cmp_eq_f64_e64 s0, 0, v[220:221]
	s_and_b32 s0, vcc_lo, s0
	s_and_saveexec_b32 s1, s0
	s_xor_b32 s0, exec_lo, s1
; %bb.885:
	v_cmp_ne_u32_e32 vcc_lo, 0, v231
	v_cndmask_b32_e32 v231, 43, v231, vcc_lo
; %bb.886:
	s_andn2_saveexec_b32 s0, s0
	s_cbranch_execz .LBB106_892
; %bb.887:
	v_cmp_ngt_f64_e64 s1, |v[218:219]|, |v[220:221]|
	s_and_saveexec_b32 s7, s1
	s_xor_b32 s1, exec_lo, s7
	s_cbranch_execz .LBB106_889
; %bb.888:
	v_div_scale_f64 v[222:223], null, v[220:221], v[220:221], v[218:219]
	v_div_scale_f64 v[235:236], vcc_lo, v[218:219], v[220:221], v[218:219]
	v_rcp_f64_e32 v[224:225], v[222:223]
	v_fma_f64 v[233:234], -v[222:223], v[224:225], 1.0
	v_fma_f64 v[224:225], v[224:225], v[233:234], v[224:225]
	v_fma_f64 v[233:234], -v[222:223], v[224:225], 1.0
	v_fma_f64 v[224:225], v[224:225], v[233:234], v[224:225]
	v_mul_f64 v[233:234], v[235:236], v[224:225]
	v_fma_f64 v[222:223], -v[222:223], v[233:234], v[235:236]
	v_div_fmas_f64 v[222:223], v[222:223], v[224:225], v[233:234]
	v_div_fixup_f64 v[222:223], v[222:223], v[220:221], v[218:219]
	v_fma_f64 v[218:219], v[218:219], v[222:223], v[220:221]
	v_div_scale_f64 v[220:221], null, v[218:219], v[218:219], 1.0
	v_rcp_f64_e32 v[224:225], v[220:221]
	v_fma_f64 v[233:234], -v[220:221], v[224:225], 1.0
	v_fma_f64 v[224:225], v[224:225], v[233:234], v[224:225]
	v_fma_f64 v[233:234], -v[220:221], v[224:225], 1.0
	v_fma_f64 v[224:225], v[224:225], v[233:234], v[224:225]
	v_div_scale_f64 v[233:234], vcc_lo, 1.0, v[218:219], 1.0
	v_mul_f64 v[235:236], v[233:234], v[224:225]
	v_fma_f64 v[220:221], -v[220:221], v[235:236], v[233:234]
	v_div_fmas_f64 v[220:221], v[220:221], v[224:225], v[235:236]
	v_div_fixup_f64 v[220:221], v[220:221], v[218:219], 1.0
	v_mul_f64 v[218:219], v[222:223], v[220:221]
	v_xor_b32_e32 v221, 0x80000000, v221
.LBB106_889:
	s_andn2_saveexec_b32 s1, s1
	s_cbranch_execz .LBB106_891
; %bb.890:
	v_div_scale_f64 v[222:223], null, v[218:219], v[218:219], v[220:221]
	v_div_scale_f64 v[235:236], vcc_lo, v[220:221], v[218:219], v[220:221]
	v_rcp_f64_e32 v[224:225], v[222:223]
	v_fma_f64 v[233:234], -v[222:223], v[224:225], 1.0
	v_fma_f64 v[224:225], v[224:225], v[233:234], v[224:225]
	v_fma_f64 v[233:234], -v[222:223], v[224:225], 1.0
	v_fma_f64 v[224:225], v[224:225], v[233:234], v[224:225]
	v_mul_f64 v[233:234], v[235:236], v[224:225]
	v_fma_f64 v[222:223], -v[222:223], v[233:234], v[235:236]
	v_div_fmas_f64 v[222:223], v[222:223], v[224:225], v[233:234]
	v_div_fixup_f64 v[222:223], v[222:223], v[218:219], v[220:221]
	v_fma_f64 v[218:219], v[220:221], v[222:223], v[218:219]
	v_div_scale_f64 v[220:221], null, v[218:219], v[218:219], 1.0
	v_rcp_f64_e32 v[224:225], v[220:221]
	v_fma_f64 v[233:234], -v[220:221], v[224:225], 1.0
	v_fma_f64 v[224:225], v[224:225], v[233:234], v[224:225]
	v_fma_f64 v[233:234], -v[220:221], v[224:225], 1.0
	v_fma_f64 v[224:225], v[224:225], v[233:234], v[224:225]
	v_div_scale_f64 v[233:234], vcc_lo, 1.0, v[218:219], 1.0
	v_mul_f64 v[235:236], v[233:234], v[224:225]
	v_fma_f64 v[220:221], -v[220:221], v[235:236], v[233:234]
	v_div_fmas_f64 v[220:221], v[220:221], v[224:225], v[235:236]
	v_div_fixup_f64 v[218:219], v[220:221], v[218:219], 1.0
	v_mul_f64 v[220:221], v[222:223], -v[218:219]
.LBB106_891:
	s_or_b32 exec_lo, exec_lo, s1
.LBB106_892:
	s_or_b32 exec_lo, exec_lo, s0
	s_mov_b32 s0, exec_lo
	v_cmpx_ne_u32_e64 v232, v226
	s_xor_b32 s0, exec_lo, s0
	s_cbranch_execz .LBB106_898
; %bb.893:
	s_mov_b32 s1, exec_lo
	v_cmpx_eq_u32_e32 42, v232
	s_cbranch_execz .LBB106_897
; %bb.894:
	v_cmp_ne_u32_e32 vcc_lo, 42, v226
	s_xor_b32 s7, s16, -1
	s_and_b32 s9, s7, vcc_lo
	s_and_saveexec_b32 s7, s9
	s_cbranch_execz .LBB106_896
; %bb.895:
	s_clause 0x1
	buffer_load_dword v214, off, s[20:23], 0
	buffer_load_dword v215, off, s[20:23], 0 offset:4
	v_ashrrev_i32_e32 v227, 31, v226
	v_lshlrev_b64 v[222:223], 2, v[226:227]
	s_waitcnt vmcnt(1)
	v_add_co_u32 v222, vcc_lo, v214, v222
	s_waitcnt vmcnt(0)
	v_add_co_ci_u32_e64 v223, null, v215, v223, vcc_lo
	s_clause 0x1
	global_load_dword v0, v[222:223], off
	global_load_dword v224, v[214:215], off offset:168
	s_waitcnt vmcnt(1)
	global_store_dword v[214:215], v0, off offset:168
	s_waitcnt vmcnt(0)
	global_store_dword v[222:223], v224, off
.LBB106_896:
	s_or_b32 exec_lo, exec_lo, s7
	v_mov_b32_e32 v232, v226
	v_mov_b32_e32 v0, v226
.LBB106_897:
	s_or_b32 exec_lo, exec_lo, s1
.LBB106_898:
	s_andn2_saveexec_b32 s0, s0
	s_cbranch_execz .LBB106_900
; %bb.899:
	v_mov_b32_e32 v232, 42
	ds_write2_b64 v1, v[42:43], v[44:45] offset0:86 offset1:87
	ds_write2_b64 v1, v[38:39], v[40:41] offset0:88 offset1:89
	ds_write2_b64 v1, v[34:35], v[36:37] offset0:90 offset1:91
	ds_write2_b64 v1, v[30:31], v[32:33] offset0:92 offset1:93
	ds_write2_b64 v1, v[26:27], v[28:29] offset0:94 offset1:95
	ds_write2_b64 v1, v[22:23], v[24:25] offset0:96 offset1:97
	ds_write2_b64 v1, v[18:19], v[20:21] offset0:98 offset1:99
	ds_write2_b64 v1, v[14:15], v[16:17] offset0:100 offset1:101
	ds_write2_b64 v1, v[10:11], v[12:13] offset0:102 offset1:103
	ds_write2_b64 v1, v[6:7], v[8:9] offset0:104 offset1:105
	ds_write2_b64 v1, v[2:3], v[4:5] offset0:106 offset1:107
.LBB106_900:
	s_or_b32 exec_lo, exec_lo, s0
	s_mov_b32 s0, exec_lo
	s_waitcnt lgkmcnt(0)
	s_waitcnt_vscnt null, 0x0
	s_barrier
	buffer_gl0_inv
	v_cmpx_lt_i32_e32 42, v232
	s_cbranch_execz .LBB106_902
; %bb.901:
	v_mul_f64 v[222:223], v[218:219], v[48:49]
	v_mul_f64 v[48:49], v[220:221], v[48:49]
	v_fma_f64 v[222:223], v[220:221], v[46:47], v[222:223]
	v_fma_f64 v[46:47], v[218:219], v[46:47], -v[48:49]
	ds_read2_b64 v[218:221], v1 offset0:86 offset1:87
	s_waitcnt lgkmcnt(0)
	v_mul_f64 v[48:49], v[220:221], v[222:223]
	v_fma_f64 v[48:49], v[218:219], v[46:47], -v[48:49]
	v_mul_f64 v[218:219], v[218:219], v[222:223]
	v_add_f64 v[42:43], v[42:43], -v[48:49]
	v_fma_f64 v[218:219], v[220:221], v[46:47], v[218:219]
	v_add_f64 v[44:45], v[44:45], -v[218:219]
	ds_read2_b64 v[218:221], v1 offset0:88 offset1:89
	s_waitcnt lgkmcnt(0)
	v_mul_f64 v[48:49], v[220:221], v[222:223]
	v_fma_f64 v[48:49], v[218:219], v[46:47], -v[48:49]
	v_mul_f64 v[218:219], v[218:219], v[222:223]
	v_add_f64 v[38:39], v[38:39], -v[48:49]
	v_fma_f64 v[218:219], v[220:221], v[46:47], v[218:219]
	v_add_f64 v[40:41], v[40:41], -v[218:219]
	ds_read2_b64 v[218:221], v1 offset0:90 offset1:91
	s_waitcnt lgkmcnt(0)
	v_mul_f64 v[48:49], v[220:221], v[222:223]
	v_fma_f64 v[48:49], v[218:219], v[46:47], -v[48:49]
	v_mul_f64 v[218:219], v[218:219], v[222:223]
	v_add_f64 v[34:35], v[34:35], -v[48:49]
	v_fma_f64 v[218:219], v[220:221], v[46:47], v[218:219]
	v_add_f64 v[36:37], v[36:37], -v[218:219]
	ds_read2_b64 v[218:221], v1 offset0:92 offset1:93
	s_waitcnt lgkmcnt(0)
	v_mul_f64 v[48:49], v[220:221], v[222:223]
	v_fma_f64 v[48:49], v[218:219], v[46:47], -v[48:49]
	v_mul_f64 v[218:219], v[218:219], v[222:223]
	v_add_f64 v[30:31], v[30:31], -v[48:49]
	v_fma_f64 v[218:219], v[220:221], v[46:47], v[218:219]
	v_add_f64 v[32:33], v[32:33], -v[218:219]
	ds_read2_b64 v[218:221], v1 offset0:94 offset1:95
	s_waitcnt lgkmcnt(0)
	v_mul_f64 v[48:49], v[220:221], v[222:223]
	v_fma_f64 v[48:49], v[218:219], v[46:47], -v[48:49]
	v_mul_f64 v[218:219], v[218:219], v[222:223]
	v_add_f64 v[26:27], v[26:27], -v[48:49]
	v_fma_f64 v[218:219], v[220:221], v[46:47], v[218:219]
	v_add_f64 v[28:29], v[28:29], -v[218:219]
	ds_read2_b64 v[218:221], v1 offset0:96 offset1:97
	s_waitcnt lgkmcnt(0)
	v_mul_f64 v[48:49], v[220:221], v[222:223]
	v_fma_f64 v[48:49], v[218:219], v[46:47], -v[48:49]
	v_mul_f64 v[218:219], v[218:219], v[222:223]
	v_add_f64 v[22:23], v[22:23], -v[48:49]
	v_fma_f64 v[218:219], v[220:221], v[46:47], v[218:219]
	v_add_f64 v[24:25], v[24:25], -v[218:219]
	ds_read2_b64 v[218:221], v1 offset0:98 offset1:99
	s_waitcnt lgkmcnt(0)
	v_mul_f64 v[48:49], v[220:221], v[222:223]
	v_fma_f64 v[48:49], v[218:219], v[46:47], -v[48:49]
	v_mul_f64 v[218:219], v[218:219], v[222:223]
	v_add_f64 v[18:19], v[18:19], -v[48:49]
	v_fma_f64 v[218:219], v[220:221], v[46:47], v[218:219]
	v_add_f64 v[20:21], v[20:21], -v[218:219]
	ds_read2_b64 v[218:221], v1 offset0:100 offset1:101
	s_waitcnt lgkmcnt(0)
	v_mul_f64 v[48:49], v[220:221], v[222:223]
	v_fma_f64 v[48:49], v[218:219], v[46:47], -v[48:49]
	v_mul_f64 v[218:219], v[218:219], v[222:223]
	v_add_f64 v[14:15], v[14:15], -v[48:49]
	v_fma_f64 v[218:219], v[220:221], v[46:47], v[218:219]
	v_add_f64 v[16:17], v[16:17], -v[218:219]
	ds_read2_b64 v[218:221], v1 offset0:102 offset1:103
	s_waitcnt lgkmcnt(0)
	v_mul_f64 v[48:49], v[220:221], v[222:223]
	v_fma_f64 v[48:49], v[218:219], v[46:47], -v[48:49]
	v_mul_f64 v[218:219], v[218:219], v[222:223]
	v_add_f64 v[10:11], v[10:11], -v[48:49]
	v_fma_f64 v[218:219], v[220:221], v[46:47], v[218:219]
	v_add_f64 v[12:13], v[12:13], -v[218:219]
	ds_read2_b64 v[218:221], v1 offset0:104 offset1:105
	s_waitcnt lgkmcnt(0)
	v_mul_f64 v[48:49], v[220:221], v[222:223]
	v_fma_f64 v[48:49], v[218:219], v[46:47], -v[48:49]
	v_mul_f64 v[218:219], v[218:219], v[222:223]
	v_add_f64 v[6:7], v[6:7], -v[48:49]
	v_fma_f64 v[218:219], v[220:221], v[46:47], v[218:219]
	v_add_f64 v[8:9], v[8:9], -v[218:219]
	ds_read2_b64 v[218:221], v1 offset0:106 offset1:107
	s_waitcnt lgkmcnt(0)
	v_mul_f64 v[48:49], v[220:221], v[222:223]
	v_fma_f64 v[48:49], v[218:219], v[46:47], -v[48:49]
	v_mul_f64 v[218:219], v[218:219], v[222:223]
	v_add_f64 v[2:3], v[2:3], -v[48:49]
	v_fma_f64 v[218:219], v[220:221], v[46:47], v[218:219]
	v_mov_b32_e32 v48, v222
	v_mov_b32_e32 v49, v223
	v_add_f64 v[4:5], v[4:5], -v[218:219]
.LBB106_902:
	s_or_b32 exec_lo, exec_lo, s0
	v_lshl_add_u32 v218, v232, 4, v1
	s_barrier
	buffer_gl0_inv
	v_mov_b32_e32 v226, 43
	ds_write2_b64 v218, v[42:43], v[44:45] offset1:1
	s_waitcnt lgkmcnt(0)
	s_barrier
	buffer_gl0_inv
	ds_read2_b64 v[218:221], v1 offset0:86 offset1:87
	s_cmp_lt_i32 s8, 45
	s_cbranch_scc1 .LBB106_905
; %bb.903:
	v_add3_u32 v227, v228, 0, 0x2c0
	v_mov_b32_e32 v226, 43
	s_mov_b32 s1, 44
	s_inst_prefetch 0x1
	.p2align	6
.LBB106_904:                            ; =>This Inner Loop Header: Depth=1
	s_waitcnt lgkmcnt(0)
	v_cmp_gt_f64_e32 vcc_lo, 0, v[220:221]
	v_cmp_gt_f64_e64 s0, 0, v[218:219]
	ds_read2_b64 v[233:236], v227 offset1:1
	v_xor_b32_e32 v223, 0x80000000, v219
	v_xor_b32_e32 v225, 0x80000000, v221
	v_mov_b32_e32 v222, v218
	v_mov_b32_e32 v224, v220
	v_add_nc_u32_e32 v227, 16, v227
	s_waitcnt lgkmcnt(0)
	v_xor_b32_e32 v238, 0x80000000, v236
	v_cndmask_b32_e64 v223, v219, v223, s0
	v_cndmask_b32_e32 v225, v221, v225, vcc_lo
	v_cmp_gt_f64_e32 vcc_lo, 0, v[235:236]
	v_cmp_gt_f64_e64 s0, 0, v[233:234]
	v_mov_b32_e32 v237, v235
	v_add_f64 v[222:223], v[222:223], v[224:225]
	v_xor_b32_e32 v225, 0x80000000, v234
	v_mov_b32_e32 v224, v233
	v_cndmask_b32_e32 v238, v236, v238, vcc_lo
	v_cndmask_b32_e64 v225, v234, v225, s0
	v_add_f64 v[224:225], v[224:225], v[237:238]
	v_cmp_lt_f64_e32 vcc_lo, v[222:223], v[224:225]
	v_cndmask_b32_e32 v219, v219, v234, vcc_lo
	v_cndmask_b32_e32 v218, v218, v233, vcc_lo
	v_cndmask_b32_e32 v221, v221, v236, vcc_lo
	v_cndmask_b32_e32 v220, v220, v235, vcc_lo
	v_cndmask_b32_e64 v226, v226, s1, vcc_lo
	s_add_i32 s1, s1, 1
	s_cmp_lg_u32 s8, s1
	s_cbranch_scc1 .LBB106_904
.LBB106_905:
	s_inst_prefetch 0x2
	s_waitcnt lgkmcnt(0)
	v_cmp_eq_f64_e32 vcc_lo, 0, v[218:219]
	v_cmp_eq_f64_e64 s0, 0, v[220:221]
	s_and_b32 s0, vcc_lo, s0
	s_and_saveexec_b32 s1, s0
	s_xor_b32 s0, exec_lo, s1
; %bb.906:
	v_cmp_ne_u32_e32 vcc_lo, 0, v231
	v_cndmask_b32_e32 v231, 44, v231, vcc_lo
; %bb.907:
	s_andn2_saveexec_b32 s0, s0
	s_cbranch_execz .LBB106_913
; %bb.908:
	v_cmp_ngt_f64_e64 s1, |v[218:219]|, |v[220:221]|
	s_and_saveexec_b32 s7, s1
	s_xor_b32 s1, exec_lo, s7
	s_cbranch_execz .LBB106_910
; %bb.909:
	v_div_scale_f64 v[222:223], null, v[220:221], v[220:221], v[218:219]
	v_div_scale_f64 v[235:236], vcc_lo, v[218:219], v[220:221], v[218:219]
	v_rcp_f64_e32 v[224:225], v[222:223]
	v_fma_f64 v[233:234], -v[222:223], v[224:225], 1.0
	v_fma_f64 v[224:225], v[224:225], v[233:234], v[224:225]
	v_fma_f64 v[233:234], -v[222:223], v[224:225], 1.0
	v_fma_f64 v[224:225], v[224:225], v[233:234], v[224:225]
	v_mul_f64 v[233:234], v[235:236], v[224:225]
	v_fma_f64 v[222:223], -v[222:223], v[233:234], v[235:236]
	v_div_fmas_f64 v[222:223], v[222:223], v[224:225], v[233:234]
	v_div_fixup_f64 v[222:223], v[222:223], v[220:221], v[218:219]
	v_fma_f64 v[218:219], v[218:219], v[222:223], v[220:221]
	v_div_scale_f64 v[220:221], null, v[218:219], v[218:219], 1.0
	v_rcp_f64_e32 v[224:225], v[220:221]
	v_fma_f64 v[233:234], -v[220:221], v[224:225], 1.0
	v_fma_f64 v[224:225], v[224:225], v[233:234], v[224:225]
	v_fma_f64 v[233:234], -v[220:221], v[224:225], 1.0
	v_fma_f64 v[224:225], v[224:225], v[233:234], v[224:225]
	v_div_scale_f64 v[233:234], vcc_lo, 1.0, v[218:219], 1.0
	v_mul_f64 v[235:236], v[233:234], v[224:225]
	v_fma_f64 v[220:221], -v[220:221], v[235:236], v[233:234]
	v_div_fmas_f64 v[220:221], v[220:221], v[224:225], v[235:236]
	v_div_fixup_f64 v[220:221], v[220:221], v[218:219], 1.0
	v_mul_f64 v[218:219], v[222:223], v[220:221]
	v_xor_b32_e32 v221, 0x80000000, v221
.LBB106_910:
	s_andn2_saveexec_b32 s1, s1
	s_cbranch_execz .LBB106_912
; %bb.911:
	v_div_scale_f64 v[222:223], null, v[218:219], v[218:219], v[220:221]
	v_div_scale_f64 v[235:236], vcc_lo, v[220:221], v[218:219], v[220:221]
	v_rcp_f64_e32 v[224:225], v[222:223]
	v_fma_f64 v[233:234], -v[222:223], v[224:225], 1.0
	v_fma_f64 v[224:225], v[224:225], v[233:234], v[224:225]
	v_fma_f64 v[233:234], -v[222:223], v[224:225], 1.0
	v_fma_f64 v[224:225], v[224:225], v[233:234], v[224:225]
	v_mul_f64 v[233:234], v[235:236], v[224:225]
	v_fma_f64 v[222:223], -v[222:223], v[233:234], v[235:236]
	v_div_fmas_f64 v[222:223], v[222:223], v[224:225], v[233:234]
	v_div_fixup_f64 v[222:223], v[222:223], v[218:219], v[220:221]
	v_fma_f64 v[218:219], v[220:221], v[222:223], v[218:219]
	v_div_scale_f64 v[220:221], null, v[218:219], v[218:219], 1.0
	v_rcp_f64_e32 v[224:225], v[220:221]
	v_fma_f64 v[233:234], -v[220:221], v[224:225], 1.0
	v_fma_f64 v[224:225], v[224:225], v[233:234], v[224:225]
	v_fma_f64 v[233:234], -v[220:221], v[224:225], 1.0
	v_fma_f64 v[224:225], v[224:225], v[233:234], v[224:225]
	v_div_scale_f64 v[233:234], vcc_lo, 1.0, v[218:219], 1.0
	v_mul_f64 v[235:236], v[233:234], v[224:225]
	v_fma_f64 v[220:221], -v[220:221], v[235:236], v[233:234]
	v_div_fmas_f64 v[220:221], v[220:221], v[224:225], v[235:236]
	v_div_fixup_f64 v[218:219], v[220:221], v[218:219], 1.0
	v_mul_f64 v[220:221], v[222:223], -v[218:219]
.LBB106_912:
	s_or_b32 exec_lo, exec_lo, s1
.LBB106_913:
	s_or_b32 exec_lo, exec_lo, s0
	s_mov_b32 s0, exec_lo
	v_cmpx_ne_u32_e64 v232, v226
	s_xor_b32 s0, exec_lo, s0
	s_cbranch_execz .LBB106_919
; %bb.914:
	s_mov_b32 s1, exec_lo
	v_cmpx_eq_u32_e32 43, v232
	s_cbranch_execz .LBB106_918
; %bb.915:
	v_cmp_ne_u32_e32 vcc_lo, 43, v226
	s_xor_b32 s7, s16, -1
	s_and_b32 s9, s7, vcc_lo
	s_and_saveexec_b32 s7, s9
	s_cbranch_execz .LBB106_917
; %bb.916:
	s_clause 0x1
	buffer_load_dword v214, off, s[20:23], 0
	buffer_load_dword v215, off, s[20:23], 0 offset:4
	v_ashrrev_i32_e32 v227, 31, v226
	v_lshlrev_b64 v[222:223], 2, v[226:227]
	s_waitcnt vmcnt(1)
	v_add_co_u32 v222, vcc_lo, v214, v222
	s_waitcnt vmcnt(0)
	v_add_co_ci_u32_e64 v223, null, v215, v223, vcc_lo
	s_clause 0x1
	global_load_dword v0, v[222:223], off
	global_load_dword v224, v[214:215], off offset:172
	s_waitcnt vmcnt(1)
	global_store_dword v[214:215], v0, off offset:172
	s_waitcnt vmcnt(0)
	global_store_dword v[222:223], v224, off
.LBB106_917:
	s_or_b32 exec_lo, exec_lo, s7
	v_mov_b32_e32 v232, v226
	v_mov_b32_e32 v0, v226
.LBB106_918:
	s_or_b32 exec_lo, exec_lo, s1
.LBB106_919:
	s_andn2_saveexec_b32 s0, s0
	s_cbranch_execz .LBB106_921
; %bb.920:
	v_mov_b32_e32 v232, 43
	ds_write2_b64 v1, v[38:39], v[40:41] offset0:88 offset1:89
	ds_write2_b64 v1, v[34:35], v[36:37] offset0:90 offset1:91
	;; [unrolled: 1-line block ×10, first 2 shown]
.LBB106_921:
	s_or_b32 exec_lo, exec_lo, s0
	s_mov_b32 s0, exec_lo
	s_waitcnt lgkmcnt(0)
	s_waitcnt_vscnt null, 0x0
	s_barrier
	buffer_gl0_inv
	v_cmpx_lt_i32_e32 43, v232
	s_cbranch_execz .LBB106_923
; %bb.922:
	v_mul_f64 v[222:223], v[218:219], v[44:45]
	v_mul_f64 v[44:45], v[220:221], v[44:45]
	v_fma_f64 v[222:223], v[220:221], v[42:43], v[222:223]
	v_fma_f64 v[42:43], v[218:219], v[42:43], -v[44:45]
	ds_read2_b64 v[218:221], v1 offset0:88 offset1:89
	s_waitcnt lgkmcnt(0)
	v_mul_f64 v[44:45], v[220:221], v[222:223]
	v_fma_f64 v[44:45], v[218:219], v[42:43], -v[44:45]
	v_mul_f64 v[218:219], v[218:219], v[222:223]
	v_add_f64 v[38:39], v[38:39], -v[44:45]
	v_fma_f64 v[218:219], v[220:221], v[42:43], v[218:219]
	v_add_f64 v[40:41], v[40:41], -v[218:219]
	ds_read2_b64 v[218:221], v1 offset0:90 offset1:91
	s_waitcnt lgkmcnt(0)
	v_mul_f64 v[44:45], v[220:221], v[222:223]
	v_fma_f64 v[44:45], v[218:219], v[42:43], -v[44:45]
	v_mul_f64 v[218:219], v[218:219], v[222:223]
	v_add_f64 v[34:35], v[34:35], -v[44:45]
	v_fma_f64 v[218:219], v[220:221], v[42:43], v[218:219]
	v_add_f64 v[36:37], v[36:37], -v[218:219]
	;; [unrolled: 8-line block ×9, first 2 shown]
	ds_read2_b64 v[218:221], v1 offset0:106 offset1:107
	s_waitcnt lgkmcnt(0)
	v_mul_f64 v[44:45], v[220:221], v[222:223]
	v_fma_f64 v[44:45], v[218:219], v[42:43], -v[44:45]
	v_mul_f64 v[218:219], v[218:219], v[222:223]
	v_add_f64 v[2:3], v[2:3], -v[44:45]
	v_fma_f64 v[218:219], v[220:221], v[42:43], v[218:219]
	v_mov_b32_e32 v44, v222
	v_mov_b32_e32 v45, v223
	v_add_f64 v[4:5], v[4:5], -v[218:219]
.LBB106_923:
	s_or_b32 exec_lo, exec_lo, s0
	v_lshl_add_u32 v218, v232, 4, v1
	s_barrier
	buffer_gl0_inv
	v_mov_b32_e32 v226, 44
	ds_write2_b64 v218, v[38:39], v[40:41] offset1:1
	s_waitcnt lgkmcnt(0)
	s_barrier
	buffer_gl0_inv
	ds_read2_b64 v[218:221], v1 offset0:88 offset1:89
	s_cmp_lt_i32 s8, 46
	s_cbranch_scc1 .LBB106_926
; %bb.924:
	v_add3_u32 v227, v228, 0, 0x2d0
	v_mov_b32_e32 v226, 44
	s_mov_b32 s1, 45
	s_inst_prefetch 0x1
	.p2align	6
.LBB106_925:                            ; =>This Inner Loop Header: Depth=1
	s_waitcnt lgkmcnt(0)
	v_cmp_gt_f64_e32 vcc_lo, 0, v[220:221]
	v_cmp_gt_f64_e64 s0, 0, v[218:219]
	ds_read2_b64 v[233:236], v227 offset1:1
	v_xor_b32_e32 v223, 0x80000000, v219
	v_xor_b32_e32 v225, 0x80000000, v221
	v_mov_b32_e32 v222, v218
	v_mov_b32_e32 v224, v220
	v_add_nc_u32_e32 v227, 16, v227
	s_waitcnt lgkmcnt(0)
	v_xor_b32_e32 v238, 0x80000000, v236
	v_cndmask_b32_e64 v223, v219, v223, s0
	v_cndmask_b32_e32 v225, v221, v225, vcc_lo
	v_cmp_gt_f64_e32 vcc_lo, 0, v[235:236]
	v_cmp_gt_f64_e64 s0, 0, v[233:234]
	v_mov_b32_e32 v237, v235
	v_add_f64 v[222:223], v[222:223], v[224:225]
	v_xor_b32_e32 v225, 0x80000000, v234
	v_mov_b32_e32 v224, v233
	v_cndmask_b32_e32 v238, v236, v238, vcc_lo
	v_cndmask_b32_e64 v225, v234, v225, s0
	v_add_f64 v[224:225], v[224:225], v[237:238]
	v_cmp_lt_f64_e32 vcc_lo, v[222:223], v[224:225]
	v_cndmask_b32_e32 v219, v219, v234, vcc_lo
	v_cndmask_b32_e32 v218, v218, v233, vcc_lo
	;; [unrolled: 1-line block ×4, first 2 shown]
	v_cndmask_b32_e64 v226, v226, s1, vcc_lo
	s_add_i32 s1, s1, 1
	s_cmp_lg_u32 s8, s1
	s_cbranch_scc1 .LBB106_925
.LBB106_926:
	s_inst_prefetch 0x2
	s_waitcnt lgkmcnt(0)
	v_cmp_eq_f64_e32 vcc_lo, 0, v[218:219]
	v_cmp_eq_f64_e64 s0, 0, v[220:221]
	s_and_b32 s0, vcc_lo, s0
	s_and_saveexec_b32 s1, s0
	s_xor_b32 s0, exec_lo, s1
; %bb.927:
	v_cmp_ne_u32_e32 vcc_lo, 0, v231
	v_cndmask_b32_e32 v231, 45, v231, vcc_lo
; %bb.928:
	s_andn2_saveexec_b32 s0, s0
	s_cbranch_execz .LBB106_934
; %bb.929:
	v_cmp_ngt_f64_e64 s1, |v[218:219]|, |v[220:221]|
	s_and_saveexec_b32 s7, s1
	s_xor_b32 s1, exec_lo, s7
	s_cbranch_execz .LBB106_931
; %bb.930:
	v_div_scale_f64 v[222:223], null, v[220:221], v[220:221], v[218:219]
	v_div_scale_f64 v[235:236], vcc_lo, v[218:219], v[220:221], v[218:219]
	v_rcp_f64_e32 v[224:225], v[222:223]
	v_fma_f64 v[233:234], -v[222:223], v[224:225], 1.0
	v_fma_f64 v[224:225], v[224:225], v[233:234], v[224:225]
	v_fma_f64 v[233:234], -v[222:223], v[224:225], 1.0
	v_fma_f64 v[224:225], v[224:225], v[233:234], v[224:225]
	v_mul_f64 v[233:234], v[235:236], v[224:225]
	v_fma_f64 v[222:223], -v[222:223], v[233:234], v[235:236]
	v_div_fmas_f64 v[222:223], v[222:223], v[224:225], v[233:234]
	v_div_fixup_f64 v[222:223], v[222:223], v[220:221], v[218:219]
	v_fma_f64 v[218:219], v[218:219], v[222:223], v[220:221]
	v_div_scale_f64 v[220:221], null, v[218:219], v[218:219], 1.0
	v_rcp_f64_e32 v[224:225], v[220:221]
	v_fma_f64 v[233:234], -v[220:221], v[224:225], 1.0
	v_fma_f64 v[224:225], v[224:225], v[233:234], v[224:225]
	v_fma_f64 v[233:234], -v[220:221], v[224:225], 1.0
	v_fma_f64 v[224:225], v[224:225], v[233:234], v[224:225]
	v_div_scale_f64 v[233:234], vcc_lo, 1.0, v[218:219], 1.0
	v_mul_f64 v[235:236], v[233:234], v[224:225]
	v_fma_f64 v[220:221], -v[220:221], v[235:236], v[233:234]
	v_div_fmas_f64 v[220:221], v[220:221], v[224:225], v[235:236]
	v_div_fixup_f64 v[220:221], v[220:221], v[218:219], 1.0
	v_mul_f64 v[218:219], v[222:223], v[220:221]
	v_xor_b32_e32 v221, 0x80000000, v221
.LBB106_931:
	s_andn2_saveexec_b32 s1, s1
	s_cbranch_execz .LBB106_933
; %bb.932:
	v_div_scale_f64 v[222:223], null, v[218:219], v[218:219], v[220:221]
	v_div_scale_f64 v[235:236], vcc_lo, v[220:221], v[218:219], v[220:221]
	v_rcp_f64_e32 v[224:225], v[222:223]
	v_fma_f64 v[233:234], -v[222:223], v[224:225], 1.0
	v_fma_f64 v[224:225], v[224:225], v[233:234], v[224:225]
	v_fma_f64 v[233:234], -v[222:223], v[224:225], 1.0
	v_fma_f64 v[224:225], v[224:225], v[233:234], v[224:225]
	v_mul_f64 v[233:234], v[235:236], v[224:225]
	v_fma_f64 v[222:223], -v[222:223], v[233:234], v[235:236]
	v_div_fmas_f64 v[222:223], v[222:223], v[224:225], v[233:234]
	v_div_fixup_f64 v[222:223], v[222:223], v[218:219], v[220:221]
	v_fma_f64 v[218:219], v[220:221], v[222:223], v[218:219]
	v_div_scale_f64 v[220:221], null, v[218:219], v[218:219], 1.0
	v_rcp_f64_e32 v[224:225], v[220:221]
	v_fma_f64 v[233:234], -v[220:221], v[224:225], 1.0
	v_fma_f64 v[224:225], v[224:225], v[233:234], v[224:225]
	v_fma_f64 v[233:234], -v[220:221], v[224:225], 1.0
	v_fma_f64 v[224:225], v[224:225], v[233:234], v[224:225]
	v_div_scale_f64 v[233:234], vcc_lo, 1.0, v[218:219], 1.0
	v_mul_f64 v[235:236], v[233:234], v[224:225]
	v_fma_f64 v[220:221], -v[220:221], v[235:236], v[233:234]
	v_div_fmas_f64 v[220:221], v[220:221], v[224:225], v[235:236]
	v_div_fixup_f64 v[218:219], v[220:221], v[218:219], 1.0
	v_mul_f64 v[220:221], v[222:223], -v[218:219]
.LBB106_933:
	s_or_b32 exec_lo, exec_lo, s1
.LBB106_934:
	s_or_b32 exec_lo, exec_lo, s0
	s_mov_b32 s0, exec_lo
	v_cmpx_ne_u32_e64 v232, v226
	s_xor_b32 s0, exec_lo, s0
	s_cbranch_execz .LBB106_940
; %bb.935:
	s_mov_b32 s1, exec_lo
	v_cmpx_eq_u32_e32 44, v232
	s_cbranch_execz .LBB106_939
; %bb.936:
	v_cmp_ne_u32_e32 vcc_lo, 44, v226
	s_xor_b32 s7, s16, -1
	s_and_b32 s9, s7, vcc_lo
	s_and_saveexec_b32 s7, s9
	s_cbranch_execz .LBB106_938
; %bb.937:
	s_clause 0x1
	buffer_load_dword v214, off, s[20:23], 0
	buffer_load_dword v215, off, s[20:23], 0 offset:4
	v_ashrrev_i32_e32 v227, 31, v226
	v_lshlrev_b64 v[222:223], 2, v[226:227]
	s_waitcnt vmcnt(1)
	v_add_co_u32 v222, vcc_lo, v214, v222
	s_waitcnt vmcnt(0)
	v_add_co_ci_u32_e64 v223, null, v215, v223, vcc_lo
	s_clause 0x1
	global_load_dword v0, v[222:223], off
	global_load_dword v224, v[214:215], off offset:176
	s_waitcnt vmcnt(1)
	global_store_dword v[214:215], v0, off offset:176
	s_waitcnt vmcnt(0)
	global_store_dword v[222:223], v224, off
.LBB106_938:
	s_or_b32 exec_lo, exec_lo, s7
	v_mov_b32_e32 v232, v226
	v_mov_b32_e32 v0, v226
.LBB106_939:
	s_or_b32 exec_lo, exec_lo, s1
.LBB106_940:
	s_andn2_saveexec_b32 s0, s0
	s_cbranch_execz .LBB106_942
; %bb.941:
	v_mov_b32_e32 v232, 44
	ds_write2_b64 v1, v[34:35], v[36:37] offset0:90 offset1:91
	ds_write2_b64 v1, v[30:31], v[32:33] offset0:92 offset1:93
	;; [unrolled: 1-line block ×9, first 2 shown]
.LBB106_942:
	s_or_b32 exec_lo, exec_lo, s0
	s_mov_b32 s0, exec_lo
	s_waitcnt lgkmcnt(0)
	s_waitcnt_vscnt null, 0x0
	s_barrier
	buffer_gl0_inv
	v_cmpx_lt_i32_e32 44, v232
	s_cbranch_execz .LBB106_944
; %bb.943:
	v_mul_f64 v[222:223], v[218:219], v[40:41]
	v_mul_f64 v[40:41], v[220:221], v[40:41]
	v_fma_f64 v[222:223], v[220:221], v[38:39], v[222:223]
	v_fma_f64 v[38:39], v[218:219], v[38:39], -v[40:41]
	ds_read2_b64 v[218:221], v1 offset0:90 offset1:91
	s_waitcnt lgkmcnt(0)
	v_mul_f64 v[40:41], v[220:221], v[222:223]
	v_fma_f64 v[40:41], v[218:219], v[38:39], -v[40:41]
	v_mul_f64 v[218:219], v[218:219], v[222:223]
	v_add_f64 v[34:35], v[34:35], -v[40:41]
	v_fma_f64 v[218:219], v[220:221], v[38:39], v[218:219]
	v_add_f64 v[36:37], v[36:37], -v[218:219]
	ds_read2_b64 v[218:221], v1 offset0:92 offset1:93
	s_waitcnt lgkmcnt(0)
	v_mul_f64 v[40:41], v[220:221], v[222:223]
	v_fma_f64 v[40:41], v[218:219], v[38:39], -v[40:41]
	v_mul_f64 v[218:219], v[218:219], v[222:223]
	v_add_f64 v[30:31], v[30:31], -v[40:41]
	v_fma_f64 v[218:219], v[220:221], v[38:39], v[218:219]
	v_add_f64 v[32:33], v[32:33], -v[218:219]
	ds_read2_b64 v[218:221], v1 offset0:94 offset1:95
	s_waitcnt lgkmcnt(0)
	v_mul_f64 v[40:41], v[220:221], v[222:223]
	v_fma_f64 v[40:41], v[218:219], v[38:39], -v[40:41]
	v_mul_f64 v[218:219], v[218:219], v[222:223]
	v_add_f64 v[26:27], v[26:27], -v[40:41]
	v_fma_f64 v[218:219], v[220:221], v[38:39], v[218:219]
	v_add_f64 v[28:29], v[28:29], -v[218:219]
	ds_read2_b64 v[218:221], v1 offset0:96 offset1:97
	s_waitcnt lgkmcnt(0)
	v_mul_f64 v[40:41], v[220:221], v[222:223]
	v_fma_f64 v[40:41], v[218:219], v[38:39], -v[40:41]
	v_mul_f64 v[218:219], v[218:219], v[222:223]
	v_add_f64 v[22:23], v[22:23], -v[40:41]
	v_fma_f64 v[218:219], v[220:221], v[38:39], v[218:219]
	v_add_f64 v[24:25], v[24:25], -v[218:219]
	ds_read2_b64 v[218:221], v1 offset0:98 offset1:99
	s_waitcnt lgkmcnt(0)
	v_mul_f64 v[40:41], v[220:221], v[222:223]
	v_fma_f64 v[40:41], v[218:219], v[38:39], -v[40:41]
	v_mul_f64 v[218:219], v[218:219], v[222:223]
	v_add_f64 v[18:19], v[18:19], -v[40:41]
	v_fma_f64 v[218:219], v[220:221], v[38:39], v[218:219]
	v_add_f64 v[20:21], v[20:21], -v[218:219]
	ds_read2_b64 v[218:221], v1 offset0:100 offset1:101
	s_waitcnt lgkmcnt(0)
	v_mul_f64 v[40:41], v[220:221], v[222:223]
	v_fma_f64 v[40:41], v[218:219], v[38:39], -v[40:41]
	v_mul_f64 v[218:219], v[218:219], v[222:223]
	v_add_f64 v[14:15], v[14:15], -v[40:41]
	v_fma_f64 v[218:219], v[220:221], v[38:39], v[218:219]
	v_add_f64 v[16:17], v[16:17], -v[218:219]
	ds_read2_b64 v[218:221], v1 offset0:102 offset1:103
	s_waitcnt lgkmcnt(0)
	v_mul_f64 v[40:41], v[220:221], v[222:223]
	v_fma_f64 v[40:41], v[218:219], v[38:39], -v[40:41]
	v_mul_f64 v[218:219], v[218:219], v[222:223]
	v_add_f64 v[10:11], v[10:11], -v[40:41]
	v_fma_f64 v[218:219], v[220:221], v[38:39], v[218:219]
	v_add_f64 v[12:13], v[12:13], -v[218:219]
	ds_read2_b64 v[218:221], v1 offset0:104 offset1:105
	s_waitcnt lgkmcnt(0)
	v_mul_f64 v[40:41], v[220:221], v[222:223]
	v_fma_f64 v[40:41], v[218:219], v[38:39], -v[40:41]
	v_mul_f64 v[218:219], v[218:219], v[222:223]
	v_add_f64 v[6:7], v[6:7], -v[40:41]
	v_fma_f64 v[218:219], v[220:221], v[38:39], v[218:219]
	v_add_f64 v[8:9], v[8:9], -v[218:219]
	ds_read2_b64 v[218:221], v1 offset0:106 offset1:107
	s_waitcnt lgkmcnt(0)
	v_mul_f64 v[40:41], v[220:221], v[222:223]
	v_fma_f64 v[40:41], v[218:219], v[38:39], -v[40:41]
	v_mul_f64 v[218:219], v[218:219], v[222:223]
	v_add_f64 v[2:3], v[2:3], -v[40:41]
	v_fma_f64 v[218:219], v[220:221], v[38:39], v[218:219]
	v_mov_b32_e32 v40, v222
	v_mov_b32_e32 v41, v223
	v_add_f64 v[4:5], v[4:5], -v[218:219]
.LBB106_944:
	s_or_b32 exec_lo, exec_lo, s0
	v_lshl_add_u32 v218, v232, 4, v1
	s_barrier
	buffer_gl0_inv
	v_mov_b32_e32 v226, 45
	ds_write2_b64 v218, v[34:35], v[36:37] offset1:1
	s_waitcnt lgkmcnt(0)
	s_barrier
	buffer_gl0_inv
	ds_read2_b64 v[218:221], v1 offset0:90 offset1:91
	s_cmp_lt_i32 s8, 47
	s_cbranch_scc1 .LBB106_947
; %bb.945:
	v_add3_u32 v227, v228, 0, 0x2e0
	v_mov_b32_e32 v226, 45
	s_mov_b32 s1, 46
	s_inst_prefetch 0x1
	.p2align	6
.LBB106_946:                            ; =>This Inner Loop Header: Depth=1
	s_waitcnt lgkmcnt(0)
	v_cmp_gt_f64_e32 vcc_lo, 0, v[220:221]
	v_cmp_gt_f64_e64 s0, 0, v[218:219]
	ds_read2_b64 v[233:236], v227 offset1:1
	v_xor_b32_e32 v223, 0x80000000, v219
	v_xor_b32_e32 v225, 0x80000000, v221
	v_mov_b32_e32 v222, v218
	v_mov_b32_e32 v224, v220
	v_add_nc_u32_e32 v227, 16, v227
	s_waitcnt lgkmcnt(0)
	v_xor_b32_e32 v238, 0x80000000, v236
	v_cndmask_b32_e64 v223, v219, v223, s0
	v_cndmask_b32_e32 v225, v221, v225, vcc_lo
	v_cmp_gt_f64_e32 vcc_lo, 0, v[235:236]
	v_cmp_gt_f64_e64 s0, 0, v[233:234]
	v_mov_b32_e32 v237, v235
	v_add_f64 v[222:223], v[222:223], v[224:225]
	v_xor_b32_e32 v225, 0x80000000, v234
	v_mov_b32_e32 v224, v233
	v_cndmask_b32_e32 v238, v236, v238, vcc_lo
	v_cndmask_b32_e64 v225, v234, v225, s0
	v_add_f64 v[224:225], v[224:225], v[237:238]
	v_cmp_lt_f64_e32 vcc_lo, v[222:223], v[224:225]
	v_cndmask_b32_e32 v219, v219, v234, vcc_lo
	v_cndmask_b32_e32 v218, v218, v233, vcc_lo
	;; [unrolled: 1-line block ×4, first 2 shown]
	v_cndmask_b32_e64 v226, v226, s1, vcc_lo
	s_add_i32 s1, s1, 1
	s_cmp_lg_u32 s8, s1
	s_cbranch_scc1 .LBB106_946
.LBB106_947:
	s_inst_prefetch 0x2
	s_waitcnt lgkmcnt(0)
	v_cmp_eq_f64_e32 vcc_lo, 0, v[218:219]
	v_cmp_eq_f64_e64 s0, 0, v[220:221]
	s_and_b32 s0, vcc_lo, s0
	s_and_saveexec_b32 s1, s0
	s_xor_b32 s0, exec_lo, s1
; %bb.948:
	v_cmp_ne_u32_e32 vcc_lo, 0, v231
	v_cndmask_b32_e32 v231, 46, v231, vcc_lo
; %bb.949:
	s_andn2_saveexec_b32 s0, s0
	s_cbranch_execz .LBB106_955
; %bb.950:
	v_cmp_ngt_f64_e64 s1, |v[218:219]|, |v[220:221]|
	s_and_saveexec_b32 s7, s1
	s_xor_b32 s1, exec_lo, s7
	s_cbranch_execz .LBB106_952
; %bb.951:
	v_div_scale_f64 v[222:223], null, v[220:221], v[220:221], v[218:219]
	v_div_scale_f64 v[235:236], vcc_lo, v[218:219], v[220:221], v[218:219]
	v_rcp_f64_e32 v[224:225], v[222:223]
	v_fma_f64 v[233:234], -v[222:223], v[224:225], 1.0
	v_fma_f64 v[224:225], v[224:225], v[233:234], v[224:225]
	v_fma_f64 v[233:234], -v[222:223], v[224:225], 1.0
	v_fma_f64 v[224:225], v[224:225], v[233:234], v[224:225]
	v_mul_f64 v[233:234], v[235:236], v[224:225]
	v_fma_f64 v[222:223], -v[222:223], v[233:234], v[235:236]
	v_div_fmas_f64 v[222:223], v[222:223], v[224:225], v[233:234]
	v_div_fixup_f64 v[222:223], v[222:223], v[220:221], v[218:219]
	v_fma_f64 v[218:219], v[218:219], v[222:223], v[220:221]
	v_div_scale_f64 v[220:221], null, v[218:219], v[218:219], 1.0
	v_rcp_f64_e32 v[224:225], v[220:221]
	v_fma_f64 v[233:234], -v[220:221], v[224:225], 1.0
	v_fma_f64 v[224:225], v[224:225], v[233:234], v[224:225]
	v_fma_f64 v[233:234], -v[220:221], v[224:225], 1.0
	v_fma_f64 v[224:225], v[224:225], v[233:234], v[224:225]
	v_div_scale_f64 v[233:234], vcc_lo, 1.0, v[218:219], 1.0
	v_mul_f64 v[235:236], v[233:234], v[224:225]
	v_fma_f64 v[220:221], -v[220:221], v[235:236], v[233:234]
	v_div_fmas_f64 v[220:221], v[220:221], v[224:225], v[235:236]
	v_div_fixup_f64 v[220:221], v[220:221], v[218:219], 1.0
	v_mul_f64 v[218:219], v[222:223], v[220:221]
	v_xor_b32_e32 v221, 0x80000000, v221
.LBB106_952:
	s_andn2_saveexec_b32 s1, s1
	s_cbranch_execz .LBB106_954
; %bb.953:
	v_div_scale_f64 v[222:223], null, v[218:219], v[218:219], v[220:221]
	v_div_scale_f64 v[235:236], vcc_lo, v[220:221], v[218:219], v[220:221]
	v_rcp_f64_e32 v[224:225], v[222:223]
	v_fma_f64 v[233:234], -v[222:223], v[224:225], 1.0
	v_fma_f64 v[224:225], v[224:225], v[233:234], v[224:225]
	v_fma_f64 v[233:234], -v[222:223], v[224:225], 1.0
	v_fma_f64 v[224:225], v[224:225], v[233:234], v[224:225]
	v_mul_f64 v[233:234], v[235:236], v[224:225]
	v_fma_f64 v[222:223], -v[222:223], v[233:234], v[235:236]
	v_div_fmas_f64 v[222:223], v[222:223], v[224:225], v[233:234]
	v_div_fixup_f64 v[222:223], v[222:223], v[218:219], v[220:221]
	v_fma_f64 v[218:219], v[220:221], v[222:223], v[218:219]
	v_div_scale_f64 v[220:221], null, v[218:219], v[218:219], 1.0
	v_rcp_f64_e32 v[224:225], v[220:221]
	v_fma_f64 v[233:234], -v[220:221], v[224:225], 1.0
	v_fma_f64 v[224:225], v[224:225], v[233:234], v[224:225]
	v_fma_f64 v[233:234], -v[220:221], v[224:225], 1.0
	v_fma_f64 v[224:225], v[224:225], v[233:234], v[224:225]
	v_div_scale_f64 v[233:234], vcc_lo, 1.0, v[218:219], 1.0
	v_mul_f64 v[235:236], v[233:234], v[224:225]
	v_fma_f64 v[220:221], -v[220:221], v[235:236], v[233:234]
	v_div_fmas_f64 v[220:221], v[220:221], v[224:225], v[235:236]
	v_div_fixup_f64 v[218:219], v[220:221], v[218:219], 1.0
	v_mul_f64 v[220:221], v[222:223], -v[218:219]
.LBB106_954:
	s_or_b32 exec_lo, exec_lo, s1
.LBB106_955:
	s_or_b32 exec_lo, exec_lo, s0
	s_mov_b32 s0, exec_lo
	v_cmpx_ne_u32_e64 v232, v226
	s_xor_b32 s0, exec_lo, s0
	s_cbranch_execz .LBB106_961
; %bb.956:
	s_mov_b32 s1, exec_lo
	v_cmpx_eq_u32_e32 45, v232
	s_cbranch_execz .LBB106_960
; %bb.957:
	v_cmp_ne_u32_e32 vcc_lo, 45, v226
	s_xor_b32 s7, s16, -1
	s_and_b32 s9, s7, vcc_lo
	s_and_saveexec_b32 s7, s9
	s_cbranch_execz .LBB106_959
; %bb.958:
	s_clause 0x1
	buffer_load_dword v214, off, s[20:23], 0
	buffer_load_dword v215, off, s[20:23], 0 offset:4
	v_ashrrev_i32_e32 v227, 31, v226
	v_lshlrev_b64 v[222:223], 2, v[226:227]
	s_waitcnt vmcnt(1)
	v_add_co_u32 v222, vcc_lo, v214, v222
	s_waitcnt vmcnt(0)
	v_add_co_ci_u32_e64 v223, null, v215, v223, vcc_lo
	s_clause 0x1
	global_load_dword v0, v[222:223], off
	global_load_dword v224, v[214:215], off offset:180
	s_waitcnt vmcnt(1)
	global_store_dword v[214:215], v0, off offset:180
	s_waitcnt vmcnt(0)
	global_store_dword v[222:223], v224, off
.LBB106_959:
	s_or_b32 exec_lo, exec_lo, s7
	v_mov_b32_e32 v232, v226
	v_mov_b32_e32 v0, v226
.LBB106_960:
	s_or_b32 exec_lo, exec_lo, s1
.LBB106_961:
	s_andn2_saveexec_b32 s0, s0
	s_cbranch_execz .LBB106_963
; %bb.962:
	v_mov_b32_e32 v232, 45
	ds_write2_b64 v1, v[30:31], v[32:33] offset0:92 offset1:93
	ds_write2_b64 v1, v[26:27], v[28:29] offset0:94 offset1:95
	;; [unrolled: 1-line block ×8, first 2 shown]
.LBB106_963:
	s_or_b32 exec_lo, exec_lo, s0
	s_mov_b32 s0, exec_lo
	s_waitcnt lgkmcnt(0)
	s_waitcnt_vscnt null, 0x0
	s_barrier
	buffer_gl0_inv
	v_cmpx_lt_i32_e32 45, v232
	s_cbranch_execz .LBB106_965
; %bb.964:
	v_mul_f64 v[222:223], v[218:219], v[36:37]
	v_mul_f64 v[36:37], v[220:221], v[36:37]
	v_fma_f64 v[222:223], v[220:221], v[34:35], v[222:223]
	v_fma_f64 v[34:35], v[218:219], v[34:35], -v[36:37]
	ds_read2_b64 v[218:221], v1 offset0:92 offset1:93
	s_waitcnt lgkmcnt(0)
	v_mul_f64 v[36:37], v[220:221], v[222:223]
	v_fma_f64 v[36:37], v[218:219], v[34:35], -v[36:37]
	v_mul_f64 v[218:219], v[218:219], v[222:223]
	v_add_f64 v[30:31], v[30:31], -v[36:37]
	v_fma_f64 v[218:219], v[220:221], v[34:35], v[218:219]
	v_add_f64 v[32:33], v[32:33], -v[218:219]
	ds_read2_b64 v[218:221], v1 offset0:94 offset1:95
	s_waitcnt lgkmcnt(0)
	v_mul_f64 v[36:37], v[220:221], v[222:223]
	v_fma_f64 v[36:37], v[218:219], v[34:35], -v[36:37]
	v_mul_f64 v[218:219], v[218:219], v[222:223]
	v_add_f64 v[26:27], v[26:27], -v[36:37]
	v_fma_f64 v[218:219], v[220:221], v[34:35], v[218:219]
	v_add_f64 v[28:29], v[28:29], -v[218:219]
	;; [unrolled: 8-line block ×7, first 2 shown]
	ds_read2_b64 v[218:221], v1 offset0:106 offset1:107
	s_waitcnt lgkmcnt(0)
	v_mul_f64 v[36:37], v[220:221], v[222:223]
	v_fma_f64 v[36:37], v[218:219], v[34:35], -v[36:37]
	v_mul_f64 v[218:219], v[218:219], v[222:223]
	v_add_f64 v[2:3], v[2:3], -v[36:37]
	v_fma_f64 v[218:219], v[220:221], v[34:35], v[218:219]
	v_mov_b32_e32 v36, v222
	v_mov_b32_e32 v37, v223
	v_add_f64 v[4:5], v[4:5], -v[218:219]
.LBB106_965:
	s_or_b32 exec_lo, exec_lo, s0
	v_lshl_add_u32 v218, v232, 4, v1
	s_barrier
	buffer_gl0_inv
	v_mov_b32_e32 v226, 46
	ds_write2_b64 v218, v[30:31], v[32:33] offset1:1
	s_waitcnt lgkmcnt(0)
	s_barrier
	buffer_gl0_inv
	ds_read2_b64 v[218:221], v1 offset0:92 offset1:93
	s_cmp_lt_i32 s8, 48
	s_cbranch_scc1 .LBB106_968
; %bb.966:
	v_add3_u32 v227, v228, 0, 0x2f0
	v_mov_b32_e32 v226, 46
	s_mov_b32 s1, 47
	s_inst_prefetch 0x1
	.p2align	6
.LBB106_967:                            ; =>This Inner Loop Header: Depth=1
	s_waitcnt lgkmcnt(0)
	v_cmp_gt_f64_e32 vcc_lo, 0, v[220:221]
	v_cmp_gt_f64_e64 s0, 0, v[218:219]
	ds_read2_b64 v[233:236], v227 offset1:1
	v_xor_b32_e32 v223, 0x80000000, v219
	v_xor_b32_e32 v225, 0x80000000, v221
	v_mov_b32_e32 v222, v218
	v_mov_b32_e32 v224, v220
	v_add_nc_u32_e32 v227, 16, v227
	s_waitcnt lgkmcnt(0)
	v_xor_b32_e32 v238, 0x80000000, v236
	v_cndmask_b32_e64 v223, v219, v223, s0
	v_cndmask_b32_e32 v225, v221, v225, vcc_lo
	v_cmp_gt_f64_e32 vcc_lo, 0, v[235:236]
	v_cmp_gt_f64_e64 s0, 0, v[233:234]
	v_mov_b32_e32 v237, v235
	v_add_f64 v[222:223], v[222:223], v[224:225]
	v_xor_b32_e32 v225, 0x80000000, v234
	v_mov_b32_e32 v224, v233
	v_cndmask_b32_e32 v238, v236, v238, vcc_lo
	v_cndmask_b32_e64 v225, v234, v225, s0
	v_add_f64 v[224:225], v[224:225], v[237:238]
	v_cmp_lt_f64_e32 vcc_lo, v[222:223], v[224:225]
	v_cndmask_b32_e32 v219, v219, v234, vcc_lo
	v_cndmask_b32_e32 v218, v218, v233, vcc_lo
	;; [unrolled: 1-line block ×4, first 2 shown]
	v_cndmask_b32_e64 v226, v226, s1, vcc_lo
	s_add_i32 s1, s1, 1
	s_cmp_lg_u32 s8, s1
	s_cbranch_scc1 .LBB106_967
.LBB106_968:
	s_inst_prefetch 0x2
	s_waitcnt lgkmcnt(0)
	v_cmp_eq_f64_e32 vcc_lo, 0, v[218:219]
	v_cmp_eq_f64_e64 s0, 0, v[220:221]
	s_and_b32 s0, vcc_lo, s0
	s_and_saveexec_b32 s1, s0
	s_xor_b32 s0, exec_lo, s1
; %bb.969:
	v_cmp_ne_u32_e32 vcc_lo, 0, v231
	v_cndmask_b32_e32 v231, 47, v231, vcc_lo
; %bb.970:
	s_andn2_saveexec_b32 s0, s0
	s_cbranch_execz .LBB106_976
; %bb.971:
	v_cmp_ngt_f64_e64 s1, |v[218:219]|, |v[220:221]|
	s_and_saveexec_b32 s7, s1
	s_xor_b32 s1, exec_lo, s7
	s_cbranch_execz .LBB106_973
; %bb.972:
	v_div_scale_f64 v[222:223], null, v[220:221], v[220:221], v[218:219]
	v_div_scale_f64 v[235:236], vcc_lo, v[218:219], v[220:221], v[218:219]
	v_rcp_f64_e32 v[224:225], v[222:223]
	v_fma_f64 v[233:234], -v[222:223], v[224:225], 1.0
	v_fma_f64 v[224:225], v[224:225], v[233:234], v[224:225]
	v_fma_f64 v[233:234], -v[222:223], v[224:225], 1.0
	v_fma_f64 v[224:225], v[224:225], v[233:234], v[224:225]
	v_mul_f64 v[233:234], v[235:236], v[224:225]
	v_fma_f64 v[222:223], -v[222:223], v[233:234], v[235:236]
	v_div_fmas_f64 v[222:223], v[222:223], v[224:225], v[233:234]
	v_div_fixup_f64 v[222:223], v[222:223], v[220:221], v[218:219]
	v_fma_f64 v[218:219], v[218:219], v[222:223], v[220:221]
	v_div_scale_f64 v[220:221], null, v[218:219], v[218:219], 1.0
	v_rcp_f64_e32 v[224:225], v[220:221]
	v_fma_f64 v[233:234], -v[220:221], v[224:225], 1.0
	v_fma_f64 v[224:225], v[224:225], v[233:234], v[224:225]
	v_fma_f64 v[233:234], -v[220:221], v[224:225], 1.0
	v_fma_f64 v[224:225], v[224:225], v[233:234], v[224:225]
	v_div_scale_f64 v[233:234], vcc_lo, 1.0, v[218:219], 1.0
	v_mul_f64 v[235:236], v[233:234], v[224:225]
	v_fma_f64 v[220:221], -v[220:221], v[235:236], v[233:234]
	v_div_fmas_f64 v[220:221], v[220:221], v[224:225], v[235:236]
	v_div_fixup_f64 v[220:221], v[220:221], v[218:219], 1.0
	v_mul_f64 v[218:219], v[222:223], v[220:221]
	v_xor_b32_e32 v221, 0x80000000, v221
.LBB106_973:
	s_andn2_saveexec_b32 s1, s1
	s_cbranch_execz .LBB106_975
; %bb.974:
	v_div_scale_f64 v[222:223], null, v[218:219], v[218:219], v[220:221]
	v_div_scale_f64 v[235:236], vcc_lo, v[220:221], v[218:219], v[220:221]
	v_rcp_f64_e32 v[224:225], v[222:223]
	v_fma_f64 v[233:234], -v[222:223], v[224:225], 1.0
	v_fma_f64 v[224:225], v[224:225], v[233:234], v[224:225]
	v_fma_f64 v[233:234], -v[222:223], v[224:225], 1.0
	v_fma_f64 v[224:225], v[224:225], v[233:234], v[224:225]
	v_mul_f64 v[233:234], v[235:236], v[224:225]
	v_fma_f64 v[222:223], -v[222:223], v[233:234], v[235:236]
	v_div_fmas_f64 v[222:223], v[222:223], v[224:225], v[233:234]
	v_div_fixup_f64 v[222:223], v[222:223], v[218:219], v[220:221]
	v_fma_f64 v[218:219], v[220:221], v[222:223], v[218:219]
	v_div_scale_f64 v[220:221], null, v[218:219], v[218:219], 1.0
	v_rcp_f64_e32 v[224:225], v[220:221]
	v_fma_f64 v[233:234], -v[220:221], v[224:225], 1.0
	v_fma_f64 v[224:225], v[224:225], v[233:234], v[224:225]
	v_fma_f64 v[233:234], -v[220:221], v[224:225], 1.0
	v_fma_f64 v[224:225], v[224:225], v[233:234], v[224:225]
	v_div_scale_f64 v[233:234], vcc_lo, 1.0, v[218:219], 1.0
	v_mul_f64 v[235:236], v[233:234], v[224:225]
	v_fma_f64 v[220:221], -v[220:221], v[235:236], v[233:234]
	v_div_fmas_f64 v[220:221], v[220:221], v[224:225], v[235:236]
	v_div_fixup_f64 v[218:219], v[220:221], v[218:219], 1.0
	v_mul_f64 v[220:221], v[222:223], -v[218:219]
.LBB106_975:
	s_or_b32 exec_lo, exec_lo, s1
.LBB106_976:
	s_or_b32 exec_lo, exec_lo, s0
	s_mov_b32 s0, exec_lo
	v_cmpx_ne_u32_e64 v232, v226
	s_xor_b32 s0, exec_lo, s0
	s_cbranch_execz .LBB106_982
; %bb.977:
	s_mov_b32 s1, exec_lo
	v_cmpx_eq_u32_e32 46, v232
	s_cbranch_execz .LBB106_981
; %bb.978:
	v_cmp_ne_u32_e32 vcc_lo, 46, v226
	s_xor_b32 s7, s16, -1
	s_and_b32 s9, s7, vcc_lo
	s_and_saveexec_b32 s7, s9
	s_cbranch_execz .LBB106_980
; %bb.979:
	s_clause 0x1
	buffer_load_dword v214, off, s[20:23], 0
	buffer_load_dword v215, off, s[20:23], 0 offset:4
	v_ashrrev_i32_e32 v227, 31, v226
	v_lshlrev_b64 v[222:223], 2, v[226:227]
	s_waitcnt vmcnt(1)
	v_add_co_u32 v222, vcc_lo, v214, v222
	s_waitcnt vmcnt(0)
	v_add_co_ci_u32_e64 v223, null, v215, v223, vcc_lo
	s_clause 0x1
	global_load_dword v0, v[222:223], off
	global_load_dword v224, v[214:215], off offset:184
	s_waitcnt vmcnt(1)
	global_store_dword v[214:215], v0, off offset:184
	s_waitcnt vmcnt(0)
	global_store_dword v[222:223], v224, off
.LBB106_980:
	s_or_b32 exec_lo, exec_lo, s7
	v_mov_b32_e32 v232, v226
	v_mov_b32_e32 v0, v226
.LBB106_981:
	s_or_b32 exec_lo, exec_lo, s1
.LBB106_982:
	s_andn2_saveexec_b32 s0, s0
	s_cbranch_execz .LBB106_984
; %bb.983:
	v_mov_b32_e32 v232, 46
	ds_write2_b64 v1, v[26:27], v[28:29] offset0:94 offset1:95
	ds_write2_b64 v1, v[22:23], v[24:25] offset0:96 offset1:97
	;; [unrolled: 1-line block ×7, first 2 shown]
.LBB106_984:
	s_or_b32 exec_lo, exec_lo, s0
	s_mov_b32 s0, exec_lo
	s_waitcnt lgkmcnt(0)
	s_waitcnt_vscnt null, 0x0
	s_barrier
	buffer_gl0_inv
	v_cmpx_lt_i32_e32 46, v232
	s_cbranch_execz .LBB106_986
; %bb.985:
	v_mul_f64 v[222:223], v[218:219], v[32:33]
	v_mul_f64 v[32:33], v[220:221], v[32:33]
	v_fma_f64 v[222:223], v[220:221], v[30:31], v[222:223]
	v_fma_f64 v[30:31], v[218:219], v[30:31], -v[32:33]
	ds_read2_b64 v[218:221], v1 offset0:94 offset1:95
	s_waitcnt lgkmcnt(0)
	v_mul_f64 v[32:33], v[220:221], v[222:223]
	v_fma_f64 v[32:33], v[218:219], v[30:31], -v[32:33]
	v_mul_f64 v[218:219], v[218:219], v[222:223]
	v_add_f64 v[26:27], v[26:27], -v[32:33]
	v_fma_f64 v[218:219], v[220:221], v[30:31], v[218:219]
	v_add_f64 v[28:29], v[28:29], -v[218:219]
	ds_read2_b64 v[218:221], v1 offset0:96 offset1:97
	s_waitcnt lgkmcnt(0)
	v_mul_f64 v[32:33], v[220:221], v[222:223]
	v_fma_f64 v[32:33], v[218:219], v[30:31], -v[32:33]
	v_mul_f64 v[218:219], v[218:219], v[222:223]
	v_add_f64 v[22:23], v[22:23], -v[32:33]
	v_fma_f64 v[218:219], v[220:221], v[30:31], v[218:219]
	v_add_f64 v[24:25], v[24:25], -v[218:219]
	;; [unrolled: 8-line block ×6, first 2 shown]
	ds_read2_b64 v[218:221], v1 offset0:106 offset1:107
	s_waitcnt lgkmcnt(0)
	v_mul_f64 v[32:33], v[220:221], v[222:223]
	v_fma_f64 v[32:33], v[218:219], v[30:31], -v[32:33]
	v_mul_f64 v[218:219], v[218:219], v[222:223]
	v_add_f64 v[2:3], v[2:3], -v[32:33]
	v_fma_f64 v[218:219], v[220:221], v[30:31], v[218:219]
	v_mov_b32_e32 v32, v222
	v_mov_b32_e32 v33, v223
	v_add_f64 v[4:5], v[4:5], -v[218:219]
.LBB106_986:
	s_or_b32 exec_lo, exec_lo, s0
	v_lshl_add_u32 v218, v232, 4, v1
	s_barrier
	buffer_gl0_inv
	v_mov_b32_e32 v226, 47
	ds_write2_b64 v218, v[26:27], v[28:29] offset1:1
	s_waitcnt lgkmcnt(0)
	s_barrier
	buffer_gl0_inv
	ds_read2_b64 v[218:221], v1 offset0:94 offset1:95
	s_cmp_lt_i32 s8, 49
	s_cbranch_scc1 .LBB106_989
; %bb.987:
	v_add3_u32 v227, v228, 0, 0x300
	v_mov_b32_e32 v226, 47
	s_mov_b32 s1, 48
	s_inst_prefetch 0x1
	.p2align	6
.LBB106_988:                            ; =>This Inner Loop Header: Depth=1
	s_waitcnt lgkmcnt(0)
	v_cmp_gt_f64_e32 vcc_lo, 0, v[220:221]
	v_cmp_gt_f64_e64 s0, 0, v[218:219]
	ds_read2_b64 v[233:236], v227 offset1:1
	v_xor_b32_e32 v223, 0x80000000, v219
	v_xor_b32_e32 v225, 0x80000000, v221
	v_mov_b32_e32 v222, v218
	v_mov_b32_e32 v224, v220
	v_add_nc_u32_e32 v227, 16, v227
	s_waitcnt lgkmcnt(0)
	v_xor_b32_e32 v238, 0x80000000, v236
	v_cndmask_b32_e64 v223, v219, v223, s0
	v_cndmask_b32_e32 v225, v221, v225, vcc_lo
	v_cmp_gt_f64_e32 vcc_lo, 0, v[235:236]
	v_cmp_gt_f64_e64 s0, 0, v[233:234]
	v_mov_b32_e32 v237, v235
	v_add_f64 v[222:223], v[222:223], v[224:225]
	v_xor_b32_e32 v225, 0x80000000, v234
	v_mov_b32_e32 v224, v233
	v_cndmask_b32_e32 v238, v236, v238, vcc_lo
	v_cndmask_b32_e64 v225, v234, v225, s0
	v_add_f64 v[224:225], v[224:225], v[237:238]
	v_cmp_lt_f64_e32 vcc_lo, v[222:223], v[224:225]
	v_cndmask_b32_e32 v219, v219, v234, vcc_lo
	v_cndmask_b32_e32 v218, v218, v233, vcc_lo
	;; [unrolled: 1-line block ×4, first 2 shown]
	v_cndmask_b32_e64 v226, v226, s1, vcc_lo
	s_add_i32 s1, s1, 1
	s_cmp_lg_u32 s8, s1
	s_cbranch_scc1 .LBB106_988
.LBB106_989:
	s_inst_prefetch 0x2
	s_waitcnt lgkmcnt(0)
	v_cmp_eq_f64_e32 vcc_lo, 0, v[218:219]
	v_cmp_eq_f64_e64 s0, 0, v[220:221]
	s_and_b32 s0, vcc_lo, s0
	s_and_saveexec_b32 s1, s0
	s_xor_b32 s0, exec_lo, s1
; %bb.990:
	v_cmp_ne_u32_e32 vcc_lo, 0, v231
	v_cndmask_b32_e32 v231, 48, v231, vcc_lo
; %bb.991:
	s_andn2_saveexec_b32 s0, s0
	s_cbranch_execz .LBB106_997
; %bb.992:
	v_cmp_ngt_f64_e64 s1, |v[218:219]|, |v[220:221]|
	s_and_saveexec_b32 s7, s1
	s_xor_b32 s1, exec_lo, s7
	s_cbranch_execz .LBB106_994
; %bb.993:
	v_div_scale_f64 v[222:223], null, v[220:221], v[220:221], v[218:219]
	v_div_scale_f64 v[235:236], vcc_lo, v[218:219], v[220:221], v[218:219]
	v_rcp_f64_e32 v[224:225], v[222:223]
	v_fma_f64 v[233:234], -v[222:223], v[224:225], 1.0
	v_fma_f64 v[224:225], v[224:225], v[233:234], v[224:225]
	v_fma_f64 v[233:234], -v[222:223], v[224:225], 1.0
	v_fma_f64 v[224:225], v[224:225], v[233:234], v[224:225]
	v_mul_f64 v[233:234], v[235:236], v[224:225]
	v_fma_f64 v[222:223], -v[222:223], v[233:234], v[235:236]
	v_div_fmas_f64 v[222:223], v[222:223], v[224:225], v[233:234]
	v_div_fixup_f64 v[222:223], v[222:223], v[220:221], v[218:219]
	v_fma_f64 v[218:219], v[218:219], v[222:223], v[220:221]
	v_div_scale_f64 v[220:221], null, v[218:219], v[218:219], 1.0
	v_rcp_f64_e32 v[224:225], v[220:221]
	v_fma_f64 v[233:234], -v[220:221], v[224:225], 1.0
	v_fma_f64 v[224:225], v[224:225], v[233:234], v[224:225]
	v_fma_f64 v[233:234], -v[220:221], v[224:225], 1.0
	v_fma_f64 v[224:225], v[224:225], v[233:234], v[224:225]
	v_div_scale_f64 v[233:234], vcc_lo, 1.0, v[218:219], 1.0
	v_mul_f64 v[235:236], v[233:234], v[224:225]
	v_fma_f64 v[220:221], -v[220:221], v[235:236], v[233:234]
	v_div_fmas_f64 v[220:221], v[220:221], v[224:225], v[235:236]
	v_div_fixup_f64 v[220:221], v[220:221], v[218:219], 1.0
	v_mul_f64 v[218:219], v[222:223], v[220:221]
	v_xor_b32_e32 v221, 0x80000000, v221
.LBB106_994:
	s_andn2_saveexec_b32 s1, s1
	s_cbranch_execz .LBB106_996
; %bb.995:
	v_div_scale_f64 v[222:223], null, v[218:219], v[218:219], v[220:221]
	v_div_scale_f64 v[235:236], vcc_lo, v[220:221], v[218:219], v[220:221]
	v_rcp_f64_e32 v[224:225], v[222:223]
	v_fma_f64 v[233:234], -v[222:223], v[224:225], 1.0
	v_fma_f64 v[224:225], v[224:225], v[233:234], v[224:225]
	v_fma_f64 v[233:234], -v[222:223], v[224:225], 1.0
	v_fma_f64 v[224:225], v[224:225], v[233:234], v[224:225]
	v_mul_f64 v[233:234], v[235:236], v[224:225]
	v_fma_f64 v[222:223], -v[222:223], v[233:234], v[235:236]
	v_div_fmas_f64 v[222:223], v[222:223], v[224:225], v[233:234]
	v_div_fixup_f64 v[222:223], v[222:223], v[218:219], v[220:221]
	v_fma_f64 v[218:219], v[220:221], v[222:223], v[218:219]
	v_div_scale_f64 v[220:221], null, v[218:219], v[218:219], 1.0
	v_rcp_f64_e32 v[224:225], v[220:221]
	v_fma_f64 v[233:234], -v[220:221], v[224:225], 1.0
	v_fma_f64 v[224:225], v[224:225], v[233:234], v[224:225]
	v_fma_f64 v[233:234], -v[220:221], v[224:225], 1.0
	v_fma_f64 v[224:225], v[224:225], v[233:234], v[224:225]
	v_div_scale_f64 v[233:234], vcc_lo, 1.0, v[218:219], 1.0
	v_mul_f64 v[235:236], v[233:234], v[224:225]
	v_fma_f64 v[220:221], -v[220:221], v[235:236], v[233:234]
	v_div_fmas_f64 v[220:221], v[220:221], v[224:225], v[235:236]
	v_div_fixup_f64 v[218:219], v[220:221], v[218:219], 1.0
	v_mul_f64 v[220:221], v[222:223], -v[218:219]
.LBB106_996:
	s_or_b32 exec_lo, exec_lo, s1
.LBB106_997:
	s_or_b32 exec_lo, exec_lo, s0
	s_mov_b32 s0, exec_lo
	v_cmpx_ne_u32_e64 v232, v226
	s_xor_b32 s0, exec_lo, s0
	s_cbranch_execz .LBB106_1003
; %bb.998:
	s_mov_b32 s1, exec_lo
	v_cmpx_eq_u32_e32 47, v232
	s_cbranch_execz .LBB106_1002
; %bb.999:
	v_cmp_ne_u32_e32 vcc_lo, 47, v226
	s_xor_b32 s7, s16, -1
	s_and_b32 s9, s7, vcc_lo
	s_and_saveexec_b32 s7, s9
	s_cbranch_execz .LBB106_1001
; %bb.1000:
	s_clause 0x1
	buffer_load_dword v214, off, s[20:23], 0
	buffer_load_dword v215, off, s[20:23], 0 offset:4
	v_ashrrev_i32_e32 v227, 31, v226
	v_lshlrev_b64 v[222:223], 2, v[226:227]
	s_waitcnt vmcnt(1)
	v_add_co_u32 v222, vcc_lo, v214, v222
	s_waitcnt vmcnt(0)
	v_add_co_ci_u32_e64 v223, null, v215, v223, vcc_lo
	s_clause 0x1
	global_load_dword v0, v[222:223], off
	global_load_dword v224, v[214:215], off offset:188
	s_waitcnt vmcnt(1)
	global_store_dword v[214:215], v0, off offset:188
	s_waitcnt vmcnt(0)
	global_store_dword v[222:223], v224, off
.LBB106_1001:
	s_or_b32 exec_lo, exec_lo, s7
	v_mov_b32_e32 v232, v226
	v_mov_b32_e32 v0, v226
.LBB106_1002:
	s_or_b32 exec_lo, exec_lo, s1
.LBB106_1003:
	s_andn2_saveexec_b32 s0, s0
	s_cbranch_execz .LBB106_1005
; %bb.1004:
	v_mov_b32_e32 v232, 47
	ds_write2_b64 v1, v[22:23], v[24:25] offset0:96 offset1:97
	ds_write2_b64 v1, v[18:19], v[20:21] offset0:98 offset1:99
	;; [unrolled: 1-line block ×6, first 2 shown]
.LBB106_1005:
	s_or_b32 exec_lo, exec_lo, s0
	s_mov_b32 s0, exec_lo
	s_waitcnt lgkmcnt(0)
	s_waitcnt_vscnt null, 0x0
	s_barrier
	buffer_gl0_inv
	v_cmpx_lt_i32_e32 47, v232
	s_cbranch_execz .LBB106_1007
; %bb.1006:
	v_mul_f64 v[222:223], v[218:219], v[28:29]
	v_mul_f64 v[28:29], v[220:221], v[28:29]
	v_fma_f64 v[222:223], v[220:221], v[26:27], v[222:223]
	v_fma_f64 v[26:27], v[218:219], v[26:27], -v[28:29]
	ds_read2_b64 v[218:221], v1 offset0:96 offset1:97
	s_waitcnt lgkmcnt(0)
	v_mul_f64 v[28:29], v[220:221], v[222:223]
	v_fma_f64 v[28:29], v[218:219], v[26:27], -v[28:29]
	v_mul_f64 v[218:219], v[218:219], v[222:223]
	v_add_f64 v[22:23], v[22:23], -v[28:29]
	v_fma_f64 v[218:219], v[220:221], v[26:27], v[218:219]
	v_add_f64 v[24:25], v[24:25], -v[218:219]
	ds_read2_b64 v[218:221], v1 offset0:98 offset1:99
	s_waitcnt lgkmcnt(0)
	v_mul_f64 v[28:29], v[220:221], v[222:223]
	v_fma_f64 v[28:29], v[218:219], v[26:27], -v[28:29]
	v_mul_f64 v[218:219], v[218:219], v[222:223]
	v_add_f64 v[18:19], v[18:19], -v[28:29]
	v_fma_f64 v[218:219], v[220:221], v[26:27], v[218:219]
	v_add_f64 v[20:21], v[20:21], -v[218:219]
	;; [unrolled: 8-line block ×5, first 2 shown]
	ds_read2_b64 v[218:221], v1 offset0:106 offset1:107
	s_waitcnt lgkmcnt(0)
	v_mul_f64 v[28:29], v[220:221], v[222:223]
	v_fma_f64 v[28:29], v[218:219], v[26:27], -v[28:29]
	v_mul_f64 v[218:219], v[218:219], v[222:223]
	v_add_f64 v[2:3], v[2:3], -v[28:29]
	v_fma_f64 v[218:219], v[220:221], v[26:27], v[218:219]
	v_mov_b32_e32 v28, v222
	v_mov_b32_e32 v29, v223
	v_add_f64 v[4:5], v[4:5], -v[218:219]
.LBB106_1007:
	s_or_b32 exec_lo, exec_lo, s0
	v_lshl_add_u32 v218, v232, 4, v1
	s_barrier
	buffer_gl0_inv
	v_mov_b32_e32 v226, 48
	ds_write2_b64 v218, v[22:23], v[24:25] offset1:1
	s_waitcnt lgkmcnt(0)
	s_barrier
	buffer_gl0_inv
	ds_read2_b64 v[218:221], v1 offset0:96 offset1:97
	s_cmp_lt_i32 s8, 50
	s_cbranch_scc1 .LBB106_1010
; %bb.1008:
	v_add3_u32 v227, v228, 0, 0x310
	v_mov_b32_e32 v226, 48
	s_mov_b32 s1, 49
	s_inst_prefetch 0x1
	.p2align	6
.LBB106_1009:                           ; =>This Inner Loop Header: Depth=1
	s_waitcnt lgkmcnt(0)
	v_cmp_gt_f64_e32 vcc_lo, 0, v[220:221]
	v_cmp_gt_f64_e64 s0, 0, v[218:219]
	ds_read2_b64 v[233:236], v227 offset1:1
	v_xor_b32_e32 v223, 0x80000000, v219
	v_xor_b32_e32 v225, 0x80000000, v221
	v_mov_b32_e32 v222, v218
	v_mov_b32_e32 v224, v220
	v_add_nc_u32_e32 v227, 16, v227
	s_waitcnt lgkmcnt(0)
	v_xor_b32_e32 v238, 0x80000000, v236
	v_cndmask_b32_e64 v223, v219, v223, s0
	v_cndmask_b32_e32 v225, v221, v225, vcc_lo
	v_cmp_gt_f64_e32 vcc_lo, 0, v[235:236]
	v_cmp_gt_f64_e64 s0, 0, v[233:234]
	v_mov_b32_e32 v237, v235
	v_add_f64 v[222:223], v[222:223], v[224:225]
	v_xor_b32_e32 v225, 0x80000000, v234
	v_mov_b32_e32 v224, v233
	v_cndmask_b32_e32 v238, v236, v238, vcc_lo
	v_cndmask_b32_e64 v225, v234, v225, s0
	v_add_f64 v[224:225], v[224:225], v[237:238]
	v_cmp_lt_f64_e32 vcc_lo, v[222:223], v[224:225]
	v_cndmask_b32_e32 v219, v219, v234, vcc_lo
	v_cndmask_b32_e32 v218, v218, v233, vcc_lo
	;; [unrolled: 1-line block ×4, first 2 shown]
	v_cndmask_b32_e64 v226, v226, s1, vcc_lo
	s_add_i32 s1, s1, 1
	s_cmp_lg_u32 s8, s1
	s_cbranch_scc1 .LBB106_1009
.LBB106_1010:
	s_inst_prefetch 0x2
	s_waitcnt lgkmcnt(0)
	v_cmp_eq_f64_e32 vcc_lo, 0, v[218:219]
	v_cmp_eq_f64_e64 s0, 0, v[220:221]
	s_and_b32 s0, vcc_lo, s0
	s_and_saveexec_b32 s1, s0
	s_xor_b32 s0, exec_lo, s1
; %bb.1011:
	v_cmp_ne_u32_e32 vcc_lo, 0, v231
	v_cndmask_b32_e32 v231, 49, v231, vcc_lo
; %bb.1012:
	s_andn2_saveexec_b32 s0, s0
	s_cbranch_execz .LBB106_1018
; %bb.1013:
	v_cmp_ngt_f64_e64 s1, |v[218:219]|, |v[220:221]|
	s_and_saveexec_b32 s7, s1
	s_xor_b32 s1, exec_lo, s7
	s_cbranch_execz .LBB106_1015
; %bb.1014:
	v_div_scale_f64 v[222:223], null, v[220:221], v[220:221], v[218:219]
	v_div_scale_f64 v[235:236], vcc_lo, v[218:219], v[220:221], v[218:219]
	v_rcp_f64_e32 v[224:225], v[222:223]
	v_fma_f64 v[233:234], -v[222:223], v[224:225], 1.0
	v_fma_f64 v[224:225], v[224:225], v[233:234], v[224:225]
	v_fma_f64 v[233:234], -v[222:223], v[224:225], 1.0
	v_fma_f64 v[224:225], v[224:225], v[233:234], v[224:225]
	v_mul_f64 v[233:234], v[235:236], v[224:225]
	v_fma_f64 v[222:223], -v[222:223], v[233:234], v[235:236]
	v_div_fmas_f64 v[222:223], v[222:223], v[224:225], v[233:234]
	v_div_fixup_f64 v[222:223], v[222:223], v[220:221], v[218:219]
	v_fma_f64 v[218:219], v[218:219], v[222:223], v[220:221]
	v_div_scale_f64 v[220:221], null, v[218:219], v[218:219], 1.0
	v_rcp_f64_e32 v[224:225], v[220:221]
	v_fma_f64 v[233:234], -v[220:221], v[224:225], 1.0
	v_fma_f64 v[224:225], v[224:225], v[233:234], v[224:225]
	v_fma_f64 v[233:234], -v[220:221], v[224:225], 1.0
	v_fma_f64 v[224:225], v[224:225], v[233:234], v[224:225]
	v_div_scale_f64 v[233:234], vcc_lo, 1.0, v[218:219], 1.0
	v_mul_f64 v[235:236], v[233:234], v[224:225]
	v_fma_f64 v[220:221], -v[220:221], v[235:236], v[233:234]
	v_div_fmas_f64 v[220:221], v[220:221], v[224:225], v[235:236]
	v_div_fixup_f64 v[220:221], v[220:221], v[218:219], 1.0
	v_mul_f64 v[218:219], v[222:223], v[220:221]
	v_xor_b32_e32 v221, 0x80000000, v221
.LBB106_1015:
	s_andn2_saveexec_b32 s1, s1
	s_cbranch_execz .LBB106_1017
; %bb.1016:
	v_div_scale_f64 v[222:223], null, v[218:219], v[218:219], v[220:221]
	v_div_scale_f64 v[235:236], vcc_lo, v[220:221], v[218:219], v[220:221]
	v_rcp_f64_e32 v[224:225], v[222:223]
	v_fma_f64 v[233:234], -v[222:223], v[224:225], 1.0
	v_fma_f64 v[224:225], v[224:225], v[233:234], v[224:225]
	v_fma_f64 v[233:234], -v[222:223], v[224:225], 1.0
	v_fma_f64 v[224:225], v[224:225], v[233:234], v[224:225]
	v_mul_f64 v[233:234], v[235:236], v[224:225]
	v_fma_f64 v[222:223], -v[222:223], v[233:234], v[235:236]
	v_div_fmas_f64 v[222:223], v[222:223], v[224:225], v[233:234]
	v_div_fixup_f64 v[222:223], v[222:223], v[218:219], v[220:221]
	v_fma_f64 v[218:219], v[220:221], v[222:223], v[218:219]
	v_div_scale_f64 v[220:221], null, v[218:219], v[218:219], 1.0
	v_rcp_f64_e32 v[224:225], v[220:221]
	v_fma_f64 v[233:234], -v[220:221], v[224:225], 1.0
	v_fma_f64 v[224:225], v[224:225], v[233:234], v[224:225]
	v_fma_f64 v[233:234], -v[220:221], v[224:225], 1.0
	v_fma_f64 v[224:225], v[224:225], v[233:234], v[224:225]
	v_div_scale_f64 v[233:234], vcc_lo, 1.0, v[218:219], 1.0
	v_mul_f64 v[235:236], v[233:234], v[224:225]
	v_fma_f64 v[220:221], -v[220:221], v[235:236], v[233:234]
	v_div_fmas_f64 v[220:221], v[220:221], v[224:225], v[235:236]
	v_div_fixup_f64 v[218:219], v[220:221], v[218:219], 1.0
	v_mul_f64 v[220:221], v[222:223], -v[218:219]
.LBB106_1017:
	s_or_b32 exec_lo, exec_lo, s1
.LBB106_1018:
	s_or_b32 exec_lo, exec_lo, s0
	s_mov_b32 s0, exec_lo
	v_cmpx_ne_u32_e64 v232, v226
	s_xor_b32 s0, exec_lo, s0
	s_cbranch_execz .LBB106_1024
; %bb.1019:
	s_mov_b32 s1, exec_lo
	v_cmpx_eq_u32_e32 48, v232
	s_cbranch_execz .LBB106_1023
; %bb.1020:
	v_cmp_ne_u32_e32 vcc_lo, 48, v226
	s_xor_b32 s7, s16, -1
	s_and_b32 s9, s7, vcc_lo
	s_and_saveexec_b32 s7, s9
	s_cbranch_execz .LBB106_1022
; %bb.1021:
	s_clause 0x1
	buffer_load_dword v214, off, s[20:23], 0
	buffer_load_dword v215, off, s[20:23], 0 offset:4
	v_ashrrev_i32_e32 v227, 31, v226
	v_lshlrev_b64 v[222:223], 2, v[226:227]
	s_waitcnt vmcnt(1)
	v_add_co_u32 v222, vcc_lo, v214, v222
	s_waitcnt vmcnt(0)
	v_add_co_ci_u32_e64 v223, null, v215, v223, vcc_lo
	s_clause 0x1
	global_load_dword v0, v[222:223], off
	global_load_dword v224, v[214:215], off offset:192
	s_waitcnt vmcnt(1)
	global_store_dword v[214:215], v0, off offset:192
	s_waitcnt vmcnt(0)
	global_store_dword v[222:223], v224, off
.LBB106_1022:
	s_or_b32 exec_lo, exec_lo, s7
	v_mov_b32_e32 v232, v226
	v_mov_b32_e32 v0, v226
.LBB106_1023:
	s_or_b32 exec_lo, exec_lo, s1
.LBB106_1024:
	s_andn2_saveexec_b32 s0, s0
	s_cbranch_execz .LBB106_1026
; %bb.1025:
	v_mov_b32_e32 v232, 48
	ds_write2_b64 v1, v[18:19], v[20:21] offset0:98 offset1:99
	ds_write2_b64 v1, v[14:15], v[16:17] offset0:100 offset1:101
	ds_write2_b64 v1, v[10:11], v[12:13] offset0:102 offset1:103
	ds_write2_b64 v1, v[6:7], v[8:9] offset0:104 offset1:105
	ds_write2_b64 v1, v[2:3], v[4:5] offset0:106 offset1:107
.LBB106_1026:
	s_or_b32 exec_lo, exec_lo, s0
	s_mov_b32 s0, exec_lo
	s_waitcnt lgkmcnt(0)
	s_waitcnt_vscnt null, 0x0
	s_barrier
	buffer_gl0_inv
	v_cmpx_lt_i32_e32 48, v232
	s_cbranch_execz .LBB106_1028
; %bb.1027:
	v_mul_f64 v[222:223], v[218:219], v[24:25]
	v_mul_f64 v[24:25], v[220:221], v[24:25]
	v_fma_f64 v[222:223], v[220:221], v[22:23], v[222:223]
	v_fma_f64 v[22:23], v[218:219], v[22:23], -v[24:25]
	ds_read2_b64 v[218:221], v1 offset0:98 offset1:99
	s_waitcnt lgkmcnt(0)
	v_mul_f64 v[24:25], v[220:221], v[222:223]
	v_fma_f64 v[24:25], v[218:219], v[22:23], -v[24:25]
	v_mul_f64 v[218:219], v[218:219], v[222:223]
	v_add_f64 v[18:19], v[18:19], -v[24:25]
	v_fma_f64 v[218:219], v[220:221], v[22:23], v[218:219]
	v_add_f64 v[20:21], v[20:21], -v[218:219]
	ds_read2_b64 v[218:221], v1 offset0:100 offset1:101
	s_waitcnt lgkmcnt(0)
	v_mul_f64 v[24:25], v[220:221], v[222:223]
	v_fma_f64 v[24:25], v[218:219], v[22:23], -v[24:25]
	v_mul_f64 v[218:219], v[218:219], v[222:223]
	v_add_f64 v[14:15], v[14:15], -v[24:25]
	v_fma_f64 v[218:219], v[220:221], v[22:23], v[218:219]
	v_add_f64 v[16:17], v[16:17], -v[218:219]
	;; [unrolled: 8-line block ×4, first 2 shown]
	ds_read2_b64 v[218:221], v1 offset0:106 offset1:107
	s_waitcnt lgkmcnt(0)
	v_mul_f64 v[24:25], v[220:221], v[222:223]
	v_fma_f64 v[24:25], v[218:219], v[22:23], -v[24:25]
	v_mul_f64 v[218:219], v[218:219], v[222:223]
	v_add_f64 v[2:3], v[2:3], -v[24:25]
	v_fma_f64 v[218:219], v[220:221], v[22:23], v[218:219]
	v_mov_b32_e32 v24, v222
	v_mov_b32_e32 v25, v223
	v_add_f64 v[4:5], v[4:5], -v[218:219]
.LBB106_1028:
	s_or_b32 exec_lo, exec_lo, s0
	v_lshl_add_u32 v218, v232, 4, v1
	s_barrier
	buffer_gl0_inv
	v_mov_b32_e32 v226, 49
	ds_write2_b64 v218, v[18:19], v[20:21] offset1:1
	s_waitcnt lgkmcnt(0)
	s_barrier
	buffer_gl0_inv
	ds_read2_b64 v[218:221], v1 offset0:98 offset1:99
	s_cmp_lt_i32 s8, 51
	s_cbranch_scc1 .LBB106_1031
; %bb.1029:
	v_add3_u32 v227, v228, 0, 0x320
	v_mov_b32_e32 v226, 49
	s_mov_b32 s1, 50
	s_inst_prefetch 0x1
	.p2align	6
.LBB106_1030:                           ; =>This Inner Loop Header: Depth=1
	s_waitcnt lgkmcnt(0)
	v_cmp_gt_f64_e32 vcc_lo, 0, v[220:221]
	v_cmp_gt_f64_e64 s0, 0, v[218:219]
	ds_read2_b64 v[233:236], v227 offset1:1
	v_xor_b32_e32 v223, 0x80000000, v219
	v_xor_b32_e32 v225, 0x80000000, v221
	v_mov_b32_e32 v222, v218
	v_mov_b32_e32 v224, v220
	v_add_nc_u32_e32 v227, 16, v227
	s_waitcnt lgkmcnt(0)
	v_xor_b32_e32 v238, 0x80000000, v236
	v_cndmask_b32_e64 v223, v219, v223, s0
	v_cndmask_b32_e32 v225, v221, v225, vcc_lo
	v_cmp_gt_f64_e32 vcc_lo, 0, v[235:236]
	v_cmp_gt_f64_e64 s0, 0, v[233:234]
	v_mov_b32_e32 v237, v235
	v_add_f64 v[222:223], v[222:223], v[224:225]
	v_xor_b32_e32 v225, 0x80000000, v234
	v_mov_b32_e32 v224, v233
	v_cndmask_b32_e32 v238, v236, v238, vcc_lo
	v_cndmask_b32_e64 v225, v234, v225, s0
	v_add_f64 v[224:225], v[224:225], v[237:238]
	v_cmp_lt_f64_e32 vcc_lo, v[222:223], v[224:225]
	v_cndmask_b32_e32 v219, v219, v234, vcc_lo
	v_cndmask_b32_e32 v218, v218, v233, vcc_lo
	;; [unrolled: 1-line block ×4, first 2 shown]
	v_cndmask_b32_e64 v226, v226, s1, vcc_lo
	s_add_i32 s1, s1, 1
	s_cmp_lg_u32 s8, s1
	s_cbranch_scc1 .LBB106_1030
.LBB106_1031:
	s_inst_prefetch 0x2
	s_waitcnt lgkmcnt(0)
	v_cmp_eq_f64_e32 vcc_lo, 0, v[218:219]
	v_cmp_eq_f64_e64 s0, 0, v[220:221]
	s_and_b32 s0, vcc_lo, s0
	s_and_saveexec_b32 s1, s0
	s_xor_b32 s0, exec_lo, s1
; %bb.1032:
	v_cmp_ne_u32_e32 vcc_lo, 0, v231
	v_cndmask_b32_e32 v231, 50, v231, vcc_lo
; %bb.1033:
	s_andn2_saveexec_b32 s0, s0
	s_cbranch_execz .LBB106_1039
; %bb.1034:
	v_cmp_ngt_f64_e64 s1, |v[218:219]|, |v[220:221]|
	s_and_saveexec_b32 s7, s1
	s_xor_b32 s1, exec_lo, s7
	s_cbranch_execz .LBB106_1036
; %bb.1035:
	v_div_scale_f64 v[222:223], null, v[220:221], v[220:221], v[218:219]
	v_div_scale_f64 v[235:236], vcc_lo, v[218:219], v[220:221], v[218:219]
	v_rcp_f64_e32 v[224:225], v[222:223]
	v_fma_f64 v[233:234], -v[222:223], v[224:225], 1.0
	v_fma_f64 v[224:225], v[224:225], v[233:234], v[224:225]
	v_fma_f64 v[233:234], -v[222:223], v[224:225], 1.0
	v_fma_f64 v[224:225], v[224:225], v[233:234], v[224:225]
	v_mul_f64 v[233:234], v[235:236], v[224:225]
	v_fma_f64 v[222:223], -v[222:223], v[233:234], v[235:236]
	v_div_fmas_f64 v[222:223], v[222:223], v[224:225], v[233:234]
	v_div_fixup_f64 v[222:223], v[222:223], v[220:221], v[218:219]
	v_fma_f64 v[218:219], v[218:219], v[222:223], v[220:221]
	v_div_scale_f64 v[220:221], null, v[218:219], v[218:219], 1.0
	v_rcp_f64_e32 v[224:225], v[220:221]
	v_fma_f64 v[233:234], -v[220:221], v[224:225], 1.0
	v_fma_f64 v[224:225], v[224:225], v[233:234], v[224:225]
	v_fma_f64 v[233:234], -v[220:221], v[224:225], 1.0
	v_fma_f64 v[224:225], v[224:225], v[233:234], v[224:225]
	v_div_scale_f64 v[233:234], vcc_lo, 1.0, v[218:219], 1.0
	v_mul_f64 v[235:236], v[233:234], v[224:225]
	v_fma_f64 v[220:221], -v[220:221], v[235:236], v[233:234]
	v_div_fmas_f64 v[220:221], v[220:221], v[224:225], v[235:236]
	v_div_fixup_f64 v[220:221], v[220:221], v[218:219], 1.0
	v_mul_f64 v[218:219], v[222:223], v[220:221]
	v_xor_b32_e32 v221, 0x80000000, v221
.LBB106_1036:
	s_andn2_saveexec_b32 s1, s1
	s_cbranch_execz .LBB106_1038
; %bb.1037:
	v_div_scale_f64 v[222:223], null, v[218:219], v[218:219], v[220:221]
	v_div_scale_f64 v[235:236], vcc_lo, v[220:221], v[218:219], v[220:221]
	v_rcp_f64_e32 v[224:225], v[222:223]
	v_fma_f64 v[233:234], -v[222:223], v[224:225], 1.0
	v_fma_f64 v[224:225], v[224:225], v[233:234], v[224:225]
	v_fma_f64 v[233:234], -v[222:223], v[224:225], 1.0
	v_fma_f64 v[224:225], v[224:225], v[233:234], v[224:225]
	v_mul_f64 v[233:234], v[235:236], v[224:225]
	v_fma_f64 v[222:223], -v[222:223], v[233:234], v[235:236]
	v_div_fmas_f64 v[222:223], v[222:223], v[224:225], v[233:234]
	v_div_fixup_f64 v[222:223], v[222:223], v[218:219], v[220:221]
	v_fma_f64 v[218:219], v[220:221], v[222:223], v[218:219]
	v_div_scale_f64 v[220:221], null, v[218:219], v[218:219], 1.0
	v_rcp_f64_e32 v[224:225], v[220:221]
	v_fma_f64 v[233:234], -v[220:221], v[224:225], 1.0
	v_fma_f64 v[224:225], v[224:225], v[233:234], v[224:225]
	v_fma_f64 v[233:234], -v[220:221], v[224:225], 1.0
	v_fma_f64 v[224:225], v[224:225], v[233:234], v[224:225]
	v_div_scale_f64 v[233:234], vcc_lo, 1.0, v[218:219], 1.0
	v_mul_f64 v[235:236], v[233:234], v[224:225]
	v_fma_f64 v[220:221], -v[220:221], v[235:236], v[233:234]
	v_div_fmas_f64 v[220:221], v[220:221], v[224:225], v[235:236]
	v_div_fixup_f64 v[218:219], v[220:221], v[218:219], 1.0
	v_mul_f64 v[220:221], v[222:223], -v[218:219]
.LBB106_1038:
	s_or_b32 exec_lo, exec_lo, s1
.LBB106_1039:
	s_or_b32 exec_lo, exec_lo, s0
	s_mov_b32 s0, exec_lo
	v_cmpx_ne_u32_e64 v232, v226
	s_xor_b32 s0, exec_lo, s0
	s_cbranch_execz .LBB106_1045
; %bb.1040:
	s_mov_b32 s1, exec_lo
	v_cmpx_eq_u32_e32 49, v232
	s_cbranch_execz .LBB106_1044
; %bb.1041:
	v_cmp_ne_u32_e32 vcc_lo, 49, v226
	s_xor_b32 s7, s16, -1
	s_and_b32 s9, s7, vcc_lo
	s_and_saveexec_b32 s7, s9
	s_cbranch_execz .LBB106_1043
; %bb.1042:
	s_clause 0x1
	buffer_load_dword v214, off, s[20:23], 0
	buffer_load_dword v215, off, s[20:23], 0 offset:4
	v_ashrrev_i32_e32 v227, 31, v226
	v_lshlrev_b64 v[222:223], 2, v[226:227]
	s_waitcnt vmcnt(1)
	v_add_co_u32 v222, vcc_lo, v214, v222
	s_waitcnt vmcnt(0)
	v_add_co_ci_u32_e64 v223, null, v215, v223, vcc_lo
	s_clause 0x1
	global_load_dword v0, v[222:223], off
	global_load_dword v224, v[214:215], off offset:196
	s_waitcnt vmcnt(1)
	global_store_dword v[214:215], v0, off offset:196
	s_waitcnt vmcnt(0)
	global_store_dword v[222:223], v224, off
.LBB106_1043:
	s_or_b32 exec_lo, exec_lo, s7
	v_mov_b32_e32 v232, v226
	v_mov_b32_e32 v0, v226
.LBB106_1044:
	s_or_b32 exec_lo, exec_lo, s1
.LBB106_1045:
	s_andn2_saveexec_b32 s0, s0
	s_cbranch_execz .LBB106_1047
; %bb.1046:
	v_mov_b32_e32 v232, 49
	ds_write2_b64 v1, v[14:15], v[16:17] offset0:100 offset1:101
	ds_write2_b64 v1, v[10:11], v[12:13] offset0:102 offset1:103
	;; [unrolled: 1-line block ×4, first 2 shown]
.LBB106_1047:
	s_or_b32 exec_lo, exec_lo, s0
	s_mov_b32 s0, exec_lo
	s_waitcnt lgkmcnt(0)
	s_waitcnt_vscnt null, 0x0
	s_barrier
	buffer_gl0_inv
	v_cmpx_lt_i32_e32 49, v232
	s_cbranch_execz .LBB106_1049
; %bb.1048:
	v_mul_f64 v[222:223], v[218:219], v[20:21]
	v_mul_f64 v[20:21], v[220:221], v[20:21]
	v_fma_f64 v[222:223], v[220:221], v[18:19], v[222:223]
	v_fma_f64 v[18:19], v[218:219], v[18:19], -v[20:21]
	ds_read2_b64 v[218:221], v1 offset0:100 offset1:101
	s_waitcnt lgkmcnt(0)
	v_mul_f64 v[20:21], v[220:221], v[222:223]
	v_fma_f64 v[20:21], v[218:219], v[18:19], -v[20:21]
	v_mul_f64 v[218:219], v[218:219], v[222:223]
	v_add_f64 v[14:15], v[14:15], -v[20:21]
	v_fma_f64 v[218:219], v[220:221], v[18:19], v[218:219]
	v_add_f64 v[16:17], v[16:17], -v[218:219]
	ds_read2_b64 v[218:221], v1 offset0:102 offset1:103
	s_waitcnt lgkmcnt(0)
	v_mul_f64 v[20:21], v[220:221], v[222:223]
	v_fma_f64 v[20:21], v[218:219], v[18:19], -v[20:21]
	v_mul_f64 v[218:219], v[218:219], v[222:223]
	v_add_f64 v[10:11], v[10:11], -v[20:21]
	v_fma_f64 v[218:219], v[220:221], v[18:19], v[218:219]
	v_add_f64 v[12:13], v[12:13], -v[218:219]
	;; [unrolled: 8-line block ×3, first 2 shown]
	ds_read2_b64 v[218:221], v1 offset0:106 offset1:107
	s_waitcnt lgkmcnt(0)
	v_mul_f64 v[20:21], v[220:221], v[222:223]
	v_fma_f64 v[20:21], v[218:219], v[18:19], -v[20:21]
	v_mul_f64 v[218:219], v[218:219], v[222:223]
	v_add_f64 v[2:3], v[2:3], -v[20:21]
	v_fma_f64 v[218:219], v[220:221], v[18:19], v[218:219]
	v_mov_b32_e32 v20, v222
	v_mov_b32_e32 v21, v223
	v_add_f64 v[4:5], v[4:5], -v[218:219]
.LBB106_1049:
	s_or_b32 exec_lo, exec_lo, s0
	v_lshl_add_u32 v218, v232, 4, v1
	s_barrier
	buffer_gl0_inv
	v_mov_b32_e32 v226, 50
	ds_write2_b64 v218, v[14:15], v[16:17] offset1:1
	s_waitcnt lgkmcnt(0)
	s_barrier
	buffer_gl0_inv
	ds_read2_b64 v[218:221], v1 offset0:100 offset1:101
	s_cmp_lt_i32 s8, 52
	s_cbranch_scc1 .LBB106_1052
; %bb.1050:
	v_add3_u32 v227, v228, 0, 0x330
	v_mov_b32_e32 v226, 50
	s_mov_b32 s1, 51
	s_inst_prefetch 0x1
	.p2align	6
.LBB106_1051:                           ; =>This Inner Loop Header: Depth=1
	s_waitcnt lgkmcnt(0)
	v_cmp_gt_f64_e32 vcc_lo, 0, v[220:221]
	v_cmp_gt_f64_e64 s0, 0, v[218:219]
	ds_read2_b64 v[233:236], v227 offset1:1
	v_xor_b32_e32 v223, 0x80000000, v219
	v_xor_b32_e32 v225, 0x80000000, v221
	v_mov_b32_e32 v222, v218
	v_mov_b32_e32 v224, v220
	v_add_nc_u32_e32 v227, 16, v227
	s_waitcnt lgkmcnt(0)
	v_xor_b32_e32 v238, 0x80000000, v236
	v_cndmask_b32_e64 v223, v219, v223, s0
	v_cndmask_b32_e32 v225, v221, v225, vcc_lo
	v_cmp_gt_f64_e32 vcc_lo, 0, v[235:236]
	v_cmp_gt_f64_e64 s0, 0, v[233:234]
	v_mov_b32_e32 v237, v235
	v_add_f64 v[222:223], v[222:223], v[224:225]
	v_xor_b32_e32 v225, 0x80000000, v234
	v_mov_b32_e32 v224, v233
	v_cndmask_b32_e32 v238, v236, v238, vcc_lo
	v_cndmask_b32_e64 v225, v234, v225, s0
	v_add_f64 v[224:225], v[224:225], v[237:238]
	v_cmp_lt_f64_e32 vcc_lo, v[222:223], v[224:225]
	v_cndmask_b32_e32 v219, v219, v234, vcc_lo
	v_cndmask_b32_e32 v218, v218, v233, vcc_lo
	;; [unrolled: 1-line block ×4, first 2 shown]
	v_cndmask_b32_e64 v226, v226, s1, vcc_lo
	s_add_i32 s1, s1, 1
	s_cmp_lg_u32 s8, s1
	s_cbranch_scc1 .LBB106_1051
.LBB106_1052:
	s_inst_prefetch 0x2
	s_waitcnt lgkmcnt(0)
	v_cmp_eq_f64_e32 vcc_lo, 0, v[218:219]
	v_cmp_eq_f64_e64 s0, 0, v[220:221]
	s_and_b32 s0, vcc_lo, s0
	s_and_saveexec_b32 s1, s0
	s_xor_b32 s0, exec_lo, s1
; %bb.1053:
	v_cmp_ne_u32_e32 vcc_lo, 0, v231
	v_cndmask_b32_e32 v231, 51, v231, vcc_lo
; %bb.1054:
	s_andn2_saveexec_b32 s0, s0
	s_cbranch_execz .LBB106_1060
; %bb.1055:
	v_cmp_ngt_f64_e64 s1, |v[218:219]|, |v[220:221]|
	s_and_saveexec_b32 s7, s1
	s_xor_b32 s1, exec_lo, s7
	s_cbranch_execz .LBB106_1057
; %bb.1056:
	v_div_scale_f64 v[222:223], null, v[220:221], v[220:221], v[218:219]
	v_div_scale_f64 v[235:236], vcc_lo, v[218:219], v[220:221], v[218:219]
	v_rcp_f64_e32 v[224:225], v[222:223]
	v_fma_f64 v[233:234], -v[222:223], v[224:225], 1.0
	v_fma_f64 v[224:225], v[224:225], v[233:234], v[224:225]
	v_fma_f64 v[233:234], -v[222:223], v[224:225], 1.0
	v_fma_f64 v[224:225], v[224:225], v[233:234], v[224:225]
	v_mul_f64 v[233:234], v[235:236], v[224:225]
	v_fma_f64 v[222:223], -v[222:223], v[233:234], v[235:236]
	v_div_fmas_f64 v[222:223], v[222:223], v[224:225], v[233:234]
	v_div_fixup_f64 v[222:223], v[222:223], v[220:221], v[218:219]
	v_fma_f64 v[218:219], v[218:219], v[222:223], v[220:221]
	v_div_scale_f64 v[220:221], null, v[218:219], v[218:219], 1.0
	v_rcp_f64_e32 v[224:225], v[220:221]
	v_fma_f64 v[233:234], -v[220:221], v[224:225], 1.0
	v_fma_f64 v[224:225], v[224:225], v[233:234], v[224:225]
	v_fma_f64 v[233:234], -v[220:221], v[224:225], 1.0
	v_fma_f64 v[224:225], v[224:225], v[233:234], v[224:225]
	v_div_scale_f64 v[233:234], vcc_lo, 1.0, v[218:219], 1.0
	v_mul_f64 v[235:236], v[233:234], v[224:225]
	v_fma_f64 v[220:221], -v[220:221], v[235:236], v[233:234]
	v_div_fmas_f64 v[220:221], v[220:221], v[224:225], v[235:236]
	v_div_fixup_f64 v[220:221], v[220:221], v[218:219], 1.0
	v_mul_f64 v[218:219], v[222:223], v[220:221]
	v_xor_b32_e32 v221, 0x80000000, v221
.LBB106_1057:
	s_andn2_saveexec_b32 s1, s1
	s_cbranch_execz .LBB106_1059
; %bb.1058:
	v_div_scale_f64 v[222:223], null, v[218:219], v[218:219], v[220:221]
	v_div_scale_f64 v[235:236], vcc_lo, v[220:221], v[218:219], v[220:221]
	v_rcp_f64_e32 v[224:225], v[222:223]
	v_fma_f64 v[233:234], -v[222:223], v[224:225], 1.0
	v_fma_f64 v[224:225], v[224:225], v[233:234], v[224:225]
	v_fma_f64 v[233:234], -v[222:223], v[224:225], 1.0
	v_fma_f64 v[224:225], v[224:225], v[233:234], v[224:225]
	v_mul_f64 v[233:234], v[235:236], v[224:225]
	v_fma_f64 v[222:223], -v[222:223], v[233:234], v[235:236]
	v_div_fmas_f64 v[222:223], v[222:223], v[224:225], v[233:234]
	v_div_fixup_f64 v[222:223], v[222:223], v[218:219], v[220:221]
	v_fma_f64 v[218:219], v[220:221], v[222:223], v[218:219]
	v_div_scale_f64 v[220:221], null, v[218:219], v[218:219], 1.0
	v_rcp_f64_e32 v[224:225], v[220:221]
	v_fma_f64 v[233:234], -v[220:221], v[224:225], 1.0
	v_fma_f64 v[224:225], v[224:225], v[233:234], v[224:225]
	v_fma_f64 v[233:234], -v[220:221], v[224:225], 1.0
	v_fma_f64 v[224:225], v[224:225], v[233:234], v[224:225]
	v_div_scale_f64 v[233:234], vcc_lo, 1.0, v[218:219], 1.0
	v_mul_f64 v[235:236], v[233:234], v[224:225]
	v_fma_f64 v[220:221], -v[220:221], v[235:236], v[233:234]
	v_div_fmas_f64 v[220:221], v[220:221], v[224:225], v[235:236]
	v_div_fixup_f64 v[218:219], v[220:221], v[218:219], 1.0
	v_mul_f64 v[220:221], v[222:223], -v[218:219]
.LBB106_1059:
	s_or_b32 exec_lo, exec_lo, s1
.LBB106_1060:
	s_or_b32 exec_lo, exec_lo, s0
	s_mov_b32 s0, exec_lo
	v_cmpx_ne_u32_e64 v232, v226
	s_xor_b32 s0, exec_lo, s0
	s_cbranch_execz .LBB106_1066
; %bb.1061:
	s_mov_b32 s1, exec_lo
	v_cmpx_eq_u32_e32 50, v232
	s_cbranch_execz .LBB106_1065
; %bb.1062:
	v_cmp_ne_u32_e32 vcc_lo, 50, v226
	s_xor_b32 s7, s16, -1
	s_and_b32 s9, s7, vcc_lo
	s_and_saveexec_b32 s7, s9
	s_cbranch_execz .LBB106_1064
; %bb.1063:
	s_clause 0x1
	buffer_load_dword v214, off, s[20:23], 0
	buffer_load_dword v215, off, s[20:23], 0 offset:4
	v_ashrrev_i32_e32 v227, 31, v226
	v_lshlrev_b64 v[222:223], 2, v[226:227]
	s_waitcnt vmcnt(1)
	v_add_co_u32 v222, vcc_lo, v214, v222
	s_waitcnt vmcnt(0)
	v_add_co_ci_u32_e64 v223, null, v215, v223, vcc_lo
	s_clause 0x1
	global_load_dword v0, v[222:223], off
	global_load_dword v224, v[214:215], off offset:200
	s_waitcnt vmcnt(1)
	global_store_dword v[214:215], v0, off offset:200
	s_waitcnt vmcnt(0)
	global_store_dword v[222:223], v224, off
.LBB106_1064:
	s_or_b32 exec_lo, exec_lo, s7
	v_mov_b32_e32 v232, v226
	v_mov_b32_e32 v0, v226
.LBB106_1065:
	s_or_b32 exec_lo, exec_lo, s1
.LBB106_1066:
	s_andn2_saveexec_b32 s0, s0
	s_cbranch_execz .LBB106_1068
; %bb.1067:
	v_mov_b32_e32 v232, 50
	ds_write2_b64 v1, v[10:11], v[12:13] offset0:102 offset1:103
	ds_write2_b64 v1, v[6:7], v[8:9] offset0:104 offset1:105
	;; [unrolled: 1-line block ×3, first 2 shown]
.LBB106_1068:
	s_or_b32 exec_lo, exec_lo, s0
	s_mov_b32 s0, exec_lo
	s_waitcnt lgkmcnt(0)
	s_waitcnt_vscnt null, 0x0
	s_barrier
	buffer_gl0_inv
	v_cmpx_lt_i32_e32 50, v232
	s_cbranch_execz .LBB106_1070
; %bb.1069:
	v_mul_f64 v[222:223], v[218:219], v[16:17]
	v_mul_f64 v[16:17], v[220:221], v[16:17]
	ds_read2_b64 v[233:236], v1 offset0:102 offset1:103
	ds_read2_b64 v[237:240], v1 offset0:104 offset1:105
	;; [unrolled: 1-line block ×3, first 2 shown]
	v_fma_f64 v[220:221], v[220:221], v[14:15], v[222:223]
	v_fma_f64 v[14:15], v[218:219], v[14:15], -v[16:17]
	s_waitcnt lgkmcnt(2)
	v_mul_f64 v[16:17], v[235:236], v[220:221]
	v_mul_f64 v[218:219], v[233:234], v[220:221]
	s_waitcnt lgkmcnt(1)
	v_mul_f64 v[222:223], v[239:240], v[220:221]
	v_mul_f64 v[224:225], v[237:238], v[220:221]
	;; [unrolled: 3-line block ×3, first 2 shown]
	v_fma_f64 v[16:17], v[233:234], v[14:15], -v[16:17]
	v_fma_f64 v[218:219], v[235:236], v[14:15], v[218:219]
	v_fma_f64 v[222:223], v[237:238], v[14:15], -v[222:223]
	v_fma_f64 v[224:225], v[239:240], v[14:15], v[224:225]
	;; [unrolled: 2-line block ×3, first 2 shown]
	v_add_f64 v[10:11], v[10:11], -v[16:17]
	v_add_f64 v[12:13], v[12:13], -v[218:219]
	;; [unrolled: 1-line block ×6, first 2 shown]
	v_mov_b32_e32 v16, v220
	v_mov_b32_e32 v17, v221
.LBB106_1070:
	s_or_b32 exec_lo, exec_lo, s0
	v_lshl_add_u32 v218, v232, 4, v1
	s_barrier
	buffer_gl0_inv
	v_mov_b32_e32 v226, 51
	ds_write2_b64 v218, v[10:11], v[12:13] offset1:1
	s_waitcnt lgkmcnt(0)
	s_barrier
	buffer_gl0_inv
	ds_read2_b64 v[218:221], v1 offset0:102 offset1:103
	s_cmp_lt_i32 s8, 53
	s_cbranch_scc1 .LBB106_1073
; %bb.1071:
	v_add3_u32 v227, v228, 0, 0x340
	v_mov_b32_e32 v226, 51
	s_mov_b32 s1, 52
	s_inst_prefetch 0x1
	.p2align	6
.LBB106_1072:                           ; =>This Inner Loop Header: Depth=1
	s_waitcnt lgkmcnt(0)
	v_cmp_gt_f64_e32 vcc_lo, 0, v[220:221]
	v_cmp_gt_f64_e64 s0, 0, v[218:219]
	ds_read2_b64 v[233:236], v227 offset1:1
	v_xor_b32_e32 v223, 0x80000000, v219
	v_xor_b32_e32 v225, 0x80000000, v221
	v_mov_b32_e32 v222, v218
	v_mov_b32_e32 v224, v220
	v_add_nc_u32_e32 v227, 16, v227
	s_waitcnt lgkmcnt(0)
	v_xor_b32_e32 v238, 0x80000000, v236
	v_cndmask_b32_e64 v223, v219, v223, s0
	v_cndmask_b32_e32 v225, v221, v225, vcc_lo
	v_cmp_gt_f64_e32 vcc_lo, 0, v[235:236]
	v_cmp_gt_f64_e64 s0, 0, v[233:234]
	v_mov_b32_e32 v237, v235
	v_add_f64 v[222:223], v[222:223], v[224:225]
	v_xor_b32_e32 v225, 0x80000000, v234
	v_mov_b32_e32 v224, v233
	v_cndmask_b32_e32 v238, v236, v238, vcc_lo
	v_cndmask_b32_e64 v225, v234, v225, s0
	v_add_f64 v[224:225], v[224:225], v[237:238]
	v_cmp_lt_f64_e32 vcc_lo, v[222:223], v[224:225]
	v_cndmask_b32_e32 v219, v219, v234, vcc_lo
	v_cndmask_b32_e32 v218, v218, v233, vcc_lo
	;; [unrolled: 1-line block ×4, first 2 shown]
	v_cndmask_b32_e64 v226, v226, s1, vcc_lo
	s_add_i32 s1, s1, 1
	s_cmp_lg_u32 s8, s1
	s_cbranch_scc1 .LBB106_1072
.LBB106_1073:
	s_inst_prefetch 0x2
	s_waitcnt lgkmcnt(0)
	v_cmp_eq_f64_e32 vcc_lo, 0, v[218:219]
	v_cmp_eq_f64_e64 s0, 0, v[220:221]
	s_and_b32 s0, vcc_lo, s0
	s_and_saveexec_b32 s1, s0
	s_xor_b32 s0, exec_lo, s1
; %bb.1074:
	v_cmp_ne_u32_e32 vcc_lo, 0, v231
	v_cndmask_b32_e32 v231, 52, v231, vcc_lo
; %bb.1075:
	s_andn2_saveexec_b32 s0, s0
	s_cbranch_execz .LBB106_1081
; %bb.1076:
	v_cmp_ngt_f64_e64 s1, |v[218:219]|, |v[220:221]|
	s_and_saveexec_b32 s7, s1
	s_xor_b32 s1, exec_lo, s7
	s_cbranch_execz .LBB106_1078
; %bb.1077:
	v_div_scale_f64 v[222:223], null, v[220:221], v[220:221], v[218:219]
	v_div_scale_f64 v[235:236], vcc_lo, v[218:219], v[220:221], v[218:219]
	v_rcp_f64_e32 v[224:225], v[222:223]
	v_fma_f64 v[233:234], -v[222:223], v[224:225], 1.0
	v_fma_f64 v[224:225], v[224:225], v[233:234], v[224:225]
	v_fma_f64 v[233:234], -v[222:223], v[224:225], 1.0
	v_fma_f64 v[224:225], v[224:225], v[233:234], v[224:225]
	v_mul_f64 v[233:234], v[235:236], v[224:225]
	v_fma_f64 v[222:223], -v[222:223], v[233:234], v[235:236]
	v_div_fmas_f64 v[222:223], v[222:223], v[224:225], v[233:234]
	v_div_fixup_f64 v[222:223], v[222:223], v[220:221], v[218:219]
	v_fma_f64 v[218:219], v[218:219], v[222:223], v[220:221]
	v_div_scale_f64 v[220:221], null, v[218:219], v[218:219], 1.0
	v_rcp_f64_e32 v[224:225], v[220:221]
	v_fma_f64 v[233:234], -v[220:221], v[224:225], 1.0
	v_fma_f64 v[224:225], v[224:225], v[233:234], v[224:225]
	v_fma_f64 v[233:234], -v[220:221], v[224:225], 1.0
	v_fma_f64 v[224:225], v[224:225], v[233:234], v[224:225]
	v_div_scale_f64 v[233:234], vcc_lo, 1.0, v[218:219], 1.0
	v_mul_f64 v[235:236], v[233:234], v[224:225]
	v_fma_f64 v[220:221], -v[220:221], v[235:236], v[233:234]
	v_div_fmas_f64 v[220:221], v[220:221], v[224:225], v[235:236]
	v_div_fixup_f64 v[220:221], v[220:221], v[218:219], 1.0
	v_mul_f64 v[218:219], v[222:223], v[220:221]
	v_xor_b32_e32 v221, 0x80000000, v221
.LBB106_1078:
	s_andn2_saveexec_b32 s1, s1
	s_cbranch_execz .LBB106_1080
; %bb.1079:
	v_div_scale_f64 v[222:223], null, v[218:219], v[218:219], v[220:221]
	v_div_scale_f64 v[235:236], vcc_lo, v[220:221], v[218:219], v[220:221]
	v_rcp_f64_e32 v[224:225], v[222:223]
	v_fma_f64 v[233:234], -v[222:223], v[224:225], 1.0
	v_fma_f64 v[224:225], v[224:225], v[233:234], v[224:225]
	v_fma_f64 v[233:234], -v[222:223], v[224:225], 1.0
	v_fma_f64 v[224:225], v[224:225], v[233:234], v[224:225]
	v_mul_f64 v[233:234], v[235:236], v[224:225]
	v_fma_f64 v[222:223], -v[222:223], v[233:234], v[235:236]
	v_div_fmas_f64 v[222:223], v[222:223], v[224:225], v[233:234]
	v_div_fixup_f64 v[222:223], v[222:223], v[218:219], v[220:221]
	v_fma_f64 v[218:219], v[220:221], v[222:223], v[218:219]
	v_div_scale_f64 v[220:221], null, v[218:219], v[218:219], 1.0
	v_rcp_f64_e32 v[224:225], v[220:221]
	v_fma_f64 v[233:234], -v[220:221], v[224:225], 1.0
	v_fma_f64 v[224:225], v[224:225], v[233:234], v[224:225]
	v_fma_f64 v[233:234], -v[220:221], v[224:225], 1.0
	v_fma_f64 v[224:225], v[224:225], v[233:234], v[224:225]
	v_div_scale_f64 v[233:234], vcc_lo, 1.0, v[218:219], 1.0
	v_mul_f64 v[235:236], v[233:234], v[224:225]
	v_fma_f64 v[220:221], -v[220:221], v[235:236], v[233:234]
	v_div_fmas_f64 v[220:221], v[220:221], v[224:225], v[235:236]
	v_div_fixup_f64 v[218:219], v[220:221], v[218:219], 1.0
	v_mul_f64 v[220:221], v[222:223], -v[218:219]
.LBB106_1080:
	s_or_b32 exec_lo, exec_lo, s1
.LBB106_1081:
	s_or_b32 exec_lo, exec_lo, s0
	s_mov_b32 s0, exec_lo
	v_cmpx_ne_u32_e64 v232, v226
	s_xor_b32 s0, exec_lo, s0
	s_cbranch_execz .LBB106_1087
; %bb.1082:
	s_mov_b32 s1, exec_lo
	v_cmpx_eq_u32_e32 51, v232
	s_cbranch_execz .LBB106_1086
; %bb.1083:
	v_cmp_ne_u32_e32 vcc_lo, 51, v226
	s_xor_b32 s7, s16, -1
	s_and_b32 s9, s7, vcc_lo
	s_and_saveexec_b32 s7, s9
	s_cbranch_execz .LBB106_1085
; %bb.1084:
	s_clause 0x1
	buffer_load_dword v214, off, s[20:23], 0
	buffer_load_dword v215, off, s[20:23], 0 offset:4
	v_ashrrev_i32_e32 v227, 31, v226
	v_lshlrev_b64 v[222:223], 2, v[226:227]
	s_waitcnt vmcnt(1)
	v_add_co_u32 v222, vcc_lo, v214, v222
	s_waitcnt vmcnt(0)
	v_add_co_ci_u32_e64 v223, null, v215, v223, vcc_lo
	s_clause 0x1
	global_load_dword v0, v[222:223], off
	global_load_dword v224, v[214:215], off offset:204
	s_waitcnt vmcnt(1)
	global_store_dword v[214:215], v0, off offset:204
	s_waitcnt vmcnt(0)
	global_store_dword v[222:223], v224, off
.LBB106_1085:
	s_or_b32 exec_lo, exec_lo, s7
	v_mov_b32_e32 v232, v226
	v_mov_b32_e32 v0, v226
.LBB106_1086:
	s_or_b32 exec_lo, exec_lo, s1
.LBB106_1087:
	s_andn2_saveexec_b32 s0, s0
	s_cbranch_execz .LBB106_1089
; %bb.1088:
	v_mov_b32_e32 v232, 51
	ds_write2_b64 v1, v[6:7], v[8:9] offset0:104 offset1:105
	ds_write2_b64 v1, v[2:3], v[4:5] offset0:106 offset1:107
.LBB106_1089:
	s_or_b32 exec_lo, exec_lo, s0
	s_mov_b32 s0, exec_lo
	s_waitcnt lgkmcnt(0)
	s_waitcnt_vscnt null, 0x0
	s_barrier
	buffer_gl0_inv
	v_cmpx_lt_i32_e32 51, v232
	s_cbranch_execz .LBB106_1091
; %bb.1090:
	v_mul_f64 v[222:223], v[218:219], v[12:13]
	v_mul_f64 v[12:13], v[220:221], v[12:13]
	ds_read2_b64 v[233:236], v1 offset0:104 offset1:105
	ds_read2_b64 v[237:240], v1 offset0:106 offset1:107
	v_fma_f64 v[220:221], v[220:221], v[10:11], v[222:223]
	v_fma_f64 v[10:11], v[218:219], v[10:11], -v[12:13]
	s_waitcnt lgkmcnt(1)
	v_mul_f64 v[12:13], v[235:236], v[220:221]
	v_mul_f64 v[218:219], v[233:234], v[220:221]
	s_waitcnt lgkmcnt(0)
	v_mul_f64 v[222:223], v[239:240], v[220:221]
	v_mul_f64 v[224:225], v[237:238], v[220:221]
	v_fma_f64 v[12:13], v[233:234], v[10:11], -v[12:13]
	v_fma_f64 v[218:219], v[235:236], v[10:11], v[218:219]
	v_fma_f64 v[222:223], v[237:238], v[10:11], -v[222:223]
	v_fma_f64 v[224:225], v[239:240], v[10:11], v[224:225]
	v_add_f64 v[6:7], v[6:7], -v[12:13]
	v_add_f64 v[8:9], v[8:9], -v[218:219]
	;; [unrolled: 1-line block ×4, first 2 shown]
	v_mov_b32_e32 v12, v220
	v_mov_b32_e32 v13, v221
.LBB106_1091:
	s_or_b32 exec_lo, exec_lo, s0
	v_lshl_add_u32 v218, v232, 4, v1
	s_barrier
	buffer_gl0_inv
	v_mov_b32_e32 v226, 52
	ds_write2_b64 v218, v[6:7], v[8:9] offset1:1
	s_waitcnt lgkmcnt(0)
	s_barrier
	buffer_gl0_inv
	ds_read2_b64 v[218:221], v1 offset0:104 offset1:105
	s_cmp_lt_i32 s8, 54
	s_cbranch_scc1 .LBB106_1094
; %bb.1092:
	v_add3_u32 v227, v228, 0, 0x350
	v_mov_b32_e32 v226, 52
	s_mov_b32 s1, 53
	s_inst_prefetch 0x1
	.p2align	6
.LBB106_1093:                           ; =>This Inner Loop Header: Depth=1
	s_waitcnt lgkmcnt(0)
	v_cmp_gt_f64_e32 vcc_lo, 0, v[220:221]
	v_cmp_gt_f64_e64 s0, 0, v[218:219]
	ds_read2_b64 v[233:236], v227 offset1:1
	v_xor_b32_e32 v223, 0x80000000, v219
	v_xor_b32_e32 v225, 0x80000000, v221
	v_mov_b32_e32 v222, v218
	v_mov_b32_e32 v224, v220
	v_add_nc_u32_e32 v227, 16, v227
	s_waitcnt lgkmcnt(0)
	v_xor_b32_e32 v238, 0x80000000, v236
	v_cndmask_b32_e64 v223, v219, v223, s0
	v_cndmask_b32_e32 v225, v221, v225, vcc_lo
	v_cmp_gt_f64_e32 vcc_lo, 0, v[235:236]
	v_cmp_gt_f64_e64 s0, 0, v[233:234]
	v_mov_b32_e32 v237, v235
	v_add_f64 v[222:223], v[222:223], v[224:225]
	v_xor_b32_e32 v225, 0x80000000, v234
	v_mov_b32_e32 v224, v233
	v_cndmask_b32_e32 v238, v236, v238, vcc_lo
	v_cndmask_b32_e64 v225, v234, v225, s0
	v_add_f64 v[224:225], v[224:225], v[237:238]
	v_cmp_lt_f64_e32 vcc_lo, v[222:223], v[224:225]
	v_cndmask_b32_e32 v219, v219, v234, vcc_lo
	v_cndmask_b32_e32 v218, v218, v233, vcc_lo
	v_cndmask_b32_e32 v221, v221, v236, vcc_lo
	v_cndmask_b32_e32 v220, v220, v235, vcc_lo
	v_cndmask_b32_e64 v226, v226, s1, vcc_lo
	s_add_i32 s1, s1, 1
	s_cmp_lg_u32 s8, s1
	s_cbranch_scc1 .LBB106_1093
.LBB106_1094:
	s_inst_prefetch 0x2
	s_waitcnt lgkmcnt(0)
	v_cmp_eq_f64_e32 vcc_lo, 0, v[218:219]
	v_cmp_eq_f64_e64 s0, 0, v[220:221]
	s_and_b32 s0, vcc_lo, s0
	s_and_saveexec_b32 s1, s0
	s_xor_b32 s0, exec_lo, s1
; %bb.1095:
	v_cmp_ne_u32_e32 vcc_lo, 0, v231
	v_cndmask_b32_e32 v231, 53, v231, vcc_lo
; %bb.1096:
	s_andn2_saveexec_b32 s0, s0
	s_cbranch_execz .LBB106_1102
; %bb.1097:
	v_cmp_ngt_f64_e64 s1, |v[218:219]|, |v[220:221]|
	s_and_saveexec_b32 s7, s1
	s_xor_b32 s1, exec_lo, s7
	s_cbranch_execz .LBB106_1099
; %bb.1098:
	v_div_scale_f64 v[222:223], null, v[220:221], v[220:221], v[218:219]
	v_div_scale_f64 v[235:236], vcc_lo, v[218:219], v[220:221], v[218:219]
	v_rcp_f64_e32 v[224:225], v[222:223]
	v_fma_f64 v[233:234], -v[222:223], v[224:225], 1.0
	v_fma_f64 v[224:225], v[224:225], v[233:234], v[224:225]
	v_fma_f64 v[233:234], -v[222:223], v[224:225], 1.0
	v_fma_f64 v[224:225], v[224:225], v[233:234], v[224:225]
	v_mul_f64 v[233:234], v[235:236], v[224:225]
	v_fma_f64 v[222:223], -v[222:223], v[233:234], v[235:236]
	v_div_fmas_f64 v[222:223], v[222:223], v[224:225], v[233:234]
	v_div_fixup_f64 v[222:223], v[222:223], v[220:221], v[218:219]
	v_fma_f64 v[218:219], v[218:219], v[222:223], v[220:221]
	v_div_scale_f64 v[220:221], null, v[218:219], v[218:219], 1.0
	v_rcp_f64_e32 v[224:225], v[220:221]
	v_fma_f64 v[233:234], -v[220:221], v[224:225], 1.0
	v_fma_f64 v[224:225], v[224:225], v[233:234], v[224:225]
	v_fma_f64 v[233:234], -v[220:221], v[224:225], 1.0
	v_fma_f64 v[224:225], v[224:225], v[233:234], v[224:225]
	v_div_scale_f64 v[233:234], vcc_lo, 1.0, v[218:219], 1.0
	v_mul_f64 v[235:236], v[233:234], v[224:225]
	v_fma_f64 v[220:221], -v[220:221], v[235:236], v[233:234]
	v_div_fmas_f64 v[220:221], v[220:221], v[224:225], v[235:236]
	v_div_fixup_f64 v[220:221], v[220:221], v[218:219], 1.0
	v_mul_f64 v[218:219], v[222:223], v[220:221]
	v_xor_b32_e32 v221, 0x80000000, v221
.LBB106_1099:
	s_andn2_saveexec_b32 s1, s1
	s_cbranch_execz .LBB106_1101
; %bb.1100:
	v_div_scale_f64 v[222:223], null, v[218:219], v[218:219], v[220:221]
	v_div_scale_f64 v[235:236], vcc_lo, v[220:221], v[218:219], v[220:221]
	v_rcp_f64_e32 v[224:225], v[222:223]
	v_fma_f64 v[233:234], -v[222:223], v[224:225], 1.0
	v_fma_f64 v[224:225], v[224:225], v[233:234], v[224:225]
	v_fma_f64 v[233:234], -v[222:223], v[224:225], 1.0
	v_fma_f64 v[224:225], v[224:225], v[233:234], v[224:225]
	v_mul_f64 v[233:234], v[235:236], v[224:225]
	v_fma_f64 v[222:223], -v[222:223], v[233:234], v[235:236]
	v_div_fmas_f64 v[222:223], v[222:223], v[224:225], v[233:234]
	v_div_fixup_f64 v[222:223], v[222:223], v[218:219], v[220:221]
	v_fma_f64 v[218:219], v[220:221], v[222:223], v[218:219]
	v_div_scale_f64 v[220:221], null, v[218:219], v[218:219], 1.0
	v_rcp_f64_e32 v[224:225], v[220:221]
	v_fma_f64 v[233:234], -v[220:221], v[224:225], 1.0
	v_fma_f64 v[224:225], v[224:225], v[233:234], v[224:225]
	v_fma_f64 v[233:234], -v[220:221], v[224:225], 1.0
	v_fma_f64 v[224:225], v[224:225], v[233:234], v[224:225]
	v_div_scale_f64 v[233:234], vcc_lo, 1.0, v[218:219], 1.0
	v_mul_f64 v[235:236], v[233:234], v[224:225]
	v_fma_f64 v[220:221], -v[220:221], v[235:236], v[233:234]
	v_div_fmas_f64 v[220:221], v[220:221], v[224:225], v[235:236]
	v_div_fixup_f64 v[218:219], v[220:221], v[218:219], 1.0
	v_mul_f64 v[220:221], v[222:223], -v[218:219]
.LBB106_1101:
	s_or_b32 exec_lo, exec_lo, s1
.LBB106_1102:
	s_or_b32 exec_lo, exec_lo, s0
	s_mov_b32 s0, exec_lo
	v_cmpx_ne_u32_e64 v232, v226
	s_xor_b32 s0, exec_lo, s0
	s_cbranch_execz .LBB106_1108
; %bb.1103:
	s_mov_b32 s1, exec_lo
	v_cmpx_eq_u32_e32 52, v232
	s_cbranch_execz .LBB106_1107
; %bb.1104:
	v_cmp_ne_u32_e32 vcc_lo, 52, v226
	s_xor_b32 s7, s16, -1
	s_and_b32 s9, s7, vcc_lo
	s_and_saveexec_b32 s7, s9
	s_cbranch_execz .LBB106_1106
; %bb.1105:
	s_clause 0x1
	buffer_load_dword v214, off, s[20:23], 0
	buffer_load_dword v215, off, s[20:23], 0 offset:4
	v_ashrrev_i32_e32 v227, 31, v226
	v_lshlrev_b64 v[222:223], 2, v[226:227]
	s_waitcnt vmcnt(1)
	v_add_co_u32 v222, vcc_lo, v214, v222
	s_waitcnt vmcnt(0)
	v_add_co_ci_u32_e64 v223, null, v215, v223, vcc_lo
	s_clause 0x1
	global_load_dword v0, v[222:223], off
	global_load_dword v224, v[214:215], off offset:208
	s_waitcnt vmcnt(1)
	global_store_dword v[214:215], v0, off offset:208
	s_waitcnt vmcnt(0)
	global_store_dword v[222:223], v224, off
.LBB106_1106:
	s_or_b32 exec_lo, exec_lo, s7
	v_mov_b32_e32 v232, v226
	v_mov_b32_e32 v0, v226
.LBB106_1107:
	s_or_b32 exec_lo, exec_lo, s1
.LBB106_1108:
	s_andn2_saveexec_b32 s0, s0
; %bb.1109:
	v_mov_b32_e32 v232, 52
	ds_write2_b64 v1, v[2:3], v[4:5] offset0:106 offset1:107
; %bb.1110:
	s_or_b32 exec_lo, exec_lo, s0
	s_mov_b32 s0, exec_lo
	s_waitcnt lgkmcnt(0)
	s_waitcnt_vscnt null, 0x0
	s_barrier
	buffer_gl0_inv
	v_cmpx_lt_i32_e32 52, v232
	s_cbranch_execz .LBB106_1112
; %bb.1111:
	v_mul_f64 v[222:223], v[218:219], v[8:9]
	v_mul_f64 v[8:9], v[220:221], v[8:9]
	ds_read2_b64 v[233:236], v1 offset0:106 offset1:107
	v_fma_f64 v[220:221], v[220:221], v[6:7], v[222:223]
	v_fma_f64 v[6:7], v[218:219], v[6:7], -v[8:9]
	s_waitcnt lgkmcnt(0)
	v_mul_f64 v[8:9], v[235:236], v[220:221]
	v_mul_f64 v[218:219], v[233:234], v[220:221]
	v_fma_f64 v[8:9], v[233:234], v[6:7], -v[8:9]
	v_fma_f64 v[218:219], v[235:236], v[6:7], v[218:219]
	v_add_f64 v[2:3], v[2:3], -v[8:9]
	v_add_f64 v[4:5], v[4:5], -v[218:219]
	v_mov_b32_e32 v8, v220
	v_mov_b32_e32 v9, v221
.LBB106_1112:
	s_or_b32 exec_lo, exec_lo, s0
	v_lshl_add_u32 v218, v232, 4, v1
	s_barrier
	buffer_gl0_inv
	v_mov_b32_e32 v226, 53
	ds_write2_b64 v218, v[2:3], v[4:5] offset1:1
	s_waitcnt lgkmcnt(0)
	s_barrier
	buffer_gl0_inv
	ds_read2_b64 v[218:221], v1 offset0:106 offset1:107
	s_cmp_lt_i32 s8, 55
	s_cbranch_scc1 .LBB106_1115
; %bb.1113:
	v_add3_u32 v1, v228, 0, 0x360
	v_mov_b32_e32 v226, 53
	s_mov_b32 s1, 54
	s_inst_prefetch 0x1
	.p2align	6
.LBB106_1114:                           ; =>This Inner Loop Header: Depth=1
	s_waitcnt lgkmcnt(0)
	v_cmp_gt_f64_e32 vcc_lo, 0, v[220:221]
	v_cmp_gt_f64_e64 s0, 0, v[218:219]
	ds_read2_b64 v[233:236], v1 offset1:1
	v_xor_b32_e32 v223, 0x80000000, v219
	v_xor_b32_e32 v225, 0x80000000, v221
	v_mov_b32_e32 v222, v218
	v_mov_b32_e32 v224, v220
	v_add_nc_u32_e32 v1, 16, v1
	s_waitcnt lgkmcnt(0)
	v_xor_b32_e32 v228, 0x80000000, v236
	v_cndmask_b32_e64 v223, v219, v223, s0
	v_cndmask_b32_e32 v225, v221, v225, vcc_lo
	v_cmp_gt_f64_e32 vcc_lo, 0, v[235:236]
	v_cmp_gt_f64_e64 s0, 0, v[233:234]
	v_mov_b32_e32 v227, v235
	v_add_f64 v[222:223], v[222:223], v[224:225]
	v_xor_b32_e32 v225, 0x80000000, v234
	v_mov_b32_e32 v224, v233
	v_cndmask_b32_e32 v228, v236, v228, vcc_lo
	v_cndmask_b32_e64 v225, v234, v225, s0
	v_add_f64 v[224:225], v[224:225], v[227:228]
	v_cmp_lt_f64_e32 vcc_lo, v[222:223], v[224:225]
	v_cndmask_b32_e32 v219, v219, v234, vcc_lo
	v_cndmask_b32_e32 v218, v218, v233, vcc_lo
	;; [unrolled: 1-line block ×4, first 2 shown]
	v_cndmask_b32_e64 v226, v226, s1, vcc_lo
	s_add_i32 s1, s1, 1
	s_cmp_lg_u32 s8, s1
	s_cbranch_scc1 .LBB106_1114
.LBB106_1115:
	s_inst_prefetch 0x2
	s_waitcnt lgkmcnt(0)
	v_cmp_eq_f64_e32 vcc_lo, 0, v[218:219]
	v_cmp_eq_f64_e64 s0, 0, v[220:221]
	s_and_b32 s0, vcc_lo, s0
	s_and_saveexec_b32 s1, s0
	s_xor_b32 s0, exec_lo, s1
; %bb.1116:
	v_cmp_ne_u32_e32 vcc_lo, 0, v231
	v_cndmask_b32_e32 v231, 54, v231, vcc_lo
; %bb.1117:
	s_andn2_saveexec_b32 s0, s0
	s_cbranch_execz .LBB106_1123
; %bb.1118:
	v_cmp_ngt_f64_e64 s1, |v[218:219]|, |v[220:221]|
	s_and_saveexec_b32 s7, s1
	s_xor_b32 s1, exec_lo, s7
	s_cbranch_execz .LBB106_1120
; %bb.1119:
	v_div_scale_f64 v[222:223], null, v[220:221], v[220:221], v[218:219]
	v_div_scale_f64 v[233:234], vcc_lo, v[218:219], v[220:221], v[218:219]
	v_rcp_f64_e32 v[224:225], v[222:223]
	v_fma_f64 v[227:228], -v[222:223], v[224:225], 1.0
	v_fma_f64 v[224:225], v[224:225], v[227:228], v[224:225]
	v_fma_f64 v[227:228], -v[222:223], v[224:225], 1.0
	v_fma_f64 v[224:225], v[224:225], v[227:228], v[224:225]
	v_mul_f64 v[227:228], v[233:234], v[224:225]
	v_fma_f64 v[222:223], -v[222:223], v[227:228], v[233:234]
	v_div_fmas_f64 v[222:223], v[222:223], v[224:225], v[227:228]
	v_div_fixup_f64 v[222:223], v[222:223], v[220:221], v[218:219]
	v_fma_f64 v[218:219], v[218:219], v[222:223], v[220:221]
	v_div_scale_f64 v[220:221], null, v[218:219], v[218:219], 1.0
	v_rcp_f64_e32 v[224:225], v[220:221]
	v_fma_f64 v[227:228], -v[220:221], v[224:225], 1.0
	v_fma_f64 v[224:225], v[224:225], v[227:228], v[224:225]
	v_fma_f64 v[227:228], -v[220:221], v[224:225], 1.0
	v_fma_f64 v[224:225], v[224:225], v[227:228], v[224:225]
	v_div_scale_f64 v[227:228], vcc_lo, 1.0, v[218:219], 1.0
	v_mul_f64 v[233:234], v[227:228], v[224:225]
	v_fma_f64 v[220:221], -v[220:221], v[233:234], v[227:228]
	v_div_fmas_f64 v[220:221], v[220:221], v[224:225], v[233:234]
	v_div_fixup_f64 v[220:221], v[220:221], v[218:219], 1.0
	v_mul_f64 v[218:219], v[222:223], v[220:221]
	v_xor_b32_e32 v221, 0x80000000, v221
.LBB106_1120:
	s_andn2_saveexec_b32 s1, s1
	s_cbranch_execz .LBB106_1122
; %bb.1121:
	v_div_scale_f64 v[222:223], null, v[218:219], v[218:219], v[220:221]
	v_div_scale_f64 v[233:234], vcc_lo, v[220:221], v[218:219], v[220:221]
	v_rcp_f64_e32 v[224:225], v[222:223]
	v_fma_f64 v[227:228], -v[222:223], v[224:225], 1.0
	v_fma_f64 v[224:225], v[224:225], v[227:228], v[224:225]
	v_fma_f64 v[227:228], -v[222:223], v[224:225], 1.0
	v_fma_f64 v[224:225], v[224:225], v[227:228], v[224:225]
	v_mul_f64 v[227:228], v[233:234], v[224:225]
	v_fma_f64 v[222:223], -v[222:223], v[227:228], v[233:234]
	v_div_fmas_f64 v[222:223], v[222:223], v[224:225], v[227:228]
	v_div_fixup_f64 v[222:223], v[222:223], v[218:219], v[220:221]
	v_fma_f64 v[218:219], v[220:221], v[222:223], v[218:219]
	v_div_scale_f64 v[220:221], null, v[218:219], v[218:219], 1.0
	v_rcp_f64_e32 v[224:225], v[220:221]
	v_fma_f64 v[227:228], -v[220:221], v[224:225], 1.0
	v_fma_f64 v[224:225], v[224:225], v[227:228], v[224:225]
	v_fma_f64 v[227:228], -v[220:221], v[224:225], 1.0
	v_fma_f64 v[224:225], v[224:225], v[227:228], v[224:225]
	v_div_scale_f64 v[227:228], vcc_lo, 1.0, v[218:219], 1.0
	v_mul_f64 v[233:234], v[227:228], v[224:225]
	v_fma_f64 v[220:221], -v[220:221], v[233:234], v[227:228]
	v_div_fmas_f64 v[220:221], v[220:221], v[224:225], v[233:234]
	v_div_fixup_f64 v[218:219], v[220:221], v[218:219], 1.0
	v_mul_f64 v[220:221], v[222:223], -v[218:219]
.LBB106_1122:
	s_or_b32 exec_lo, exec_lo, s1
.LBB106_1123:
	s_or_b32 exec_lo, exec_lo, s0
	v_mov_b32_e32 v227, 53
	s_mov_b32 s0, exec_lo
	v_cmpx_ne_u32_e64 v232, v226
	s_cbranch_execz .LBB106_1129
; %bb.1124:
	s_mov_b32 s1, exec_lo
	v_cmpx_eq_u32_e32 53, v232
	s_cbranch_execz .LBB106_1128
; %bb.1125:
	v_cmp_ne_u32_e32 vcc_lo, 53, v226
	s_xor_b32 s7, s16, -1
	s_and_b32 s8, s7, vcc_lo
	s_and_saveexec_b32 s7, s8
	s_cbranch_execz .LBB106_1127
; %bb.1126:
	s_clause 0x1
	buffer_load_dword v214, off, s[20:23], 0
	buffer_load_dword v215, off, s[20:23], 0 offset:4
	v_ashrrev_i32_e32 v227, 31, v226
	v_lshlrev_b64 v[0:1], 2, v[226:227]
	s_waitcnt vmcnt(1)
	v_add_co_u32 v0, vcc_lo, v214, v0
	s_waitcnt vmcnt(0)
	v_add_co_ci_u32_e64 v1, null, v215, v1, vcc_lo
	s_clause 0x1
	global_load_dword v222, v[0:1], off
	global_load_dword v223, v[214:215], off offset:212
	s_waitcnt vmcnt(1)
	global_store_dword v[214:215], v222, off offset:212
	s_waitcnt vmcnt(0)
	global_store_dword v[0:1], v223, off
.LBB106_1127:
	s_or_b32 exec_lo, exec_lo, s7
	v_mov_b32_e32 v232, v226
	v_mov_b32_e32 v0, v226
.LBB106_1128:
	s_or_b32 exec_lo, exec_lo, s1
	v_mov_b32_e32 v227, v232
.LBB106_1129:
	s_or_b32 exec_lo, exec_lo, s0
	s_mov_b32 s0, exec_lo
	s_waitcnt_vscnt null, 0x0
	s_barrier
	buffer_gl0_inv
	v_cmpx_lt_i32_e32 53, v227
	s_cbranch_execz .LBB106_1131
; %bb.1130:
	v_mul_f64 v[222:223], v[220:221], v[4:5]
	v_mul_f64 v[4:5], v[218:219], v[4:5]
	v_fma_f64 v[218:219], v[218:219], v[2:3], -v[222:223]
	v_fma_f64 v[4:5], v[220:221], v[2:3], v[4:5]
	v_mov_b32_e32 v2, v218
	v_mov_b32_e32 v3, v219
.LBB106_1131:
	s_or_b32 exec_lo, exec_lo, s0
	v_ashrrev_i32_e32 v228, 31, v227
	s_mov_b32 s0, exec_lo
	s_barrier
	buffer_gl0_inv
	v_cmpx_gt_i32_e32 54, v227
	s_cbranch_execz .LBB106_1133
; %bb.1132:
	v_mul_lo_u32 v1, s15, v229
	v_mul_lo_u32 v220, s14, v230
	v_mad_u64_u32 v[218:219], null, s14, v229, 0
	s_lshl_b64 s[8:9], s[12:13], 2
	v_add3_u32 v0, v0, s17, 1
	v_add3_u32 v219, v219, v220, v1
	v_lshlrev_b64 v[218:219], 2, v[218:219]
	v_add_co_u32 v1, vcc_lo, s10, v218
	v_add_co_ci_u32_e64 v220, null, s11, v219, vcc_lo
	v_lshlrev_b64 v[218:219], 2, v[227:228]
	v_add_co_u32 v1, vcc_lo, v1, s8
	v_add_co_ci_u32_e64 v220, null, s9, v220, vcc_lo
	v_add_co_u32 v218, vcc_lo, v1, v218
	v_add_co_ci_u32_e64 v219, null, v220, v219, vcc_lo
	global_store_dword v[218:219], v0, off
.LBB106_1133:
	s_or_b32 exec_lo, exec_lo, s0
	s_mov_b32 s1, exec_lo
	v_cmpx_eq_u32_e32 0, v227
	s_cbranch_execz .LBB106_1136
; %bb.1134:
	v_lshlrev_b64 v[0:1], 2, v[229:230]
	v_cmp_ne_u32_e64 s0, 0, v231
	v_add_co_u32 v0, vcc_lo, s4, v0
	v_add_co_ci_u32_e64 v1, null, s5, v1, vcc_lo
	global_load_dword v218, v[0:1], off
	s_waitcnt vmcnt(0)
	v_cmp_eq_u32_e32 vcc_lo, 0, v218
	s_and_b32 s0, vcc_lo, s0
	s_and_b32 exec_lo, exec_lo, s0
	s_cbranch_execz .LBB106_1136
; %bb.1135:
	v_add_nc_u32_e32 v218, s17, v231
	global_store_dword v[0:1], v218, off
.LBB106_1136:
	s_or_b32 exec_lo, exec_lo, s1
	buffer_load_dword v224, off, s[20:23], 0 offset:8 ; 4-byte Folded Reload
	v_lshlrev_b64 v[218:219], 4, v[227:228]
	v_add3_u32 v0, s6, s6, v227
	v_add_nc_u32_e32 v220, s6, v0
	v_add_co_u32 v218, vcc_lo, v255, v218
	v_ashrrev_i32_e32 v1, 31, v0
	v_ashrrev_i32_e32 v221, 31, v220
	v_lshlrev_b64 v[0:1], 4, v[0:1]
	v_lshlrev_b64 v[214:215], 4, v[220:221]
	s_waitcnt vmcnt(0)
	v_add_co_ci_u32_e64 v219, null, v224, v219, vcc_lo
	v_add_co_u32 v222, vcc_lo, v218, s2
	v_add_co_ci_u32_e64 v223, null, s3, v219, vcc_lo
	global_store_dwordx4 v[218:219], v[249:252], off
	v_add_co_u32 v0, vcc_lo, v255, v0
	global_store_dwordx4 v[222:223], v[210:213], off
	v_add_nc_u32_e32 v210, s6, v220
	v_add_co_ci_u32_e64 v1, null, v224, v1, vcc_lo
	v_add_co_u32 v214, vcc_lo, v255, v214
	v_add_nc_u32_e32 v212, s6, v210
	v_ashrrev_i32_e32 v211, 31, v210
	v_add_co_ci_u32_e64 v215, null, v224, v215, vcc_lo
	global_store_dwordx4 v[0:1], v[206:209], off
	global_store_dwordx4 v[214:215], v[202:205], off
	v_add_nc_u32_e32 v216, s6, v212
	v_ashrrev_i32_e32 v213, 31, v212
	v_lshlrev_b64 v[210:211], 4, v[210:211]
	v_ashrrev_i32_e32 v217, 31, v216
	v_lshlrev_b64 v[0:1], 4, v[212:213]
	v_add_nc_u32_e32 v206, s6, v216
	v_add_co_u32 v202, vcc_lo, v255, v210
	v_lshlrev_b64 v[204:205], 4, v[216:217]
	v_add_co_ci_u32_e64 v203, null, v224, v211, vcc_lo
	v_add_co_u32 v0, vcc_lo, v255, v0
	v_add_co_ci_u32_e64 v1, null, v224, v1, vcc_lo
	v_add_co_u32 v204, vcc_lo, v255, v204
	v_add_nc_u32_e32 v208, s6, v206
	v_add_co_ci_u32_e64 v205, null, v224, v205, vcc_lo
	v_ashrrev_i32_e32 v207, 31, v206
	global_store_dwordx4 v[202:203], v[198:201], off
	global_store_dwordx4 v[0:1], v[194:197], off
	global_store_dwordx4 v[204:205], v[190:193], off
	v_add_nc_u32_e32 v190, s6, v208
	v_ashrrev_i32_e32 v209, 31, v208
	v_lshlrev_b64 v[198:199], 4, v[206:207]
	v_add_nc_u32_e32 v194, s6, v190
	v_lshlrev_b64 v[0:1], 4, v[208:209]
	v_ashrrev_i32_e32 v191, 31, v190
	v_add_co_u32 v192, vcc_lo, v255, v198
	v_add_nc_u32_e32 v196, s6, v194
	v_add_co_ci_u32_e64 v193, null, v224, v199, vcc_lo
	v_add_co_u32 v0, vcc_lo, v255, v0
	v_ashrrev_i32_e32 v195, 31, v194
	v_add_co_ci_u32_e64 v1, null, v224, v1, vcc_lo
	v_ashrrev_i32_e32 v197, 31, v196
	v_lshlrev_b64 v[190:191], 4, v[190:191]
	global_store_dwordx4 v[192:193], v[186:189], off
	global_store_dwordx4 v[0:1], v[182:185], off
	v_lshlrev_b64 v[0:1], 4, v[194:195]
	v_add_nc_u32_e32 v186, s6, v196
	v_lshlrev_b64 v[184:185], 4, v[196:197]
	v_add_co_u32 v182, vcc_lo, v255, v190
	v_add_co_ci_u32_e64 v183, null, v224, v191, vcc_lo
	v_add_co_u32 v0, vcc_lo, v255, v0
	v_add_co_ci_u32_e64 v1, null, v224, v1, vcc_lo
	v_add_co_u32 v184, vcc_lo, v255, v184
	v_add_nc_u32_e32 v188, s6, v186
	v_add_co_ci_u32_e64 v185, null, v224, v185, vcc_lo
	v_ashrrev_i32_e32 v187, 31, v186
	global_store_dwordx4 v[182:183], v[178:181], off
	global_store_dwordx4 v[0:1], v[174:177], off
	global_store_dwordx4 v[184:185], v[170:173], off
	v_add_nc_u32_e32 v170, s6, v188
	v_ashrrev_i32_e32 v189, 31, v188
	v_lshlrev_b64 v[178:179], 4, v[186:187]
	v_add_nc_u32_e32 v174, s6, v170
	v_lshlrev_b64 v[0:1], 4, v[188:189]
	v_ashrrev_i32_e32 v171, 31, v170
	v_add_co_u32 v172, vcc_lo, v255, v178
	v_add_nc_u32_e32 v176, s6, v174
	v_add_co_ci_u32_e64 v173, null, v224, v179, vcc_lo
	v_add_co_u32 v0, vcc_lo, v255, v0
	v_ashrrev_i32_e32 v175, 31, v174
	v_add_co_ci_u32_e64 v1, null, v224, v1, vcc_lo
	v_ashrrev_i32_e32 v177, 31, v176
	v_lshlrev_b64 v[170:171], 4, v[170:171]
	global_store_dwordx4 v[172:173], v[166:169], off
	global_store_dwordx4 v[0:1], v[162:165], off
	v_lshlrev_b64 v[0:1], 4, v[174:175]
	v_add_nc_u32_e32 v166, s6, v176
	v_lshlrev_b64 v[164:165], 4, v[176:177]
	v_add_co_u32 v162, vcc_lo, v255, v170
	;; [unrolled: 30-line block ×8, first 2 shown]
	v_add_co_ci_u32_e64 v43, null, v224, v51, vcc_lo
	v_add_co_u32 v0, vcc_lo, v255, v0
	v_add_nc_u32_e32 v48, s6, v46
	v_add_co_ci_u32_e64 v1, null, v224, v1, vcc_lo
	v_add_co_u32 v44, vcc_lo, v255, v44
	v_ashrrev_i32_e32 v47, 31, v46
	v_add_co_ci_u32_e64 v45, null, v224, v45, vcc_lo
	v_ashrrev_i32_e32 v49, 31, v48
	global_store_dwordx4 v[42:43], v[38:41], off
	v_lshlrev_b64 v[38:39], 4, v[46:47]
	global_store_dwordx4 v[0:1], v[34:37], off
	global_store_dwordx4 v[44:45], v[30:33], off
	v_add_nc_u32_e32 v30, s6, v48
	v_lshlrev_b64 v[0:1], 4, v[48:49]
	v_add_co_u32 v32, vcc_lo, v255, v38
	v_add_nc_u32_e32 v34, s6, v30
	v_add_co_ci_u32_e64 v33, null, v224, v39, vcc_lo
	v_add_co_u32 v0, vcc_lo, v255, v0
	v_add_co_ci_u32_e64 v1, null, v224, v1, vcc_lo
	v_add_nc_u32_e32 v36, s6, v34
	v_ashrrev_i32_e32 v31, 31, v30
	global_store_dwordx4 v[32:33], v[26:29], off
	global_store_dwordx4 v[0:1], v[22:25], off
	v_ashrrev_i32_e32 v35, 31, v34
	v_add_nc_u32_e32 v22, s6, v36
	v_lshlrev_b64 v[26:27], 4, v[30:31]
	v_ashrrev_i32_e32 v37, 31, v36
	v_lshlrev_b64 v[0:1], 4, v[34:35]
	v_add_nc_u32_e32 v28, s6, v22
	v_ashrrev_i32_e32 v23, 31, v22
	v_add_co_u32 v24, vcc_lo, v255, v26
	v_add_co_ci_u32_e64 v25, null, v224, v27, vcc_lo
	v_ashrrev_i32_e32 v29, 31, v28
	v_lshlrev_b64 v[26:27], 4, v[36:37]
	v_lshlrev_b64 v[22:23], 4, v[22:23]
	v_add_co_u32 v0, vcc_lo, v255, v0
	v_lshlrev_b64 v[28:29], 4, v[28:29]
	v_add_co_ci_u32_e64 v1, null, v224, v1, vcc_lo
	v_add_co_u32 v26, vcc_lo, v255, v26
	v_add_co_ci_u32_e64 v27, null, v224, v27, vcc_lo
	v_add_co_u32 v22, vcc_lo, v255, v22
	;; [unrolled: 2-line block ×3, first 2 shown]
	v_add_co_ci_u32_e64 v29, null, v224, v29, vcc_lo
	global_store_dwordx4 v[24:25], v[18:21], off
	global_store_dwordx4 v[0:1], v[14:17], off
	;; [unrolled: 1-line block ×5, first 2 shown]
.LBB106_1137:
	s_endpgm
	.section	.rodata,"a",@progbits
	.p2align	6, 0x0
	.amdhsa_kernel _ZN9rocsolver6v33100L18getf2_small_kernelILi54E19rocblas_complex_numIdEiiPS3_EEvT1_T3_lS5_lPS5_llPT2_S5_S5_S7_l
		.amdhsa_group_segment_fixed_size 0
		.amdhsa_private_segment_fixed_size 16
		.amdhsa_kernarg_size 352
		.amdhsa_user_sgpr_count 6
		.amdhsa_user_sgpr_private_segment_buffer 1
		.amdhsa_user_sgpr_dispatch_ptr 0
		.amdhsa_user_sgpr_queue_ptr 0
		.amdhsa_user_sgpr_kernarg_segment_ptr 1
		.amdhsa_user_sgpr_dispatch_id 0
		.amdhsa_user_sgpr_flat_scratch_init 0
		.amdhsa_user_sgpr_private_segment_size 0
		.amdhsa_wavefront_size32 1
		.amdhsa_uses_dynamic_stack 0
		.amdhsa_system_sgpr_private_segment_wavefront_offset 1
		.amdhsa_system_sgpr_workgroup_id_x 1
		.amdhsa_system_sgpr_workgroup_id_y 1
		.amdhsa_system_sgpr_workgroup_id_z 0
		.amdhsa_system_sgpr_workgroup_info 0
		.amdhsa_system_vgpr_workitem_id 1
		.amdhsa_next_free_vgpr 256
		.amdhsa_next_free_sgpr 24
		.amdhsa_reserve_vcc 1
		.amdhsa_reserve_flat_scratch 0
		.amdhsa_float_round_mode_32 0
		.amdhsa_float_round_mode_16_64 0
		.amdhsa_float_denorm_mode_32 3
		.amdhsa_float_denorm_mode_16_64 3
		.amdhsa_dx10_clamp 1
		.amdhsa_ieee_mode 1
		.amdhsa_fp16_overflow 0
		.amdhsa_workgroup_processor_mode 1
		.amdhsa_memory_ordered 1
		.amdhsa_forward_progress 1
		.amdhsa_shared_vgpr_count 0
		.amdhsa_exception_fp_ieee_invalid_op 0
		.amdhsa_exception_fp_denorm_src 0
		.amdhsa_exception_fp_ieee_div_zero 0
		.amdhsa_exception_fp_ieee_overflow 0
		.amdhsa_exception_fp_ieee_underflow 0
		.amdhsa_exception_fp_ieee_inexact 0
		.amdhsa_exception_int_div_zero 0
	.end_amdhsa_kernel
	.section	.text._ZN9rocsolver6v33100L18getf2_small_kernelILi54E19rocblas_complex_numIdEiiPS3_EEvT1_T3_lS5_lPS5_llPT2_S5_S5_S7_l,"axG",@progbits,_ZN9rocsolver6v33100L18getf2_small_kernelILi54E19rocblas_complex_numIdEiiPS3_EEvT1_T3_lS5_lPS5_llPT2_S5_S5_S7_l,comdat
.Lfunc_end106:
	.size	_ZN9rocsolver6v33100L18getf2_small_kernelILi54E19rocblas_complex_numIdEiiPS3_EEvT1_T3_lS5_lPS5_llPT2_S5_S5_S7_l, .Lfunc_end106-_ZN9rocsolver6v33100L18getf2_small_kernelILi54E19rocblas_complex_numIdEiiPS3_EEvT1_T3_lS5_lPS5_llPT2_S5_S5_S7_l
                                        ; -- End function
	.set _ZN9rocsolver6v33100L18getf2_small_kernelILi54E19rocblas_complex_numIdEiiPS3_EEvT1_T3_lS5_lPS5_llPT2_S5_S5_S7_l.num_vgpr, 256
	.set _ZN9rocsolver6v33100L18getf2_small_kernelILi54E19rocblas_complex_numIdEiiPS3_EEvT1_T3_lS5_lPS5_llPT2_S5_S5_S7_l.num_agpr, 0
	.set _ZN9rocsolver6v33100L18getf2_small_kernelILi54E19rocblas_complex_numIdEiiPS3_EEvT1_T3_lS5_lPS5_llPT2_S5_S5_S7_l.numbered_sgpr, 24
	.set _ZN9rocsolver6v33100L18getf2_small_kernelILi54E19rocblas_complex_numIdEiiPS3_EEvT1_T3_lS5_lPS5_llPT2_S5_S5_S7_l.num_named_barrier, 0
	.set _ZN9rocsolver6v33100L18getf2_small_kernelILi54E19rocblas_complex_numIdEiiPS3_EEvT1_T3_lS5_lPS5_llPT2_S5_S5_S7_l.private_seg_size, 16
	.set _ZN9rocsolver6v33100L18getf2_small_kernelILi54E19rocblas_complex_numIdEiiPS3_EEvT1_T3_lS5_lPS5_llPT2_S5_S5_S7_l.uses_vcc, 1
	.set _ZN9rocsolver6v33100L18getf2_small_kernelILi54E19rocblas_complex_numIdEiiPS3_EEvT1_T3_lS5_lPS5_llPT2_S5_S5_S7_l.uses_flat_scratch, 0
	.set _ZN9rocsolver6v33100L18getf2_small_kernelILi54E19rocblas_complex_numIdEiiPS3_EEvT1_T3_lS5_lPS5_llPT2_S5_S5_S7_l.has_dyn_sized_stack, 0
	.set _ZN9rocsolver6v33100L18getf2_small_kernelILi54E19rocblas_complex_numIdEiiPS3_EEvT1_T3_lS5_lPS5_llPT2_S5_S5_S7_l.has_recursion, 0
	.set _ZN9rocsolver6v33100L18getf2_small_kernelILi54E19rocblas_complex_numIdEiiPS3_EEvT1_T3_lS5_lPS5_llPT2_S5_S5_S7_l.has_indirect_call, 0
	.section	.AMDGPU.csdata,"",@progbits
; Kernel info:
; codeLenInByte = 156872
; TotalNumSgprs: 26
; NumVgprs: 256
; ScratchSize: 16
; MemoryBound: 0
; FloatMode: 240
; IeeeMode: 1
; LDSByteSize: 0 bytes/workgroup (compile time only)
; SGPRBlocks: 0
; VGPRBlocks: 31
; NumSGPRsForWavesPerEU: 26
; NumVGPRsForWavesPerEU: 256
; Occupancy: 4
; WaveLimiterHint : 0
; COMPUTE_PGM_RSRC2:SCRATCH_EN: 1
; COMPUTE_PGM_RSRC2:USER_SGPR: 6
; COMPUTE_PGM_RSRC2:TRAP_HANDLER: 0
; COMPUTE_PGM_RSRC2:TGID_X_EN: 1
; COMPUTE_PGM_RSRC2:TGID_Y_EN: 1
; COMPUTE_PGM_RSRC2:TGID_Z_EN: 0
; COMPUTE_PGM_RSRC2:TIDIG_COMP_CNT: 1
	.section	.text._ZN9rocsolver6v33100L23getf2_npvt_small_kernelILi54E19rocblas_complex_numIdEiiPS3_EEvT1_T3_lS5_lPT2_S5_S5_,"axG",@progbits,_ZN9rocsolver6v33100L23getf2_npvt_small_kernelILi54E19rocblas_complex_numIdEiiPS3_EEvT1_T3_lS5_lPT2_S5_S5_,comdat
	.globl	_ZN9rocsolver6v33100L23getf2_npvt_small_kernelILi54E19rocblas_complex_numIdEiiPS3_EEvT1_T3_lS5_lPT2_S5_S5_ ; -- Begin function _ZN9rocsolver6v33100L23getf2_npvt_small_kernelILi54E19rocblas_complex_numIdEiiPS3_EEvT1_T3_lS5_lPT2_S5_S5_
	.p2align	8
	.type	_ZN9rocsolver6v33100L23getf2_npvt_small_kernelILi54E19rocblas_complex_numIdEiiPS3_EEvT1_T3_lS5_lPT2_S5_S5_,@function
_ZN9rocsolver6v33100L23getf2_npvt_small_kernelILi54E19rocblas_complex_numIdEiiPS3_EEvT1_T3_lS5_lPT2_S5_S5_: ; @_ZN9rocsolver6v33100L23getf2_npvt_small_kernelILi54E19rocblas_complex_numIdEiiPS3_EEvT1_T3_lS5_lPT2_S5_S5_
; %bb.0:
	s_mov_b64 s[18:19], s[2:3]
	s_mov_b64 s[16:17], s[0:1]
	s_clause 0x1
	s_load_dword s0, s[4:5], 0x44
	s_load_dwordx2 s[12:13], s[4:5], 0x30
	s_add_u32 s16, s16, s8
	s_addc_u32 s17, s17, 0
	s_waitcnt lgkmcnt(0)
	s_lshr_b32 s14, s0, 16
	s_mov_b32 s0, exec_lo
	v_mad_u64_u32 v[193:194], null, s7, s14, v[1:2]
	v_cmpx_gt_i32_e64 s12, v193
	s_cbranch_execnz .LBB107_1
; %bb.492:
	s_getpc_b64 s[20:21]
.Lpost_getpc9:
	s_add_u32 s20, s20, (.LBB107_491-.Lpost_getpc9)&4294967295
	s_addc_u32 s21, s21, (.LBB107_491-.Lpost_getpc9)>>32
	s_setpc_b64 s[20:21]
.LBB107_1:
	s_clause 0x2
	s_load_dwordx4 s[8:11], s[4:5], 0x20
	s_load_dword s6, s[4:5], 0x18
	s_load_dwordx4 s[0:3], s[4:5], 0x8
	v_ashrrev_i32_e32 v194, 31, v193
	v_mad_u32_u24 v253, 0x360, v1, 0
	v_lshlrev_b32_e32 v1, 4, v1
	s_mulk_i32 s14, 0x360
	v_add3_u32 v255, 0, s14, v1
	s_waitcnt lgkmcnt(0)
	v_mul_lo_u32 v5, s9, v193
	v_mul_lo_u32 v7, s8, v194
	v_mad_u64_u32 v[2:3], null, s8, v193, 0
	v_add3_u32 v4, s6, s6, v0
	s_lshl_b64 s[2:3], s[2:3], 4
	s_ashr_i32 s7, s6, 31
	v_add_nc_u32_e32 v6, s6, v4
	v_add3_u32 v3, v3, v7, v5
	v_ashrrev_i32_e32 v5, 31, v4
	v_add_nc_u32_e32 v8, s6, v6
	v_lshlrev_b64 v[2:3], 4, v[2:3]
	v_ashrrev_i32_e32 v7, 31, v6
	v_lshlrev_b64 v[4:5], 4, v[4:5]
	v_add_nc_u32_e32 v10, s6, v8
	v_ashrrev_i32_e32 v9, 31, v8
	v_add_co_u32 v2, vcc_lo, s0, v2
	v_add_co_ci_u32_e64 v3, null, s1, v3, vcc_lo
	v_add_nc_u32_e32 v12, s6, v10
	v_add_co_u32 v2, vcc_lo, v2, s2
	v_lshlrev_b64 v[6:7], 4, v[6:7]
	v_ashrrev_i32_e32 v11, 31, v10
	v_add_co_ci_u32_e64 v3, null, s3, v3, vcc_lo
	v_add_nc_u32_e32 v14, s6, v12
	v_lshlrev_b64 v[8:9], 4, v[8:9]
	v_ashrrev_i32_e32 v13, 31, v12
	v_add_co_u32 v201, vcc_lo, v2, v4
	v_lshlrev_b64 v[10:11], 4, v[10:11]
	v_add_co_ci_u32_e64 v202, null, v3, v5, vcc_lo
	v_add_co_u32 v16, vcc_lo, v2, v6
	v_add_nc_u32_e32 v6, s6, v14
	v_lshlrev_b64 v[4:5], 4, v[12:13]
	v_ashrrev_i32_e32 v15, 31, v14
	v_add_co_ci_u32_e64 v17, null, v3, v7, vcc_lo
	v_add_co_u32 v247, vcc_lo, v2, v8
	v_add_co_ci_u32_e64 v248, null, v3, v9, vcc_lo
	v_add_co_u32 v203, vcc_lo, v2, v10
	v_ashrrev_i32_e32 v7, 31, v6
	v_add_nc_u32_e32 v10, s6, v6
	v_lshlrev_b64 v[8:9], 4, v[14:15]
	v_add_co_ci_u32_e64 v204, null, v3, v11, vcc_lo
	v_add_co_u32 v12, vcc_lo, v2, v4
	v_add_co_ci_u32_e64 v13, null, v3, v5, vcc_lo
	v_lshlrev_b64 v[4:5], 4, v[6:7]
	v_ashrrev_i32_e32 v11, 31, v10
	v_add_nc_u32_e32 v6, s6, v10
	v_add_co_u32 v207, vcc_lo, v2, v8
	v_add_co_ci_u32_e64 v208, null, v3, v9, vcc_lo
	v_lshlrev_b64 v[8:9], 4, v[10:11]
	v_ashrrev_i32_e32 v7, 31, v6
	v_add_nc_u32_e32 v10, s6, v6
	;; [unrolled: 5-line block ×43, first 2 shown]
	v_add_co_u32 v223, vcc_lo, v2, v8
	v_add_co_ci_u32_e64 v224, null, v3, v9, vcc_lo
	v_lshlrev_b64 v[8:9], 4, v[10:11]
	v_add_nc_u32_e32 v10, s6, v6
	v_ashrrev_i32_e32 v7, 31, v6
	v_add_co_u32 v225, vcc_lo, v2, v4
	v_add_co_ci_u32_e64 v226, null, v3, v5, vcc_lo
	v_ashrrev_i32_e32 v11, 31, v10
	v_lshlrev_b64 v[4:5], 4, v[6:7]
	v_add_co_u32 v8, vcc_lo, v2, v8
	v_add_co_ci_u32_e64 v9, null, v3, v9, vcc_lo
	v_lshlrev_b64 v[6:7], 4, v[10:11]
	v_add_co_u32 v227, vcc_lo, v2, v4
	v_lshlrev_b32_e32 v4, 4, v0
	v_add_co_ci_u32_e64 v228, null, v3, v5, vcc_lo
	v_add_co_u32 v229, vcc_lo, v2, v6
	v_add_co_ci_u32_e64 v230, null, v3, v7, vcc_lo
	v_add_co_u32 v2, vcc_lo, v2, v4
	v_add_co_ci_u32_e64 v3, null, 0, v3, vcc_lo
	s_lshl_b64 s[0:1], s[6:7], 4
	v_add_co_u32 v4, vcc_lo, v2, s0
	v_add_co_ci_u32_e64 v5, null, s1, v3, vcc_lo
	buffer_store_dword v2, off, s[16:19], 0 offset:456 ; 4-byte Folded Spill
	buffer_store_dword v3, off, s[16:19], 0 offset:460 ; 4-byte Folded Spill
	v_cmp_ne_u32_e64 s1, 0, v0
	v_cmp_eq_u32_e64 s0, 0, v0
	global_load_dwordx4 v[60:63], v[2:3], off
	s_waitcnt vmcnt(0)
	buffer_store_dword v60, off, s[16:19], 0 offset:128 ; 4-byte Folded Spill
	buffer_store_dword v61, off, s[16:19], 0 offset:132 ; 4-byte Folded Spill
	;; [unrolled: 1-line block ×6, first 2 shown]
	global_load_dwordx4 v[1:4], v[4:5], off
	s_waitcnt vmcnt(0)
	buffer_store_dword v1, off, s[16:19], 0 offset:112 ; 4-byte Folded Spill
	buffer_store_dword v2, off, s[16:19], 0 offset:116 ; 4-byte Folded Spill
	;; [unrolled: 1-line block ×4, first 2 shown]
	global_load_dwordx4 v[1:4], v[201:202], off
	s_waitcnt vmcnt(0)
	buffer_store_dword v1, off, s[16:19], 0 offset:96 ; 4-byte Folded Spill
	buffer_store_dword v2, off, s[16:19], 0 offset:100 ; 4-byte Folded Spill
	;; [unrolled: 1-line block ×6, first 2 shown]
	global_load_dwordx4 v[1:4], v[16:17], off
	s_waitcnt vmcnt(0)
	buffer_store_dword v1, off, s[16:19], 0 offset:80 ; 4-byte Folded Spill
	buffer_store_dword v2, off, s[16:19], 0 offset:84 ; 4-byte Folded Spill
	buffer_store_dword v3, off, s[16:19], 0 offset:88 ; 4-byte Folded Spill
	buffer_store_dword v4, off, s[16:19], 0 offset:92 ; 4-byte Folded Spill
	global_load_dwordx4 v[1:4], v[247:248], off
	s_waitcnt vmcnt(0)
	buffer_store_dword v1, off, s[16:19], 0 offset:64 ; 4-byte Folded Spill
	buffer_store_dword v2, off, s[16:19], 0 offset:68 ; 4-byte Folded Spill
	buffer_store_dword v3, off, s[16:19], 0 offset:72 ; 4-byte Folded Spill
	buffer_store_dword v4, off, s[16:19], 0 offset:76 ; 4-byte Folded Spill
	;; [unrolled: 6-line block ×3, first 2 shown]
	buffer_store_dword v12, off, s[16:19], 0 offset:152 ; 4-byte Folded Spill
	buffer_store_dword v13, off, s[16:19], 0 offset:156 ; 4-byte Folded Spill
	global_load_dwordx4 v[1:4], v[12:13], off
	s_waitcnt vmcnt(0)
	buffer_store_dword v1, off, s[16:19], 0 offset:32 ; 4-byte Folded Spill
	buffer_store_dword v2, off, s[16:19], 0 offset:36 ; 4-byte Folded Spill
	;; [unrolled: 1-line block ×4, first 2 shown]
	global_load_dwordx4 v[1:4], v[207:208], off
	s_waitcnt vmcnt(0)
	buffer_store_dword v1, off, s[16:19], 0 offset:16 ; 4-byte Folded Spill
	buffer_store_dword v2, off, s[16:19], 0 offset:20 ; 4-byte Folded Spill
	;; [unrolled: 1-line block ×4, first 2 shown]
	global_load_dwordx4 v[1:4], v[199:200], off
	s_waitcnt vmcnt(0)
	buffer_store_dword v1, off, s[16:19], 0 ; 4-byte Folded Spill
	buffer_store_dword v2, off, s[16:19], 0 offset:4 ; 4-byte Folded Spill
	buffer_store_dword v3, off, s[16:19], 0 offset:8 ; 4-byte Folded Spill
	;; [unrolled: 1-line block ×5, first 2 shown]
	global_load_dwordx4 v[177:180], v[44:45], off
	buffer_store_dword v14, off, s[16:19], 0 offset:160 ; 4-byte Folded Spill
	buffer_store_dword v15, off, s[16:19], 0 offset:164 ; 4-byte Folded Spill
	global_load_dwordx4 v[173:176], v[14:15], off
	buffer_store_dword v18, off, s[16:19], 0 offset:168 ; 4-byte Folded Spill
	buffer_store_dword v19, off, s[16:19], 0 offset:172 ; 4-byte Folded Spill
	;; [unrolled: 3-line block ×14, first 2 shown]
	s_clause 0x1
	global_load_dwordx4 v[121:124], v[42:43], off
	global_load_dwordx4 v[117:120], v[195:196], off
	buffer_store_dword v46, off, s[16:19], 0 offset:280 ; 4-byte Folded Spill
	buffer_store_dword v47, off, s[16:19], 0 offset:284 ; 4-byte Folded Spill
	s_clause 0x2
	global_load_dwordx4 v[113:116], v[46:47], off
	global_load_dwordx4 v[109:112], v[189:190], off
	global_load_dwordx4 v[105:108], v[191:192], off
	buffer_store_dword v48, off, s[16:19], 0 offset:288 ; 4-byte Folded Spill
	buffer_store_dword v49, off, s[16:19], 0 offset:292 ; 4-byte Folded Spill
	s_clause 0x2
	global_load_dwordx4 v[101:104], v[48:49], off
	;; [unrolled: 6-line block ×3, first 2 shown]
	global_load_dwordx4 v[85:88], v[249:250], off
	buffer_store_dword v66, off, s[16:19], 0 offset:880 ; 4-byte Folded Spill
	buffer_store_dword v67, off, s[16:19], 0 offset:884 ; 4-byte Folded Spill
	global_load_dwordx4 v[81:84], v[66:67], off
	buffer_store_dword v50, off, s[16:19], 0 offset:296 ; 4-byte Folded Spill
	buffer_store_dword v51, off, s[16:19], 0 offset:300 ; 4-byte Folded Spill
	;; [unrolled: 3-line block ×21, first 2 shown]
	global_load_dwordx4 v[1:4], v[229:230], off
	s_and_saveexec_b32 s3, s0
	s_cbranch_execz .LBB107_8
; %bb.2:
	s_clause 0x3
	buffer_load_dword v209, off, s[16:19], 0 offset:128
	buffer_load_dword v210, off, s[16:19], 0 offset:132
	;; [unrolled: 1-line block ×4, first 2 shown]
	s_waitcnt vmcnt(0)
	ds_write2_b64 v255, v[209:210], v[211:212] offset1:1
	s_clause 0x3
	buffer_load_dword v209, off, s[16:19], 0 offset:112
	buffer_load_dword v210, off, s[16:19], 0 offset:116
	buffer_load_dword v211, off, s[16:19], 0 offset:120
	buffer_load_dword v212, off, s[16:19], 0 offset:124
	s_waitcnt vmcnt(0)
	ds_write2_b64 v253, v[209:210], v[211:212] offset0:2 offset1:3
	s_clause 0x3
	buffer_load_dword v209, off, s[16:19], 0 offset:96
	buffer_load_dword v210, off, s[16:19], 0 offset:100
	buffer_load_dword v211, off, s[16:19], 0 offset:104
	buffer_load_dword v212, off, s[16:19], 0 offset:108
	s_waitcnt vmcnt(0)
	ds_write2_b64 v253, v[209:210], v[211:212] offset0:4 offset1:5
	;; [unrolled: 7-line block ×7, first 2 shown]
	s_clause 0x3
	buffer_load_dword v209, off, s[16:19], 0
	buffer_load_dword v210, off, s[16:19], 0 offset:4
	buffer_load_dword v211, off, s[16:19], 0 offset:8
	;; [unrolled: 1-line block ×3, first 2 shown]
	s_waitcnt vmcnt(0)
	ds_write2_b64 v253, v[209:210], v[211:212] offset0:16 offset1:17
	ds_write2_b64 v253, v[177:178], v[179:180] offset0:18 offset1:19
	;; [unrolled: 1-line block ×46, first 2 shown]
	ds_read2_b64 v[209:212], v255 offset1:1
	s_waitcnt lgkmcnt(0)
	v_cmp_neq_f64_e32 vcc_lo, 0, v[209:210]
	v_cmp_neq_f64_e64 s2, 0, v[211:212]
	s_or_b32 s2, vcc_lo, s2
	s_and_b32 exec_lo, exec_lo, s2
	s_cbranch_execz .LBB107_8
; %bb.3:
	v_cmp_ngt_f64_e64 s2, |v[209:210]|, |v[211:212]|
                                        ; implicit-def: $vgpr213_vgpr214
	s_and_saveexec_b32 s4, s2
	s_xor_b32 s2, exec_lo, s4
                                        ; implicit-def: $vgpr215_vgpr216
	s_cbranch_execz .LBB107_5
; %bb.4:
	v_div_scale_f64 v[213:214], null, v[211:212], v[211:212], v[209:210]
	v_div_scale_f64 v[219:220], vcc_lo, v[209:210], v[211:212], v[209:210]
	v_rcp_f64_e32 v[215:216], v[213:214]
	v_fma_f64 v[217:218], -v[213:214], v[215:216], 1.0
	v_fma_f64 v[215:216], v[215:216], v[217:218], v[215:216]
	v_fma_f64 v[217:218], -v[213:214], v[215:216], 1.0
	v_fma_f64 v[215:216], v[215:216], v[217:218], v[215:216]
	v_mul_f64 v[217:218], v[219:220], v[215:216]
	v_fma_f64 v[213:214], -v[213:214], v[217:218], v[219:220]
	v_div_fmas_f64 v[213:214], v[213:214], v[215:216], v[217:218]
	v_div_fixup_f64 v[213:214], v[213:214], v[211:212], v[209:210]
	v_fma_f64 v[209:210], v[209:210], v[213:214], v[211:212]
	v_div_scale_f64 v[211:212], null, v[209:210], v[209:210], 1.0
	v_rcp_f64_e32 v[215:216], v[211:212]
	v_fma_f64 v[217:218], -v[211:212], v[215:216], 1.0
	v_fma_f64 v[215:216], v[215:216], v[217:218], v[215:216]
	v_fma_f64 v[217:218], -v[211:212], v[215:216], 1.0
	v_fma_f64 v[215:216], v[215:216], v[217:218], v[215:216]
	v_div_scale_f64 v[217:218], vcc_lo, 1.0, v[209:210], 1.0
	v_mul_f64 v[219:220], v[217:218], v[215:216]
	v_fma_f64 v[211:212], -v[211:212], v[219:220], v[217:218]
	v_div_fmas_f64 v[211:212], v[211:212], v[215:216], v[219:220]
	v_div_fixup_f64 v[215:216], v[211:212], v[209:210], 1.0
                                        ; implicit-def: $vgpr209_vgpr210
	v_mul_f64 v[213:214], v[213:214], v[215:216]
	v_xor_b32_e32 v216, 0x80000000, v216
.LBB107_5:
	s_andn2_saveexec_b32 s2, s2
	s_cbranch_execz .LBB107_7
; %bb.6:
	v_div_scale_f64 v[213:214], null, v[209:210], v[209:210], v[211:212]
	v_div_scale_f64 v[219:220], vcc_lo, v[211:212], v[209:210], v[211:212]
	v_rcp_f64_e32 v[215:216], v[213:214]
	v_fma_f64 v[217:218], -v[213:214], v[215:216], 1.0
	v_fma_f64 v[215:216], v[215:216], v[217:218], v[215:216]
	v_fma_f64 v[217:218], -v[213:214], v[215:216], 1.0
	v_fma_f64 v[215:216], v[215:216], v[217:218], v[215:216]
	v_mul_f64 v[217:218], v[219:220], v[215:216]
	v_fma_f64 v[213:214], -v[213:214], v[217:218], v[219:220]
	v_div_fmas_f64 v[213:214], v[213:214], v[215:216], v[217:218]
	v_div_fixup_f64 v[215:216], v[213:214], v[209:210], v[211:212]
	v_fma_f64 v[209:210], v[211:212], v[215:216], v[209:210]
	v_div_scale_f64 v[211:212], null, v[209:210], v[209:210], 1.0
	v_rcp_f64_e32 v[213:214], v[211:212]
	v_fma_f64 v[217:218], -v[211:212], v[213:214], 1.0
	v_fma_f64 v[213:214], v[213:214], v[217:218], v[213:214]
	v_fma_f64 v[217:218], -v[211:212], v[213:214], 1.0
	v_fma_f64 v[213:214], v[213:214], v[217:218], v[213:214]
	v_div_scale_f64 v[217:218], vcc_lo, 1.0, v[209:210], 1.0
	v_mul_f64 v[219:220], v[217:218], v[213:214]
	v_fma_f64 v[211:212], -v[211:212], v[219:220], v[217:218]
	v_div_fmas_f64 v[211:212], v[211:212], v[213:214], v[219:220]
	v_div_fixup_f64 v[213:214], v[211:212], v[209:210], 1.0
	v_mul_f64 v[215:216], v[215:216], -v[213:214]
.LBB107_7:
	s_or_b32 exec_lo, exec_lo, s2
	ds_write2_b64 v255, v[213:214], v[215:216] offset1:1
.LBB107_8:
	s_or_b32 exec_lo, exec_lo, s3
	s_waitcnt vmcnt(0) lgkmcnt(0)
	s_waitcnt_vscnt null, 0x0
	s_barrier
	buffer_gl0_inv
	ds_read2_b64 v[209:212], v255 offset1:1
	s_waitcnt lgkmcnt(0)
	buffer_store_dword v209, off, s[16:19], 0 offset:472 ; 4-byte Folded Spill
	buffer_store_dword v210, off, s[16:19], 0 offset:476 ; 4-byte Folded Spill
	;; [unrolled: 1-line block ×4, first 2 shown]
	s_and_saveexec_b32 s2, s1
	s_cbranch_execz .LBB107_10
; %bb.9:
	s_clause 0x7
	buffer_load_dword v219, off, s[16:19], 0 offset:128
	buffer_load_dword v220, off, s[16:19], 0 offset:132
	;; [unrolled: 1-line block ×8, first 2 shown]
	s_waitcnt vmcnt(0)
	v_mul_f64 v[209:210], v[213:214], v[221:222]
	v_fma_f64 v[209:210], v[211:212], v[219:220], -v[209:210]
	v_mul_f64 v[211:212], v[211:212], v[221:222]
	v_fma_f64 v[221:222], v[213:214], v[219:220], v[211:212]
	ds_read2_b64 v[211:214], v253 offset0:2 offset1:3
	s_clause 0x3
	buffer_load_dword v217, off, s[16:19], 0 offset:112
	buffer_load_dword v218, off, s[16:19], 0 offset:116
	buffer_load_dword v219, off, s[16:19], 0 offset:120
	buffer_load_dword v220, off, s[16:19], 0 offset:124
	s_waitcnt lgkmcnt(0)
	v_mul_f64 v[215:216], v[213:214], v[221:222]
	v_fma_f64 v[215:216], v[211:212], v[209:210], -v[215:216]
	v_mul_f64 v[211:212], v[211:212], v[221:222]
	v_fma_f64 v[211:212], v[213:214], v[209:210], v[211:212]
	s_waitcnt vmcnt(2)
	v_add_f64 v[217:218], v[217:218], -v[215:216]
	s_waitcnt vmcnt(0)
	v_add_f64 v[219:220], v[219:220], -v[211:212]
	buffer_store_dword v217, off, s[16:19], 0 offset:112 ; 4-byte Folded Spill
	buffer_store_dword v218, off, s[16:19], 0 offset:116 ; 4-byte Folded Spill
	buffer_store_dword v219, off, s[16:19], 0 offset:120 ; 4-byte Folded Spill
	buffer_store_dword v220, off, s[16:19], 0 offset:124 ; 4-byte Folded Spill
	ds_read2_b64 v[211:214], v253 offset0:4 offset1:5
	s_clause 0x3
	buffer_load_dword v217, off, s[16:19], 0 offset:96
	buffer_load_dword v218, off, s[16:19], 0 offset:100
	buffer_load_dword v219, off, s[16:19], 0 offset:104
	buffer_load_dword v220, off, s[16:19], 0 offset:108
	s_waitcnt lgkmcnt(0)
	v_mul_f64 v[215:216], v[213:214], v[221:222]
	v_fma_f64 v[215:216], v[211:212], v[209:210], -v[215:216]
	v_mul_f64 v[211:212], v[211:212], v[221:222]
	v_fma_f64 v[211:212], v[213:214], v[209:210], v[211:212]
	s_waitcnt vmcnt(2)
	v_add_f64 v[217:218], v[217:218], -v[215:216]
	s_waitcnt vmcnt(0)
	v_add_f64 v[219:220], v[219:220], -v[211:212]
	buffer_store_dword v217, off, s[16:19], 0 offset:96 ; 4-byte Folded Spill
	buffer_store_dword v218, off, s[16:19], 0 offset:100 ; 4-byte Folded Spill
	buffer_store_dword v219, off, s[16:19], 0 offset:104 ; 4-byte Folded Spill
	buffer_store_dword v220, off, s[16:19], 0 offset:108 ; 4-byte Folded Spill
	;; [unrolled: 19-line block ×7, first 2 shown]
	ds_read2_b64 v[211:214], v253 offset0:16 offset1:17
	s_clause 0x3
	buffer_load_dword v217, off, s[16:19], 0
	buffer_load_dword v218, off, s[16:19], 0 offset:4
	buffer_load_dword v219, off, s[16:19], 0 offset:8
	;; [unrolled: 1-line block ×3, first 2 shown]
	s_waitcnt lgkmcnt(0)
	v_mul_f64 v[215:216], v[213:214], v[221:222]
	v_fma_f64 v[215:216], v[211:212], v[209:210], -v[215:216]
	v_mul_f64 v[211:212], v[211:212], v[221:222]
	v_fma_f64 v[211:212], v[213:214], v[209:210], v[211:212]
	s_waitcnt vmcnt(2)
	v_add_f64 v[217:218], v[217:218], -v[215:216]
	s_waitcnt vmcnt(0)
	v_add_f64 v[219:220], v[219:220], -v[211:212]
	buffer_store_dword v217, off, s[16:19], 0 ; 4-byte Folded Spill
	buffer_store_dword v218, off, s[16:19], 0 offset:4 ; 4-byte Folded Spill
	buffer_store_dword v219, off, s[16:19], 0 offset:8 ; 4-byte Folded Spill
	;; [unrolled: 1-line block ×3, first 2 shown]
	ds_read2_b64 v[211:214], v253 offset0:18 offset1:19
	v_mov_b32_e32 v220, v210
	v_mov_b32_e32 v219, v209
	s_waitcnt lgkmcnt(0)
	v_mul_f64 v[215:216], v[213:214], v[221:222]
	v_fma_f64 v[215:216], v[211:212], v[209:210], -v[215:216]
	v_mul_f64 v[211:212], v[211:212], v[221:222]
	v_add_f64 v[177:178], v[177:178], -v[215:216]
	v_fma_f64 v[211:212], v[213:214], v[209:210], v[211:212]
	v_add_f64 v[179:180], v[179:180], -v[211:212]
	ds_read2_b64 v[211:214], v253 offset0:20 offset1:21
	s_waitcnt lgkmcnt(0)
	v_mul_f64 v[215:216], v[213:214], v[221:222]
	v_fma_f64 v[215:216], v[211:212], v[209:210], -v[215:216]
	v_mul_f64 v[211:212], v[211:212], v[221:222]
	v_add_f64 v[173:174], v[173:174], -v[215:216]
	v_fma_f64 v[211:212], v[213:214], v[209:210], v[211:212]
	v_add_f64 v[175:176], v[175:176], -v[211:212]
	ds_read2_b64 v[211:214], v253 offset0:22 offset1:23
	;; [unrolled: 8-line block ×44, first 2 shown]
	s_waitcnt lgkmcnt(0)
	v_mul_f64 v[215:216], v[213:214], v[221:222]
	v_fma_f64 v[215:216], v[211:212], v[209:210], -v[215:216]
	v_mul_f64 v[211:212], v[211:212], v[221:222]
	buffer_store_dword v219, off, s[16:19], 0 offset:128 ; 4-byte Folded Spill
	buffer_store_dword v220, off, s[16:19], 0 offset:132 ; 4-byte Folded Spill
	buffer_store_dword v221, off, s[16:19], 0 offset:136 ; 4-byte Folded Spill
	buffer_store_dword v222, off, s[16:19], 0 offset:140 ; 4-byte Folded Spill
	v_add_f64 v[1:2], v[1:2], -v[215:216]
	v_fma_f64 v[211:212], v[213:214], v[209:210], v[211:212]
	v_add_f64 v[3:4], v[3:4], -v[211:212]
.LBB107_10:
	s_or_b32 exec_lo, exec_lo, s2
	s_mov_b32 s2, exec_lo
	s_waitcnt_vscnt null, 0x0
	s_barrier
	buffer_gl0_inv
	v_cmpx_eq_u32_e32 1, v0
	s_cbranch_execz .LBB107_17
; %bb.11:
	s_clause 0x3
	buffer_load_dword v209, off, s[16:19], 0 offset:112
	buffer_load_dword v210, off, s[16:19], 0 offset:116
	;; [unrolled: 1-line block ×4, first 2 shown]
	s_waitcnt vmcnt(0)
	ds_write2_b64 v255, v[209:210], v[211:212] offset1:1
	s_clause 0x3
	buffer_load_dword v209, off, s[16:19], 0 offset:96
	buffer_load_dword v210, off, s[16:19], 0 offset:100
	buffer_load_dword v211, off, s[16:19], 0 offset:104
	buffer_load_dword v212, off, s[16:19], 0 offset:108
	s_waitcnt vmcnt(0)
	ds_write2_b64 v253, v[209:210], v[211:212] offset0:4 offset1:5
	s_clause 0x3
	buffer_load_dword v209, off, s[16:19], 0 offset:80
	buffer_load_dword v210, off, s[16:19], 0 offset:84
	buffer_load_dword v211, off, s[16:19], 0 offset:88
	buffer_load_dword v212, off, s[16:19], 0 offset:92
	s_waitcnt vmcnt(0)
	ds_write2_b64 v253, v[209:210], v[211:212] offset0:6 offset1:7
	;; [unrolled: 7-line block ×6, first 2 shown]
	s_clause 0x3
	buffer_load_dword v209, off, s[16:19], 0
	buffer_load_dword v210, off, s[16:19], 0 offset:4
	buffer_load_dword v211, off, s[16:19], 0 offset:8
	;; [unrolled: 1-line block ×3, first 2 shown]
	s_waitcnt vmcnt(0)
	ds_write2_b64 v253, v[209:210], v[211:212] offset0:16 offset1:17
	ds_write2_b64 v253, v[177:178], v[179:180] offset0:18 offset1:19
	;; [unrolled: 1-line block ×46, first 2 shown]
	ds_read2_b64 v[209:212], v255 offset1:1
	s_waitcnt lgkmcnt(0)
	v_cmp_neq_f64_e32 vcc_lo, 0, v[209:210]
	v_cmp_neq_f64_e64 s1, 0, v[211:212]
	s_or_b32 s1, vcc_lo, s1
	s_and_b32 exec_lo, exec_lo, s1
	s_cbranch_execz .LBB107_17
; %bb.12:
	v_cmp_ngt_f64_e64 s1, |v[209:210]|, |v[211:212]|
                                        ; implicit-def: $vgpr213_vgpr214
	s_and_saveexec_b32 s3, s1
	s_xor_b32 s1, exec_lo, s3
                                        ; implicit-def: $vgpr215_vgpr216
	s_cbranch_execz .LBB107_14
; %bb.13:
	v_div_scale_f64 v[213:214], null, v[211:212], v[211:212], v[209:210]
	v_div_scale_f64 v[219:220], vcc_lo, v[209:210], v[211:212], v[209:210]
	v_rcp_f64_e32 v[215:216], v[213:214]
	v_fma_f64 v[217:218], -v[213:214], v[215:216], 1.0
	v_fma_f64 v[215:216], v[215:216], v[217:218], v[215:216]
	v_fma_f64 v[217:218], -v[213:214], v[215:216], 1.0
	v_fma_f64 v[215:216], v[215:216], v[217:218], v[215:216]
	v_mul_f64 v[217:218], v[219:220], v[215:216]
	v_fma_f64 v[213:214], -v[213:214], v[217:218], v[219:220]
	v_div_fmas_f64 v[213:214], v[213:214], v[215:216], v[217:218]
	v_div_fixup_f64 v[213:214], v[213:214], v[211:212], v[209:210]
	v_fma_f64 v[209:210], v[209:210], v[213:214], v[211:212]
	v_div_scale_f64 v[211:212], null, v[209:210], v[209:210], 1.0
	v_rcp_f64_e32 v[215:216], v[211:212]
	v_fma_f64 v[217:218], -v[211:212], v[215:216], 1.0
	v_fma_f64 v[215:216], v[215:216], v[217:218], v[215:216]
	v_fma_f64 v[217:218], -v[211:212], v[215:216], 1.0
	v_fma_f64 v[215:216], v[215:216], v[217:218], v[215:216]
	v_div_scale_f64 v[217:218], vcc_lo, 1.0, v[209:210], 1.0
	v_mul_f64 v[219:220], v[217:218], v[215:216]
	v_fma_f64 v[211:212], -v[211:212], v[219:220], v[217:218]
	v_div_fmas_f64 v[211:212], v[211:212], v[215:216], v[219:220]
	v_div_fixup_f64 v[215:216], v[211:212], v[209:210], 1.0
                                        ; implicit-def: $vgpr209_vgpr210
	v_mul_f64 v[213:214], v[213:214], v[215:216]
	v_xor_b32_e32 v216, 0x80000000, v216
.LBB107_14:
	s_andn2_saveexec_b32 s1, s1
	s_cbranch_execz .LBB107_16
; %bb.15:
	v_div_scale_f64 v[213:214], null, v[209:210], v[209:210], v[211:212]
	v_div_scale_f64 v[219:220], vcc_lo, v[211:212], v[209:210], v[211:212]
	v_rcp_f64_e32 v[215:216], v[213:214]
	v_fma_f64 v[217:218], -v[213:214], v[215:216], 1.0
	v_fma_f64 v[215:216], v[215:216], v[217:218], v[215:216]
	v_fma_f64 v[217:218], -v[213:214], v[215:216], 1.0
	v_fma_f64 v[215:216], v[215:216], v[217:218], v[215:216]
	v_mul_f64 v[217:218], v[219:220], v[215:216]
	v_fma_f64 v[213:214], -v[213:214], v[217:218], v[219:220]
	v_div_fmas_f64 v[213:214], v[213:214], v[215:216], v[217:218]
	v_div_fixup_f64 v[215:216], v[213:214], v[209:210], v[211:212]
	v_fma_f64 v[209:210], v[211:212], v[215:216], v[209:210]
	v_div_scale_f64 v[211:212], null, v[209:210], v[209:210], 1.0
	v_rcp_f64_e32 v[213:214], v[211:212]
	v_fma_f64 v[217:218], -v[211:212], v[213:214], 1.0
	v_fma_f64 v[213:214], v[213:214], v[217:218], v[213:214]
	v_fma_f64 v[217:218], -v[211:212], v[213:214], 1.0
	v_fma_f64 v[213:214], v[213:214], v[217:218], v[213:214]
	v_div_scale_f64 v[217:218], vcc_lo, 1.0, v[209:210], 1.0
	v_mul_f64 v[219:220], v[217:218], v[213:214]
	v_fma_f64 v[211:212], -v[211:212], v[219:220], v[217:218]
	v_div_fmas_f64 v[211:212], v[211:212], v[213:214], v[219:220]
	v_div_fixup_f64 v[213:214], v[211:212], v[209:210], 1.0
	v_mul_f64 v[215:216], v[215:216], -v[213:214]
.LBB107_16:
	s_or_b32 exec_lo, exec_lo, s1
	ds_write2_b64 v255, v[213:214], v[215:216] offset1:1
.LBB107_17:
	s_or_b32 exec_lo, exec_lo, s2
	s_waitcnt lgkmcnt(0)
	s_barrier
	buffer_gl0_inv
	ds_read2_b64 v[209:212], v255 offset1:1
	s_mov_b32 s1, exec_lo
	s_waitcnt lgkmcnt(0)
	buffer_store_dword v209, off, s[16:19], 0 offset:496 ; 4-byte Folded Spill
	buffer_store_dword v210, off, s[16:19], 0 offset:500 ; 4-byte Folded Spill
	;; [unrolled: 1-line block ×4, first 2 shown]
	v_cmpx_lt_u32_e32 1, v0
	s_cbranch_execz .LBB107_19
; %bb.18:
	s_clause 0x7
	buffer_load_dword v219, off, s[16:19], 0 offset:112
	buffer_load_dword v220, off, s[16:19], 0 offset:116
	;; [unrolled: 1-line block ×8, first 2 shown]
	s_waitcnt vmcnt(0)
	v_mul_f64 v[209:210], v[213:214], v[221:222]
	v_fma_f64 v[209:210], v[211:212], v[219:220], -v[209:210]
	v_mul_f64 v[211:212], v[211:212], v[221:222]
	v_fma_f64 v[221:222], v[213:214], v[219:220], v[211:212]
	ds_read2_b64 v[211:214], v253 offset0:4 offset1:5
	s_clause 0x3
	buffer_load_dword v217, off, s[16:19], 0 offset:96
	buffer_load_dword v218, off, s[16:19], 0 offset:100
	buffer_load_dword v219, off, s[16:19], 0 offset:104
	buffer_load_dword v220, off, s[16:19], 0 offset:108
	s_waitcnt lgkmcnt(0)
	v_mul_f64 v[215:216], v[213:214], v[221:222]
	v_fma_f64 v[215:216], v[211:212], v[209:210], -v[215:216]
	v_mul_f64 v[211:212], v[211:212], v[221:222]
	v_fma_f64 v[211:212], v[213:214], v[209:210], v[211:212]
	s_waitcnt vmcnt(2)
	v_add_f64 v[217:218], v[217:218], -v[215:216]
	s_waitcnt vmcnt(0)
	v_add_f64 v[219:220], v[219:220], -v[211:212]
	buffer_store_dword v217, off, s[16:19], 0 offset:96 ; 4-byte Folded Spill
	buffer_store_dword v218, off, s[16:19], 0 offset:100 ; 4-byte Folded Spill
	buffer_store_dword v219, off, s[16:19], 0 offset:104 ; 4-byte Folded Spill
	buffer_store_dword v220, off, s[16:19], 0 offset:108 ; 4-byte Folded Spill
	ds_read2_b64 v[211:214], v253 offset0:6 offset1:7
	s_clause 0x3
	buffer_load_dword v217, off, s[16:19], 0 offset:80
	buffer_load_dword v218, off, s[16:19], 0 offset:84
	buffer_load_dword v219, off, s[16:19], 0 offset:88
	buffer_load_dword v220, off, s[16:19], 0 offset:92
	s_waitcnt lgkmcnt(0)
	v_mul_f64 v[215:216], v[213:214], v[221:222]
	v_fma_f64 v[215:216], v[211:212], v[209:210], -v[215:216]
	v_mul_f64 v[211:212], v[211:212], v[221:222]
	v_fma_f64 v[211:212], v[213:214], v[209:210], v[211:212]
	s_waitcnt vmcnt(2)
	v_add_f64 v[217:218], v[217:218], -v[215:216]
	s_waitcnt vmcnt(0)
	v_add_f64 v[219:220], v[219:220], -v[211:212]
	buffer_store_dword v217, off, s[16:19], 0 offset:80 ; 4-byte Folded Spill
	buffer_store_dword v218, off, s[16:19], 0 offset:84 ; 4-byte Folded Spill
	buffer_store_dword v219, off, s[16:19], 0 offset:88 ; 4-byte Folded Spill
	buffer_store_dword v220, off, s[16:19], 0 offset:92 ; 4-byte Folded Spill
	;; [unrolled: 19-line block ×6, first 2 shown]
	ds_read2_b64 v[211:214], v253 offset0:16 offset1:17
	s_clause 0x3
	buffer_load_dword v217, off, s[16:19], 0
	buffer_load_dword v218, off, s[16:19], 0 offset:4
	buffer_load_dword v219, off, s[16:19], 0 offset:8
	;; [unrolled: 1-line block ×3, first 2 shown]
	s_waitcnt lgkmcnt(0)
	v_mul_f64 v[215:216], v[213:214], v[221:222]
	v_fma_f64 v[215:216], v[211:212], v[209:210], -v[215:216]
	v_mul_f64 v[211:212], v[211:212], v[221:222]
	v_fma_f64 v[211:212], v[213:214], v[209:210], v[211:212]
	s_waitcnt vmcnt(2)
	v_add_f64 v[217:218], v[217:218], -v[215:216]
	s_waitcnt vmcnt(0)
	v_add_f64 v[219:220], v[219:220], -v[211:212]
	buffer_store_dword v217, off, s[16:19], 0 ; 4-byte Folded Spill
	buffer_store_dword v218, off, s[16:19], 0 offset:4 ; 4-byte Folded Spill
	buffer_store_dword v219, off, s[16:19], 0 offset:8 ; 4-byte Folded Spill
	;; [unrolled: 1-line block ×3, first 2 shown]
	ds_read2_b64 v[211:214], v253 offset0:18 offset1:19
	v_mov_b32_e32 v220, v210
	v_mov_b32_e32 v219, v209
	s_waitcnt lgkmcnt(0)
	v_mul_f64 v[215:216], v[213:214], v[221:222]
	v_fma_f64 v[215:216], v[211:212], v[209:210], -v[215:216]
	v_mul_f64 v[211:212], v[211:212], v[221:222]
	v_add_f64 v[177:178], v[177:178], -v[215:216]
	v_fma_f64 v[211:212], v[213:214], v[209:210], v[211:212]
	v_add_f64 v[179:180], v[179:180], -v[211:212]
	ds_read2_b64 v[211:214], v253 offset0:20 offset1:21
	s_waitcnt lgkmcnt(0)
	v_mul_f64 v[215:216], v[213:214], v[221:222]
	v_fma_f64 v[215:216], v[211:212], v[209:210], -v[215:216]
	v_mul_f64 v[211:212], v[211:212], v[221:222]
	v_add_f64 v[173:174], v[173:174], -v[215:216]
	v_fma_f64 v[211:212], v[213:214], v[209:210], v[211:212]
	v_add_f64 v[175:176], v[175:176], -v[211:212]
	ds_read2_b64 v[211:214], v253 offset0:22 offset1:23
	;; [unrolled: 8-line block ×44, first 2 shown]
	s_waitcnt lgkmcnt(0)
	v_mul_f64 v[215:216], v[213:214], v[221:222]
	v_fma_f64 v[215:216], v[211:212], v[209:210], -v[215:216]
	v_mul_f64 v[211:212], v[211:212], v[221:222]
	buffer_store_dword v219, off, s[16:19], 0 offset:112 ; 4-byte Folded Spill
	buffer_store_dword v220, off, s[16:19], 0 offset:116 ; 4-byte Folded Spill
	;; [unrolled: 1-line block ×4, first 2 shown]
	v_add_f64 v[1:2], v[1:2], -v[215:216]
	v_fma_f64 v[211:212], v[213:214], v[209:210], v[211:212]
	v_add_f64 v[3:4], v[3:4], -v[211:212]
.LBB107_19:
	s_or_b32 exec_lo, exec_lo, s1
	s_mov_b32 s2, exec_lo
	s_waitcnt_vscnt null, 0x0
	s_barrier
	buffer_gl0_inv
	v_cmpx_eq_u32_e32 2, v0
	s_cbranch_execz .LBB107_26
; %bb.20:
	s_clause 0x3
	buffer_load_dword v209, off, s[16:19], 0 offset:96
	buffer_load_dword v210, off, s[16:19], 0 offset:100
	;; [unrolled: 1-line block ×4, first 2 shown]
	s_waitcnt vmcnt(0)
	ds_write2_b64 v255, v[209:210], v[211:212] offset1:1
	s_clause 0x3
	buffer_load_dword v209, off, s[16:19], 0 offset:80
	buffer_load_dword v210, off, s[16:19], 0 offset:84
	buffer_load_dword v211, off, s[16:19], 0 offset:88
	buffer_load_dword v212, off, s[16:19], 0 offset:92
	s_waitcnt vmcnt(0)
	ds_write2_b64 v253, v[209:210], v[211:212] offset0:6 offset1:7
	s_clause 0x3
	buffer_load_dword v209, off, s[16:19], 0 offset:64
	buffer_load_dword v210, off, s[16:19], 0 offset:68
	buffer_load_dword v211, off, s[16:19], 0 offset:72
	buffer_load_dword v212, off, s[16:19], 0 offset:76
	s_waitcnt vmcnt(0)
	ds_write2_b64 v253, v[209:210], v[211:212] offset0:8 offset1:9
	;; [unrolled: 7-line block ×5, first 2 shown]
	s_clause 0x3
	buffer_load_dword v209, off, s[16:19], 0
	buffer_load_dword v210, off, s[16:19], 0 offset:4
	buffer_load_dword v211, off, s[16:19], 0 offset:8
	;; [unrolled: 1-line block ×3, first 2 shown]
	s_waitcnt vmcnt(0)
	ds_write2_b64 v253, v[209:210], v[211:212] offset0:16 offset1:17
	ds_write2_b64 v253, v[177:178], v[179:180] offset0:18 offset1:19
	;; [unrolled: 1-line block ×46, first 2 shown]
	ds_read2_b64 v[209:212], v255 offset1:1
	s_waitcnt lgkmcnt(0)
	v_cmp_neq_f64_e32 vcc_lo, 0, v[209:210]
	v_cmp_neq_f64_e64 s1, 0, v[211:212]
	s_or_b32 s1, vcc_lo, s1
	s_and_b32 exec_lo, exec_lo, s1
	s_cbranch_execz .LBB107_26
; %bb.21:
	v_cmp_ngt_f64_e64 s1, |v[209:210]|, |v[211:212]|
                                        ; implicit-def: $vgpr213_vgpr214
	s_and_saveexec_b32 s3, s1
	s_xor_b32 s1, exec_lo, s3
                                        ; implicit-def: $vgpr215_vgpr216
	s_cbranch_execz .LBB107_23
; %bb.22:
	v_div_scale_f64 v[213:214], null, v[211:212], v[211:212], v[209:210]
	v_div_scale_f64 v[219:220], vcc_lo, v[209:210], v[211:212], v[209:210]
	v_rcp_f64_e32 v[215:216], v[213:214]
	v_fma_f64 v[217:218], -v[213:214], v[215:216], 1.0
	v_fma_f64 v[215:216], v[215:216], v[217:218], v[215:216]
	v_fma_f64 v[217:218], -v[213:214], v[215:216], 1.0
	v_fma_f64 v[215:216], v[215:216], v[217:218], v[215:216]
	v_mul_f64 v[217:218], v[219:220], v[215:216]
	v_fma_f64 v[213:214], -v[213:214], v[217:218], v[219:220]
	v_div_fmas_f64 v[213:214], v[213:214], v[215:216], v[217:218]
	v_div_fixup_f64 v[213:214], v[213:214], v[211:212], v[209:210]
	v_fma_f64 v[209:210], v[209:210], v[213:214], v[211:212]
	v_div_scale_f64 v[211:212], null, v[209:210], v[209:210], 1.0
	v_rcp_f64_e32 v[215:216], v[211:212]
	v_fma_f64 v[217:218], -v[211:212], v[215:216], 1.0
	v_fma_f64 v[215:216], v[215:216], v[217:218], v[215:216]
	v_fma_f64 v[217:218], -v[211:212], v[215:216], 1.0
	v_fma_f64 v[215:216], v[215:216], v[217:218], v[215:216]
	v_div_scale_f64 v[217:218], vcc_lo, 1.0, v[209:210], 1.0
	v_mul_f64 v[219:220], v[217:218], v[215:216]
	v_fma_f64 v[211:212], -v[211:212], v[219:220], v[217:218]
	v_div_fmas_f64 v[211:212], v[211:212], v[215:216], v[219:220]
	v_div_fixup_f64 v[215:216], v[211:212], v[209:210], 1.0
                                        ; implicit-def: $vgpr209_vgpr210
	v_mul_f64 v[213:214], v[213:214], v[215:216]
	v_xor_b32_e32 v216, 0x80000000, v216
.LBB107_23:
	s_andn2_saveexec_b32 s1, s1
	s_cbranch_execz .LBB107_25
; %bb.24:
	v_div_scale_f64 v[213:214], null, v[209:210], v[209:210], v[211:212]
	v_div_scale_f64 v[219:220], vcc_lo, v[211:212], v[209:210], v[211:212]
	v_rcp_f64_e32 v[215:216], v[213:214]
	v_fma_f64 v[217:218], -v[213:214], v[215:216], 1.0
	v_fma_f64 v[215:216], v[215:216], v[217:218], v[215:216]
	v_fma_f64 v[217:218], -v[213:214], v[215:216], 1.0
	v_fma_f64 v[215:216], v[215:216], v[217:218], v[215:216]
	v_mul_f64 v[217:218], v[219:220], v[215:216]
	v_fma_f64 v[213:214], -v[213:214], v[217:218], v[219:220]
	v_div_fmas_f64 v[213:214], v[213:214], v[215:216], v[217:218]
	v_div_fixup_f64 v[215:216], v[213:214], v[209:210], v[211:212]
	v_fma_f64 v[209:210], v[211:212], v[215:216], v[209:210]
	v_div_scale_f64 v[211:212], null, v[209:210], v[209:210], 1.0
	v_rcp_f64_e32 v[213:214], v[211:212]
	v_fma_f64 v[217:218], -v[211:212], v[213:214], 1.0
	v_fma_f64 v[213:214], v[213:214], v[217:218], v[213:214]
	v_fma_f64 v[217:218], -v[211:212], v[213:214], 1.0
	v_fma_f64 v[213:214], v[213:214], v[217:218], v[213:214]
	v_div_scale_f64 v[217:218], vcc_lo, 1.0, v[209:210], 1.0
	v_mul_f64 v[219:220], v[217:218], v[213:214]
	v_fma_f64 v[211:212], -v[211:212], v[219:220], v[217:218]
	v_div_fmas_f64 v[211:212], v[211:212], v[213:214], v[219:220]
	v_div_fixup_f64 v[213:214], v[211:212], v[209:210], 1.0
	v_mul_f64 v[215:216], v[215:216], -v[213:214]
.LBB107_25:
	s_or_b32 exec_lo, exec_lo, s1
	ds_write2_b64 v255, v[213:214], v[215:216] offset1:1
.LBB107_26:
	s_or_b32 exec_lo, exec_lo, s2
	s_waitcnt lgkmcnt(0)
	s_barrier
	buffer_gl0_inv
	ds_read2_b64 v[209:212], v255 offset1:1
	s_mov_b32 s1, exec_lo
	s_waitcnt lgkmcnt(0)
	buffer_store_dword v209, off, s[16:19], 0 offset:512 ; 4-byte Folded Spill
	buffer_store_dword v210, off, s[16:19], 0 offset:516 ; 4-byte Folded Spill
	;; [unrolled: 1-line block ×4, first 2 shown]
	v_cmpx_lt_u32_e32 2, v0
	s_cbranch_execz .LBB107_28
; %bb.27:
	s_clause 0x7
	buffer_load_dword v215, off, s[16:19], 0 offset:96
	buffer_load_dword v216, off, s[16:19], 0 offset:100
	;; [unrolled: 1-line block ×8, first 2 shown]
	v_mov_b32_e32 v197, v207
	v_mov_b32_e32 v198, v208
	s_waitcnt vmcnt(2)
	v_mul_f64 v[207:208], v[211:212], v[217:218]
	s_waitcnt vmcnt(0)
	v_mul_f64 v[209:210], v[213:214], v[217:218]
	v_fma_f64 v[217:218], v[213:214], v[215:216], v[207:208]
	v_mov_b32_e32 v208, v198
	v_fma_f64 v[209:210], v[211:212], v[215:216], -v[209:210]
	ds_read2_b64 v[211:214], v253 offset0:6 offset1:7
	v_mov_b32_e32 v207, v197
	s_waitcnt lgkmcnt(0)
	v_mul_f64 v[205:206], v[213:214], v[217:218]
	v_fma_f64 v[205:206], v[211:212], v[209:210], -v[205:206]
	v_mul_f64 v[211:212], v[211:212], v[217:218]
	v_fma_f64 v[211:212], v[213:214], v[209:210], v[211:212]
	s_clause 0x3
	buffer_load_dword v213, off, s[16:19], 0 offset:80
	buffer_load_dword v214, off, s[16:19], 0 offset:84
	buffer_load_dword v215, off, s[16:19], 0 offset:88
	buffer_load_dword v216, off, s[16:19], 0 offset:92
	s_waitcnt vmcnt(2)
	v_add_f64 v[213:214], v[213:214], -v[205:206]
	s_waitcnt vmcnt(0)
	v_add_f64 v[215:216], v[215:216], -v[211:212]
	buffer_store_dword v213, off, s[16:19], 0 offset:80 ; 4-byte Folded Spill
	buffer_store_dword v214, off, s[16:19], 0 offset:84 ; 4-byte Folded Spill
	buffer_store_dword v215, off, s[16:19], 0 offset:88 ; 4-byte Folded Spill
	buffer_store_dword v216, off, s[16:19], 0 offset:92 ; 4-byte Folded Spill
	ds_read2_b64 v[211:214], v253 offset0:8 offset1:9
	s_waitcnt lgkmcnt(0)
	v_mul_f64 v[205:206], v[213:214], v[217:218]
	v_fma_f64 v[205:206], v[211:212], v[209:210], -v[205:206]
	v_mul_f64 v[211:212], v[211:212], v[217:218]
	v_fma_f64 v[211:212], v[213:214], v[209:210], v[211:212]
	s_clause 0x3
	buffer_load_dword v213, off, s[16:19], 0 offset:64
	buffer_load_dword v214, off, s[16:19], 0 offset:68
	buffer_load_dword v215, off, s[16:19], 0 offset:72
	buffer_load_dword v216, off, s[16:19], 0 offset:76
	s_waitcnt vmcnt(2)
	v_add_f64 v[213:214], v[213:214], -v[205:206]
	s_waitcnt vmcnt(0)
	v_add_f64 v[215:216], v[215:216], -v[211:212]
	buffer_store_dword v213, off, s[16:19], 0 offset:64 ; 4-byte Folded Spill
	buffer_store_dword v214, off, s[16:19], 0 offset:68 ; 4-byte Folded Spill
	buffer_store_dword v215, off, s[16:19], 0 offset:72 ; 4-byte Folded Spill
	buffer_store_dword v216, off, s[16:19], 0 offset:76 ; 4-byte Folded Spill
	ds_read2_b64 v[211:214], v253 offset0:10 offset1:11
	;; [unrolled: 19-line block ×5, first 2 shown]
	s_waitcnt lgkmcnt(0)
	v_mul_f64 v[205:206], v[213:214], v[217:218]
	v_fma_f64 v[205:206], v[211:212], v[209:210], -v[205:206]
	v_mul_f64 v[211:212], v[211:212], v[217:218]
	v_fma_f64 v[211:212], v[213:214], v[209:210], v[211:212]
	s_clause 0x3
	buffer_load_dword v213, off, s[16:19], 0
	buffer_load_dword v214, off, s[16:19], 0 offset:4
	buffer_load_dword v215, off, s[16:19], 0 offset:8
	;; [unrolled: 1-line block ×3, first 2 shown]
	s_waitcnt vmcnt(2)
	v_add_f64 v[213:214], v[213:214], -v[205:206]
	s_waitcnt vmcnt(0)
	v_add_f64 v[215:216], v[215:216], -v[211:212]
	buffer_store_dword v213, off, s[16:19], 0 ; 4-byte Folded Spill
	buffer_store_dword v214, off, s[16:19], 0 offset:4 ; 4-byte Folded Spill
	buffer_store_dword v215, off, s[16:19], 0 offset:8 ; 4-byte Folded Spill
	;; [unrolled: 1-line block ×3, first 2 shown]
	ds_read2_b64 v[211:214], v253 offset0:18 offset1:19
	v_mov_b32_e32 v216, v210
	v_mov_b32_e32 v215, v209
	s_waitcnt lgkmcnt(0)
	v_mul_f64 v[205:206], v[213:214], v[217:218]
	v_fma_f64 v[205:206], v[211:212], v[209:210], -v[205:206]
	v_mul_f64 v[211:212], v[211:212], v[217:218]
	v_add_f64 v[177:178], v[177:178], -v[205:206]
	v_fma_f64 v[211:212], v[213:214], v[209:210], v[211:212]
	v_add_f64 v[179:180], v[179:180], -v[211:212]
	ds_read2_b64 v[211:214], v253 offset0:20 offset1:21
	s_waitcnt lgkmcnt(0)
	v_mul_f64 v[205:206], v[213:214], v[217:218]
	v_fma_f64 v[205:206], v[211:212], v[209:210], -v[205:206]
	v_mul_f64 v[211:212], v[211:212], v[217:218]
	v_add_f64 v[173:174], v[173:174], -v[205:206]
	v_fma_f64 v[211:212], v[213:214], v[209:210], v[211:212]
	v_add_f64 v[175:176], v[175:176], -v[211:212]
	ds_read2_b64 v[211:214], v253 offset0:22 offset1:23
	;; [unrolled: 8-line block ×44, first 2 shown]
	s_waitcnt lgkmcnt(0)
	v_mul_f64 v[205:206], v[213:214], v[217:218]
	v_fma_f64 v[205:206], v[211:212], v[209:210], -v[205:206]
	v_mul_f64 v[211:212], v[211:212], v[217:218]
	buffer_store_dword v215, off, s[16:19], 0 offset:96 ; 4-byte Folded Spill
	buffer_store_dword v216, off, s[16:19], 0 offset:100 ; 4-byte Folded Spill
	buffer_store_dword v217, off, s[16:19], 0 offset:104 ; 4-byte Folded Spill
	buffer_store_dword v218, off, s[16:19], 0 offset:108 ; 4-byte Folded Spill
	v_add_f64 v[1:2], v[1:2], -v[205:206]
	v_fma_f64 v[211:212], v[213:214], v[209:210], v[211:212]
	v_add_f64 v[3:4], v[3:4], -v[211:212]
.LBB107_28:
	s_or_b32 exec_lo, exec_lo, s1
	s_mov_b32 s2, exec_lo
	s_waitcnt_vscnt null, 0x0
	s_barrier
	buffer_gl0_inv
	v_cmpx_eq_u32_e32 3, v0
	s_cbranch_execz .LBB107_35
; %bb.29:
	s_clause 0x3
	buffer_load_dword v209, off, s[16:19], 0 offset:80
	buffer_load_dword v210, off, s[16:19], 0 offset:84
	;; [unrolled: 1-line block ×4, first 2 shown]
	s_waitcnt vmcnt(0)
	ds_write2_b64 v255, v[209:210], v[211:212] offset1:1
	s_clause 0x3
	buffer_load_dword v209, off, s[16:19], 0 offset:64
	buffer_load_dword v210, off, s[16:19], 0 offset:68
	buffer_load_dword v211, off, s[16:19], 0 offset:72
	buffer_load_dword v212, off, s[16:19], 0 offset:76
	s_waitcnt vmcnt(0)
	ds_write2_b64 v253, v[209:210], v[211:212] offset0:8 offset1:9
	s_clause 0x3
	buffer_load_dword v209, off, s[16:19], 0 offset:48
	buffer_load_dword v210, off, s[16:19], 0 offset:52
	buffer_load_dword v211, off, s[16:19], 0 offset:56
	buffer_load_dword v212, off, s[16:19], 0 offset:60
	s_waitcnt vmcnt(0)
	ds_write2_b64 v253, v[209:210], v[211:212] offset0:10 offset1:11
	;; [unrolled: 7-line block ×4, first 2 shown]
	s_clause 0x3
	buffer_load_dword v209, off, s[16:19], 0
	buffer_load_dword v210, off, s[16:19], 0 offset:4
	buffer_load_dword v211, off, s[16:19], 0 offset:8
	;; [unrolled: 1-line block ×3, first 2 shown]
	s_waitcnt vmcnt(0)
	ds_write2_b64 v253, v[209:210], v[211:212] offset0:16 offset1:17
	ds_write2_b64 v253, v[177:178], v[179:180] offset0:18 offset1:19
	;; [unrolled: 1-line block ×46, first 2 shown]
	ds_read2_b64 v[209:212], v255 offset1:1
	s_waitcnt lgkmcnt(0)
	v_cmp_neq_f64_e32 vcc_lo, 0, v[209:210]
	v_cmp_neq_f64_e64 s1, 0, v[211:212]
	s_or_b32 s1, vcc_lo, s1
	s_and_b32 exec_lo, exec_lo, s1
	s_cbranch_execz .LBB107_35
; %bb.30:
	v_cmp_ngt_f64_e64 s1, |v[209:210]|, |v[211:212]|
                                        ; implicit-def: $vgpr213_vgpr214
	s_and_saveexec_b32 s3, s1
	s_xor_b32 s1, exec_lo, s3
                                        ; implicit-def: $vgpr215_vgpr216
	s_cbranch_execz .LBB107_32
; %bb.31:
	v_div_scale_f64 v[213:214], null, v[211:212], v[211:212], v[209:210]
	v_div_scale_f64 v[219:220], vcc_lo, v[209:210], v[211:212], v[209:210]
	v_rcp_f64_e32 v[215:216], v[213:214]
	v_fma_f64 v[217:218], -v[213:214], v[215:216], 1.0
	v_fma_f64 v[215:216], v[215:216], v[217:218], v[215:216]
	v_fma_f64 v[217:218], -v[213:214], v[215:216], 1.0
	v_fma_f64 v[215:216], v[215:216], v[217:218], v[215:216]
	v_mul_f64 v[217:218], v[219:220], v[215:216]
	v_fma_f64 v[213:214], -v[213:214], v[217:218], v[219:220]
	v_div_fmas_f64 v[213:214], v[213:214], v[215:216], v[217:218]
	v_div_fixup_f64 v[213:214], v[213:214], v[211:212], v[209:210]
	v_fma_f64 v[209:210], v[209:210], v[213:214], v[211:212]
	v_div_scale_f64 v[211:212], null, v[209:210], v[209:210], 1.0
	v_rcp_f64_e32 v[215:216], v[211:212]
	v_fma_f64 v[217:218], -v[211:212], v[215:216], 1.0
	v_fma_f64 v[215:216], v[215:216], v[217:218], v[215:216]
	v_fma_f64 v[217:218], -v[211:212], v[215:216], 1.0
	v_fma_f64 v[215:216], v[215:216], v[217:218], v[215:216]
	v_div_scale_f64 v[217:218], vcc_lo, 1.0, v[209:210], 1.0
	v_mul_f64 v[219:220], v[217:218], v[215:216]
	v_fma_f64 v[211:212], -v[211:212], v[219:220], v[217:218]
	v_div_fmas_f64 v[211:212], v[211:212], v[215:216], v[219:220]
	v_div_fixup_f64 v[215:216], v[211:212], v[209:210], 1.0
                                        ; implicit-def: $vgpr209_vgpr210
	v_mul_f64 v[213:214], v[213:214], v[215:216]
	v_xor_b32_e32 v216, 0x80000000, v216
.LBB107_32:
	s_andn2_saveexec_b32 s1, s1
	s_cbranch_execz .LBB107_34
; %bb.33:
	v_div_scale_f64 v[213:214], null, v[209:210], v[209:210], v[211:212]
	v_div_scale_f64 v[219:220], vcc_lo, v[211:212], v[209:210], v[211:212]
	v_rcp_f64_e32 v[215:216], v[213:214]
	v_fma_f64 v[217:218], -v[213:214], v[215:216], 1.0
	v_fma_f64 v[215:216], v[215:216], v[217:218], v[215:216]
	v_fma_f64 v[217:218], -v[213:214], v[215:216], 1.0
	v_fma_f64 v[215:216], v[215:216], v[217:218], v[215:216]
	v_mul_f64 v[217:218], v[219:220], v[215:216]
	v_fma_f64 v[213:214], -v[213:214], v[217:218], v[219:220]
	v_div_fmas_f64 v[213:214], v[213:214], v[215:216], v[217:218]
	v_div_fixup_f64 v[215:216], v[213:214], v[209:210], v[211:212]
	v_fma_f64 v[209:210], v[211:212], v[215:216], v[209:210]
	v_div_scale_f64 v[211:212], null, v[209:210], v[209:210], 1.0
	v_rcp_f64_e32 v[213:214], v[211:212]
	v_fma_f64 v[217:218], -v[211:212], v[213:214], 1.0
	v_fma_f64 v[213:214], v[213:214], v[217:218], v[213:214]
	v_fma_f64 v[217:218], -v[211:212], v[213:214], 1.0
	v_fma_f64 v[213:214], v[213:214], v[217:218], v[213:214]
	v_div_scale_f64 v[217:218], vcc_lo, 1.0, v[209:210], 1.0
	v_mul_f64 v[219:220], v[217:218], v[213:214]
	v_fma_f64 v[211:212], -v[211:212], v[219:220], v[217:218]
	v_div_fmas_f64 v[211:212], v[211:212], v[213:214], v[219:220]
	v_div_fixup_f64 v[213:214], v[211:212], v[209:210], 1.0
	v_mul_f64 v[215:216], v[215:216], -v[213:214]
.LBB107_34:
	s_or_b32 exec_lo, exec_lo, s1
	ds_write2_b64 v255, v[213:214], v[215:216] offset1:1
.LBB107_35:
	s_or_b32 exec_lo, exec_lo, s2
	s_waitcnt lgkmcnt(0)
	s_barrier
	buffer_gl0_inv
	ds_read2_b64 v[209:212], v255 offset1:1
	s_mov_b32 s1, exec_lo
	s_waitcnt lgkmcnt(0)
	buffer_store_dword v209, off, s[16:19], 0 offset:528 ; 4-byte Folded Spill
	buffer_store_dword v210, off, s[16:19], 0 offset:532 ; 4-byte Folded Spill
	;; [unrolled: 1-line block ×4, first 2 shown]
	v_cmpx_lt_u32_e32 3, v0
	s_cbranch_execz .LBB107_37
; %bb.36:
	s_clause 0x7
	buffer_load_dword v215, off, s[16:19], 0 offset:80
	buffer_load_dword v216, off, s[16:19], 0 offset:84
	;; [unrolled: 1-line block ×8, first 2 shown]
	v_mov_b32_e32 v197, v203
	v_mov_b32_e32 v198, v204
	;; [unrolled: 1-line block ×4, first 2 shown]
	s_waitcnt vmcnt(2)
	v_mul_f64 v[203:204], v[211:212], v[217:218]
	s_waitcnt vmcnt(0)
	v_mul_f64 v[209:210], v[213:214], v[217:218]
	v_fma_f64 v[217:218], v[213:214], v[215:216], v[203:204]
	v_mov_b32_e32 v204, v198
	v_fma_f64 v[209:210], v[211:212], v[215:216], -v[209:210]
	ds_read2_b64 v[211:214], v253 offset0:8 offset1:9
	v_mov_b32_e32 v203, v197
	s_waitcnt lgkmcnt(0)
	v_mul_f64 v[201:202], v[213:214], v[217:218]
	v_fma_f64 v[201:202], v[211:212], v[209:210], -v[201:202]
	v_mul_f64 v[211:212], v[211:212], v[217:218]
	v_fma_f64 v[211:212], v[213:214], v[209:210], v[211:212]
	s_clause 0x3
	buffer_load_dword v213, off, s[16:19], 0 offset:64
	buffer_load_dword v214, off, s[16:19], 0 offset:68
	buffer_load_dword v215, off, s[16:19], 0 offset:72
	buffer_load_dword v216, off, s[16:19], 0 offset:76
	s_waitcnt vmcnt(2)
	v_add_f64 v[213:214], v[213:214], -v[201:202]
	s_waitcnt vmcnt(0)
	v_add_f64 v[215:216], v[215:216], -v[211:212]
	buffer_store_dword v213, off, s[16:19], 0 offset:64 ; 4-byte Folded Spill
	buffer_store_dword v214, off, s[16:19], 0 offset:68 ; 4-byte Folded Spill
	buffer_store_dword v215, off, s[16:19], 0 offset:72 ; 4-byte Folded Spill
	buffer_store_dword v216, off, s[16:19], 0 offset:76 ; 4-byte Folded Spill
	ds_read2_b64 v[211:214], v253 offset0:10 offset1:11
	s_waitcnt lgkmcnt(0)
	v_mul_f64 v[201:202], v[213:214], v[217:218]
	v_fma_f64 v[201:202], v[211:212], v[209:210], -v[201:202]
	v_mul_f64 v[211:212], v[211:212], v[217:218]
	v_fma_f64 v[211:212], v[213:214], v[209:210], v[211:212]
	s_clause 0x3
	buffer_load_dword v213, off, s[16:19], 0 offset:48
	buffer_load_dword v214, off, s[16:19], 0 offset:52
	buffer_load_dword v215, off, s[16:19], 0 offset:56
	buffer_load_dword v216, off, s[16:19], 0 offset:60
	s_waitcnt vmcnt(2)
	v_add_f64 v[213:214], v[213:214], -v[201:202]
	s_waitcnt vmcnt(0)
	v_add_f64 v[215:216], v[215:216], -v[211:212]
	buffer_store_dword v213, off, s[16:19], 0 offset:48 ; 4-byte Folded Spill
	buffer_store_dword v214, off, s[16:19], 0 offset:52 ; 4-byte Folded Spill
	buffer_store_dword v215, off, s[16:19], 0 offset:56 ; 4-byte Folded Spill
	buffer_store_dword v216, off, s[16:19], 0 offset:60 ; 4-byte Folded Spill
	ds_read2_b64 v[211:214], v253 offset0:12 offset1:13
	;; [unrolled: 19-line block ×4, first 2 shown]
	s_waitcnt lgkmcnt(0)
	v_mul_f64 v[201:202], v[213:214], v[217:218]
	v_fma_f64 v[201:202], v[211:212], v[209:210], -v[201:202]
	v_mul_f64 v[211:212], v[211:212], v[217:218]
	v_fma_f64 v[211:212], v[213:214], v[209:210], v[211:212]
	s_clause 0x3
	buffer_load_dword v213, off, s[16:19], 0
	buffer_load_dword v214, off, s[16:19], 0 offset:4
	buffer_load_dword v215, off, s[16:19], 0 offset:8
	;; [unrolled: 1-line block ×3, first 2 shown]
	s_waitcnt vmcnt(2)
	v_add_f64 v[213:214], v[213:214], -v[201:202]
	s_waitcnt vmcnt(0)
	v_add_f64 v[215:216], v[215:216], -v[211:212]
	buffer_store_dword v213, off, s[16:19], 0 ; 4-byte Folded Spill
	buffer_store_dword v214, off, s[16:19], 0 offset:4 ; 4-byte Folded Spill
	buffer_store_dword v215, off, s[16:19], 0 offset:8 ; 4-byte Folded Spill
	;; [unrolled: 1-line block ×3, first 2 shown]
	ds_read2_b64 v[211:214], v253 offset0:18 offset1:19
	v_mov_b32_e32 v216, v210
	v_mov_b32_e32 v215, v209
	s_waitcnt lgkmcnt(0)
	v_mul_f64 v[201:202], v[213:214], v[217:218]
	v_fma_f64 v[201:202], v[211:212], v[209:210], -v[201:202]
	v_mul_f64 v[211:212], v[211:212], v[217:218]
	v_add_f64 v[177:178], v[177:178], -v[201:202]
	v_fma_f64 v[211:212], v[213:214], v[209:210], v[211:212]
	v_add_f64 v[179:180], v[179:180], -v[211:212]
	ds_read2_b64 v[211:214], v253 offset0:20 offset1:21
	s_waitcnt lgkmcnt(0)
	v_mul_f64 v[201:202], v[213:214], v[217:218]
	v_fma_f64 v[201:202], v[211:212], v[209:210], -v[201:202]
	v_mul_f64 v[211:212], v[211:212], v[217:218]
	v_add_f64 v[173:174], v[173:174], -v[201:202]
	v_fma_f64 v[211:212], v[213:214], v[209:210], v[211:212]
	v_add_f64 v[175:176], v[175:176], -v[211:212]
	ds_read2_b64 v[211:214], v253 offset0:22 offset1:23
	;; [unrolled: 8-line block ×44, first 2 shown]
	s_waitcnt lgkmcnt(0)
	v_mul_f64 v[201:202], v[213:214], v[217:218]
	v_fma_f64 v[201:202], v[211:212], v[209:210], -v[201:202]
	v_mul_f64 v[211:212], v[211:212], v[217:218]
	buffer_store_dword v215, off, s[16:19], 0 offset:80 ; 4-byte Folded Spill
	buffer_store_dword v216, off, s[16:19], 0 offset:84 ; 4-byte Folded Spill
	;; [unrolled: 1-line block ×4, first 2 shown]
	v_add_f64 v[1:2], v[1:2], -v[201:202]
	v_fma_f64 v[211:212], v[213:214], v[209:210], v[211:212]
	v_mov_b32_e32 v201, v205
	v_mov_b32_e32 v202, v206
	v_add_f64 v[3:4], v[3:4], -v[211:212]
.LBB107_37:
	s_or_b32 exec_lo, exec_lo, s1
	s_mov_b32 s2, exec_lo
	s_waitcnt_vscnt null, 0x0
	s_barrier
	buffer_gl0_inv
	v_cmpx_eq_u32_e32 4, v0
	s_cbranch_execz .LBB107_44
; %bb.38:
	s_clause 0x3
	buffer_load_dword v209, off, s[16:19], 0 offset:64
	buffer_load_dword v210, off, s[16:19], 0 offset:68
	;; [unrolled: 1-line block ×4, first 2 shown]
	s_waitcnt vmcnt(0)
	ds_write2_b64 v255, v[209:210], v[211:212] offset1:1
	s_clause 0x3
	buffer_load_dword v209, off, s[16:19], 0 offset:48
	buffer_load_dword v210, off, s[16:19], 0 offset:52
	buffer_load_dword v211, off, s[16:19], 0 offset:56
	buffer_load_dword v212, off, s[16:19], 0 offset:60
	s_waitcnt vmcnt(0)
	ds_write2_b64 v253, v[209:210], v[211:212] offset0:10 offset1:11
	s_clause 0x3
	buffer_load_dword v209, off, s[16:19], 0 offset:32
	buffer_load_dword v210, off, s[16:19], 0 offset:36
	buffer_load_dword v211, off, s[16:19], 0 offset:40
	buffer_load_dword v212, off, s[16:19], 0 offset:44
	s_waitcnt vmcnt(0)
	ds_write2_b64 v253, v[209:210], v[211:212] offset0:12 offset1:13
	;; [unrolled: 7-line block ×3, first 2 shown]
	s_clause 0x3
	buffer_load_dword v209, off, s[16:19], 0
	buffer_load_dword v210, off, s[16:19], 0 offset:4
	buffer_load_dword v211, off, s[16:19], 0 offset:8
	;; [unrolled: 1-line block ×3, first 2 shown]
	s_waitcnt vmcnt(0)
	ds_write2_b64 v253, v[209:210], v[211:212] offset0:16 offset1:17
	ds_write2_b64 v253, v[177:178], v[179:180] offset0:18 offset1:19
	;; [unrolled: 1-line block ×46, first 2 shown]
	ds_read2_b64 v[209:212], v255 offset1:1
	s_waitcnt lgkmcnt(0)
	v_cmp_neq_f64_e32 vcc_lo, 0, v[209:210]
	v_cmp_neq_f64_e64 s1, 0, v[211:212]
	s_or_b32 s1, vcc_lo, s1
	s_and_b32 exec_lo, exec_lo, s1
	s_cbranch_execz .LBB107_44
; %bb.39:
	v_cmp_ngt_f64_e64 s1, |v[209:210]|, |v[211:212]|
                                        ; implicit-def: $vgpr213_vgpr214
	s_and_saveexec_b32 s3, s1
	s_xor_b32 s1, exec_lo, s3
                                        ; implicit-def: $vgpr215_vgpr216
	s_cbranch_execz .LBB107_41
; %bb.40:
	v_div_scale_f64 v[213:214], null, v[211:212], v[211:212], v[209:210]
	v_div_scale_f64 v[219:220], vcc_lo, v[209:210], v[211:212], v[209:210]
	v_rcp_f64_e32 v[215:216], v[213:214]
	v_fma_f64 v[217:218], -v[213:214], v[215:216], 1.0
	v_fma_f64 v[215:216], v[215:216], v[217:218], v[215:216]
	v_fma_f64 v[217:218], -v[213:214], v[215:216], 1.0
	v_fma_f64 v[215:216], v[215:216], v[217:218], v[215:216]
	v_mul_f64 v[217:218], v[219:220], v[215:216]
	v_fma_f64 v[213:214], -v[213:214], v[217:218], v[219:220]
	v_div_fmas_f64 v[213:214], v[213:214], v[215:216], v[217:218]
	v_div_fixup_f64 v[213:214], v[213:214], v[211:212], v[209:210]
	v_fma_f64 v[209:210], v[209:210], v[213:214], v[211:212]
	v_div_scale_f64 v[211:212], null, v[209:210], v[209:210], 1.0
	v_rcp_f64_e32 v[215:216], v[211:212]
	v_fma_f64 v[217:218], -v[211:212], v[215:216], 1.0
	v_fma_f64 v[215:216], v[215:216], v[217:218], v[215:216]
	v_fma_f64 v[217:218], -v[211:212], v[215:216], 1.0
	v_fma_f64 v[215:216], v[215:216], v[217:218], v[215:216]
	v_div_scale_f64 v[217:218], vcc_lo, 1.0, v[209:210], 1.0
	v_mul_f64 v[219:220], v[217:218], v[215:216]
	v_fma_f64 v[211:212], -v[211:212], v[219:220], v[217:218]
	v_div_fmas_f64 v[211:212], v[211:212], v[215:216], v[219:220]
	v_div_fixup_f64 v[215:216], v[211:212], v[209:210], 1.0
                                        ; implicit-def: $vgpr209_vgpr210
	v_mul_f64 v[213:214], v[213:214], v[215:216]
	v_xor_b32_e32 v216, 0x80000000, v216
.LBB107_41:
	s_andn2_saveexec_b32 s1, s1
	s_cbranch_execz .LBB107_43
; %bb.42:
	v_div_scale_f64 v[213:214], null, v[209:210], v[209:210], v[211:212]
	v_div_scale_f64 v[219:220], vcc_lo, v[211:212], v[209:210], v[211:212]
	v_rcp_f64_e32 v[215:216], v[213:214]
	v_fma_f64 v[217:218], -v[213:214], v[215:216], 1.0
	v_fma_f64 v[215:216], v[215:216], v[217:218], v[215:216]
	v_fma_f64 v[217:218], -v[213:214], v[215:216], 1.0
	v_fma_f64 v[215:216], v[215:216], v[217:218], v[215:216]
	v_mul_f64 v[217:218], v[219:220], v[215:216]
	v_fma_f64 v[213:214], -v[213:214], v[217:218], v[219:220]
	v_div_fmas_f64 v[213:214], v[213:214], v[215:216], v[217:218]
	v_div_fixup_f64 v[215:216], v[213:214], v[209:210], v[211:212]
	v_fma_f64 v[209:210], v[211:212], v[215:216], v[209:210]
	v_div_scale_f64 v[211:212], null, v[209:210], v[209:210], 1.0
	v_rcp_f64_e32 v[213:214], v[211:212]
	v_fma_f64 v[217:218], -v[211:212], v[213:214], 1.0
	v_fma_f64 v[213:214], v[213:214], v[217:218], v[213:214]
	v_fma_f64 v[217:218], -v[211:212], v[213:214], 1.0
	v_fma_f64 v[213:214], v[213:214], v[217:218], v[213:214]
	v_div_scale_f64 v[217:218], vcc_lo, 1.0, v[209:210], 1.0
	v_mul_f64 v[219:220], v[217:218], v[213:214]
	v_fma_f64 v[211:212], -v[211:212], v[219:220], v[217:218]
	v_div_fmas_f64 v[211:212], v[211:212], v[213:214], v[219:220]
	v_div_fixup_f64 v[213:214], v[211:212], v[209:210], 1.0
	v_mul_f64 v[215:216], v[215:216], -v[213:214]
.LBB107_43:
	s_or_b32 exec_lo, exec_lo, s1
	ds_write2_b64 v255, v[213:214], v[215:216] offset1:1
.LBB107_44:
	s_or_b32 exec_lo, exec_lo, s2
	s_waitcnt lgkmcnt(0)
	s_barrier
	buffer_gl0_inv
	ds_read2_b64 v[209:212], v255 offset1:1
	s_mov_b32 s1, exec_lo
	s_waitcnt lgkmcnt(0)
	buffer_store_dword v209, off, s[16:19], 0 offset:544 ; 4-byte Folded Spill
	buffer_store_dword v210, off, s[16:19], 0 offset:548 ; 4-byte Folded Spill
	;; [unrolled: 1-line block ×4, first 2 shown]
	v_cmpx_lt_u32_e32 4, v0
	s_cbranch_execz .LBB107_46
; %bb.45:
	s_clause 0x7
	buffer_load_dword v215, off, s[16:19], 0 offset:64
	buffer_load_dword v216, off, s[16:19], 0 offset:68
	;; [unrolled: 1-line block ×8, first 2 shown]
	v_mov_b32_e32 v197, v199
	v_mov_b32_e32 v198, v200
	s_waitcnt vmcnt(2)
	v_mul_f64 v[199:200], v[211:212], v[217:218]
	s_waitcnt vmcnt(0)
	v_mul_f64 v[209:210], v[213:214], v[217:218]
	v_fma_f64 v[217:218], v[213:214], v[215:216], v[199:200]
	v_mov_b32_e32 v200, v198
	v_fma_f64 v[209:210], v[211:212], v[215:216], -v[209:210]
	ds_read2_b64 v[211:214], v253 offset0:10 offset1:11
	v_mov_b32_e32 v199, v197
	s_waitcnt lgkmcnt(0)
	v_mul_f64 v[197:198], v[213:214], v[217:218]
	v_fma_f64 v[197:198], v[211:212], v[209:210], -v[197:198]
	v_mul_f64 v[211:212], v[211:212], v[217:218]
	v_fma_f64 v[211:212], v[213:214], v[209:210], v[211:212]
	s_clause 0x3
	buffer_load_dword v213, off, s[16:19], 0 offset:48
	buffer_load_dword v214, off, s[16:19], 0 offset:52
	buffer_load_dword v215, off, s[16:19], 0 offset:56
	buffer_load_dword v216, off, s[16:19], 0 offset:60
	s_waitcnt vmcnt(2)
	v_add_f64 v[213:214], v[213:214], -v[197:198]
	s_waitcnt vmcnt(0)
	v_add_f64 v[215:216], v[215:216], -v[211:212]
	buffer_store_dword v213, off, s[16:19], 0 offset:48 ; 4-byte Folded Spill
	buffer_store_dword v214, off, s[16:19], 0 offset:52 ; 4-byte Folded Spill
	buffer_store_dword v215, off, s[16:19], 0 offset:56 ; 4-byte Folded Spill
	buffer_store_dword v216, off, s[16:19], 0 offset:60 ; 4-byte Folded Spill
	ds_read2_b64 v[211:214], v253 offset0:12 offset1:13
	s_waitcnt lgkmcnt(0)
	v_mul_f64 v[197:198], v[213:214], v[217:218]
	v_fma_f64 v[197:198], v[211:212], v[209:210], -v[197:198]
	v_mul_f64 v[211:212], v[211:212], v[217:218]
	v_fma_f64 v[211:212], v[213:214], v[209:210], v[211:212]
	s_clause 0x3
	buffer_load_dword v213, off, s[16:19], 0 offset:32
	buffer_load_dword v214, off, s[16:19], 0 offset:36
	buffer_load_dword v215, off, s[16:19], 0 offset:40
	buffer_load_dword v216, off, s[16:19], 0 offset:44
	s_waitcnt vmcnt(2)
	v_add_f64 v[213:214], v[213:214], -v[197:198]
	s_waitcnt vmcnt(0)
	v_add_f64 v[215:216], v[215:216], -v[211:212]
	buffer_store_dword v213, off, s[16:19], 0 offset:32 ; 4-byte Folded Spill
	buffer_store_dword v214, off, s[16:19], 0 offset:36 ; 4-byte Folded Spill
	buffer_store_dword v215, off, s[16:19], 0 offset:40 ; 4-byte Folded Spill
	buffer_store_dword v216, off, s[16:19], 0 offset:44 ; 4-byte Folded Spill
	ds_read2_b64 v[211:214], v253 offset0:14 offset1:15
	;; [unrolled: 19-line block ×3, first 2 shown]
	s_waitcnt lgkmcnt(0)
	v_mul_f64 v[197:198], v[213:214], v[217:218]
	v_fma_f64 v[197:198], v[211:212], v[209:210], -v[197:198]
	v_mul_f64 v[211:212], v[211:212], v[217:218]
	v_fma_f64 v[211:212], v[213:214], v[209:210], v[211:212]
	s_clause 0x3
	buffer_load_dword v213, off, s[16:19], 0
	buffer_load_dword v214, off, s[16:19], 0 offset:4
	buffer_load_dword v215, off, s[16:19], 0 offset:8
	;; [unrolled: 1-line block ×3, first 2 shown]
	s_waitcnt vmcnt(2)
	v_add_f64 v[213:214], v[213:214], -v[197:198]
	s_waitcnt vmcnt(0)
	v_add_f64 v[215:216], v[215:216], -v[211:212]
	buffer_store_dword v213, off, s[16:19], 0 ; 4-byte Folded Spill
	buffer_store_dword v214, off, s[16:19], 0 offset:4 ; 4-byte Folded Spill
	buffer_store_dword v215, off, s[16:19], 0 offset:8 ; 4-byte Folded Spill
	buffer_store_dword v216, off, s[16:19], 0 offset:12 ; 4-byte Folded Spill
	ds_read2_b64 v[211:214], v253 offset0:18 offset1:19
	v_mov_b32_e32 v216, v210
	v_mov_b32_e32 v215, v209
	s_waitcnt lgkmcnt(0)
	v_mul_f64 v[197:198], v[213:214], v[217:218]
	v_fma_f64 v[197:198], v[211:212], v[209:210], -v[197:198]
	v_mul_f64 v[211:212], v[211:212], v[217:218]
	v_add_f64 v[177:178], v[177:178], -v[197:198]
	v_fma_f64 v[211:212], v[213:214], v[209:210], v[211:212]
	v_add_f64 v[179:180], v[179:180], -v[211:212]
	ds_read2_b64 v[211:214], v253 offset0:20 offset1:21
	s_waitcnt lgkmcnt(0)
	v_mul_f64 v[197:198], v[213:214], v[217:218]
	v_fma_f64 v[197:198], v[211:212], v[209:210], -v[197:198]
	v_mul_f64 v[211:212], v[211:212], v[217:218]
	v_add_f64 v[173:174], v[173:174], -v[197:198]
	v_fma_f64 v[211:212], v[213:214], v[209:210], v[211:212]
	v_add_f64 v[175:176], v[175:176], -v[211:212]
	ds_read2_b64 v[211:214], v253 offset0:22 offset1:23
	;; [unrolled: 8-line block ×44, first 2 shown]
	s_waitcnt lgkmcnt(0)
	v_mul_f64 v[197:198], v[213:214], v[217:218]
	v_fma_f64 v[197:198], v[211:212], v[209:210], -v[197:198]
	v_mul_f64 v[211:212], v[211:212], v[217:218]
	buffer_store_dword v215, off, s[16:19], 0 offset:64 ; 4-byte Folded Spill
	buffer_store_dword v216, off, s[16:19], 0 offset:68 ; 4-byte Folded Spill
	;; [unrolled: 1-line block ×4, first 2 shown]
	v_add_f64 v[1:2], v[1:2], -v[197:198]
	v_fma_f64 v[211:212], v[213:214], v[209:210], v[211:212]
	v_add_f64 v[3:4], v[3:4], -v[211:212]
.LBB107_46:
	s_or_b32 exec_lo, exec_lo, s1
	s_mov_b32 s2, exec_lo
	s_waitcnt_vscnt null, 0x0
	s_barrier
	buffer_gl0_inv
	v_cmpx_eq_u32_e32 5, v0
	s_cbranch_execz .LBB107_53
; %bb.47:
	s_clause 0x3
	buffer_load_dword v209, off, s[16:19], 0 offset:48
	buffer_load_dword v210, off, s[16:19], 0 offset:52
	;; [unrolled: 1-line block ×4, first 2 shown]
	s_waitcnt vmcnt(0)
	ds_write2_b64 v255, v[209:210], v[211:212] offset1:1
	s_clause 0x3
	buffer_load_dword v209, off, s[16:19], 0 offset:32
	buffer_load_dword v210, off, s[16:19], 0 offset:36
	;; [unrolled: 1-line block ×4, first 2 shown]
	s_waitcnt vmcnt(0)
	ds_write2_b64 v253, v[209:210], v[211:212] offset0:12 offset1:13
	s_clause 0x3
	buffer_load_dword v209, off, s[16:19], 0 offset:16
	buffer_load_dword v210, off, s[16:19], 0 offset:20
	;; [unrolled: 1-line block ×4, first 2 shown]
	s_waitcnt vmcnt(0)
	ds_write2_b64 v253, v[209:210], v[211:212] offset0:14 offset1:15
	s_clause 0x3
	buffer_load_dword v209, off, s[16:19], 0
	buffer_load_dword v210, off, s[16:19], 0 offset:4
	buffer_load_dword v211, off, s[16:19], 0 offset:8
	;; [unrolled: 1-line block ×3, first 2 shown]
	s_waitcnt vmcnt(0)
	ds_write2_b64 v253, v[209:210], v[211:212] offset0:16 offset1:17
	ds_write2_b64 v253, v[177:178], v[179:180] offset0:18 offset1:19
	;; [unrolled: 1-line block ×46, first 2 shown]
	ds_read2_b64 v[209:212], v255 offset1:1
	s_waitcnt lgkmcnt(0)
	v_cmp_neq_f64_e32 vcc_lo, 0, v[209:210]
	v_cmp_neq_f64_e64 s1, 0, v[211:212]
	s_or_b32 s1, vcc_lo, s1
	s_and_b32 exec_lo, exec_lo, s1
	s_cbranch_execz .LBB107_53
; %bb.48:
	v_cmp_ngt_f64_e64 s1, |v[209:210]|, |v[211:212]|
                                        ; implicit-def: $vgpr213_vgpr214
	s_and_saveexec_b32 s3, s1
	s_xor_b32 s1, exec_lo, s3
                                        ; implicit-def: $vgpr215_vgpr216
	s_cbranch_execz .LBB107_50
; %bb.49:
	v_div_scale_f64 v[213:214], null, v[211:212], v[211:212], v[209:210]
	v_div_scale_f64 v[219:220], vcc_lo, v[209:210], v[211:212], v[209:210]
	v_rcp_f64_e32 v[215:216], v[213:214]
	v_fma_f64 v[217:218], -v[213:214], v[215:216], 1.0
	v_fma_f64 v[215:216], v[215:216], v[217:218], v[215:216]
	v_fma_f64 v[217:218], -v[213:214], v[215:216], 1.0
	v_fma_f64 v[215:216], v[215:216], v[217:218], v[215:216]
	v_mul_f64 v[217:218], v[219:220], v[215:216]
	v_fma_f64 v[213:214], -v[213:214], v[217:218], v[219:220]
	v_div_fmas_f64 v[213:214], v[213:214], v[215:216], v[217:218]
	v_div_fixup_f64 v[213:214], v[213:214], v[211:212], v[209:210]
	v_fma_f64 v[209:210], v[209:210], v[213:214], v[211:212]
	v_div_scale_f64 v[211:212], null, v[209:210], v[209:210], 1.0
	v_rcp_f64_e32 v[215:216], v[211:212]
	v_fma_f64 v[217:218], -v[211:212], v[215:216], 1.0
	v_fma_f64 v[215:216], v[215:216], v[217:218], v[215:216]
	v_fma_f64 v[217:218], -v[211:212], v[215:216], 1.0
	v_fma_f64 v[215:216], v[215:216], v[217:218], v[215:216]
	v_div_scale_f64 v[217:218], vcc_lo, 1.0, v[209:210], 1.0
	v_mul_f64 v[219:220], v[217:218], v[215:216]
	v_fma_f64 v[211:212], -v[211:212], v[219:220], v[217:218]
	v_div_fmas_f64 v[211:212], v[211:212], v[215:216], v[219:220]
	v_div_fixup_f64 v[215:216], v[211:212], v[209:210], 1.0
                                        ; implicit-def: $vgpr209_vgpr210
	v_mul_f64 v[213:214], v[213:214], v[215:216]
	v_xor_b32_e32 v216, 0x80000000, v216
.LBB107_50:
	s_andn2_saveexec_b32 s1, s1
	s_cbranch_execz .LBB107_52
; %bb.51:
	v_div_scale_f64 v[213:214], null, v[209:210], v[209:210], v[211:212]
	v_div_scale_f64 v[219:220], vcc_lo, v[211:212], v[209:210], v[211:212]
	v_rcp_f64_e32 v[215:216], v[213:214]
	v_fma_f64 v[217:218], -v[213:214], v[215:216], 1.0
	v_fma_f64 v[215:216], v[215:216], v[217:218], v[215:216]
	v_fma_f64 v[217:218], -v[213:214], v[215:216], 1.0
	v_fma_f64 v[215:216], v[215:216], v[217:218], v[215:216]
	v_mul_f64 v[217:218], v[219:220], v[215:216]
	v_fma_f64 v[213:214], -v[213:214], v[217:218], v[219:220]
	v_div_fmas_f64 v[213:214], v[213:214], v[215:216], v[217:218]
	v_div_fixup_f64 v[215:216], v[213:214], v[209:210], v[211:212]
	v_fma_f64 v[209:210], v[211:212], v[215:216], v[209:210]
	v_div_scale_f64 v[211:212], null, v[209:210], v[209:210], 1.0
	v_rcp_f64_e32 v[213:214], v[211:212]
	v_fma_f64 v[217:218], -v[211:212], v[213:214], 1.0
	v_fma_f64 v[213:214], v[213:214], v[217:218], v[213:214]
	v_fma_f64 v[217:218], -v[211:212], v[213:214], 1.0
	v_fma_f64 v[213:214], v[213:214], v[217:218], v[213:214]
	v_div_scale_f64 v[217:218], vcc_lo, 1.0, v[209:210], 1.0
	v_mul_f64 v[219:220], v[217:218], v[213:214]
	v_fma_f64 v[211:212], -v[211:212], v[219:220], v[217:218]
	v_div_fmas_f64 v[211:212], v[211:212], v[213:214], v[219:220]
	v_div_fixup_f64 v[213:214], v[211:212], v[209:210], 1.0
	v_mul_f64 v[215:216], v[215:216], -v[213:214]
.LBB107_52:
	s_or_b32 exec_lo, exec_lo, s1
	ds_write2_b64 v255, v[213:214], v[215:216] offset1:1
.LBB107_53:
	s_or_b32 exec_lo, exec_lo, s2
	s_waitcnt lgkmcnt(0)
	s_barrier
	buffer_gl0_inv
	ds_read2_b64 v[209:212], v255 offset1:1
	s_mov_b32 s1, exec_lo
	s_waitcnt lgkmcnt(0)
	buffer_store_dword v209, off, s[16:19], 0 offset:560 ; 4-byte Folded Spill
	buffer_store_dword v210, off, s[16:19], 0 offset:564 ; 4-byte Folded Spill
	;; [unrolled: 1-line block ×4, first 2 shown]
	v_cmpx_lt_u32_e32 5, v0
	s_cbranch_execz .LBB107_55
; %bb.54:
	s_clause 0x7
	buffer_load_dword v215, off, s[16:19], 0 offset:48
	buffer_load_dword v216, off, s[16:19], 0 offset:52
	;; [unrolled: 1-line block ×8, first 2 shown]
	v_mov_b32_e32 v198, v194
	v_mov_b32_e32 v197, v193
	;; [unrolled: 1-line block ×4, first 2 shown]
	s_waitcnt vmcnt(2)
	v_mul_f64 v[195:196], v[211:212], v[217:218]
	s_waitcnt vmcnt(0)
	v_mul_f64 v[209:210], v[213:214], v[217:218]
	v_fma_f64 v[217:218], v[213:214], v[215:216], v[195:196]
	v_mov_b32_e32 v196, v194
	v_fma_f64 v[209:210], v[211:212], v[215:216], -v[209:210]
	ds_read2_b64 v[211:214], v253 offset0:12 offset1:13
	v_mov_b32_e32 v195, v193
	s_waitcnt lgkmcnt(0)
	v_mul_f64 v[193:194], v[213:214], v[217:218]
	v_fma_f64 v[193:194], v[211:212], v[209:210], -v[193:194]
	v_mul_f64 v[211:212], v[211:212], v[217:218]
	v_fma_f64 v[211:212], v[213:214], v[209:210], v[211:212]
	s_clause 0x3
	buffer_load_dword v213, off, s[16:19], 0 offset:32
	buffer_load_dword v214, off, s[16:19], 0 offset:36
	;; [unrolled: 1-line block ×4, first 2 shown]
	s_waitcnt vmcnt(2)
	v_add_f64 v[213:214], v[213:214], -v[193:194]
	s_waitcnt vmcnt(0)
	v_add_f64 v[215:216], v[215:216], -v[211:212]
	buffer_store_dword v213, off, s[16:19], 0 offset:32 ; 4-byte Folded Spill
	buffer_store_dword v214, off, s[16:19], 0 offset:36 ; 4-byte Folded Spill
	;; [unrolled: 1-line block ×4, first 2 shown]
	ds_read2_b64 v[211:214], v253 offset0:14 offset1:15
	s_waitcnt lgkmcnt(0)
	v_mul_f64 v[193:194], v[213:214], v[217:218]
	v_fma_f64 v[193:194], v[211:212], v[209:210], -v[193:194]
	v_mul_f64 v[211:212], v[211:212], v[217:218]
	v_fma_f64 v[211:212], v[213:214], v[209:210], v[211:212]
	s_clause 0x3
	buffer_load_dword v213, off, s[16:19], 0 offset:16
	buffer_load_dword v214, off, s[16:19], 0 offset:20
	;; [unrolled: 1-line block ×4, first 2 shown]
	s_waitcnt vmcnt(2)
	v_add_f64 v[213:214], v[213:214], -v[193:194]
	s_waitcnt vmcnt(0)
	v_add_f64 v[215:216], v[215:216], -v[211:212]
	buffer_store_dword v213, off, s[16:19], 0 offset:16 ; 4-byte Folded Spill
	buffer_store_dword v214, off, s[16:19], 0 offset:20 ; 4-byte Folded Spill
	;; [unrolled: 1-line block ×4, first 2 shown]
	ds_read2_b64 v[211:214], v253 offset0:16 offset1:17
	s_waitcnt lgkmcnt(0)
	v_mul_f64 v[193:194], v[213:214], v[217:218]
	v_fma_f64 v[193:194], v[211:212], v[209:210], -v[193:194]
	v_mul_f64 v[211:212], v[211:212], v[217:218]
	v_fma_f64 v[211:212], v[213:214], v[209:210], v[211:212]
	s_clause 0x3
	buffer_load_dword v213, off, s[16:19], 0
	buffer_load_dword v214, off, s[16:19], 0 offset:4
	buffer_load_dword v215, off, s[16:19], 0 offset:8
	;; [unrolled: 1-line block ×3, first 2 shown]
	s_waitcnt vmcnt(2)
	v_add_f64 v[213:214], v[213:214], -v[193:194]
	s_waitcnt vmcnt(0)
	v_add_f64 v[215:216], v[215:216], -v[211:212]
	buffer_store_dword v213, off, s[16:19], 0 ; 4-byte Folded Spill
	buffer_store_dword v214, off, s[16:19], 0 offset:4 ; 4-byte Folded Spill
	buffer_store_dword v215, off, s[16:19], 0 offset:8 ; 4-byte Folded Spill
	;; [unrolled: 1-line block ×3, first 2 shown]
	ds_read2_b64 v[211:214], v253 offset0:18 offset1:19
	v_mov_b32_e32 v216, v210
	v_mov_b32_e32 v215, v209
	s_waitcnt lgkmcnt(0)
	v_mul_f64 v[193:194], v[213:214], v[217:218]
	v_fma_f64 v[193:194], v[211:212], v[209:210], -v[193:194]
	v_mul_f64 v[211:212], v[211:212], v[217:218]
	v_add_f64 v[177:178], v[177:178], -v[193:194]
	v_fma_f64 v[211:212], v[213:214], v[209:210], v[211:212]
	v_add_f64 v[179:180], v[179:180], -v[211:212]
	ds_read2_b64 v[211:214], v253 offset0:20 offset1:21
	s_waitcnt lgkmcnt(0)
	v_mul_f64 v[193:194], v[213:214], v[217:218]
	v_fma_f64 v[193:194], v[211:212], v[209:210], -v[193:194]
	v_mul_f64 v[211:212], v[211:212], v[217:218]
	v_add_f64 v[173:174], v[173:174], -v[193:194]
	v_fma_f64 v[211:212], v[213:214], v[209:210], v[211:212]
	v_add_f64 v[175:176], v[175:176], -v[211:212]
	ds_read2_b64 v[211:214], v253 offset0:22 offset1:23
	;; [unrolled: 8-line block ×44, first 2 shown]
	s_waitcnt lgkmcnt(0)
	v_mul_f64 v[193:194], v[213:214], v[217:218]
	v_fma_f64 v[193:194], v[211:212], v[209:210], -v[193:194]
	v_mul_f64 v[211:212], v[211:212], v[217:218]
	buffer_store_dword v215, off, s[16:19], 0 offset:48 ; 4-byte Folded Spill
	buffer_store_dword v216, off, s[16:19], 0 offset:52 ; 4-byte Folded Spill
	;; [unrolled: 1-line block ×4, first 2 shown]
	v_add_f64 v[1:2], v[1:2], -v[193:194]
	v_fma_f64 v[211:212], v[213:214], v[209:210], v[211:212]
	v_mov_b32_e32 v193, v197
	v_mov_b32_e32 v194, v198
	v_add_f64 v[3:4], v[3:4], -v[211:212]
.LBB107_55:
	s_or_b32 exec_lo, exec_lo, s1
	s_mov_b32 s2, exec_lo
	s_waitcnt_vscnt null, 0x0
	s_barrier
	buffer_gl0_inv
	v_cmpx_eq_u32_e32 6, v0
	s_cbranch_execz .LBB107_62
; %bb.56:
	s_clause 0x3
	buffer_load_dword v209, off, s[16:19], 0 offset:32
	buffer_load_dword v210, off, s[16:19], 0 offset:36
	;; [unrolled: 1-line block ×4, first 2 shown]
	s_waitcnt vmcnt(0)
	ds_write2_b64 v255, v[209:210], v[211:212] offset1:1
	s_clause 0x3
	buffer_load_dword v209, off, s[16:19], 0 offset:16
	buffer_load_dword v210, off, s[16:19], 0 offset:20
	;; [unrolled: 1-line block ×4, first 2 shown]
	s_waitcnt vmcnt(0)
	ds_write2_b64 v253, v[209:210], v[211:212] offset0:14 offset1:15
	s_clause 0x3
	buffer_load_dword v209, off, s[16:19], 0
	buffer_load_dword v210, off, s[16:19], 0 offset:4
	buffer_load_dword v211, off, s[16:19], 0 offset:8
	;; [unrolled: 1-line block ×3, first 2 shown]
	s_waitcnt vmcnt(0)
	ds_write2_b64 v253, v[209:210], v[211:212] offset0:16 offset1:17
	ds_write2_b64 v253, v[177:178], v[179:180] offset0:18 offset1:19
	;; [unrolled: 1-line block ×46, first 2 shown]
	ds_read2_b64 v[209:212], v255 offset1:1
	s_waitcnt lgkmcnt(0)
	v_cmp_neq_f64_e32 vcc_lo, 0, v[209:210]
	v_cmp_neq_f64_e64 s1, 0, v[211:212]
	s_or_b32 s1, vcc_lo, s1
	s_and_b32 exec_lo, exec_lo, s1
	s_cbranch_execz .LBB107_62
; %bb.57:
	v_cmp_ngt_f64_e64 s1, |v[209:210]|, |v[211:212]|
                                        ; implicit-def: $vgpr213_vgpr214
	s_and_saveexec_b32 s3, s1
	s_xor_b32 s1, exec_lo, s3
                                        ; implicit-def: $vgpr215_vgpr216
	s_cbranch_execz .LBB107_59
; %bb.58:
	v_div_scale_f64 v[213:214], null, v[211:212], v[211:212], v[209:210]
	v_div_scale_f64 v[219:220], vcc_lo, v[209:210], v[211:212], v[209:210]
	v_rcp_f64_e32 v[215:216], v[213:214]
	v_fma_f64 v[217:218], -v[213:214], v[215:216], 1.0
	v_fma_f64 v[215:216], v[215:216], v[217:218], v[215:216]
	v_fma_f64 v[217:218], -v[213:214], v[215:216], 1.0
	v_fma_f64 v[215:216], v[215:216], v[217:218], v[215:216]
	v_mul_f64 v[217:218], v[219:220], v[215:216]
	v_fma_f64 v[213:214], -v[213:214], v[217:218], v[219:220]
	v_div_fmas_f64 v[213:214], v[213:214], v[215:216], v[217:218]
	v_div_fixup_f64 v[213:214], v[213:214], v[211:212], v[209:210]
	v_fma_f64 v[209:210], v[209:210], v[213:214], v[211:212]
	v_div_scale_f64 v[211:212], null, v[209:210], v[209:210], 1.0
	v_rcp_f64_e32 v[215:216], v[211:212]
	v_fma_f64 v[217:218], -v[211:212], v[215:216], 1.0
	v_fma_f64 v[215:216], v[215:216], v[217:218], v[215:216]
	v_fma_f64 v[217:218], -v[211:212], v[215:216], 1.0
	v_fma_f64 v[215:216], v[215:216], v[217:218], v[215:216]
	v_div_scale_f64 v[217:218], vcc_lo, 1.0, v[209:210], 1.0
	v_mul_f64 v[219:220], v[217:218], v[215:216]
	v_fma_f64 v[211:212], -v[211:212], v[219:220], v[217:218]
	v_div_fmas_f64 v[211:212], v[211:212], v[215:216], v[219:220]
	v_div_fixup_f64 v[215:216], v[211:212], v[209:210], 1.0
                                        ; implicit-def: $vgpr209_vgpr210
	v_mul_f64 v[213:214], v[213:214], v[215:216]
	v_xor_b32_e32 v216, 0x80000000, v216
.LBB107_59:
	s_andn2_saveexec_b32 s1, s1
	s_cbranch_execz .LBB107_61
; %bb.60:
	v_div_scale_f64 v[213:214], null, v[209:210], v[209:210], v[211:212]
	v_div_scale_f64 v[219:220], vcc_lo, v[211:212], v[209:210], v[211:212]
	v_rcp_f64_e32 v[215:216], v[213:214]
	v_fma_f64 v[217:218], -v[213:214], v[215:216], 1.0
	v_fma_f64 v[215:216], v[215:216], v[217:218], v[215:216]
	v_fma_f64 v[217:218], -v[213:214], v[215:216], 1.0
	v_fma_f64 v[215:216], v[215:216], v[217:218], v[215:216]
	v_mul_f64 v[217:218], v[219:220], v[215:216]
	v_fma_f64 v[213:214], -v[213:214], v[217:218], v[219:220]
	v_div_fmas_f64 v[213:214], v[213:214], v[215:216], v[217:218]
	v_div_fixup_f64 v[215:216], v[213:214], v[209:210], v[211:212]
	v_fma_f64 v[209:210], v[211:212], v[215:216], v[209:210]
	v_div_scale_f64 v[211:212], null, v[209:210], v[209:210], 1.0
	v_rcp_f64_e32 v[213:214], v[211:212]
	v_fma_f64 v[217:218], -v[211:212], v[213:214], 1.0
	v_fma_f64 v[213:214], v[213:214], v[217:218], v[213:214]
	v_fma_f64 v[217:218], -v[211:212], v[213:214], 1.0
	v_fma_f64 v[213:214], v[213:214], v[217:218], v[213:214]
	v_div_scale_f64 v[217:218], vcc_lo, 1.0, v[209:210], 1.0
	v_mul_f64 v[219:220], v[217:218], v[213:214]
	v_fma_f64 v[211:212], -v[211:212], v[219:220], v[217:218]
	v_div_fmas_f64 v[211:212], v[211:212], v[213:214], v[219:220]
	v_div_fixup_f64 v[213:214], v[211:212], v[209:210], 1.0
	v_mul_f64 v[215:216], v[215:216], -v[213:214]
.LBB107_61:
	s_or_b32 exec_lo, exec_lo, s1
	ds_write2_b64 v255, v[213:214], v[215:216] offset1:1
.LBB107_62:
	s_or_b32 exec_lo, exec_lo, s2
	s_waitcnt lgkmcnt(0)
	s_barrier
	buffer_gl0_inv
	ds_read2_b64 v[209:212], v255 offset1:1
	s_mov_b32 s1, exec_lo
	s_waitcnt lgkmcnt(0)
	buffer_store_dword v209, off, s[16:19], 0 offset:576 ; 4-byte Folded Spill
	buffer_store_dword v210, off, s[16:19], 0 offset:580 ; 4-byte Folded Spill
	;; [unrolled: 1-line block ×4, first 2 shown]
	v_cmpx_lt_u32_e32 6, v0
	s_cbranch_execz .LBB107_64
; %bb.63:
	s_clause 0x7
	buffer_load_dword v215, off, s[16:19], 0 offset:32
	buffer_load_dword v216, off, s[16:19], 0 offset:36
	;; [unrolled: 1-line block ×8, first 2 shown]
	v_mov_b32_e32 v198, v190
	v_mov_b32_e32 v197, v189
	;; [unrolled: 1-line block ×4, first 2 shown]
	s_waitcnt vmcnt(2)
	v_mul_f64 v[191:192], v[211:212], v[217:218]
	s_waitcnt vmcnt(0)
	v_mul_f64 v[209:210], v[213:214], v[217:218]
	v_fma_f64 v[217:218], v[213:214], v[215:216], v[191:192]
	v_mov_b32_e32 v192, v190
	v_fma_f64 v[209:210], v[211:212], v[215:216], -v[209:210]
	ds_read2_b64 v[211:214], v253 offset0:14 offset1:15
	v_mov_b32_e32 v191, v189
	s_waitcnt lgkmcnt(0)
	v_mul_f64 v[189:190], v[213:214], v[217:218]
	v_fma_f64 v[189:190], v[211:212], v[209:210], -v[189:190]
	v_mul_f64 v[211:212], v[211:212], v[217:218]
	v_fma_f64 v[211:212], v[213:214], v[209:210], v[211:212]
	s_clause 0x3
	buffer_load_dword v213, off, s[16:19], 0 offset:16
	buffer_load_dword v214, off, s[16:19], 0 offset:20
	;; [unrolled: 1-line block ×4, first 2 shown]
	s_waitcnt vmcnt(2)
	v_add_f64 v[213:214], v[213:214], -v[189:190]
	s_waitcnt vmcnt(0)
	v_add_f64 v[215:216], v[215:216], -v[211:212]
	buffer_store_dword v213, off, s[16:19], 0 offset:16 ; 4-byte Folded Spill
	buffer_store_dword v214, off, s[16:19], 0 offset:20 ; 4-byte Folded Spill
	;; [unrolled: 1-line block ×4, first 2 shown]
	ds_read2_b64 v[211:214], v253 offset0:16 offset1:17
	s_waitcnt lgkmcnt(0)
	v_mul_f64 v[189:190], v[213:214], v[217:218]
	v_fma_f64 v[189:190], v[211:212], v[209:210], -v[189:190]
	v_mul_f64 v[211:212], v[211:212], v[217:218]
	v_fma_f64 v[211:212], v[213:214], v[209:210], v[211:212]
	s_clause 0x3
	buffer_load_dword v213, off, s[16:19], 0
	buffer_load_dword v214, off, s[16:19], 0 offset:4
	buffer_load_dword v215, off, s[16:19], 0 offset:8
	;; [unrolled: 1-line block ×3, first 2 shown]
	s_waitcnt vmcnt(2)
	v_add_f64 v[213:214], v[213:214], -v[189:190]
	s_waitcnt vmcnt(0)
	v_add_f64 v[215:216], v[215:216], -v[211:212]
	buffer_store_dword v213, off, s[16:19], 0 ; 4-byte Folded Spill
	buffer_store_dword v214, off, s[16:19], 0 offset:4 ; 4-byte Folded Spill
	buffer_store_dword v215, off, s[16:19], 0 offset:8 ; 4-byte Folded Spill
	buffer_store_dword v216, off, s[16:19], 0 offset:12 ; 4-byte Folded Spill
	ds_read2_b64 v[211:214], v253 offset0:18 offset1:19
	v_mov_b32_e32 v216, v210
	v_mov_b32_e32 v215, v209
	s_waitcnt lgkmcnt(0)
	v_mul_f64 v[189:190], v[213:214], v[217:218]
	v_fma_f64 v[189:190], v[211:212], v[209:210], -v[189:190]
	v_mul_f64 v[211:212], v[211:212], v[217:218]
	v_add_f64 v[177:178], v[177:178], -v[189:190]
	v_fma_f64 v[211:212], v[213:214], v[209:210], v[211:212]
	v_add_f64 v[179:180], v[179:180], -v[211:212]
	ds_read2_b64 v[211:214], v253 offset0:20 offset1:21
	s_waitcnt lgkmcnt(0)
	v_mul_f64 v[189:190], v[213:214], v[217:218]
	v_fma_f64 v[189:190], v[211:212], v[209:210], -v[189:190]
	v_mul_f64 v[211:212], v[211:212], v[217:218]
	v_add_f64 v[173:174], v[173:174], -v[189:190]
	v_fma_f64 v[211:212], v[213:214], v[209:210], v[211:212]
	v_add_f64 v[175:176], v[175:176], -v[211:212]
	ds_read2_b64 v[211:214], v253 offset0:22 offset1:23
	;; [unrolled: 8-line block ×44, first 2 shown]
	s_waitcnt lgkmcnt(0)
	v_mul_f64 v[189:190], v[213:214], v[217:218]
	v_fma_f64 v[189:190], v[211:212], v[209:210], -v[189:190]
	v_mul_f64 v[211:212], v[211:212], v[217:218]
	buffer_store_dword v215, off, s[16:19], 0 offset:32 ; 4-byte Folded Spill
	buffer_store_dword v216, off, s[16:19], 0 offset:36 ; 4-byte Folded Spill
	;; [unrolled: 1-line block ×4, first 2 shown]
	v_add_f64 v[1:2], v[1:2], -v[189:190]
	v_fma_f64 v[211:212], v[213:214], v[209:210], v[211:212]
	v_mov_b32_e32 v189, v197
	v_mov_b32_e32 v190, v198
	v_add_f64 v[3:4], v[3:4], -v[211:212]
.LBB107_64:
	s_or_b32 exec_lo, exec_lo, s1
	s_mov_b32 s2, exec_lo
	s_waitcnt_vscnt null, 0x0
	s_barrier
	buffer_gl0_inv
	v_cmpx_eq_u32_e32 7, v0
	s_cbranch_execz .LBB107_71
; %bb.65:
	s_clause 0x3
	buffer_load_dword v209, off, s[16:19], 0 offset:16
	buffer_load_dword v210, off, s[16:19], 0 offset:20
	;; [unrolled: 1-line block ×4, first 2 shown]
	s_waitcnt vmcnt(0)
	ds_write2_b64 v255, v[209:210], v[211:212] offset1:1
	s_clause 0x3
	buffer_load_dword v209, off, s[16:19], 0
	buffer_load_dword v210, off, s[16:19], 0 offset:4
	buffer_load_dword v211, off, s[16:19], 0 offset:8
	;; [unrolled: 1-line block ×3, first 2 shown]
	s_waitcnt vmcnt(0)
	ds_write2_b64 v253, v[209:210], v[211:212] offset0:16 offset1:17
	ds_write2_b64 v253, v[177:178], v[179:180] offset0:18 offset1:19
	;; [unrolled: 1-line block ×46, first 2 shown]
	ds_read2_b64 v[209:212], v255 offset1:1
	s_waitcnt lgkmcnt(0)
	v_cmp_neq_f64_e32 vcc_lo, 0, v[209:210]
	v_cmp_neq_f64_e64 s1, 0, v[211:212]
	s_or_b32 s1, vcc_lo, s1
	s_and_b32 exec_lo, exec_lo, s1
	s_cbranch_execz .LBB107_71
; %bb.66:
	v_cmp_ngt_f64_e64 s1, |v[209:210]|, |v[211:212]|
                                        ; implicit-def: $vgpr213_vgpr214
	s_and_saveexec_b32 s3, s1
	s_xor_b32 s1, exec_lo, s3
                                        ; implicit-def: $vgpr215_vgpr216
	s_cbranch_execz .LBB107_68
; %bb.67:
	v_div_scale_f64 v[213:214], null, v[211:212], v[211:212], v[209:210]
	v_div_scale_f64 v[219:220], vcc_lo, v[209:210], v[211:212], v[209:210]
	v_rcp_f64_e32 v[215:216], v[213:214]
	v_fma_f64 v[217:218], -v[213:214], v[215:216], 1.0
	v_fma_f64 v[215:216], v[215:216], v[217:218], v[215:216]
	v_fma_f64 v[217:218], -v[213:214], v[215:216], 1.0
	v_fma_f64 v[215:216], v[215:216], v[217:218], v[215:216]
	v_mul_f64 v[217:218], v[219:220], v[215:216]
	v_fma_f64 v[213:214], -v[213:214], v[217:218], v[219:220]
	v_div_fmas_f64 v[213:214], v[213:214], v[215:216], v[217:218]
	v_div_fixup_f64 v[213:214], v[213:214], v[211:212], v[209:210]
	v_fma_f64 v[209:210], v[209:210], v[213:214], v[211:212]
	v_div_scale_f64 v[211:212], null, v[209:210], v[209:210], 1.0
	v_rcp_f64_e32 v[215:216], v[211:212]
	v_fma_f64 v[217:218], -v[211:212], v[215:216], 1.0
	v_fma_f64 v[215:216], v[215:216], v[217:218], v[215:216]
	v_fma_f64 v[217:218], -v[211:212], v[215:216], 1.0
	v_fma_f64 v[215:216], v[215:216], v[217:218], v[215:216]
	v_div_scale_f64 v[217:218], vcc_lo, 1.0, v[209:210], 1.0
	v_mul_f64 v[219:220], v[217:218], v[215:216]
	v_fma_f64 v[211:212], -v[211:212], v[219:220], v[217:218]
	v_div_fmas_f64 v[211:212], v[211:212], v[215:216], v[219:220]
	v_div_fixup_f64 v[215:216], v[211:212], v[209:210], 1.0
                                        ; implicit-def: $vgpr209_vgpr210
	v_mul_f64 v[213:214], v[213:214], v[215:216]
	v_xor_b32_e32 v216, 0x80000000, v216
.LBB107_68:
	s_andn2_saveexec_b32 s1, s1
	s_cbranch_execz .LBB107_70
; %bb.69:
	v_div_scale_f64 v[213:214], null, v[209:210], v[209:210], v[211:212]
	v_div_scale_f64 v[219:220], vcc_lo, v[211:212], v[209:210], v[211:212]
	v_rcp_f64_e32 v[215:216], v[213:214]
	v_fma_f64 v[217:218], -v[213:214], v[215:216], 1.0
	v_fma_f64 v[215:216], v[215:216], v[217:218], v[215:216]
	v_fma_f64 v[217:218], -v[213:214], v[215:216], 1.0
	v_fma_f64 v[215:216], v[215:216], v[217:218], v[215:216]
	v_mul_f64 v[217:218], v[219:220], v[215:216]
	v_fma_f64 v[213:214], -v[213:214], v[217:218], v[219:220]
	v_div_fmas_f64 v[213:214], v[213:214], v[215:216], v[217:218]
	v_div_fixup_f64 v[215:216], v[213:214], v[209:210], v[211:212]
	v_fma_f64 v[209:210], v[211:212], v[215:216], v[209:210]
	v_div_scale_f64 v[211:212], null, v[209:210], v[209:210], 1.0
	v_rcp_f64_e32 v[213:214], v[211:212]
	v_fma_f64 v[217:218], -v[211:212], v[213:214], 1.0
	v_fma_f64 v[213:214], v[213:214], v[217:218], v[213:214]
	v_fma_f64 v[217:218], -v[211:212], v[213:214], 1.0
	v_fma_f64 v[213:214], v[213:214], v[217:218], v[213:214]
	v_div_scale_f64 v[217:218], vcc_lo, 1.0, v[209:210], 1.0
	v_mul_f64 v[219:220], v[217:218], v[213:214]
	v_fma_f64 v[211:212], -v[211:212], v[219:220], v[217:218]
	v_div_fmas_f64 v[211:212], v[211:212], v[213:214], v[219:220]
	v_div_fixup_f64 v[213:214], v[211:212], v[209:210], 1.0
	v_mul_f64 v[215:216], v[215:216], -v[213:214]
.LBB107_70:
	s_or_b32 exec_lo, exec_lo, s1
	ds_write2_b64 v255, v[213:214], v[215:216] offset1:1
.LBB107_71:
	s_or_b32 exec_lo, exec_lo, s2
	s_waitcnt lgkmcnt(0)
	s_barrier
	buffer_gl0_inv
	ds_read2_b64 v[209:212], v255 offset1:1
	s_mov_b32 s1, exec_lo
	s_waitcnt lgkmcnt(0)
	buffer_store_dword v209, off, s[16:19], 0 offset:592 ; 4-byte Folded Spill
	buffer_store_dword v210, off, s[16:19], 0 offset:596 ; 4-byte Folded Spill
	;; [unrolled: 1-line block ×4, first 2 shown]
	v_cmpx_lt_u32_e32 7, v0
	s_cbranch_execz .LBB107_73
; %bb.72:
	s_clause 0x7
	buffer_load_dword v215, off, s[16:19], 0 offset:16
	buffer_load_dword v216, off, s[16:19], 0 offset:20
	;; [unrolled: 1-line block ×8, first 2 shown]
	v_mov_b32_e32 v198, v186
	v_mov_b32_e32 v197, v185
	;; [unrolled: 1-line block ×4, first 2 shown]
	s_waitcnt vmcnt(2)
	v_mul_f64 v[187:188], v[211:212], v[217:218]
	s_waitcnt vmcnt(0)
	v_mul_f64 v[209:210], v[213:214], v[217:218]
	v_fma_f64 v[217:218], v[213:214], v[215:216], v[187:188]
	v_mov_b32_e32 v188, v186
	v_fma_f64 v[209:210], v[211:212], v[215:216], -v[209:210]
	ds_read2_b64 v[211:214], v253 offset0:16 offset1:17
	v_mov_b32_e32 v187, v185
	s_waitcnt lgkmcnt(0)
	v_mul_f64 v[185:186], v[213:214], v[217:218]
	v_fma_f64 v[185:186], v[211:212], v[209:210], -v[185:186]
	v_mul_f64 v[211:212], v[211:212], v[217:218]
	v_fma_f64 v[211:212], v[213:214], v[209:210], v[211:212]
	s_clause 0x3
	buffer_load_dword v213, off, s[16:19], 0
	buffer_load_dword v214, off, s[16:19], 0 offset:4
	buffer_load_dword v215, off, s[16:19], 0 offset:8
	;; [unrolled: 1-line block ×3, first 2 shown]
	s_waitcnt vmcnt(2)
	v_add_f64 v[213:214], v[213:214], -v[185:186]
	s_waitcnt vmcnt(0)
	v_add_f64 v[215:216], v[215:216], -v[211:212]
	buffer_store_dword v213, off, s[16:19], 0 ; 4-byte Folded Spill
	buffer_store_dword v214, off, s[16:19], 0 offset:4 ; 4-byte Folded Spill
	buffer_store_dword v215, off, s[16:19], 0 offset:8 ; 4-byte Folded Spill
	;; [unrolled: 1-line block ×3, first 2 shown]
	ds_read2_b64 v[211:214], v253 offset0:18 offset1:19
	v_mov_b32_e32 v216, v210
	v_mov_b32_e32 v215, v209
	s_waitcnt lgkmcnt(0)
	v_mul_f64 v[185:186], v[213:214], v[217:218]
	v_fma_f64 v[185:186], v[211:212], v[209:210], -v[185:186]
	v_mul_f64 v[211:212], v[211:212], v[217:218]
	v_add_f64 v[177:178], v[177:178], -v[185:186]
	v_fma_f64 v[211:212], v[213:214], v[209:210], v[211:212]
	v_add_f64 v[179:180], v[179:180], -v[211:212]
	ds_read2_b64 v[211:214], v253 offset0:20 offset1:21
	s_waitcnt lgkmcnt(0)
	v_mul_f64 v[185:186], v[213:214], v[217:218]
	v_fma_f64 v[185:186], v[211:212], v[209:210], -v[185:186]
	v_mul_f64 v[211:212], v[211:212], v[217:218]
	v_add_f64 v[173:174], v[173:174], -v[185:186]
	v_fma_f64 v[211:212], v[213:214], v[209:210], v[211:212]
	v_add_f64 v[175:176], v[175:176], -v[211:212]
	ds_read2_b64 v[211:214], v253 offset0:22 offset1:23
	;; [unrolled: 8-line block ×44, first 2 shown]
	s_waitcnt lgkmcnt(0)
	v_mul_f64 v[185:186], v[213:214], v[217:218]
	v_fma_f64 v[185:186], v[211:212], v[209:210], -v[185:186]
	v_mul_f64 v[211:212], v[211:212], v[217:218]
	buffer_store_dword v215, off, s[16:19], 0 offset:16 ; 4-byte Folded Spill
	buffer_store_dword v216, off, s[16:19], 0 offset:20 ; 4-byte Folded Spill
	;; [unrolled: 1-line block ×4, first 2 shown]
	v_add_f64 v[1:2], v[1:2], -v[185:186]
	v_fma_f64 v[211:212], v[213:214], v[209:210], v[211:212]
	v_mov_b32_e32 v185, v197
	v_mov_b32_e32 v186, v198
	v_add_f64 v[3:4], v[3:4], -v[211:212]
.LBB107_73:
	s_or_b32 exec_lo, exec_lo, s1
	s_mov_b32 s2, exec_lo
	s_waitcnt_vscnt null, 0x0
	s_barrier
	buffer_gl0_inv
	v_cmpx_eq_u32_e32 8, v0
	s_cbranch_execz .LBB107_80
; %bb.74:
	s_clause 0x3
	buffer_load_dword v209, off, s[16:19], 0
	buffer_load_dword v210, off, s[16:19], 0 offset:4
	buffer_load_dword v211, off, s[16:19], 0 offset:8
	;; [unrolled: 1-line block ×3, first 2 shown]
	s_waitcnt vmcnt(0)
	ds_write2_b64 v255, v[209:210], v[211:212] offset1:1
	ds_write2_b64 v253, v[177:178], v[179:180] offset0:18 offset1:19
	ds_write2_b64 v253, v[173:174], v[175:176] offset0:20 offset1:21
	;; [unrolled: 1-line block ×45, first 2 shown]
	ds_read2_b64 v[209:212], v255 offset1:1
	s_waitcnt lgkmcnt(0)
	v_cmp_neq_f64_e32 vcc_lo, 0, v[209:210]
	v_cmp_neq_f64_e64 s1, 0, v[211:212]
	s_or_b32 s1, vcc_lo, s1
	s_and_b32 exec_lo, exec_lo, s1
	s_cbranch_execz .LBB107_80
; %bb.75:
	v_cmp_ngt_f64_e64 s1, |v[209:210]|, |v[211:212]|
                                        ; implicit-def: $vgpr213_vgpr214
	s_and_saveexec_b32 s3, s1
	s_xor_b32 s1, exec_lo, s3
                                        ; implicit-def: $vgpr215_vgpr216
	s_cbranch_execz .LBB107_77
; %bb.76:
	v_div_scale_f64 v[213:214], null, v[211:212], v[211:212], v[209:210]
	v_div_scale_f64 v[219:220], vcc_lo, v[209:210], v[211:212], v[209:210]
	v_rcp_f64_e32 v[215:216], v[213:214]
	v_fma_f64 v[217:218], -v[213:214], v[215:216], 1.0
	v_fma_f64 v[215:216], v[215:216], v[217:218], v[215:216]
	v_fma_f64 v[217:218], -v[213:214], v[215:216], 1.0
	v_fma_f64 v[215:216], v[215:216], v[217:218], v[215:216]
	v_mul_f64 v[217:218], v[219:220], v[215:216]
	v_fma_f64 v[213:214], -v[213:214], v[217:218], v[219:220]
	v_div_fmas_f64 v[213:214], v[213:214], v[215:216], v[217:218]
	v_div_fixup_f64 v[213:214], v[213:214], v[211:212], v[209:210]
	v_fma_f64 v[209:210], v[209:210], v[213:214], v[211:212]
	v_div_scale_f64 v[211:212], null, v[209:210], v[209:210], 1.0
	v_rcp_f64_e32 v[215:216], v[211:212]
	v_fma_f64 v[217:218], -v[211:212], v[215:216], 1.0
	v_fma_f64 v[215:216], v[215:216], v[217:218], v[215:216]
	v_fma_f64 v[217:218], -v[211:212], v[215:216], 1.0
	v_fma_f64 v[215:216], v[215:216], v[217:218], v[215:216]
	v_div_scale_f64 v[217:218], vcc_lo, 1.0, v[209:210], 1.0
	v_mul_f64 v[219:220], v[217:218], v[215:216]
	v_fma_f64 v[211:212], -v[211:212], v[219:220], v[217:218]
	v_div_fmas_f64 v[211:212], v[211:212], v[215:216], v[219:220]
	v_div_fixup_f64 v[215:216], v[211:212], v[209:210], 1.0
                                        ; implicit-def: $vgpr209_vgpr210
	v_mul_f64 v[213:214], v[213:214], v[215:216]
	v_xor_b32_e32 v216, 0x80000000, v216
.LBB107_77:
	s_andn2_saveexec_b32 s1, s1
	s_cbranch_execz .LBB107_79
; %bb.78:
	v_div_scale_f64 v[213:214], null, v[209:210], v[209:210], v[211:212]
	v_div_scale_f64 v[219:220], vcc_lo, v[211:212], v[209:210], v[211:212]
	v_rcp_f64_e32 v[215:216], v[213:214]
	v_fma_f64 v[217:218], -v[213:214], v[215:216], 1.0
	v_fma_f64 v[215:216], v[215:216], v[217:218], v[215:216]
	v_fma_f64 v[217:218], -v[213:214], v[215:216], 1.0
	v_fma_f64 v[215:216], v[215:216], v[217:218], v[215:216]
	v_mul_f64 v[217:218], v[219:220], v[215:216]
	v_fma_f64 v[213:214], -v[213:214], v[217:218], v[219:220]
	v_div_fmas_f64 v[213:214], v[213:214], v[215:216], v[217:218]
	v_div_fixup_f64 v[215:216], v[213:214], v[209:210], v[211:212]
	v_fma_f64 v[209:210], v[211:212], v[215:216], v[209:210]
	v_div_scale_f64 v[211:212], null, v[209:210], v[209:210], 1.0
	v_rcp_f64_e32 v[213:214], v[211:212]
	v_fma_f64 v[217:218], -v[211:212], v[213:214], 1.0
	v_fma_f64 v[213:214], v[213:214], v[217:218], v[213:214]
	v_fma_f64 v[217:218], -v[211:212], v[213:214], 1.0
	v_fma_f64 v[213:214], v[213:214], v[217:218], v[213:214]
	v_div_scale_f64 v[217:218], vcc_lo, 1.0, v[209:210], 1.0
	v_mul_f64 v[219:220], v[217:218], v[213:214]
	v_fma_f64 v[211:212], -v[211:212], v[219:220], v[217:218]
	v_div_fmas_f64 v[211:212], v[211:212], v[213:214], v[219:220]
	v_div_fixup_f64 v[213:214], v[211:212], v[209:210], 1.0
	v_mul_f64 v[215:216], v[215:216], -v[213:214]
.LBB107_79:
	s_or_b32 exec_lo, exec_lo, s1
	ds_write2_b64 v255, v[213:214], v[215:216] offset1:1
.LBB107_80:
	s_or_b32 exec_lo, exec_lo, s2
	s_waitcnt lgkmcnt(0)
	s_barrier
	buffer_gl0_inv
	ds_read2_b64 v[209:212], v255 offset1:1
	s_mov_b32 s1, exec_lo
	s_waitcnt lgkmcnt(0)
	buffer_store_dword v209, off, s[16:19], 0 offset:608 ; 4-byte Folded Spill
	buffer_store_dword v210, off, s[16:19], 0 offset:612 ; 4-byte Folded Spill
	;; [unrolled: 1-line block ×4, first 2 shown]
	v_cmpx_lt_u32_e32 8, v0
	s_cbranch_execz .LBB107_82
; %bb.81:
	s_clause 0x7
	buffer_load_dword v213, off, s[16:19], 0
	buffer_load_dword v214, off, s[16:19], 0 offset:4
	buffer_load_dword v215, off, s[16:19], 0 offset:8
	;; [unrolled: 1-line block ×7, first 2 shown]
	s_waitcnt vmcnt(2)
	v_mul_f64 v[183:184], v[217:218], v[215:216]
	s_waitcnt vmcnt(0)
	v_mul_f64 v[209:210], v[219:220], v[215:216]
	v_fma_f64 v[215:216], v[219:220], v[213:214], v[183:184]
	v_fma_f64 v[209:210], v[217:218], v[213:214], -v[209:210]
	ds_read2_b64 v[211:214], v253 offset0:18 offset1:19
	s_waitcnt lgkmcnt(0)
	v_mul_f64 v[181:182], v[213:214], v[215:216]
	v_fma_f64 v[181:182], v[211:212], v[209:210], -v[181:182]
	v_mul_f64 v[211:212], v[211:212], v[215:216]
	v_add_f64 v[177:178], v[177:178], -v[181:182]
	v_fma_f64 v[211:212], v[213:214], v[209:210], v[211:212]
	v_add_f64 v[179:180], v[179:180], -v[211:212]
	ds_read2_b64 v[211:214], v253 offset0:20 offset1:21
	s_waitcnt lgkmcnt(0)
	v_mul_f64 v[181:182], v[213:214], v[215:216]
	v_fma_f64 v[181:182], v[211:212], v[209:210], -v[181:182]
	v_mul_f64 v[211:212], v[211:212], v[215:216]
	v_add_f64 v[173:174], v[173:174], -v[181:182]
	v_fma_f64 v[211:212], v[213:214], v[209:210], v[211:212]
	v_add_f64 v[175:176], v[175:176], -v[211:212]
	;; [unrolled: 8-line block ×44, first 2 shown]
	ds_read2_b64 v[211:214], v253 offset0:106 offset1:107
	s_waitcnt lgkmcnt(0)
	v_mul_f64 v[181:182], v[213:214], v[215:216]
	v_fma_f64 v[181:182], v[211:212], v[209:210], -v[181:182]
	v_mul_f64 v[211:212], v[211:212], v[215:216]
	v_add_f64 v[1:2], v[1:2], -v[181:182]
	v_fma_f64 v[211:212], v[213:214], v[209:210], v[211:212]
	v_mov_b32_e32 v214, v210
	v_mov_b32_e32 v213, v209
	buffer_store_dword v213, off, s[16:19], 0 ; 4-byte Folded Spill
	buffer_store_dword v214, off, s[16:19], 0 offset:4 ; 4-byte Folded Spill
	buffer_store_dword v215, off, s[16:19], 0 offset:8 ; 4-byte Folded Spill
	;; [unrolled: 1-line block ×3, first 2 shown]
	v_add_f64 v[3:4], v[3:4], -v[211:212]
.LBB107_82:
	s_or_b32 exec_lo, exec_lo, s1
	s_mov_b32 s2, exec_lo
	s_waitcnt_vscnt null, 0x0
	s_barrier
	buffer_gl0_inv
	v_cmpx_eq_u32_e32 9, v0
	s_cbranch_execz .LBB107_89
; %bb.83:
	ds_write2_b64 v255, v[177:178], v[179:180] offset1:1
	ds_write2_b64 v253, v[173:174], v[175:176] offset0:20 offset1:21
	ds_write2_b64 v253, v[169:170], v[171:172] offset0:22 offset1:23
	;; [unrolled: 1-line block ×44, first 2 shown]
	ds_read2_b64 v[209:212], v255 offset1:1
	s_waitcnt lgkmcnt(0)
	v_cmp_neq_f64_e32 vcc_lo, 0, v[209:210]
	v_cmp_neq_f64_e64 s1, 0, v[211:212]
	s_or_b32 s1, vcc_lo, s1
	s_and_b32 exec_lo, exec_lo, s1
	s_cbranch_execz .LBB107_89
; %bb.84:
	v_cmp_ngt_f64_e64 s1, |v[209:210]|, |v[211:212]|
                                        ; implicit-def: $vgpr213_vgpr214
	s_and_saveexec_b32 s3, s1
	s_xor_b32 s1, exec_lo, s3
                                        ; implicit-def: $vgpr215_vgpr216
	s_cbranch_execz .LBB107_86
; %bb.85:
	v_div_scale_f64 v[213:214], null, v[211:212], v[211:212], v[209:210]
	v_div_scale_f64 v[219:220], vcc_lo, v[209:210], v[211:212], v[209:210]
	v_rcp_f64_e32 v[215:216], v[213:214]
	v_fma_f64 v[217:218], -v[213:214], v[215:216], 1.0
	v_fma_f64 v[215:216], v[215:216], v[217:218], v[215:216]
	v_fma_f64 v[217:218], -v[213:214], v[215:216], 1.0
	v_fma_f64 v[215:216], v[215:216], v[217:218], v[215:216]
	v_mul_f64 v[217:218], v[219:220], v[215:216]
	v_fma_f64 v[213:214], -v[213:214], v[217:218], v[219:220]
	v_div_fmas_f64 v[213:214], v[213:214], v[215:216], v[217:218]
	v_div_fixup_f64 v[213:214], v[213:214], v[211:212], v[209:210]
	v_fma_f64 v[209:210], v[209:210], v[213:214], v[211:212]
	v_div_scale_f64 v[211:212], null, v[209:210], v[209:210], 1.0
	v_rcp_f64_e32 v[215:216], v[211:212]
	v_fma_f64 v[217:218], -v[211:212], v[215:216], 1.0
	v_fma_f64 v[215:216], v[215:216], v[217:218], v[215:216]
	v_fma_f64 v[217:218], -v[211:212], v[215:216], 1.0
	v_fma_f64 v[215:216], v[215:216], v[217:218], v[215:216]
	v_div_scale_f64 v[217:218], vcc_lo, 1.0, v[209:210], 1.0
	v_mul_f64 v[219:220], v[217:218], v[215:216]
	v_fma_f64 v[211:212], -v[211:212], v[219:220], v[217:218]
	v_div_fmas_f64 v[211:212], v[211:212], v[215:216], v[219:220]
	v_div_fixup_f64 v[215:216], v[211:212], v[209:210], 1.0
                                        ; implicit-def: $vgpr209_vgpr210
	v_mul_f64 v[213:214], v[213:214], v[215:216]
	v_xor_b32_e32 v216, 0x80000000, v216
.LBB107_86:
	s_andn2_saveexec_b32 s1, s1
	s_cbranch_execz .LBB107_88
; %bb.87:
	v_div_scale_f64 v[213:214], null, v[209:210], v[209:210], v[211:212]
	v_div_scale_f64 v[219:220], vcc_lo, v[211:212], v[209:210], v[211:212]
	v_rcp_f64_e32 v[215:216], v[213:214]
	v_fma_f64 v[217:218], -v[213:214], v[215:216], 1.0
	v_fma_f64 v[215:216], v[215:216], v[217:218], v[215:216]
	v_fma_f64 v[217:218], -v[213:214], v[215:216], 1.0
	v_fma_f64 v[215:216], v[215:216], v[217:218], v[215:216]
	v_mul_f64 v[217:218], v[219:220], v[215:216]
	v_fma_f64 v[213:214], -v[213:214], v[217:218], v[219:220]
	v_div_fmas_f64 v[213:214], v[213:214], v[215:216], v[217:218]
	v_div_fixup_f64 v[215:216], v[213:214], v[209:210], v[211:212]
	v_fma_f64 v[209:210], v[211:212], v[215:216], v[209:210]
	v_div_scale_f64 v[211:212], null, v[209:210], v[209:210], 1.0
	v_rcp_f64_e32 v[213:214], v[211:212]
	v_fma_f64 v[217:218], -v[211:212], v[213:214], 1.0
	v_fma_f64 v[213:214], v[213:214], v[217:218], v[213:214]
	v_fma_f64 v[217:218], -v[211:212], v[213:214], 1.0
	v_fma_f64 v[213:214], v[213:214], v[217:218], v[213:214]
	v_div_scale_f64 v[217:218], vcc_lo, 1.0, v[209:210], 1.0
	v_mul_f64 v[219:220], v[217:218], v[213:214]
	v_fma_f64 v[211:212], -v[211:212], v[219:220], v[217:218]
	v_div_fmas_f64 v[211:212], v[211:212], v[213:214], v[219:220]
	v_div_fixup_f64 v[213:214], v[211:212], v[209:210], 1.0
	v_mul_f64 v[215:216], v[215:216], -v[213:214]
.LBB107_88:
	s_or_b32 exec_lo, exec_lo, s1
	ds_write2_b64 v255, v[213:214], v[215:216] offset1:1
.LBB107_89:
	s_or_b32 exec_lo, exec_lo, s2
	s_waitcnt lgkmcnt(0)
	s_barrier
	buffer_gl0_inv
	ds_read2_b64 v[209:212], v255 offset1:1
	s_mov_b32 s1, exec_lo
	s_waitcnt lgkmcnt(0)
	buffer_store_dword v209, off, s[16:19], 0 offset:624 ; 4-byte Folded Spill
	buffer_store_dword v210, off, s[16:19], 0 offset:628 ; 4-byte Folded Spill
	;; [unrolled: 1-line block ×4, first 2 shown]
	v_cmpx_lt_u32_e32 9, v0
	s_cbranch_execz .LBB107_91
; %bb.90:
	s_clause 0x3
	buffer_load_dword v211, off, s[16:19], 0 offset:624
	buffer_load_dword v212, off, s[16:19], 0 offset:628
	;; [unrolled: 1-line block ×4, first 2 shown]
	s_waitcnt vmcnt(0)
	v_mul_f64 v[209:210], v[213:214], v[179:180]
	v_mul_f64 v[179:180], v[211:212], v[179:180]
	v_fma_f64 v[209:210], v[211:212], v[177:178], -v[209:210]
	v_fma_f64 v[179:180], v[213:214], v[177:178], v[179:180]
	ds_read2_b64 v[211:214], v253 offset0:20 offset1:21
	s_waitcnt lgkmcnt(0)
	v_mul_f64 v[177:178], v[213:214], v[179:180]
	v_fma_f64 v[177:178], v[211:212], v[209:210], -v[177:178]
	v_mul_f64 v[211:212], v[211:212], v[179:180]
	v_add_f64 v[173:174], v[173:174], -v[177:178]
	v_fma_f64 v[211:212], v[213:214], v[209:210], v[211:212]
	v_add_f64 v[175:176], v[175:176], -v[211:212]
	ds_read2_b64 v[211:214], v253 offset0:22 offset1:23
	s_waitcnt lgkmcnt(0)
	v_mul_f64 v[177:178], v[213:214], v[179:180]
	v_fma_f64 v[177:178], v[211:212], v[209:210], -v[177:178]
	v_mul_f64 v[211:212], v[211:212], v[179:180]
	v_add_f64 v[169:170], v[169:170], -v[177:178]
	v_fma_f64 v[211:212], v[213:214], v[209:210], v[211:212]
	v_add_f64 v[171:172], v[171:172], -v[211:212]
	ds_read2_b64 v[211:214], v253 offset0:24 offset1:25
	s_waitcnt lgkmcnt(0)
	v_mul_f64 v[177:178], v[213:214], v[179:180]
	v_fma_f64 v[177:178], v[211:212], v[209:210], -v[177:178]
	v_mul_f64 v[211:212], v[211:212], v[179:180]
	v_add_f64 v[165:166], v[165:166], -v[177:178]
	v_fma_f64 v[211:212], v[213:214], v[209:210], v[211:212]
	v_add_f64 v[167:168], v[167:168], -v[211:212]
	ds_read2_b64 v[211:214], v253 offset0:26 offset1:27
	s_waitcnt lgkmcnt(0)
	v_mul_f64 v[177:178], v[213:214], v[179:180]
	v_fma_f64 v[177:178], v[211:212], v[209:210], -v[177:178]
	v_mul_f64 v[211:212], v[211:212], v[179:180]
	v_add_f64 v[161:162], v[161:162], -v[177:178]
	v_fma_f64 v[211:212], v[213:214], v[209:210], v[211:212]
	v_add_f64 v[163:164], v[163:164], -v[211:212]
	ds_read2_b64 v[211:214], v253 offset0:28 offset1:29
	s_waitcnt lgkmcnt(0)
	v_mul_f64 v[177:178], v[213:214], v[179:180]
	v_fma_f64 v[177:178], v[211:212], v[209:210], -v[177:178]
	v_mul_f64 v[211:212], v[211:212], v[179:180]
	v_add_f64 v[157:158], v[157:158], -v[177:178]
	v_fma_f64 v[211:212], v[213:214], v[209:210], v[211:212]
	v_add_f64 v[159:160], v[159:160], -v[211:212]
	ds_read2_b64 v[211:214], v253 offset0:30 offset1:31
	s_waitcnt lgkmcnt(0)
	v_mul_f64 v[177:178], v[213:214], v[179:180]
	v_fma_f64 v[177:178], v[211:212], v[209:210], -v[177:178]
	v_mul_f64 v[211:212], v[211:212], v[179:180]
	v_add_f64 v[153:154], v[153:154], -v[177:178]
	v_fma_f64 v[211:212], v[213:214], v[209:210], v[211:212]
	v_add_f64 v[155:156], v[155:156], -v[211:212]
	ds_read2_b64 v[211:214], v253 offset0:32 offset1:33
	s_waitcnt lgkmcnt(0)
	v_mul_f64 v[177:178], v[213:214], v[179:180]
	v_fma_f64 v[177:178], v[211:212], v[209:210], -v[177:178]
	v_mul_f64 v[211:212], v[211:212], v[179:180]
	v_add_f64 v[149:150], v[149:150], -v[177:178]
	v_fma_f64 v[211:212], v[213:214], v[209:210], v[211:212]
	v_add_f64 v[151:152], v[151:152], -v[211:212]
	ds_read2_b64 v[211:214], v253 offset0:34 offset1:35
	s_waitcnt lgkmcnt(0)
	v_mul_f64 v[177:178], v[213:214], v[179:180]
	v_fma_f64 v[177:178], v[211:212], v[209:210], -v[177:178]
	v_mul_f64 v[211:212], v[211:212], v[179:180]
	v_add_f64 v[145:146], v[145:146], -v[177:178]
	v_fma_f64 v[211:212], v[213:214], v[209:210], v[211:212]
	v_add_f64 v[147:148], v[147:148], -v[211:212]
	ds_read2_b64 v[211:214], v253 offset0:36 offset1:37
	s_waitcnt lgkmcnt(0)
	v_mul_f64 v[177:178], v[213:214], v[179:180]
	v_fma_f64 v[177:178], v[211:212], v[209:210], -v[177:178]
	v_mul_f64 v[211:212], v[211:212], v[179:180]
	v_add_f64 v[141:142], v[141:142], -v[177:178]
	v_fma_f64 v[211:212], v[213:214], v[209:210], v[211:212]
	v_add_f64 v[143:144], v[143:144], -v[211:212]
	ds_read2_b64 v[211:214], v253 offset0:38 offset1:39
	s_waitcnt lgkmcnt(0)
	v_mul_f64 v[177:178], v[213:214], v[179:180]
	v_fma_f64 v[177:178], v[211:212], v[209:210], -v[177:178]
	v_mul_f64 v[211:212], v[211:212], v[179:180]
	v_add_f64 v[137:138], v[137:138], -v[177:178]
	v_fma_f64 v[211:212], v[213:214], v[209:210], v[211:212]
	v_add_f64 v[139:140], v[139:140], -v[211:212]
	ds_read2_b64 v[211:214], v253 offset0:40 offset1:41
	s_waitcnt lgkmcnt(0)
	v_mul_f64 v[177:178], v[213:214], v[179:180]
	v_fma_f64 v[177:178], v[211:212], v[209:210], -v[177:178]
	v_mul_f64 v[211:212], v[211:212], v[179:180]
	v_add_f64 v[133:134], v[133:134], -v[177:178]
	v_fma_f64 v[211:212], v[213:214], v[209:210], v[211:212]
	v_add_f64 v[135:136], v[135:136], -v[211:212]
	ds_read2_b64 v[211:214], v253 offset0:42 offset1:43
	s_waitcnt lgkmcnt(0)
	v_mul_f64 v[177:178], v[213:214], v[179:180]
	v_fma_f64 v[177:178], v[211:212], v[209:210], -v[177:178]
	v_mul_f64 v[211:212], v[211:212], v[179:180]
	v_add_f64 v[129:130], v[129:130], -v[177:178]
	v_fma_f64 v[211:212], v[213:214], v[209:210], v[211:212]
	v_add_f64 v[131:132], v[131:132], -v[211:212]
	ds_read2_b64 v[211:214], v253 offset0:44 offset1:45
	s_waitcnt lgkmcnt(0)
	v_mul_f64 v[177:178], v[213:214], v[179:180]
	v_fma_f64 v[177:178], v[211:212], v[209:210], -v[177:178]
	v_mul_f64 v[211:212], v[211:212], v[179:180]
	v_add_f64 v[125:126], v[125:126], -v[177:178]
	v_fma_f64 v[211:212], v[213:214], v[209:210], v[211:212]
	v_add_f64 v[127:128], v[127:128], -v[211:212]
	ds_read2_b64 v[211:214], v253 offset0:46 offset1:47
	s_waitcnt lgkmcnt(0)
	v_mul_f64 v[177:178], v[213:214], v[179:180]
	v_fma_f64 v[177:178], v[211:212], v[209:210], -v[177:178]
	v_mul_f64 v[211:212], v[211:212], v[179:180]
	v_add_f64 v[121:122], v[121:122], -v[177:178]
	v_fma_f64 v[211:212], v[213:214], v[209:210], v[211:212]
	v_add_f64 v[123:124], v[123:124], -v[211:212]
	ds_read2_b64 v[211:214], v253 offset0:48 offset1:49
	s_waitcnt lgkmcnt(0)
	v_mul_f64 v[177:178], v[213:214], v[179:180]
	v_fma_f64 v[177:178], v[211:212], v[209:210], -v[177:178]
	v_mul_f64 v[211:212], v[211:212], v[179:180]
	v_add_f64 v[117:118], v[117:118], -v[177:178]
	v_fma_f64 v[211:212], v[213:214], v[209:210], v[211:212]
	v_add_f64 v[119:120], v[119:120], -v[211:212]
	ds_read2_b64 v[211:214], v253 offset0:50 offset1:51
	s_waitcnt lgkmcnt(0)
	v_mul_f64 v[177:178], v[213:214], v[179:180]
	v_fma_f64 v[177:178], v[211:212], v[209:210], -v[177:178]
	v_mul_f64 v[211:212], v[211:212], v[179:180]
	v_add_f64 v[113:114], v[113:114], -v[177:178]
	v_fma_f64 v[211:212], v[213:214], v[209:210], v[211:212]
	v_add_f64 v[115:116], v[115:116], -v[211:212]
	ds_read2_b64 v[211:214], v253 offset0:52 offset1:53
	s_waitcnt lgkmcnt(0)
	v_mul_f64 v[177:178], v[213:214], v[179:180]
	v_fma_f64 v[177:178], v[211:212], v[209:210], -v[177:178]
	v_mul_f64 v[211:212], v[211:212], v[179:180]
	v_add_f64 v[109:110], v[109:110], -v[177:178]
	v_fma_f64 v[211:212], v[213:214], v[209:210], v[211:212]
	v_add_f64 v[111:112], v[111:112], -v[211:212]
	ds_read2_b64 v[211:214], v253 offset0:54 offset1:55
	s_waitcnt lgkmcnt(0)
	v_mul_f64 v[177:178], v[213:214], v[179:180]
	v_fma_f64 v[177:178], v[211:212], v[209:210], -v[177:178]
	v_mul_f64 v[211:212], v[211:212], v[179:180]
	v_add_f64 v[105:106], v[105:106], -v[177:178]
	v_fma_f64 v[211:212], v[213:214], v[209:210], v[211:212]
	v_add_f64 v[107:108], v[107:108], -v[211:212]
	ds_read2_b64 v[211:214], v253 offset0:56 offset1:57
	s_waitcnt lgkmcnt(0)
	v_mul_f64 v[177:178], v[213:214], v[179:180]
	v_fma_f64 v[177:178], v[211:212], v[209:210], -v[177:178]
	v_mul_f64 v[211:212], v[211:212], v[179:180]
	v_add_f64 v[101:102], v[101:102], -v[177:178]
	v_fma_f64 v[211:212], v[213:214], v[209:210], v[211:212]
	v_add_f64 v[103:104], v[103:104], -v[211:212]
	ds_read2_b64 v[211:214], v253 offset0:58 offset1:59
	s_waitcnt lgkmcnt(0)
	v_mul_f64 v[177:178], v[213:214], v[179:180]
	v_fma_f64 v[177:178], v[211:212], v[209:210], -v[177:178]
	v_mul_f64 v[211:212], v[211:212], v[179:180]
	v_add_f64 v[97:98], v[97:98], -v[177:178]
	v_fma_f64 v[211:212], v[213:214], v[209:210], v[211:212]
	v_add_f64 v[99:100], v[99:100], -v[211:212]
	ds_read2_b64 v[211:214], v253 offset0:60 offset1:61
	s_waitcnt lgkmcnt(0)
	v_mul_f64 v[177:178], v[213:214], v[179:180]
	v_fma_f64 v[177:178], v[211:212], v[209:210], -v[177:178]
	v_mul_f64 v[211:212], v[211:212], v[179:180]
	v_add_f64 v[93:94], v[93:94], -v[177:178]
	v_fma_f64 v[211:212], v[213:214], v[209:210], v[211:212]
	v_add_f64 v[95:96], v[95:96], -v[211:212]
	ds_read2_b64 v[211:214], v253 offset0:62 offset1:63
	s_waitcnt lgkmcnt(0)
	v_mul_f64 v[177:178], v[213:214], v[179:180]
	v_fma_f64 v[177:178], v[211:212], v[209:210], -v[177:178]
	v_mul_f64 v[211:212], v[211:212], v[179:180]
	v_add_f64 v[89:90], v[89:90], -v[177:178]
	v_fma_f64 v[211:212], v[213:214], v[209:210], v[211:212]
	v_add_f64 v[91:92], v[91:92], -v[211:212]
	ds_read2_b64 v[211:214], v253 offset0:64 offset1:65
	s_waitcnt lgkmcnt(0)
	v_mul_f64 v[177:178], v[213:214], v[179:180]
	v_fma_f64 v[177:178], v[211:212], v[209:210], -v[177:178]
	v_mul_f64 v[211:212], v[211:212], v[179:180]
	v_add_f64 v[85:86], v[85:86], -v[177:178]
	v_fma_f64 v[211:212], v[213:214], v[209:210], v[211:212]
	v_add_f64 v[87:88], v[87:88], -v[211:212]
	ds_read2_b64 v[211:214], v253 offset0:66 offset1:67
	s_waitcnt lgkmcnt(0)
	v_mul_f64 v[177:178], v[213:214], v[179:180]
	v_fma_f64 v[177:178], v[211:212], v[209:210], -v[177:178]
	v_mul_f64 v[211:212], v[211:212], v[179:180]
	v_add_f64 v[81:82], v[81:82], -v[177:178]
	v_fma_f64 v[211:212], v[213:214], v[209:210], v[211:212]
	v_add_f64 v[83:84], v[83:84], -v[211:212]
	ds_read2_b64 v[211:214], v253 offset0:68 offset1:69
	s_waitcnt lgkmcnt(0)
	v_mul_f64 v[177:178], v[213:214], v[179:180]
	v_fma_f64 v[177:178], v[211:212], v[209:210], -v[177:178]
	v_mul_f64 v[211:212], v[211:212], v[179:180]
	v_add_f64 v[77:78], v[77:78], -v[177:178]
	v_fma_f64 v[211:212], v[213:214], v[209:210], v[211:212]
	v_add_f64 v[79:80], v[79:80], -v[211:212]
	ds_read2_b64 v[211:214], v253 offset0:70 offset1:71
	s_waitcnt lgkmcnt(0)
	v_mul_f64 v[177:178], v[213:214], v[179:180]
	v_fma_f64 v[177:178], v[211:212], v[209:210], -v[177:178]
	v_mul_f64 v[211:212], v[211:212], v[179:180]
	v_add_f64 v[73:74], v[73:74], -v[177:178]
	v_fma_f64 v[211:212], v[213:214], v[209:210], v[211:212]
	v_add_f64 v[75:76], v[75:76], -v[211:212]
	ds_read2_b64 v[211:214], v253 offset0:72 offset1:73
	s_waitcnt lgkmcnt(0)
	v_mul_f64 v[177:178], v[213:214], v[179:180]
	v_fma_f64 v[177:178], v[211:212], v[209:210], -v[177:178]
	v_mul_f64 v[211:212], v[211:212], v[179:180]
	v_add_f64 v[69:70], v[69:70], -v[177:178]
	v_fma_f64 v[211:212], v[213:214], v[209:210], v[211:212]
	v_add_f64 v[71:72], v[71:72], -v[211:212]
	ds_read2_b64 v[211:214], v253 offset0:74 offset1:75
	s_waitcnt lgkmcnt(0)
	v_mul_f64 v[177:178], v[213:214], v[179:180]
	v_fma_f64 v[177:178], v[211:212], v[209:210], -v[177:178]
	v_mul_f64 v[211:212], v[211:212], v[179:180]
	v_add_f64 v[65:66], v[65:66], -v[177:178]
	v_fma_f64 v[211:212], v[213:214], v[209:210], v[211:212]
	v_add_f64 v[67:68], v[67:68], -v[211:212]
	ds_read2_b64 v[211:214], v253 offset0:76 offset1:77
	s_waitcnt lgkmcnt(0)
	v_mul_f64 v[177:178], v[213:214], v[179:180]
	v_fma_f64 v[177:178], v[211:212], v[209:210], -v[177:178]
	v_mul_f64 v[211:212], v[211:212], v[179:180]
	v_add_f64 v[61:62], v[61:62], -v[177:178]
	v_fma_f64 v[211:212], v[213:214], v[209:210], v[211:212]
	v_add_f64 v[63:64], v[63:64], -v[211:212]
	ds_read2_b64 v[211:214], v253 offset0:78 offset1:79
	s_waitcnt lgkmcnt(0)
	v_mul_f64 v[177:178], v[213:214], v[179:180]
	v_fma_f64 v[177:178], v[211:212], v[209:210], -v[177:178]
	v_mul_f64 v[211:212], v[211:212], v[179:180]
	v_add_f64 v[57:58], v[57:58], -v[177:178]
	v_fma_f64 v[211:212], v[213:214], v[209:210], v[211:212]
	v_add_f64 v[59:60], v[59:60], -v[211:212]
	ds_read2_b64 v[211:214], v253 offset0:80 offset1:81
	s_waitcnt lgkmcnt(0)
	v_mul_f64 v[177:178], v[213:214], v[179:180]
	v_fma_f64 v[177:178], v[211:212], v[209:210], -v[177:178]
	v_mul_f64 v[211:212], v[211:212], v[179:180]
	v_add_f64 v[53:54], v[53:54], -v[177:178]
	v_fma_f64 v[211:212], v[213:214], v[209:210], v[211:212]
	v_add_f64 v[55:56], v[55:56], -v[211:212]
	ds_read2_b64 v[211:214], v253 offset0:82 offset1:83
	s_waitcnt lgkmcnt(0)
	v_mul_f64 v[177:178], v[213:214], v[179:180]
	v_fma_f64 v[177:178], v[211:212], v[209:210], -v[177:178]
	v_mul_f64 v[211:212], v[211:212], v[179:180]
	v_add_f64 v[49:50], v[49:50], -v[177:178]
	v_fma_f64 v[211:212], v[213:214], v[209:210], v[211:212]
	v_add_f64 v[51:52], v[51:52], -v[211:212]
	ds_read2_b64 v[211:214], v253 offset0:84 offset1:85
	s_waitcnt lgkmcnt(0)
	v_mul_f64 v[177:178], v[213:214], v[179:180]
	v_fma_f64 v[177:178], v[211:212], v[209:210], -v[177:178]
	v_mul_f64 v[211:212], v[211:212], v[179:180]
	v_add_f64 v[45:46], v[45:46], -v[177:178]
	v_fma_f64 v[211:212], v[213:214], v[209:210], v[211:212]
	v_add_f64 v[47:48], v[47:48], -v[211:212]
	ds_read2_b64 v[211:214], v253 offset0:86 offset1:87
	s_waitcnt lgkmcnt(0)
	v_mul_f64 v[177:178], v[213:214], v[179:180]
	v_fma_f64 v[177:178], v[211:212], v[209:210], -v[177:178]
	v_mul_f64 v[211:212], v[211:212], v[179:180]
	v_add_f64 v[41:42], v[41:42], -v[177:178]
	v_fma_f64 v[211:212], v[213:214], v[209:210], v[211:212]
	v_add_f64 v[43:44], v[43:44], -v[211:212]
	ds_read2_b64 v[211:214], v253 offset0:88 offset1:89
	s_waitcnt lgkmcnt(0)
	v_mul_f64 v[177:178], v[213:214], v[179:180]
	v_fma_f64 v[177:178], v[211:212], v[209:210], -v[177:178]
	v_mul_f64 v[211:212], v[211:212], v[179:180]
	v_add_f64 v[37:38], v[37:38], -v[177:178]
	v_fma_f64 v[211:212], v[213:214], v[209:210], v[211:212]
	v_add_f64 v[39:40], v[39:40], -v[211:212]
	ds_read2_b64 v[211:214], v253 offset0:90 offset1:91
	s_waitcnt lgkmcnt(0)
	v_mul_f64 v[177:178], v[213:214], v[179:180]
	v_fma_f64 v[177:178], v[211:212], v[209:210], -v[177:178]
	v_mul_f64 v[211:212], v[211:212], v[179:180]
	v_add_f64 v[33:34], v[33:34], -v[177:178]
	v_fma_f64 v[211:212], v[213:214], v[209:210], v[211:212]
	v_add_f64 v[35:36], v[35:36], -v[211:212]
	ds_read2_b64 v[211:214], v253 offset0:92 offset1:93
	s_waitcnt lgkmcnt(0)
	v_mul_f64 v[177:178], v[213:214], v[179:180]
	v_fma_f64 v[177:178], v[211:212], v[209:210], -v[177:178]
	v_mul_f64 v[211:212], v[211:212], v[179:180]
	v_add_f64 v[29:30], v[29:30], -v[177:178]
	v_fma_f64 v[211:212], v[213:214], v[209:210], v[211:212]
	v_add_f64 v[31:32], v[31:32], -v[211:212]
	ds_read2_b64 v[211:214], v253 offset0:94 offset1:95
	s_waitcnt lgkmcnt(0)
	v_mul_f64 v[177:178], v[213:214], v[179:180]
	v_fma_f64 v[177:178], v[211:212], v[209:210], -v[177:178]
	v_mul_f64 v[211:212], v[211:212], v[179:180]
	v_add_f64 v[25:26], v[25:26], -v[177:178]
	v_fma_f64 v[211:212], v[213:214], v[209:210], v[211:212]
	v_add_f64 v[27:28], v[27:28], -v[211:212]
	ds_read2_b64 v[211:214], v253 offset0:96 offset1:97
	s_waitcnt lgkmcnt(0)
	v_mul_f64 v[177:178], v[213:214], v[179:180]
	v_fma_f64 v[177:178], v[211:212], v[209:210], -v[177:178]
	v_mul_f64 v[211:212], v[211:212], v[179:180]
	v_add_f64 v[21:22], v[21:22], -v[177:178]
	v_fma_f64 v[211:212], v[213:214], v[209:210], v[211:212]
	v_add_f64 v[23:24], v[23:24], -v[211:212]
	ds_read2_b64 v[211:214], v253 offset0:98 offset1:99
	s_waitcnt lgkmcnt(0)
	v_mul_f64 v[177:178], v[213:214], v[179:180]
	v_fma_f64 v[177:178], v[211:212], v[209:210], -v[177:178]
	v_mul_f64 v[211:212], v[211:212], v[179:180]
	v_add_f64 v[17:18], v[17:18], -v[177:178]
	v_fma_f64 v[211:212], v[213:214], v[209:210], v[211:212]
	v_add_f64 v[19:20], v[19:20], -v[211:212]
	ds_read2_b64 v[211:214], v253 offset0:100 offset1:101
	s_waitcnt lgkmcnt(0)
	v_mul_f64 v[177:178], v[213:214], v[179:180]
	v_fma_f64 v[177:178], v[211:212], v[209:210], -v[177:178]
	v_mul_f64 v[211:212], v[211:212], v[179:180]
	v_add_f64 v[13:14], v[13:14], -v[177:178]
	v_fma_f64 v[211:212], v[213:214], v[209:210], v[211:212]
	v_add_f64 v[15:16], v[15:16], -v[211:212]
	ds_read2_b64 v[211:214], v253 offset0:102 offset1:103
	s_waitcnt lgkmcnt(0)
	v_mul_f64 v[177:178], v[213:214], v[179:180]
	v_fma_f64 v[177:178], v[211:212], v[209:210], -v[177:178]
	v_mul_f64 v[211:212], v[211:212], v[179:180]
	v_add_f64 v[9:10], v[9:10], -v[177:178]
	v_fma_f64 v[211:212], v[213:214], v[209:210], v[211:212]
	v_add_f64 v[11:12], v[11:12], -v[211:212]
	ds_read2_b64 v[211:214], v253 offset0:104 offset1:105
	s_waitcnt lgkmcnt(0)
	v_mul_f64 v[177:178], v[213:214], v[179:180]
	v_fma_f64 v[177:178], v[211:212], v[209:210], -v[177:178]
	v_mul_f64 v[211:212], v[211:212], v[179:180]
	v_add_f64 v[5:6], v[5:6], -v[177:178]
	v_fma_f64 v[211:212], v[213:214], v[209:210], v[211:212]
	v_add_f64 v[7:8], v[7:8], -v[211:212]
	ds_read2_b64 v[211:214], v253 offset0:106 offset1:107
	s_waitcnt lgkmcnt(0)
	v_mul_f64 v[177:178], v[213:214], v[179:180]
	v_fma_f64 v[177:178], v[211:212], v[209:210], -v[177:178]
	v_mul_f64 v[211:212], v[211:212], v[179:180]
	v_add_f64 v[1:2], v[1:2], -v[177:178]
	v_fma_f64 v[211:212], v[213:214], v[209:210], v[211:212]
	v_mov_b32_e32 v177, v209
	v_mov_b32_e32 v178, v210
	v_add_f64 v[3:4], v[3:4], -v[211:212]
.LBB107_91:
	s_or_b32 exec_lo, exec_lo, s1
	s_mov_b32 s2, exec_lo
	s_waitcnt_vscnt null, 0x0
	s_barrier
	buffer_gl0_inv
	v_cmpx_eq_u32_e32 10, v0
	s_cbranch_execz .LBB107_98
; %bb.92:
	ds_write2_b64 v255, v[173:174], v[175:176] offset1:1
	ds_write2_b64 v253, v[169:170], v[171:172] offset0:22 offset1:23
	ds_write2_b64 v253, v[165:166], v[167:168] offset0:24 offset1:25
	;; [unrolled: 1-line block ×43, first 2 shown]
	ds_read2_b64 v[209:212], v255 offset1:1
	s_waitcnt lgkmcnt(0)
	v_cmp_neq_f64_e32 vcc_lo, 0, v[209:210]
	v_cmp_neq_f64_e64 s1, 0, v[211:212]
	s_or_b32 s1, vcc_lo, s1
	s_and_b32 exec_lo, exec_lo, s1
	s_cbranch_execz .LBB107_98
; %bb.93:
	v_cmp_ngt_f64_e64 s1, |v[209:210]|, |v[211:212]|
                                        ; implicit-def: $vgpr213_vgpr214
	s_and_saveexec_b32 s3, s1
	s_xor_b32 s1, exec_lo, s3
                                        ; implicit-def: $vgpr215_vgpr216
	s_cbranch_execz .LBB107_95
; %bb.94:
	v_div_scale_f64 v[213:214], null, v[211:212], v[211:212], v[209:210]
	v_div_scale_f64 v[219:220], vcc_lo, v[209:210], v[211:212], v[209:210]
	v_rcp_f64_e32 v[215:216], v[213:214]
	v_fma_f64 v[217:218], -v[213:214], v[215:216], 1.0
	v_fma_f64 v[215:216], v[215:216], v[217:218], v[215:216]
	v_fma_f64 v[217:218], -v[213:214], v[215:216], 1.0
	v_fma_f64 v[215:216], v[215:216], v[217:218], v[215:216]
	v_mul_f64 v[217:218], v[219:220], v[215:216]
	v_fma_f64 v[213:214], -v[213:214], v[217:218], v[219:220]
	v_div_fmas_f64 v[213:214], v[213:214], v[215:216], v[217:218]
	v_div_fixup_f64 v[213:214], v[213:214], v[211:212], v[209:210]
	v_fma_f64 v[209:210], v[209:210], v[213:214], v[211:212]
	v_div_scale_f64 v[211:212], null, v[209:210], v[209:210], 1.0
	v_rcp_f64_e32 v[215:216], v[211:212]
	v_fma_f64 v[217:218], -v[211:212], v[215:216], 1.0
	v_fma_f64 v[215:216], v[215:216], v[217:218], v[215:216]
	v_fma_f64 v[217:218], -v[211:212], v[215:216], 1.0
	v_fma_f64 v[215:216], v[215:216], v[217:218], v[215:216]
	v_div_scale_f64 v[217:218], vcc_lo, 1.0, v[209:210], 1.0
	v_mul_f64 v[219:220], v[217:218], v[215:216]
	v_fma_f64 v[211:212], -v[211:212], v[219:220], v[217:218]
	v_div_fmas_f64 v[211:212], v[211:212], v[215:216], v[219:220]
	v_div_fixup_f64 v[215:216], v[211:212], v[209:210], 1.0
                                        ; implicit-def: $vgpr209_vgpr210
	v_mul_f64 v[213:214], v[213:214], v[215:216]
	v_xor_b32_e32 v216, 0x80000000, v216
.LBB107_95:
	s_andn2_saveexec_b32 s1, s1
	s_cbranch_execz .LBB107_97
; %bb.96:
	v_div_scale_f64 v[213:214], null, v[209:210], v[209:210], v[211:212]
	v_div_scale_f64 v[219:220], vcc_lo, v[211:212], v[209:210], v[211:212]
	v_rcp_f64_e32 v[215:216], v[213:214]
	v_fma_f64 v[217:218], -v[213:214], v[215:216], 1.0
	v_fma_f64 v[215:216], v[215:216], v[217:218], v[215:216]
	v_fma_f64 v[217:218], -v[213:214], v[215:216], 1.0
	v_fma_f64 v[215:216], v[215:216], v[217:218], v[215:216]
	v_mul_f64 v[217:218], v[219:220], v[215:216]
	v_fma_f64 v[213:214], -v[213:214], v[217:218], v[219:220]
	v_div_fmas_f64 v[213:214], v[213:214], v[215:216], v[217:218]
	v_div_fixup_f64 v[215:216], v[213:214], v[209:210], v[211:212]
	v_fma_f64 v[209:210], v[211:212], v[215:216], v[209:210]
	v_div_scale_f64 v[211:212], null, v[209:210], v[209:210], 1.0
	v_rcp_f64_e32 v[213:214], v[211:212]
	v_fma_f64 v[217:218], -v[211:212], v[213:214], 1.0
	v_fma_f64 v[213:214], v[213:214], v[217:218], v[213:214]
	v_fma_f64 v[217:218], -v[211:212], v[213:214], 1.0
	v_fma_f64 v[213:214], v[213:214], v[217:218], v[213:214]
	v_div_scale_f64 v[217:218], vcc_lo, 1.0, v[209:210], 1.0
	v_mul_f64 v[219:220], v[217:218], v[213:214]
	v_fma_f64 v[211:212], -v[211:212], v[219:220], v[217:218]
	v_div_fmas_f64 v[211:212], v[211:212], v[213:214], v[219:220]
	v_div_fixup_f64 v[213:214], v[211:212], v[209:210], 1.0
	v_mul_f64 v[215:216], v[215:216], -v[213:214]
.LBB107_97:
	s_or_b32 exec_lo, exec_lo, s1
	ds_write2_b64 v255, v[213:214], v[215:216] offset1:1
.LBB107_98:
	s_or_b32 exec_lo, exec_lo, s2
	s_waitcnt lgkmcnt(0)
	s_barrier
	buffer_gl0_inv
	ds_read2_b64 v[209:212], v255 offset1:1
	s_mov_b32 s1, exec_lo
	s_waitcnt lgkmcnt(0)
	buffer_store_dword v209, off, s[16:19], 0 offset:640 ; 4-byte Folded Spill
	buffer_store_dword v210, off, s[16:19], 0 offset:644 ; 4-byte Folded Spill
	;; [unrolled: 1-line block ×4, first 2 shown]
	v_cmpx_lt_u32_e32 10, v0
	s_cbranch_execz .LBB107_100
; %bb.99:
	s_clause 0x3
	buffer_load_dword v211, off, s[16:19], 0 offset:640
	buffer_load_dword v212, off, s[16:19], 0 offset:644
	;; [unrolled: 1-line block ×4, first 2 shown]
	s_waitcnt vmcnt(0)
	v_mul_f64 v[209:210], v[213:214], v[175:176]
	v_mul_f64 v[175:176], v[211:212], v[175:176]
	v_fma_f64 v[209:210], v[211:212], v[173:174], -v[209:210]
	v_fma_f64 v[175:176], v[213:214], v[173:174], v[175:176]
	ds_read2_b64 v[211:214], v253 offset0:22 offset1:23
	s_waitcnt lgkmcnt(0)
	v_mul_f64 v[173:174], v[213:214], v[175:176]
	v_fma_f64 v[173:174], v[211:212], v[209:210], -v[173:174]
	v_mul_f64 v[211:212], v[211:212], v[175:176]
	v_add_f64 v[169:170], v[169:170], -v[173:174]
	v_fma_f64 v[211:212], v[213:214], v[209:210], v[211:212]
	v_add_f64 v[171:172], v[171:172], -v[211:212]
	ds_read2_b64 v[211:214], v253 offset0:24 offset1:25
	s_waitcnt lgkmcnt(0)
	v_mul_f64 v[173:174], v[213:214], v[175:176]
	v_fma_f64 v[173:174], v[211:212], v[209:210], -v[173:174]
	v_mul_f64 v[211:212], v[211:212], v[175:176]
	v_add_f64 v[165:166], v[165:166], -v[173:174]
	v_fma_f64 v[211:212], v[213:214], v[209:210], v[211:212]
	v_add_f64 v[167:168], v[167:168], -v[211:212]
	;; [unrolled: 8-line block ×42, first 2 shown]
	ds_read2_b64 v[211:214], v253 offset0:106 offset1:107
	s_waitcnt lgkmcnt(0)
	v_mul_f64 v[173:174], v[213:214], v[175:176]
	v_fma_f64 v[173:174], v[211:212], v[209:210], -v[173:174]
	v_mul_f64 v[211:212], v[211:212], v[175:176]
	v_add_f64 v[1:2], v[1:2], -v[173:174]
	v_fma_f64 v[211:212], v[213:214], v[209:210], v[211:212]
	v_mov_b32_e32 v173, v209
	v_mov_b32_e32 v174, v210
	v_add_f64 v[3:4], v[3:4], -v[211:212]
.LBB107_100:
	s_or_b32 exec_lo, exec_lo, s1
	s_mov_b32 s2, exec_lo
	s_waitcnt_vscnt null, 0x0
	s_barrier
	buffer_gl0_inv
	v_cmpx_eq_u32_e32 11, v0
	s_cbranch_execz .LBB107_107
; %bb.101:
	ds_write2_b64 v255, v[169:170], v[171:172] offset1:1
	ds_write2_b64 v253, v[165:166], v[167:168] offset0:24 offset1:25
	ds_write2_b64 v253, v[161:162], v[163:164] offset0:26 offset1:27
	;; [unrolled: 1-line block ×42, first 2 shown]
	ds_read2_b64 v[209:212], v255 offset1:1
	s_waitcnt lgkmcnt(0)
	v_cmp_neq_f64_e32 vcc_lo, 0, v[209:210]
	v_cmp_neq_f64_e64 s1, 0, v[211:212]
	s_or_b32 s1, vcc_lo, s1
	s_and_b32 exec_lo, exec_lo, s1
	s_cbranch_execz .LBB107_107
; %bb.102:
	v_cmp_ngt_f64_e64 s1, |v[209:210]|, |v[211:212]|
                                        ; implicit-def: $vgpr213_vgpr214
	s_and_saveexec_b32 s3, s1
	s_xor_b32 s1, exec_lo, s3
                                        ; implicit-def: $vgpr215_vgpr216
	s_cbranch_execz .LBB107_104
; %bb.103:
	v_div_scale_f64 v[213:214], null, v[211:212], v[211:212], v[209:210]
	v_div_scale_f64 v[219:220], vcc_lo, v[209:210], v[211:212], v[209:210]
	v_rcp_f64_e32 v[215:216], v[213:214]
	v_fma_f64 v[217:218], -v[213:214], v[215:216], 1.0
	v_fma_f64 v[215:216], v[215:216], v[217:218], v[215:216]
	v_fma_f64 v[217:218], -v[213:214], v[215:216], 1.0
	v_fma_f64 v[215:216], v[215:216], v[217:218], v[215:216]
	v_mul_f64 v[217:218], v[219:220], v[215:216]
	v_fma_f64 v[213:214], -v[213:214], v[217:218], v[219:220]
	v_div_fmas_f64 v[213:214], v[213:214], v[215:216], v[217:218]
	v_div_fixup_f64 v[213:214], v[213:214], v[211:212], v[209:210]
	v_fma_f64 v[209:210], v[209:210], v[213:214], v[211:212]
	v_div_scale_f64 v[211:212], null, v[209:210], v[209:210], 1.0
	v_rcp_f64_e32 v[215:216], v[211:212]
	v_fma_f64 v[217:218], -v[211:212], v[215:216], 1.0
	v_fma_f64 v[215:216], v[215:216], v[217:218], v[215:216]
	v_fma_f64 v[217:218], -v[211:212], v[215:216], 1.0
	v_fma_f64 v[215:216], v[215:216], v[217:218], v[215:216]
	v_div_scale_f64 v[217:218], vcc_lo, 1.0, v[209:210], 1.0
	v_mul_f64 v[219:220], v[217:218], v[215:216]
	v_fma_f64 v[211:212], -v[211:212], v[219:220], v[217:218]
	v_div_fmas_f64 v[211:212], v[211:212], v[215:216], v[219:220]
	v_div_fixup_f64 v[215:216], v[211:212], v[209:210], 1.0
                                        ; implicit-def: $vgpr209_vgpr210
	v_mul_f64 v[213:214], v[213:214], v[215:216]
	v_xor_b32_e32 v216, 0x80000000, v216
.LBB107_104:
	s_andn2_saveexec_b32 s1, s1
	s_cbranch_execz .LBB107_106
; %bb.105:
	v_div_scale_f64 v[213:214], null, v[209:210], v[209:210], v[211:212]
	v_div_scale_f64 v[219:220], vcc_lo, v[211:212], v[209:210], v[211:212]
	v_rcp_f64_e32 v[215:216], v[213:214]
	v_fma_f64 v[217:218], -v[213:214], v[215:216], 1.0
	v_fma_f64 v[215:216], v[215:216], v[217:218], v[215:216]
	v_fma_f64 v[217:218], -v[213:214], v[215:216], 1.0
	v_fma_f64 v[215:216], v[215:216], v[217:218], v[215:216]
	v_mul_f64 v[217:218], v[219:220], v[215:216]
	v_fma_f64 v[213:214], -v[213:214], v[217:218], v[219:220]
	v_div_fmas_f64 v[213:214], v[213:214], v[215:216], v[217:218]
	v_div_fixup_f64 v[215:216], v[213:214], v[209:210], v[211:212]
	v_fma_f64 v[209:210], v[211:212], v[215:216], v[209:210]
	v_div_scale_f64 v[211:212], null, v[209:210], v[209:210], 1.0
	v_rcp_f64_e32 v[213:214], v[211:212]
	v_fma_f64 v[217:218], -v[211:212], v[213:214], 1.0
	v_fma_f64 v[213:214], v[213:214], v[217:218], v[213:214]
	v_fma_f64 v[217:218], -v[211:212], v[213:214], 1.0
	v_fma_f64 v[213:214], v[213:214], v[217:218], v[213:214]
	v_div_scale_f64 v[217:218], vcc_lo, 1.0, v[209:210], 1.0
	v_mul_f64 v[219:220], v[217:218], v[213:214]
	v_fma_f64 v[211:212], -v[211:212], v[219:220], v[217:218]
	v_div_fmas_f64 v[211:212], v[211:212], v[213:214], v[219:220]
	v_div_fixup_f64 v[213:214], v[211:212], v[209:210], 1.0
	v_mul_f64 v[215:216], v[215:216], -v[213:214]
.LBB107_106:
	s_or_b32 exec_lo, exec_lo, s1
	ds_write2_b64 v255, v[213:214], v[215:216] offset1:1
.LBB107_107:
	s_or_b32 exec_lo, exec_lo, s2
	s_waitcnt lgkmcnt(0)
	s_barrier
	buffer_gl0_inv
	ds_read2_b64 v[209:212], v255 offset1:1
	s_mov_b32 s1, exec_lo
	s_waitcnt lgkmcnt(0)
	buffer_store_dword v209, off, s[16:19], 0 offset:656 ; 4-byte Folded Spill
	buffer_store_dword v210, off, s[16:19], 0 offset:660 ; 4-byte Folded Spill
	;; [unrolled: 1-line block ×4, first 2 shown]
	v_cmpx_lt_u32_e32 11, v0
	s_cbranch_execz .LBB107_109
; %bb.108:
	s_clause 0x3
	buffer_load_dword v211, off, s[16:19], 0 offset:656
	buffer_load_dword v212, off, s[16:19], 0 offset:660
	buffer_load_dword v213, off, s[16:19], 0 offset:664
	buffer_load_dword v214, off, s[16:19], 0 offset:668
	s_waitcnt vmcnt(0)
	v_mul_f64 v[209:210], v[213:214], v[171:172]
	v_mul_f64 v[171:172], v[211:212], v[171:172]
	v_fma_f64 v[209:210], v[211:212], v[169:170], -v[209:210]
	v_fma_f64 v[171:172], v[213:214], v[169:170], v[171:172]
	ds_read2_b64 v[211:214], v253 offset0:24 offset1:25
	s_waitcnt lgkmcnt(0)
	v_mul_f64 v[169:170], v[213:214], v[171:172]
	v_fma_f64 v[169:170], v[211:212], v[209:210], -v[169:170]
	v_mul_f64 v[211:212], v[211:212], v[171:172]
	v_add_f64 v[165:166], v[165:166], -v[169:170]
	v_fma_f64 v[211:212], v[213:214], v[209:210], v[211:212]
	v_add_f64 v[167:168], v[167:168], -v[211:212]
	ds_read2_b64 v[211:214], v253 offset0:26 offset1:27
	s_waitcnt lgkmcnt(0)
	v_mul_f64 v[169:170], v[213:214], v[171:172]
	v_fma_f64 v[169:170], v[211:212], v[209:210], -v[169:170]
	v_mul_f64 v[211:212], v[211:212], v[171:172]
	v_add_f64 v[161:162], v[161:162], -v[169:170]
	v_fma_f64 v[211:212], v[213:214], v[209:210], v[211:212]
	v_add_f64 v[163:164], v[163:164], -v[211:212]
	;; [unrolled: 8-line block ×41, first 2 shown]
	ds_read2_b64 v[211:214], v253 offset0:106 offset1:107
	s_waitcnt lgkmcnt(0)
	v_mul_f64 v[169:170], v[213:214], v[171:172]
	v_fma_f64 v[169:170], v[211:212], v[209:210], -v[169:170]
	v_mul_f64 v[211:212], v[211:212], v[171:172]
	v_add_f64 v[1:2], v[1:2], -v[169:170]
	v_fma_f64 v[211:212], v[213:214], v[209:210], v[211:212]
	v_mov_b32_e32 v169, v209
	v_mov_b32_e32 v170, v210
	v_add_f64 v[3:4], v[3:4], -v[211:212]
.LBB107_109:
	s_or_b32 exec_lo, exec_lo, s1
	s_mov_b32 s2, exec_lo
	s_waitcnt_vscnt null, 0x0
	s_barrier
	buffer_gl0_inv
	v_cmpx_eq_u32_e32 12, v0
	s_cbranch_execz .LBB107_116
; %bb.110:
	ds_write2_b64 v255, v[165:166], v[167:168] offset1:1
	ds_write2_b64 v253, v[161:162], v[163:164] offset0:26 offset1:27
	ds_write2_b64 v253, v[157:158], v[159:160] offset0:28 offset1:29
	;; [unrolled: 1-line block ×41, first 2 shown]
	ds_read2_b64 v[209:212], v255 offset1:1
	s_waitcnt lgkmcnt(0)
	v_cmp_neq_f64_e32 vcc_lo, 0, v[209:210]
	v_cmp_neq_f64_e64 s1, 0, v[211:212]
	s_or_b32 s1, vcc_lo, s1
	s_and_b32 exec_lo, exec_lo, s1
	s_cbranch_execz .LBB107_116
; %bb.111:
	v_cmp_ngt_f64_e64 s1, |v[209:210]|, |v[211:212]|
                                        ; implicit-def: $vgpr213_vgpr214
	s_and_saveexec_b32 s3, s1
	s_xor_b32 s1, exec_lo, s3
                                        ; implicit-def: $vgpr215_vgpr216
	s_cbranch_execz .LBB107_113
; %bb.112:
	v_div_scale_f64 v[213:214], null, v[211:212], v[211:212], v[209:210]
	v_div_scale_f64 v[219:220], vcc_lo, v[209:210], v[211:212], v[209:210]
	v_rcp_f64_e32 v[215:216], v[213:214]
	v_fma_f64 v[217:218], -v[213:214], v[215:216], 1.0
	v_fma_f64 v[215:216], v[215:216], v[217:218], v[215:216]
	v_fma_f64 v[217:218], -v[213:214], v[215:216], 1.0
	v_fma_f64 v[215:216], v[215:216], v[217:218], v[215:216]
	v_mul_f64 v[217:218], v[219:220], v[215:216]
	v_fma_f64 v[213:214], -v[213:214], v[217:218], v[219:220]
	v_div_fmas_f64 v[213:214], v[213:214], v[215:216], v[217:218]
	v_div_fixup_f64 v[213:214], v[213:214], v[211:212], v[209:210]
	v_fma_f64 v[209:210], v[209:210], v[213:214], v[211:212]
	v_div_scale_f64 v[211:212], null, v[209:210], v[209:210], 1.0
	v_rcp_f64_e32 v[215:216], v[211:212]
	v_fma_f64 v[217:218], -v[211:212], v[215:216], 1.0
	v_fma_f64 v[215:216], v[215:216], v[217:218], v[215:216]
	v_fma_f64 v[217:218], -v[211:212], v[215:216], 1.0
	v_fma_f64 v[215:216], v[215:216], v[217:218], v[215:216]
	v_div_scale_f64 v[217:218], vcc_lo, 1.0, v[209:210], 1.0
	v_mul_f64 v[219:220], v[217:218], v[215:216]
	v_fma_f64 v[211:212], -v[211:212], v[219:220], v[217:218]
	v_div_fmas_f64 v[211:212], v[211:212], v[215:216], v[219:220]
	v_div_fixup_f64 v[215:216], v[211:212], v[209:210], 1.0
                                        ; implicit-def: $vgpr209_vgpr210
	v_mul_f64 v[213:214], v[213:214], v[215:216]
	v_xor_b32_e32 v216, 0x80000000, v216
.LBB107_113:
	s_andn2_saveexec_b32 s1, s1
	s_cbranch_execz .LBB107_115
; %bb.114:
	v_div_scale_f64 v[213:214], null, v[209:210], v[209:210], v[211:212]
	v_div_scale_f64 v[219:220], vcc_lo, v[211:212], v[209:210], v[211:212]
	v_rcp_f64_e32 v[215:216], v[213:214]
	v_fma_f64 v[217:218], -v[213:214], v[215:216], 1.0
	v_fma_f64 v[215:216], v[215:216], v[217:218], v[215:216]
	v_fma_f64 v[217:218], -v[213:214], v[215:216], 1.0
	v_fma_f64 v[215:216], v[215:216], v[217:218], v[215:216]
	v_mul_f64 v[217:218], v[219:220], v[215:216]
	v_fma_f64 v[213:214], -v[213:214], v[217:218], v[219:220]
	v_div_fmas_f64 v[213:214], v[213:214], v[215:216], v[217:218]
	v_div_fixup_f64 v[215:216], v[213:214], v[209:210], v[211:212]
	v_fma_f64 v[209:210], v[211:212], v[215:216], v[209:210]
	v_div_scale_f64 v[211:212], null, v[209:210], v[209:210], 1.0
	v_rcp_f64_e32 v[213:214], v[211:212]
	v_fma_f64 v[217:218], -v[211:212], v[213:214], 1.0
	v_fma_f64 v[213:214], v[213:214], v[217:218], v[213:214]
	v_fma_f64 v[217:218], -v[211:212], v[213:214], 1.0
	v_fma_f64 v[213:214], v[213:214], v[217:218], v[213:214]
	v_div_scale_f64 v[217:218], vcc_lo, 1.0, v[209:210], 1.0
	v_mul_f64 v[219:220], v[217:218], v[213:214]
	v_fma_f64 v[211:212], -v[211:212], v[219:220], v[217:218]
	v_div_fmas_f64 v[211:212], v[211:212], v[213:214], v[219:220]
	v_div_fixup_f64 v[213:214], v[211:212], v[209:210], 1.0
	v_mul_f64 v[215:216], v[215:216], -v[213:214]
.LBB107_115:
	s_or_b32 exec_lo, exec_lo, s1
	ds_write2_b64 v255, v[213:214], v[215:216] offset1:1
.LBB107_116:
	s_or_b32 exec_lo, exec_lo, s2
	s_waitcnt lgkmcnt(0)
	s_barrier
	buffer_gl0_inv
	ds_read2_b64 v[209:212], v255 offset1:1
	s_mov_b32 s1, exec_lo
	s_waitcnt lgkmcnt(0)
	buffer_store_dword v209, off, s[16:19], 0 offset:672 ; 4-byte Folded Spill
	buffer_store_dword v210, off, s[16:19], 0 offset:676 ; 4-byte Folded Spill
	;; [unrolled: 1-line block ×4, first 2 shown]
	v_cmpx_lt_u32_e32 12, v0
	s_cbranch_execz .LBB107_118
; %bb.117:
	s_clause 0x3
	buffer_load_dword v211, off, s[16:19], 0 offset:672
	buffer_load_dword v212, off, s[16:19], 0 offset:676
	;; [unrolled: 1-line block ×4, first 2 shown]
	s_waitcnt vmcnt(0)
	v_mul_f64 v[209:210], v[213:214], v[167:168]
	v_mul_f64 v[167:168], v[211:212], v[167:168]
	v_fma_f64 v[209:210], v[211:212], v[165:166], -v[209:210]
	v_fma_f64 v[167:168], v[213:214], v[165:166], v[167:168]
	ds_read2_b64 v[211:214], v253 offset0:26 offset1:27
	s_waitcnt lgkmcnt(0)
	v_mul_f64 v[165:166], v[213:214], v[167:168]
	v_fma_f64 v[165:166], v[211:212], v[209:210], -v[165:166]
	v_mul_f64 v[211:212], v[211:212], v[167:168]
	v_add_f64 v[161:162], v[161:162], -v[165:166]
	v_fma_f64 v[211:212], v[213:214], v[209:210], v[211:212]
	v_add_f64 v[163:164], v[163:164], -v[211:212]
	ds_read2_b64 v[211:214], v253 offset0:28 offset1:29
	s_waitcnt lgkmcnt(0)
	v_mul_f64 v[165:166], v[213:214], v[167:168]
	v_fma_f64 v[165:166], v[211:212], v[209:210], -v[165:166]
	v_mul_f64 v[211:212], v[211:212], v[167:168]
	v_add_f64 v[157:158], v[157:158], -v[165:166]
	v_fma_f64 v[211:212], v[213:214], v[209:210], v[211:212]
	v_add_f64 v[159:160], v[159:160], -v[211:212]
	ds_read2_b64 v[211:214], v253 offset0:30 offset1:31
	s_waitcnt lgkmcnt(0)
	v_mul_f64 v[165:166], v[213:214], v[167:168]
	v_fma_f64 v[165:166], v[211:212], v[209:210], -v[165:166]
	v_mul_f64 v[211:212], v[211:212], v[167:168]
	v_add_f64 v[153:154], v[153:154], -v[165:166]
	v_fma_f64 v[211:212], v[213:214], v[209:210], v[211:212]
	v_add_f64 v[155:156], v[155:156], -v[211:212]
	ds_read2_b64 v[211:214], v253 offset0:32 offset1:33
	s_waitcnt lgkmcnt(0)
	v_mul_f64 v[165:166], v[213:214], v[167:168]
	v_fma_f64 v[165:166], v[211:212], v[209:210], -v[165:166]
	v_mul_f64 v[211:212], v[211:212], v[167:168]
	v_add_f64 v[149:150], v[149:150], -v[165:166]
	v_fma_f64 v[211:212], v[213:214], v[209:210], v[211:212]
	v_add_f64 v[151:152], v[151:152], -v[211:212]
	ds_read2_b64 v[211:214], v253 offset0:34 offset1:35
	s_waitcnt lgkmcnt(0)
	v_mul_f64 v[165:166], v[213:214], v[167:168]
	v_fma_f64 v[165:166], v[211:212], v[209:210], -v[165:166]
	v_mul_f64 v[211:212], v[211:212], v[167:168]
	v_add_f64 v[145:146], v[145:146], -v[165:166]
	v_fma_f64 v[211:212], v[213:214], v[209:210], v[211:212]
	v_add_f64 v[147:148], v[147:148], -v[211:212]
	ds_read2_b64 v[211:214], v253 offset0:36 offset1:37
	s_waitcnt lgkmcnt(0)
	v_mul_f64 v[165:166], v[213:214], v[167:168]
	v_fma_f64 v[165:166], v[211:212], v[209:210], -v[165:166]
	v_mul_f64 v[211:212], v[211:212], v[167:168]
	v_add_f64 v[141:142], v[141:142], -v[165:166]
	v_fma_f64 v[211:212], v[213:214], v[209:210], v[211:212]
	v_add_f64 v[143:144], v[143:144], -v[211:212]
	ds_read2_b64 v[211:214], v253 offset0:38 offset1:39
	s_waitcnt lgkmcnt(0)
	v_mul_f64 v[165:166], v[213:214], v[167:168]
	v_fma_f64 v[165:166], v[211:212], v[209:210], -v[165:166]
	v_mul_f64 v[211:212], v[211:212], v[167:168]
	v_add_f64 v[137:138], v[137:138], -v[165:166]
	v_fma_f64 v[211:212], v[213:214], v[209:210], v[211:212]
	v_add_f64 v[139:140], v[139:140], -v[211:212]
	ds_read2_b64 v[211:214], v253 offset0:40 offset1:41
	s_waitcnt lgkmcnt(0)
	v_mul_f64 v[165:166], v[213:214], v[167:168]
	v_fma_f64 v[165:166], v[211:212], v[209:210], -v[165:166]
	v_mul_f64 v[211:212], v[211:212], v[167:168]
	v_add_f64 v[133:134], v[133:134], -v[165:166]
	v_fma_f64 v[211:212], v[213:214], v[209:210], v[211:212]
	v_add_f64 v[135:136], v[135:136], -v[211:212]
	ds_read2_b64 v[211:214], v253 offset0:42 offset1:43
	s_waitcnt lgkmcnt(0)
	v_mul_f64 v[165:166], v[213:214], v[167:168]
	v_fma_f64 v[165:166], v[211:212], v[209:210], -v[165:166]
	v_mul_f64 v[211:212], v[211:212], v[167:168]
	v_add_f64 v[129:130], v[129:130], -v[165:166]
	v_fma_f64 v[211:212], v[213:214], v[209:210], v[211:212]
	v_add_f64 v[131:132], v[131:132], -v[211:212]
	ds_read2_b64 v[211:214], v253 offset0:44 offset1:45
	s_waitcnt lgkmcnt(0)
	v_mul_f64 v[165:166], v[213:214], v[167:168]
	v_fma_f64 v[165:166], v[211:212], v[209:210], -v[165:166]
	v_mul_f64 v[211:212], v[211:212], v[167:168]
	v_add_f64 v[125:126], v[125:126], -v[165:166]
	v_fma_f64 v[211:212], v[213:214], v[209:210], v[211:212]
	v_add_f64 v[127:128], v[127:128], -v[211:212]
	ds_read2_b64 v[211:214], v253 offset0:46 offset1:47
	s_waitcnt lgkmcnt(0)
	v_mul_f64 v[165:166], v[213:214], v[167:168]
	v_fma_f64 v[165:166], v[211:212], v[209:210], -v[165:166]
	v_mul_f64 v[211:212], v[211:212], v[167:168]
	v_add_f64 v[121:122], v[121:122], -v[165:166]
	v_fma_f64 v[211:212], v[213:214], v[209:210], v[211:212]
	v_add_f64 v[123:124], v[123:124], -v[211:212]
	ds_read2_b64 v[211:214], v253 offset0:48 offset1:49
	s_waitcnt lgkmcnt(0)
	v_mul_f64 v[165:166], v[213:214], v[167:168]
	v_fma_f64 v[165:166], v[211:212], v[209:210], -v[165:166]
	v_mul_f64 v[211:212], v[211:212], v[167:168]
	v_add_f64 v[117:118], v[117:118], -v[165:166]
	v_fma_f64 v[211:212], v[213:214], v[209:210], v[211:212]
	v_add_f64 v[119:120], v[119:120], -v[211:212]
	ds_read2_b64 v[211:214], v253 offset0:50 offset1:51
	s_waitcnt lgkmcnt(0)
	v_mul_f64 v[165:166], v[213:214], v[167:168]
	v_fma_f64 v[165:166], v[211:212], v[209:210], -v[165:166]
	v_mul_f64 v[211:212], v[211:212], v[167:168]
	v_add_f64 v[113:114], v[113:114], -v[165:166]
	v_fma_f64 v[211:212], v[213:214], v[209:210], v[211:212]
	v_add_f64 v[115:116], v[115:116], -v[211:212]
	ds_read2_b64 v[211:214], v253 offset0:52 offset1:53
	s_waitcnt lgkmcnt(0)
	v_mul_f64 v[165:166], v[213:214], v[167:168]
	v_fma_f64 v[165:166], v[211:212], v[209:210], -v[165:166]
	v_mul_f64 v[211:212], v[211:212], v[167:168]
	v_add_f64 v[109:110], v[109:110], -v[165:166]
	v_fma_f64 v[211:212], v[213:214], v[209:210], v[211:212]
	v_add_f64 v[111:112], v[111:112], -v[211:212]
	ds_read2_b64 v[211:214], v253 offset0:54 offset1:55
	s_waitcnt lgkmcnt(0)
	v_mul_f64 v[165:166], v[213:214], v[167:168]
	v_fma_f64 v[165:166], v[211:212], v[209:210], -v[165:166]
	v_mul_f64 v[211:212], v[211:212], v[167:168]
	v_add_f64 v[105:106], v[105:106], -v[165:166]
	v_fma_f64 v[211:212], v[213:214], v[209:210], v[211:212]
	v_add_f64 v[107:108], v[107:108], -v[211:212]
	ds_read2_b64 v[211:214], v253 offset0:56 offset1:57
	s_waitcnt lgkmcnt(0)
	v_mul_f64 v[165:166], v[213:214], v[167:168]
	v_fma_f64 v[165:166], v[211:212], v[209:210], -v[165:166]
	v_mul_f64 v[211:212], v[211:212], v[167:168]
	v_add_f64 v[101:102], v[101:102], -v[165:166]
	v_fma_f64 v[211:212], v[213:214], v[209:210], v[211:212]
	v_add_f64 v[103:104], v[103:104], -v[211:212]
	ds_read2_b64 v[211:214], v253 offset0:58 offset1:59
	s_waitcnt lgkmcnt(0)
	v_mul_f64 v[165:166], v[213:214], v[167:168]
	v_fma_f64 v[165:166], v[211:212], v[209:210], -v[165:166]
	v_mul_f64 v[211:212], v[211:212], v[167:168]
	v_add_f64 v[97:98], v[97:98], -v[165:166]
	v_fma_f64 v[211:212], v[213:214], v[209:210], v[211:212]
	v_add_f64 v[99:100], v[99:100], -v[211:212]
	ds_read2_b64 v[211:214], v253 offset0:60 offset1:61
	s_waitcnt lgkmcnt(0)
	v_mul_f64 v[165:166], v[213:214], v[167:168]
	v_fma_f64 v[165:166], v[211:212], v[209:210], -v[165:166]
	v_mul_f64 v[211:212], v[211:212], v[167:168]
	v_add_f64 v[93:94], v[93:94], -v[165:166]
	v_fma_f64 v[211:212], v[213:214], v[209:210], v[211:212]
	v_add_f64 v[95:96], v[95:96], -v[211:212]
	ds_read2_b64 v[211:214], v253 offset0:62 offset1:63
	s_waitcnt lgkmcnt(0)
	v_mul_f64 v[165:166], v[213:214], v[167:168]
	v_fma_f64 v[165:166], v[211:212], v[209:210], -v[165:166]
	v_mul_f64 v[211:212], v[211:212], v[167:168]
	v_add_f64 v[89:90], v[89:90], -v[165:166]
	v_fma_f64 v[211:212], v[213:214], v[209:210], v[211:212]
	v_add_f64 v[91:92], v[91:92], -v[211:212]
	ds_read2_b64 v[211:214], v253 offset0:64 offset1:65
	s_waitcnt lgkmcnt(0)
	v_mul_f64 v[165:166], v[213:214], v[167:168]
	v_fma_f64 v[165:166], v[211:212], v[209:210], -v[165:166]
	v_mul_f64 v[211:212], v[211:212], v[167:168]
	v_add_f64 v[85:86], v[85:86], -v[165:166]
	v_fma_f64 v[211:212], v[213:214], v[209:210], v[211:212]
	v_add_f64 v[87:88], v[87:88], -v[211:212]
	ds_read2_b64 v[211:214], v253 offset0:66 offset1:67
	s_waitcnt lgkmcnt(0)
	v_mul_f64 v[165:166], v[213:214], v[167:168]
	v_fma_f64 v[165:166], v[211:212], v[209:210], -v[165:166]
	v_mul_f64 v[211:212], v[211:212], v[167:168]
	v_add_f64 v[81:82], v[81:82], -v[165:166]
	v_fma_f64 v[211:212], v[213:214], v[209:210], v[211:212]
	v_add_f64 v[83:84], v[83:84], -v[211:212]
	ds_read2_b64 v[211:214], v253 offset0:68 offset1:69
	s_waitcnt lgkmcnt(0)
	v_mul_f64 v[165:166], v[213:214], v[167:168]
	v_fma_f64 v[165:166], v[211:212], v[209:210], -v[165:166]
	v_mul_f64 v[211:212], v[211:212], v[167:168]
	v_add_f64 v[77:78], v[77:78], -v[165:166]
	v_fma_f64 v[211:212], v[213:214], v[209:210], v[211:212]
	v_add_f64 v[79:80], v[79:80], -v[211:212]
	ds_read2_b64 v[211:214], v253 offset0:70 offset1:71
	s_waitcnt lgkmcnt(0)
	v_mul_f64 v[165:166], v[213:214], v[167:168]
	v_fma_f64 v[165:166], v[211:212], v[209:210], -v[165:166]
	v_mul_f64 v[211:212], v[211:212], v[167:168]
	v_add_f64 v[73:74], v[73:74], -v[165:166]
	v_fma_f64 v[211:212], v[213:214], v[209:210], v[211:212]
	v_add_f64 v[75:76], v[75:76], -v[211:212]
	ds_read2_b64 v[211:214], v253 offset0:72 offset1:73
	s_waitcnt lgkmcnt(0)
	v_mul_f64 v[165:166], v[213:214], v[167:168]
	v_fma_f64 v[165:166], v[211:212], v[209:210], -v[165:166]
	v_mul_f64 v[211:212], v[211:212], v[167:168]
	v_add_f64 v[69:70], v[69:70], -v[165:166]
	v_fma_f64 v[211:212], v[213:214], v[209:210], v[211:212]
	v_add_f64 v[71:72], v[71:72], -v[211:212]
	ds_read2_b64 v[211:214], v253 offset0:74 offset1:75
	s_waitcnt lgkmcnt(0)
	v_mul_f64 v[165:166], v[213:214], v[167:168]
	v_fma_f64 v[165:166], v[211:212], v[209:210], -v[165:166]
	v_mul_f64 v[211:212], v[211:212], v[167:168]
	v_add_f64 v[65:66], v[65:66], -v[165:166]
	v_fma_f64 v[211:212], v[213:214], v[209:210], v[211:212]
	v_add_f64 v[67:68], v[67:68], -v[211:212]
	ds_read2_b64 v[211:214], v253 offset0:76 offset1:77
	s_waitcnt lgkmcnt(0)
	v_mul_f64 v[165:166], v[213:214], v[167:168]
	v_fma_f64 v[165:166], v[211:212], v[209:210], -v[165:166]
	v_mul_f64 v[211:212], v[211:212], v[167:168]
	v_add_f64 v[61:62], v[61:62], -v[165:166]
	v_fma_f64 v[211:212], v[213:214], v[209:210], v[211:212]
	v_add_f64 v[63:64], v[63:64], -v[211:212]
	ds_read2_b64 v[211:214], v253 offset0:78 offset1:79
	s_waitcnt lgkmcnt(0)
	v_mul_f64 v[165:166], v[213:214], v[167:168]
	v_fma_f64 v[165:166], v[211:212], v[209:210], -v[165:166]
	v_mul_f64 v[211:212], v[211:212], v[167:168]
	v_add_f64 v[57:58], v[57:58], -v[165:166]
	v_fma_f64 v[211:212], v[213:214], v[209:210], v[211:212]
	v_add_f64 v[59:60], v[59:60], -v[211:212]
	ds_read2_b64 v[211:214], v253 offset0:80 offset1:81
	s_waitcnt lgkmcnt(0)
	v_mul_f64 v[165:166], v[213:214], v[167:168]
	v_fma_f64 v[165:166], v[211:212], v[209:210], -v[165:166]
	v_mul_f64 v[211:212], v[211:212], v[167:168]
	v_add_f64 v[53:54], v[53:54], -v[165:166]
	v_fma_f64 v[211:212], v[213:214], v[209:210], v[211:212]
	v_add_f64 v[55:56], v[55:56], -v[211:212]
	ds_read2_b64 v[211:214], v253 offset0:82 offset1:83
	s_waitcnt lgkmcnt(0)
	v_mul_f64 v[165:166], v[213:214], v[167:168]
	v_fma_f64 v[165:166], v[211:212], v[209:210], -v[165:166]
	v_mul_f64 v[211:212], v[211:212], v[167:168]
	v_add_f64 v[49:50], v[49:50], -v[165:166]
	v_fma_f64 v[211:212], v[213:214], v[209:210], v[211:212]
	v_add_f64 v[51:52], v[51:52], -v[211:212]
	ds_read2_b64 v[211:214], v253 offset0:84 offset1:85
	s_waitcnt lgkmcnt(0)
	v_mul_f64 v[165:166], v[213:214], v[167:168]
	v_fma_f64 v[165:166], v[211:212], v[209:210], -v[165:166]
	v_mul_f64 v[211:212], v[211:212], v[167:168]
	v_add_f64 v[45:46], v[45:46], -v[165:166]
	v_fma_f64 v[211:212], v[213:214], v[209:210], v[211:212]
	v_add_f64 v[47:48], v[47:48], -v[211:212]
	ds_read2_b64 v[211:214], v253 offset0:86 offset1:87
	s_waitcnt lgkmcnt(0)
	v_mul_f64 v[165:166], v[213:214], v[167:168]
	v_fma_f64 v[165:166], v[211:212], v[209:210], -v[165:166]
	v_mul_f64 v[211:212], v[211:212], v[167:168]
	v_add_f64 v[41:42], v[41:42], -v[165:166]
	v_fma_f64 v[211:212], v[213:214], v[209:210], v[211:212]
	v_add_f64 v[43:44], v[43:44], -v[211:212]
	ds_read2_b64 v[211:214], v253 offset0:88 offset1:89
	s_waitcnt lgkmcnt(0)
	v_mul_f64 v[165:166], v[213:214], v[167:168]
	v_fma_f64 v[165:166], v[211:212], v[209:210], -v[165:166]
	v_mul_f64 v[211:212], v[211:212], v[167:168]
	v_add_f64 v[37:38], v[37:38], -v[165:166]
	v_fma_f64 v[211:212], v[213:214], v[209:210], v[211:212]
	v_add_f64 v[39:40], v[39:40], -v[211:212]
	ds_read2_b64 v[211:214], v253 offset0:90 offset1:91
	s_waitcnt lgkmcnt(0)
	v_mul_f64 v[165:166], v[213:214], v[167:168]
	v_fma_f64 v[165:166], v[211:212], v[209:210], -v[165:166]
	v_mul_f64 v[211:212], v[211:212], v[167:168]
	v_add_f64 v[33:34], v[33:34], -v[165:166]
	v_fma_f64 v[211:212], v[213:214], v[209:210], v[211:212]
	v_add_f64 v[35:36], v[35:36], -v[211:212]
	ds_read2_b64 v[211:214], v253 offset0:92 offset1:93
	s_waitcnt lgkmcnt(0)
	v_mul_f64 v[165:166], v[213:214], v[167:168]
	v_fma_f64 v[165:166], v[211:212], v[209:210], -v[165:166]
	v_mul_f64 v[211:212], v[211:212], v[167:168]
	v_add_f64 v[29:30], v[29:30], -v[165:166]
	v_fma_f64 v[211:212], v[213:214], v[209:210], v[211:212]
	v_add_f64 v[31:32], v[31:32], -v[211:212]
	ds_read2_b64 v[211:214], v253 offset0:94 offset1:95
	s_waitcnt lgkmcnt(0)
	v_mul_f64 v[165:166], v[213:214], v[167:168]
	v_fma_f64 v[165:166], v[211:212], v[209:210], -v[165:166]
	v_mul_f64 v[211:212], v[211:212], v[167:168]
	v_add_f64 v[25:26], v[25:26], -v[165:166]
	v_fma_f64 v[211:212], v[213:214], v[209:210], v[211:212]
	v_add_f64 v[27:28], v[27:28], -v[211:212]
	ds_read2_b64 v[211:214], v253 offset0:96 offset1:97
	s_waitcnt lgkmcnt(0)
	v_mul_f64 v[165:166], v[213:214], v[167:168]
	v_fma_f64 v[165:166], v[211:212], v[209:210], -v[165:166]
	v_mul_f64 v[211:212], v[211:212], v[167:168]
	v_add_f64 v[21:22], v[21:22], -v[165:166]
	v_fma_f64 v[211:212], v[213:214], v[209:210], v[211:212]
	v_add_f64 v[23:24], v[23:24], -v[211:212]
	ds_read2_b64 v[211:214], v253 offset0:98 offset1:99
	s_waitcnt lgkmcnt(0)
	v_mul_f64 v[165:166], v[213:214], v[167:168]
	v_fma_f64 v[165:166], v[211:212], v[209:210], -v[165:166]
	v_mul_f64 v[211:212], v[211:212], v[167:168]
	v_add_f64 v[17:18], v[17:18], -v[165:166]
	v_fma_f64 v[211:212], v[213:214], v[209:210], v[211:212]
	v_add_f64 v[19:20], v[19:20], -v[211:212]
	ds_read2_b64 v[211:214], v253 offset0:100 offset1:101
	s_waitcnt lgkmcnt(0)
	v_mul_f64 v[165:166], v[213:214], v[167:168]
	v_fma_f64 v[165:166], v[211:212], v[209:210], -v[165:166]
	v_mul_f64 v[211:212], v[211:212], v[167:168]
	v_add_f64 v[13:14], v[13:14], -v[165:166]
	v_fma_f64 v[211:212], v[213:214], v[209:210], v[211:212]
	v_add_f64 v[15:16], v[15:16], -v[211:212]
	ds_read2_b64 v[211:214], v253 offset0:102 offset1:103
	s_waitcnt lgkmcnt(0)
	v_mul_f64 v[165:166], v[213:214], v[167:168]
	v_fma_f64 v[165:166], v[211:212], v[209:210], -v[165:166]
	v_mul_f64 v[211:212], v[211:212], v[167:168]
	v_add_f64 v[9:10], v[9:10], -v[165:166]
	v_fma_f64 v[211:212], v[213:214], v[209:210], v[211:212]
	v_add_f64 v[11:12], v[11:12], -v[211:212]
	ds_read2_b64 v[211:214], v253 offset0:104 offset1:105
	s_waitcnt lgkmcnt(0)
	v_mul_f64 v[165:166], v[213:214], v[167:168]
	v_fma_f64 v[165:166], v[211:212], v[209:210], -v[165:166]
	v_mul_f64 v[211:212], v[211:212], v[167:168]
	v_add_f64 v[5:6], v[5:6], -v[165:166]
	v_fma_f64 v[211:212], v[213:214], v[209:210], v[211:212]
	v_add_f64 v[7:8], v[7:8], -v[211:212]
	ds_read2_b64 v[211:214], v253 offset0:106 offset1:107
	s_waitcnt lgkmcnt(0)
	v_mul_f64 v[165:166], v[213:214], v[167:168]
	v_fma_f64 v[165:166], v[211:212], v[209:210], -v[165:166]
	v_mul_f64 v[211:212], v[211:212], v[167:168]
	v_add_f64 v[1:2], v[1:2], -v[165:166]
	v_fma_f64 v[211:212], v[213:214], v[209:210], v[211:212]
	v_mov_b32_e32 v165, v209
	v_mov_b32_e32 v166, v210
	v_add_f64 v[3:4], v[3:4], -v[211:212]
.LBB107_118:
	s_or_b32 exec_lo, exec_lo, s1
	s_mov_b32 s2, exec_lo
	s_waitcnt_vscnt null, 0x0
	s_barrier
	buffer_gl0_inv
	v_cmpx_eq_u32_e32 13, v0
	s_cbranch_execz .LBB107_125
; %bb.119:
	ds_write2_b64 v255, v[161:162], v[163:164] offset1:1
	ds_write2_b64 v253, v[157:158], v[159:160] offset0:28 offset1:29
	ds_write2_b64 v253, v[153:154], v[155:156] offset0:30 offset1:31
	ds_write2_b64 v253, v[149:150], v[151:152] offset0:32 offset1:33
	ds_write2_b64 v253, v[145:146], v[147:148] offset0:34 offset1:35
	ds_write2_b64 v253, v[141:142], v[143:144] offset0:36 offset1:37
	ds_write2_b64 v253, v[137:138], v[139:140] offset0:38 offset1:39
	ds_write2_b64 v253, v[133:134], v[135:136] offset0:40 offset1:41
	ds_write2_b64 v253, v[129:130], v[131:132] offset0:42 offset1:43
	ds_write2_b64 v253, v[125:126], v[127:128] offset0:44 offset1:45
	ds_write2_b64 v253, v[121:122], v[123:124] offset0:46 offset1:47
	ds_write2_b64 v253, v[117:118], v[119:120] offset0:48 offset1:49
	ds_write2_b64 v253, v[113:114], v[115:116] offset0:50 offset1:51
	ds_write2_b64 v253, v[109:110], v[111:112] offset0:52 offset1:53
	ds_write2_b64 v253, v[105:106], v[107:108] offset0:54 offset1:55
	ds_write2_b64 v253, v[101:102], v[103:104] offset0:56 offset1:57
	ds_write2_b64 v253, v[97:98], v[99:100] offset0:58 offset1:59
	ds_write2_b64 v253, v[93:94], v[95:96] offset0:60 offset1:61
	ds_write2_b64 v253, v[89:90], v[91:92] offset0:62 offset1:63
	ds_write2_b64 v253, v[85:86], v[87:88] offset0:64 offset1:65
	ds_write2_b64 v253, v[81:82], v[83:84] offset0:66 offset1:67
	ds_write2_b64 v253, v[77:78], v[79:80] offset0:68 offset1:69
	ds_write2_b64 v253, v[73:74], v[75:76] offset0:70 offset1:71
	ds_write2_b64 v253, v[69:70], v[71:72] offset0:72 offset1:73
	ds_write2_b64 v253, v[65:66], v[67:68] offset0:74 offset1:75
	ds_write2_b64 v253, v[61:62], v[63:64] offset0:76 offset1:77
	ds_write2_b64 v253, v[57:58], v[59:60] offset0:78 offset1:79
	ds_write2_b64 v253, v[53:54], v[55:56] offset0:80 offset1:81
	ds_write2_b64 v253, v[49:50], v[51:52] offset0:82 offset1:83
	ds_write2_b64 v253, v[45:46], v[47:48] offset0:84 offset1:85
	ds_write2_b64 v253, v[41:42], v[43:44] offset0:86 offset1:87
	ds_write2_b64 v253, v[37:38], v[39:40] offset0:88 offset1:89
	ds_write2_b64 v253, v[33:34], v[35:36] offset0:90 offset1:91
	ds_write2_b64 v253, v[29:30], v[31:32] offset0:92 offset1:93
	ds_write2_b64 v253, v[25:26], v[27:28] offset0:94 offset1:95
	ds_write2_b64 v253, v[21:22], v[23:24] offset0:96 offset1:97
	ds_write2_b64 v253, v[17:18], v[19:20] offset0:98 offset1:99
	ds_write2_b64 v253, v[13:14], v[15:16] offset0:100 offset1:101
	ds_write2_b64 v253, v[9:10], v[11:12] offset0:102 offset1:103
	ds_write2_b64 v253, v[5:6], v[7:8] offset0:104 offset1:105
	ds_write2_b64 v253, v[1:2], v[3:4] offset0:106 offset1:107
	ds_read2_b64 v[209:212], v255 offset1:1
	s_waitcnt lgkmcnt(0)
	v_cmp_neq_f64_e32 vcc_lo, 0, v[209:210]
	v_cmp_neq_f64_e64 s1, 0, v[211:212]
	s_or_b32 s1, vcc_lo, s1
	s_and_b32 exec_lo, exec_lo, s1
	s_cbranch_execz .LBB107_125
; %bb.120:
	v_cmp_ngt_f64_e64 s1, |v[209:210]|, |v[211:212]|
                                        ; implicit-def: $vgpr213_vgpr214
	s_and_saveexec_b32 s3, s1
	s_xor_b32 s1, exec_lo, s3
                                        ; implicit-def: $vgpr215_vgpr216
	s_cbranch_execz .LBB107_122
; %bb.121:
	v_div_scale_f64 v[213:214], null, v[211:212], v[211:212], v[209:210]
	v_div_scale_f64 v[219:220], vcc_lo, v[209:210], v[211:212], v[209:210]
	v_rcp_f64_e32 v[215:216], v[213:214]
	v_fma_f64 v[217:218], -v[213:214], v[215:216], 1.0
	v_fma_f64 v[215:216], v[215:216], v[217:218], v[215:216]
	v_fma_f64 v[217:218], -v[213:214], v[215:216], 1.0
	v_fma_f64 v[215:216], v[215:216], v[217:218], v[215:216]
	v_mul_f64 v[217:218], v[219:220], v[215:216]
	v_fma_f64 v[213:214], -v[213:214], v[217:218], v[219:220]
	v_div_fmas_f64 v[213:214], v[213:214], v[215:216], v[217:218]
	v_div_fixup_f64 v[213:214], v[213:214], v[211:212], v[209:210]
	v_fma_f64 v[209:210], v[209:210], v[213:214], v[211:212]
	v_div_scale_f64 v[211:212], null, v[209:210], v[209:210], 1.0
	v_rcp_f64_e32 v[215:216], v[211:212]
	v_fma_f64 v[217:218], -v[211:212], v[215:216], 1.0
	v_fma_f64 v[215:216], v[215:216], v[217:218], v[215:216]
	v_fma_f64 v[217:218], -v[211:212], v[215:216], 1.0
	v_fma_f64 v[215:216], v[215:216], v[217:218], v[215:216]
	v_div_scale_f64 v[217:218], vcc_lo, 1.0, v[209:210], 1.0
	v_mul_f64 v[219:220], v[217:218], v[215:216]
	v_fma_f64 v[211:212], -v[211:212], v[219:220], v[217:218]
	v_div_fmas_f64 v[211:212], v[211:212], v[215:216], v[219:220]
	v_div_fixup_f64 v[215:216], v[211:212], v[209:210], 1.0
                                        ; implicit-def: $vgpr209_vgpr210
	v_mul_f64 v[213:214], v[213:214], v[215:216]
	v_xor_b32_e32 v216, 0x80000000, v216
.LBB107_122:
	s_andn2_saveexec_b32 s1, s1
	s_cbranch_execz .LBB107_124
; %bb.123:
	v_div_scale_f64 v[213:214], null, v[209:210], v[209:210], v[211:212]
	v_div_scale_f64 v[219:220], vcc_lo, v[211:212], v[209:210], v[211:212]
	v_rcp_f64_e32 v[215:216], v[213:214]
	v_fma_f64 v[217:218], -v[213:214], v[215:216], 1.0
	v_fma_f64 v[215:216], v[215:216], v[217:218], v[215:216]
	v_fma_f64 v[217:218], -v[213:214], v[215:216], 1.0
	v_fma_f64 v[215:216], v[215:216], v[217:218], v[215:216]
	v_mul_f64 v[217:218], v[219:220], v[215:216]
	v_fma_f64 v[213:214], -v[213:214], v[217:218], v[219:220]
	v_div_fmas_f64 v[213:214], v[213:214], v[215:216], v[217:218]
	v_div_fixup_f64 v[215:216], v[213:214], v[209:210], v[211:212]
	v_fma_f64 v[209:210], v[211:212], v[215:216], v[209:210]
	v_div_scale_f64 v[211:212], null, v[209:210], v[209:210], 1.0
	v_rcp_f64_e32 v[213:214], v[211:212]
	v_fma_f64 v[217:218], -v[211:212], v[213:214], 1.0
	v_fma_f64 v[213:214], v[213:214], v[217:218], v[213:214]
	v_fma_f64 v[217:218], -v[211:212], v[213:214], 1.0
	v_fma_f64 v[213:214], v[213:214], v[217:218], v[213:214]
	v_div_scale_f64 v[217:218], vcc_lo, 1.0, v[209:210], 1.0
	v_mul_f64 v[219:220], v[217:218], v[213:214]
	v_fma_f64 v[211:212], -v[211:212], v[219:220], v[217:218]
	v_div_fmas_f64 v[211:212], v[211:212], v[213:214], v[219:220]
	v_div_fixup_f64 v[213:214], v[211:212], v[209:210], 1.0
	v_mul_f64 v[215:216], v[215:216], -v[213:214]
.LBB107_124:
	s_or_b32 exec_lo, exec_lo, s1
	ds_write2_b64 v255, v[213:214], v[215:216] offset1:1
.LBB107_125:
	s_or_b32 exec_lo, exec_lo, s2
	s_waitcnt lgkmcnt(0)
	s_barrier
	buffer_gl0_inv
	ds_read2_b64 v[209:212], v255 offset1:1
	s_mov_b32 s1, exec_lo
	s_waitcnt lgkmcnt(0)
	buffer_store_dword v209, off, s[16:19], 0 offset:688 ; 4-byte Folded Spill
	buffer_store_dword v210, off, s[16:19], 0 offset:692 ; 4-byte Folded Spill
	;; [unrolled: 1-line block ×4, first 2 shown]
	v_cmpx_lt_u32_e32 13, v0
	s_cbranch_execz .LBB107_127
; %bb.126:
	s_clause 0x3
	buffer_load_dword v211, off, s[16:19], 0 offset:688
	buffer_load_dword v212, off, s[16:19], 0 offset:692
	;; [unrolled: 1-line block ×4, first 2 shown]
	s_waitcnt vmcnt(0)
	v_mul_f64 v[209:210], v[213:214], v[163:164]
	v_mul_f64 v[163:164], v[211:212], v[163:164]
	v_fma_f64 v[209:210], v[211:212], v[161:162], -v[209:210]
	v_fma_f64 v[163:164], v[213:214], v[161:162], v[163:164]
	ds_read2_b64 v[211:214], v253 offset0:28 offset1:29
	s_waitcnt lgkmcnt(0)
	v_mul_f64 v[161:162], v[213:214], v[163:164]
	v_fma_f64 v[161:162], v[211:212], v[209:210], -v[161:162]
	v_mul_f64 v[211:212], v[211:212], v[163:164]
	v_add_f64 v[157:158], v[157:158], -v[161:162]
	v_fma_f64 v[211:212], v[213:214], v[209:210], v[211:212]
	v_add_f64 v[159:160], v[159:160], -v[211:212]
	ds_read2_b64 v[211:214], v253 offset0:30 offset1:31
	s_waitcnt lgkmcnt(0)
	v_mul_f64 v[161:162], v[213:214], v[163:164]
	v_fma_f64 v[161:162], v[211:212], v[209:210], -v[161:162]
	v_mul_f64 v[211:212], v[211:212], v[163:164]
	v_add_f64 v[153:154], v[153:154], -v[161:162]
	v_fma_f64 v[211:212], v[213:214], v[209:210], v[211:212]
	v_add_f64 v[155:156], v[155:156], -v[211:212]
	;; [unrolled: 8-line block ×39, first 2 shown]
	ds_read2_b64 v[211:214], v253 offset0:106 offset1:107
	s_waitcnt lgkmcnt(0)
	v_mul_f64 v[161:162], v[213:214], v[163:164]
	v_fma_f64 v[161:162], v[211:212], v[209:210], -v[161:162]
	v_mul_f64 v[211:212], v[211:212], v[163:164]
	v_add_f64 v[1:2], v[1:2], -v[161:162]
	v_fma_f64 v[211:212], v[213:214], v[209:210], v[211:212]
	v_mov_b32_e32 v161, v209
	v_mov_b32_e32 v162, v210
	v_add_f64 v[3:4], v[3:4], -v[211:212]
.LBB107_127:
	s_or_b32 exec_lo, exec_lo, s1
	s_mov_b32 s2, exec_lo
	s_waitcnt_vscnt null, 0x0
	s_barrier
	buffer_gl0_inv
	v_cmpx_eq_u32_e32 14, v0
	s_cbranch_execz .LBB107_134
; %bb.128:
	ds_write2_b64 v255, v[157:158], v[159:160] offset1:1
	ds_write2_b64 v253, v[153:154], v[155:156] offset0:30 offset1:31
	ds_write2_b64 v253, v[149:150], v[151:152] offset0:32 offset1:33
	;; [unrolled: 1-line block ×39, first 2 shown]
	ds_read2_b64 v[209:212], v255 offset1:1
	s_waitcnt lgkmcnt(0)
	v_cmp_neq_f64_e32 vcc_lo, 0, v[209:210]
	v_cmp_neq_f64_e64 s1, 0, v[211:212]
	s_or_b32 s1, vcc_lo, s1
	s_and_b32 exec_lo, exec_lo, s1
	s_cbranch_execz .LBB107_134
; %bb.129:
	v_cmp_ngt_f64_e64 s1, |v[209:210]|, |v[211:212]|
                                        ; implicit-def: $vgpr213_vgpr214
	s_and_saveexec_b32 s3, s1
	s_xor_b32 s1, exec_lo, s3
                                        ; implicit-def: $vgpr215_vgpr216
	s_cbranch_execz .LBB107_131
; %bb.130:
	v_div_scale_f64 v[213:214], null, v[211:212], v[211:212], v[209:210]
	v_div_scale_f64 v[219:220], vcc_lo, v[209:210], v[211:212], v[209:210]
	v_rcp_f64_e32 v[215:216], v[213:214]
	v_fma_f64 v[217:218], -v[213:214], v[215:216], 1.0
	v_fma_f64 v[215:216], v[215:216], v[217:218], v[215:216]
	v_fma_f64 v[217:218], -v[213:214], v[215:216], 1.0
	v_fma_f64 v[215:216], v[215:216], v[217:218], v[215:216]
	v_mul_f64 v[217:218], v[219:220], v[215:216]
	v_fma_f64 v[213:214], -v[213:214], v[217:218], v[219:220]
	v_div_fmas_f64 v[213:214], v[213:214], v[215:216], v[217:218]
	v_div_fixup_f64 v[213:214], v[213:214], v[211:212], v[209:210]
	v_fma_f64 v[209:210], v[209:210], v[213:214], v[211:212]
	v_div_scale_f64 v[211:212], null, v[209:210], v[209:210], 1.0
	v_rcp_f64_e32 v[215:216], v[211:212]
	v_fma_f64 v[217:218], -v[211:212], v[215:216], 1.0
	v_fma_f64 v[215:216], v[215:216], v[217:218], v[215:216]
	v_fma_f64 v[217:218], -v[211:212], v[215:216], 1.0
	v_fma_f64 v[215:216], v[215:216], v[217:218], v[215:216]
	v_div_scale_f64 v[217:218], vcc_lo, 1.0, v[209:210], 1.0
	v_mul_f64 v[219:220], v[217:218], v[215:216]
	v_fma_f64 v[211:212], -v[211:212], v[219:220], v[217:218]
	v_div_fmas_f64 v[211:212], v[211:212], v[215:216], v[219:220]
	v_div_fixup_f64 v[215:216], v[211:212], v[209:210], 1.0
                                        ; implicit-def: $vgpr209_vgpr210
	v_mul_f64 v[213:214], v[213:214], v[215:216]
	v_xor_b32_e32 v216, 0x80000000, v216
.LBB107_131:
	s_andn2_saveexec_b32 s1, s1
	s_cbranch_execz .LBB107_133
; %bb.132:
	v_div_scale_f64 v[213:214], null, v[209:210], v[209:210], v[211:212]
	v_div_scale_f64 v[219:220], vcc_lo, v[211:212], v[209:210], v[211:212]
	v_rcp_f64_e32 v[215:216], v[213:214]
	v_fma_f64 v[217:218], -v[213:214], v[215:216], 1.0
	v_fma_f64 v[215:216], v[215:216], v[217:218], v[215:216]
	v_fma_f64 v[217:218], -v[213:214], v[215:216], 1.0
	v_fma_f64 v[215:216], v[215:216], v[217:218], v[215:216]
	v_mul_f64 v[217:218], v[219:220], v[215:216]
	v_fma_f64 v[213:214], -v[213:214], v[217:218], v[219:220]
	v_div_fmas_f64 v[213:214], v[213:214], v[215:216], v[217:218]
	v_div_fixup_f64 v[215:216], v[213:214], v[209:210], v[211:212]
	v_fma_f64 v[209:210], v[211:212], v[215:216], v[209:210]
	v_div_scale_f64 v[211:212], null, v[209:210], v[209:210], 1.0
	v_rcp_f64_e32 v[213:214], v[211:212]
	v_fma_f64 v[217:218], -v[211:212], v[213:214], 1.0
	v_fma_f64 v[213:214], v[213:214], v[217:218], v[213:214]
	v_fma_f64 v[217:218], -v[211:212], v[213:214], 1.0
	v_fma_f64 v[213:214], v[213:214], v[217:218], v[213:214]
	v_div_scale_f64 v[217:218], vcc_lo, 1.0, v[209:210], 1.0
	v_mul_f64 v[219:220], v[217:218], v[213:214]
	v_fma_f64 v[211:212], -v[211:212], v[219:220], v[217:218]
	v_div_fmas_f64 v[211:212], v[211:212], v[213:214], v[219:220]
	v_div_fixup_f64 v[213:214], v[211:212], v[209:210], 1.0
	v_mul_f64 v[215:216], v[215:216], -v[213:214]
.LBB107_133:
	s_or_b32 exec_lo, exec_lo, s1
	ds_write2_b64 v255, v[213:214], v[215:216] offset1:1
.LBB107_134:
	s_or_b32 exec_lo, exec_lo, s2
	s_waitcnt lgkmcnt(0)
	s_barrier
	buffer_gl0_inv
	ds_read2_b64 v[209:212], v255 offset1:1
	s_mov_b32 s1, exec_lo
	s_waitcnt lgkmcnt(0)
	buffer_store_dword v209, off, s[16:19], 0 offset:704 ; 4-byte Folded Spill
	buffer_store_dword v210, off, s[16:19], 0 offset:708 ; 4-byte Folded Spill
	;; [unrolled: 1-line block ×4, first 2 shown]
	v_cmpx_lt_u32_e32 14, v0
	s_cbranch_execz .LBB107_136
; %bb.135:
	s_clause 0x3
	buffer_load_dword v211, off, s[16:19], 0 offset:704
	buffer_load_dword v212, off, s[16:19], 0 offset:708
	;; [unrolled: 1-line block ×4, first 2 shown]
	s_waitcnt vmcnt(0)
	v_mul_f64 v[209:210], v[213:214], v[159:160]
	v_mul_f64 v[159:160], v[211:212], v[159:160]
	v_fma_f64 v[209:210], v[211:212], v[157:158], -v[209:210]
	v_fma_f64 v[159:160], v[213:214], v[157:158], v[159:160]
	ds_read2_b64 v[211:214], v253 offset0:30 offset1:31
	s_waitcnt lgkmcnt(0)
	v_mul_f64 v[157:158], v[213:214], v[159:160]
	v_fma_f64 v[157:158], v[211:212], v[209:210], -v[157:158]
	v_mul_f64 v[211:212], v[211:212], v[159:160]
	v_add_f64 v[153:154], v[153:154], -v[157:158]
	v_fma_f64 v[211:212], v[213:214], v[209:210], v[211:212]
	v_add_f64 v[155:156], v[155:156], -v[211:212]
	ds_read2_b64 v[211:214], v253 offset0:32 offset1:33
	s_waitcnt lgkmcnt(0)
	v_mul_f64 v[157:158], v[213:214], v[159:160]
	v_fma_f64 v[157:158], v[211:212], v[209:210], -v[157:158]
	v_mul_f64 v[211:212], v[211:212], v[159:160]
	v_add_f64 v[149:150], v[149:150], -v[157:158]
	v_fma_f64 v[211:212], v[213:214], v[209:210], v[211:212]
	v_add_f64 v[151:152], v[151:152], -v[211:212]
	;; [unrolled: 8-line block ×38, first 2 shown]
	ds_read2_b64 v[211:214], v253 offset0:106 offset1:107
	s_waitcnt lgkmcnt(0)
	v_mul_f64 v[157:158], v[213:214], v[159:160]
	v_fma_f64 v[157:158], v[211:212], v[209:210], -v[157:158]
	v_mul_f64 v[211:212], v[211:212], v[159:160]
	v_add_f64 v[1:2], v[1:2], -v[157:158]
	v_fma_f64 v[211:212], v[213:214], v[209:210], v[211:212]
	v_mov_b32_e32 v157, v209
	v_mov_b32_e32 v158, v210
	v_add_f64 v[3:4], v[3:4], -v[211:212]
.LBB107_136:
	s_or_b32 exec_lo, exec_lo, s1
	s_mov_b32 s2, exec_lo
	s_waitcnt_vscnt null, 0x0
	s_barrier
	buffer_gl0_inv
	v_cmpx_eq_u32_e32 15, v0
	s_cbranch_execz .LBB107_143
; %bb.137:
	ds_write2_b64 v255, v[153:154], v[155:156] offset1:1
	ds_write2_b64 v253, v[149:150], v[151:152] offset0:32 offset1:33
	ds_write2_b64 v253, v[145:146], v[147:148] offset0:34 offset1:35
	;; [unrolled: 1-line block ×38, first 2 shown]
	ds_read2_b64 v[209:212], v255 offset1:1
	s_waitcnt lgkmcnt(0)
	v_cmp_neq_f64_e32 vcc_lo, 0, v[209:210]
	v_cmp_neq_f64_e64 s1, 0, v[211:212]
	s_or_b32 s1, vcc_lo, s1
	s_and_b32 exec_lo, exec_lo, s1
	s_cbranch_execz .LBB107_143
; %bb.138:
	v_cmp_ngt_f64_e64 s1, |v[209:210]|, |v[211:212]|
                                        ; implicit-def: $vgpr213_vgpr214
	s_and_saveexec_b32 s3, s1
	s_xor_b32 s1, exec_lo, s3
                                        ; implicit-def: $vgpr215_vgpr216
	s_cbranch_execz .LBB107_140
; %bb.139:
	v_div_scale_f64 v[213:214], null, v[211:212], v[211:212], v[209:210]
	v_div_scale_f64 v[219:220], vcc_lo, v[209:210], v[211:212], v[209:210]
	v_rcp_f64_e32 v[215:216], v[213:214]
	v_fma_f64 v[217:218], -v[213:214], v[215:216], 1.0
	v_fma_f64 v[215:216], v[215:216], v[217:218], v[215:216]
	v_fma_f64 v[217:218], -v[213:214], v[215:216], 1.0
	v_fma_f64 v[215:216], v[215:216], v[217:218], v[215:216]
	v_mul_f64 v[217:218], v[219:220], v[215:216]
	v_fma_f64 v[213:214], -v[213:214], v[217:218], v[219:220]
	v_div_fmas_f64 v[213:214], v[213:214], v[215:216], v[217:218]
	v_div_fixup_f64 v[213:214], v[213:214], v[211:212], v[209:210]
	v_fma_f64 v[209:210], v[209:210], v[213:214], v[211:212]
	v_div_scale_f64 v[211:212], null, v[209:210], v[209:210], 1.0
	v_rcp_f64_e32 v[215:216], v[211:212]
	v_fma_f64 v[217:218], -v[211:212], v[215:216], 1.0
	v_fma_f64 v[215:216], v[215:216], v[217:218], v[215:216]
	v_fma_f64 v[217:218], -v[211:212], v[215:216], 1.0
	v_fma_f64 v[215:216], v[215:216], v[217:218], v[215:216]
	v_div_scale_f64 v[217:218], vcc_lo, 1.0, v[209:210], 1.0
	v_mul_f64 v[219:220], v[217:218], v[215:216]
	v_fma_f64 v[211:212], -v[211:212], v[219:220], v[217:218]
	v_div_fmas_f64 v[211:212], v[211:212], v[215:216], v[219:220]
	v_div_fixup_f64 v[215:216], v[211:212], v[209:210], 1.0
                                        ; implicit-def: $vgpr209_vgpr210
	v_mul_f64 v[213:214], v[213:214], v[215:216]
	v_xor_b32_e32 v216, 0x80000000, v216
.LBB107_140:
	s_andn2_saveexec_b32 s1, s1
	s_cbranch_execz .LBB107_142
; %bb.141:
	v_div_scale_f64 v[213:214], null, v[209:210], v[209:210], v[211:212]
	v_div_scale_f64 v[219:220], vcc_lo, v[211:212], v[209:210], v[211:212]
	v_rcp_f64_e32 v[215:216], v[213:214]
	v_fma_f64 v[217:218], -v[213:214], v[215:216], 1.0
	v_fma_f64 v[215:216], v[215:216], v[217:218], v[215:216]
	v_fma_f64 v[217:218], -v[213:214], v[215:216], 1.0
	v_fma_f64 v[215:216], v[215:216], v[217:218], v[215:216]
	v_mul_f64 v[217:218], v[219:220], v[215:216]
	v_fma_f64 v[213:214], -v[213:214], v[217:218], v[219:220]
	v_div_fmas_f64 v[213:214], v[213:214], v[215:216], v[217:218]
	v_div_fixup_f64 v[215:216], v[213:214], v[209:210], v[211:212]
	v_fma_f64 v[209:210], v[211:212], v[215:216], v[209:210]
	v_div_scale_f64 v[211:212], null, v[209:210], v[209:210], 1.0
	v_rcp_f64_e32 v[213:214], v[211:212]
	v_fma_f64 v[217:218], -v[211:212], v[213:214], 1.0
	v_fma_f64 v[213:214], v[213:214], v[217:218], v[213:214]
	v_fma_f64 v[217:218], -v[211:212], v[213:214], 1.0
	v_fma_f64 v[213:214], v[213:214], v[217:218], v[213:214]
	v_div_scale_f64 v[217:218], vcc_lo, 1.0, v[209:210], 1.0
	v_mul_f64 v[219:220], v[217:218], v[213:214]
	v_fma_f64 v[211:212], -v[211:212], v[219:220], v[217:218]
	v_div_fmas_f64 v[211:212], v[211:212], v[213:214], v[219:220]
	v_div_fixup_f64 v[213:214], v[211:212], v[209:210], 1.0
	v_mul_f64 v[215:216], v[215:216], -v[213:214]
.LBB107_142:
	s_or_b32 exec_lo, exec_lo, s1
	ds_write2_b64 v255, v[213:214], v[215:216] offset1:1
.LBB107_143:
	s_or_b32 exec_lo, exec_lo, s2
	s_waitcnt lgkmcnt(0)
	s_barrier
	buffer_gl0_inv
	ds_read2_b64 v[209:212], v255 offset1:1
	s_mov_b32 s1, exec_lo
	s_waitcnt lgkmcnt(0)
	buffer_store_dword v209, off, s[16:19], 0 offset:720 ; 4-byte Folded Spill
	buffer_store_dword v210, off, s[16:19], 0 offset:724 ; 4-byte Folded Spill
	;; [unrolled: 1-line block ×4, first 2 shown]
	v_cmpx_lt_u32_e32 15, v0
	s_cbranch_execz .LBB107_145
; %bb.144:
	s_clause 0x3
	buffer_load_dword v211, off, s[16:19], 0 offset:720
	buffer_load_dword v212, off, s[16:19], 0 offset:724
	;; [unrolled: 1-line block ×4, first 2 shown]
	s_waitcnt vmcnt(0)
	v_mul_f64 v[209:210], v[213:214], v[155:156]
	v_mul_f64 v[155:156], v[211:212], v[155:156]
	v_fma_f64 v[209:210], v[211:212], v[153:154], -v[209:210]
	v_fma_f64 v[155:156], v[213:214], v[153:154], v[155:156]
	ds_read2_b64 v[211:214], v253 offset0:32 offset1:33
	s_waitcnt lgkmcnt(0)
	v_mul_f64 v[153:154], v[213:214], v[155:156]
	v_fma_f64 v[153:154], v[211:212], v[209:210], -v[153:154]
	v_mul_f64 v[211:212], v[211:212], v[155:156]
	v_add_f64 v[149:150], v[149:150], -v[153:154]
	v_fma_f64 v[211:212], v[213:214], v[209:210], v[211:212]
	v_add_f64 v[151:152], v[151:152], -v[211:212]
	ds_read2_b64 v[211:214], v253 offset0:34 offset1:35
	s_waitcnt lgkmcnt(0)
	v_mul_f64 v[153:154], v[213:214], v[155:156]
	v_fma_f64 v[153:154], v[211:212], v[209:210], -v[153:154]
	v_mul_f64 v[211:212], v[211:212], v[155:156]
	v_add_f64 v[145:146], v[145:146], -v[153:154]
	v_fma_f64 v[211:212], v[213:214], v[209:210], v[211:212]
	v_add_f64 v[147:148], v[147:148], -v[211:212]
	;; [unrolled: 8-line block ×37, first 2 shown]
	ds_read2_b64 v[211:214], v253 offset0:106 offset1:107
	s_waitcnt lgkmcnt(0)
	v_mul_f64 v[153:154], v[213:214], v[155:156]
	v_fma_f64 v[153:154], v[211:212], v[209:210], -v[153:154]
	v_mul_f64 v[211:212], v[211:212], v[155:156]
	v_add_f64 v[1:2], v[1:2], -v[153:154]
	v_fma_f64 v[211:212], v[213:214], v[209:210], v[211:212]
	v_mov_b32_e32 v153, v209
	v_mov_b32_e32 v154, v210
	v_add_f64 v[3:4], v[3:4], -v[211:212]
.LBB107_145:
	s_or_b32 exec_lo, exec_lo, s1
	s_mov_b32 s2, exec_lo
	s_waitcnt_vscnt null, 0x0
	s_barrier
	buffer_gl0_inv
	v_cmpx_eq_u32_e32 16, v0
	s_cbranch_execz .LBB107_152
; %bb.146:
	ds_write2_b64 v255, v[149:150], v[151:152] offset1:1
	ds_write2_b64 v253, v[145:146], v[147:148] offset0:34 offset1:35
	ds_write2_b64 v253, v[141:142], v[143:144] offset0:36 offset1:37
	ds_write2_b64 v253, v[137:138], v[139:140] offset0:38 offset1:39
	ds_write2_b64 v253, v[133:134], v[135:136] offset0:40 offset1:41
	ds_write2_b64 v253, v[129:130], v[131:132] offset0:42 offset1:43
	ds_write2_b64 v253, v[125:126], v[127:128] offset0:44 offset1:45
	ds_write2_b64 v253, v[121:122], v[123:124] offset0:46 offset1:47
	ds_write2_b64 v253, v[117:118], v[119:120] offset0:48 offset1:49
	ds_write2_b64 v253, v[113:114], v[115:116] offset0:50 offset1:51
	ds_write2_b64 v253, v[109:110], v[111:112] offset0:52 offset1:53
	ds_write2_b64 v253, v[105:106], v[107:108] offset0:54 offset1:55
	ds_write2_b64 v253, v[101:102], v[103:104] offset0:56 offset1:57
	ds_write2_b64 v253, v[97:98], v[99:100] offset0:58 offset1:59
	ds_write2_b64 v253, v[93:94], v[95:96] offset0:60 offset1:61
	ds_write2_b64 v253, v[89:90], v[91:92] offset0:62 offset1:63
	ds_write2_b64 v253, v[85:86], v[87:88] offset0:64 offset1:65
	ds_write2_b64 v253, v[81:82], v[83:84] offset0:66 offset1:67
	ds_write2_b64 v253, v[77:78], v[79:80] offset0:68 offset1:69
	ds_write2_b64 v253, v[73:74], v[75:76] offset0:70 offset1:71
	ds_write2_b64 v253, v[69:70], v[71:72] offset0:72 offset1:73
	ds_write2_b64 v253, v[65:66], v[67:68] offset0:74 offset1:75
	ds_write2_b64 v253, v[61:62], v[63:64] offset0:76 offset1:77
	ds_write2_b64 v253, v[57:58], v[59:60] offset0:78 offset1:79
	ds_write2_b64 v253, v[53:54], v[55:56] offset0:80 offset1:81
	ds_write2_b64 v253, v[49:50], v[51:52] offset0:82 offset1:83
	ds_write2_b64 v253, v[45:46], v[47:48] offset0:84 offset1:85
	ds_write2_b64 v253, v[41:42], v[43:44] offset0:86 offset1:87
	ds_write2_b64 v253, v[37:38], v[39:40] offset0:88 offset1:89
	ds_write2_b64 v253, v[33:34], v[35:36] offset0:90 offset1:91
	ds_write2_b64 v253, v[29:30], v[31:32] offset0:92 offset1:93
	ds_write2_b64 v253, v[25:26], v[27:28] offset0:94 offset1:95
	ds_write2_b64 v253, v[21:22], v[23:24] offset0:96 offset1:97
	ds_write2_b64 v253, v[17:18], v[19:20] offset0:98 offset1:99
	ds_write2_b64 v253, v[13:14], v[15:16] offset0:100 offset1:101
	ds_write2_b64 v253, v[9:10], v[11:12] offset0:102 offset1:103
	ds_write2_b64 v253, v[5:6], v[7:8] offset0:104 offset1:105
	ds_write2_b64 v253, v[1:2], v[3:4] offset0:106 offset1:107
	ds_read2_b64 v[209:212], v255 offset1:1
	s_waitcnt lgkmcnt(0)
	v_cmp_neq_f64_e32 vcc_lo, 0, v[209:210]
	v_cmp_neq_f64_e64 s1, 0, v[211:212]
	s_or_b32 s1, vcc_lo, s1
	s_and_b32 exec_lo, exec_lo, s1
	s_cbranch_execz .LBB107_152
; %bb.147:
	v_cmp_ngt_f64_e64 s1, |v[209:210]|, |v[211:212]|
                                        ; implicit-def: $vgpr213_vgpr214
	s_and_saveexec_b32 s3, s1
	s_xor_b32 s1, exec_lo, s3
                                        ; implicit-def: $vgpr215_vgpr216
	s_cbranch_execz .LBB107_149
; %bb.148:
	v_div_scale_f64 v[213:214], null, v[211:212], v[211:212], v[209:210]
	v_div_scale_f64 v[219:220], vcc_lo, v[209:210], v[211:212], v[209:210]
	v_rcp_f64_e32 v[215:216], v[213:214]
	v_fma_f64 v[217:218], -v[213:214], v[215:216], 1.0
	v_fma_f64 v[215:216], v[215:216], v[217:218], v[215:216]
	v_fma_f64 v[217:218], -v[213:214], v[215:216], 1.0
	v_fma_f64 v[215:216], v[215:216], v[217:218], v[215:216]
	v_mul_f64 v[217:218], v[219:220], v[215:216]
	v_fma_f64 v[213:214], -v[213:214], v[217:218], v[219:220]
	v_div_fmas_f64 v[213:214], v[213:214], v[215:216], v[217:218]
	v_div_fixup_f64 v[213:214], v[213:214], v[211:212], v[209:210]
	v_fma_f64 v[209:210], v[209:210], v[213:214], v[211:212]
	v_div_scale_f64 v[211:212], null, v[209:210], v[209:210], 1.0
	v_rcp_f64_e32 v[215:216], v[211:212]
	v_fma_f64 v[217:218], -v[211:212], v[215:216], 1.0
	v_fma_f64 v[215:216], v[215:216], v[217:218], v[215:216]
	v_fma_f64 v[217:218], -v[211:212], v[215:216], 1.0
	v_fma_f64 v[215:216], v[215:216], v[217:218], v[215:216]
	v_div_scale_f64 v[217:218], vcc_lo, 1.0, v[209:210], 1.0
	v_mul_f64 v[219:220], v[217:218], v[215:216]
	v_fma_f64 v[211:212], -v[211:212], v[219:220], v[217:218]
	v_div_fmas_f64 v[211:212], v[211:212], v[215:216], v[219:220]
	v_div_fixup_f64 v[215:216], v[211:212], v[209:210], 1.0
                                        ; implicit-def: $vgpr209_vgpr210
	v_mul_f64 v[213:214], v[213:214], v[215:216]
	v_xor_b32_e32 v216, 0x80000000, v216
.LBB107_149:
	s_andn2_saveexec_b32 s1, s1
	s_cbranch_execz .LBB107_151
; %bb.150:
	v_div_scale_f64 v[213:214], null, v[209:210], v[209:210], v[211:212]
	v_div_scale_f64 v[219:220], vcc_lo, v[211:212], v[209:210], v[211:212]
	v_rcp_f64_e32 v[215:216], v[213:214]
	v_fma_f64 v[217:218], -v[213:214], v[215:216], 1.0
	v_fma_f64 v[215:216], v[215:216], v[217:218], v[215:216]
	v_fma_f64 v[217:218], -v[213:214], v[215:216], 1.0
	v_fma_f64 v[215:216], v[215:216], v[217:218], v[215:216]
	v_mul_f64 v[217:218], v[219:220], v[215:216]
	v_fma_f64 v[213:214], -v[213:214], v[217:218], v[219:220]
	v_div_fmas_f64 v[213:214], v[213:214], v[215:216], v[217:218]
	v_div_fixup_f64 v[215:216], v[213:214], v[209:210], v[211:212]
	v_fma_f64 v[209:210], v[211:212], v[215:216], v[209:210]
	v_div_scale_f64 v[211:212], null, v[209:210], v[209:210], 1.0
	v_rcp_f64_e32 v[213:214], v[211:212]
	v_fma_f64 v[217:218], -v[211:212], v[213:214], 1.0
	v_fma_f64 v[213:214], v[213:214], v[217:218], v[213:214]
	v_fma_f64 v[217:218], -v[211:212], v[213:214], 1.0
	v_fma_f64 v[213:214], v[213:214], v[217:218], v[213:214]
	v_div_scale_f64 v[217:218], vcc_lo, 1.0, v[209:210], 1.0
	v_mul_f64 v[219:220], v[217:218], v[213:214]
	v_fma_f64 v[211:212], -v[211:212], v[219:220], v[217:218]
	v_div_fmas_f64 v[211:212], v[211:212], v[213:214], v[219:220]
	v_div_fixup_f64 v[213:214], v[211:212], v[209:210], 1.0
	v_mul_f64 v[215:216], v[215:216], -v[213:214]
.LBB107_151:
	s_or_b32 exec_lo, exec_lo, s1
	ds_write2_b64 v255, v[213:214], v[215:216] offset1:1
.LBB107_152:
	s_or_b32 exec_lo, exec_lo, s2
	s_waitcnt lgkmcnt(0)
	s_barrier
	buffer_gl0_inv
	ds_read2_b64 v[209:212], v255 offset1:1
	s_mov_b32 s1, exec_lo
	s_waitcnt lgkmcnt(0)
	buffer_store_dword v209, off, s[16:19], 0 offset:736 ; 4-byte Folded Spill
	buffer_store_dword v210, off, s[16:19], 0 offset:740 ; 4-byte Folded Spill
	;; [unrolled: 1-line block ×4, first 2 shown]
	v_cmpx_lt_u32_e32 16, v0
	s_cbranch_execz .LBB107_154
; %bb.153:
	s_clause 0x3
	buffer_load_dword v211, off, s[16:19], 0 offset:736
	buffer_load_dword v212, off, s[16:19], 0 offset:740
	;; [unrolled: 1-line block ×4, first 2 shown]
	s_waitcnt vmcnt(0)
	v_mul_f64 v[209:210], v[213:214], v[151:152]
	v_mul_f64 v[151:152], v[211:212], v[151:152]
	v_fma_f64 v[209:210], v[211:212], v[149:150], -v[209:210]
	v_fma_f64 v[151:152], v[213:214], v[149:150], v[151:152]
	ds_read2_b64 v[211:214], v253 offset0:34 offset1:35
	s_waitcnt lgkmcnt(0)
	v_mul_f64 v[149:150], v[213:214], v[151:152]
	v_fma_f64 v[149:150], v[211:212], v[209:210], -v[149:150]
	v_mul_f64 v[211:212], v[211:212], v[151:152]
	v_add_f64 v[145:146], v[145:146], -v[149:150]
	v_fma_f64 v[211:212], v[213:214], v[209:210], v[211:212]
	v_add_f64 v[147:148], v[147:148], -v[211:212]
	ds_read2_b64 v[211:214], v253 offset0:36 offset1:37
	s_waitcnt lgkmcnt(0)
	v_mul_f64 v[149:150], v[213:214], v[151:152]
	v_fma_f64 v[149:150], v[211:212], v[209:210], -v[149:150]
	v_mul_f64 v[211:212], v[211:212], v[151:152]
	v_add_f64 v[141:142], v[141:142], -v[149:150]
	v_fma_f64 v[211:212], v[213:214], v[209:210], v[211:212]
	v_add_f64 v[143:144], v[143:144], -v[211:212]
	;; [unrolled: 8-line block ×36, first 2 shown]
	ds_read2_b64 v[211:214], v253 offset0:106 offset1:107
	s_waitcnt lgkmcnt(0)
	v_mul_f64 v[149:150], v[213:214], v[151:152]
	v_fma_f64 v[149:150], v[211:212], v[209:210], -v[149:150]
	v_mul_f64 v[211:212], v[211:212], v[151:152]
	v_add_f64 v[1:2], v[1:2], -v[149:150]
	v_fma_f64 v[211:212], v[213:214], v[209:210], v[211:212]
	v_mov_b32_e32 v149, v209
	v_mov_b32_e32 v150, v210
	v_add_f64 v[3:4], v[3:4], -v[211:212]
.LBB107_154:
	s_or_b32 exec_lo, exec_lo, s1
	s_mov_b32 s2, exec_lo
	s_waitcnt_vscnt null, 0x0
	s_barrier
	buffer_gl0_inv
	v_cmpx_eq_u32_e32 17, v0
	s_cbranch_execz .LBB107_161
; %bb.155:
	ds_write2_b64 v255, v[145:146], v[147:148] offset1:1
	ds_write2_b64 v253, v[141:142], v[143:144] offset0:36 offset1:37
	ds_write2_b64 v253, v[137:138], v[139:140] offset0:38 offset1:39
	ds_write2_b64 v253, v[133:134], v[135:136] offset0:40 offset1:41
	ds_write2_b64 v253, v[129:130], v[131:132] offset0:42 offset1:43
	ds_write2_b64 v253, v[125:126], v[127:128] offset0:44 offset1:45
	ds_write2_b64 v253, v[121:122], v[123:124] offset0:46 offset1:47
	ds_write2_b64 v253, v[117:118], v[119:120] offset0:48 offset1:49
	ds_write2_b64 v253, v[113:114], v[115:116] offset0:50 offset1:51
	ds_write2_b64 v253, v[109:110], v[111:112] offset0:52 offset1:53
	ds_write2_b64 v253, v[105:106], v[107:108] offset0:54 offset1:55
	ds_write2_b64 v253, v[101:102], v[103:104] offset0:56 offset1:57
	ds_write2_b64 v253, v[97:98], v[99:100] offset0:58 offset1:59
	ds_write2_b64 v253, v[93:94], v[95:96] offset0:60 offset1:61
	ds_write2_b64 v253, v[89:90], v[91:92] offset0:62 offset1:63
	ds_write2_b64 v253, v[85:86], v[87:88] offset0:64 offset1:65
	ds_write2_b64 v253, v[81:82], v[83:84] offset0:66 offset1:67
	ds_write2_b64 v253, v[77:78], v[79:80] offset0:68 offset1:69
	ds_write2_b64 v253, v[73:74], v[75:76] offset0:70 offset1:71
	ds_write2_b64 v253, v[69:70], v[71:72] offset0:72 offset1:73
	ds_write2_b64 v253, v[65:66], v[67:68] offset0:74 offset1:75
	ds_write2_b64 v253, v[61:62], v[63:64] offset0:76 offset1:77
	ds_write2_b64 v253, v[57:58], v[59:60] offset0:78 offset1:79
	ds_write2_b64 v253, v[53:54], v[55:56] offset0:80 offset1:81
	ds_write2_b64 v253, v[49:50], v[51:52] offset0:82 offset1:83
	ds_write2_b64 v253, v[45:46], v[47:48] offset0:84 offset1:85
	ds_write2_b64 v253, v[41:42], v[43:44] offset0:86 offset1:87
	ds_write2_b64 v253, v[37:38], v[39:40] offset0:88 offset1:89
	ds_write2_b64 v253, v[33:34], v[35:36] offset0:90 offset1:91
	ds_write2_b64 v253, v[29:30], v[31:32] offset0:92 offset1:93
	ds_write2_b64 v253, v[25:26], v[27:28] offset0:94 offset1:95
	ds_write2_b64 v253, v[21:22], v[23:24] offset0:96 offset1:97
	ds_write2_b64 v253, v[17:18], v[19:20] offset0:98 offset1:99
	ds_write2_b64 v253, v[13:14], v[15:16] offset0:100 offset1:101
	ds_write2_b64 v253, v[9:10], v[11:12] offset0:102 offset1:103
	ds_write2_b64 v253, v[5:6], v[7:8] offset0:104 offset1:105
	ds_write2_b64 v253, v[1:2], v[3:4] offset0:106 offset1:107
	ds_read2_b64 v[209:212], v255 offset1:1
	s_waitcnt lgkmcnt(0)
	v_cmp_neq_f64_e32 vcc_lo, 0, v[209:210]
	v_cmp_neq_f64_e64 s1, 0, v[211:212]
	s_or_b32 s1, vcc_lo, s1
	s_and_b32 exec_lo, exec_lo, s1
	s_cbranch_execz .LBB107_161
; %bb.156:
	v_cmp_ngt_f64_e64 s1, |v[209:210]|, |v[211:212]|
                                        ; implicit-def: $vgpr213_vgpr214
	s_and_saveexec_b32 s3, s1
	s_xor_b32 s1, exec_lo, s3
                                        ; implicit-def: $vgpr215_vgpr216
	s_cbranch_execz .LBB107_158
; %bb.157:
	v_div_scale_f64 v[213:214], null, v[211:212], v[211:212], v[209:210]
	v_div_scale_f64 v[219:220], vcc_lo, v[209:210], v[211:212], v[209:210]
	v_rcp_f64_e32 v[215:216], v[213:214]
	v_fma_f64 v[217:218], -v[213:214], v[215:216], 1.0
	v_fma_f64 v[215:216], v[215:216], v[217:218], v[215:216]
	v_fma_f64 v[217:218], -v[213:214], v[215:216], 1.0
	v_fma_f64 v[215:216], v[215:216], v[217:218], v[215:216]
	v_mul_f64 v[217:218], v[219:220], v[215:216]
	v_fma_f64 v[213:214], -v[213:214], v[217:218], v[219:220]
	v_div_fmas_f64 v[213:214], v[213:214], v[215:216], v[217:218]
	v_div_fixup_f64 v[213:214], v[213:214], v[211:212], v[209:210]
	v_fma_f64 v[209:210], v[209:210], v[213:214], v[211:212]
	v_div_scale_f64 v[211:212], null, v[209:210], v[209:210], 1.0
	v_rcp_f64_e32 v[215:216], v[211:212]
	v_fma_f64 v[217:218], -v[211:212], v[215:216], 1.0
	v_fma_f64 v[215:216], v[215:216], v[217:218], v[215:216]
	v_fma_f64 v[217:218], -v[211:212], v[215:216], 1.0
	v_fma_f64 v[215:216], v[215:216], v[217:218], v[215:216]
	v_div_scale_f64 v[217:218], vcc_lo, 1.0, v[209:210], 1.0
	v_mul_f64 v[219:220], v[217:218], v[215:216]
	v_fma_f64 v[211:212], -v[211:212], v[219:220], v[217:218]
	v_div_fmas_f64 v[211:212], v[211:212], v[215:216], v[219:220]
	v_div_fixup_f64 v[215:216], v[211:212], v[209:210], 1.0
                                        ; implicit-def: $vgpr209_vgpr210
	v_mul_f64 v[213:214], v[213:214], v[215:216]
	v_xor_b32_e32 v216, 0x80000000, v216
.LBB107_158:
	s_andn2_saveexec_b32 s1, s1
	s_cbranch_execz .LBB107_160
; %bb.159:
	v_div_scale_f64 v[213:214], null, v[209:210], v[209:210], v[211:212]
	v_div_scale_f64 v[219:220], vcc_lo, v[211:212], v[209:210], v[211:212]
	v_rcp_f64_e32 v[215:216], v[213:214]
	v_fma_f64 v[217:218], -v[213:214], v[215:216], 1.0
	v_fma_f64 v[215:216], v[215:216], v[217:218], v[215:216]
	v_fma_f64 v[217:218], -v[213:214], v[215:216], 1.0
	v_fma_f64 v[215:216], v[215:216], v[217:218], v[215:216]
	v_mul_f64 v[217:218], v[219:220], v[215:216]
	v_fma_f64 v[213:214], -v[213:214], v[217:218], v[219:220]
	v_div_fmas_f64 v[213:214], v[213:214], v[215:216], v[217:218]
	v_div_fixup_f64 v[215:216], v[213:214], v[209:210], v[211:212]
	v_fma_f64 v[209:210], v[211:212], v[215:216], v[209:210]
	v_div_scale_f64 v[211:212], null, v[209:210], v[209:210], 1.0
	v_rcp_f64_e32 v[213:214], v[211:212]
	v_fma_f64 v[217:218], -v[211:212], v[213:214], 1.0
	v_fma_f64 v[213:214], v[213:214], v[217:218], v[213:214]
	v_fma_f64 v[217:218], -v[211:212], v[213:214], 1.0
	v_fma_f64 v[213:214], v[213:214], v[217:218], v[213:214]
	v_div_scale_f64 v[217:218], vcc_lo, 1.0, v[209:210], 1.0
	v_mul_f64 v[219:220], v[217:218], v[213:214]
	v_fma_f64 v[211:212], -v[211:212], v[219:220], v[217:218]
	v_div_fmas_f64 v[211:212], v[211:212], v[213:214], v[219:220]
	v_div_fixup_f64 v[213:214], v[211:212], v[209:210], 1.0
	v_mul_f64 v[215:216], v[215:216], -v[213:214]
.LBB107_160:
	s_or_b32 exec_lo, exec_lo, s1
	ds_write2_b64 v255, v[213:214], v[215:216] offset1:1
.LBB107_161:
	s_or_b32 exec_lo, exec_lo, s2
	s_waitcnt lgkmcnt(0)
	s_barrier
	buffer_gl0_inv
	ds_read2_b64 v[209:212], v255 offset1:1
	s_mov_b32 s1, exec_lo
	s_waitcnt lgkmcnt(0)
	buffer_store_dword v209, off, s[16:19], 0 offset:752 ; 4-byte Folded Spill
	buffer_store_dword v210, off, s[16:19], 0 offset:756 ; 4-byte Folded Spill
	;; [unrolled: 1-line block ×4, first 2 shown]
	v_cmpx_lt_u32_e32 17, v0
	s_cbranch_execz .LBB107_163
; %bb.162:
	s_clause 0x3
	buffer_load_dword v211, off, s[16:19], 0 offset:752
	buffer_load_dword v212, off, s[16:19], 0 offset:756
	;; [unrolled: 1-line block ×4, first 2 shown]
	s_waitcnt vmcnt(0)
	v_mul_f64 v[209:210], v[213:214], v[147:148]
	v_mul_f64 v[147:148], v[211:212], v[147:148]
	v_fma_f64 v[209:210], v[211:212], v[145:146], -v[209:210]
	v_fma_f64 v[147:148], v[213:214], v[145:146], v[147:148]
	ds_read2_b64 v[211:214], v253 offset0:36 offset1:37
	s_waitcnt lgkmcnt(0)
	v_mul_f64 v[145:146], v[213:214], v[147:148]
	v_fma_f64 v[145:146], v[211:212], v[209:210], -v[145:146]
	v_mul_f64 v[211:212], v[211:212], v[147:148]
	v_add_f64 v[141:142], v[141:142], -v[145:146]
	v_fma_f64 v[211:212], v[213:214], v[209:210], v[211:212]
	v_add_f64 v[143:144], v[143:144], -v[211:212]
	ds_read2_b64 v[211:214], v253 offset0:38 offset1:39
	s_waitcnt lgkmcnt(0)
	v_mul_f64 v[145:146], v[213:214], v[147:148]
	v_fma_f64 v[145:146], v[211:212], v[209:210], -v[145:146]
	v_mul_f64 v[211:212], v[211:212], v[147:148]
	v_add_f64 v[137:138], v[137:138], -v[145:146]
	v_fma_f64 v[211:212], v[213:214], v[209:210], v[211:212]
	v_add_f64 v[139:140], v[139:140], -v[211:212]
	;; [unrolled: 8-line block ×35, first 2 shown]
	ds_read2_b64 v[211:214], v253 offset0:106 offset1:107
	s_waitcnt lgkmcnt(0)
	v_mul_f64 v[145:146], v[213:214], v[147:148]
	v_fma_f64 v[145:146], v[211:212], v[209:210], -v[145:146]
	v_mul_f64 v[211:212], v[211:212], v[147:148]
	v_add_f64 v[1:2], v[1:2], -v[145:146]
	v_fma_f64 v[211:212], v[213:214], v[209:210], v[211:212]
	v_mov_b32_e32 v145, v209
	v_mov_b32_e32 v146, v210
	v_add_f64 v[3:4], v[3:4], -v[211:212]
.LBB107_163:
	s_or_b32 exec_lo, exec_lo, s1
	s_mov_b32 s2, exec_lo
	s_waitcnt_vscnt null, 0x0
	s_barrier
	buffer_gl0_inv
	v_cmpx_eq_u32_e32 18, v0
	s_cbranch_execz .LBB107_170
; %bb.164:
	ds_write2_b64 v255, v[141:142], v[143:144] offset1:1
	ds_write2_b64 v253, v[137:138], v[139:140] offset0:38 offset1:39
	ds_write2_b64 v253, v[133:134], v[135:136] offset0:40 offset1:41
	;; [unrolled: 1-line block ×35, first 2 shown]
	ds_read2_b64 v[209:212], v255 offset1:1
	s_waitcnt lgkmcnt(0)
	v_cmp_neq_f64_e32 vcc_lo, 0, v[209:210]
	v_cmp_neq_f64_e64 s1, 0, v[211:212]
	s_or_b32 s1, vcc_lo, s1
	s_and_b32 exec_lo, exec_lo, s1
	s_cbranch_execz .LBB107_170
; %bb.165:
	v_cmp_ngt_f64_e64 s1, |v[209:210]|, |v[211:212]|
                                        ; implicit-def: $vgpr213_vgpr214
	s_and_saveexec_b32 s3, s1
	s_xor_b32 s1, exec_lo, s3
                                        ; implicit-def: $vgpr215_vgpr216
	s_cbranch_execz .LBB107_167
; %bb.166:
	v_div_scale_f64 v[213:214], null, v[211:212], v[211:212], v[209:210]
	v_div_scale_f64 v[219:220], vcc_lo, v[209:210], v[211:212], v[209:210]
	v_rcp_f64_e32 v[215:216], v[213:214]
	v_fma_f64 v[217:218], -v[213:214], v[215:216], 1.0
	v_fma_f64 v[215:216], v[215:216], v[217:218], v[215:216]
	v_fma_f64 v[217:218], -v[213:214], v[215:216], 1.0
	v_fma_f64 v[215:216], v[215:216], v[217:218], v[215:216]
	v_mul_f64 v[217:218], v[219:220], v[215:216]
	v_fma_f64 v[213:214], -v[213:214], v[217:218], v[219:220]
	v_div_fmas_f64 v[213:214], v[213:214], v[215:216], v[217:218]
	v_div_fixup_f64 v[213:214], v[213:214], v[211:212], v[209:210]
	v_fma_f64 v[209:210], v[209:210], v[213:214], v[211:212]
	v_div_scale_f64 v[211:212], null, v[209:210], v[209:210], 1.0
	v_rcp_f64_e32 v[215:216], v[211:212]
	v_fma_f64 v[217:218], -v[211:212], v[215:216], 1.0
	v_fma_f64 v[215:216], v[215:216], v[217:218], v[215:216]
	v_fma_f64 v[217:218], -v[211:212], v[215:216], 1.0
	v_fma_f64 v[215:216], v[215:216], v[217:218], v[215:216]
	v_div_scale_f64 v[217:218], vcc_lo, 1.0, v[209:210], 1.0
	v_mul_f64 v[219:220], v[217:218], v[215:216]
	v_fma_f64 v[211:212], -v[211:212], v[219:220], v[217:218]
	v_div_fmas_f64 v[211:212], v[211:212], v[215:216], v[219:220]
	v_div_fixup_f64 v[215:216], v[211:212], v[209:210], 1.0
                                        ; implicit-def: $vgpr209_vgpr210
	v_mul_f64 v[213:214], v[213:214], v[215:216]
	v_xor_b32_e32 v216, 0x80000000, v216
.LBB107_167:
	s_andn2_saveexec_b32 s1, s1
	s_cbranch_execz .LBB107_169
; %bb.168:
	v_div_scale_f64 v[213:214], null, v[209:210], v[209:210], v[211:212]
	v_div_scale_f64 v[219:220], vcc_lo, v[211:212], v[209:210], v[211:212]
	v_rcp_f64_e32 v[215:216], v[213:214]
	v_fma_f64 v[217:218], -v[213:214], v[215:216], 1.0
	v_fma_f64 v[215:216], v[215:216], v[217:218], v[215:216]
	v_fma_f64 v[217:218], -v[213:214], v[215:216], 1.0
	v_fma_f64 v[215:216], v[215:216], v[217:218], v[215:216]
	v_mul_f64 v[217:218], v[219:220], v[215:216]
	v_fma_f64 v[213:214], -v[213:214], v[217:218], v[219:220]
	v_div_fmas_f64 v[213:214], v[213:214], v[215:216], v[217:218]
	v_div_fixup_f64 v[215:216], v[213:214], v[209:210], v[211:212]
	v_fma_f64 v[209:210], v[211:212], v[215:216], v[209:210]
	v_div_scale_f64 v[211:212], null, v[209:210], v[209:210], 1.0
	v_rcp_f64_e32 v[213:214], v[211:212]
	v_fma_f64 v[217:218], -v[211:212], v[213:214], 1.0
	v_fma_f64 v[213:214], v[213:214], v[217:218], v[213:214]
	v_fma_f64 v[217:218], -v[211:212], v[213:214], 1.0
	v_fma_f64 v[213:214], v[213:214], v[217:218], v[213:214]
	v_div_scale_f64 v[217:218], vcc_lo, 1.0, v[209:210], 1.0
	v_mul_f64 v[219:220], v[217:218], v[213:214]
	v_fma_f64 v[211:212], -v[211:212], v[219:220], v[217:218]
	v_div_fmas_f64 v[211:212], v[211:212], v[213:214], v[219:220]
	v_div_fixup_f64 v[213:214], v[211:212], v[209:210], 1.0
	v_mul_f64 v[215:216], v[215:216], -v[213:214]
.LBB107_169:
	s_or_b32 exec_lo, exec_lo, s1
	ds_write2_b64 v255, v[213:214], v[215:216] offset1:1
.LBB107_170:
	s_or_b32 exec_lo, exec_lo, s2
	s_waitcnt lgkmcnt(0)
	s_barrier
	buffer_gl0_inv
	ds_read2_b64 v[209:212], v255 offset1:1
	s_mov_b32 s1, exec_lo
	s_waitcnt lgkmcnt(0)
	buffer_store_dword v209, off, s[16:19], 0 offset:768 ; 4-byte Folded Spill
	buffer_store_dword v210, off, s[16:19], 0 offset:772 ; 4-byte Folded Spill
	;; [unrolled: 1-line block ×4, first 2 shown]
	v_cmpx_lt_u32_e32 18, v0
	s_cbranch_execz .LBB107_172
; %bb.171:
	s_clause 0x3
	buffer_load_dword v211, off, s[16:19], 0 offset:768
	buffer_load_dword v212, off, s[16:19], 0 offset:772
	;; [unrolled: 1-line block ×4, first 2 shown]
	s_waitcnt vmcnt(0)
	v_mul_f64 v[209:210], v[213:214], v[143:144]
	v_mul_f64 v[143:144], v[211:212], v[143:144]
	v_fma_f64 v[209:210], v[211:212], v[141:142], -v[209:210]
	v_fma_f64 v[143:144], v[213:214], v[141:142], v[143:144]
	ds_read2_b64 v[211:214], v253 offset0:38 offset1:39
	s_waitcnt lgkmcnt(0)
	v_mul_f64 v[141:142], v[213:214], v[143:144]
	v_fma_f64 v[141:142], v[211:212], v[209:210], -v[141:142]
	v_mul_f64 v[211:212], v[211:212], v[143:144]
	v_add_f64 v[137:138], v[137:138], -v[141:142]
	v_fma_f64 v[211:212], v[213:214], v[209:210], v[211:212]
	v_add_f64 v[139:140], v[139:140], -v[211:212]
	ds_read2_b64 v[211:214], v253 offset0:40 offset1:41
	s_waitcnt lgkmcnt(0)
	v_mul_f64 v[141:142], v[213:214], v[143:144]
	v_fma_f64 v[141:142], v[211:212], v[209:210], -v[141:142]
	v_mul_f64 v[211:212], v[211:212], v[143:144]
	v_add_f64 v[133:134], v[133:134], -v[141:142]
	v_fma_f64 v[211:212], v[213:214], v[209:210], v[211:212]
	v_add_f64 v[135:136], v[135:136], -v[211:212]
	;; [unrolled: 8-line block ×34, first 2 shown]
	ds_read2_b64 v[211:214], v253 offset0:106 offset1:107
	s_waitcnt lgkmcnt(0)
	v_mul_f64 v[141:142], v[213:214], v[143:144]
	v_fma_f64 v[141:142], v[211:212], v[209:210], -v[141:142]
	v_mul_f64 v[211:212], v[211:212], v[143:144]
	v_add_f64 v[1:2], v[1:2], -v[141:142]
	v_fma_f64 v[211:212], v[213:214], v[209:210], v[211:212]
	v_mov_b32_e32 v141, v209
	v_mov_b32_e32 v142, v210
	v_add_f64 v[3:4], v[3:4], -v[211:212]
.LBB107_172:
	s_or_b32 exec_lo, exec_lo, s1
	s_mov_b32 s2, exec_lo
	s_waitcnt_vscnt null, 0x0
	s_barrier
	buffer_gl0_inv
	v_cmpx_eq_u32_e32 19, v0
	s_cbranch_execz .LBB107_179
; %bb.173:
	ds_write2_b64 v255, v[137:138], v[139:140] offset1:1
	ds_write2_b64 v253, v[133:134], v[135:136] offset0:40 offset1:41
	ds_write2_b64 v253, v[129:130], v[131:132] offset0:42 offset1:43
	;; [unrolled: 1-line block ×34, first 2 shown]
	ds_read2_b64 v[209:212], v255 offset1:1
	s_waitcnt lgkmcnt(0)
	v_cmp_neq_f64_e32 vcc_lo, 0, v[209:210]
	v_cmp_neq_f64_e64 s1, 0, v[211:212]
	s_or_b32 s1, vcc_lo, s1
	s_and_b32 exec_lo, exec_lo, s1
	s_cbranch_execz .LBB107_179
; %bb.174:
	v_cmp_ngt_f64_e64 s1, |v[209:210]|, |v[211:212]|
                                        ; implicit-def: $vgpr213_vgpr214
	s_and_saveexec_b32 s3, s1
	s_xor_b32 s1, exec_lo, s3
                                        ; implicit-def: $vgpr215_vgpr216
	s_cbranch_execz .LBB107_176
; %bb.175:
	v_div_scale_f64 v[213:214], null, v[211:212], v[211:212], v[209:210]
	v_div_scale_f64 v[219:220], vcc_lo, v[209:210], v[211:212], v[209:210]
	v_rcp_f64_e32 v[215:216], v[213:214]
	v_fma_f64 v[217:218], -v[213:214], v[215:216], 1.0
	v_fma_f64 v[215:216], v[215:216], v[217:218], v[215:216]
	v_fma_f64 v[217:218], -v[213:214], v[215:216], 1.0
	v_fma_f64 v[215:216], v[215:216], v[217:218], v[215:216]
	v_mul_f64 v[217:218], v[219:220], v[215:216]
	v_fma_f64 v[213:214], -v[213:214], v[217:218], v[219:220]
	v_div_fmas_f64 v[213:214], v[213:214], v[215:216], v[217:218]
	v_div_fixup_f64 v[213:214], v[213:214], v[211:212], v[209:210]
	v_fma_f64 v[209:210], v[209:210], v[213:214], v[211:212]
	v_div_scale_f64 v[211:212], null, v[209:210], v[209:210], 1.0
	v_rcp_f64_e32 v[215:216], v[211:212]
	v_fma_f64 v[217:218], -v[211:212], v[215:216], 1.0
	v_fma_f64 v[215:216], v[215:216], v[217:218], v[215:216]
	v_fma_f64 v[217:218], -v[211:212], v[215:216], 1.0
	v_fma_f64 v[215:216], v[215:216], v[217:218], v[215:216]
	v_div_scale_f64 v[217:218], vcc_lo, 1.0, v[209:210], 1.0
	v_mul_f64 v[219:220], v[217:218], v[215:216]
	v_fma_f64 v[211:212], -v[211:212], v[219:220], v[217:218]
	v_div_fmas_f64 v[211:212], v[211:212], v[215:216], v[219:220]
	v_div_fixup_f64 v[215:216], v[211:212], v[209:210], 1.0
                                        ; implicit-def: $vgpr209_vgpr210
	v_mul_f64 v[213:214], v[213:214], v[215:216]
	v_xor_b32_e32 v216, 0x80000000, v216
.LBB107_176:
	s_andn2_saveexec_b32 s1, s1
	s_cbranch_execz .LBB107_178
; %bb.177:
	v_div_scale_f64 v[213:214], null, v[209:210], v[209:210], v[211:212]
	v_div_scale_f64 v[219:220], vcc_lo, v[211:212], v[209:210], v[211:212]
	v_rcp_f64_e32 v[215:216], v[213:214]
	v_fma_f64 v[217:218], -v[213:214], v[215:216], 1.0
	v_fma_f64 v[215:216], v[215:216], v[217:218], v[215:216]
	v_fma_f64 v[217:218], -v[213:214], v[215:216], 1.0
	v_fma_f64 v[215:216], v[215:216], v[217:218], v[215:216]
	v_mul_f64 v[217:218], v[219:220], v[215:216]
	v_fma_f64 v[213:214], -v[213:214], v[217:218], v[219:220]
	v_div_fmas_f64 v[213:214], v[213:214], v[215:216], v[217:218]
	v_div_fixup_f64 v[215:216], v[213:214], v[209:210], v[211:212]
	v_fma_f64 v[209:210], v[211:212], v[215:216], v[209:210]
	v_div_scale_f64 v[211:212], null, v[209:210], v[209:210], 1.0
	v_rcp_f64_e32 v[213:214], v[211:212]
	v_fma_f64 v[217:218], -v[211:212], v[213:214], 1.0
	v_fma_f64 v[213:214], v[213:214], v[217:218], v[213:214]
	v_fma_f64 v[217:218], -v[211:212], v[213:214], 1.0
	v_fma_f64 v[213:214], v[213:214], v[217:218], v[213:214]
	v_div_scale_f64 v[217:218], vcc_lo, 1.0, v[209:210], 1.0
	v_mul_f64 v[219:220], v[217:218], v[213:214]
	v_fma_f64 v[211:212], -v[211:212], v[219:220], v[217:218]
	v_div_fmas_f64 v[211:212], v[211:212], v[213:214], v[219:220]
	v_div_fixup_f64 v[213:214], v[211:212], v[209:210], 1.0
	v_mul_f64 v[215:216], v[215:216], -v[213:214]
.LBB107_178:
	s_or_b32 exec_lo, exec_lo, s1
	ds_write2_b64 v255, v[213:214], v[215:216] offset1:1
.LBB107_179:
	s_or_b32 exec_lo, exec_lo, s2
	s_waitcnt lgkmcnt(0)
	s_barrier
	buffer_gl0_inv
	ds_read2_b64 v[209:212], v255 offset1:1
	s_mov_b32 s1, exec_lo
	s_waitcnt lgkmcnt(0)
	buffer_store_dword v209, off, s[16:19], 0 offset:784 ; 4-byte Folded Spill
	buffer_store_dword v210, off, s[16:19], 0 offset:788 ; 4-byte Folded Spill
	;; [unrolled: 1-line block ×4, first 2 shown]
	v_cmpx_lt_u32_e32 19, v0
	s_cbranch_execz .LBB107_181
; %bb.180:
	s_clause 0x3
	buffer_load_dword v211, off, s[16:19], 0 offset:784
	buffer_load_dword v212, off, s[16:19], 0 offset:788
	;; [unrolled: 1-line block ×4, first 2 shown]
	s_waitcnt vmcnt(0)
	v_mul_f64 v[209:210], v[213:214], v[139:140]
	v_mul_f64 v[139:140], v[211:212], v[139:140]
	v_fma_f64 v[209:210], v[211:212], v[137:138], -v[209:210]
	v_fma_f64 v[139:140], v[213:214], v[137:138], v[139:140]
	ds_read2_b64 v[211:214], v253 offset0:40 offset1:41
	s_waitcnt lgkmcnt(0)
	v_mul_f64 v[137:138], v[213:214], v[139:140]
	v_fma_f64 v[137:138], v[211:212], v[209:210], -v[137:138]
	v_mul_f64 v[211:212], v[211:212], v[139:140]
	v_add_f64 v[133:134], v[133:134], -v[137:138]
	v_fma_f64 v[211:212], v[213:214], v[209:210], v[211:212]
	v_add_f64 v[135:136], v[135:136], -v[211:212]
	ds_read2_b64 v[211:214], v253 offset0:42 offset1:43
	s_waitcnt lgkmcnt(0)
	v_mul_f64 v[137:138], v[213:214], v[139:140]
	v_fma_f64 v[137:138], v[211:212], v[209:210], -v[137:138]
	v_mul_f64 v[211:212], v[211:212], v[139:140]
	v_add_f64 v[129:130], v[129:130], -v[137:138]
	v_fma_f64 v[211:212], v[213:214], v[209:210], v[211:212]
	v_add_f64 v[131:132], v[131:132], -v[211:212]
	;; [unrolled: 8-line block ×33, first 2 shown]
	ds_read2_b64 v[211:214], v253 offset0:106 offset1:107
	s_waitcnt lgkmcnt(0)
	v_mul_f64 v[137:138], v[213:214], v[139:140]
	v_fma_f64 v[137:138], v[211:212], v[209:210], -v[137:138]
	v_mul_f64 v[211:212], v[211:212], v[139:140]
	v_add_f64 v[1:2], v[1:2], -v[137:138]
	v_fma_f64 v[211:212], v[213:214], v[209:210], v[211:212]
	v_mov_b32_e32 v137, v209
	v_mov_b32_e32 v138, v210
	v_add_f64 v[3:4], v[3:4], -v[211:212]
.LBB107_181:
	s_or_b32 exec_lo, exec_lo, s1
	s_mov_b32 s2, exec_lo
	s_waitcnt_vscnt null, 0x0
	s_barrier
	buffer_gl0_inv
	v_cmpx_eq_u32_e32 20, v0
	s_cbranch_execz .LBB107_188
; %bb.182:
	ds_write2_b64 v255, v[133:134], v[135:136] offset1:1
	ds_write2_b64 v253, v[129:130], v[131:132] offset0:42 offset1:43
	ds_write2_b64 v253, v[125:126], v[127:128] offset0:44 offset1:45
	;; [unrolled: 1-line block ×33, first 2 shown]
	ds_read2_b64 v[209:212], v255 offset1:1
	s_waitcnt lgkmcnt(0)
	v_cmp_neq_f64_e32 vcc_lo, 0, v[209:210]
	v_cmp_neq_f64_e64 s1, 0, v[211:212]
	s_or_b32 s1, vcc_lo, s1
	s_and_b32 exec_lo, exec_lo, s1
	s_cbranch_execz .LBB107_188
; %bb.183:
	v_cmp_ngt_f64_e64 s1, |v[209:210]|, |v[211:212]|
                                        ; implicit-def: $vgpr213_vgpr214
	s_and_saveexec_b32 s3, s1
	s_xor_b32 s1, exec_lo, s3
                                        ; implicit-def: $vgpr215_vgpr216
	s_cbranch_execz .LBB107_185
; %bb.184:
	v_div_scale_f64 v[213:214], null, v[211:212], v[211:212], v[209:210]
	v_div_scale_f64 v[219:220], vcc_lo, v[209:210], v[211:212], v[209:210]
	v_rcp_f64_e32 v[215:216], v[213:214]
	v_fma_f64 v[217:218], -v[213:214], v[215:216], 1.0
	v_fma_f64 v[215:216], v[215:216], v[217:218], v[215:216]
	v_fma_f64 v[217:218], -v[213:214], v[215:216], 1.0
	v_fma_f64 v[215:216], v[215:216], v[217:218], v[215:216]
	v_mul_f64 v[217:218], v[219:220], v[215:216]
	v_fma_f64 v[213:214], -v[213:214], v[217:218], v[219:220]
	v_div_fmas_f64 v[213:214], v[213:214], v[215:216], v[217:218]
	v_div_fixup_f64 v[213:214], v[213:214], v[211:212], v[209:210]
	v_fma_f64 v[209:210], v[209:210], v[213:214], v[211:212]
	v_div_scale_f64 v[211:212], null, v[209:210], v[209:210], 1.0
	v_rcp_f64_e32 v[215:216], v[211:212]
	v_fma_f64 v[217:218], -v[211:212], v[215:216], 1.0
	v_fma_f64 v[215:216], v[215:216], v[217:218], v[215:216]
	v_fma_f64 v[217:218], -v[211:212], v[215:216], 1.0
	v_fma_f64 v[215:216], v[215:216], v[217:218], v[215:216]
	v_div_scale_f64 v[217:218], vcc_lo, 1.0, v[209:210], 1.0
	v_mul_f64 v[219:220], v[217:218], v[215:216]
	v_fma_f64 v[211:212], -v[211:212], v[219:220], v[217:218]
	v_div_fmas_f64 v[211:212], v[211:212], v[215:216], v[219:220]
	v_div_fixup_f64 v[215:216], v[211:212], v[209:210], 1.0
                                        ; implicit-def: $vgpr209_vgpr210
	v_mul_f64 v[213:214], v[213:214], v[215:216]
	v_xor_b32_e32 v216, 0x80000000, v216
.LBB107_185:
	s_andn2_saveexec_b32 s1, s1
	s_cbranch_execz .LBB107_187
; %bb.186:
	v_div_scale_f64 v[213:214], null, v[209:210], v[209:210], v[211:212]
	v_div_scale_f64 v[219:220], vcc_lo, v[211:212], v[209:210], v[211:212]
	v_rcp_f64_e32 v[215:216], v[213:214]
	v_fma_f64 v[217:218], -v[213:214], v[215:216], 1.0
	v_fma_f64 v[215:216], v[215:216], v[217:218], v[215:216]
	v_fma_f64 v[217:218], -v[213:214], v[215:216], 1.0
	v_fma_f64 v[215:216], v[215:216], v[217:218], v[215:216]
	v_mul_f64 v[217:218], v[219:220], v[215:216]
	v_fma_f64 v[213:214], -v[213:214], v[217:218], v[219:220]
	v_div_fmas_f64 v[213:214], v[213:214], v[215:216], v[217:218]
	v_div_fixup_f64 v[215:216], v[213:214], v[209:210], v[211:212]
	v_fma_f64 v[209:210], v[211:212], v[215:216], v[209:210]
	v_div_scale_f64 v[211:212], null, v[209:210], v[209:210], 1.0
	v_rcp_f64_e32 v[213:214], v[211:212]
	v_fma_f64 v[217:218], -v[211:212], v[213:214], 1.0
	v_fma_f64 v[213:214], v[213:214], v[217:218], v[213:214]
	v_fma_f64 v[217:218], -v[211:212], v[213:214], 1.0
	v_fma_f64 v[213:214], v[213:214], v[217:218], v[213:214]
	v_div_scale_f64 v[217:218], vcc_lo, 1.0, v[209:210], 1.0
	v_mul_f64 v[219:220], v[217:218], v[213:214]
	v_fma_f64 v[211:212], -v[211:212], v[219:220], v[217:218]
	v_div_fmas_f64 v[211:212], v[211:212], v[213:214], v[219:220]
	v_div_fixup_f64 v[213:214], v[211:212], v[209:210], 1.0
	v_mul_f64 v[215:216], v[215:216], -v[213:214]
.LBB107_187:
	s_or_b32 exec_lo, exec_lo, s1
	ds_write2_b64 v255, v[213:214], v[215:216] offset1:1
.LBB107_188:
	s_or_b32 exec_lo, exec_lo, s2
	s_waitcnt lgkmcnt(0)
	s_barrier
	buffer_gl0_inv
	ds_read2_b64 v[209:212], v255 offset1:1
	s_mov_b32 s1, exec_lo
	s_waitcnt lgkmcnt(0)
	buffer_store_dword v209, off, s[16:19], 0 offset:800 ; 4-byte Folded Spill
	buffer_store_dword v210, off, s[16:19], 0 offset:804 ; 4-byte Folded Spill
	;; [unrolled: 1-line block ×4, first 2 shown]
	v_cmpx_lt_u32_e32 20, v0
	s_cbranch_execz .LBB107_190
; %bb.189:
	s_clause 0x3
	buffer_load_dword v211, off, s[16:19], 0 offset:800
	buffer_load_dword v212, off, s[16:19], 0 offset:804
	buffer_load_dword v213, off, s[16:19], 0 offset:808
	buffer_load_dword v214, off, s[16:19], 0 offset:812
	s_waitcnt vmcnt(0)
	v_mul_f64 v[209:210], v[213:214], v[135:136]
	v_mul_f64 v[135:136], v[211:212], v[135:136]
	v_fma_f64 v[209:210], v[211:212], v[133:134], -v[209:210]
	v_fma_f64 v[135:136], v[213:214], v[133:134], v[135:136]
	ds_read2_b64 v[211:214], v253 offset0:42 offset1:43
	s_waitcnt lgkmcnt(0)
	v_mul_f64 v[133:134], v[213:214], v[135:136]
	v_fma_f64 v[133:134], v[211:212], v[209:210], -v[133:134]
	v_mul_f64 v[211:212], v[211:212], v[135:136]
	v_add_f64 v[129:130], v[129:130], -v[133:134]
	v_fma_f64 v[211:212], v[213:214], v[209:210], v[211:212]
	v_add_f64 v[131:132], v[131:132], -v[211:212]
	ds_read2_b64 v[211:214], v253 offset0:44 offset1:45
	s_waitcnt lgkmcnt(0)
	v_mul_f64 v[133:134], v[213:214], v[135:136]
	v_fma_f64 v[133:134], v[211:212], v[209:210], -v[133:134]
	v_mul_f64 v[211:212], v[211:212], v[135:136]
	v_add_f64 v[125:126], v[125:126], -v[133:134]
	v_fma_f64 v[211:212], v[213:214], v[209:210], v[211:212]
	v_add_f64 v[127:128], v[127:128], -v[211:212]
	ds_read2_b64 v[211:214], v253 offset0:46 offset1:47
	s_waitcnt lgkmcnt(0)
	v_mul_f64 v[133:134], v[213:214], v[135:136]
	v_fma_f64 v[133:134], v[211:212], v[209:210], -v[133:134]
	v_mul_f64 v[211:212], v[211:212], v[135:136]
	v_add_f64 v[121:122], v[121:122], -v[133:134]
	v_fma_f64 v[211:212], v[213:214], v[209:210], v[211:212]
	v_add_f64 v[123:124], v[123:124], -v[211:212]
	ds_read2_b64 v[211:214], v253 offset0:48 offset1:49
	s_waitcnt lgkmcnt(0)
	v_mul_f64 v[133:134], v[213:214], v[135:136]
	v_fma_f64 v[133:134], v[211:212], v[209:210], -v[133:134]
	v_mul_f64 v[211:212], v[211:212], v[135:136]
	v_add_f64 v[117:118], v[117:118], -v[133:134]
	v_fma_f64 v[211:212], v[213:214], v[209:210], v[211:212]
	v_add_f64 v[119:120], v[119:120], -v[211:212]
	ds_read2_b64 v[211:214], v253 offset0:50 offset1:51
	s_waitcnt lgkmcnt(0)
	v_mul_f64 v[133:134], v[213:214], v[135:136]
	v_fma_f64 v[133:134], v[211:212], v[209:210], -v[133:134]
	v_mul_f64 v[211:212], v[211:212], v[135:136]
	v_add_f64 v[113:114], v[113:114], -v[133:134]
	v_fma_f64 v[211:212], v[213:214], v[209:210], v[211:212]
	v_add_f64 v[115:116], v[115:116], -v[211:212]
	ds_read2_b64 v[211:214], v253 offset0:52 offset1:53
	s_waitcnt lgkmcnt(0)
	v_mul_f64 v[133:134], v[213:214], v[135:136]
	v_fma_f64 v[133:134], v[211:212], v[209:210], -v[133:134]
	v_mul_f64 v[211:212], v[211:212], v[135:136]
	v_add_f64 v[109:110], v[109:110], -v[133:134]
	v_fma_f64 v[211:212], v[213:214], v[209:210], v[211:212]
	v_add_f64 v[111:112], v[111:112], -v[211:212]
	ds_read2_b64 v[211:214], v253 offset0:54 offset1:55
	s_waitcnt lgkmcnt(0)
	v_mul_f64 v[133:134], v[213:214], v[135:136]
	v_fma_f64 v[133:134], v[211:212], v[209:210], -v[133:134]
	v_mul_f64 v[211:212], v[211:212], v[135:136]
	v_add_f64 v[105:106], v[105:106], -v[133:134]
	v_fma_f64 v[211:212], v[213:214], v[209:210], v[211:212]
	v_add_f64 v[107:108], v[107:108], -v[211:212]
	ds_read2_b64 v[211:214], v253 offset0:56 offset1:57
	s_waitcnt lgkmcnt(0)
	v_mul_f64 v[133:134], v[213:214], v[135:136]
	v_fma_f64 v[133:134], v[211:212], v[209:210], -v[133:134]
	v_mul_f64 v[211:212], v[211:212], v[135:136]
	v_add_f64 v[101:102], v[101:102], -v[133:134]
	v_fma_f64 v[211:212], v[213:214], v[209:210], v[211:212]
	v_add_f64 v[103:104], v[103:104], -v[211:212]
	ds_read2_b64 v[211:214], v253 offset0:58 offset1:59
	s_waitcnt lgkmcnt(0)
	v_mul_f64 v[133:134], v[213:214], v[135:136]
	v_fma_f64 v[133:134], v[211:212], v[209:210], -v[133:134]
	v_mul_f64 v[211:212], v[211:212], v[135:136]
	v_add_f64 v[97:98], v[97:98], -v[133:134]
	v_fma_f64 v[211:212], v[213:214], v[209:210], v[211:212]
	v_add_f64 v[99:100], v[99:100], -v[211:212]
	ds_read2_b64 v[211:214], v253 offset0:60 offset1:61
	s_waitcnt lgkmcnt(0)
	v_mul_f64 v[133:134], v[213:214], v[135:136]
	v_fma_f64 v[133:134], v[211:212], v[209:210], -v[133:134]
	v_mul_f64 v[211:212], v[211:212], v[135:136]
	v_add_f64 v[93:94], v[93:94], -v[133:134]
	v_fma_f64 v[211:212], v[213:214], v[209:210], v[211:212]
	v_add_f64 v[95:96], v[95:96], -v[211:212]
	ds_read2_b64 v[211:214], v253 offset0:62 offset1:63
	s_waitcnt lgkmcnt(0)
	v_mul_f64 v[133:134], v[213:214], v[135:136]
	v_fma_f64 v[133:134], v[211:212], v[209:210], -v[133:134]
	v_mul_f64 v[211:212], v[211:212], v[135:136]
	v_add_f64 v[89:90], v[89:90], -v[133:134]
	v_fma_f64 v[211:212], v[213:214], v[209:210], v[211:212]
	v_add_f64 v[91:92], v[91:92], -v[211:212]
	ds_read2_b64 v[211:214], v253 offset0:64 offset1:65
	s_waitcnt lgkmcnt(0)
	v_mul_f64 v[133:134], v[213:214], v[135:136]
	v_fma_f64 v[133:134], v[211:212], v[209:210], -v[133:134]
	v_mul_f64 v[211:212], v[211:212], v[135:136]
	v_add_f64 v[85:86], v[85:86], -v[133:134]
	v_fma_f64 v[211:212], v[213:214], v[209:210], v[211:212]
	v_add_f64 v[87:88], v[87:88], -v[211:212]
	ds_read2_b64 v[211:214], v253 offset0:66 offset1:67
	s_waitcnt lgkmcnt(0)
	v_mul_f64 v[133:134], v[213:214], v[135:136]
	v_fma_f64 v[133:134], v[211:212], v[209:210], -v[133:134]
	v_mul_f64 v[211:212], v[211:212], v[135:136]
	v_add_f64 v[81:82], v[81:82], -v[133:134]
	v_fma_f64 v[211:212], v[213:214], v[209:210], v[211:212]
	v_add_f64 v[83:84], v[83:84], -v[211:212]
	ds_read2_b64 v[211:214], v253 offset0:68 offset1:69
	s_waitcnt lgkmcnt(0)
	v_mul_f64 v[133:134], v[213:214], v[135:136]
	v_fma_f64 v[133:134], v[211:212], v[209:210], -v[133:134]
	v_mul_f64 v[211:212], v[211:212], v[135:136]
	v_add_f64 v[77:78], v[77:78], -v[133:134]
	v_fma_f64 v[211:212], v[213:214], v[209:210], v[211:212]
	v_add_f64 v[79:80], v[79:80], -v[211:212]
	ds_read2_b64 v[211:214], v253 offset0:70 offset1:71
	s_waitcnt lgkmcnt(0)
	v_mul_f64 v[133:134], v[213:214], v[135:136]
	v_fma_f64 v[133:134], v[211:212], v[209:210], -v[133:134]
	v_mul_f64 v[211:212], v[211:212], v[135:136]
	v_add_f64 v[73:74], v[73:74], -v[133:134]
	v_fma_f64 v[211:212], v[213:214], v[209:210], v[211:212]
	v_add_f64 v[75:76], v[75:76], -v[211:212]
	ds_read2_b64 v[211:214], v253 offset0:72 offset1:73
	s_waitcnt lgkmcnt(0)
	v_mul_f64 v[133:134], v[213:214], v[135:136]
	v_fma_f64 v[133:134], v[211:212], v[209:210], -v[133:134]
	v_mul_f64 v[211:212], v[211:212], v[135:136]
	v_add_f64 v[69:70], v[69:70], -v[133:134]
	v_fma_f64 v[211:212], v[213:214], v[209:210], v[211:212]
	v_add_f64 v[71:72], v[71:72], -v[211:212]
	ds_read2_b64 v[211:214], v253 offset0:74 offset1:75
	s_waitcnt lgkmcnt(0)
	v_mul_f64 v[133:134], v[213:214], v[135:136]
	v_fma_f64 v[133:134], v[211:212], v[209:210], -v[133:134]
	v_mul_f64 v[211:212], v[211:212], v[135:136]
	v_add_f64 v[65:66], v[65:66], -v[133:134]
	v_fma_f64 v[211:212], v[213:214], v[209:210], v[211:212]
	v_add_f64 v[67:68], v[67:68], -v[211:212]
	ds_read2_b64 v[211:214], v253 offset0:76 offset1:77
	s_waitcnt lgkmcnt(0)
	v_mul_f64 v[133:134], v[213:214], v[135:136]
	v_fma_f64 v[133:134], v[211:212], v[209:210], -v[133:134]
	v_mul_f64 v[211:212], v[211:212], v[135:136]
	v_add_f64 v[61:62], v[61:62], -v[133:134]
	v_fma_f64 v[211:212], v[213:214], v[209:210], v[211:212]
	v_add_f64 v[63:64], v[63:64], -v[211:212]
	ds_read2_b64 v[211:214], v253 offset0:78 offset1:79
	s_waitcnt lgkmcnt(0)
	v_mul_f64 v[133:134], v[213:214], v[135:136]
	v_fma_f64 v[133:134], v[211:212], v[209:210], -v[133:134]
	v_mul_f64 v[211:212], v[211:212], v[135:136]
	v_add_f64 v[57:58], v[57:58], -v[133:134]
	v_fma_f64 v[211:212], v[213:214], v[209:210], v[211:212]
	v_add_f64 v[59:60], v[59:60], -v[211:212]
	ds_read2_b64 v[211:214], v253 offset0:80 offset1:81
	s_waitcnt lgkmcnt(0)
	v_mul_f64 v[133:134], v[213:214], v[135:136]
	v_fma_f64 v[133:134], v[211:212], v[209:210], -v[133:134]
	v_mul_f64 v[211:212], v[211:212], v[135:136]
	v_add_f64 v[53:54], v[53:54], -v[133:134]
	v_fma_f64 v[211:212], v[213:214], v[209:210], v[211:212]
	v_add_f64 v[55:56], v[55:56], -v[211:212]
	ds_read2_b64 v[211:214], v253 offset0:82 offset1:83
	s_waitcnt lgkmcnt(0)
	v_mul_f64 v[133:134], v[213:214], v[135:136]
	v_fma_f64 v[133:134], v[211:212], v[209:210], -v[133:134]
	v_mul_f64 v[211:212], v[211:212], v[135:136]
	v_add_f64 v[49:50], v[49:50], -v[133:134]
	v_fma_f64 v[211:212], v[213:214], v[209:210], v[211:212]
	v_add_f64 v[51:52], v[51:52], -v[211:212]
	ds_read2_b64 v[211:214], v253 offset0:84 offset1:85
	s_waitcnt lgkmcnt(0)
	v_mul_f64 v[133:134], v[213:214], v[135:136]
	v_fma_f64 v[133:134], v[211:212], v[209:210], -v[133:134]
	v_mul_f64 v[211:212], v[211:212], v[135:136]
	v_add_f64 v[45:46], v[45:46], -v[133:134]
	v_fma_f64 v[211:212], v[213:214], v[209:210], v[211:212]
	v_add_f64 v[47:48], v[47:48], -v[211:212]
	ds_read2_b64 v[211:214], v253 offset0:86 offset1:87
	s_waitcnt lgkmcnt(0)
	v_mul_f64 v[133:134], v[213:214], v[135:136]
	v_fma_f64 v[133:134], v[211:212], v[209:210], -v[133:134]
	v_mul_f64 v[211:212], v[211:212], v[135:136]
	v_add_f64 v[41:42], v[41:42], -v[133:134]
	v_fma_f64 v[211:212], v[213:214], v[209:210], v[211:212]
	v_add_f64 v[43:44], v[43:44], -v[211:212]
	ds_read2_b64 v[211:214], v253 offset0:88 offset1:89
	s_waitcnt lgkmcnt(0)
	v_mul_f64 v[133:134], v[213:214], v[135:136]
	v_fma_f64 v[133:134], v[211:212], v[209:210], -v[133:134]
	v_mul_f64 v[211:212], v[211:212], v[135:136]
	v_add_f64 v[37:38], v[37:38], -v[133:134]
	v_fma_f64 v[211:212], v[213:214], v[209:210], v[211:212]
	v_add_f64 v[39:40], v[39:40], -v[211:212]
	ds_read2_b64 v[211:214], v253 offset0:90 offset1:91
	s_waitcnt lgkmcnt(0)
	v_mul_f64 v[133:134], v[213:214], v[135:136]
	v_fma_f64 v[133:134], v[211:212], v[209:210], -v[133:134]
	v_mul_f64 v[211:212], v[211:212], v[135:136]
	v_add_f64 v[33:34], v[33:34], -v[133:134]
	v_fma_f64 v[211:212], v[213:214], v[209:210], v[211:212]
	v_add_f64 v[35:36], v[35:36], -v[211:212]
	ds_read2_b64 v[211:214], v253 offset0:92 offset1:93
	s_waitcnt lgkmcnt(0)
	v_mul_f64 v[133:134], v[213:214], v[135:136]
	v_fma_f64 v[133:134], v[211:212], v[209:210], -v[133:134]
	v_mul_f64 v[211:212], v[211:212], v[135:136]
	v_add_f64 v[29:30], v[29:30], -v[133:134]
	v_fma_f64 v[211:212], v[213:214], v[209:210], v[211:212]
	v_add_f64 v[31:32], v[31:32], -v[211:212]
	ds_read2_b64 v[211:214], v253 offset0:94 offset1:95
	s_waitcnt lgkmcnt(0)
	v_mul_f64 v[133:134], v[213:214], v[135:136]
	v_fma_f64 v[133:134], v[211:212], v[209:210], -v[133:134]
	v_mul_f64 v[211:212], v[211:212], v[135:136]
	v_add_f64 v[25:26], v[25:26], -v[133:134]
	v_fma_f64 v[211:212], v[213:214], v[209:210], v[211:212]
	v_add_f64 v[27:28], v[27:28], -v[211:212]
	ds_read2_b64 v[211:214], v253 offset0:96 offset1:97
	s_waitcnt lgkmcnt(0)
	v_mul_f64 v[133:134], v[213:214], v[135:136]
	v_fma_f64 v[133:134], v[211:212], v[209:210], -v[133:134]
	v_mul_f64 v[211:212], v[211:212], v[135:136]
	v_add_f64 v[21:22], v[21:22], -v[133:134]
	v_fma_f64 v[211:212], v[213:214], v[209:210], v[211:212]
	v_add_f64 v[23:24], v[23:24], -v[211:212]
	ds_read2_b64 v[211:214], v253 offset0:98 offset1:99
	s_waitcnt lgkmcnt(0)
	v_mul_f64 v[133:134], v[213:214], v[135:136]
	v_fma_f64 v[133:134], v[211:212], v[209:210], -v[133:134]
	v_mul_f64 v[211:212], v[211:212], v[135:136]
	v_add_f64 v[17:18], v[17:18], -v[133:134]
	v_fma_f64 v[211:212], v[213:214], v[209:210], v[211:212]
	v_add_f64 v[19:20], v[19:20], -v[211:212]
	ds_read2_b64 v[211:214], v253 offset0:100 offset1:101
	s_waitcnt lgkmcnt(0)
	v_mul_f64 v[133:134], v[213:214], v[135:136]
	v_fma_f64 v[133:134], v[211:212], v[209:210], -v[133:134]
	v_mul_f64 v[211:212], v[211:212], v[135:136]
	v_add_f64 v[13:14], v[13:14], -v[133:134]
	v_fma_f64 v[211:212], v[213:214], v[209:210], v[211:212]
	v_add_f64 v[15:16], v[15:16], -v[211:212]
	ds_read2_b64 v[211:214], v253 offset0:102 offset1:103
	s_waitcnt lgkmcnt(0)
	v_mul_f64 v[133:134], v[213:214], v[135:136]
	v_fma_f64 v[133:134], v[211:212], v[209:210], -v[133:134]
	v_mul_f64 v[211:212], v[211:212], v[135:136]
	v_add_f64 v[9:10], v[9:10], -v[133:134]
	v_fma_f64 v[211:212], v[213:214], v[209:210], v[211:212]
	v_add_f64 v[11:12], v[11:12], -v[211:212]
	ds_read2_b64 v[211:214], v253 offset0:104 offset1:105
	s_waitcnt lgkmcnt(0)
	v_mul_f64 v[133:134], v[213:214], v[135:136]
	v_fma_f64 v[133:134], v[211:212], v[209:210], -v[133:134]
	v_mul_f64 v[211:212], v[211:212], v[135:136]
	v_add_f64 v[5:6], v[5:6], -v[133:134]
	v_fma_f64 v[211:212], v[213:214], v[209:210], v[211:212]
	v_add_f64 v[7:8], v[7:8], -v[211:212]
	ds_read2_b64 v[211:214], v253 offset0:106 offset1:107
	s_waitcnt lgkmcnt(0)
	v_mul_f64 v[133:134], v[213:214], v[135:136]
	v_fma_f64 v[133:134], v[211:212], v[209:210], -v[133:134]
	v_mul_f64 v[211:212], v[211:212], v[135:136]
	v_add_f64 v[1:2], v[1:2], -v[133:134]
	v_fma_f64 v[211:212], v[213:214], v[209:210], v[211:212]
	v_mov_b32_e32 v133, v209
	v_mov_b32_e32 v134, v210
	v_add_f64 v[3:4], v[3:4], -v[211:212]
.LBB107_190:
	s_or_b32 exec_lo, exec_lo, s1
	s_mov_b32 s2, exec_lo
	s_waitcnt_vscnt null, 0x0
	s_barrier
	buffer_gl0_inv
	v_cmpx_eq_u32_e32 21, v0
	s_cbranch_execz .LBB107_197
; %bb.191:
	ds_write2_b64 v255, v[129:130], v[131:132] offset1:1
	ds_write2_b64 v253, v[125:126], v[127:128] offset0:44 offset1:45
	ds_write2_b64 v253, v[121:122], v[123:124] offset0:46 offset1:47
	;; [unrolled: 1-line block ×32, first 2 shown]
	ds_read2_b64 v[209:212], v255 offset1:1
	s_waitcnt lgkmcnt(0)
	v_cmp_neq_f64_e32 vcc_lo, 0, v[209:210]
	v_cmp_neq_f64_e64 s1, 0, v[211:212]
	s_or_b32 s1, vcc_lo, s1
	s_and_b32 exec_lo, exec_lo, s1
	s_cbranch_execz .LBB107_197
; %bb.192:
	v_cmp_ngt_f64_e64 s1, |v[209:210]|, |v[211:212]|
                                        ; implicit-def: $vgpr213_vgpr214
	s_and_saveexec_b32 s3, s1
	s_xor_b32 s1, exec_lo, s3
                                        ; implicit-def: $vgpr215_vgpr216
	s_cbranch_execz .LBB107_194
; %bb.193:
	v_div_scale_f64 v[213:214], null, v[211:212], v[211:212], v[209:210]
	v_div_scale_f64 v[219:220], vcc_lo, v[209:210], v[211:212], v[209:210]
	v_rcp_f64_e32 v[215:216], v[213:214]
	v_fma_f64 v[217:218], -v[213:214], v[215:216], 1.0
	v_fma_f64 v[215:216], v[215:216], v[217:218], v[215:216]
	v_fma_f64 v[217:218], -v[213:214], v[215:216], 1.0
	v_fma_f64 v[215:216], v[215:216], v[217:218], v[215:216]
	v_mul_f64 v[217:218], v[219:220], v[215:216]
	v_fma_f64 v[213:214], -v[213:214], v[217:218], v[219:220]
	v_div_fmas_f64 v[213:214], v[213:214], v[215:216], v[217:218]
	v_div_fixup_f64 v[213:214], v[213:214], v[211:212], v[209:210]
	v_fma_f64 v[209:210], v[209:210], v[213:214], v[211:212]
	v_div_scale_f64 v[211:212], null, v[209:210], v[209:210], 1.0
	v_rcp_f64_e32 v[215:216], v[211:212]
	v_fma_f64 v[217:218], -v[211:212], v[215:216], 1.0
	v_fma_f64 v[215:216], v[215:216], v[217:218], v[215:216]
	v_fma_f64 v[217:218], -v[211:212], v[215:216], 1.0
	v_fma_f64 v[215:216], v[215:216], v[217:218], v[215:216]
	v_div_scale_f64 v[217:218], vcc_lo, 1.0, v[209:210], 1.0
	v_mul_f64 v[219:220], v[217:218], v[215:216]
	v_fma_f64 v[211:212], -v[211:212], v[219:220], v[217:218]
	v_div_fmas_f64 v[211:212], v[211:212], v[215:216], v[219:220]
	v_div_fixup_f64 v[215:216], v[211:212], v[209:210], 1.0
                                        ; implicit-def: $vgpr209_vgpr210
	v_mul_f64 v[213:214], v[213:214], v[215:216]
	v_xor_b32_e32 v216, 0x80000000, v216
.LBB107_194:
	s_andn2_saveexec_b32 s1, s1
	s_cbranch_execz .LBB107_196
; %bb.195:
	v_div_scale_f64 v[213:214], null, v[209:210], v[209:210], v[211:212]
	v_div_scale_f64 v[219:220], vcc_lo, v[211:212], v[209:210], v[211:212]
	v_rcp_f64_e32 v[215:216], v[213:214]
	v_fma_f64 v[217:218], -v[213:214], v[215:216], 1.0
	v_fma_f64 v[215:216], v[215:216], v[217:218], v[215:216]
	v_fma_f64 v[217:218], -v[213:214], v[215:216], 1.0
	v_fma_f64 v[215:216], v[215:216], v[217:218], v[215:216]
	v_mul_f64 v[217:218], v[219:220], v[215:216]
	v_fma_f64 v[213:214], -v[213:214], v[217:218], v[219:220]
	v_div_fmas_f64 v[213:214], v[213:214], v[215:216], v[217:218]
	v_div_fixup_f64 v[215:216], v[213:214], v[209:210], v[211:212]
	v_fma_f64 v[209:210], v[211:212], v[215:216], v[209:210]
	v_div_scale_f64 v[211:212], null, v[209:210], v[209:210], 1.0
	v_rcp_f64_e32 v[213:214], v[211:212]
	v_fma_f64 v[217:218], -v[211:212], v[213:214], 1.0
	v_fma_f64 v[213:214], v[213:214], v[217:218], v[213:214]
	v_fma_f64 v[217:218], -v[211:212], v[213:214], 1.0
	v_fma_f64 v[213:214], v[213:214], v[217:218], v[213:214]
	v_div_scale_f64 v[217:218], vcc_lo, 1.0, v[209:210], 1.0
	v_mul_f64 v[219:220], v[217:218], v[213:214]
	v_fma_f64 v[211:212], -v[211:212], v[219:220], v[217:218]
	v_div_fmas_f64 v[211:212], v[211:212], v[213:214], v[219:220]
	v_div_fixup_f64 v[213:214], v[211:212], v[209:210], 1.0
	v_mul_f64 v[215:216], v[215:216], -v[213:214]
.LBB107_196:
	s_or_b32 exec_lo, exec_lo, s1
	ds_write2_b64 v255, v[213:214], v[215:216] offset1:1
.LBB107_197:
	s_or_b32 exec_lo, exec_lo, s2
	s_waitcnt lgkmcnt(0)
	s_barrier
	buffer_gl0_inv
	ds_read2_b64 v[209:212], v255 offset1:1
	s_mov_b32 s1, exec_lo
	s_waitcnt lgkmcnt(0)
	buffer_store_dword v209, off, s[16:19], 0 offset:816 ; 4-byte Folded Spill
	buffer_store_dword v210, off, s[16:19], 0 offset:820 ; 4-byte Folded Spill
	;; [unrolled: 1-line block ×4, first 2 shown]
	v_cmpx_lt_u32_e32 21, v0
	s_cbranch_execz .LBB107_199
; %bb.198:
	s_clause 0x3
	buffer_load_dword v211, off, s[16:19], 0 offset:816
	buffer_load_dword v212, off, s[16:19], 0 offset:820
	;; [unrolled: 1-line block ×4, first 2 shown]
	s_waitcnt vmcnt(0)
	v_mul_f64 v[209:210], v[213:214], v[131:132]
	v_mul_f64 v[131:132], v[211:212], v[131:132]
	v_fma_f64 v[209:210], v[211:212], v[129:130], -v[209:210]
	v_fma_f64 v[131:132], v[213:214], v[129:130], v[131:132]
	ds_read2_b64 v[211:214], v253 offset0:44 offset1:45
	s_waitcnt lgkmcnt(0)
	v_mul_f64 v[129:130], v[213:214], v[131:132]
	v_fma_f64 v[129:130], v[211:212], v[209:210], -v[129:130]
	v_mul_f64 v[211:212], v[211:212], v[131:132]
	v_add_f64 v[125:126], v[125:126], -v[129:130]
	v_fma_f64 v[211:212], v[213:214], v[209:210], v[211:212]
	v_add_f64 v[127:128], v[127:128], -v[211:212]
	ds_read2_b64 v[211:214], v253 offset0:46 offset1:47
	s_waitcnt lgkmcnt(0)
	v_mul_f64 v[129:130], v[213:214], v[131:132]
	v_fma_f64 v[129:130], v[211:212], v[209:210], -v[129:130]
	v_mul_f64 v[211:212], v[211:212], v[131:132]
	v_add_f64 v[121:122], v[121:122], -v[129:130]
	v_fma_f64 v[211:212], v[213:214], v[209:210], v[211:212]
	v_add_f64 v[123:124], v[123:124], -v[211:212]
	;; [unrolled: 8-line block ×31, first 2 shown]
	ds_read2_b64 v[211:214], v253 offset0:106 offset1:107
	s_waitcnt lgkmcnt(0)
	v_mul_f64 v[129:130], v[213:214], v[131:132]
	v_fma_f64 v[129:130], v[211:212], v[209:210], -v[129:130]
	v_mul_f64 v[211:212], v[211:212], v[131:132]
	v_add_f64 v[1:2], v[1:2], -v[129:130]
	v_fma_f64 v[211:212], v[213:214], v[209:210], v[211:212]
	v_mov_b32_e32 v129, v209
	v_mov_b32_e32 v130, v210
	v_add_f64 v[3:4], v[3:4], -v[211:212]
.LBB107_199:
	s_or_b32 exec_lo, exec_lo, s1
	s_mov_b32 s2, exec_lo
	s_waitcnt_vscnt null, 0x0
	s_barrier
	buffer_gl0_inv
	v_cmpx_eq_u32_e32 22, v0
	s_cbranch_execz .LBB107_206
; %bb.200:
	ds_write2_b64 v255, v[125:126], v[127:128] offset1:1
	ds_write2_b64 v253, v[121:122], v[123:124] offset0:46 offset1:47
	ds_write2_b64 v253, v[117:118], v[119:120] offset0:48 offset1:49
	;; [unrolled: 1-line block ×31, first 2 shown]
	ds_read2_b64 v[209:212], v255 offset1:1
	s_waitcnt lgkmcnt(0)
	v_cmp_neq_f64_e32 vcc_lo, 0, v[209:210]
	v_cmp_neq_f64_e64 s1, 0, v[211:212]
	s_or_b32 s1, vcc_lo, s1
	s_and_b32 exec_lo, exec_lo, s1
	s_cbranch_execz .LBB107_206
; %bb.201:
	v_cmp_ngt_f64_e64 s1, |v[209:210]|, |v[211:212]|
                                        ; implicit-def: $vgpr213_vgpr214
	s_and_saveexec_b32 s3, s1
	s_xor_b32 s1, exec_lo, s3
                                        ; implicit-def: $vgpr215_vgpr216
	s_cbranch_execz .LBB107_203
; %bb.202:
	v_div_scale_f64 v[213:214], null, v[211:212], v[211:212], v[209:210]
	v_div_scale_f64 v[219:220], vcc_lo, v[209:210], v[211:212], v[209:210]
	v_rcp_f64_e32 v[215:216], v[213:214]
	v_fma_f64 v[217:218], -v[213:214], v[215:216], 1.0
	v_fma_f64 v[215:216], v[215:216], v[217:218], v[215:216]
	v_fma_f64 v[217:218], -v[213:214], v[215:216], 1.0
	v_fma_f64 v[215:216], v[215:216], v[217:218], v[215:216]
	v_mul_f64 v[217:218], v[219:220], v[215:216]
	v_fma_f64 v[213:214], -v[213:214], v[217:218], v[219:220]
	v_div_fmas_f64 v[213:214], v[213:214], v[215:216], v[217:218]
	v_div_fixup_f64 v[213:214], v[213:214], v[211:212], v[209:210]
	v_fma_f64 v[209:210], v[209:210], v[213:214], v[211:212]
	v_div_scale_f64 v[211:212], null, v[209:210], v[209:210], 1.0
	v_rcp_f64_e32 v[215:216], v[211:212]
	v_fma_f64 v[217:218], -v[211:212], v[215:216], 1.0
	v_fma_f64 v[215:216], v[215:216], v[217:218], v[215:216]
	v_fma_f64 v[217:218], -v[211:212], v[215:216], 1.0
	v_fma_f64 v[215:216], v[215:216], v[217:218], v[215:216]
	v_div_scale_f64 v[217:218], vcc_lo, 1.0, v[209:210], 1.0
	v_mul_f64 v[219:220], v[217:218], v[215:216]
	v_fma_f64 v[211:212], -v[211:212], v[219:220], v[217:218]
	v_div_fmas_f64 v[211:212], v[211:212], v[215:216], v[219:220]
	v_div_fixup_f64 v[215:216], v[211:212], v[209:210], 1.0
                                        ; implicit-def: $vgpr209_vgpr210
	v_mul_f64 v[213:214], v[213:214], v[215:216]
	v_xor_b32_e32 v216, 0x80000000, v216
.LBB107_203:
	s_andn2_saveexec_b32 s1, s1
	s_cbranch_execz .LBB107_205
; %bb.204:
	v_div_scale_f64 v[213:214], null, v[209:210], v[209:210], v[211:212]
	v_div_scale_f64 v[219:220], vcc_lo, v[211:212], v[209:210], v[211:212]
	v_rcp_f64_e32 v[215:216], v[213:214]
	v_fma_f64 v[217:218], -v[213:214], v[215:216], 1.0
	v_fma_f64 v[215:216], v[215:216], v[217:218], v[215:216]
	v_fma_f64 v[217:218], -v[213:214], v[215:216], 1.0
	v_fma_f64 v[215:216], v[215:216], v[217:218], v[215:216]
	v_mul_f64 v[217:218], v[219:220], v[215:216]
	v_fma_f64 v[213:214], -v[213:214], v[217:218], v[219:220]
	v_div_fmas_f64 v[213:214], v[213:214], v[215:216], v[217:218]
	v_div_fixup_f64 v[215:216], v[213:214], v[209:210], v[211:212]
	v_fma_f64 v[209:210], v[211:212], v[215:216], v[209:210]
	v_div_scale_f64 v[211:212], null, v[209:210], v[209:210], 1.0
	v_rcp_f64_e32 v[213:214], v[211:212]
	v_fma_f64 v[217:218], -v[211:212], v[213:214], 1.0
	v_fma_f64 v[213:214], v[213:214], v[217:218], v[213:214]
	v_fma_f64 v[217:218], -v[211:212], v[213:214], 1.0
	v_fma_f64 v[213:214], v[213:214], v[217:218], v[213:214]
	v_div_scale_f64 v[217:218], vcc_lo, 1.0, v[209:210], 1.0
	v_mul_f64 v[219:220], v[217:218], v[213:214]
	v_fma_f64 v[211:212], -v[211:212], v[219:220], v[217:218]
	v_div_fmas_f64 v[211:212], v[211:212], v[213:214], v[219:220]
	v_div_fixup_f64 v[213:214], v[211:212], v[209:210], 1.0
	v_mul_f64 v[215:216], v[215:216], -v[213:214]
.LBB107_205:
	s_or_b32 exec_lo, exec_lo, s1
	ds_write2_b64 v255, v[213:214], v[215:216] offset1:1
.LBB107_206:
	s_or_b32 exec_lo, exec_lo, s2
	s_waitcnt lgkmcnt(0)
	s_barrier
	buffer_gl0_inv
	ds_read2_b64 v[209:212], v255 offset1:1
	s_mov_b32 s1, exec_lo
	s_waitcnt lgkmcnt(0)
	buffer_store_dword v209, off, s[16:19], 0 offset:832 ; 4-byte Folded Spill
	buffer_store_dword v210, off, s[16:19], 0 offset:836 ; 4-byte Folded Spill
	;; [unrolled: 1-line block ×4, first 2 shown]
	v_cmpx_lt_u32_e32 22, v0
	s_cbranch_execz .LBB107_208
; %bb.207:
	s_clause 0x3
	buffer_load_dword v211, off, s[16:19], 0 offset:832
	buffer_load_dword v212, off, s[16:19], 0 offset:836
	;; [unrolled: 1-line block ×4, first 2 shown]
	s_waitcnt vmcnt(0)
	v_mul_f64 v[209:210], v[213:214], v[127:128]
	v_mul_f64 v[127:128], v[211:212], v[127:128]
	v_fma_f64 v[209:210], v[211:212], v[125:126], -v[209:210]
	v_fma_f64 v[127:128], v[213:214], v[125:126], v[127:128]
	ds_read2_b64 v[211:214], v253 offset0:46 offset1:47
	s_waitcnt lgkmcnt(0)
	v_mul_f64 v[125:126], v[213:214], v[127:128]
	v_fma_f64 v[125:126], v[211:212], v[209:210], -v[125:126]
	v_mul_f64 v[211:212], v[211:212], v[127:128]
	v_add_f64 v[121:122], v[121:122], -v[125:126]
	v_fma_f64 v[211:212], v[213:214], v[209:210], v[211:212]
	v_add_f64 v[123:124], v[123:124], -v[211:212]
	ds_read2_b64 v[211:214], v253 offset0:48 offset1:49
	s_waitcnt lgkmcnt(0)
	v_mul_f64 v[125:126], v[213:214], v[127:128]
	v_fma_f64 v[125:126], v[211:212], v[209:210], -v[125:126]
	v_mul_f64 v[211:212], v[211:212], v[127:128]
	v_add_f64 v[117:118], v[117:118], -v[125:126]
	v_fma_f64 v[211:212], v[213:214], v[209:210], v[211:212]
	v_add_f64 v[119:120], v[119:120], -v[211:212]
	;; [unrolled: 8-line block ×30, first 2 shown]
	ds_read2_b64 v[211:214], v253 offset0:106 offset1:107
	s_waitcnt lgkmcnt(0)
	v_mul_f64 v[125:126], v[213:214], v[127:128]
	v_fma_f64 v[125:126], v[211:212], v[209:210], -v[125:126]
	v_mul_f64 v[211:212], v[211:212], v[127:128]
	v_add_f64 v[1:2], v[1:2], -v[125:126]
	v_fma_f64 v[211:212], v[213:214], v[209:210], v[211:212]
	v_mov_b32_e32 v125, v209
	v_mov_b32_e32 v126, v210
	v_add_f64 v[3:4], v[3:4], -v[211:212]
.LBB107_208:
	s_or_b32 exec_lo, exec_lo, s1
	s_mov_b32 s2, exec_lo
	s_waitcnt_vscnt null, 0x0
	s_barrier
	buffer_gl0_inv
	v_cmpx_eq_u32_e32 23, v0
	s_cbranch_execz .LBB107_215
; %bb.209:
	ds_write2_b64 v255, v[121:122], v[123:124] offset1:1
	ds_write2_b64 v253, v[117:118], v[119:120] offset0:48 offset1:49
	ds_write2_b64 v253, v[113:114], v[115:116] offset0:50 offset1:51
	;; [unrolled: 1-line block ×30, first 2 shown]
	ds_read2_b64 v[209:212], v255 offset1:1
	s_waitcnt lgkmcnt(0)
	v_cmp_neq_f64_e32 vcc_lo, 0, v[209:210]
	v_cmp_neq_f64_e64 s1, 0, v[211:212]
	s_or_b32 s1, vcc_lo, s1
	s_and_b32 exec_lo, exec_lo, s1
	s_cbranch_execz .LBB107_215
; %bb.210:
	v_cmp_ngt_f64_e64 s1, |v[209:210]|, |v[211:212]|
                                        ; implicit-def: $vgpr213_vgpr214
	s_and_saveexec_b32 s3, s1
	s_xor_b32 s1, exec_lo, s3
                                        ; implicit-def: $vgpr215_vgpr216
	s_cbranch_execz .LBB107_212
; %bb.211:
	v_div_scale_f64 v[213:214], null, v[211:212], v[211:212], v[209:210]
	v_div_scale_f64 v[219:220], vcc_lo, v[209:210], v[211:212], v[209:210]
	v_rcp_f64_e32 v[215:216], v[213:214]
	v_fma_f64 v[217:218], -v[213:214], v[215:216], 1.0
	v_fma_f64 v[215:216], v[215:216], v[217:218], v[215:216]
	v_fma_f64 v[217:218], -v[213:214], v[215:216], 1.0
	v_fma_f64 v[215:216], v[215:216], v[217:218], v[215:216]
	v_mul_f64 v[217:218], v[219:220], v[215:216]
	v_fma_f64 v[213:214], -v[213:214], v[217:218], v[219:220]
	v_div_fmas_f64 v[213:214], v[213:214], v[215:216], v[217:218]
	v_div_fixup_f64 v[213:214], v[213:214], v[211:212], v[209:210]
	v_fma_f64 v[209:210], v[209:210], v[213:214], v[211:212]
	v_div_scale_f64 v[211:212], null, v[209:210], v[209:210], 1.0
	v_rcp_f64_e32 v[215:216], v[211:212]
	v_fma_f64 v[217:218], -v[211:212], v[215:216], 1.0
	v_fma_f64 v[215:216], v[215:216], v[217:218], v[215:216]
	v_fma_f64 v[217:218], -v[211:212], v[215:216], 1.0
	v_fma_f64 v[215:216], v[215:216], v[217:218], v[215:216]
	v_div_scale_f64 v[217:218], vcc_lo, 1.0, v[209:210], 1.0
	v_mul_f64 v[219:220], v[217:218], v[215:216]
	v_fma_f64 v[211:212], -v[211:212], v[219:220], v[217:218]
	v_div_fmas_f64 v[211:212], v[211:212], v[215:216], v[219:220]
	v_div_fixup_f64 v[215:216], v[211:212], v[209:210], 1.0
                                        ; implicit-def: $vgpr209_vgpr210
	v_mul_f64 v[213:214], v[213:214], v[215:216]
	v_xor_b32_e32 v216, 0x80000000, v216
.LBB107_212:
	s_andn2_saveexec_b32 s1, s1
	s_cbranch_execz .LBB107_214
; %bb.213:
	v_div_scale_f64 v[213:214], null, v[209:210], v[209:210], v[211:212]
	v_div_scale_f64 v[219:220], vcc_lo, v[211:212], v[209:210], v[211:212]
	v_rcp_f64_e32 v[215:216], v[213:214]
	v_fma_f64 v[217:218], -v[213:214], v[215:216], 1.0
	v_fma_f64 v[215:216], v[215:216], v[217:218], v[215:216]
	v_fma_f64 v[217:218], -v[213:214], v[215:216], 1.0
	v_fma_f64 v[215:216], v[215:216], v[217:218], v[215:216]
	v_mul_f64 v[217:218], v[219:220], v[215:216]
	v_fma_f64 v[213:214], -v[213:214], v[217:218], v[219:220]
	v_div_fmas_f64 v[213:214], v[213:214], v[215:216], v[217:218]
	v_div_fixup_f64 v[215:216], v[213:214], v[209:210], v[211:212]
	v_fma_f64 v[209:210], v[211:212], v[215:216], v[209:210]
	v_div_scale_f64 v[211:212], null, v[209:210], v[209:210], 1.0
	v_rcp_f64_e32 v[213:214], v[211:212]
	v_fma_f64 v[217:218], -v[211:212], v[213:214], 1.0
	v_fma_f64 v[213:214], v[213:214], v[217:218], v[213:214]
	v_fma_f64 v[217:218], -v[211:212], v[213:214], 1.0
	v_fma_f64 v[213:214], v[213:214], v[217:218], v[213:214]
	v_div_scale_f64 v[217:218], vcc_lo, 1.0, v[209:210], 1.0
	v_mul_f64 v[219:220], v[217:218], v[213:214]
	v_fma_f64 v[211:212], -v[211:212], v[219:220], v[217:218]
	v_div_fmas_f64 v[211:212], v[211:212], v[213:214], v[219:220]
	v_div_fixup_f64 v[213:214], v[211:212], v[209:210], 1.0
	v_mul_f64 v[215:216], v[215:216], -v[213:214]
.LBB107_214:
	s_or_b32 exec_lo, exec_lo, s1
	ds_write2_b64 v255, v[213:214], v[215:216] offset1:1
.LBB107_215:
	s_or_b32 exec_lo, exec_lo, s2
	s_waitcnt lgkmcnt(0)
	s_barrier
	buffer_gl0_inv
	ds_read2_b64 v[209:212], v255 offset1:1
	s_mov_b32 s1, exec_lo
	s_waitcnt lgkmcnt(0)
	buffer_store_dword v209, off, s[16:19], 0 offset:848 ; 4-byte Folded Spill
	buffer_store_dword v210, off, s[16:19], 0 offset:852 ; 4-byte Folded Spill
	;; [unrolled: 1-line block ×4, first 2 shown]
	v_cmpx_lt_u32_e32 23, v0
	s_cbranch_execz .LBB107_217
; %bb.216:
	s_clause 0x3
	buffer_load_dword v211, off, s[16:19], 0 offset:848
	buffer_load_dword v212, off, s[16:19], 0 offset:852
	buffer_load_dword v213, off, s[16:19], 0 offset:856
	buffer_load_dword v214, off, s[16:19], 0 offset:860
	s_waitcnt vmcnt(0)
	v_mul_f64 v[209:210], v[213:214], v[123:124]
	v_mul_f64 v[123:124], v[211:212], v[123:124]
	v_fma_f64 v[209:210], v[211:212], v[121:122], -v[209:210]
	v_fma_f64 v[123:124], v[213:214], v[121:122], v[123:124]
	ds_read2_b64 v[211:214], v253 offset0:48 offset1:49
	s_waitcnt lgkmcnt(0)
	v_mul_f64 v[121:122], v[213:214], v[123:124]
	v_fma_f64 v[121:122], v[211:212], v[209:210], -v[121:122]
	v_mul_f64 v[211:212], v[211:212], v[123:124]
	v_add_f64 v[117:118], v[117:118], -v[121:122]
	v_fma_f64 v[211:212], v[213:214], v[209:210], v[211:212]
	v_add_f64 v[119:120], v[119:120], -v[211:212]
	ds_read2_b64 v[211:214], v253 offset0:50 offset1:51
	s_waitcnt lgkmcnt(0)
	v_mul_f64 v[121:122], v[213:214], v[123:124]
	v_fma_f64 v[121:122], v[211:212], v[209:210], -v[121:122]
	v_mul_f64 v[211:212], v[211:212], v[123:124]
	v_add_f64 v[113:114], v[113:114], -v[121:122]
	v_fma_f64 v[211:212], v[213:214], v[209:210], v[211:212]
	v_add_f64 v[115:116], v[115:116], -v[211:212]
	ds_read2_b64 v[211:214], v253 offset0:52 offset1:53
	s_waitcnt lgkmcnt(0)
	v_mul_f64 v[121:122], v[213:214], v[123:124]
	v_fma_f64 v[121:122], v[211:212], v[209:210], -v[121:122]
	v_mul_f64 v[211:212], v[211:212], v[123:124]
	v_add_f64 v[109:110], v[109:110], -v[121:122]
	v_fma_f64 v[211:212], v[213:214], v[209:210], v[211:212]
	v_add_f64 v[111:112], v[111:112], -v[211:212]
	ds_read2_b64 v[211:214], v253 offset0:54 offset1:55
	s_waitcnt lgkmcnt(0)
	v_mul_f64 v[121:122], v[213:214], v[123:124]
	v_fma_f64 v[121:122], v[211:212], v[209:210], -v[121:122]
	v_mul_f64 v[211:212], v[211:212], v[123:124]
	v_add_f64 v[105:106], v[105:106], -v[121:122]
	v_fma_f64 v[211:212], v[213:214], v[209:210], v[211:212]
	v_add_f64 v[107:108], v[107:108], -v[211:212]
	ds_read2_b64 v[211:214], v253 offset0:56 offset1:57
	s_waitcnt lgkmcnt(0)
	v_mul_f64 v[121:122], v[213:214], v[123:124]
	v_fma_f64 v[121:122], v[211:212], v[209:210], -v[121:122]
	v_mul_f64 v[211:212], v[211:212], v[123:124]
	v_add_f64 v[101:102], v[101:102], -v[121:122]
	v_fma_f64 v[211:212], v[213:214], v[209:210], v[211:212]
	v_add_f64 v[103:104], v[103:104], -v[211:212]
	ds_read2_b64 v[211:214], v253 offset0:58 offset1:59
	s_waitcnt lgkmcnt(0)
	v_mul_f64 v[121:122], v[213:214], v[123:124]
	v_fma_f64 v[121:122], v[211:212], v[209:210], -v[121:122]
	v_mul_f64 v[211:212], v[211:212], v[123:124]
	v_add_f64 v[97:98], v[97:98], -v[121:122]
	v_fma_f64 v[211:212], v[213:214], v[209:210], v[211:212]
	v_add_f64 v[99:100], v[99:100], -v[211:212]
	ds_read2_b64 v[211:214], v253 offset0:60 offset1:61
	s_waitcnt lgkmcnt(0)
	v_mul_f64 v[121:122], v[213:214], v[123:124]
	v_fma_f64 v[121:122], v[211:212], v[209:210], -v[121:122]
	v_mul_f64 v[211:212], v[211:212], v[123:124]
	v_add_f64 v[93:94], v[93:94], -v[121:122]
	v_fma_f64 v[211:212], v[213:214], v[209:210], v[211:212]
	v_add_f64 v[95:96], v[95:96], -v[211:212]
	ds_read2_b64 v[211:214], v253 offset0:62 offset1:63
	s_waitcnt lgkmcnt(0)
	v_mul_f64 v[121:122], v[213:214], v[123:124]
	v_fma_f64 v[121:122], v[211:212], v[209:210], -v[121:122]
	v_mul_f64 v[211:212], v[211:212], v[123:124]
	v_add_f64 v[89:90], v[89:90], -v[121:122]
	v_fma_f64 v[211:212], v[213:214], v[209:210], v[211:212]
	v_add_f64 v[91:92], v[91:92], -v[211:212]
	ds_read2_b64 v[211:214], v253 offset0:64 offset1:65
	s_waitcnt lgkmcnt(0)
	v_mul_f64 v[121:122], v[213:214], v[123:124]
	v_fma_f64 v[121:122], v[211:212], v[209:210], -v[121:122]
	v_mul_f64 v[211:212], v[211:212], v[123:124]
	v_add_f64 v[85:86], v[85:86], -v[121:122]
	v_fma_f64 v[211:212], v[213:214], v[209:210], v[211:212]
	v_add_f64 v[87:88], v[87:88], -v[211:212]
	ds_read2_b64 v[211:214], v253 offset0:66 offset1:67
	s_waitcnt lgkmcnt(0)
	v_mul_f64 v[121:122], v[213:214], v[123:124]
	v_fma_f64 v[121:122], v[211:212], v[209:210], -v[121:122]
	v_mul_f64 v[211:212], v[211:212], v[123:124]
	v_add_f64 v[81:82], v[81:82], -v[121:122]
	v_fma_f64 v[211:212], v[213:214], v[209:210], v[211:212]
	v_add_f64 v[83:84], v[83:84], -v[211:212]
	ds_read2_b64 v[211:214], v253 offset0:68 offset1:69
	s_waitcnt lgkmcnt(0)
	v_mul_f64 v[121:122], v[213:214], v[123:124]
	v_fma_f64 v[121:122], v[211:212], v[209:210], -v[121:122]
	v_mul_f64 v[211:212], v[211:212], v[123:124]
	v_add_f64 v[77:78], v[77:78], -v[121:122]
	v_fma_f64 v[211:212], v[213:214], v[209:210], v[211:212]
	v_add_f64 v[79:80], v[79:80], -v[211:212]
	ds_read2_b64 v[211:214], v253 offset0:70 offset1:71
	s_waitcnt lgkmcnt(0)
	v_mul_f64 v[121:122], v[213:214], v[123:124]
	v_fma_f64 v[121:122], v[211:212], v[209:210], -v[121:122]
	v_mul_f64 v[211:212], v[211:212], v[123:124]
	v_add_f64 v[73:74], v[73:74], -v[121:122]
	v_fma_f64 v[211:212], v[213:214], v[209:210], v[211:212]
	v_add_f64 v[75:76], v[75:76], -v[211:212]
	ds_read2_b64 v[211:214], v253 offset0:72 offset1:73
	s_waitcnt lgkmcnt(0)
	v_mul_f64 v[121:122], v[213:214], v[123:124]
	v_fma_f64 v[121:122], v[211:212], v[209:210], -v[121:122]
	v_mul_f64 v[211:212], v[211:212], v[123:124]
	v_add_f64 v[69:70], v[69:70], -v[121:122]
	v_fma_f64 v[211:212], v[213:214], v[209:210], v[211:212]
	v_add_f64 v[71:72], v[71:72], -v[211:212]
	ds_read2_b64 v[211:214], v253 offset0:74 offset1:75
	s_waitcnt lgkmcnt(0)
	v_mul_f64 v[121:122], v[213:214], v[123:124]
	v_fma_f64 v[121:122], v[211:212], v[209:210], -v[121:122]
	v_mul_f64 v[211:212], v[211:212], v[123:124]
	v_add_f64 v[65:66], v[65:66], -v[121:122]
	v_fma_f64 v[211:212], v[213:214], v[209:210], v[211:212]
	v_add_f64 v[67:68], v[67:68], -v[211:212]
	ds_read2_b64 v[211:214], v253 offset0:76 offset1:77
	s_waitcnt lgkmcnt(0)
	v_mul_f64 v[121:122], v[213:214], v[123:124]
	v_fma_f64 v[121:122], v[211:212], v[209:210], -v[121:122]
	v_mul_f64 v[211:212], v[211:212], v[123:124]
	v_add_f64 v[61:62], v[61:62], -v[121:122]
	v_fma_f64 v[211:212], v[213:214], v[209:210], v[211:212]
	v_add_f64 v[63:64], v[63:64], -v[211:212]
	ds_read2_b64 v[211:214], v253 offset0:78 offset1:79
	s_waitcnt lgkmcnt(0)
	v_mul_f64 v[121:122], v[213:214], v[123:124]
	v_fma_f64 v[121:122], v[211:212], v[209:210], -v[121:122]
	v_mul_f64 v[211:212], v[211:212], v[123:124]
	v_add_f64 v[57:58], v[57:58], -v[121:122]
	v_fma_f64 v[211:212], v[213:214], v[209:210], v[211:212]
	v_add_f64 v[59:60], v[59:60], -v[211:212]
	ds_read2_b64 v[211:214], v253 offset0:80 offset1:81
	s_waitcnt lgkmcnt(0)
	v_mul_f64 v[121:122], v[213:214], v[123:124]
	v_fma_f64 v[121:122], v[211:212], v[209:210], -v[121:122]
	v_mul_f64 v[211:212], v[211:212], v[123:124]
	v_add_f64 v[53:54], v[53:54], -v[121:122]
	v_fma_f64 v[211:212], v[213:214], v[209:210], v[211:212]
	v_add_f64 v[55:56], v[55:56], -v[211:212]
	ds_read2_b64 v[211:214], v253 offset0:82 offset1:83
	s_waitcnt lgkmcnt(0)
	v_mul_f64 v[121:122], v[213:214], v[123:124]
	v_fma_f64 v[121:122], v[211:212], v[209:210], -v[121:122]
	v_mul_f64 v[211:212], v[211:212], v[123:124]
	v_add_f64 v[49:50], v[49:50], -v[121:122]
	v_fma_f64 v[211:212], v[213:214], v[209:210], v[211:212]
	v_add_f64 v[51:52], v[51:52], -v[211:212]
	ds_read2_b64 v[211:214], v253 offset0:84 offset1:85
	s_waitcnt lgkmcnt(0)
	v_mul_f64 v[121:122], v[213:214], v[123:124]
	v_fma_f64 v[121:122], v[211:212], v[209:210], -v[121:122]
	v_mul_f64 v[211:212], v[211:212], v[123:124]
	v_add_f64 v[45:46], v[45:46], -v[121:122]
	v_fma_f64 v[211:212], v[213:214], v[209:210], v[211:212]
	v_add_f64 v[47:48], v[47:48], -v[211:212]
	ds_read2_b64 v[211:214], v253 offset0:86 offset1:87
	s_waitcnt lgkmcnt(0)
	v_mul_f64 v[121:122], v[213:214], v[123:124]
	v_fma_f64 v[121:122], v[211:212], v[209:210], -v[121:122]
	v_mul_f64 v[211:212], v[211:212], v[123:124]
	v_add_f64 v[41:42], v[41:42], -v[121:122]
	v_fma_f64 v[211:212], v[213:214], v[209:210], v[211:212]
	v_add_f64 v[43:44], v[43:44], -v[211:212]
	ds_read2_b64 v[211:214], v253 offset0:88 offset1:89
	s_waitcnt lgkmcnt(0)
	v_mul_f64 v[121:122], v[213:214], v[123:124]
	v_fma_f64 v[121:122], v[211:212], v[209:210], -v[121:122]
	v_mul_f64 v[211:212], v[211:212], v[123:124]
	v_add_f64 v[37:38], v[37:38], -v[121:122]
	v_fma_f64 v[211:212], v[213:214], v[209:210], v[211:212]
	v_add_f64 v[39:40], v[39:40], -v[211:212]
	ds_read2_b64 v[211:214], v253 offset0:90 offset1:91
	s_waitcnt lgkmcnt(0)
	v_mul_f64 v[121:122], v[213:214], v[123:124]
	v_fma_f64 v[121:122], v[211:212], v[209:210], -v[121:122]
	v_mul_f64 v[211:212], v[211:212], v[123:124]
	v_add_f64 v[33:34], v[33:34], -v[121:122]
	v_fma_f64 v[211:212], v[213:214], v[209:210], v[211:212]
	v_add_f64 v[35:36], v[35:36], -v[211:212]
	ds_read2_b64 v[211:214], v253 offset0:92 offset1:93
	s_waitcnt lgkmcnt(0)
	v_mul_f64 v[121:122], v[213:214], v[123:124]
	v_fma_f64 v[121:122], v[211:212], v[209:210], -v[121:122]
	v_mul_f64 v[211:212], v[211:212], v[123:124]
	v_add_f64 v[29:30], v[29:30], -v[121:122]
	v_fma_f64 v[211:212], v[213:214], v[209:210], v[211:212]
	v_add_f64 v[31:32], v[31:32], -v[211:212]
	ds_read2_b64 v[211:214], v253 offset0:94 offset1:95
	s_waitcnt lgkmcnt(0)
	v_mul_f64 v[121:122], v[213:214], v[123:124]
	v_fma_f64 v[121:122], v[211:212], v[209:210], -v[121:122]
	v_mul_f64 v[211:212], v[211:212], v[123:124]
	v_add_f64 v[25:26], v[25:26], -v[121:122]
	v_fma_f64 v[211:212], v[213:214], v[209:210], v[211:212]
	v_add_f64 v[27:28], v[27:28], -v[211:212]
	ds_read2_b64 v[211:214], v253 offset0:96 offset1:97
	s_waitcnt lgkmcnt(0)
	v_mul_f64 v[121:122], v[213:214], v[123:124]
	v_fma_f64 v[121:122], v[211:212], v[209:210], -v[121:122]
	v_mul_f64 v[211:212], v[211:212], v[123:124]
	v_add_f64 v[21:22], v[21:22], -v[121:122]
	v_fma_f64 v[211:212], v[213:214], v[209:210], v[211:212]
	v_add_f64 v[23:24], v[23:24], -v[211:212]
	ds_read2_b64 v[211:214], v253 offset0:98 offset1:99
	s_waitcnt lgkmcnt(0)
	v_mul_f64 v[121:122], v[213:214], v[123:124]
	v_fma_f64 v[121:122], v[211:212], v[209:210], -v[121:122]
	v_mul_f64 v[211:212], v[211:212], v[123:124]
	v_add_f64 v[17:18], v[17:18], -v[121:122]
	v_fma_f64 v[211:212], v[213:214], v[209:210], v[211:212]
	v_add_f64 v[19:20], v[19:20], -v[211:212]
	ds_read2_b64 v[211:214], v253 offset0:100 offset1:101
	s_waitcnt lgkmcnt(0)
	v_mul_f64 v[121:122], v[213:214], v[123:124]
	v_fma_f64 v[121:122], v[211:212], v[209:210], -v[121:122]
	v_mul_f64 v[211:212], v[211:212], v[123:124]
	v_add_f64 v[13:14], v[13:14], -v[121:122]
	v_fma_f64 v[211:212], v[213:214], v[209:210], v[211:212]
	v_add_f64 v[15:16], v[15:16], -v[211:212]
	ds_read2_b64 v[211:214], v253 offset0:102 offset1:103
	s_waitcnt lgkmcnt(0)
	v_mul_f64 v[121:122], v[213:214], v[123:124]
	v_fma_f64 v[121:122], v[211:212], v[209:210], -v[121:122]
	v_mul_f64 v[211:212], v[211:212], v[123:124]
	v_add_f64 v[9:10], v[9:10], -v[121:122]
	v_fma_f64 v[211:212], v[213:214], v[209:210], v[211:212]
	v_add_f64 v[11:12], v[11:12], -v[211:212]
	ds_read2_b64 v[211:214], v253 offset0:104 offset1:105
	s_waitcnt lgkmcnt(0)
	v_mul_f64 v[121:122], v[213:214], v[123:124]
	v_fma_f64 v[121:122], v[211:212], v[209:210], -v[121:122]
	v_mul_f64 v[211:212], v[211:212], v[123:124]
	v_add_f64 v[5:6], v[5:6], -v[121:122]
	v_fma_f64 v[211:212], v[213:214], v[209:210], v[211:212]
	v_add_f64 v[7:8], v[7:8], -v[211:212]
	ds_read2_b64 v[211:214], v253 offset0:106 offset1:107
	s_waitcnt lgkmcnt(0)
	v_mul_f64 v[121:122], v[213:214], v[123:124]
	v_fma_f64 v[121:122], v[211:212], v[209:210], -v[121:122]
	v_mul_f64 v[211:212], v[211:212], v[123:124]
	v_add_f64 v[1:2], v[1:2], -v[121:122]
	v_fma_f64 v[211:212], v[213:214], v[209:210], v[211:212]
	v_mov_b32_e32 v121, v209
	v_mov_b32_e32 v122, v210
	v_add_f64 v[3:4], v[3:4], -v[211:212]
.LBB107_217:
	s_or_b32 exec_lo, exec_lo, s1
	s_mov_b32 s2, exec_lo
	s_waitcnt_vscnt null, 0x0
	s_barrier
	buffer_gl0_inv
	v_cmpx_eq_u32_e32 24, v0
	s_cbranch_execz .LBB107_224
; %bb.218:
	ds_write2_b64 v255, v[117:118], v[119:120] offset1:1
	ds_write2_b64 v253, v[113:114], v[115:116] offset0:50 offset1:51
	ds_write2_b64 v253, v[109:110], v[111:112] offset0:52 offset1:53
	ds_write2_b64 v253, v[105:106], v[107:108] offset0:54 offset1:55
	ds_write2_b64 v253, v[101:102], v[103:104] offset0:56 offset1:57
	ds_write2_b64 v253, v[97:98], v[99:100] offset0:58 offset1:59
	ds_write2_b64 v253, v[93:94], v[95:96] offset0:60 offset1:61
	ds_write2_b64 v253, v[89:90], v[91:92] offset0:62 offset1:63
	ds_write2_b64 v253, v[85:86], v[87:88] offset0:64 offset1:65
	ds_write2_b64 v253, v[81:82], v[83:84] offset0:66 offset1:67
	ds_write2_b64 v253, v[77:78], v[79:80] offset0:68 offset1:69
	ds_write2_b64 v253, v[73:74], v[75:76] offset0:70 offset1:71
	ds_write2_b64 v253, v[69:70], v[71:72] offset0:72 offset1:73
	ds_write2_b64 v253, v[65:66], v[67:68] offset0:74 offset1:75
	ds_write2_b64 v253, v[61:62], v[63:64] offset0:76 offset1:77
	ds_write2_b64 v253, v[57:58], v[59:60] offset0:78 offset1:79
	ds_write2_b64 v253, v[53:54], v[55:56] offset0:80 offset1:81
	ds_write2_b64 v253, v[49:50], v[51:52] offset0:82 offset1:83
	ds_write2_b64 v253, v[45:46], v[47:48] offset0:84 offset1:85
	ds_write2_b64 v253, v[41:42], v[43:44] offset0:86 offset1:87
	ds_write2_b64 v253, v[37:38], v[39:40] offset0:88 offset1:89
	ds_write2_b64 v253, v[33:34], v[35:36] offset0:90 offset1:91
	ds_write2_b64 v253, v[29:30], v[31:32] offset0:92 offset1:93
	ds_write2_b64 v253, v[25:26], v[27:28] offset0:94 offset1:95
	ds_write2_b64 v253, v[21:22], v[23:24] offset0:96 offset1:97
	ds_write2_b64 v253, v[17:18], v[19:20] offset0:98 offset1:99
	ds_write2_b64 v253, v[13:14], v[15:16] offset0:100 offset1:101
	ds_write2_b64 v253, v[9:10], v[11:12] offset0:102 offset1:103
	ds_write2_b64 v253, v[5:6], v[7:8] offset0:104 offset1:105
	ds_write2_b64 v253, v[1:2], v[3:4] offset0:106 offset1:107
	ds_read2_b64 v[209:212], v255 offset1:1
	s_waitcnt lgkmcnt(0)
	v_cmp_neq_f64_e32 vcc_lo, 0, v[209:210]
	v_cmp_neq_f64_e64 s1, 0, v[211:212]
	s_or_b32 s1, vcc_lo, s1
	s_and_b32 exec_lo, exec_lo, s1
	s_cbranch_execz .LBB107_224
; %bb.219:
	v_cmp_ngt_f64_e64 s1, |v[209:210]|, |v[211:212]|
                                        ; implicit-def: $vgpr213_vgpr214
	s_and_saveexec_b32 s3, s1
	s_xor_b32 s1, exec_lo, s3
                                        ; implicit-def: $vgpr215_vgpr216
	s_cbranch_execz .LBB107_221
; %bb.220:
	v_div_scale_f64 v[213:214], null, v[211:212], v[211:212], v[209:210]
	v_div_scale_f64 v[219:220], vcc_lo, v[209:210], v[211:212], v[209:210]
	v_rcp_f64_e32 v[215:216], v[213:214]
	v_fma_f64 v[217:218], -v[213:214], v[215:216], 1.0
	v_fma_f64 v[215:216], v[215:216], v[217:218], v[215:216]
	v_fma_f64 v[217:218], -v[213:214], v[215:216], 1.0
	v_fma_f64 v[215:216], v[215:216], v[217:218], v[215:216]
	v_mul_f64 v[217:218], v[219:220], v[215:216]
	v_fma_f64 v[213:214], -v[213:214], v[217:218], v[219:220]
	v_div_fmas_f64 v[213:214], v[213:214], v[215:216], v[217:218]
	v_div_fixup_f64 v[213:214], v[213:214], v[211:212], v[209:210]
	v_fma_f64 v[209:210], v[209:210], v[213:214], v[211:212]
	v_div_scale_f64 v[211:212], null, v[209:210], v[209:210], 1.0
	v_rcp_f64_e32 v[215:216], v[211:212]
	v_fma_f64 v[217:218], -v[211:212], v[215:216], 1.0
	v_fma_f64 v[215:216], v[215:216], v[217:218], v[215:216]
	v_fma_f64 v[217:218], -v[211:212], v[215:216], 1.0
	v_fma_f64 v[215:216], v[215:216], v[217:218], v[215:216]
	v_div_scale_f64 v[217:218], vcc_lo, 1.0, v[209:210], 1.0
	v_mul_f64 v[219:220], v[217:218], v[215:216]
	v_fma_f64 v[211:212], -v[211:212], v[219:220], v[217:218]
	v_div_fmas_f64 v[211:212], v[211:212], v[215:216], v[219:220]
	v_div_fixup_f64 v[215:216], v[211:212], v[209:210], 1.0
                                        ; implicit-def: $vgpr209_vgpr210
	v_mul_f64 v[213:214], v[213:214], v[215:216]
	v_xor_b32_e32 v216, 0x80000000, v216
.LBB107_221:
	s_andn2_saveexec_b32 s1, s1
	s_cbranch_execz .LBB107_223
; %bb.222:
	v_div_scale_f64 v[213:214], null, v[209:210], v[209:210], v[211:212]
	v_div_scale_f64 v[219:220], vcc_lo, v[211:212], v[209:210], v[211:212]
	v_rcp_f64_e32 v[215:216], v[213:214]
	v_fma_f64 v[217:218], -v[213:214], v[215:216], 1.0
	v_fma_f64 v[215:216], v[215:216], v[217:218], v[215:216]
	v_fma_f64 v[217:218], -v[213:214], v[215:216], 1.0
	v_fma_f64 v[215:216], v[215:216], v[217:218], v[215:216]
	v_mul_f64 v[217:218], v[219:220], v[215:216]
	v_fma_f64 v[213:214], -v[213:214], v[217:218], v[219:220]
	v_div_fmas_f64 v[213:214], v[213:214], v[215:216], v[217:218]
	v_div_fixup_f64 v[215:216], v[213:214], v[209:210], v[211:212]
	v_fma_f64 v[209:210], v[211:212], v[215:216], v[209:210]
	v_div_scale_f64 v[211:212], null, v[209:210], v[209:210], 1.0
	v_rcp_f64_e32 v[213:214], v[211:212]
	v_fma_f64 v[217:218], -v[211:212], v[213:214], 1.0
	v_fma_f64 v[213:214], v[213:214], v[217:218], v[213:214]
	v_fma_f64 v[217:218], -v[211:212], v[213:214], 1.0
	v_fma_f64 v[213:214], v[213:214], v[217:218], v[213:214]
	v_div_scale_f64 v[217:218], vcc_lo, 1.0, v[209:210], 1.0
	v_mul_f64 v[219:220], v[217:218], v[213:214]
	v_fma_f64 v[211:212], -v[211:212], v[219:220], v[217:218]
	v_div_fmas_f64 v[211:212], v[211:212], v[213:214], v[219:220]
	v_div_fixup_f64 v[213:214], v[211:212], v[209:210], 1.0
	v_mul_f64 v[215:216], v[215:216], -v[213:214]
.LBB107_223:
	s_or_b32 exec_lo, exec_lo, s1
	ds_write2_b64 v255, v[213:214], v[215:216] offset1:1
.LBB107_224:
	s_or_b32 exec_lo, exec_lo, s2
	s_waitcnt lgkmcnt(0)
	s_barrier
	buffer_gl0_inv
	ds_read2_b64 v[209:212], v255 offset1:1
	s_mov_b32 s1, exec_lo
	s_waitcnt lgkmcnt(0)
	buffer_store_dword v209, off, s[16:19], 0 offset:864 ; 4-byte Folded Spill
	buffer_store_dword v210, off, s[16:19], 0 offset:868 ; 4-byte Folded Spill
	;; [unrolled: 1-line block ×4, first 2 shown]
	v_cmpx_lt_u32_e32 24, v0
	s_cbranch_execz .LBB107_226
; %bb.225:
	s_clause 0x3
	buffer_load_dword v211, off, s[16:19], 0 offset:864
	buffer_load_dword v212, off, s[16:19], 0 offset:868
	;; [unrolled: 1-line block ×4, first 2 shown]
	s_waitcnt vmcnt(0)
	v_mul_f64 v[209:210], v[213:214], v[119:120]
	v_mul_f64 v[119:120], v[211:212], v[119:120]
	v_fma_f64 v[209:210], v[211:212], v[117:118], -v[209:210]
	v_fma_f64 v[119:120], v[213:214], v[117:118], v[119:120]
	ds_read2_b64 v[211:214], v253 offset0:50 offset1:51
	s_waitcnt lgkmcnt(0)
	v_mul_f64 v[117:118], v[213:214], v[119:120]
	v_fma_f64 v[117:118], v[211:212], v[209:210], -v[117:118]
	v_mul_f64 v[211:212], v[211:212], v[119:120]
	v_add_f64 v[113:114], v[113:114], -v[117:118]
	v_fma_f64 v[211:212], v[213:214], v[209:210], v[211:212]
	v_add_f64 v[115:116], v[115:116], -v[211:212]
	ds_read2_b64 v[211:214], v253 offset0:52 offset1:53
	s_waitcnt lgkmcnt(0)
	v_mul_f64 v[117:118], v[213:214], v[119:120]
	v_fma_f64 v[117:118], v[211:212], v[209:210], -v[117:118]
	v_mul_f64 v[211:212], v[211:212], v[119:120]
	v_add_f64 v[109:110], v[109:110], -v[117:118]
	v_fma_f64 v[211:212], v[213:214], v[209:210], v[211:212]
	v_add_f64 v[111:112], v[111:112], -v[211:212]
	ds_read2_b64 v[211:214], v253 offset0:54 offset1:55
	s_waitcnt lgkmcnt(0)
	v_mul_f64 v[117:118], v[213:214], v[119:120]
	v_fma_f64 v[117:118], v[211:212], v[209:210], -v[117:118]
	v_mul_f64 v[211:212], v[211:212], v[119:120]
	v_add_f64 v[105:106], v[105:106], -v[117:118]
	v_fma_f64 v[211:212], v[213:214], v[209:210], v[211:212]
	v_add_f64 v[107:108], v[107:108], -v[211:212]
	ds_read2_b64 v[211:214], v253 offset0:56 offset1:57
	s_waitcnt lgkmcnt(0)
	v_mul_f64 v[117:118], v[213:214], v[119:120]
	v_fma_f64 v[117:118], v[211:212], v[209:210], -v[117:118]
	v_mul_f64 v[211:212], v[211:212], v[119:120]
	v_add_f64 v[101:102], v[101:102], -v[117:118]
	v_fma_f64 v[211:212], v[213:214], v[209:210], v[211:212]
	v_add_f64 v[103:104], v[103:104], -v[211:212]
	ds_read2_b64 v[211:214], v253 offset0:58 offset1:59
	s_waitcnt lgkmcnt(0)
	v_mul_f64 v[117:118], v[213:214], v[119:120]
	v_fma_f64 v[117:118], v[211:212], v[209:210], -v[117:118]
	v_mul_f64 v[211:212], v[211:212], v[119:120]
	v_add_f64 v[97:98], v[97:98], -v[117:118]
	v_fma_f64 v[211:212], v[213:214], v[209:210], v[211:212]
	v_add_f64 v[99:100], v[99:100], -v[211:212]
	ds_read2_b64 v[211:214], v253 offset0:60 offset1:61
	s_waitcnt lgkmcnt(0)
	v_mul_f64 v[117:118], v[213:214], v[119:120]
	v_fma_f64 v[117:118], v[211:212], v[209:210], -v[117:118]
	v_mul_f64 v[211:212], v[211:212], v[119:120]
	v_add_f64 v[93:94], v[93:94], -v[117:118]
	v_fma_f64 v[211:212], v[213:214], v[209:210], v[211:212]
	v_add_f64 v[95:96], v[95:96], -v[211:212]
	ds_read2_b64 v[211:214], v253 offset0:62 offset1:63
	s_waitcnt lgkmcnt(0)
	v_mul_f64 v[117:118], v[213:214], v[119:120]
	v_fma_f64 v[117:118], v[211:212], v[209:210], -v[117:118]
	v_mul_f64 v[211:212], v[211:212], v[119:120]
	v_add_f64 v[89:90], v[89:90], -v[117:118]
	v_fma_f64 v[211:212], v[213:214], v[209:210], v[211:212]
	v_add_f64 v[91:92], v[91:92], -v[211:212]
	ds_read2_b64 v[211:214], v253 offset0:64 offset1:65
	s_waitcnt lgkmcnt(0)
	v_mul_f64 v[117:118], v[213:214], v[119:120]
	v_fma_f64 v[117:118], v[211:212], v[209:210], -v[117:118]
	v_mul_f64 v[211:212], v[211:212], v[119:120]
	v_add_f64 v[85:86], v[85:86], -v[117:118]
	v_fma_f64 v[211:212], v[213:214], v[209:210], v[211:212]
	v_add_f64 v[87:88], v[87:88], -v[211:212]
	ds_read2_b64 v[211:214], v253 offset0:66 offset1:67
	s_waitcnt lgkmcnt(0)
	v_mul_f64 v[117:118], v[213:214], v[119:120]
	v_fma_f64 v[117:118], v[211:212], v[209:210], -v[117:118]
	v_mul_f64 v[211:212], v[211:212], v[119:120]
	v_add_f64 v[81:82], v[81:82], -v[117:118]
	v_fma_f64 v[211:212], v[213:214], v[209:210], v[211:212]
	v_add_f64 v[83:84], v[83:84], -v[211:212]
	ds_read2_b64 v[211:214], v253 offset0:68 offset1:69
	s_waitcnt lgkmcnt(0)
	v_mul_f64 v[117:118], v[213:214], v[119:120]
	v_fma_f64 v[117:118], v[211:212], v[209:210], -v[117:118]
	v_mul_f64 v[211:212], v[211:212], v[119:120]
	v_add_f64 v[77:78], v[77:78], -v[117:118]
	v_fma_f64 v[211:212], v[213:214], v[209:210], v[211:212]
	v_add_f64 v[79:80], v[79:80], -v[211:212]
	ds_read2_b64 v[211:214], v253 offset0:70 offset1:71
	s_waitcnt lgkmcnt(0)
	v_mul_f64 v[117:118], v[213:214], v[119:120]
	v_fma_f64 v[117:118], v[211:212], v[209:210], -v[117:118]
	v_mul_f64 v[211:212], v[211:212], v[119:120]
	v_add_f64 v[73:74], v[73:74], -v[117:118]
	v_fma_f64 v[211:212], v[213:214], v[209:210], v[211:212]
	v_add_f64 v[75:76], v[75:76], -v[211:212]
	ds_read2_b64 v[211:214], v253 offset0:72 offset1:73
	s_waitcnt lgkmcnt(0)
	v_mul_f64 v[117:118], v[213:214], v[119:120]
	v_fma_f64 v[117:118], v[211:212], v[209:210], -v[117:118]
	v_mul_f64 v[211:212], v[211:212], v[119:120]
	v_add_f64 v[69:70], v[69:70], -v[117:118]
	v_fma_f64 v[211:212], v[213:214], v[209:210], v[211:212]
	v_add_f64 v[71:72], v[71:72], -v[211:212]
	ds_read2_b64 v[211:214], v253 offset0:74 offset1:75
	s_waitcnt lgkmcnt(0)
	v_mul_f64 v[117:118], v[213:214], v[119:120]
	v_fma_f64 v[117:118], v[211:212], v[209:210], -v[117:118]
	v_mul_f64 v[211:212], v[211:212], v[119:120]
	v_add_f64 v[65:66], v[65:66], -v[117:118]
	v_fma_f64 v[211:212], v[213:214], v[209:210], v[211:212]
	v_add_f64 v[67:68], v[67:68], -v[211:212]
	ds_read2_b64 v[211:214], v253 offset0:76 offset1:77
	s_waitcnt lgkmcnt(0)
	v_mul_f64 v[117:118], v[213:214], v[119:120]
	v_fma_f64 v[117:118], v[211:212], v[209:210], -v[117:118]
	v_mul_f64 v[211:212], v[211:212], v[119:120]
	v_add_f64 v[61:62], v[61:62], -v[117:118]
	v_fma_f64 v[211:212], v[213:214], v[209:210], v[211:212]
	v_add_f64 v[63:64], v[63:64], -v[211:212]
	ds_read2_b64 v[211:214], v253 offset0:78 offset1:79
	s_waitcnt lgkmcnt(0)
	v_mul_f64 v[117:118], v[213:214], v[119:120]
	v_fma_f64 v[117:118], v[211:212], v[209:210], -v[117:118]
	v_mul_f64 v[211:212], v[211:212], v[119:120]
	v_add_f64 v[57:58], v[57:58], -v[117:118]
	v_fma_f64 v[211:212], v[213:214], v[209:210], v[211:212]
	v_add_f64 v[59:60], v[59:60], -v[211:212]
	ds_read2_b64 v[211:214], v253 offset0:80 offset1:81
	s_waitcnt lgkmcnt(0)
	v_mul_f64 v[117:118], v[213:214], v[119:120]
	v_fma_f64 v[117:118], v[211:212], v[209:210], -v[117:118]
	v_mul_f64 v[211:212], v[211:212], v[119:120]
	v_add_f64 v[53:54], v[53:54], -v[117:118]
	v_fma_f64 v[211:212], v[213:214], v[209:210], v[211:212]
	v_add_f64 v[55:56], v[55:56], -v[211:212]
	ds_read2_b64 v[211:214], v253 offset0:82 offset1:83
	s_waitcnt lgkmcnt(0)
	v_mul_f64 v[117:118], v[213:214], v[119:120]
	v_fma_f64 v[117:118], v[211:212], v[209:210], -v[117:118]
	v_mul_f64 v[211:212], v[211:212], v[119:120]
	v_add_f64 v[49:50], v[49:50], -v[117:118]
	v_fma_f64 v[211:212], v[213:214], v[209:210], v[211:212]
	v_add_f64 v[51:52], v[51:52], -v[211:212]
	ds_read2_b64 v[211:214], v253 offset0:84 offset1:85
	s_waitcnt lgkmcnt(0)
	v_mul_f64 v[117:118], v[213:214], v[119:120]
	v_fma_f64 v[117:118], v[211:212], v[209:210], -v[117:118]
	v_mul_f64 v[211:212], v[211:212], v[119:120]
	v_add_f64 v[45:46], v[45:46], -v[117:118]
	v_fma_f64 v[211:212], v[213:214], v[209:210], v[211:212]
	v_add_f64 v[47:48], v[47:48], -v[211:212]
	ds_read2_b64 v[211:214], v253 offset0:86 offset1:87
	s_waitcnt lgkmcnt(0)
	v_mul_f64 v[117:118], v[213:214], v[119:120]
	v_fma_f64 v[117:118], v[211:212], v[209:210], -v[117:118]
	v_mul_f64 v[211:212], v[211:212], v[119:120]
	v_add_f64 v[41:42], v[41:42], -v[117:118]
	v_fma_f64 v[211:212], v[213:214], v[209:210], v[211:212]
	v_add_f64 v[43:44], v[43:44], -v[211:212]
	ds_read2_b64 v[211:214], v253 offset0:88 offset1:89
	s_waitcnt lgkmcnt(0)
	v_mul_f64 v[117:118], v[213:214], v[119:120]
	v_fma_f64 v[117:118], v[211:212], v[209:210], -v[117:118]
	v_mul_f64 v[211:212], v[211:212], v[119:120]
	v_add_f64 v[37:38], v[37:38], -v[117:118]
	v_fma_f64 v[211:212], v[213:214], v[209:210], v[211:212]
	v_add_f64 v[39:40], v[39:40], -v[211:212]
	ds_read2_b64 v[211:214], v253 offset0:90 offset1:91
	s_waitcnt lgkmcnt(0)
	v_mul_f64 v[117:118], v[213:214], v[119:120]
	v_fma_f64 v[117:118], v[211:212], v[209:210], -v[117:118]
	v_mul_f64 v[211:212], v[211:212], v[119:120]
	v_add_f64 v[33:34], v[33:34], -v[117:118]
	v_fma_f64 v[211:212], v[213:214], v[209:210], v[211:212]
	v_add_f64 v[35:36], v[35:36], -v[211:212]
	ds_read2_b64 v[211:214], v253 offset0:92 offset1:93
	s_waitcnt lgkmcnt(0)
	v_mul_f64 v[117:118], v[213:214], v[119:120]
	v_fma_f64 v[117:118], v[211:212], v[209:210], -v[117:118]
	v_mul_f64 v[211:212], v[211:212], v[119:120]
	v_add_f64 v[29:30], v[29:30], -v[117:118]
	v_fma_f64 v[211:212], v[213:214], v[209:210], v[211:212]
	v_add_f64 v[31:32], v[31:32], -v[211:212]
	ds_read2_b64 v[211:214], v253 offset0:94 offset1:95
	s_waitcnt lgkmcnt(0)
	v_mul_f64 v[117:118], v[213:214], v[119:120]
	v_fma_f64 v[117:118], v[211:212], v[209:210], -v[117:118]
	v_mul_f64 v[211:212], v[211:212], v[119:120]
	v_add_f64 v[25:26], v[25:26], -v[117:118]
	v_fma_f64 v[211:212], v[213:214], v[209:210], v[211:212]
	v_add_f64 v[27:28], v[27:28], -v[211:212]
	ds_read2_b64 v[211:214], v253 offset0:96 offset1:97
	s_waitcnt lgkmcnt(0)
	v_mul_f64 v[117:118], v[213:214], v[119:120]
	v_fma_f64 v[117:118], v[211:212], v[209:210], -v[117:118]
	v_mul_f64 v[211:212], v[211:212], v[119:120]
	v_add_f64 v[21:22], v[21:22], -v[117:118]
	v_fma_f64 v[211:212], v[213:214], v[209:210], v[211:212]
	v_add_f64 v[23:24], v[23:24], -v[211:212]
	ds_read2_b64 v[211:214], v253 offset0:98 offset1:99
	s_waitcnt lgkmcnt(0)
	v_mul_f64 v[117:118], v[213:214], v[119:120]
	v_fma_f64 v[117:118], v[211:212], v[209:210], -v[117:118]
	v_mul_f64 v[211:212], v[211:212], v[119:120]
	v_add_f64 v[17:18], v[17:18], -v[117:118]
	v_fma_f64 v[211:212], v[213:214], v[209:210], v[211:212]
	v_add_f64 v[19:20], v[19:20], -v[211:212]
	ds_read2_b64 v[211:214], v253 offset0:100 offset1:101
	s_waitcnt lgkmcnt(0)
	v_mul_f64 v[117:118], v[213:214], v[119:120]
	v_fma_f64 v[117:118], v[211:212], v[209:210], -v[117:118]
	v_mul_f64 v[211:212], v[211:212], v[119:120]
	v_add_f64 v[13:14], v[13:14], -v[117:118]
	v_fma_f64 v[211:212], v[213:214], v[209:210], v[211:212]
	v_add_f64 v[15:16], v[15:16], -v[211:212]
	ds_read2_b64 v[211:214], v253 offset0:102 offset1:103
	s_waitcnt lgkmcnt(0)
	v_mul_f64 v[117:118], v[213:214], v[119:120]
	v_fma_f64 v[117:118], v[211:212], v[209:210], -v[117:118]
	v_mul_f64 v[211:212], v[211:212], v[119:120]
	v_add_f64 v[9:10], v[9:10], -v[117:118]
	v_fma_f64 v[211:212], v[213:214], v[209:210], v[211:212]
	v_add_f64 v[11:12], v[11:12], -v[211:212]
	ds_read2_b64 v[211:214], v253 offset0:104 offset1:105
	s_waitcnt lgkmcnt(0)
	v_mul_f64 v[117:118], v[213:214], v[119:120]
	v_fma_f64 v[117:118], v[211:212], v[209:210], -v[117:118]
	v_mul_f64 v[211:212], v[211:212], v[119:120]
	v_add_f64 v[5:6], v[5:6], -v[117:118]
	v_fma_f64 v[211:212], v[213:214], v[209:210], v[211:212]
	v_add_f64 v[7:8], v[7:8], -v[211:212]
	ds_read2_b64 v[211:214], v253 offset0:106 offset1:107
	s_waitcnt lgkmcnt(0)
	v_mul_f64 v[117:118], v[213:214], v[119:120]
	v_fma_f64 v[117:118], v[211:212], v[209:210], -v[117:118]
	v_mul_f64 v[211:212], v[211:212], v[119:120]
	v_add_f64 v[1:2], v[1:2], -v[117:118]
	v_fma_f64 v[211:212], v[213:214], v[209:210], v[211:212]
	v_mov_b32_e32 v117, v209
	v_mov_b32_e32 v118, v210
	v_add_f64 v[3:4], v[3:4], -v[211:212]
.LBB107_226:
	s_or_b32 exec_lo, exec_lo, s1
	s_mov_b32 s2, exec_lo
	s_waitcnt_vscnt null, 0x0
	s_barrier
	buffer_gl0_inv
	v_cmpx_eq_u32_e32 25, v0
	s_cbranch_execz .LBB107_233
; %bb.227:
	ds_write2_b64 v255, v[113:114], v[115:116] offset1:1
	ds_write2_b64 v253, v[109:110], v[111:112] offset0:52 offset1:53
	ds_write2_b64 v253, v[105:106], v[107:108] offset0:54 offset1:55
	;; [unrolled: 1-line block ×28, first 2 shown]
	ds_read2_b64 v[209:212], v255 offset1:1
	s_waitcnt lgkmcnt(0)
	v_cmp_neq_f64_e32 vcc_lo, 0, v[209:210]
	v_cmp_neq_f64_e64 s1, 0, v[211:212]
	s_or_b32 s1, vcc_lo, s1
	s_and_b32 exec_lo, exec_lo, s1
	s_cbranch_execz .LBB107_233
; %bb.228:
	v_cmp_ngt_f64_e64 s1, |v[209:210]|, |v[211:212]|
                                        ; implicit-def: $vgpr213_vgpr214
	s_and_saveexec_b32 s3, s1
	s_xor_b32 s1, exec_lo, s3
                                        ; implicit-def: $vgpr215_vgpr216
	s_cbranch_execz .LBB107_230
; %bb.229:
	v_div_scale_f64 v[213:214], null, v[211:212], v[211:212], v[209:210]
	v_div_scale_f64 v[219:220], vcc_lo, v[209:210], v[211:212], v[209:210]
	v_rcp_f64_e32 v[215:216], v[213:214]
	v_fma_f64 v[217:218], -v[213:214], v[215:216], 1.0
	v_fma_f64 v[215:216], v[215:216], v[217:218], v[215:216]
	v_fma_f64 v[217:218], -v[213:214], v[215:216], 1.0
	v_fma_f64 v[215:216], v[215:216], v[217:218], v[215:216]
	v_mul_f64 v[217:218], v[219:220], v[215:216]
	v_fma_f64 v[213:214], -v[213:214], v[217:218], v[219:220]
	v_div_fmas_f64 v[213:214], v[213:214], v[215:216], v[217:218]
	v_div_fixup_f64 v[213:214], v[213:214], v[211:212], v[209:210]
	v_fma_f64 v[209:210], v[209:210], v[213:214], v[211:212]
	v_div_scale_f64 v[211:212], null, v[209:210], v[209:210], 1.0
	v_rcp_f64_e32 v[215:216], v[211:212]
	v_fma_f64 v[217:218], -v[211:212], v[215:216], 1.0
	v_fma_f64 v[215:216], v[215:216], v[217:218], v[215:216]
	v_fma_f64 v[217:218], -v[211:212], v[215:216], 1.0
	v_fma_f64 v[215:216], v[215:216], v[217:218], v[215:216]
	v_div_scale_f64 v[217:218], vcc_lo, 1.0, v[209:210], 1.0
	v_mul_f64 v[219:220], v[217:218], v[215:216]
	v_fma_f64 v[211:212], -v[211:212], v[219:220], v[217:218]
	v_div_fmas_f64 v[211:212], v[211:212], v[215:216], v[219:220]
	v_div_fixup_f64 v[215:216], v[211:212], v[209:210], 1.0
                                        ; implicit-def: $vgpr209_vgpr210
	v_mul_f64 v[213:214], v[213:214], v[215:216]
	v_xor_b32_e32 v216, 0x80000000, v216
.LBB107_230:
	s_andn2_saveexec_b32 s1, s1
	s_cbranch_execz .LBB107_232
; %bb.231:
	v_div_scale_f64 v[213:214], null, v[209:210], v[209:210], v[211:212]
	v_div_scale_f64 v[219:220], vcc_lo, v[211:212], v[209:210], v[211:212]
	v_rcp_f64_e32 v[215:216], v[213:214]
	v_fma_f64 v[217:218], -v[213:214], v[215:216], 1.0
	v_fma_f64 v[215:216], v[215:216], v[217:218], v[215:216]
	v_fma_f64 v[217:218], -v[213:214], v[215:216], 1.0
	v_fma_f64 v[215:216], v[215:216], v[217:218], v[215:216]
	v_mul_f64 v[217:218], v[219:220], v[215:216]
	v_fma_f64 v[213:214], -v[213:214], v[217:218], v[219:220]
	v_div_fmas_f64 v[213:214], v[213:214], v[215:216], v[217:218]
	v_div_fixup_f64 v[215:216], v[213:214], v[209:210], v[211:212]
	v_fma_f64 v[209:210], v[211:212], v[215:216], v[209:210]
	v_div_scale_f64 v[211:212], null, v[209:210], v[209:210], 1.0
	v_rcp_f64_e32 v[213:214], v[211:212]
	v_fma_f64 v[217:218], -v[211:212], v[213:214], 1.0
	v_fma_f64 v[213:214], v[213:214], v[217:218], v[213:214]
	v_fma_f64 v[217:218], -v[211:212], v[213:214], 1.0
	v_fma_f64 v[213:214], v[213:214], v[217:218], v[213:214]
	v_div_scale_f64 v[217:218], vcc_lo, 1.0, v[209:210], 1.0
	v_mul_f64 v[219:220], v[217:218], v[213:214]
	v_fma_f64 v[211:212], -v[211:212], v[219:220], v[217:218]
	v_div_fmas_f64 v[211:212], v[211:212], v[213:214], v[219:220]
	v_div_fixup_f64 v[213:214], v[211:212], v[209:210], 1.0
	v_mul_f64 v[215:216], v[215:216], -v[213:214]
.LBB107_232:
	s_or_b32 exec_lo, exec_lo, s1
	ds_write2_b64 v255, v[213:214], v[215:216] offset1:1
.LBB107_233:
	s_or_b32 exec_lo, exec_lo, s2
	s_waitcnt lgkmcnt(0)
	s_barrier
	buffer_gl0_inv
	ds_read2_b64 v[181:184], v255 offset1:1
	s_mov_b32 s1, exec_lo
	v_cmpx_lt_u32_e32 25, v0
	s_cbranch_execz .LBB107_235
; %bb.234:
	s_waitcnt lgkmcnt(0)
	v_mov_b32_e32 v214, v184
	v_mov_b32_e32 v213, v183
	;; [unrolled: 1-line block ×4, first 2 shown]
	v_mul_f64 v[209:210], v[213:214], v[115:116]
	v_mul_f64 v[115:116], v[211:212], v[115:116]
	v_fma_f64 v[209:210], v[211:212], v[113:114], -v[209:210]
	v_fma_f64 v[115:116], v[213:214], v[113:114], v[115:116]
	ds_read2_b64 v[211:214], v253 offset0:52 offset1:53
	s_waitcnt lgkmcnt(0)
	v_mul_f64 v[113:114], v[213:214], v[115:116]
	v_fma_f64 v[113:114], v[211:212], v[209:210], -v[113:114]
	v_mul_f64 v[211:212], v[211:212], v[115:116]
	v_add_f64 v[109:110], v[109:110], -v[113:114]
	v_fma_f64 v[211:212], v[213:214], v[209:210], v[211:212]
	v_add_f64 v[111:112], v[111:112], -v[211:212]
	ds_read2_b64 v[211:214], v253 offset0:54 offset1:55
	s_waitcnt lgkmcnt(0)
	v_mul_f64 v[113:114], v[213:214], v[115:116]
	v_fma_f64 v[113:114], v[211:212], v[209:210], -v[113:114]
	v_mul_f64 v[211:212], v[211:212], v[115:116]
	v_add_f64 v[105:106], v[105:106], -v[113:114]
	v_fma_f64 v[211:212], v[213:214], v[209:210], v[211:212]
	v_add_f64 v[107:108], v[107:108], -v[211:212]
	;; [unrolled: 8-line block ×27, first 2 shown]
	ds_read2_b64 v[211:214], v253 offset0:106 offset1:107
	s_waitcnt lgkmcnt(0)
	v_mul_f64 v[113:114], v[213:214], v[115:116]
	v_fma_f64 v[113:114], v[211:212], v[209:210], -v[113:114]
	v_mul_f64 v[211:212], v[211:212], v[115:116]
	v_add_f64 v[1:2], v[1:2], -v[113:114]
	v_fma_f64 v[211:212], v[213:214], v[209:210], v[211:212]
	v_mov_b32_e32 v113, v209
	v_mov_b32_e32 v114, v210
	v_add_f64 v[3:4], v[3:4], -v[211:212]
.LBB107_235:
	s_or_b32 exec_lo, exec_lo, s1
	s_mov_b32 s2, exec_lo
	s_waitcnt lgkmcnt(0)
	s_barrier
	buffer_gl0_inv
	v_cmpx_eq_u32_e32 26, v0
	s_cbranch_execz .LBB107_242
; %bb.236:
	ds_write2_b64 v255, v[109:110], v[111:112] offset1:1
	ds_write2_b64 v253, v[105:106], v[107:108] offset0:54 offset1:55
	ds_write2_b64 v253, v[101:102], v[103:104] offset0:56 offset1:57
	ds_write2_b64 v253, v[97:98], v[99:100] offset0:58 offset1:59
	ds_write2_b64 v253, v[93:94], v[95:96] offset0:60 offset1:61
	ds_write2_b64 v253, v[89:90], v[91:92] offset0:62 offset1:63
	ds_write2_b64 v253, v[85:86], v[87:88] offset0:64 offset1:65
	ds_write2_b64 v253, v[81:82], v[83:84] offset0:66 offset1:67
	ds_write2_b64 v253, v[77:78], v[79:80] offset0:68 offset1:69
	ds_write2_b64 v253, v[73:74], v[75:76] offset0:70 offset1:71
	ds_write2_b64 v253, v[69:70], v[71:72] offset0:72 offset1:73
	ds_write2_b64 v253, v[65:66], v[67:68] offset0:74 offset1:75
	ds_write2_b64 v253, v[61:62], v[63:64] offset0:76 offset1:77
	ds_write2_b64 v253, v[57:58], v[59:60] offset0:78 offset1:79
	ds_write2_b64 v253, v[53:54], v[55:56] offset0:80 offset1:81
	ds_write2_b64 v253, v[49:50], v[51:52] offset0:82 offset1:83
	ds_write2_b64 v253, v[45:46], v[47:48] offset0:84 offset1:85
	ds_write2_b64 v253, v[41:42], v[43:44] offset0:86 offset1:87
	ds_write2_b64 v253, v[37:38], v[39:40] offset0:88 offset1:89
	ds_write2_b64 v253, v[33:34], v[35:36] offset0:90 offset1:91
	ds_write2_b64 v253, v[29:30], v[31:32] offset0:92 offset1:93
	ds_write2_b64 v253, v[25:26], v[27:28] offset0:94 offset1:95
	ds_write2_b64 v253, v[21:22], v[23:24] offset0:96 offset1:97
	ds_write2_b64 v253, v[17:18], v[19:20] offset0:98 offset1:99
	ds_write2_b64 v253, v[13:14], v[15:16] offset0:100 offset1:101
	ds_write2_b64 v253, v[9:10], v[11:12] offset0:102 offset1:103
	ds_write2_b64 v253, v[5:6], v[7:8] offset0:104 offset1:105
	ds_write2_b64 v253, v[1:2], v[3:4] offset0:106 offset1:107
	ds_read2_b64 v[209:212], v255 offset1:1
	s_waitcnt lgkmcnt(0)
	v_cmp_neq_f64_e32 vcc_lo, 0, v[209:210]
	v_cmp_neq_f64_e64 s1, 0, v[211:212]
	s_or_b32 s1, vcc_lo, s1
	s_and_b32 exec_lo, exec_lo, s1
	s_cbranch_execz .LBB107_242
; %bb.237:
	v_cmp_ngt_f64_e64 s1, |v[209:210]|, |v[211:212]|
                                        ; implicit-def: $vgpr213_vgpr214
	s_and_saveexec_b32 s3, s1
	s_xor_b32 s1, exec_lo, s3
                                        ; implicit-def: $vgpr215_vgpr216
	s_cbranch_execz .LBB107_239
; %bb.238:
	v_div_scale_f64 v[213:214], null, v[211:212], v[211:212], v[209:210]
	v_div_scale_f64 v[219:220], vcc_lo, v[209:210], v[211:212], v[209:210]
	v_rcp_f64_e32 v[215:216], v[213:214]
	v_fma_f64 v[217:218], -v[213:214], v[215:216], 1.0
	v_fma_f64 v[215:216], v[215:216], v[217:218], v[215:216]
	v_fma_f64 v[217:218], -v[213:214], v[215:216], 1.0
	v_fma_f64 v[215:216], v[215:216], v[217:218], v[215:216]
	v_mul_f64 v[217:218], v[219:220], v[215:216]
	v_fma_f64 v[213:214], -v[213:214], v[217:218], v[219:220]
	v_div_fmas_f64 v[213:214], v[213:214], v[215:216], v[217:218]
	v_div_fixup_f64 v[213:214], v[213:214], v[211:212], v[209:210]
	v_fma_f64 v[209:210], v[209:210], v[213:214], v[211:212]
	v_div_scale_f64 v[211:212], null, v[209:210], v[209:210], 1.0
	v_rcp_f64_e32 v[215:216], v[211:212]
	v_fma_f64 v[217:218], -v[211:212], v[215:216], 1.0
	v_fma_f64 v[215:216], v[215:216], v[217:218], v[215:216]
	v_fma_f64 v[217:218], -v[211:212], v[215:216], 1.0
	v_fma_f64 v[215:216], v[215:216], v[217:218], v[215:216]
	v_div_scale_f64 v[217:218], vcc_lo, 1.0, v[209:210], 1.0
	v_mul_f64 v[219:220], v[217:218], v[215:216]
	v_fma_f64 v[211:212], -v[211:212], v[219:220], v[217:218]
	v_div_fmas_f64 v[211:212], v[211:212], v[215:216], v[219:220]
	v_div_fixup_f64 v[215:216], v[211:212], v[209:210], 1.0
                                        ; implicit-def: $vgpr209_vgpr210
	v_mul_f64 v[213:214], v[213:214], v[215:216]
	v_xor_b32_e32 v216, 0x80000000, v216
.LBB107_239:
	s_andn2_saveexec_b32 s1, s1
	s_cbranch_execz .LBB107_241
; %bb.240:
	v_div_scale_f64 v[213:214], null, v[209:210], v[209:210], v[211:212]
	v_div_scale_f64 v[219:220], vcc_lo, v[211:212], v[209:210], v[211:212]
	v_rcp_f64_e32 v[215:216], v[213:214]
	v_fma_f64 v[217:218], -v[213:214], v[215:216], 1.0
	v_fma_f64 v[215:216], v[215:216], v[217:218], v[215:216]
	v_fma_f64 v[217:218], -v[213:214], v[215:216], 1.0
	v_fma_f64 v[215:216], v[215:216], v[217:218], v[215:216]
	v_mul_f64 v[217:218], v[219:220], v[215:216]
	v_fma_f64 v[213:214], -v[213:214], v[217:218], v[219:220]
	v_div_fmas_f64 v[213:214], v[213:214], v[215:216], v[217:218]
	v_div_fixup_f64 v[215:216], v[213:214], v[209:210], v[211:212]
	v_fma_f64 v[209:210], v[211:212], v[215:216], v[209:210]
	v_div_scale_f64 v[211:212], null, v[209:210], v[209:210], 1.0
	v_rcp_f64_e32 v[213:214], v[211:212]
	v_fma_f64 v[217:218], -v[211:212], v[213:214], 1.0
	v_fma_f64 v[213:214], v[213:214], v[217:218], v[213:214]
	v_fma_f64 v[217:218], -v[211:212], v[213:214], 1.0
	v_fma_f64 v[213:214], v[213:214], v[217:218], v[213:214]
	v_div_scale_f64 v[217:218], vcc_lo, 1.0, v[209:210], 1.0
	v_mul_f64 v[219:220], v[217:218], v[213:214]
	v_fma_f64 v[211:212], -v[211:212], v[219:220], v[217:218]
	v_div_fmas_f64 v[211:212], v[211:212], v[213:214], v[219:220]
	v_div_fixup_f64 v[213:214], v[211:212], v[209:210], 1.0
	v_mul_f64 v[215:216], v[215:216], -v[213:214]
.LBB107_241:
	s_or_b32 exec_lo, exec_lo, s1
	ds_write2_b64 v255, v[213:214], v[215:216] offset1:1
.LBB107_242:
	s_or_b32 exec_lo, exec_lo, s2
	s_waitcnt lgkmcnt(0)
	s_barrier
	buffer_gl0_inv
	ds_read2_b64 v[209:212], v255 offset1:1
	s_mov_b32 s1, exec_lo
	s_waitcnt lgkmcnt(0)
	buffer_store_dword v209, off, s[16:19], 0 offset:888 ; 4-byte Folded Spill
	buffer_store_dword v210, off, s[16:19], 0 offset:892 ; 4-byte Folded Spill
	buffer_store_dword v211, off, s[16:19], 0 offset:896 ; 4-byte Folded Spill
	buffer_store_dword v212, off, s[16:19], 0 offset:900 ; 4-byte Folded Spill
	v_cmpx_lt_u32_e32 26, v0
	s_cbranch_execz .LBB107_244
; %bb.243:
	s_clause 0x3
	buffer_load_dword v211, off, s[16:19], 0 offset:888
	buffer_load_dword v212, off, s[16:19], 0 offset:892
	;; [unrolled: 1-line block ×4, first 2 shown]
	s_waitcnt vmcnt(0)
	v_mul_f64 v[209:210], v[213:214], v[111:112]
	v_mul_f64 v[111:112], v[211:212], v[111:112]
	v_fma_f64 v[209:210], v[211:212], v[109:110], -v[209:210]
	v_fma_f64 v[111:112], v[213:214], v[109:110], v[111:112]
	ds_read2_b64 v[211:214], v253 offset0:54 offset1:55
	s_waitcnt lgkmcnt(0)
	v_mul_f64 v[109:110], v[213:214], v[111:112]
	v_fma_f64 v[109:110], v[211:212], v[209:210], -v[109:110]
	v_mul_f64 v[211:212], v[211:212], v[111:112]
	v_add_f64 v[105:106], v[105:106], -v[109:110]
	v_fma_f64 v[211:212], v[213:214], v[209:210], v[211:212]
	v_add_f64 v[107:108], v[107:108], -v[211:212]
	ds_read2_b64 v[211:214], v253 offset0:56 offset1:57
	s_waitcnt lgkmcnt(0)
	v_mul_f64 v[109:110], v[213:214], v[111:112]
	v_fma_f64 v[109:110], v[211:212], v[209:210], -v[109:110]
	v_mul_f64 v[211:212], v[211:212], v[111:112]
	v_add_f64 v[101:102], v[101:102], -v[109:110]
	v_fma_f64 v[211:212], v[213:214], v[209:210], v[211:212]
	v_add_f64 v[103:104], v[103:104], -v[211:212]
	;; [unrolled: 8-line block ×26, first 2 shown]
	ds_read2_b64 v[211:214], v253 offset0:106 offset1:107
	s_waitcnt lgkmcnt(0)
	v_mul_f64 v[109:110], v[213:214], v[111:112]
	v_fma_f64 v[109:110], v[211:212], v[209:210], -v[109:110]
	v_mul_f64 v[211:212], v[211:212], v[111:112]
	v_add_f64 v[1:2], v[1:2], -v[109:110]
	v_fma_f64 v[211:212], v[213:214], v[209:210], v[211:212]
	v_mov_b32_e32 v109, v209
	v_mov_b32_e32 v110, v210
	v_add_f64 v[3:4], v[3:4], -v[211:212]
.LBB107_244:
	s_or_b32 exec_lo, exec_lo, s1
	s_mov_b32 s2, exec_lo
	s_waitcnt_vscnt null, 0x0
	s_barrier
	buffer_gl0_inv
	v_cmpx_eq_u32_e32 27, v0
	s_cbranch_execz .LBB107_251
; %bb.245:
	ds_write2_b64 v255, v[105:106], v[107:108] offset1:1
	ds_write2_b64 v253, v[101:102], v[103:104] offset0:56 offset1:57
	ds_write2_b64 v253, v[97:98], v[99:100] offset0:58 offset1:59
	ds_write2_b64 v253, v[93:94], v[95:96] offset0:60 offset1:61
	ds_write2_b64 v253, v[89:90], v[91:92] offset0:62 offset1:63
	ds_write2_b64 v253, v[85:86], v[87:88] offset0:64 offset1:65
	ds_write2_b64 v253, v[81:82], v[83:84] offset0:66 offset1:67
	ds_write2_b64 v253, v[77:78], v[79:80] offset0:68 offset1:69
	ds_write2_b64 v253, v[73:74], v[75:76] offset0:70 offset1:71
	ds_write2_b64 v253, v[69:70], v[71:72] offset0:72 offset1:73
	ds_write2_b64 v253, v[65:66], v[67:68] offset0:74 offset1:75
	ds_write2_b64 v253, v[61:62], v[63:64] offset0:76 offset1:77
	ds_write2_b64 v253, v[57:58], v[59:60] offset0:78 offset1:79
	ds_write2_b64 v253, v[53:54], v[55:56] offset0:80 offset1:81
	ds_write2_b64 v253, v[49:50], v[51:52] offset0:82 offset1:83
	ds_write2_b64 v253, v[45:46], v[47:48] offset0:84 offset1:85
	ds_write2_b64 v253, v[41:42], v[43:44] offset0:86 offset1:87
	ds_write2_b64 v253, v[37:38], v[39:40] offset0:88 offset1:89
	ds_write2_b64 v253, v[33:34], v[35:36] offset0:90 offset1:91
	ds_write2_b64 v253, v[29:30], v[31:32] offset0:92 offset1:93
	ds_write2_b64 v253, v[25:26], v[27:28] offset0:94 offset1:95
	ds_write2_b64 v253, v[21:22], v[23:24] offset0:96 offset1:97
	ds_write2_b64 v253, v[17:18], v[19:20] offset0:98 offset1:99
	ds_write2_b64 v253, v[13:14], v[15:16] offset0:100 offset1:101
	ds_write2_b64 v253, v[9:10], v[11:12] offset0:102 offset1:103
	ds_write2_b64 v253, v[5:6], v[7:8] offset0:104 offset1:105
	ds_write2_b64 v253, v[1:2], v[3:4] offset0:106 offset1:107
	ds_read2_b64 v[209:212], v255 offset1:1
	s_waitcnt lgkmcnt(0)
	v_cmp_neq_f64_e32 vcc_lo, 0, v[209:210]
	v_cmp_neq_f64_e64 s1, 0, v[211:212]
	s_or_b32 s1, vcc_lo, s1
	s_and_b32 exec_lo, exec_lo, s1
	s_cbranch_execz .LBB107_251
; %bb.246:
	v_cmp_ngt_f64_e64 s1, |v[209:210]|, |v[211:212]|
                                        ; implicit-def: $vgpr213_vgpr214
	s_and_saveexec_b32 s3, s1
	s_xor_b32 s1, exec_lo, s3
                                        ; implicit-def: $vgpr215_vgpr216
	s_cbranch_execz .LBB107_248
; %bb.247:
	v_div_scale_f64 v[213:214], null, v[211:212], v[211:212], v[209:210]
	v_div_scale_f64 v[219:220], vcc_lo, v[209:210], v[211:212], v[209:210]
	v_rcp_f64_e32 v[215:216], v[213:214]
	v_fma_f64 v[217:218], -v[213:214], v[215:216], 1.0
	v_fma_f64 v[215:216], v[215:216], v[217:218], v[215:216]
	v_fma_f64 v[217:218], -v[213:214], v[215:216], 1.0
	v_fma_f64 v[215:216], v[215:216], v[217:218], v[215:216]
	v_mul_f64 v[217:218], v[219:220], v[215:216]
	v_fma_f64 v[213:214], -v[213:214], v[217:218], v[219:220]
	v_div_fmas_f64 v[213:214], v[213:214], v[215:216], v[217:218]
	v_div_fixup_f64 v[213:214], v[213:214], v[211:212], v[209:210]
	v_fma_f64 v[209:210], v[209:210], v[213:214], v[211:212]
	v_div_scale_f64 v[211:212], null, v[209:210], v[209:210], 1.0
	v_rcp_f64_e32 v[215:216], v[211:212]
	v_fma_f64 v[217:218], -v[211:212], v[215:216], 1.0
	v_fma_f64 v[215:216], v[215:216], v[217:218], v[215:216]
	v_fma_f64 v[217:218], -v[211:212], v[215:216], 1.0
	v_fma_f64 v[215:216], v[215:216], v[217:218], v[215:216]
	v_div_scale_f64 v[217:218], vcc_lo, 1.0, v[209:210], 1.0
	v_mul_f64 v[219:220], v[217:218], v[215:216]
	v_fma_f64 v[211:212], -v[211:212], v[219:220], v[217:218]
	v_div_fmas_f64 v[211:212], v[211:212], v[215:216], v[219:220]
	v_div_fixup_f64 v[215:216], v[211:212], v[209:210], 1.0
                                        ; implicit-def: $vgpr209_vgpr210
	v_mul_f64 v[213:214], v[213:214], v[215:216]
	v_xor_b32_e32 v216, 0x80000000, v216
.LBB107_248:
	s_andn2_saveexec_b32 s1, s1
	s_cbranch_execz .LBB107_250
; %bb.249:
	v_div_scale_f64 v[213:214], null, v[209:210], v[209:210], v[211:212]
	v_div_scale_f64 v[219:220], vcc_lo, v[211:212], v[209:210], v[211:212]
	v_rcp_f64_e32 v[215:216], v[213:214]
	v_fma_f64 v[217:218], -v[213:214], v[215:216], 1.0
	v_fma_f64 v[215:216], v[215:216], v[217:218], v[215:216]
	v_fma_f64 v[217:218], -v[213:214], v[215:216], 1.0
	v_fma_f64 v[215:216], v[215:216], v[217:218], v[215:216]
	v_mul_f64 v[217:218], v[219:220], v[215:216]
	v_fma_f64 v[213:214], -v[213:214], v[217:218], v[219:220]
	v_div_fmas_f64 v[213:214], v[213:214], v[215:216], v[217:218]
	v_div_fixup_f64 v[215:216], v[213:214], v[209:210], v[211:212]
	v_fma_f64 v[209:210], v[211:212], v[215:216], v[209:210]
	v_div_scale_f64 v[211:212], null, v[209:210], v[209:210], 1.0
	v_rcp_f64_e32 v[213:214], v[211:212]
	v_fma_f64 v[217:218], -v[211:212], v[213:214], 1.0
	v_fma_f64 v[213:214], v[213:214], v[217:218], v[213:214]
	v_fma_f64 v[217:218], -v[211:212], v[213:214], 1.0
	v_fma_f64 v[213:214], v[213:214], v[217:218], v[213:214]
	v_div_scale_f64 v[217:218], vcc_lo, 1.0, v[209:210], 1.0
	v_mul_f64 v[219:220], v[217:218], v[213:214]
	v_fma_f64 v[211:212], -v[211:212], v[219:220], v[217:218]
	v_div_fmas_f64 v[211:212], v[211:212], v[213:214], v[219:220]
	v_div_fixup_f64 v[213:214], v[211:212], v[209:210], 1.0
	v_mul_f64 v[215:216], v[215:216], -v[213:214]
.LBB107_250:
	s_or_b32 exec_lo, exec_lo, s1
	ds_write2_b64 v255, v[213:214], v[215:216] offset1:1
.LBB107_251:
	s_or_b32 exec_lo, exec_lo, s2
	s_waitcnt lgkmcnt(0)
	s_barrier
	buffer_gl0_inv
	ds_read2_b64 v[209:212], v255 offset1:1
	s_mov_b32 s1, exec_lo
	s_waitcnt lgkmcnt(0)
	buffer_store_dword v209, off, s[16:19], 0 offset:904 ; 4-byte Folded Spill
	buffer_store_dword v210, off, s[16:19], 0 offset:908 ; 4-byte Folded Spill
	;; [unrolled: 1-line block ×4, first 2 shown]
	v_cmpx_lt_u32_e32 27, v0
	s_cbranch_execz .LBB107_253
; %bb.252:
	s_clause 0x3
	buffer_load_dword v211, off, s[16:19], 0 offset:904
	buffer_load_dword v212, off, s[16:19], 0 offset:908
	;; [unrolled: 1-line block ×4, first 2 shown]
	s_waitcnt vmcnt(0)
	v_mul_f64 v[209:210], v[213:214], v[107:108]
	v_mul_f64 v[107:108], v[211:212], v[107:108]
	v_fma_f64 v[209:210], v[211:212], v[105:106], -v[209:210]
	v_fma_f64 v[107:108], v[213:214], v[105:106], v[107:108]
	ds_read2_b64 v[211:214], v253 offset0:56 offset1:57
	s_waitcnt lgkmcnt(0)
	v_mul_f64 v[105:106], v[213:214], v[107:108]
	v_fma_f64 v[105:106], v[211:212], v[209:210], -v[105:106]
	v_mul_f64 v[211:212], v[211:212], v[107:108]
	v_add_f64 v[101:102], v[101:102], -v[105:106]
	v_fma_f64 v[211:212], v[213:214], v[209:210], v[211:212]
	v_add_f64 v[103:104], v[103:104], -v[211:212]
	ds_read2_b64 v[211:214], v253 offset0:58 offset1:59
	s_waitcnt lgkmcnt(0)
	v_mul_f64 v[105:106], v[213:214], v[107:108]
	v_fma_f64 v[105:106], v[211:212], v[209:210], -v[105:106]
	v_mul_f64 v[211:212], v[211:212], v[107:108]
	v_add_f64 v[97:98], v[97:98], -v[105:106]
	v_fma_f64 v[211:212], v[213:214], v[209:210], v[211:212]
	v_add_f64 v[99:100], v[99:100], -v[211:212]
	;; [unrolled: 8-line block ×25, first 2 shown]
	ds_read2_b64 v[211:214], v253 offset0:106 offset1:107
	s_waitcnt lgkmcnt(0)
	v_mul_f64 v[105:106], v[213:214], v[107:108]
	v_fma_f64 v[105:106], v[211:212], v[209:210], -v[105:106]
	v_mul_f64 v[211:212], v[211:212], v[107:108]
	v_add_f64 v[1:2], v[1:2], -v[105:106]
	v_fma_f64 v[211:212], v[213:214], v[209:210], v[211:212]
	v_mov_b32_e32 v105, v209
	v_mov_b32_e32 v106, v210
	v_add_f64 v[3:4], v[3:4], -v[211:212]
.LBB107_253:
	s_or_b32 exec_lo, exec_lo, s1
	s_mov_b32 s2, exec_lo
	s_waitcnt_vscnt null, 0x0
	s_barrier
	buffer_gl0_inv
	v_cmpx_eq_u32_e32 28, v0
	s_cbranch_execz .LBB107_260
; %bb.254:
	ds_write2_b64 v255, v[101:102], v[103:104] offset1:1
	ds_write2_b64 v253, v[97:98], v[99:100] offset0:58 offset1:59
	ds_write2_b64 v253, v[93:94], v[95:96] offset0:60 offset1:61
	;; [unrolled: 1-line block ×25, first 2 shown]
	ds_read2_b64 v[209:212], v255 offset1:1
	s_waitcnt lgkmcnt(0)
	v_cmp_neq_f64_e32 vcc_lo, 0, v[209:210]
	v_cmp_neq_f64_e64 s1, 0, v[211:212]
	s_or_b32 s1, vcc_lo, s1
	s_and_b32 exec_lo, exec_lo, s1
	s_cbranch_execz .LBB107_260
; %bb.255:
	v_cmp_ngt_f64_e64 s1, |v[209:210]|, |v[211:212]|
                                        ; implicit-def: $vgpr213_vgpr214
	s_and_saveexec_b32 s3, s1
	s_xor_b32 s1, exec_lo, s3
                                        ; implicit-def: $vgpr215_vgpr216
	s_cbranch_execz .LBB107_257
; %bb.256:
	v_div_scale_f64 v[213:214], null, v[211:212], v[211:212], v[209:210]
	v_div_scale_f64 v[219:220], vcc_lo, v[209:210], v[211:212], v[209:210]
	v_rcp_f64_e32 v[215:216], v[213:214]
	v_fma_f64 v[217:218], -v[213:214], v[215:216], 1.0
	v_fma_f64 v[215:216], v[215:216], v[217:218], v[215:216]
	v_fma_f64 v[217:218], -v[213:214], v[215:216], 1.0
	v_fma_f64 v[215:216], v[215:216], v[217:218], v[215:216]
	v_mul_f64 v[217:218], v[219:220], v[215:216]
	v_fma_f64 v[213:214], -v[213:214], v[217:218], v[219:220]
	v_div_fmas_f64 v[213:214], v[213:214], v[215:216], v[217:218]
	v_div_fixup_f64 v[213:214], v[213:214], v[211:212], v[209:210]
	v_fma_f64 v[209:210], v[209:210], v[213:214], v[211:212]
	v_div_scale_f64 v[211:212], null, v[209:210], v[209:210], 1.0
	v_rcp_f64_e32 v[215:216], v[211:212]
	v_fma_f64 v[217:218], -v[211:212], v[215:216], 1.0
	v_fma_f64 v[215:216], v[215:216], v[217:218], v[215:216]
	v_fma_f64 v[217:218], -v[211:212], v[215:216], 1.0
	v_fma_f64 v[215:216], v[215:216], v[217:218], v[215:216]
	v_div_scale_f64 v[217:218], vcc_lo, 1.0, v[209:210], 1.0
	v_mul_f64 v[219:220], v[217:218], v[215:216]
	v_fma_f64 v[211:212], -v[211:212], v[219:220], v[217:218]
	v_div_fmas_f64 v[211:212], v[211:212], v[215:216], v[219:220]
	v_div_fixup_f64 v[215:216], v[211:212], v[209:210], 1.0
                                        ; implicit-def: $vgpr209_vgpr210
	v_mul_f64 v[213:214], v[213:214], v[215:216]
	v_xor_b32_e32 v216, 0x80000000, v216
.LBB107_257:
	s_andn2_saveexec_b32 s1, s1
	s_cbranch_execz .LBB107_259
; %bb.258:
	v_div_scale_f64 v[213:214], null, v[209:210], v[209:210], v[211:212]
	v_div_scale_f64 v[219:220], vcc_lo, v[211:212], v[209:210], v[211:212]
	v_rcp_f64_e32 v[215:216], v[213:214]
	v_fma_f64 v[217:218], -v[213:214], v[215:216], 1.0
	v_fma_f64 v[215:216], v[215:216], v[217:218], v[215:216]
	v_fma_f64 v[217:218], -v[213:214], v[215:216], 1.0
	v_fma_f64 v[215:216], v[215:216], v[217:218], v[215:216]
	v_mul_f64 v[217:218], v[219:220], v[215:216]
	v_fma_f64 v[213:214], -v[213:214], v[217:218], v[219:220]
	v_div_fmas_f64 v[213:214], v[213:214], v[215:216], v[217:218]
	v_div_fixup_f64 v[215:216], v[213:214], v[209:210], v[211:212]
	v_fma_f64 v[209:210], v[211:212], v[215:216], v[209:210]
	v_div_scale_f64 v[211:212], null, v[209:210], v[209:210], 1.0
	v_rcp_f64_e32 v[213:214], v[211:212]
	v_fma_f64 v[217:218], -v[211:212], v[213:214], 1.0
	v_fma_f64 v[213:214], v[213:214], v[217:218], v[213:214]
	v_fma_f64 v[217:218], -v[211:212], v[213:214], 1.0
	v_fma_f64 v[213:214], v[213:214], v[217:218], v[213:214]
	v_div_scale_f64 v[217:218], vcc_lo, 1.0, v[209:210], 1.0
	v_mul_f64 v[219:220], v[217:218], v[213:214]
	v_fma_f64 v[211:212], -v[211:212], v[219:220], v[217:218]
	v_div_fmas_f64 v[211:212], v[211:212], v[213:214], v[219:220]
	v_div_fixup_f64 v[213:214], v[211:212], v[209:210], 1.0
	v_mul_f64 v[215:216], v[215:216], -v[213:214]
.LBB107_259:
	s_or_b32 exec_lo, exec_lo, s1
	ds_write2_b64 v255, v[213:214], v[215:216] offset1:1
.LBB107_260:
	s_or_b32 exec_lo, exec_lo, s2
	s_waitcnt lgkmcnt(0)
	s_barrier
	buffer_gl0_inv
	ds_read2_b64 v[209:212], v255 offset1:1
	s_mov_b32 s1, exec_lo
	s_waitcnt lgkmcnt(0)
	buffer_store_dword v209, off, s[16:19], 0 offset:920 ; 4-byte Folded Spill
	buffer_store_dword v210, off, s[16:19], 0 offset:924 ; 4-byte Folded Spill
	;; [unrolled: 1-line block ×4, first 2 shown]
	v_cmpx_lt_u32_e32 28, v0
	s_cbranch_execz .LBB107_262
; %bb.261:
	s_clause 0x3
	buffer_load_dword v211, off, s[16:19], 0 offset:920
	buffer_load_dword v212, off, s[16:19], 0 offset:924
	;; [unrolled: 1-line block ×4, first 2 shown]
	s_waitcnt vmcnt(0)
	v_mul_f64 v[209:210], v[213:214], v[103:104]
	v_mul_f64 v[103:104], v[211:212], v[103:104]
	v_fma_f64 v[209:210], v[211:212], v[101:102], -v[209:210]
	v_fma_f64 v[103:104], v[213:214], v[101:102], v[103:104]
	ds_read2_b64 v[211:214], v253 offset0:58 offset1:59
	s_waitcnt lgkmcnt(0)
	v_mul_f64 v[101:102], v[213:214], v[103:104]
	v_fma_f64 v[101:102], v[211:212], v[209:210], -v[101:102]
	v_mul_f64 v[211:212], v[211:212], v[103:104]
	v_add_f64 v[97:98], v[97:98], -v[101:102]
	v_fma_f64 v[211:212], v[213:214], v[209:210], v[211:212]
	v_add_f64 v[99:100], v[99:100], -v[211:212]
	ds_read2_b64 v[211:214], v253 offset0:60 offset1:61
	s_waitcnt lgkmcnt(0)
	v_mul_f64 v[101:102], v[213:214], v[103:104]
	v_fma_f64 v[101:102], v[211:212], v[209:210], -v[101:102]
	v_mul_f64 v[211:212], v[211:212], v[103:104]
	v_add_f64 v[93:94], v[93:94], -v[101:102]
	v_fma_f64 v[211:212], v[213:214], v[209:210], v[211:212]
	v_add_f64 v[95:96], v[95:96], -v[211:212]
	;; [unrolled: 8-line block ×24, first 2 shown]
	ds_read2_b64 v[211:214], v253 offset0:106 offset1:107
	s_waitcnt lgkmcnt(0)
	v_mul_f64 v[101:102], v[213:214], v[103:104]
	v_fma_f64 v[101:102], v[211:212], v[209:210], -v[101:102]
	v_mul_f64 v[211:212], v[211:212], v[103:104]
	v_add_f64 v[1:2], v[1:2], -v[101:102]
	v_fma_f64 v[211:212], v[213:214], v[209:210], v[211:212]
	v_mov_b32_e32 v101, v209
	v_mov_b32_e32 v102, v210
	v_add_f64 v[3:4], v[3:4], -v[211:212]
.LBB107_262:
	s_or_b32 exec_lo, exec_lo, s1
	s_mov_b32 s2, exec_lo
	s_waitcnt_vscnt null, 0x0
	s_barrier
	buffer_gl0_inv
	v_cmpx_eq_u32_e32 29, v0
	s_cbranch_execz .LBB107_269
; %bb.263:
	ds_write2_b64 v255, v[97:98], v[99:100] offset1:1
	ds_write2_b64 v253, v[93:94], v[95:96] offset0:60 offset1:61
	ds_write2_b64 v253, v[89:90], v[91:92] offset0:62 offset1:63
	;; [unrolled: 1-line block ×24, first 2 shown]
	ds_read2_b64 v[209:212], v255 offset1:1
	s_waitcnt lgkmcnt(0)
	v_cmp_neq_f64_e32 vcc_lo, 0, v[209:210]
	v_cmp_neq_f64_e64 s1, 0, v[211:212]
	s_or_b32 s1, vcc_lo, s1
	s_and_b32 exec_lo, exec_lo, s1
	s_cbranch_execz .LBB107_269
; %bb.264:
	v_cmp_ngt_f64_e64 s1, |v[209:210]|, |v[211:212]|
                                        ; implicit-def: $vgpr213_vgpr214
	s_and_saveexec_b32 s3, s1
	s_xor_b32 s1, exec_lo, s3
                                        ; implicit-def: $vgpr215_vgpr216
	s_cbranch_execz .LBB107_266
; %bb.265:
	v_div_scale_f64 v[213:214], null, v[211:212], v[211:212], v[209:210]
	v_div_scale_f64 v[219:220], vcc_lo, v[209:210], v[211:212], v[209:210]
	v_rcp_f64_e32 v[215:216], v[213:214]
	v_fma_f64 v[217:218], -v[213:214], v[215:216], 1.0
	v_fma_f64 v[215:216], v[215:216], v[217:218], v[215:216]
	v_fma_f64 v[217:218], -v[213:214], v[215:216], 1.0
	v_fma_f64 v[215:216], v[215:216], v[217:218], v[215:216]
	v_mul_f64 v[217:218], v[219:220], v[215:216]
	v_fma_f64 v[213:214], -v[213:214], v[217:218], v[219:220]
	v_div_fmas_f64 v[213:214], v[213:214], v[215:216], v[217:218]
	v_div_fixup_f64 v[213:214], v[213:214], v[211:212], v[209:210]
	v_fma_f64 v[209:210], v[209:210], v[213:214], v[211:212]
	v_div_scale_f64 v[211:212], null, v[209:210], v[209:210], 1.0
	v_rcp_f64_e32 v[215:216], v[211:212]
	v_fma_f64 v[217:218], -v[211:212], v[215:216], 1.0
	v_fma_f64 v[215:216], v[215:216], v[217:218], v[215:216]
	v_fma_f64 v[217:218], -v[211:212], v[215:216], 1.0
	v_fma_f64 v[215:216], v[215:216], v[217:218], v[215:216]
	v_div_scale_f64 v[217:218], vcc_lo, 1.0, v[209:210], 1.0
	v_mul_f64 v[219:220], v[217:218], v[215:216]
	v_fma_f64 v[211:212], -v[211:212], v[219:220], v[217:218]
	v_div_fmas_f64 v[211:212], v[211:212], v[215:216], v[219:220]
	v_div_fixup_f64 v[215:216], v[211:212], v[209:210], 1.0
                                        ; implicit-def: $vgpr209_vgpr210
	v_mul_f64 v[213:214], v[213:214], v[215:216]
	v_xor_b32_e32 v216, 0x80000000, v216
.LBB107_266:
	s_andn2_saveexec_b32 s1, s1
	s_cbranch_execz .LBB107_268
; %bb.267:
	v_div_scale_f64 v[213:214], null, v[209:210], v[209:210], v[211:212]
	v_div_scale_f64 v[219:220], vcc_lo, v[211:212], v[209:210], v[211:212]
	v_rcp_f64_e32 v[215:216], v[213:214]
	v_fma_f64 v[217:218], -v[213:214], v[215:216], 1.0
	v_fma_f64 v[215:216], v[215:216], v[217:218], v[215:216]
	v_fma_f64 v[217:218], -v[213:214], v[215:216], 1.0
	v_fma_f64 v[215:216], v[215:216], v[217:218], v[215:216]
	v_mul_f64 v[217:218], v[219:220], v[215:216]
	v_fma_f64 v[213:214], -v[213:214], v[217:218], v[219:220]
	v_div_fmas_f64 v[213:214], v[213:214], v[215:216], v[217:218]
	v_div_fixup_f64 v[215:216], v[213:214], v[209:210], v[211:212]
	v_fma_f64 v[209:210], v[211:212], v[215:216], v[209:210]
	v_div_scale_f64 v[211:212], null, v[209:210], v[209:210], 1.0
	v_rcp_f64_e32 v[213:214], v[211:212]
	v_fma_f64 v[217:218], -v[211:212], v[213:214], 1.0
	v_fma_f64 v[213:214], v[213:214], v[217:218], v[213:214]
	v_fma_f64 v[217:218], -v[211:212], v[213:214], 1.0
	v_fma_f64 v[213:214], v[213:214], v[217:218], v[213:214]
	v_div_scale_f64 v[217:218], vcc_lo, 1.0, v[209:210], 1.0
	v_mul_f64 v[219:220], v[217:218], v[213:214]
	v_fma_f64 v[211:212], -v[211:212], v[219:220], v[217:218]
	v_div_fmas_f64 v[211:212], v[211:212], v[213:214], v[219:220]
	v_div_fixup_f64 v[213:214], v[211:212], v[209:210], 1.0
	v_mul_f64 v[215:216], v[215:216], -v[213:214]
.LBB107_268:
	s_or_b32 exec_lo, exec_lo, s1
	ds_write2_b64 v255, v[213:214], v[215:216] offset1:1
.LBB107_269:
	s_or_b32 exec_lo, exec_lo, s2
	s_waitcnt lgkmcnt(0)
	s_barrier
	buffer_gl0_inv
	ds_read2_b64 v[209:212], v255 offset1:1
	s_mov_b32 s1, exec_lo
	s_waitcnt lgkmcnt(0)
	buffer_store_dword v209, off, s[16:19], 0 offset:936 ; 4-byte Folded Spill
	buffer_store_dword v210, off, s[16:19], 0 offset:940 ; 4-byte Folded Spill
	;; [unrolled: 1-line block ×4, first 2 shown]
	v_cmpx_lt_u32_e32 29, v0
	s_cbranch_execz .LBB107_271
; %bb.270:
	s_clause 0x3
	buffer_load_dword v211, off, s[16:19], 0 offset:936
	buffer_load_dword v212, off, s[16:19], 0 offset:940
	;; [unrolled: 1-line block ×4, first 2 shown]
	s_waitcnt vmcnt(0)
	v_mul_f64 v[209:210], v[213:214], v[99:100]
	v_mul_f64 v[99:100], v[211:212], v[99:100]
	v_fma_f64 v[209:210], v[211:212], v[97:98], -v[209:210]
	v_fma_f64 v[99:100], v[213:214], v[97:98], v[99:100]
	ds_read2_b64 v[211:214], v253 offset0:60 offset1:61
	s_waitcnt lgkmcnt(0)
	v_mul_f64 v[97:98], v[213:214], v[99:100]
	v_fma_f64 v[97:98], v[211:212], v[209:210], -v[97:98]
	v_mul_f64 v[211:212], v[211:212], v[99:100]
	v_add_f64 v[93:94], v[93:94], -v[97:98]
	v_fma_f64 v[211:212], v[213:214], v[209:210], v[211:212]
	v_add_f64 v[95:96], v[95:96], -v[211:212]
	ds_read2_b64 v[211:214], v253 offset0:62 offset1:63
	s_waitcnt lgkmcnt(0)
	v_mul_f64 v[97:98], v[213:214], v[99:100]
	v_fma_f64 v[97:98], v[211:212], v[209:210], -v[97:98]
	v_mul_f64 v[211:212], v[211:212], v[99:100]
	v_add_f64 v[89:90], v[89:90], -v[97:98]
	v_fma_f64 v[211:212], v[213:214], v[209:210], v[211:212]
	v_add_f64 v[91:92], v[91:92], -v[211:212]
	;; [unrolled: 8-line block ×23, first 2 shown]
	ds_read2_b64 v[211:214], v253 offset0:106 offset1:107
	s_waitcnt lgkmcnt(0)
	v_mul_f64 v[97:98], v[213:214], v[99:100]
	v_fma_f64 v[97:98], v[211:212], v[209:210], -v[97:98]
	v_mul_f64 v[211:212], v[211:212], v[99:100]
	v_add_f64 v[1:2], v[1:2], -v[97:98]
	v_fma_f64 v[211:212], v[213:214], v[209:210], v[211:212]
	v_mov_b32_e32 v97, v209
	v_mov_b32_e32 v98, v210
	v_add_f64 v[3:4], v[3:4], -v[211:212]
.LBB107_271:
	s_or_b32 exec_lo, exec_lo, s1
	s_mov_b32 s2, exec_lo
	s_waitcnt_vscnt null, 0x0
	s_barrier
	buffer_gl0_inv
	v_cmpx_eq_u32_e32 30, v0
	s_cbranch_execz .LBB107_278
; %bb.272:
	ds_write2_b64 v255, v[93:94], v[95:96] offset1:1
	ds_write2_b64 v253, v[89:90], v[91:92] offset0:62 offset1:63
	ds_write2_b64 v253, v[85:86], v[87:88] offset0:64 offset1:65
	;; [unrolled: 1-line block ×23, first 2 shown]
	ds_read2_b64 v[209:212], v255 offset1:1
	s_waitcnt lgkmcnt(0)
	v_cmp_neq_f64_e32 vcc_lo, 0, v[209:210]
	v_cmp_neq_f64_e64 s1, 0, v[211:212]
	s_or_b32 s1, vcc_lo, s1
	s_and_b32 exec_lo, exec_lo, s1
	s_cbranch_execz .LBB107_278
; %bb.273:
	v_cmp_ngt_f64_e64 s1, |v[209:210]|, |v[211:212]|
                                        ; implicit-def: $vgpr213_vgpr214
	s_and_saveexec_b32 s3, s1
	s_xor_b32 s1, exec_lo, s3
                                        ; implicit-def: $vgpr215_vgpr216
	s_cbranch_execz .LBB107_275
; %bb.274:
	v_div_scale_f64 v[213:214], null, v[211:212], v[211:212], v[209:210]
	v_div_scale_f64 v[219:220], vcc_lo, v[209:210], v[211:212], v[209:210]
	v_rcp_f64_e32 v[215:216], v[213:214]
	v_fma_f64 v[217:218], -v[213:214], v[215:216], 1.0
	v_fma_f64 v[215:216], v[215:216], v[217:218], v[215:216]
	v_fma_f64 v[217:218], -v[213:214], v[215:216], 1.0
	v_fma_f64 v[215:216], v[215:216], v[217:218], v[215:216]
	v_mul_f64 v[217:218], v[219:220], v[215:216]
	v_fma_f64 v[213:214], -v[213:214], v[217:218], v[219:220]
	v_div_fmas_f64 v[213:214], v[213:214], v[215:216], v[217:218]
	v_div_fixup_f64 v[213:214], v[213:214], v[211:212], v[209:210]
	v_fma_f64 v[209:210], v[209:210], v[213:214], v[211:212]
	v_div_scale_f64 v[211:212], null, v[209:210], v[209:210], 1.0
	v_rcp_f64_e32 v[215:216], v[211:212]
	v_fma_f64 v[217:218], -v[211:212], v[215:216], 1.0
	v_fma_f64 v[215:216], v[215:216], v[217:218], v[215:216]
	v_fma_f64 v[217:218], -v[211:212], v[215:216], 1.0
	v_fma_f64 v[215:216], v[215:216], v[217:218], v[215:216]
	v_div_scale_f64 v[217:218], vcc_lo, 1.0, v[209:210], 1.0
	v_mul_f64 v[219:220], v[217:218], v[215:216]
	v_fma_f64 v[211:212], -v[211:212], v[219:220], v[217:218]
	v_div_fmas_f64 v[211:212], v[211:212], v[215:216], v[219:220]
	v_div_fixup_f64 v[215:216], v[211:212], v[209:210], 1.0
                                        ; implicit-def: $vgpr209_vgpr210
	v_mul_f64 v[213:214], v[213:214], v[215:216]
	v_xor_b32_e32 v216, 0x80000000, v216
.LBB107_275:
	s_andn2_saveexec_b32 s1, s1
	s_cbranch_execz .LBB107_277
; %bb.276:
	v_div_scale_f64 v[213:214], null, v[209:210], v[209:210], v[211:212]
	v_div_scale_f64 v[219:220], vcc_lo, v[211:212], v[209:210], v[211:212]
	v_rcp_f64_e32 v[215:216], v[213:214]
	v_fma_f64 v[217:218], -v[213:214], v[215:216], 1.0
	v_fma_f64 v[215:216], v[215:216], v[217:218], v[215:216]
	v_fma_f64 v[217:218], -v[213:214], v[215:216], 1.0
	v_fma_f64 v[215:216], v[215:216], v[217:218], v[215:216]
	v_mul_f64 v[217:218], v[219:220], v[215:216]
	v_fma_f64 v[213:214], -v[213:214], v[217:218], v[219:220]
	v_div_fmas_f64 v[213:214], v[213:214], v[215:216], v[217:218]
	v_div_fixup_f64 v[215:216], v[213:214], v[209:210], v[211:212]
	v_fma_f64 v[209:210], v[211:212], v[215:216], v[209:210]
	v_div_scale_f64 v[211:212], null, v[209:210], v[209:210], 1.0
	v_rcp_f64_e32 v[213:214], v[211:212]
	v_fma_f64 v[217:218], -v[211:212], v[213:214], 1.0
	v_fma_f64 v[213:214], v[213:214], v[217:218], v[213:214]
	v_fma_f64 v[217:218], -v[211:212], v[213:214], 1.0
	v_fma_f64 v[213:214], v[213:214], v[217:218], v[213:214]
	v_div_scale_f64 v[217:218], vcc_lo, 1.0, v[209:210], 1.0
	v_mul_f64 v[219:220], v[217:218], v[213:214]
	v_fma_f64 v[211:212], -v[211:212], v[219:220], v[217:218]
	v_div_fmas_f64 v[211:212], v[211:212], v[213:214], v[219:220]
	v_div_fixup_f64 v[213:214], v[211:212], v[209:210], 1.0
	v_mul_f64 v[215:216], v[215:216], -v[213:214]
.LBB107_277:
	s_or_b32 exec_lo, exec_lo, s1
	ds_write2_b64 v255, v[213:214], v[215:216] offset1:1
.LBB107_278:
	s_or_b32 exec_lo, exec_lo, s2
	s_waitcnt lgkmcnt(0)
	s_barrier
	buffer_gl0_inv
	ds_read2_b64 v[209:212], v255 offset1:1
	s_mov_b32 s1, exec_lo
	s_waitcnt lgkmcnt(0)
	buffer_store_dword v209, off, s[16:19], 0 offset:952 ; 4-byte Folded Spill
	buffer_store_dword v210, off, s[16:19], 0 offset:956 ; 4-byte Folded Spill
	;; [unrolled: 1-line block ×4, first 2 shown]
	v_cmpx_lt_u32_e32 30, v0
	s_cbranch_execz .LBB107_280
; %bb.279:
	s_clause 0x3
	buffer_load_dword v211, off, s[16:19], 0 offset:952
	buffer_load_dword v212, off, s[16:19], 0 offset:956
	;; [unrolled: 1-line block ×4, first 2 shown]
	s_waitcnt vmcnt(0)
	v_mul_f64 v[209:210], v[213:214], v[95:96]
	v_mul_f64 v[95:96], v[211:212], v[95:96]
	v_fma_f64 v[209:210], v[211:212], v[93:94], -v[209:210]
	v_fma_f64 v[95:96], v[213:214], v[93:94], v[95:96]
	ds_read2_b64 v[211:214], v253 offset0:62 offset1:63
	s_waitcnt lgkmcnt(0)
	v_mul_f64 v[93:94], v[213:214], v[95:96]
	v_fma_f64 v[93:94], v[211:212], v[209:210], -v[93:94]
	v_mul_f64 v[211:212], v[211:212], v[95:96]
	v_add_f64 v[89:90], v[89:90], -v[93:94]
	v_fma_f64 v[211:212], v[213:214], v[209:210], v[211:212]
	v_add_f64 v[91:92], v[91:92], -v[211:212]
	ds_read2_b64 v[211:214], v253 offset0:64 offset1:65
	s_waitcnt lgkmcnt(0)
	v_mul_f64 v[93:94], v[213:214], v[95:96]
	v_fma_f64 v[93:94], v[211:212], v[209:210], -v[93:94]
	v_mul_f64 v[211:212], v[211:212], v[95:96]
	v_add_f64 v[85:86], v[85:86], -v[93:94]
	v_fma_f64 v[211:212], v[213:214], v[209:210], v[211:212]
	v_add_f64 v[87:88], v[87:88], -v[211:212]
	;; [unrolled: 8-line block ×22, first 2 shown]
	ds_read2_b64 v[211:214], v253 offset0:106 offset1:107
	s_waitcnt lgkmcnt(0)
	v_mul_f64 v[93:94], v[213:214], v[95:96]
	v_fma_f64 v[93:94], v[211:212], v[209:210], -v[93:94]
	v_mul_f64 v[211:212], v[211:212], v[95:96]
	v_add_f64 v[1:2], v[1:2], -v[93:94]
	v_fma_f64 v[211:212], v[213:214], v[209:210], v[211:212]
	v_mov_b32_e32 v93, v209
	v_mov_b32_e32 v94, v210
	v_add_f64 v[3:4], v[3:4], -v[211:212]
.LBB107_280:
	s_or_b32 exec_lo, exec_lo, s1
	s_mov_b32 s2, exec_lo
	s_waitcnt_vscnt null, 0x0
	s_barrier
	buffer_gl0_inv
	v_cmpx_eq_u32_e32 31, v0
	s_cbranch_execz .LBB107_287
; %bb.281:
	ds_write2_b64 v255, v[89:90], v[91:92] offset1:1
	ds_write2_b64 v253, v[85:86], v[87:88] offset0:64 offset1:65
	ds_write2_b64 v253, v[81:82], v[83:84] offset0:66 offset1:67
	;; [unrolled: 1-line block ×22, first 2 shown]
	ds_read2_b64 v[209:212], v255 offset1:1
	s_waitcnt lgkmcnt(0)
	v_cmp_neq_f64_e32 vcc_lo, 0, v[209:210]
	v_cmp_neq_f64_e64 s1, 0, v[211:212]
	s_or_b32 s1, vcc_lo, s1
	s_and_b32 exec_lo, exec_lo, s1
	s_cbranch_execz .LBB107_287
; %bb.282:
	v_cmp_ngt_f64_e64 s1, |v[209:210]|, |v[211:212]|
                                        ; implicit-def: $vgpr213_vgpr214
	s_and_saveexec_b32 s3, s1
	s_xor_b32 s1, exec_lo, s3
                                        ; implicit-def: $vgpr215_vgpr216
	s_cbranch_execz .LBB107_284
; %bb.283:
	v_div_scale_f64 v[213:214], null, v[211:212], v[211:212], v[209:210]
	v_div_scale_f64 v[219:220], vcc_lo, v[209:210], v[211:212], v[209:210]
	v_rcp_f64_e32 v[215:216], v[213:214]
	v_fma_f64 v[217:218], -v[213:214], v[215:216], 1.0
	v_fma_f64 v[215:216], v[215:216], v[217:218], v[215:216]
	v_fma_f64 v[217:218], -v[213:214], v[215:216], 1.0
	v_fma_f64 v[215:216], v[215:216], v[217:218], v[215:216]
	v_mul_f64 v[217:218], v[219:220], v[215:216]
	v_fma_f64 v[213:214], -v[213:214], v[217:218], v[219:220]
	v_div_fmas_f64 v[213:214], v[213:214], v[215:216], v[217:218]
	v_div_fixup_f64 v[213:214], v[213:214], v[211:212], v[209:210]
	v_fma_f64 v[209:210], v[209:210], v[213:214], v[211:212]
	v_div_scale_f64 v[211:212], null, v[209:210], v[209:210], 1.0
	v_rcp_f64_e32 v[215:216], v[211:212]
	v_fma_f64 v[217:218], -v[211:212], v[215:216], 1.0
	v_fma_f64 v[215:216], v[215:216], v[217:218], v[215:216]
	v_fma_f64 v[217:218], -v[211:212], v[215:216], 1.0
	v_fma_f64 v[215:216], v[215:216], v[217:218], v[215:216]
	v_div_scale_f64 v[217:218], vcc_lo, 1.0, v[209:210], 1.0
	v_mul_f64 v[219:220], v[217:218], v[215:216]
	v_fma_f64 v[211:212], -v[211:212], v[219:220], v[217:218]
	v_div_fmas_f64 v[211:212], v[211:212], v[215:216], v[219:220]
	v_div_fixup_f64 v[215:216], v[211:212], v[209:210], 1.0
                                        ; implicit-def: $vgpr209_vgpr210
	v_mul_f64 v[213:214], v[213:214], v[215:216]
	v_xor_b32_e32 v216, 0x80000000, v216
.LBB107_284:
	s_andn2_saveexec_b32 s1, s1
	s_cbranch_execz .LBB107_286
; %bb.285:
	v_div_scale_f64 v[213:214], null, v[209:210], v[209:210], v[211:212]
	v_div_scale_f64 v[219:220], vcc_lo, v[211:212], v[209:210], v[211:212]
	v_rcp_f64_e32 v[215:216], v[213:214]
	v_fma_f64 v[217:218], -v[213:214], v[215:216], 1.0
	v_fma_f64 v[215:216], v[215:216], v[217:218], v[215:216]
	v_fma_f64 v[217:218], -v[213:214], v[215:216], 1.0
	v_fma_f64 v[215:216], v[215:216], v[217:218], v[215:216]
	v_mul_f64 v[217:218], v[219:220], v[215:216]
	v_fma_f64 v[213:214], -v[213:214], v[217:218], v[219:220]
	v_div_fmas_f64 v[213:214], v[213:214], v[215:216], v[217:218]
	v_div_fixup_f64 v[215:216], v[213:214], v[209:210], v[211:212]
	v_fma_f64 v[209:210], v[211:212], v[215:216], v[209:210]
	v_div_scale_f64 v[211:212], null, v[209:210], v[209:210], 1.0
	v_rcp_f64_e32 v[213:214], v[211:212]
	v_fma_f64 v[217:218], -v[211:212], v[213:214], 1.0
	v_fma_f64 v[213:214], v[213:214], v[217:218], v[213:214]
	v_fma_f64 v[217:218], -v[211:212], v[213:214], 1.0
	v_fma_f64 v[213:214], v[213:214], v[217:218], v[213:214]
	v_div_scale_f64 v[217:218], vcc_lo, 1.0, v[209:210], 1.0
	v_mul_f64 v[219:220], v[217:218], v[213:214]
	v_fma_f64 v[211:212], -v[211:212], v[219:220], v[217:218]
	v_div_fmas_f64 v[211:212], v[211:212], v[213:214], v[219:220]
	v_div_fixup_f64 v[213:214], v[211:212], v[209:210], 1.0
	v_mul_f64 v[215:216], v[215:216], -v[213:214]
.LBB107_286:
	s_or_b32 exec_lo, exec_lo, s1
	ds_write2_b64 v255, v[213:214], v[215:216] offset1:1
.LBB107_287:
	s_or_b32 exec_lo, exec_lo, s2
	s_waitcnt lgkmcnt(0)
	s_barrier
	buffer_gl0_inv
	ds_read2_b64 v[209:212], v255 offset1:1
	s_mov_b32 s1, exec_lo
	s_waitcnt lgkmcnt(0)
	buffer_store_dword v209, off, s[16:19], 0 offset:968 ; 4-byte Folded Spill
	buffer_store_dword v210, off, s[16:19], 0 offset:972 ; 4-byte Folded Spill
	;; [unrolled: 1-line block ×4, first 2 shown]
	v_cmpx_lt_u32_e32 31, v0
	s_cbranch_execz .LBB107_289
; %bb.288:
	s_clause 0x3
	buffer_load_dword v211, off, s[16:19], 0 offset:968
	buffer_load_dword v212, off, s[16:19], 0 offset:972
	;; [unrolled: 1-line block ×4, first 2 shown]
	s_waitcnt vmcnt(0)
	v_mul_f64 v[209:210], v[213:214], v[91:92]
	v_mul_f64 v[91:92], v[211:212], v[91:92]
	v_fma_f64 v[209:210], v[211:212], v[89:90], -v[209:210]
	v_fma_f64 v[91:92], v[213:214], v[89:90], v[91:92]
	ds_read2_b64 v[211:214], v253 offset0:64 offset1:65
	s_waitcnt lgkmcnt(0)
	v_mul_f64 v[89:90], v[213:214], v[91:92]
	v_fma_f64 v[89:90], v[211:212], v[209:210], -v[89:90]
	v_mul_f64 v[211:212], v[211:212], v[91:92]
	v_add_f64 v[85:86], v[85:86], -v[89:90]
	v_fma_f64 v[211:212], v[213:214], v[209:210], v[211:212]
	v_add_f64 v[87:88], v[87:88], -v[211:212]
	ds_read2_b64 v[211:214], v253 offset0:66 offset1:67
	s_waitcnt lgkmcnt(0)
	v_mul_f64 v[89:90], v[213:214], v[91:92]
	v_fma_f64 v[89:90], v[211:212], v[209:210], -v[89:90]
	v_mul_f64 v[211:212], v[211:212], v[91:92]
	v_add_f64 v[81:82], v[81:82], -v[89:90]
	v_fma_f64 v[211:212], v[213:214], v[209:210], v[211:212]
	v_add_f64 v[83:84], v[83:84], -v[211:212]
	;; [unrolled: 8-line block ×21, first 2 shown]
	ds_read2_b64 v[211:214], v253 offset0:106 offset1:107
	s_waitcnt lgkmcnt(0)
	v_mul_f64 v[89:90], v[213:214], v[91:92]
	v_fma_f64 v[89:90], v[211:212], v[209:210], -v[89:90]
	v_mul_f64 v[211:212], v[211:212], v[91:92]
	v_add_f64 v[1:2], v[1:2], -v[89:90]
	v_fma_f64 v[211:212], v[213:214], v[209:210], v[211:212]
	v_mov_b32_e32 v89, v209
	v_mov_b32_e32 v90, v210
	v_add_f64 v[3:4], v[3:4], -v[211:212]
.LBB107_289:
	s_or_b32 exec_lo, exec_lo, s1
	s_mov_b32 s2, exec_lo
	s_waitcnt_vscnt null, 0x0
	s_barrier
	buffer_gl0_inv
	v_cmpx_eq_u32_e32 32, v0
	s_cbranch_execz .LBB107_296
; %bb.290:
	ds_write2_b64 v255, v[85:86], v[87:88] offset1:1
	ds_write2_b64 v253, v[81:82], v[83:84] offset0:66 offset1:67
	ds_write2_b64 v253, v[77:78], v[79:80] offset0:68 offset1:69
	;; [unrolled: 1-line block ×21, first 2 shown]
	ds_read2_b64 v[209:212], v255 offset1:1
	s_waitcnt lgkmcnt(0)
	v_cmp_neq_f64_e32 vcc_lo, 0, v[209:210]
	v_cmp_neq_f64_e64 s1, 0, v[211:212]
	s_or_b32 s1, vcc_lo, s1
	s_and_b32 exec_lo, exec_lo, s1
	s_cbranch_execz .LBB107_296
; %bb.291:
	v_cmp_ngt_f64_e64 s1, |v[209:210]|, |v[211:212]|
                                        ; implicit-def: $vgpr213_vgpr214
	s_and_saveexec_b32 s3, s1
	s_xor_b32 s1, exec_lo, s3
                                        ; implicit-def: $vgpr215_vgpr216
	s_cbranch_execz .LBB107_293
; %bb.292:
	v_div_scale_f64 v[213:214], null, v[211:212], v[211:212], v[209:210]
	v_div_scale_f64 v[219:220], vcc_lo, v[209:210], v[211:212], v[209:210]
	v_rcp_f64_e32 v[215:216], v[213:214]
	v_fma_f64 v[217:218], -v[213:214], v[215:216], 1.0
	v_fma_f64 v[215:216], v[215:216], v[217:218], v[215:216]
	v_fma_f64 v[217:218], -v[213:214], v[215:216], 1.0
	v_fma_f64 v[215:216], v[215:216], v[217:218], v[215:216]
	v_mul_f64 v[217:218], v[219:220], v[215:216]
	v_fma_f64 v[213:214], -v[213:214], v[217:218], v[219:220]
	v_div_fmas_f64 v[213:214], v[213:214], v[215:216], v[217:218]
	v_div_fixup_f64 v[213:214], v[213:214], v[211:212], v[209:210]
	v_fma_f64 v[209:210], v[209:210], v[213:214], v[211:212]
	v_div_scale_f64 v[211:212], null, v[209:210], v[209:210], 1.0
	v_rcp_f64_e32 v[215:216], v[211:212]
	v_fma_f64 v[217:218], -v[211:212], v[215:216], 1.0
	v_fma_f64 v[215:216], v[215:216], v[217:218], v[215:216]
	v_fma_f64 v[217:218], -v[211:212], v[215:216], 1.0
	v_fma_f64 v[215:216], v[215:216], v[217:218], v[215:216]
	v_div_scale_f64 v[217:218], vcc_lo, 1.0, v[209:210], 1.0
	v_mul_f64 v[219:220], v[217:218], v[215:216]
	v_fma_f64 v[211:212], -v[211:212], v[219:220], v[217:218]
	v_div_fmas_f64 v[211:212], v[211:212], v[215:216], v[219:220]
	v_div_fixup_f64 v[215:216], v[211:212], v[209:210], 1.0
                                        ; implicit-def: $vgpr209_vgpr210
	v_mul_f64 v[213:214], v[213:214], v[215:216]
	v_xor_b32_e32 v216, 0x80000000, v216
.LBB107_293:
	s_andn2_saveexec_b32 s1, s1
	s_cbranch_execz .LBB107_295
; %bb.294:
	v_div_scale_f64 v[213:214], null, v[209:210], v[209:210], v[211:212]
	v_div_scale_f64 v[219:220], vcc_lo, v[211:212], v[209:210], v[211:212]
	v_rcp_f64_e32 v[215:216], v[213:214]
	v_fma_f64 v[217:218], -v[213:214], v[215:216], 1.0
	v_fma_f64 v[215:216], v[215:216], v[217:218], v[215:216]
	v_fma_f64 v[217:218], -v[213:214], v[215:216], 1.0
	v_fma_f64 v[215:216], v[215:216], v[217:218], v[215:216]
	v_mul_f64 v[217:218], v[219:220], v[215:216]
	v_fma_f64 v[213:214], -v[213:214], v[217:218], v[219:220]
	v_div_fmas_f64 v[213:214], v[213:214], v[215:216], v[217:218]
	v_div_fixup_f64 v[215:216], v[213:214], v[209:210], v[211:212]
	v_fma_f64 v[209:210], v[211:212], v[215:216], v[209:210]
	v_div_scale_f64 v[211:212], null, v[209:210], v[209:210], 1.0
	v_rcp_f64_e32 v[213:214], v[211:212]
	v_fma_f64 v[217:218], -v[211:212], v[213:214], 1.0
	v_fma_f64 v[213:214], v[213:214], v[217:218], v[213:214]
	v_fma_f64 v[217:218], -v[211:212], v[213:214], 1.0
	v_fma_f64 v[213:214], v[213:214], v[217:218], v[213:214]
	v_div_scale_f64 v[217:218], vcc_lo, 1.0, v[209:210], 1.0
	v_mul_f64 v[219:220], v[217:218], v[213:214]
	v_fma_f64 v[211:212], -v[211:212], v[219:220], v[217:218]
	v_div_fmas_f64 v[211:212], v[211:212], v[213:214], v[219:220]
	v_div_fixup_f64 v[213:214], v[211:212], v[209:210], 1.0
	v_mul_f64 v[215:216], v[215:216], -v[213:214]
.LBB107_295:
	s_or_b32 exec_lo, exec_lo, s1
	ds_write2_b64 v255, v[213:214], v[215:216] offset1:1
.LBB107_296:
	s_or_b32 exec_lo, exec_lo, s2
	s_waitcnt lgkmcnt(0)
	s_barrier
	buffer_gl0_inv
	ds_read2_b64 v[209:212], v255 offset1:1
	s_mov_b32 s1, exec_lo
	s_waitcnt lgkmcnt(0)
	buffer_store_dword v209, off, s[16:19], 0 offset:984 ; 4-byte Folded Spill
	buffer_store_dword v210, off, s[16:19], 0 offset:988 ; 4-byte Folded Spill
	;; [unrolled: 1-line block ×4, first 2 shown]
	v_cmpx_lt_u32_e32 32, v0
	s_cbranch_execz .LBB107_298
; %bb.297:
	s_clause 0x3
	buffer_load_dword v211, off, s[16:19], 0 offset:984
	buffer_load_dword v212, off, s[16:19], 0 offset:988
	;; [unrolled: 1-line block ×4, first 2 shown]
	s_waitcnt vmcnt(0)
	v_mul_f64 v[209:210], v[213:214], v[87:88]
	v_mul_f64 v[87:88], v[211:212], v[87:88]
	v_fma_f64 v[209:210], v[211:212], v[85:86], -v[209:210]
	v_fma_f64 v[87:88], v[213:214], v[85:86], v[87:88]
	ds_read2_b64 v[211:214], v253 offset0:66 offset1:67
	s_waitcnt lgkmcnt(0)
	v_mul_f64 v[85:86], v[213:214], v[87:88]
	v_fma_f64 v[85:86], v[211:212], v[209:210], -v[85:86]
	v_mul_f64 v[211:212], v[211:212], v[87:88]
	v_add_f64 v[81:82], v[81:82], -v[85:86]
	v_fma_f64 v[211:212], v[213:214], v[209:210], v[211:212]
	v_add_f64 v[83:84], v[83:84], -v[211:212]
	ds_read2_b64 v[211:214], v253 offset0:68 offset1:69
	s_waitcnt lgkmcnt(0)
	v_mul_f64 v[85:86], v[213:214], v[87:88]
	v_fma_f64 v[85:86], v[211:212], v[209:210], -v[85:86]
	v_mul_f64 v[211:212], v[211:212], v[87:88]
	v_add_f64 v[77:78], v[77:78], -v[85:86]
	v_fma_f64 v[211:212], v[213:214], v[209:210], v[211:212]
	v_add_f64 v[79:80], v[79:80], -v[211:212]
	ds_read2_b64 v[211:214], v253 offset0:70 offset1:71
	s_waitcnt lgkmcnt(0)
	v_mul_f64 v[85:86], v[213:214], v[87:88]
	v_fma_f64 v[85:86], v[211:212], v[209:210], -v[85:86]
	v_mul_f64 v[211:212], v[211:212], v[87:88]
	v_add_f64 v[73:74], v[73:74], -v[85:86]
	v_fma_f64 v[211:212], v[213:214], v[209:210], v[211:212]
	v_add_f64 v[75:76], v[75:76], -v[211:212]
	ds_read2_b64 v[211:214], v253 offset0:72 offset1:73
	s_waitcnt lgkmcnt(0)
	v_mul_f64 v[85:86], v[213:214], v[87:88]
	v_fma_f64 v[85:86], v[211:212], v[209:210], -v[85:86]
	v_mul_f64 v[211:212], v[211:212], v[87:88]
	v_add_f64 v[69:70], v[69:70], -v[85:86]
	v_fma_f64 v[211:212], v[213:214], v[209:210], v[211:212]
	v_add_f64 v[71:72], v[71:72], -v[211:212]
	ds_read2_b64 v[211:214], v253 offset0:74 offset1:75
	s_waitcnt lgkmcnt(0)
	v_mul_f64 v[85:86], v[213:214], v[87:88]
	v_fma_f64 v[85:86], v[211:212], v[209:210], -v[85:86]
	v_mul_f64 v[211:212], v[211:212], v[87:88]
	v_add_f64 v[65:66], v[65:66], -v[85:86]
	v_fma_f64 v[211:212], v[213:214], v[209:210], v[211:212]
	v_add_f64 v[67:68], v[67:68], -v[211:212]
	ds_read2_b64 v[211:214], v253 offset0:76 offset1:77
	s_waitcnt lgkmcnt(0)
	v_mul_f64 v[85:86], v[213:214], v[87:88]
	v_fma_f64 v[85:86], v[211:212], v[209:210], -v[85:86]
	v_mul_f64 v[211:212], v[211:212], v[87:88]
	v_add_f64 v[61:62], v[61:62], -v[85:86]
	v_fma_f64 v[211:212], v[213:214], v[209:210], v[211:212]
	v_add_f64 v[63:64], v[63:64], -v[211:212]
	ds_read2_b64 v[211:214], v253 offset0:78 offset1:79
	s_waitcnt lgkmcnt(0)
	v_mul_f64 v[85:86], v[213:214], v[87:88]
	v_fma_f64 v[85:86], v[211:212], v[209:210], -v[85:86]
	v_mul_f64 v[211:212], v[211:212], v[87:88]
	v_add_f64 v[57:58], v[57:58], -v[85:86]
	v_fma_f64 v[211:212], v[213:214], v[209:210], v[211:212]
	v_add_f64 v[59:60], v[59:60], -v[211:212]
	ds_read2_b64 v[211:214], v253 offset0:80 offset1:81
	s_waitcnt lgkmcnt(0)
	v_mul_f64 v[85:86], v[213:214], v[87:88]
	v_fma_f64 v[85:86], v[211:212], v[209:210], -v[85:86]
	v_mul_f64 v[211:212], v[211:212], v[87:88]
	v_add_f64 v[53:54], v[53:54], -v[85:86]
	v_fma_f64 v[211:212], v[213:214], v[209:210], v[211:212]
	v_add_f64 v[55:56], v[55:56], -v[211:212]
	ds_read2_b64 v[211:214], v253 offset0:82 offset1:83
	s_waitcnt lgkmcnt(0)
	v_mul_f64 v[85:86], v[213:214], v[87:88]
	v_fma_f64 v[85:86], v[211:212], v[209:210], -v[85:86]
	v_mul_f64 v[211:212], v[211:212], v[87:88]
	v_add_f64 v[49:50], v[49:50], -v[85:86]
	v_fma_f64 v[211:212], v[213:214], v[209:210], v[211:212]
	v_add_f64 v[51:52], v[51:52], -v[211:212]
	ds_read2_b64 v[211:214], v253 offset0:84 offset1:85
	s_waitcnt lgkmcnt(0)
	v_mul_f64 v[85:86], v[213:214], v[87:88]
	v_fma_f64 v[85:86], v[211:212], v[209:210], -v[85:86]
	v_mul_f64 v[211:212], v[211:212], v[87:88]
	v_add_f64 v[45:46], v[45:46], -v[85:86]
	v_fma_f64 v[211:212], v[213:214], v[209:210], v[211:212]
	v_add_f64 v[47:48], v[47:48], -v[211:212]
	ds_read2_b64 v[211:214], v253 offset0:86 offset1:87
	s_waitcnt lgkmcnt(0)
	v_mul_f64 v[85:86], v[213:214], v[87:88]
	v_fma_f64 v[85:86], v[211:212], v[209:210], -v[85:86]
	v_mul_f64 v[211:212], v[211:212], v[87:88]
	v_add_f64 v[41:42], v[41:42], -v[85:86]
	v_fma_f64 v[211:212], v[213:214], v[209:210], v[211:212]
	v_add_f64 v[43:44], v[43:44], -v[211:212]
	ds_read2_b64 v[211:214], v253 offset0:88 offset1:89
	s_waitcnt lgkmcnt(0)
	v_mul_f64 v[85:86], v[213:214], v[87:88]
	v_fma_f64 v[85:86], v[211:212], v[209:210], -v[85:86]
	v_mul_f64 v[211:212], v[211:212], v[87:88]
	v_add_f64 v[37:38], v[37:38], -v[85:86]
	v_fma_f64 v[211:212], v[213:214], v[209:210], v[211:212]
	v_add_f64 v[39:40], v[39:40], -v[211:212]
	ds_read2_b64 v[211:214], v253 offset0:90 offset1:91
	s_waitcnt lgkmcnt(0)
	v_mul_f64 v[85:86], v[213:214], v[87:88]
	v_fma_f64 v[85:86], v[211:212], v[209:210], -v[85:86]
	v_mul_f64 v[211:212], v[211:212], v[87:88]
	v_add_f64 v[33:34], v[33:34], -v[85:86]
	v_fma_f64 v[211:212], v[213:214], v[209:210], v[211:212]
	v_add_f64 v[35:36], v[35:36], -v[211:212]
	ds_read2_b64 v[211:214], v253 offset0:92 offset1:93
	s_waitcnt lgkmcnt(0)
	v_mul_f64 v[85:86], v[213:214], v[87:88]
	v_fma_f64 v[85:86], v[211:212], v[209:210], -v[85:86]
	v_mul_f64 v[211:212], v[211:212], v[87:88]
	v_add_f64 v[29:30], v[29:30], -v[85:86]
	v_fma_f64 v[211:212], v[213:214], v[209:210], v[211:212]
	v_add_f64 v[31:32], v[31:32], -v[211:212]
	ds_read2_b64 v[211:214], v253 offset0:94 offset1:95
	s_waitcnt lgkmcnt(0)
	v_mul_f64 v[85:86], v[213:214], v[87:88]
	v_fma_f64 v[85:86], v[211:212], v[209:210], -v[85:86]
	v_mul_f64 v[211:212], v[211:212], v[87:88]
	v_add_f64 v[25:26], v[25:26], -v[85:86]
	v_fma_f64 v[211:212], v[213:214], v[209:210], v[211:212]
	v_add_f64 v[27:28], v[27:28], -v[211:212]
	ds_read2_b64 v[211:214], v253 offset0:96 offset1:97
	s_waitcnt lgkmcnt(0)
	v_mul_f64 v[85:86], v[213:214], v[87:88]
	v_fma_f64 v[85:86], v[211:212], v[209:210], -v[85:86]
	v_mul_f64 v[211:212], v[211:212], v[87:88]
	v_add_f64 v[21:22], v[21:22], -v[85:86]
	v_fma_f64 v[211:212], v[213:214], v[209:210], v[211:212]
	v_add_f64 v[23:24], v[23:24], -v[211:212]
	ds_read2_b64 v[211:214], v253 offset0:98 offset1:99
	s_waitcnt lgkmcnt(0)
	v_mul_f64 v[85:86], v[213:214], v[87:88]
	v_fma_f64 v[85:86], v[211:212], v[209:210], -v[85:86]
	v_mul_f64 v[211:212], v[211:212], v[87:88]
	v_add_f64 v[17:18], v[17:18], -v[85:86]
	v_fma_f64 v[211:212], v[213:214], v[209:210], v[211:212]
	v_add_f64 v[19:20], v[19:20], -v[211:212]
	ds_read2_b64 v[211:214], v253 offset0:100 offset1:101
	s_waitcnt lgkmcnt(0)
	v_mul_f64 v[85:86], v[213:214], v[87:88]
	v_fma_f64 v[85:86], v[211:212], v[209:210], -v[85:86]
	v_mul_f64 v[211:212], v[211:212], v[87:88]
	v_add_f64 v[13:14], v[13:14], -v[85:86]
	v_fma_f64 v[211:212], v[213:214], v[209:210], v[211:212]
	v_add_f64 v[15:16], v[15:16], -v[211:212]
	ds_read2_b64 v[211:214], v253 offset0:102 offset1:103
	s_waitcnt lgkmcnt(0)
	v_mul_f64 v[85:86], v[213:214], v[87:88]
	v_fma_f64 v[85:86], v[211:212], v[209:210], -v[85:86]
	v_mul_f64 v[211:212], v[211:212], v[87:88]
	v_add_f64 v[9:10], v[9:10], -v[85:86]
	v_fma_f64 v[211:212], v[213:214], v[209:210], v[211:212]
	v_add_f64 v[11:12], v[11:12], -v[211:212]
	ds_read2_b64 v[211:214], v253 offset0:104 offset1:105
	s_waitcnt lgkmcnt(0)
	v_mul_f64 v[85:86], v[213:214], v[87:88]
	v_fma_f64 v[85:86], v[211:212], v[209:210], -v[85:86]
	v_mul_f64 v[211:212], v[211:212], v[87:88]
	v_add_f64 v[5:6], v[5:6], -v[85:86]
	v_fma_f64 v[211:212], v[213:214], v[209:210], v[211:212]
	v_add_f64 v[7:8], v[7:8], -v[211:212]
	ds_read2_b64 v[211:214], v253 offset0:106 offset1:107
	s_waitcnt lgkmcnt(0)
	v_mul_f64 v[85:86], v[213:214], v[87:88]
	v_fma_f64 v[85:86], v[211:212], v[209:210], -v[85:86]
	v_mul_f64 v[211:212], v[211:212], v[87:88]
	v_add_f64 v[1:2], v[1:2], -v[85:86]
	v_fma_f64 v[211:212], v[213:214], v[209:210], v[211:212]
	v_mov_b32_e32 v85, v209
	v_mov_b32_e32 v86, v210
	v_add_f64 v[3:4], v[3:4], -v[211:212]
.LBB107_298:
	s_or_b32 exec_lo, exec_lo, s1
	s_mov_b32 s2, exec_lo
	s_waitcnt_vscnt null, 0x0
	s_barrier
	buffer_gl0_inv
	v_cmpx_eq_u32_e32 33, v0
	s_cbranch_execz .LBB107_305
; %bb.299:
	ds_write2_b64 v255, v[81:82], v[83:84] offset1:1
	ds_write2_b64 v253, v[77:78], v[79:80] offset0:68 offset1:69
	ds_write2_b64 v253, v[73:74], v[75:76] offset0:70 offset1:71
	;; [unrolled: 1-line block ×20, first 2 shown]
	ds_read2_b64 v[209:212], v255 offset1:1
	s_waitcnt lgkmcnt(0)
	v_cmp_neq_f64_e32 vcc_lo, 0, v[209:210]
	v_cmp_neq_f64_e64 s1, 0, v[211:212]
	s_or_b32 s1, vcc_lo, s1
	s_and_b32 exec_lo, exec_lo, s1
	s_cbranch_execz .LBB107_305
; %bb.300:
	v_cmp_ngt_f64_e64 s1, |v[209:210]|, |v[211:212]|
                                        ; implicit-def: $vgpr213_vgpr214
	s_and_saveexec_b32 s3, s1
	s_xor_b32 s1, exec_lo, s3
                                        ; implicit-def: $vgpr215_vgpr216
	s_cbranch_execz .LBB107_302
; %bb.301:
	v_div_scale_f64 v[213:214], null, v[211:212], v[211:212], v[209:210]
	v_div_scale_f64 v[219:220], vcc_lo, v[209:210], v[211:212], v[209:210]
	v_rcp_f64_e32 v[215:216], v[213:214]
	v_fma_f64 v[217:218], -v[213:214], v[215:216], 1.0
	v_fma_f64 v[215:216], v[215:216], v[217:218], v[215:216]
	v_fma_f64 v[217:218], -v[213:214], v[215:216], 1.0
	v_fma_f64 v[215:216], v[215:216], v[217:218], v[215:216]
	v_mul_f64 v[217:218], v[219:220], v[215:216]
	v_fma_f64 v[213:214], -v[213:214], v[217:218], v[219:220]
	v_div_fmas_f64 v[213:214], v[213:214], v[215:216], v[217:218]
	v_div_fixup_f64 v[213:214], v[213:214], v[211:212], v[209:210]
	v_fma_f64 v[209:210], v[209:210], v[213:214], v[211:212]
	v_div_scale_f64 v[211:212], null, v[209:210], v[209:210], 1.0
	v_rcp_f64_e32 v[215:216], v[211:212]
	v_fma_f64 v[217:218], -v[211:212], v[215:216], 1.0
	v_fma_f64 v[215:216], v[215:216], v[217:218], v[215:216]
	v_fma_f64 v[217:218], -v[211:212], v[215:216], 1.0
	v_fma_f64 v[215:216], v[215:216], v[217:218], v[215:216]
	v_div_scale_f64 v[217:218], vcc_lo, 1.0, v[209:210], 1.0
	v_mul_f64 v[219:220], v[217:218], v[215:216]
	v_fma_f64 v[211:212], -v[211:212], v[219:220], v[217:218]
	v_div_fmas_f64 v[211:212], v[211:212], v[215:216], v[219:220]
	v_div_fixup_f64 v[215:216], v[211:212], v[209:210], 1.0
                                        ; implicit-def: $vgpr209_vgpr210
	v_mul_f64 v[213:214], v[213:214], v[215:216]
	v_xor_b32_e32 v216, 0x80000000, v216
.LBB107_302:
	s_andn2_saveexec_b32 s1, s1
	s_cbranch_execz .LBB107_304
; %bb.303:
	v_div_scale_f64 v[213:214], null, v[209:210], v[209:210], v[211:212]
	v_div_scale_f64 v[219:220], vcc_lo, v[211:212], v[209:210], v[211:212]
	v_rcp_f64_e32 v[215:216], v[213:214]
	v_fma_f64 v[217:218], -v[213:214], v[215:216], 1.0
	v_fma_f64 v[215:216], v[215:216], v[217:218], v[215:216]
	v_fma_f64 v[217:218], -v[213:214], v[215:216], 1.0
	v_fma_f64 v[215:216], v[215:216], v[217:218], v[215:216]
	v_mul_f64 v[217:218], v[219:220], v[215:216]
	v_fma_f64 v[213:214], -v[213:214], v[217:218], v[219:220]
	v_div_fmas_f64 v[213:214], v[213:214], v[215:216], v[217:218]
	v_div_fixup_f64 v[215:216], v[213:214], v[209:210], v[211:212]
	v_fma_f64 v[209:210], v[211:212], v[215:216], v[209:210]
	v_div_scale_f64 v[211:212], null, v[209:210], v[209:210], 1.0
	v_rcp_f64_e32 v[213:214], v[211:212]
	v_fma_f64 v[217:218], -v[211:212], v[213:214], 1.0
	v_fma_f64 v[213:214], v[213:214], v[217:218], v[213:214]
	v_fma_f64 v[217:218], -v[211:212], v[213:214], 1.0
	v_fma_f64 v[213:214], v[213:214], v[217:218], v[213:214]
	v_div_scale_f64 v[217:218], vcc_lo, 1.0, v[209:210], 1.0
	v_mul_f64 v[219:220], v[217:218], v[213:214]
	v_fma_f64 v[211:212], -v[211:212], v[219:220], v[217:218]
	v_div_fmas_f64 v[211:212], v[211:212], v[213:214], v[219:220]
	v_div_fixup_f64 v[213:214], v[211:212], v[209:210], 1.0
	v_mul_f64 v[215:216], v[215:216], -v[213:214]
.LBB107_304:
	s_or_b32 exec_lo, exec_lo, s1
	ds_write2_b64 v255, v[213:214], v[215:216] offset1:1
.LBB107_305:
	s_or_b32 exec_lo, exec_lo, s2
	s_waitcnt lgkmcnt(0)
	s_barrier
	buffer_gl0_inv
	ds_read2_b64 v[209:212], v255 offset1:1
	s_mov_b32 s1, exec_lo
	s_waitcnt lgkmcnt(0)
	buffer_store_dword v209, off, s[16:19], 0 offset:1000 ; 4-byte Folded Spill
	buffer_store_dword v210, off, s[16:19], 0 offset:1004 ; 4-byte Folded Spill
	;; [unrolled: 1-line block ×4, first 2 shown]
	v_cmpx_lt_u32_e32 33, v0
	s_cbranch_execz .LBB107_307
; %bb.306:
	s_clause 0x3
	buffer_load_dword v211, off, s[16:19], 0 offset:1000
	buffer_load_dword v212, off, s[16:19], 0 offset:1004
	;; [unrolled: 1-line block ×4, first 2 shown]
	s_waitcnt vmcnt(0)
	v_mul_f64 v[209:210], v[213:214], v[83:84]
	v_mul_f64 v[83:84], v[211:212], v[83:84]
	v_fma_f64 v[209:210], v[211:212], v[81:82], -v[209:210]
	v_fma_f64 v[83:84], v[213:214], v[81:82], v[83:84]
	ds_read2_b64 v[211:214], v253 offset0:68 offset1:69
	s_waitcnt lgkmcnt(0)
	v_mul_f64 v[81:82], v[213:214], v[83:84]
	v_fma_f64 v[81:82], v[211:212], v[209:210], -v[81:82]
	v_mul_f64 v[211:212], v[211:212], v[83:84]
	v_add_f64 v[77:78], v[77:78], -v[81:82]
	v_fma_f64 v[211:212], v[213:214], v[209:210], v[211:212]
	v_add_f64 v[79:80], v[79:80], -v[211:212]
	ds_read2_b64 v[211:214], v253 offset0:70 offset1:71
	s_waitcnt lgkmcnt(0)
	v_mul_f64 v[81:82], v[213:214], v[83:84]
	v_fma_f64 v[81:82], v[211:212], v[209:210], -v[81:82]
	v_mul_f64 v[211:212], v[211:212], v[83:84]
	v_add_f64 v[73:74], v[73:74], -v[81:82]
	v_fma_f64 v[211:212], v[213:214], v[209:210], v[211:212]
	v_add_f64 v[75:76], v[75:76], -v[211:212]
	;; [unrolled: 8-line block ×19, first 2 shown]
	ds_read2_b64 v[211:214], v253 offset0:106 offset1:107
	s_waitcnt lgkmcnt(0)
	v_mul_f64 v[81:82], v[213:214], v[83:84]
	v_fma_f64 v[81:82], v[211:212], v[209:210], -v[81:82]
	v_mul_f64 v[211:212], v[211:212], v[83:84]
	v_add_f64 v[1:2], v[1:2], -v[81:82]
	v_fma_f64 v[211:212], v[213:214], v[209:210], v[211:212]
	v_mov_b32_e32 v81, v209
	v_mov_b32_e32 v82, v210
	v_add_f64 v[3:4], v[3:4], -v[211:212]
.LBB107_307:
	s_or_b32 exec_lo, exec_lo, s1
	s_mov_b32 s2, exec_lo
	s_waitcnt_vscnt null, 0x0
	s_barrier
	buffer_gl0_inv
	v_cmpx_eq_u32_e32 34, v0
	s_cbranch_execz .LBB107_314
; %bb.308:
	ds_write2_b64 v255, v[77:78], v[79:80] offset1:1
	ds_write2_b64 v253, v[73:74], v[75:76] offset0:70 offset1:71
	ds_write2_b64 v253, v[69:70], v[71:72] offset0:72 offset1:73
	;; [unrolled: 1-line block ×19, first 2 shown]
	ds_read2_b64 v[209:212], v255 offset1:1
	s_waitcnt lgkmcnt(0)
	v_cmp_neq_f64_e32 vcc_lo, 0, v[209:210]
	v_cmp_neq_f64_e64 s1, 0, v[211:212]
	s_or_b32 s1, vcc_lo, s1
	s_and_b32 exec_lo, exec_lo, s1
	s_cbranch_execz .LBB107_314
; %bb.309:
	v_cmp_ngt_f64_e64 s1, |v[209:210]|, |v[211:212]|
                                        ; implicit-def: $vgpr213_vgpr214
	s_and_saveexec_b32 s3, s1
	s_xor_b32 s1, exec_lo, s3
                                        ; implicit-def: $vgpr215_vgpr216
	s_cbranch_execz .LBB107_311
; %bb.310:
	v_div_scale_f64 v[213:214], null, v[211:212], v[211:212], v[209:210]
	v_div_scale_f64 v[219:220], vcc_lo, v[209:210], v[211:212], v[209:210]
	v_rcp_f64_e32 v[215:216], v[213:214]
	v_fma_f64 v[217:218], -v[213:214], v[215:216], 1.0
	v_fma_f64 v[215:216], v[215:216], v[217:218], v[215:216]
	v_fma_f64 v[217:218], -v[213:214], v[215:216], 1.0
	v_fma_f64 v[215:216], v[215:216], v[217:218], v[215:216]
	v_mul_f64 v[217:218], v[219:220], v[215:216]
	v_fma_f64 v[213:214], -v[213:214], v[217:218], v[219:220]
	v_div_fmas_f64 v[213:214], v[213:214], v[215:216], v[217:218]
	v_div_fixup_f64 v[213:214], v[213:214], v[211:212], v[209:210]
	v_fma_f64 v[209:210], v[209:210], v[213:214], v[211:212]
	v_div_scale_f64 v[211:212], null, v[209:210], v[209:210], 1.0
	v_rcp_f64_e32 v[215:216], v[211:212]
	v_fma_f64 v[217:218], -v[211:212], v[215:216], 1.0
	v_fma_f64 v[215:216], v[215:216], v[217:218], v[215:216]
	v_fma_f64 v[217:218], -v[211:212], v[215:216], 1.0
	v_fma_f64 v[215:216], v[215:216], v[217:218], v[215:216]
	v_div_scale_f64 v[217:218], vcc_lo, 1.0, v[209:210], 1.0
	v_mul_f64 v[219:220], v[217:218], v[215:216]
	v_fma_f64 v[211:212], -v[211:212], v[219:220], v[217:218]
	v_div_fmas_f64 v[211:212], v[211:212], v[215:216], v[219:220]
	v_div_fixup_f64 v[215:216], v[211:212], v[209:210], 1.0
                                        ; implicit-def: $vgpr209_vgpr210
	v_mul_f64 v[213:214], v[213:214], v[215:216]
	v_xor_b32_e32 v216, 0x80000000, v216
.LBB107_311:
	s_andn2_saveexec_b32 s1, s1
	s_cbranch_execz .LBB107_313
; %bb.312:
	v_div_scale_f64 v[213:214], null, v[209:210], v[209:210], v[211:212]
	v_div_scale_f64 v[219:220], vcc_lo, v[211:212], v[209:210], v[211:212]
	v_rcp_f64_e32 v[215:216], v[213:214]
	v_fma_f64 v[217:218], -v[213:214], v[215:216], 1.0
	v_fma_f64 v[215:216], v[215:216], v[217:218], v[215:216]
	v_fma_f64 v[217:218], -v[213:214], v[215:216], 1.0
	v_fma_f64 v[215:216], v[215:216], v[217:218], v[215:216]
	v_mul_f64 v[217:218], v[219:220], v[215:216]
	v_fma_f64 v[213:214], -v[213:214], v[217:218], v[219:220]
	v_div_fmas_f64 v[213:214], v[213:214], v[215:216], v[217:218]
	v_div_fixup_f64 v[215:216], v[213:214], v[209:210], v[211:212]
	v_fma_f64 v[209:210], v[211:212], v[215:216], v[209:210]
	v_div_scale_f64 v[211:212], null, v[209:210], v[209:210], 1.0
	v_rcp_f64_e32 v[213:214], v[211:212]
	v_fma_f64 v[217:218], -v[211:212], v[213:214], 1.0
	v_fma_f64 v[213:214], v[213:214], v[217:218], v[213:214]
	v_fma_f64 v[217:218], -v[211:212], v[213:214], 1.0
	v_fma_f64 v[213:214], v[213:214], v[217:218], v[213:214]
	v_div_scale_f64 v[217:218], vcc_lo, 1.0, v[209:210], 1.0
	v_mul_f64 v[219:220], v[217:218], v[213:214]
	v_fma_f64 v[211:212], -v[211:212], v[219:220], v[217:218]
	v_div_fmas_f64 v[211:212], v[211:212], v[213:214], v[219:220]
	v_div_fixup_f64 v[213:214], v[211:212], v[209:210], 1.0
	v_mul_f64 v[215:216], v[215:216], -v[213:214]
.LBB107_313:
	s_or_b32 exec_lo, exec_lo, s1
	ds_write2_b64 v255, v[213:214], v[215:216] offset1:1
.LBB107_314:
	s_or_b32 exec_lo, exec_lo, s2
	s_waitcnt lgkmcnt(0)
	s_barrier
	buffer_gl0_inv
	ds_read2_b64 v[209:212], v255 offset1:1
	s_mov_b32 s1, exec_lo
	s_waitcnt lgkmcnt(0)
	buffer_store_dword v209, off, s[16:19], 0 offset:1016 ; 4-byte Folded Spill
	buffer_store_dword v210, off, s[16:19], 0 offset:1020 ; 4-byte Folded Spill
	;; [unrolled: 1-line block ×4, first 2 shown]
	v_cmpx_lt_u32_e32 34, v0
	s_cbranch_execz .LBB107_316
; %bb.315:
	s_clause 0x3
	buffer_load_dword v211, off, s[16:19], 0 offset:1016
	buffer_load_dword v212, off, s[16:19], 0 offset:1020
	;; [unrolled: 1-line block ×4, first 2 shown]
	s_waitcnt vmcnt(0)
	v_mul_f64 v[209:210], v[213:214], v[79:80]
	v_mul_f64 v[79:80], v[211:212], v[79:80]
	v_fma_f64 v[209:210], v[211:212], v[77:78], -v[209:210]
	v_fma_f64 v[79:80], v[213:214], v[77:78], v[79:80]
	ds_read2_b64 v[211:214], v253 offset0:70 offset1:71
	s_waitcnt lgkmcnt(0)
	v_mul_f64 v[77:78], v[213:214], v[79:80]
	v_fma_f64 v[77:78], v[211:212], v[209:210], -v[77:78]
	v_mul_f64 v[211:212], v[211:212], v[79:80]
	v_add_f64 v[73:74], v[73:74], -v[77:78]
	v_fma_f64 v[211:212], v[213:214], v[209:210], v[211:212]
	v_add_f64 v[75:76], v[75:76], -v[211:212]
	ds_read2_b64 v[211:214], v253 offset0:72 offset1:73
	s_waitcnt lgkmcnt(0)
	v_mul_f64 v[77:78], v[213:214], v[79:80]
	v_fma_f64 v[77:78], v[211:212], v[209:210], -v[77:78]
	v_mul_f64 v[211:212], v[211:212], v[79:80]
	v_add_f64 v[69:70], v[69:70], -v[77:78]
	v_fma_f64 v[211:212], v[213:214], v[209:210], v[211:212]
	v_add_f64 v[71:72], v[71:72], -v[211:212]
	;; [unrolled: 8-line block ×18, first 2 shown]
	ds_read2_b64 v[211:214], v253 offset0:106 offset1:107
	s_waitcnt lgkmcnt(0)
	v_mul_f64 v[77:78], v[213:214], v[79:80]
	v_fma_f64 v[77:78], v[211:212], v[209:210], -v[77:78]
	v_mul_f64 v[211:212], v[211:212], v[79:80]
	v_add_f64 v[1:2], v[1:2], -v[77:78]
	v_fma_f64 v[211:212], v[213:214], v[209:210], v[211:212]
	v_mov_b32_e32 v77, v209
	v_mov_b32_e32 v78, v210
	v_add_f64 v[3:4], v[3:4], -v[211:212]
.LBB107_316:
	s_or_b32 exec_lo, exec_lo, s1
	s_mov_b32 s2, exec_lo
	s_waitcnt_vscnt null, 0x0
	s_barrier
	buffer_gl0_inv
	v_cmpx_eq_u32_e32 35, v0
	s_cbranch_execz .LBB107_323
; %bb.317:
	ds_write2_b64 v255, v[73:74], v[75:76] offset1:1
	ds_write2_b64 v253, v[69:70], v[71:72] offset0:72 offset1:73
	ds_write2_b64 v253, v[65:66], v[67:68] offset0:74 offset1:75
	;; [unrolled: 1-line block ×18, first 2 shown]
	ds_read2_b64 v[209:212], v255 offset1:1
	s_waitcnt lgkmcnt(0)
	v_cmp_neq_f64_e32 vcc_lo, 0, v[209:210]
	v_cmp_neq_f64_e64 s1, 0, v[211:212]
	s_or_b32 s1, vcc_lo, s1
	s_and_b32 exec_lo, exec_lo, s1
	s_cbranch_execz .LBB107_323
; %bb.318:
	v_cmp_ngt_f64_e64 s1, |v[209:210]|, |v[211:212]|
                                        ; implicit-def: $vgpr213_vgpr214
	s_and_saveexec_b32 s3, s1
	s_xor_b32 s1, exec_lo, s3
                                        ; implicit-def: $vgpr215_vgpr216
	s_cbranch_execz .LBB107_320
; %bb.319:
	v_div_scale_f64 v[213:214], null, v[211:212], v[211:212], v[209:210]
	v_div_scale_f64 v[219:220], vcc_lo, v[209:210], v[211:212], v[209:210]
	v_rcp_f64_e32 v[215:216], v[213:214]
	v_fma_f64 v[217:218], -v[213:214], v[215:216], 1.0
	v_fma_f64 v[215:216], v[215:216], v[217:218], v[215:216]
	v_fma_f64 v[217:218], -v[213:214], v[215:216], 1.0
	v_fma_f64 v[215:216], v[215:216], v[217:218], v[215:216]
	v_mul_f64 v[217:218], v[219:220], v[215:216]
	v_fma_f64 v[213:214], -v[213:214], v[217:218], v[219:220]
	v_div_fmas_f64 v[213:214], v[213:214], v[215:216], v[217:218]
	v_div_fixup_f64 v[213:214], v[213:214], v[211:212], v[209:210]
	v_fma_f64 v[209:210], v[209:210], v[213:214], v[211:212]
	v_div_scale_f64 v[211:212], null, v[209:210], v[209:210], 1.0
	v_rcp_f64_e32 v[215:216], v[211:212]
	v_fma_f64 v[217:218], -v[211:212], v[215:216], 1.0
	v_fma_f64 v[215:216], v[215:216], v[217:218], v[215:216]
	v_fma_f64 v[217:218], -v[211:212], v[215:216], 1.0
	v_fma_f64 v[215:216], v[215:216], v[217:218], v[215:216]
	v_div_scale_f64 v[217:218], vcc_lo, 1.0, v[209:210], 1.0
	v_mul_f64 v[219:220], v[217:218], v[215:216]
	v_fma_f64 v[211:212], -v[211:212], v[219:220], v[217:218]
	v_div_fmas_f64 v[211:212], v[211:212], v[215:216], v[219:220]
	v_div_fixup_f64 v[215:216], v[211:212], v[209:210], 1.0
                                        ; implicit-def: $vgpr209_vgpr210
	v_mul_f64 v[213:214], v[213:214], v[215:216]
	v_xor_b32_e32 v216, 0x80000000, v216
.LBB107_320:
	s_andn2_saveexec_b32 s1, s1
	s_cbranch_execz .LBB107_322
; %bb.321:
	v_div_scale_f64 v[213:214], null, v[209:210], v[209:210], v[211:212]
	v_div_scale_f64 v[219:220], vcc_lo, v[211:212], v[209:210], v[211:212]
	v_rcp_f64_e32 v[215:216], v[213:214]
	v_fma_f64 v[217:218], -v[213:214], v[215:216], 1.0
	v_fma_f64 v[215:216], v[215:216], v[217:218], v[215:216]
	v_fma_f64 v[217:218], -v[213:214], v[215:216], 1.0
	v_fma_f64 v[215:216], v[215:216], v[217:218], v[215:216]
	v_mul_f64 v[217:218], v[219:220], v[215:216]
	v_fma_f64 v[213:214], -v[213:214], v[217:218], v[219:220]
	v_div_fmas_f64 v[213:214], v[213:214], v[215:216], v[217:218]
	v_div_fixup_f64 v[215:216], v[213:214], v[209:210], v[211:212]
	v_fma_f64 v[209:210], v[211:212], v[215:216], v[209:210]
	v_div_scale_f64 v[211:212], null, v[209:210], v[209:210], 1.0
	v_rcp_f64_e32 v[213:214], v[211:212]
	v_fma_f64 v[217:218], -v[211:212], v[213:214], 1.0
	v_fma_f64 v[213:214], v[213:214], v[217:218], v[213:214]
	v_fma_f64 v[217:218], -v[211:212], v[213:214], 1.0
	v_fma_f64 v[213:214], v[213:214], v[217:218], v[213:214]
	v_div_scale_f64 v[217:218], vcc_lo, 1.0, v[209:210], 1.0
	v_mul_f64 v[219:220], v[217:218], v[213:214]
	v_fma_f64 v[211:212], -v[211:212], v[219:220], v[217:218]
	v_div_fmas_f64 v[211:212], v[211:212], v[213:214], v[219:220]
	v_div_fixup_f64 v[213:214], v[211:212], v[209:210], 1.0
	v_mul_f64 v[215:216], v[215:216], -v[213:214]
.LBB107_322:
	s_or_b32 exec_lo, exec_lo, s1
	ds_write2_b64 v255, v[213:214], v[215:216] offset1:1
.LBB107_323:
	s_or_b32 exec_lo, exec_lo, s2
	s_waitcnt lgkmcnt(0)
	s_barrier
	buffer_gl0_inv
	ds_read2_b64 v[209:212], v255 offset1:1
	s_mov_b32 s1, exec_lo
	s_waitcnt lgkmcnt(0)
	buffer_store_dword v209, off, s[16:19], 0 offset:1032 ; 4-byte Folded Spill
	buffer_store_dword v210, off, s[16:19], 0 offset:1036 ; 4-byte Folded Spill
	;; [unrolled: 1-line block ×4, first 2 shown]
	v_cmpx_lt_u32_e32 35, v0
	s_cbranch_execz .LBB107_325
; %bb.324:
	s_clause 0x3
	buffer_load_dword v211, off, s[16:19], 0 offset:1032
	buffer_load_dword v212, off, s[16:19], 0 offset:1036
	buffer_load_dword v213, off, s[16:19], 0 offset:1040
	buffer_load_dword v214, off, s[16:19], 0 offset:1044
	s_waitcnt vmcnt(0)
	v_mul_f64 v[209:210], v[213:214], v[75:76]
	v_mul_f64 v[75:76], v[211:212], v[75:76]
	v_fma_f64 v[209:210], v[211:212], v[73:74], -v[209:210]
	v_fma_f64 v[75:76], v[213:214], v[73:74], v[75:76]
	ds_read2_b64 v[211:214], v253 offset0:72 offset1:73
	s_waitcnt lgkmcnt(0)
	v_mul_f64 v[73:74], v[213:214], v[75:76]
	v_fma_f64 v[73:74], v[211:212], v[209:210], -v[73:74]
	v_mul_f64 v[211:212], v[211:212], v[75:76]
	v_add_f64 v[69:70], v[69:70], -v[73:74]
	v_fma_f64 v[211:212], v[213:214], v[209:210], v[211:212]
	v_add_f64 v[71:72], v[71:72], -v[211:212]
	ds_read2_b64 v[211:214], v253 offset0:74 offset1:75
	s_waitcnt lgkmcnt(0)
	v_mul_f64 v[73:74], v[213:214], v[75:76]
	v_fma_f64 v[73:74], v[211:212], v[209:210], -v[73:74]
	v_mul_f64 v[211:212], v[211:212], v[75:76]
	v_add_f64 v[65:66], v[65:66], -v[73:74]
	v_fma_f64 v[211:212], v[213:214], v[209:210], v[211:212]
	v_add_f64 v[67:68], v[67:68], -v[211:212]
	;; [unrolled: 8-line block ×17, first 2 shown]
	ds_read2_b64 v[211:214], v253 offset0:106 offset1:107
	s_waitcnt lgkmcnt(0)
	v_mul_f64 v[73:74], v[213:214], v[75:76]
	v_fma_f64 v[73:74], v[211:212], v[209:210], -v[73:74]
	v_mul_f64 v[211:212], v[211:212], v[75:76]
	v_add_f64 v[1:2], v[1:2], -v[73:74]
	v_fma_f64 v[211:212], v[213:214], v[209:210], v[211:212]
	v_mov_b32_e32 v73, v209
	v_mov_b32_e32 v74, v210
	v_add_f64 v[3:4], v[3:4], -v[211:212]
.LBB107_325:
	s_or_b32 exec_lo, exec_lo, s1
	s_mov_b32 s2, exec_lo
	s_waitcnt_vscnt null, 0x0
	s_barrier
	buffer_gl0_inv
	v_cmpx_eq_u32_e32 36, v0
	s_cbranch_execz .LBB107_332
; %bb.326:
	ds_write2_b64 v255, v[69:70], v[71:72] offset1:1
	ds_write2_b64 v253, v[65:66], v[67:68] offset0:74 offset1:75
	ds_write2_b64 v253, v[61:62], v[63:64] offset0:76 offset1:77
	;; [unrolled: 1-line block ×17, first 2 shown]
	ds_read2_b64 v[209:212], v255 offset1:1
	s_waitcnt lgkmcnt(0)
	v_cmp_neq_f64_e32 vcc_lo, 0, v[209:210]
	v_cmp_neq_f64_e64 s1, 0, v[211:212]
	s_or_b32 s1, vcc_lo, s1
	s_and_b32 exec_lo, exec_lo, s1
	s_cbranch_execz .LBB107_332
; %bb.327:
	v_cmp_ngt_f64_e64 s1, |v[209:210]|, |v[211:212]|
                                        ; implicit-def: $vgpr213_vgpr214
	s_and_saveexec_b32 s3, s1
	s_xor_b32 s1, exec_lo, s3
                                        ; implicit-def: $vgpr215_vgpr216
	s_cbranch_execz .LBB107_329
; %bb.328:
	v_div_scale_f64 v[213:214], null, v[211:212], v[211:212], v[209:210]
	v_div_scale_f64 v[219:220], vcc_lo, v[209:210], v[211:212], v[209:210]
	v_rcp_f64_e32 v[215:216], v[213:214]
	v_fma_f64 v[217:218], -v[213:214], v[215:216], 1.0
	v_fma_f64 v[215:216], v[215:216], v[217:218], v[215:216]
	v_fma_f64 v[217:218], -v[213:214], v[215:216], 1.0
	v_fma_f64 v[215:216], v[215:216], v[217:218], v[215:216]
	v_mul_f64 v[217:218], v[219:220], v[215:216]
	v_fma_f64 v[213:214], -v[213:214], v[217:218], v[219:220]
	v_div_fmas_f64 v[213:214], v[213:214], v[215:216], v[217:218]
	v_div_fixup_f64 v[213:214], v[213:214], v[211:212], v[209:210]
	v_fma_f64 v[209:210], v[209:210], v[213:214], v[211:212]
	v_div_scale_f64 v[211:212], null, v[209:210], v[209:210], 1.0
	v_rcp_f64_e32 v[215:216], v[211:212]
	v_fma_f64 v[217:218], -v[211:212], v[215:216], 1.0
	v_fma_f64 v[215:216], v[215:216], v[217:218], v[215:216]
	v_fma_f64 v[217:218], -v[211:212], v[215:216], 1.0
	v_fma_f64 v[215:216], v[215:216], v[217:218], v[215:216]
	v_div_scale_f64 v[217:218], vcc_lo, 1.0, v[209:210], 1.0
	v_mul_f64 v[219:220], v[217:218], v[215:216]
	v_fma_f64 v[211:212], -v[211:212], v[219:220], v[217:218]
	v_div_fmas_f64 v[211:212], v[211:212], v[215:216], v[219:220]
	v_div_fixup_f64 v[215:216], v[211:212], v[209:210], 1.0
                                        ; implicit-def: $vgpr209_vgpr210
	v_mul_f64 v[213:214], v[213:214], v[215:216]
	v_xor_b32_e32 v216, 0x80000000, v216
.LBB107_329:
	s_andn2_saveexec_b32 s1, s1
	s_cbranch_execz .LBB107_331
; %bb.330:
	v_div_scale_f64 v[213:214], null, v[209:210], v[209:210], v[211:212]
	v_div_scale_f64 v[219:220], vcc_lo, v[211:212], v[209:210], v[211:212]
	v_rcp_f64_e32 v[215:216], v[213:214]
	v_fma_f64 v[217:218], -v[213:214], v[215:216], 1.0
	v_fma_f64 v[215:216], v[215:216], v[217:218], v[215:216]
	v_fma_f64 v[217:218], -v[213:214], v[215:216], 1.0
	v_fma_f64 v[215:216], v[215:216], v[217:218], v[215:216]
	v_mul_f64 v[217:218], v[219:220], v[215:216]
	v_fma_f64 v[213:214], -v[213:214], v[217:218], v[219:220]
	v_div_fmas_f64 v[213:214], v[213:214], v[215:216], v[217:218]
	v_div_fixup_f64 v[215:216], v[213:214], v[209:210], v[211:212]
	v_fma_f64 v[209:210], v[211:212], v[215:216], v[209:210]
	v_div_scale_f64 v[211:212], null, v[209:210], v[209:210], 1.0
	v_rcp_f64_e32 v[213:214], v[211:212]
	v_fma_f64 v[217:218], -v[211:212], v[213:214], 1.0
	v_fma_f64 v[213:214], v[213:214], v[217:218], v[213:214]
	v_fma_f64 v[217:218], -v[211:212], v[213:214], 1.0
	v_fma_f64 v[213:214], v[213:214], v[217:218], v[213:214]
	v_div_scale_f64 v[217:218], vcc_lo, 1.0, v[209:210], 1.0
	v_mul_f64 v[219:220], v[217:218], v[213:214]
	v_fma_f64 v[211:212], -v[211:212], v[219:220], v[217:218]
	v_div_fmas_f64 v[211:212], v[211:212], v[213:214], v[219:220]
	v_div_fixup_f64 v[213:214], v[211:212], v[209:210], 1.0
	v_mul_f64 v[215:216], v[215:216], -v[213:214]
.LBB107_331:
	s_or_b32 exec_lo, exec_lo, s1
	ds_write2_b64 v255, v[213:214], v[215:216] offset1:1
.LBB107_332:
	s_or_b32 exec_lo, exec_lo, s2
	s_waitcnt lgkmcnt(0)
	s_barrier
	buffer_gl0_inv
	ds_read2_b64 v[209:212], v255 offset1:1
	s_mov_b32 s1, exec_lo
	s_waitcnt lgkmcnt(0)
	buffer_store_dword v209, off, s[16:19], 0 offset:1048 ; 4-byte Folded Spill
	buffer_store_dword v210, off, s[16:19], 0 offset:1052 ; 4-byte Folded Spill
	;; [unrolled: 1-line block ×4, first 2 shown]
	v_cmpx_lt_u32_e32 36, v0
	s_cbranch_execz .LBB107_334
; %bb.333:
	s_clause 0x3
	buffer_load_dword v211, off, s[16:19], 0 offset:1048
	buffer_load_dword v212, off, s[16:19], 0 offset:1052
	;; [unrolled: 1-line block ×4, first 2 shown]
	s_waitcnt vmcnt(0)
	v_mul_f64 v[209:210], v[213:214], v[71:72]
	v_mul_f64 v[71:72], v[211:212], v[71:72]
	v_fma_f64 v[209:210], v[211:212], v[69:70], -v[209:210]
	v_fma_f64 v[71:72], v[213:214], v[69:70], v[71:72]
	ds_read2_b64 v[211:214], v253 offset0:74 offset1:75
	s_waitcnt lgkmcnt(0)
	v_mul_f64 v[69:70], v[213:214], v[71:72]
	v_fma_f64 v[69:70], v[211:212], v[209:210], -v[69:70]
	v_mul_f64 v[211:212], v[211:212], v[71:72]
	v_add_f64 v[65:66], v[65:66], -v[69:70]
	v_fma_f64 v[211:212], v[213:214], v[209:210], v[211:212]
	v_add_f64 v[67:68], v[67:68], -v[211:212]
	ds_read2_b64 v[211:214], v253 offset0:76 offset1:77
	s_waitcnt lgkmcnt(0)
	v_mul_f64 v[69:70], v[213:214], v[71:72]
	v_fma_f64 v[69:70], v[211:212], v[209:210], -v[69:70]
	v_mul_f64 v[211:212], v[211:212], v[71:72]
	v_add_f64 v[61:62], v[61:62], -v[69:70]
	v_fma_f64 v[211:212], v[213:214], v[209:210], v[211:212]
	v_add_f64 v[63:64], v[63:64], -v[211:212]
	ds_read2_b64 v[211:214], v253 offset0:78 offset1:79
	s_waitcnt lgkmcnt(0)
	v_mul_f64 v[69:70], v[213:214], v[71:72]
	v_fma_f64 v[69:70], v[211:212], v[209:210], -v[69:70]
	v_mul_f64 v[211:212], v[211:212], v[71:72]
	v_add_f64 v[57:58], v[57:58], -v[69:70]
	v_fma_f64 v[211:212], v[213:214], v[209:210], v[211:212]
	v_add_f64 v[59:60], v[59:60], -v[211:212]
	ds_read2_b64 v[211:214], v253 offset0:80 offset1:81
	s_waitcnt lgkmcnt(0)
	v_mul_f64 v[69:70], v[213:214], v[71:72]
	v_fma_f64 v[69:70], v[211:212], v[209:210], -v[69:70]
	v_mul_f64 v[211:212], v[211:212], v[71:72]
	v_add_f64 v[53:54], v[53:54], -v[69:70]
	v_fma_f64 v[211:212], v[213:214], v[209:210], v[211:212]
	v_add_f64 v[55:56], v[55:56], -v[211:212]
	ds_read2_b64 v[211:214], v253 offset0:82 offset1:83
	s_waitcnt lgkmcnt(0)
	v_mul_f64 v[69:70], v[213:214], v[71:72]
	v_fma_f64 v[69:70], v[211:212], v[209:210], -v[69:70]
	v_mul_f64 v[211:212], v[211:212], v[71:72]
	v_add_f64 v[49:50], v[49:50], -v[69:70]
	v_fma_f64 v[211:212], v[213:214], v[209:210], v[211:212]
	v_add_f64 v[51:52], v[51:52], -v[211:212]
	ds_read2_b64 v[211:214], v253 offset0:84 offset1:85
	s_waitcnt lgkmcnt(0)
	v_mul_f64 v[69:70], v[213:214], v[71:72]
	v_fma_f64 v[69:70], v[211:212], v[209:210], -v[69:70]
	v_mul_f64 v[211:212], v[211:212], v[71:72]
	v_add_f64 v[45:46], v[45:46], -v[69:70]
	v_fma_f64 v[211:212], v[213:214], v[209:210], v[211:212]
	v_add_f64 v[47:48], v[47:48], -v[211:212]
	ds_read2_b64 v[211:214], v253 offset0:86 offset1:87
	s_waitcnt lgkmcnt(0)
	v_mul_f64 v[69:70], v[213:214], v[71:72]
	v_fma_f64 v[69:70], v[211:212], v[209:210], -v[69:70]
	v_mul_f64 v[211:212], v[211:212], v[71:72]
	v_add_f64 v[41:42], v[41:42], -v[69:70]
	v_fma_f64 v[211:212], v[213:214], v[209:210], v[211:212]
	v_add_f64 v[43:44], v[43:44], -v[211:212]
	ds_read2_b64 v[211:214], v253 offset0:88 offset1:89
	s_waitcnt lgkmcnt(0)
	v_mul_f64 v[69:70], v[213:214], v[71:72]
	v_fma_f64 v[69:70], v[211:212], v[209:210], -v[69:70]
	v_mul_f64 v[211:212], v[211:212], v[71:72]
	v_add_f64 v[37:38], v[37:38], -v[69:70]
	v_fma_f64 v[211:212], v[213:214], v[209:210], v[211:212]
	v_add_f64 v[39:40], v[39:40], -v[211:212]
	ds_read2_b64 v[211:214], v253 offset0:90 offset1:91
	s_waitcnt lgkmcnt(0)
	v_mul_f64 v[69:70], v[213:214], v[71:72]
	v_fma_f64 v[69:70], v[211:212], v[209:210], -v[69:70]
	v_mul_f64 v[211:212], v[211:212], v[71:72]
	v_add_f64 v[33:34], v[33:34], -v[69:70]
	v_fma_f64 v[211:212], v[213:214], v[209:210], v[211:212]
	v_add_f64 v[35:36], v[35:36], -v[211:212]
	ds_read2_b64 v[211:214], v253 offset0:92 offset1:93
	s_waitcnt lgkmcnt(0)
	v_mul_f64 v[69:70], v[213:214], v[71:72]
	v_fma_f64 v[69:70], v[211:212], v[209:210], -v[69:70]
	v_mul_f64 v[211:212], v[211:212], v[71:72]
	v_add_f64 v[29:30], v[29:30], -v[69:70]
	v_fma_f64 v[211:212], v[213:214], v[209:210], v[211:212]
	v_add_f64 v[31:32], v[31:32], -v[211:212]
	ds_read2_b64 v[211:214], v253 offset0:94 offset1:95
	s_waitcnt lgkmcnt(0)
	v_mul_f64 v[69:70], v[213:214], v[71:72]
	v_fma_f64 v[69:70], v[211:212], v[209:210], -v[69:70]
	v_mul_f64 v[211:212], v[211:212], v[71:72]
	v_add_f64 v[25:26], v[25:26], -v[69:70]
	v_fma_f64 v[211:212], v[213:214], v[209:210], v[211:212]
	v_add_f64 v[27:28], v[27:28], -v[211:212]
	ds_read2_b64 v[211:214], v253 offset0:96 offset1:97
	s_waitcnt lgkmcnt(0)
	v_mul_f64 v[69:70], v[213:214], v[71:72]
	v_fma_f64 v[69:70], v[211:212], v[209:210], -v[69:70]
	v_mul_f64 v[211:212], v[211:212], v[71:72]
	v_add_f64 v[21:22], v[21:22], -v[69:70]
	v_fma_f64 v[211:212], v[213:214], v[209:210], v[211:212]
	v_add_f64 v[23:24], v[23:24], -v[211:212]
	ds_read2_b64 v[211:214], v253 offset0:98 offset1:99
	s_waitcnt lgkmcnt(0)
	v_mul_f64 v[69:70], v[213:214], v[71:72]
	v_fma_f64 v[69:70], v[211:212], v[209:210], -v[69:70]
	v_mul_f64 v[211:212], v[211:212], v[71:72]
	v_add_f64 v[17:18], v[17:18], -v[69:70]
	v_fma_f64 v[211:212], v[213:214], v[209:210], v[211:212]
	v_add_f64 v[19:20], v[19:20], -v[211:212]
	ds_read2_b64 v[211:214], v253 offset0:100 offset1:101
	s_waitcnt lgkmcnt(0)
	v_mul_f64 v[69:70], v[213:214], v[71:72]
	v_fma_f64 v[69:70], v[211:212], v[209:210], -v[69:70]
	v_mul_f64 v[211:212], v[211:212], v[71:72]
	v_add_f64 v[13:14], v[13:14], -v[69:70]
	v_fma_f64 v[211:212], v[213:214], v[209:210], v[211:212]
	v_add_f64 v[15:16], v[15:16], -v[211:212]
	ds_read2_b64 v[211:214], v253 offset0:102 offset1:103
	s_waitcnt lgkmcnt(0)
	v_mul_f64 v[69:70], v[213:214], v[71:72]
	v_fma_f64 v[69:70], v[211:212], v[209:210], -v[69:70]
	v_mul_f64 v[211:212], v[211:212], v[71:72]
	v_add_f64 v[9:10], v[9:10], -v[69:70]
	v_fma_f64 v[211:212], v[213:214], v[209:210], v[211:212]
	v_add_f64 v[11:12], v[11:12], -v[211:212]
	ds_read2_b64 v[211:214], v253 offset0:104 offset1:105
	s_waitcnt lgkmcnt(0)
	v_mul_f64 v[69:70], v[213:214], v[71:72]
	v_fma_f64 v[69:70], v[211:212], v[209:210], -v[69:70]
	v_mul_f64 v[211:212], v[211:212], v[71:72]
	v_add_f64 v[5:6], v[5:6], -v[69:70]
	v_fma_f64 v[211:212], v[213:214], v[209:210], v[211:212]
	v_add_f64 v[7:8], v[7:8], -v[211:212]
	ds_read2_b64 v[211:214], v253 offset0:106 offset1:107
	s_waitcnt lgkmcnt(0)
	v_mul_f64 v[69:70], v[213:214], v[71:72]
	v_fma_f64 v[69:70], v[211:212], v[209:210], -v[69:70]
	v_mul_f64 v[211:212], v[211:212], v[71:72]
	v_add_f64 v[1:2], v[1:2], -v[69:70]
	v_fma_f64 v[211:212], v[213:214], v[209:210], v[211:212]
	v_mov_b32_e32 v69, v209
	v_mov_b32_e32 v70, v210
	v_add_f64 v[3:4], v[3:4], -v[211:212]
.LBB107_334:
	s_or_b32 exec_lo, exec_lo, s1
	s_mov_b32 s2, exec_lo
	s_waitcnt_vscnt null, 0x0
	s_barrier
	buffer_gl0_inv
	v_cmpx_eq_u32_e32 37, v0
	s_cbranch_execz .LBB107_341
; %bb.335:
	ds_write2_b64 v255, v[65:66], v[67:68] offset1:1
	ds_write2_b64 v253, v[61:62], v[63:64] offset0:76 offset1:77
	ds_write2_b64 v253, v[57:58], v[59:60] offset0:78 offset1:79
	;; [unrolled: 1-line block ×16, first 2 shown]
	ds_read2_b64 v[209:212], v255 offset1:1
	s_waitcnt lgkmcnt(0)
	v_cmp_neq_f64_e32 vcc_lo, 0, v[209:210]
	v_cmp_neq_f64_e64 s1, 0, v[211:212]
	s_or_b32 s1, vcc_lo, s1
	s_and_b32 exec_lo, exec_lo, s1
	s_cbranch_execz .LBB107_341
; %bb.336:
	v_cmp_ngt_f64_e64 s1, |v[209:210]|, |v[211:212]|
                                        ; implicit-def: $vgpr213_vgpr214
	s_and_saveexec_b32 s3, s1
	s_xor_b32 s1, exec_lo, s3
                                        ; implicit-def: $vgpr215_vgpr216
	s_cbranch_execz .LBB107_338
; %bb.337:
	v_div_scale_f64 v[213:214], null, v[211:212], v[211:212], v[209:210]
	v_div_scale_f64 v[219:220], vcc_lo, v[209:210], v[211:212], v[209:210]
	v_rcp_f64_e32 v[215:216], v[213:214]
	v_fma_f64 v[217:218], -v[213:214], v[215:216], 1.0
	v_fma_f64 v[215:216], v[215:216], v[217:218], v[215:216]
	v_fma_f64 v[217:218], -v[213:214], v[215:216], 1.0
	v_fma_f64 v[215:216], v[215:216], v[217:218], v[215:216]
	v_mul_f64 v[217:218], v[219:220], v[215:216]
	v_fma_f64 v[213:214], -v[213:214], v[217:218], v[219:220]
	v_div_fmas_f64 v[213:214], v[213:214], v[215:216], v[217:218]
	v_div_fixup_f64 v[213:214], v[213:214], v[211:212], v[209:210]
	v_fma_f64 v[209:210], v[209:210], v[213:214], v[211:212]
	v_div_scale_f64 v[211:212], null, v[209:210], v[209:210], 1.0
	v_rcp_f64_e32 v[215:216], v[211:212]
	v_fma_f64 v[217:218], -v[211:212], v[215:216], 1.0
	v_fma_f64 v[215:216], v[215:216], v[217:218], v[215:216]
	v_fma_f64 v[217:218], -v[211:212], v[215:216], 1.0
	v_fma_f64 v[215:216], v[215:216], v[217:218], v[215:216]
	v_div_scale_f64 v[217:218], vcc_lo, 1.0, v[209:210], 1.0
	v_mul_f64 v[219:220], v[217:218], v[215:216]
	v_fma_f64 v[211:212], -v[211:212], v[219:220], v[217:218]
	v_div_fmas_f64 v[211:212], v[211:212], v[215:216], v[219:220]
	v_div_fixup_f64 v[215:216], v[211:212], v[209:210], 1.0
                                        ; implicit-def: $vgpr209_vgpr210
	v_mul_f64 v[213:214], v[213:214], v[215:216]
	v_xor_b32_e32 v216, 0x80000000, v216
.LBB107_338:
	s_andn2_saveexec_b32 s1, s1
	s_cbranch_execz .LBB107_340
; %bb.339:
	v_div_scale_f64 v[213:214], null, v[209:210], v[209:210], v[211:212]
	v_div_scale_f64 v[219:220], vcc_lo, v[211:212], v[209:210], v[211:212]
	v_rcp_f64_e32 v[215:216], v[213:214]
	v_fma_f64 v[217:218], -v[213:214], v[215:216], 1.0
	v_fma_f64 v[215:216], v[215:216], v[217:218], v[215:216]
	v_fma_f64 v[217:218], -v[213:214], v[215:216], 1.0
	v_fma_f64 v[215:216], v[215:216], v[217:218], v[215:216]
	v_mul_f64 v[217:218], v[219:220], v[215:216]
	v_fma_f64 v[213:214], -v[213:214], v[217:218], v[219:220]
	v_div_fmas_f64 v[213:214], v[213:214], v[215:216], v[217:218]
	v_div_fixup_f64 v[215:216], v[213:214], v[209:210], v[211:212]
	v_fma_f64 v[209:210], v[211:212], v[215:216], v[209:210]
	v_div_scale_f64 v[211:212], null, v[209:210], v[209:210], 1.0
	v_rcp_f64_e32 v[213:214], v[211:212]
	v_fma_f64 v[217:218], -v[211:212], v[213:214], 1.0
	v_fma_f64 v[213:214], v[213:214], v[217:218], v[213:214]
	v_fma_f64 v[217:218], -v[211:212], v[213:214], 1.0
	v_fma_f64 v[213:214], v[213:214], v[217:218], v[213:214]
	v_div_scale_f64 v[217:218], vcc_lo, 1.0, v[209:210], 1.0
	v_mul_f64 v[219:220], v[217:218], v[213:214]
	v_fma_f64 v[211:212], -v[211:212], v[219:220], v[217:218]
	v_div_fmas_f64 v[211:212], v[211:212], v[213:214], v[219:220]
	v_div_fixup_f64 v[213:214], v[211:212], v[209:210], 1.0
	v_mul_f64 v[215:216], v[215:216], -v[213:214]
.LBB107_340:
	s_or_b32 exec_lo, exec_lo, s1
	ds_write2_b64 v255, v[213:214], v[215:216] offset1:1
.LBB107_341:
	s_or_b32 exec_lo, exec_lo, s2
	s_waitcnt lgkmcnt(0)
	s_barrier
	buffer_gl0_inv
	ds_read2_b64 v[209:212], v255 offset1:1
	s_mov_b32 s1, exec_lo
	s_waitcnt lgkmcnt(0)
	buffer_store_dword v209, off, s[16:19], 0 offset:1064 ; 4-byte Folded Spill
	buffer_store_dword v210, off, s[16:19], 0 offset:1068 ; 4-byte Folded Spill
	;; [unrolled: 1-line block ×4, first 2 shown]
	v_cmpx_lt_u32_e32 37, v0
	s_cbranch_execz .LBB107_343
; %bb.342:
	s_clause 0x3
	buffer_load_dword v211, off, s[16:19], 0 offset:1064
	buffer_load_dword v212, off, s[16:19], 0 offset:1068
	;; [unrolled: 1-line block ×4, first 2 shown]
	s_waitcnt vmcnt(2)
	v_mul_f64 v[209:210], v[211:212], v[67:68]
	s_waitcnt vmcnt(0)
	v_mul_f64 v[67:68], v[213:214], v[67:68]
	v_fma_f64 v[209:210], v[213:214], v[65:66], v[209:210]
	v_fma_f64 v[65:66], v[211:212], v[65:66], -v[67:68]
	ds_read2_b64 v[211:214], v253 offset0:76 offset1:77
	s_waitcnt lgkmcnt(0)
	v_mul_f64 v[67:68], v[213:214], v[209:210]
	v_fma_f64 v[67:68], v[211:212], v[65:66], -v[67:68]
	v_mul_f64 v[211:212], v[211:212], v[209:210]
	v_add_f64 v[61:62], v[61:62], -v[67:68]
	v_fma_f64 v[211:212], v[213:214], v[65:66], v[211:212]
	v_add_f64 v[63:64], v[63:64], -v[211:212]
	ds_read2_b64 v[211:214], v253 offset0:78 offset1:79
	s_waitcnt lgkmcnt(0)
	v_mul_f64 v[67:68], v[213:214], v[209:210]
	v_fma_f64 v[67:68], v[211:212], v[65:66], -v[67:68]
	v_mul_f64 v[211:212], v[211:212], v[209:210]
	v_add_f64 v[57:58], v[57:58], -v[67:68]
	v_fma_f64 v[211:212], v[213:214], v[65:66], v[211:212]
	v_add_f64 v[59:60], v[59:60], -v[211:212]
	;; [unrolled: 8-line block ×15, first 2 shown]
	ds_read2_b64 v[211:214], v253 offset0:106 offset1:107
	s_waitcnt lgkmcnt(0)
	v_mul_f64 v[67:68], v[213:214], v[209:210]
	v_fma_f64 v[67:68], v[211:212], v[65:66], -v[67:68]
	v_mul_f64 v[211:212], v[211:212], v[209:210]
	v_add_f64 v[1:2], v[1:2], -v[67:68]
	v_fma_f64 v[211:212], v[213:214], v[65:66], v[211:212]
	v_mov_b32_e32 v67, v209
	v_mov_b32_e32 v68, v210
	v_add_f64 v[3:4], v[3:4], -v[211:212]
.LBB107_343:
	s_or_b32 exec_lo, exec_lo, s1
	s_mov_b32 s2, exec_lo
	s_waitcnt_vscnt null, 0x0
	s_barrier
	buffer_gl0_inv
	v_cmpx_eq_u32_e32 38, v0
	s_cbranch_execz .LBB107_350
; %bb.344:
	ds_write2_b64 v255, v[61:62], v[63:64] offset1:1
	ds_write2_b64 v253, v[57:58], v[59:60] offset0:78 offset1:79
	ds_write2_b64 v253, v[53:54], v[55:56] offset0:80 offset1:81
	;; [unrolled: 1-line block ×15, first 2 shown]
	ds_read2_b64 v[209:212], v255 offset1:1
	s_waitcnt lgkmcnt(0)
	v_cmp_neq_f64_e32 vcc_lo, 0, v[209:210]
	v_cmp_neq_f64_e64 s1, 0, v[211:212]
	s_or_b32 s1, vcc_lo, s1
	s_and_b32 exec_lo, exec_lo, s1
	s_cbranch_execz .LBB107_350
; %bb.345:
	v_cmp_ngt_f64_e64 s1, |v[209:210]|, |v[211:212]|
                                        ; implicit-def: $vgpr213_vgpr214
	s_and_saveexec_b32 s3, s1
	s_xor_b32 s1, exec_lo, s3
                                        ; implicit-def: $vgpr215_vgpr216
	s_cbranch_execz .LBB107_347
; %bb.346:
	v_div_scale_f64 v[213:214], null, v[211:212], v[211:212], v[209:210]
	v_div_scale_f64 v[219:220], vcc_lo, v[209:210], v[211:212], v[209:210]
	v_rcp_f64_e32 v[215:216], v[213:214]
	v_fma_f64 v[217:218], -v[213:214], v[215:216], 1.0
	v_fma_f64 v[215:216], v[215:216], v[217:218], v[215:216]
	v_fma_f64 v[217:218], -v[213:214], v[215:216], 1.0
	v_fma_f64 v[215:216], v[215:216], v[217:218], v[215:216]
	v_mul_f64 v[217:218], v[219:220], v[215:216]
	v_fma_f64 v[213:214], -v[213:214], v[217:218], v[219:220]
	v_div_fmas_f64 v[213:214], v[213:214], v[215:216], v[217:218]
	v_div_fixup_f64 v[213:214], v[213:214], v[211:212], v[209:210]
	v_fma_f64 v[209:210], v[209:210], v[213:214], v[211:212]
	v_div_scale_f64 v[211:212], null, v[209:210], v[209:210], 1.0
	v_rcp_f64_e32 v[215:216], v[211:212]
	v_fma_f64 v[217:218], -v[211:212], v[215:216], 1.0
	v_fma_f64 v[215:216], v[215:216], v[217:218], v[215:216]
	v_fma_f64 v[217:218], -v[211:212], v[215:216], 1.0
	v_fma_f64 v[215:216], v[215:216], v[217:218], v[215:216]
	v_div_scale_f64 v[217:218], vcc_lo, 1.0, v[209:210], 1.0
	v_mul_f64 v[219:220], v[217:218], v[215:216]
	v_fma_f64 v[211:212], -v[211:212], v[219:220], v[217:218]
	v_div_fmas_f64 v[211:212], v[211:212], v[215:216], v[219:220]
	v_div_fixup_f64 v[215:216], v[211:212], v[209:210], 1.0
                                        ; implicit-def: $vgpr209_vgpr210
	v_mul_f64 v[213:214], v[213:214], v[215:216]
	v_xor_b32_e32 v216, 0x80000000, v216
.LBB107_347:
	s_andn2_saveexec_b32 s1, s1
	s_cbranch_execz .LBB107_349
; %bb.348:
	v_div_scale_f64 v[213:214], null, v[209:210], v[209:210], v[211:212]
	v_div_scale_f64 v[219:220], vcc_lo, v[211:212], v[209:210], v[211:212]
	v_rcp_f64_e32 v[215:216], v[213:214]
	v_fma_f64 v[217:218], -v[213:214], v[215:216], 1.0
	v_fma_f64 v[215:216], v[215:216], v[217:218], v[215:216]
	v_fma_f64 v[217:218], -v[213:214], v[215:216], 1.0
	v_fma_f64 v[215:216], v[215:216], v[217:218], v[215:216]
	v_mul_f64 v[217:218], v[219:220], v[215:216]
	v_fma_f64 v[213:214], -v[213:214], v[217:218], v[219:220]
	v_div_fmas_f64 v[213:214], v[213:214], v[215:216], v[217:218]
	v_div_fixup_f64 v[215:216], v[213:214], v[209:210], v[211:212]
	v_fma_f64 v[209:210], v[211:212], v[215:216], v[209:210]
	v_div_scale_f64 v[211:212], null, v[209:210], v[209:210], 1.0
	v_rcp_f64_e32 v[213:214], v[211:212]
	v_fma_f64 v[217:218], -v[211:212], v[213:214], 1.0
	v_fma_f64 v[213:214], v[213:214], v[217:218], v[213:214]
	v_fma_f64 v[217:218], -v[211:212], v[213:214], 1.0
	v_fma_f64 v[213:214], v[213:214], v[217:218], v[213:214]
	v_div_scale_f64 v[217:218], vcc_lo, 1.0, v[209:210], 1.0
	v_mul_f64 v[219:220], v[217:218], v[213:214]
	v_fma_f64 v[211:212], -v[211:212], v[219:220], v[217:218]
	v_div_fmas_f64 v[211:212], v[211:212], v[213:214], v[219:220]
	v_div_fixup_f64 v[213:214], v[211:212], v[209:210], 1.0
	v_mul_f64 v[215:216], v[215:216], -v[213:214]
.LBB107_349:
	s_or_b32 exec_lo, exec_lo, s1
	ds_write2_b64 v255, v[213:214], v[215:216] offset1:1
.LBB107_350:
	s_or_b32 exec_lo, exec_lo, s2
	s_waitcnt lgkmcnt(0)
	s_barrier
	buffer_gl0_inv
	ds_read2_b64 v[209:212], v255 offset1:1
	s_mov_b32 s1, exec_lo
	s_waitcnt lgkmcnt(0)
	buffer_store_dword v209, off, s[16:19], 0 offset:1080 ; 4-byte Folded Spill
	buffer_store_dword v210, off, s[16:19], 0 offset:1084 ; 4-byte Folded Spill
	;; [unrolled: 1-line block ×4, first 2 shown]
	v_cmpx_lt_u32_e32 38, v0
	s_cbranch_execz .LBB107_352
; %bb.351:
	s_clause 0x3
	buffer_load_dword v211, off, s[16:19], 0 offset:1080
	buffer_load_dword v212, off, s[16:19], 0 offset:1084
	;; [unrolled: 1-line block ×4, first 2 shown]
	s_waitcnt vmcnt(2)
	v_mul_f64 v[209:210], v[211:212], v[63:64]
	s_waitcnt vmcnt(0)
	v_mul_f64 v[63:64], v[213:214], v[63:64]
	v_fma_f64 v[209:210], v[213:214], v[61:62], v[209:210]
	v_fma_f64 v[61:62], v[211:212], v[61:62], -v[63:64]
	ds_read2_b64 v[211:214], v253 offset0:78 offset1:79
	s_waitcnt lgkmcnt(0)
	v_mul_f64 v[63:64], v[213:214], v[209:210]
	v_fma_f64 v[63:64], v[211:212], v[61:62], -v[63:64]
	v_mul_f64 v[211:212], v[211:212], v[209:210]
	v_add_f64 v[57:58], v[57:58], -v[63:64]
	v_fma_f64 v[211:212], v[213:214], v[61:62], v[211:212]
	v_add_f64 v[59:60], v[59:60], -v[211:212]
	ds_read2_b64 v[211:214], v253 offset0:80 offset1:81
	s_waitcnt lgkmcnt(0)
	v_mul_f64 v[63:64], v[213:214], v[209:210]
	v_fma_f64 v[63:64], v[211:212], v[61:62], -v[63:64]
	v_mul_f64 v[211:212], v[211:212], v[209:210]
	v_add_f64 v[53:54], v[53:54], -v[63:64]
	v_fma_f64 v[211:212], v[213:214], v[61:62], v[211:212]
	v_add_f64 v[55:56], v[55:56], -v[211:212]
	;; [unrolled: 8-line block ×14, first 2 shown]
	ds_read2_b64 v[211:214], v253 offset0:106 offset1:107
	s_waitcnt lgkmcnt(0)
	v_mul_f64 v[63:64], v[213:214], v[209:210]
	v_fma_f64 v[63:64], v[211:212], v[61:62], -v[63:64]
	v_mul_f64 v[211:212], v[211:212], v[209:210]
	v_add_f64 v[1:2], v[1:2], -v[63:64]
	v_fma_f64 v[211:212], v[213:214], v[61:62], v[211:212]
	v_mov_b32_e32 v63, v209
	v_mov_b32_e32 v64, v210
	v_add_f64 v[3:4], v[3:4], -v[211:212]
.LBB107_352:
	s_or_b32 exec_lo, exec_lo, s1
	s_mov_b32 s2, exec_lo
	s_waitcnt_vscnt null, 0x0
	s_barrier
	buffer_gl0_inv
	v_cmpx_eq_u32_e32 39, v0
	s_cbranch_execz .LBB107_359
; %bb.353:
	ds_write2_b64 v255, v[57:58], v[59:60] offset1:1
	ds_write2_b64 v253, v[53:54], v[55:56] offset0:80 offset1:81
	ds_write2_b64 v253, v[49:50], v[51:52] offset0:82 offset1:83
	ds_write2_b64 v253, v[45:46], v[47:48] offset0:84 offset1:85
	ds_write2_b64 v253, v[41:42], v[43:44] offset0:86 offset1:87
	ds_write2_b64 v253, v[37:38], v[39:40] offset0:88 offset1:89
	ds_write2_b64 v253, v[33:34], v[35:36] offset0:90 offset1:91
	ds_write2_b64 v253, v[29:30], v[31:32] offset0:92 offset1:93
	ds_write2_b64 v253, v[25:26], v[27:28] offset0:94 offset1:95
	ds_write2_b64 v253, v[21:22], v[23:24] offset0:96 offset1:97
	ds_write2_b64 v253, v[17:18], v[19:20] offset0:98 offset1:99
	ds_write2_b64 v253, v[13:14], v[15:16] offset0:100 offset1:101
	ds_write2_b64 v253, v[9:10], v[11:12] offset0:102 offset1:103
	ds_write2_b64 v253, v[5:6], v[7:8] offset0:104 offset1:105
	ds_write2_b64 v253, v[1:2], v[3:4] offset0:106 offset1:107
	ds_read2_b64 v[209:212], v255 offset1:1
	s_waitcnt lgkmcnt(0)
	v_cmp_neq_f64_e32 vcc_lo, 0, v[209:210]
	v_cmp_neq_f64_e64 s1, 0, v[211:212]
	s_or_b32 s1, vcc_lo, s1
	s_and_b32 exec_lo, exec_lo, s1
	s_cbranch_execz .LBB107_359
; %bb.354:
	v_cmp_ngt_f64_e64 s1, |v[209:210]|, |v[211:212]|
                                        ; implicit-def: $vgpr213_vgpr214
	s_and_saveexec_b32 s3, s1
	s_xor_b32 s1, exec_lo, s3
                                        ; implicit-def: $vgpr215_vgpr216
	s_cbranch_execz .LBB107_356
; %bb.355:
	v_div_scale_f64 v[213:214], null, v[211:212], v[211:212], v[209:210]
	v_div_scale_f64 v[219:220], vcc_lo, v[209:210], v[211:212], v[209:210]
	v_rcp_f64_e32 v[215:216], v[213:214]
	v_fma_f64 v[217:218], -v[213:214], v[215:216], 1.0
	v_fma_f64 v[215:216], v[215:216], v[217:218], v[215:216]
	v_fma_f64 v[217:218], -v[213:214], v[215:216], 1.0
	v_fma_f64 v[215:216], v[215:216], v[217:218], v[215:216]
	v_mul_f64 v[217:218], v[219:220], v[215:216]
	v_fma_f64 v[213:214], -v[213:214], v[217:218], v[219:220]
	v_div_fmas_f64 v[213:214], v[213:214], v[215:216], v[217:218]
	v_div_fixup_f64 v[213:214], v[213:214], v[211:212], v[209:210]
	v_fma_f64 v[209:210], v[209:210], v[213:214], v[211:212]
	v_div_scale_f64 v[211:212], null, v[209:210], v[209:210], 1.0
	v_rcp_f64_e32 v[215:216], v[211:212]
	v_fma_f64 v[217:218], -v[211:212], v[215:216], 1.0
	v_fma_f64 v[215:216], v[215:216], v[217:218], v[215:216]
	v_fma_f64 v[217:218], -v[211:212], v[215:216], 1.0
	v_fma_f64 v[215:216], v[215:216], v[217:218], v[215:216]
	v_div_scale_f64 v[217:218], vcc_lo, 1.0, v[209:210], 1.0
	v_mul_f64 v[219:220], v[217:218], v[215:216]
	v_fma_f64 v[211:212], -v[211:212], v[219:220], v[217:218]
	v_div_fmas_f64 v[211:212], v[211:212], v[215:216], v[219:220]
	v_div_fixup_f64 v[215:216], v[211:212], v[209:210], 1.0
                                        ; implicit-def: $vgpr209_vgpr210
	v_mul_f64 v[213:214], v[213:214], v[215:216]
	v_xor_b32_e32 v216, 0x80000000, v216
.LBB107_356:
	s_andn2_saveexec_b32 s1, s1
	s_cbranch_execz .LBB107_358
; %bb.357:
	v_div_scale_f64 v[213:214], null, v[209:210], v[209:210], v[211:212]
	v_div_scale_f64 v[219:220], vcc_lo, v[211:212], v[209:210], v[211:212]
	v_rcp_f64_e32 v[215:216], v[213:214]
	v_fma_f64 v[217:218], -v[213:214], v[215:216], 1.0
	v_fma_f64 v[215:216], v[215:216], v[217:218], v[215:216]
	v_fma_f64 v[217:218], -v[213:214], v[215:216], 1.0
	v_fma_f64 v[215:216], v[215:216], v[217:218], v[215:216]
	v_mul_f64 v[217:218], v[219:220], v[215:216]
	v_fma_f64 v[213:214], -v[213:214], v[217:218], v[219:220]
	v_div_fmas_f64 v[213:214], v[213:214], v[215:216], v[217:218]
	v_div_fixup_f64 v[215:216], v[213:214], v[209:210], v[211:212]
	v_fma_f64 v[209:210], v[211:212], v[215:216], v[209:210]
	v_div_scale_f64 v[211:212], null, v[209:210], v[209:210], 1.0
	v_rcp_f64_e32 v[213:214], v[211:212]
	v_fma_f64 v[217:218], -v[211:212], v[213:214], 1.0
	v_fma_f64 v[213:214], v[213:214], v[217:218], v[213:214]
	v_fma_f64 v[217:218], -v[211:212], v[213:214], 1.0
	v_fma_f64 v[213:214], v[213:214], v[217:218], v[213:214]
	v_div_scale_f64 v[217:218], vcc_lo, 1.0, v[209:210], 1.0
	v_mul_f64 v[219:220], v[217:218], v[213:214]
	v_fma_f64 v[211:212], -v[211:212], v[219:220], v[217:218]
	v_div_fmas_f64 v[211:212], v[211:212], v[213:214], v[219:220]
	v_div_fixup_f64 v[213:214], v[211:212], v[209:210], 1.0
	v_mul_f64 v[215:216], v[215:216], -v[213:214]
.LBB107_358:
	s_or_b32 exec_lo, exec_lo, s1
	ds_write2_b64 v255, v[213:214], v[215:216] offset1:1
.LBB107_359:
	s_or_b32 exec_lo, exec_lo, s2
	s_waitcnt lgkmcnt(0)
	s_barrier
	buffer_gl0_inv
	ds_read2_b64 v[209:212], v255 offset1:1
	s_mov_b32 s1, exec_lo
	s_waitcnt lgkmcnt(0)
	buffer_store_dword v209, off, s[16:19], 0 offset:1096 ; 4-byte Folded Spill
	buffer_store_dword v210, off, s[16:19], 0 offset:1100 ; 4-byte Folded Spill
	;; [unrolled: 1-line block ×4, first 2 shown]
	v_cmpx_lt_u32_e32 39, v0
	s_cbranch_execz .LBB107_361
; %bb.360:
	s_clause 0x3
	buffer_load_dword v211, off, s[16:19], 0 offset:1096
	buffer_load_dword v212, off, s[16:19], 0 offset:1100
	;; [unrolled: 1-line block ×4, first 2 shown]
	s_waitcnt vmcnt(2)
	v_mul_f64 v[209:210], v[211:212], v[59:60]
	s_waitcnt vmcnt(0)
	v_mul_f64 v[59:60], v[213:214], v[59:60]
	v_fma_f64 v[209:210], v[213:214], v[57:58], v[209:210]
	v_fma_f64 v[57:58], v[211:212], v[57:58], -v[59:60]
	ds_read2_b64 v[211:214], v253 offset0:80 offset1:81
	s_waitcnt lgkmcnt(0)
	v_mul_f64 v[59:60], v[213:214], v[209:210]
	v_fma_f64 v[59:60], v[211:212], v[57:58], -v[59:60]
	v_mul_f64 v[211:212], v[211:212], v[209:210]
	v_add_f64 v[53:54], v[53:54], -v[59:60]
	v_fma_f64 v[211:212], v[213:214], v[57:58], v[211:212]
	v_add_f64 v[55:56], v[55:56], -v[211:212]
	ds_read2_b64 v[211:214], v253 offset0:82 offset1:83
	s_waitcnt lgkmcnt(0)
	v_mul_f64 v[59:60], v[213:214], v[209:210]
	v_fma_f64 v[59:60], v[211:212], v[57:58], -v[59:60]
	v_mul_f64 v[211:212], v[211:212], v[209:210]
	v_add_f64 v[49:50], v[49:50], -v[59:60]
	v_fma_f64 v[211:212], v[213:214], v[57:58], v[211:212]
	v_add_f64 v[51:52], v[51:52], -v[211:212]
	;; [unrolled: 8-line block ×13, first 2 shown]
	ds_read2_b64 v[211:214], v253 offset0:106 offset1:107
	s_waitcnt lgkmcnt(0)
	v_mul_f64 v[59:60], v[213:214], v[209:210]
	v_fma_f64 v[59:60], v[211:212], v[57:58], -v[59:60]
	v_mul_f64 v[211:212], v[211:212], v[209:210]
	v_add_f64 v[1:2], v[1:2], -v[59:60]
	v_fma_f64 v[211:212], v[213:214], v[57:58], v[211:212]
	v_mov_b32_e32 v59, v209
	v_mov_b32_e32 v60, v210
	v_add_f64 v[3:4], v[3:4], -v[211:212]
.LBB107_361:
	s_or_b32 exec_lo, exec_lo, s1
	s_mov_b32 s2, exec_lo
	s_waitcnt_vscnt null, 0x0
	s_barrier
	buffer_gl0_inv
	v_cmpx_eq_u32_e32 40, v0
	s_cbranch_execz .LBB107_368
; %bb.362:
	ds_write2_b64 v255, v[53:54], v[55:56] offset1:1
	ds_write2_b64 v253, v[49:50], v[51:52] offset0:82 offset1:83
	ds_write2_b64 v253, v[45:46], v[47:48] offset0:84 offset1:85
	;; [unrolled: 1-line block ×13, first 2 shown]
	ds_read2_b64 v[209:212], v255 offset1:1
	s_waitcnt lgkmcnt(0)
	v_cmp_neq_f64_e32 vcc_lo, 0, v[209:210]
	v_cmp_neq_f64_e64 s1, 0, v[211:212]
	s_or_b32 s1, vcc_lo, s1
	s_and_b32 exec_lo, exec_lo, s1
	s_cbranch_execz .LBB107_368
; %bb.363:
	v_cmp_ngt_f64_e64 s1, |v[209:210]|, |v[211:212]|
                                        ; implicit-def: $vgpr213_vgpr214
	s_and_saveexec_b32 s3, s1
	s_xor_b32 s1, exec_lo, s3
                                        ; implicit-def: $vgpr215_vgpr216
	s_cbranch_execz .LBB107_365
; %bb.364:
	v_div_scale_f64 v[213:214], null, v[211:212], v[211:212], v[209:210]
	v_div_scale_f64 v[219:220], vcc_lo, v[209:210], v[211:212], v[209:210]
	v_rcp_f64_e32 v[215:216], v[213:214]
	v_fma_f64 v[217:218], -v[213:214], v[215:216], 1.0
	v_fma_f64 v[215:216], v[215:216], v[217:218], v[215:216]
	v_fma_f64 v[217:218], -v[213:214], v[215:216], 1.0
	v_fma_f64 v[215:216], v[215:216], v[217:218], v[215:216]
	v_mul_f64 v[217:218], v[219:220], v[215:216]
	v_fma_f64 v[213:214], -v[213:214], v[217:218], v[219:220]
	v_div_fmas_f64 v[213:214], v[213:214], v[215:216], v[217:218]
	v_div_fixup_f64 v[213:214], v[213:214], v[211:212], v[209:210]
	v_fma_f64 v[209:210], v[209:210], v[213:214], v[211:212]
	v_div_scale_f64 v[211:212], null, v[209:210], v[209:210], 1.0
	v_rcp_f64_e32 v[215:216], v[211:212]
	v_fma_f64 v[217:218], -v[211:212], v[215:216], 1.0
	v_fma_f64 v[215:216], v[215:216], v[217:218], v[215:216]
	v_fma_f64 v[217:218], -v[211:212], v[215:216], 1.0
	v_fma_f64 v[215:216], v[215:216], v[217:218], v[215:216]
	v_div_scale_f64 v[217:218], vcc_lo, 1.0, v[209:210], 1.0
	v_mul_f64 v[219:220], v[217:218], v[215:216]
	v_fma_f64 v[211:212], -v[211:212], v[219:220], v[217:218]
	v_div_fmas_f64 v[211:212], v[211:212], v[215:216], v[219:220]
	v_div_fixup_f64 v[215:216], v[211:212], v[209:210], 1.0
                                        ; implicit-def: $vgpr209_vgpr210
	v_mul_f64 v[213:214], v[213:214], v[215:216]
	v_xor_b32_e32 v216, 0x80000000, v216
.LBB107_365:
	s_andn2_saveexec_b32 s1, s1
	s_cbranch_execz .LBB107_367
; %bb.366:
	v_div_scale_f64 v[213:214], null, v[209:210], v[209:210], v[211:212]
	v_div_scale_f64 v[219:220], vcc_lo, v[211:212], v[209:210], v[211:212]
	v_rcp_f64_e32 v[215:216], v[213:214]
	v_fma_f64 v[217:218], -v[213:214], v[215:216], 1.0
	v_fma_f64 v[215:216], v[215:216], v[217:218], v[215:216]
	v_fma_f64 v[217:218], -v[213:214], v[215:216], 1.0
	v_fma_f64 v[215:216], v[215:216], v[217:218], v[215:216]
	v_mul_f64 v[217:218], v[219:220], v[215:216]
	v_fma_f64 v[213:214], -v[213:214], v[217:218], v[219:220]
	v_div_fmas_f64 v[213:214], v[213:214], v[215:216], v[217:218]
	v_div_fixup_f64 v[215:216], v[213:214], v[209:210], v[211:212]
	v_fma_f64 v[209:210], v[211:212], v[215:216], v[209:210]
	v_div_scale_f64 v[211:212], null, v[209:210], v[209:210], 1.0
	v_rcp_f64_e32 v[213:214], v[211:212]
	v_fma_f64 v[217:218], -v[211:212], v[213:214], 1.0
	v_fma_f64 v[213:214], v[213:214], v[217:218], v[213:214]
	v_fma_f64 v[217:218], -v[211:212], v[213:214], 1.0
	v_fma_f64 v[213:214], v[213:214], v[217:218], v[213:214]
	v_div_scale_f64 v[217:218], vcc_lo, 1.0, v[209:210], 1.0
	v_mul_f64 v[219:220], v[217:218], v[213:214]
	v_fma_f64 v[211:212], -v[211:212], v[219:220], v[217:218]
	v_div_fmas_f64 v[211:212], v[211:212], v[213:214], v[219:220]
	v_div_fixup_f64 v[213:214], v[211:212], v[209:210], 1.0
	v_mul_f64 v[215:216], v[215:216], -v[213:214]
.LBB107_367:
	s_or_b32 exec_lo, exec_lo, s1
	ds_write2_b64 v255, v[213:214], v[215:216] offset1:1
.LBB107_368:
	s_or_b32 exec_lo, exec_lo, s2
	s_waitcnt lgkmcnt(0)
	s_barrier
	buffer_gl0_inv
	ds_read2_b64 v[209:212], v255 offset1:1
	s_mov_b32 s1, exec_lo
	s_waitcnt lgkmcnt(0)
	buffer_store_dword v209, off, s[16:19], 0 offset:1112 ; 4-byte Folded Spill
	buffer_store_dword v210, off, s[16:19], 0 offset:1116 ; 4-byte Folded Spill
	;; [unrolled: 1-line block ×4, first 2 shown]
	v_cmpx_lt_u32_e32 40, v0
	s_cbranch_execz .LBB107_370
; %bb.369:
	s_clause 0x3
	buffer_load_dword v211, off, s[16:19], 0 offset:1112
	buffer_load_dword v212, off, s[16:19], 0 offset:1116
	;; [unrolled: 1-line block ×4, first 2 shown]
	s_waitcnt vmcnt(2)
	v_mul_f64 v[209:210], v[211:212], v[55:56]
	s_waitcnt vmcnt(0)
	v_mul_f64 v[55:56], v[213:214], v[55:56]
	v_fma_f64 v[209:210], v[213:214], v[53:54], v[209:210]
	v_fma_f64 v[53:54], v[211:212], v[53:54], -v[55:56]
	ds_read2_b64 v[211:214], v253 offset0:82 offset1:83
	s_waitcnt lgkmcnt(0)
	v_mul_f64 v[55:56], v[213:214], v[209:210]
	v_fma_f64 v[55:56], v[211:212], v[53:54], -v[55:56]
	v_mul_f64 v[211:212], v[211:212], v[209:210]
	v_add_f64 v[49:50], v[49:50], -v[55:56]
	v_fma_f64 v[211:212], v[213:214], v[53:54], v[211:212]
	v_add_f64 v[51:52], v[51:52], -v[211:212]
	ds_read2_b64 v[211:214], v253 offset0:84 offset1:85
	s_waitcnt lgkmcnt(0)
	v_mul_f64 v[55:56], v[213:214], v[209:210]
	v_fma_f64 v[55:56], v[211:212], v[53:54], -v[55:56]
	v_mul_f64 v[211:212], v[211:212], v[209:210]
	v_add_f64 v[45:46], v[45:46], -v[55:56]
	v_fma_f64 v[211:212], v[213:214], v[53:54], v[211:212]
	v_add_f64 v[47:48], v[47:48], -v[211:212]
	ds_read2_b64 v[211:214], v253 offset0:86 offset1:87
	s_waitcnt lgkmcnt(0)
	v_mul_f64 v[55:56], v[213:214], v[209:210]
	v_fma_f64 v[55:56], v[211:212], v[53:54], -v[55:56]
	v_mul_f64 v[211:212], v[211:212], v[209:210]
	v_add_f64 v[41:42], v[41:42], -v[55:56]
	v_fma_f64 v[211:212], v[213:214], v[53:54], v[211:212]
	v_add_f64 v[43:44], v[43:44], -v[211:212]
	ds_read2_b64 v[211:214], v253 offset0:88 offset1:89
	s_waitcnt lgkmcnt(0)
	v_mul_f64 v[55:56], v[213:214], v[209:210]
	v_fma_f64 v[55:56], v[211:212], v[53:54], -v[55:56]
	v_mul_f64 v[211:212], v[211:212], v[209:210]
	v_add_f64 v[37:38], v[37:38], -v[55:56]
	v_fma_f64 v[211:212], v[213:214], v[53:54], v[211:212]
	v_add_f64 v[39:40], v[39:40], -v[211:212]
	ds_read2_b64 v[211:214], v253 offset0:90 offset1:91
	s_waitcnt lgkmcnt(0)
	v_mul_f64 v[55:56], v[213:214], v[209:210]
	v_fma_f64 v[55:56], v[211:212], v[53:54], -v[55:56]
	v_mul_f64 v[211:212], v[211:212], v[209:210]
	v_add_f64 v[33:34], v[33:34], -v[55:56]
	v_fma_f64 v[211:212], v[213:214], v[53:54], v[211:212]
	v_add_f64 v[35:36], v[35:36], -v[211:212]
	ds_read2_b64 v[211:214], v253 offset0:92 offset1:93
	s_waitcnt lgkmcnt(0)
	v_mul_f64 v[55:56], v[213:214], v[209:210]
	v_fma_f64 v[55:56], v[211:212], v[53:54], -v[55:56]
	v_mul_f64 v[211:212], v[211:212], v[209:210]
	v_add_f64 v[29:30], v[29:30], -v[55:56]
	v_fma_f64 v[211:212], v[213:214], v[53:54], v[211:212]
	v_add_f64 v[31:32], v[31:32], -v[211:212]
	ds_read2_b64 v[211:214], v253 offset0:94 offset1:95
	s_waitcnt lgkmcnt(0)
	v_mul_f64 v[55:56], v[213:214], v[209:210]
	v_fma_f64 v[55:56], v[211:212], v[53:54], -v[55:56]
	v_mul_f64 v[211:212], v[211:212], v[209:210]
	v_add_f64 v[25:26], v[25:26], -v[55:56]
	v_fma_f64 v[211:212], v[213:214], v[53:54], v[211:212]
	v_add_f64 v[27:28], v[27:28], -v[211:212]
	ds_read2_b64 v[211:214], v253 offset0:96 offset1:97
	s_waitcnt lgkmcnt(0)
	v_mul_f64 v[55:56], v[213:214], v[209:210]
	v_fma_f64 v[55:56], v[211:212], v[53:54], -v[55:56]
	v_mul_f64 v[211:212], v[211:212], v[209:210]
	v_add_f64 v[21:22], v[21:22], -v[55:56]
	v_fma_f64 v[211:212], v[213:214], v[53:54], v[211:212]
	v_add_f64 v[23:24], v[23:24], -v[211:212]
	ds_read2_b64 v[211:214], v253 offset0:98 offset1:99
	s_waitcnt lgkmcnt(0)
	v_mul_f64 v[55:56], v[213:214], v[209:210]
	v_fma_f64 v[55:56], v[211:212], v[53:54], -v[55:56]
	v_mul_f64 v[211:212], v[211:212], v[209:210]
	v_add_f64 v[17:18], v[17:18], -v[55:56]
	v_fma_f64 v[211:212], v[213:214], v[53:54], v[211:212]
	v_add_f64 v[19:20], v[19:20], -v[211:212]
	ds_read2_b64 v[211:214], v253 offset0:100 offset1:101
	s_waitcnt lgkmcnt(0)
	v_mul_f64 v[55:56], v[213:214], v[209:210]
	v_fma_f64 v[55:56], v[211:212], v[53:54], -v[55:56]
	v_mul_f64 v[211:212], v[211:212], v[209:210]
	v_add_f64 v[13:14], v[13:14], -v[55:56]
	v_fma_f64 v[211:212], v[213:214], v[53:54], v[211:212]
	v_add_f64 v[15:16], v[15:16], -v[211:212]
	ds_read2_b64 v[211:214], v253 offset0:102 offset1:103
	s_waitcnt lgkmcnt(0)
	v_mul_f64 v[55:56], v[213:214], v[209:210]
	v_fma_f64 v[55:56], v[211:212], v[53:54], -v[55:56]
	v_mul_f64 v[211:212], v[211:212], v[209:210]
	v_add_f64 v[9:10], v[9:10], -v[55:56]
	v_fma_f64 v[211:212], v[213:214], v[53:54], v[211:212]
	v_add_f64 v[11:12], v[11:12], -v[211:212]
	ds_read2_b64 v[211:214], v253 offset0:104 offset1:105
	s_waitcnt lgkmcnt(0)
	v_mul_f64 v[55:56], v[213:214], v[209:210]
	v_fma_f64 v[55:56], v[211:212], v[53:54], -v[55:56]
	v_mul_f64 v[211:212], v[211:212], v[209:210]
	v_add_f64 v[5:6], v[5:6], -v[55:56]
	v_fma_f64 v[211:212], v[213:214], v[53:54], v[211:212]
	v_add_f64 v[7:8], v[7:8], -v[211:212]
	ds_read2_b64 v[211:214], v253 offset0:106 offset1:107
	s_waitcnt lgkmcnt(0)
	v_mul_f64 v[55:56], v[213:214], v[209:210]
	v_fma_f64 v[55:56], v[211:212], v[53:54], -v[55:56]
	v_mul_f64 v[211:212], v[211:212], v[209:210]
	v_add_f64 v[1:2], v[1:2], -v[55:56]
	v_fma_f64 v[211:212], v[213:214], v[53:54], v[211:212]
	v_mov_b32_e32 v55, v209
	v_mov_b32_e32 v56, v210
	v_add_f64 v[3:4], v[3:4], -v[211:212]
.LBB107_370:
	s_or_b32 exec_lo, exec_lo, s1
	s_mov_b32 s2, exec_lo
	s_waitcnt_vscnt null, 0x0
	s_barrier
	buffer_gl0_inv
	v_cmpx_eq_u32_e32 41, v0
	s_cbranch_execz .LBB107_377
; %bb.371:
	ds_write2_b64 v255, v[49:50], v[51:52] offset1:1
	ds_write2_b64 v253, v[45:46], v[47:48] offset0:84 offset1:85
	ds_write2_b64 v253, v[41:42], v[43:44] offset0:86 offset1:87
	;; [unrolled: 1-line block ×12, first 2 shown]
	ds_read2_b64 v[209:212], v255 offset1:1
	s_waitcnt lgkmcnt(0)
	v_cmp_neq_f64_e32 vcc_lo, 0, v[209:210]
	v_cmp_neq_f64_e64 s1, 0, v[211:212]
	s_or_b32 s1, vcc_lo, s1
	s_and_b32 exec_lo, exec_lo, s1
	s_cbranch_execz .LBB107_377
; %bb.372:
	v_cmp_ngt_f64_e64 s1, |v[209:210]|, |v[211:212]|
                                        ; implicit-def: $vgpr213_vgpr214
	s_and_saveexec_b32 s3, s1
	s_xor_b32 s1, exec_lo, s3
                                        ; implicit-def: $vgpr215_vgpr216
	s_cbranch_execz .LBB107_374
; %bb.373:
	v_div_scale_f64 v[213:214], null, v[211:212], v[211:212], v[209:210]
	v_div_scale_f64 v[219:220], vcc_lo, v[209:210], v[211:212], v[209:210]
	v_rcp_f64_e32 v[215:216], v[213:214]
	v_fma_f64 v[217:218], -v[213:214], v[215:216], 1.0
	v_fma_f64 v[215:216], v[215:216], v[217:218], v[215:216]
	v_fma_f64 v[217:218], -v[213:214], v[215:216], 1.0
	v_fma_f64 v[215:216], v[215:216], v[217:218], v[215:216]
	v_mul_f64 v[217:218], v[219:220], v[215:216]
	v_fma_f64 v[213:214], -v[213:214], v[217:218], v[219:220]
	v_div_fmas_f64 v[213:214], v[213:214], v[215:216], v[217:218]
	v_div_fixup_f64 v[213:214], v[213:214], v[211:212], v[209:210]
	v_fma_f64 v[209:210], v[209:210], v[213:214], v[211:212]
	v_div_scale_f64 v[211:212], null, v[209:210], v[209:210], 1.0
	v_rcp_f64_e32 v[215:216], v[211:212]
	v_fma_f64 v[217:218], -v[211:212], v[215:216], 1.0
	v_fma_f64 v[215:216], v[215:216], v[217:218], v[215:216]
	v_fma_f64 v[217:218], -v[211:212], v[215:216], 1.0
	v_fma_f64 v[215:216], v[215:216], v[217:218], v[215:216]
	v_div_scale_f64 v[217:218], vcc_lo, 1.0, v[209:210], 1.0
	v_mul_f64 v[219:220], v[217:218], v[215:216]
	v_fma_f64 v[211:212], -v[211:212], v[219:220], v[217:218]
	v_div_fmas_f64 v[211:212], v[211:212], v[215:216], v[219:220]
	v_div_fixup_f64 v[215:216], v[211:212], v[209:210], 1.0
                                        ; implicit-def: $vgpr209_vgpr210
	v_mul_f64 v[213:214], v[213:214], v[215:216]
	v_xor_b32_e32 v216, 0x80000000, v216
.LBB107_374:
	s_andn2_saveexec_b32 s1, s1
	s_cbranch_execz .LBB107_376
; %bb.375:
	v_div_scale_f64 v[213:214], null, v[209:210], v[209:210], v[211:212]
	v_div_scale_f64 v[219:220], vcc_lo, v[211:212], v[209:210], v[211:212]
	v_rcp_f64_e32 v[215:216], v[213:214]
	v_fma_f64 v[217:218], -v[213:214], v[215:216], 1.0
	v_fma_f64 v[215:216], v[215:216], v[217:218], v[215:216]
	v_fma_f64 v[217:218], -v[213:214], v[215:216], 1.0
	v_fma_f64 v[215:216], v[215:216], v[217:218], v[215:216]
	v_mul_f64 v[217:218], v[219:220], v[215:216]
	v_fma_f64 v[213:214], -v[213:214], v[217:218], v[219:220]
	v_div_fmas_f64 v[213:214], v[213:214], v[215:216], v[217:218]
	v_div_fixup_f64 v[215:216], v[213:214], v[209:210], v[211:212]
	v_fma_f64 v[209:210], v[211:212], v[215:216], v[209:210]
	v_div_scale_f64 v[211:212], null, v[209:210], v[209:210], 1.0
	v_rcp_f64_e32 v[213:214], v[211:212]
	v_fma_f64 v[217:218], -v[211:212], v[213:214], 1.0
	v_fma_f64 v[213:214], v[213:214], v[217:218], v[213:214]
	v_fma_f64 v[217:218], -v[211:212], v[213:214], 1.0
	v_fma_f64 v[213:214], v[213:214], v[217:218], v[213:214]
	v_div_scale_f64 v[217:218], vcc_lo, 1.0, v[209:210], 1.0
	v_mul_f64 v[219:220], v[217:218], v[213:214]
	v_fma_f64 v[211:212], -v[211:212], v[219:220], v[217:218]
	v_div_fmas_f64 v[211:212], v[211:212], v[213:214], v[219:220]
	v_div_fixup_f64 v[213:214], v[211:212], v[209:210], 1.0
	v_mul_f64 v[215:216], v[215:216], -v[213:214]
.LBB107_376:
	s_or_b32 exec_lo, exec_lo, s1
	ds_write2_b64 v255, v[213:214], v[215:216] offset1:1
.LBB107_377:
	s_or_b32 exec_lo, exec_lo, s2
	s_waitcnt lgkmcnt(0)
	s_barrier
	buffer_gl0_inv
	ds_read2_b64 v[209:212], v255 offset1:1
	s_mov_b32 s1, exec_lo
	s_waitcnt lgkmcnt(0)
	buffer_store_dword v209, off, s[16:19], 0 offset:1128 ; 4-byte Folded Spill
	buffer_store_dword v210, off, s[16:19], 0 offset:1132 ; 4-byte Folded Spill
	buffer_store_dword v211, off, s[16:19], 0 offset:1136 ; 4-byte Folded Spill
	buffer_store_dword v212, off, s[16:19], 0 offset:1140 ; 4-byte Folded Spill
	v_cmpx_lt_u32_e32 41, v0
	s_cbranch_execz .LBB107_379
; %bb.378:
	s_clause 0x3
	buffer_load_dword v211, off, s[16:19], 0 offset:1128
	buffer_load_dword v212, off, s[16:19], 0 offset:1132
	;; [unrolled: 1-line block ×4, first 2 shown]
	s_waitcnt vmcnt(2)
	v_mul_f64 v[209:210], v[211:212], v[51:52]
	s_waitcnt vmcnt(0)
	v_mul_f64 v[51:52], v[213:214], v[51:52]
	v_fma_f64 v[209:210], v[213:214], v[49:50], v[209:210]
	v_fma_f64 v[49:50], v[211:212], v[49:50], -v[51:52]
	ds_read2_b64 v[211:214], v253 offset0:84 offset1:85
	s_waitcnt lgkmcnt(0)
	v_mul_f64 v[51:52], v[213:214], v[209:210]
	v_fma_f64 v[51:52], v[211:212], v[49:50], -v[51:52]
	v_mul_f64 v[211:212], v[211:212], v[209:210]
	v_add_f64 v[45:46], v[45:46], -v[51:52]
	v_fma_f64 v[211:212], v[213:214], v[49:50], v[211:212]
	v_add_f64 v[47:48], v[47:48], -v[211:212]
	ds_read2_b64 v[211:214], v253 offset0:86 offset1:87
	s_waitcnt lgkmcnt(0)
	v_mul_f64 v[51:52], v[213:214], v[209:210]
	v_fma_f64 v[51:52], v[211:212], v[49:50], -v[51:52]
	v_mul_f64 v[211:212], v[211:212], v[209:210]
	v_add_f64 v[41:42], v[41:42], -v[51:52]
	v_fma_f64 v[211:212], v[213:214], v[49:50], v[211:212]
	v_add_f64 v[43:44], v[43:44], -v[211:212]
	;; [unrolled: 8-line block ×11, first 2 shown]
	ds_read2_b64 v[211:214], v253 offset0:106 offset1:107
	s_waitcnt lgkmcnt(0)
	v_mul_f64 v[51:52], v[213:214], v[209:210]
	v_fma_f64 v[51:52], v[211:212], v[49:50], -v[51:52]
	v_mul_f64 v[211:212], v[211:212], v[209:210]
	v_add_f64 v[1:2], v[1:2], -v[51:52]
	v_fma_f64 v[211:212], v[213:214], v[49:50], v[211:212]
	v_mov_b32_e32 v51, v209
	v_mov_b32_e32 v52, v210
	v_add_f64 v[3:4], v[3:4], -v[211:212]
.LBB107_379:
	s_or_b32 exec_lo, exec_lo, s1
	s_mov_b32 s2, exec_lo
	s_waitcnt_vscnt null, 0x0
	s_barrier
	buffer_gl0_inv
	v_cmpx_eq_u32_e32 42, v0
	s_cbranch_execz .LBB107_386
; %bb.380:
	ds_write2_b64 v255, v[45:46], v[47:48] offset1:1
	ds_write2_b64 v253, v[41:42], v[43:44] offset0:86 offset1:87
	ds_write2_b64 v253, v[37:38], v[39:40] offset0:88 offset1:89
	;; [unrolled: 1-line block ×11, first 2 shown]
	ds_read2_b64 v[209:212], v255 offset1:1
	s_waitcnt lgkmcnt(0)
	v_cmp_neq_f64_e32 vcc_lo, 0, v[209:210]
	v_cmp_neq_f64_e64 s1, 0, v[211:212]
	s_or_b32 s1, vcc_lo, s1
	s_and_b32 exec_lo, exec_lo, s1
	s_cbranch_execz .LBB107_386
; %bb.381:
	v_cmp_ngt_f64_e64 s1, |v[209:210]|, |v[211:212]|
                                        ; implicit-def: $vgpr213_vgpr214
	s_and_saveexec_b32 s3, s1
	s_xor_b32 s1, exec_lo, s3
                                        ; implicit-def: $vgpr215_vgpr216
	s_cbranch_execz .LBB107_383
; %bb.382:
	v_div_scale_f64 v[213:214], null, v[211:212], v[211:212], v[209:210]
	v_div_scale_f64 v[219:220], vcc_lo, v[209:210], v[211:212], v[209:210]
	v_rcp_f64_e32 v[215:216], v[213:214]
	v_fma_f64 v[217:218], -v[213:214], v[215:216], 1.0
	v_fma_f64 v[215:216], v[215:216], v[217:218], v[215:216]
	v_fma_f64 v[217:218], -v[213:214], v[215:216], 1.0
	v_fma_f64 v[215:216], v[215:216], v[217:218], v[215:216]
	v_mul_f64 v[217:218], v[219:220], v[215:216]
	v_fma_f64 v[213:214], -v[213:214], v[217:218], v[219:220]
	v_div_fmas_f64 v[213:214], v[213:214], v[215:216], v[217:218]
	v_div_fixup_f64 v[213:214], v[213:214], v[211:212], v[209:210]
	v_fma_f64 v[209:210], v[209:210], v[213:214], v[211:212]
	v_div_scale_f64 v[211:212], null, v[209:210], v[209:210], 1.0
	v_rcp_f64_e32 v[215:216], v[211:212]
	v_fma_f64 v[217:218], -v[211:212], v[215:216], 1.0
	v_fma_f64 v[215:216], v[215:216], v[217:218], v[215:216]
	v_fma_f64 v[217:218], -v[211:212], v[215:216], 1.0
	v_fma_f64 v[215:216], v[215:216], v[217:218], v[215:216]
	v_div_scale_f64 v[217:218], vcc_lo, 1.0, v[209:210], 1.0
	v_mul_f64 v[219:220], v[217:218], v[215:216]
	v_fma_f64 v[211:212], -v[211:212], v[219:220], v[217:218]
	v_div_fmas_f64 v[211:212], v[211:212], v[215:216], v[219:220]
	v_div_fixup_f64 v[215:216], v[211:212], v[209:210], 1.0
                                        ; implicit-def: $vgpr209_vgpr210
	v_mul_f64 v[213:214], v[213:214], v[215:216]
	v_xor_b32_e32 v216, 0x80000000, v216
.LBB107_383:
	s_andn2_saveexec_b32 s1, s1
	s_cbranch_execz .LBB107_385
; %bb.384:
	v_div_scale_f64 v[213:214], null, v[209:210], v[209:210], v[211:212]
	v_div_scale_f64 v[219:220], vcc_lo, v[211:212], v[209:210], v[211:212]
	v_rcp_f64_e32 v[215:216], v[213:214]
	v_fma_f64 v[217:218], -v[213:214], v[215:216], 1.0
	v_fma_f64 v[215:216], v[215:216], v[217:218], v[215:216]
	v_fma_f64 v[217:218], -v[213:214], v[215:216], 1.0
	v_fma_f64 v[215:216], v[215:216], v[217:218], v[215:216]
	v_mul_f64 v[217:218], v[219:220], v[215:216]
	v_fma_f64 v[213:214], -v[213:214], v[217:218], v[219:220]
	v_div_fmas_f64 v[213:214], v[213:214], v[215:216], v[217:218]
	v_div_fixup_f64 v[215:216], v[213:214], v[209:210], v[211:212]
	v_fma_f64 v[209:210], v[211:212], v[215:216], v[209:210]
	v_div_scale_f64 v[211:212], null, v[209:210], v[209:210], 1.0
	v_rcp_f64_e32 v[213:214], v[211:212]
	v_fma_f64 v[217:218], -v[211:212], v[213:214], 1.0
	v_fma_f64 v[213:214], v[213:214], v[217:218], v[213:214]
	v_fma_f64 v[217:218], -v[211:212], v[213:214], 1.0
	v_fma_f64 v[213:214], v[213:214], v[217:218], v[213:214]
	v_div_scale_f64 v[217:218], vcc_lo, 1.0, v[209:210], 1.0
	v_mul_f64 v[219:220], v[217:218], v[213:214]
	v_fma_f64 v[211:212], -v[211:212], v[219:220], v[217:218]
	v_div_fmas_f64 v[211:212], v[211:212], v[213:214], v[219:220]
	v_div_fixup_f64 v[213:214], v[211:212], v[209:210], 1.0
	v_mul_f64 v[215:216], v[215:216], -v[213:214]
.LBB107_385:
	s_or_b32 exec_lo, exec_lo, s1
	ds_write2_b64 v255, v[213:214], v[215:216] offset1:1
.LBB107_386:
	s_or_b32 exec_lo, exec_lo, s2
	s_waitcnt lgkmcnt(0)
	s_barrier
	buffer_gl0_inv
	ds_read2_b64 v[209:212], v255 offset1:1
	s_mov_b32 s1, exec_lo
	s_waitcnt lgkmcnt(0)
	buffer_store_dword v209, off, s[16:19], 0 offset:1144 ; 4-byte Folded Spill
	buffer_store_dword v210, off, s[16:19], 0 offset:1148 ; 4-byte Folded Spill
	;; [unrolled: 1-line block ×4, first 2 shown]
	v_cmpx_lt_u32_e32 42, v0
	s_cbranch_execz .LBB107_388
; %bb.387:
	s_clause 0x3
	buffer_load_dword v211, off, s[16:19], 0 offset:1144
	buffer_load_dword v212, off, s[16:19], 0 offset:1148
	;; [unrolled: 1-line block ×4, first 2 shown]
	s_waitcnt vmcnt(2)
	v_mul_f64 v[209:210], v[211:212], v[47:48]
	s_waitcnt vmcnt(0)
	v_mul_f64 v[47:48], v[213:214], v[47:48]
	v_fma_f64 v[209:210], v[213:214], v[45:46], v[209:210]
	v_fma_f64 v[45:46], v[211:212], v[45:46], -v[47:48]
	ds_read2_b64 v[211:214], v253 offset0:86 offset1:87
	s_waitcnt lgkmcnt(0)
	v_mul_f64 v[47:48], v[213:214], v[209:210]
	v_fma_f64 v[47:48], v[211:212], v[45:46], -v[47:48]
	v_mul_f64 v[211:212], v[211:212], v[209:210]
	v_add_f64 v[41:42], v[41:42], -v[47:48]
	v_fma_f64 v[211:212], v[213:214], v[45:46], v[211:212]
	v_add_f64 v[43:44], v[43:44], -v[211:212]
	ds_read2_b64 v[211:214], v253 offset0:88 offset1:89
	s_waitcnt lgkmcnt(0)
	v_mul_f64 v[47:48], v[213:214], v[209:210]
	v_fma_f64 v[47:48], v[211:212], v[45:46], -v[47:48]
	v_mul_f64 v[211:212], v[211:212], v[209:210]
	v_add_f64 v[37:38], v[37:38], -v[47:48]
	v_fma_f64 v[211:212], v[213:214], v[45:46], v[211:212]
	v_add_f64 v[39:40], v[39:40], -v[211:212]
	;; [unrolled: 8-line block ×10, first 2 shown]
	ds_read2_b64 v[211:214], v253 offset0:106 offset1:107
	s_waitcnt lgkmcnt(0)
	v_mul_f64 v[47:48], v[213:214], v[209:210]
	v_fma_f64 v[47:48], v[211:212], v[45:46], -v[47:48]
	v_mul_f64 v[211:212], v[211:212], v[209:210]
	v_add_f64 v[1:2], v[1:2], -v[47:48]
	v_fma_f64 v[211:212], v[213:214], v[45:46], v[211:212]
	v_mov_b32_e32 v47, v209
	v_mov_b32_e32 v48, v210
	v_add_f64 v[3:4], v[3:4], -v[211:212]
.LBB107_388:
	s_or_b32 exec_lo, exec_lo, s1
	s_mov_b32 s2, exec_lo
	s_waitcnt_vscnt null, 0x0
	s_barrier
	buffer_gl0_inv
	v_cmpx_eq_u32_e32 43, v0
	s_cbranch_execz .LBB107_395
; %bb.389:
	ds_write2_b64 v255, v[41:42], v[43:44] offset1:1
	ds_write2_b64 v253, v[37:38], v[39:40] offset0:88 offset1:89
	ds_write2_b64 v253, v[33:34], v[35:36] offset0:90 offset1:91
	;; [unrolled: 1-line block ×10, first 2 shown]
	ds_read2_b64 v[209:212], v255 offset1:1
	s_waitcnt lgkmcnt(0)
	v_cmp_neq_f64_e32 vcc_lo, 0, v[209:210]
	v_cmp_neq_f64_e64 s1, 0, v[211:212]
	s_or_b32 s1, vcc_lo, s1
	s_and_b32 exec_lo, exec_lo, s1
	s_cbranch_execz .LBB107_395
; %bb.390:
	v_cmp_ngt_f64_e64 s1, |v[209:210]|, |v[211:212]|
                                        ; implicit-def: $vgpr213_vgpr214
	s_and_saveexec_b32 s3, s1
	s_xor_b32 s1, exec_lo, s3
                                        ; implicit-def: $vgpr215_vgpr216
	s_cbranch_execz .LBB107_392
; %bb.391:
	v_div_scale_f64 v[213:214], null, v[211:212], v[211:212], v[209:210]
	v_div_scale_f64 v[219:220], vcc_lo, v[209:210], v[211:212], v[209:210]
	v_rcp_f64_e32 v[215:216], v[213:214]
	v_fma_f64 v[217:218], -v[213:214], v[215:216], 1.0
	v_fma_f64 v[215:216], v[215:216], v[217:218], v[215:216]
	v_fma_f64 v[217:218], -v[213:214], v[215:216], 1.0
	v_fma_f64 v[215:216], v[215:216], v[217:218], v[215:216]
	v_mul_f64 v[217:218], v[219:220], v[215:216]
	v_fma_f64 v[213:214], -v[213:214], v[217:218], v[219:220]
	v_div_fmas_f64 v[213:214], v[213:214], v[215:216], v[217:218]
	v_div_fixup_f64 v[213:214], v[213:214], v[211:212], v[209:210]
	v_fma_f64 v[209:210], v[209:210], v[213:214], v[211:212]
	v_div_scale_f64 v[211:212], null, v[209:210], v[209:210], 1.0
	v_rcp_f64_e32 v[215:216], v[211:212]
	v_fma_f64 v[217:218], -v[211:212], v[215:216], 1.0
	v_fma_f64 v[215:216], v[215:216], v[217:218], v[215:216]
	v_fma_f64 v[217:218], -v[211:212], v[215:216], 1.0
	v_fma_f64 v[215:216], v[215:216], v[217:218], v[215:216]
	v_div_scale_f64 v[217:218], vcc_lo, 1.0, v[209:210], 1.0
	v_mul_f64 v[219:220], v[217:218], v[215:216]
	v_fma_f64 v[211:212], -v[211:212], v[219:220], v[217:218]
	v_div_fmas_f64 v[211:212], v[211:212], v[215:216], v[219:220]
	v_div_fixup_f64 v[215:216], v[211:212], v[209:210], 1.0
                                        ; implicit-def: $vgpr209_vgpr210
	v_mul_f64 v[213:214], v[213:214], v[215:216]
	v_xor_b32_e32 v216, 0x80000000, v216
.LBB107_392:
	s_andn2_saveexec_b32 s1, s1
	s_cbranch_execz .LBB107_394
; %bb.393:
	v_div_scale_f64 v[213:214], null, v[209:210], v[209:210], v[211:212]
	v_div_scale_f64 v[219:220], vcc_lo, v[211:212], v[209:210], v[211:212]
	v_rcp_f64_e32 v[215:216], v[213:214]
	v_fma_f64 v[217:218], -v[213:214], v[215:216], 1.0
	v_fma_f64 v[215:216], v[215:216], v[217:218], v[215:216]
	v_fma_f64 v[217:218], -v[213:214], v[215:216], 1.0
	v_fma_f64 v[215:216], v[215:216], v[217:218], v[215:216]
	v_mul_f64 v[217:218], v[219:220], v[215:216]
	v_fma_f64 v[213:214], -v[213:214], v[217:218], v[219:220]
	v_div_fmas_f64 v[213:214], v[213:214], v[215:216], v[217:218]
	v_div_fixup_f64 v[215:216], v[213:214], v[209:210], v[211:212]
	v_fma_f64 v[209:210], v[211:212], v[215:216], v[209:210]
	v_div_scale_f64 v[211:212], null, v[209:210], v[209:210], 1.0
	v_rcp_f64_e32 v[213:214], v[211:212]
	v_fma_f64 v[217:218], -v[211:212], v[213:214], 1.0
	v_fma_f64 v[213:214], v[213:214], v[217:218], v[213:214]
	v_fma_f64 v[217:218], -v[211:212], v[213:214], 1.0
	v_fma_f64 v[213:214], v[213:214], v[217:218], v[213:214]
	v_div_scale_f64 v[217:218], vcc_lo, 1.0, v[209:210], 1.0
	v_mul_f64 v[219:220], v[217:218], v[213:214]
	v_fma_f64 v[211:212], -v[211:212], v[219:220], v[217:218]
	v_div_fmas_f64 v[211:212], v[211:212], v[213:214], v[219:220]
	v_div_fixup_f64 v[213:214], v[211:212], v[209:210], 1.0
	v_mul_f64 v[215:216], v[215:216], -v[213:214]
.LBB107_394:
	s_or_b32 exec_lo, exec_lo, s1
	ds_write2_b64 v255, v[213:214], v[215:216] offset1:1
.LBB107_395:
	s_or_b32 exec_lo, exec_lo, s2
	s_waitcnt lgkmcnt(0)
	s_barrier
	buffer_gl0_inv
	ds_read2_b64 v[209:212], v255 offset1:1
	s_mov_b32 s1, exec_lo
	s_waitcnt lgkmcnt(0)
	buffer_store_dword v209, off, s[16:19], 0 offset:1160 ; 4-byte Folded Spill
	buffer_store_dword v210, off, s[16:19], 0 offset:1164 ; 4-byte Folded Spill
	;; [unrolled: 1-line block ×4, first 2 shown]
	v_cmpx_lt_u32_e32 43, v0
	s_cbranch_execz .LBB107_397
; %bb.396:
	s_clause 0x3
	buffer_load_dword v215, off, s[16:19], 0 offset:1160
	buffer_load_dword v216, off, s[16:19], 0 offset:1164
	buffer_load_dword v217, off, s[16:19], 0 offset:1168
	buffer_load_dword v218, off, s[16:19], 0 offset:1172
	s_waitcnt vmcnt(2)
	v_mul_f64 v[209:210], v[215:216], v[43:44]
	s_waitcnt vmcnt(0)
	v_mul_f64 v[43:44], v[217:218], v[43:44]
	v_fma_f64 v[213:214], v[217:218], v[41:42], v[209:210]
	ds_read2_b64 v[209:212], v253 offset0:88 offset1:89
	v_fma_f64 v[41:42], v[215:216], v[41:42], -v[43:44]
	s_waitcnt lgkmcnt(0)
	v_mul_f64 v[43:44], v[211:212], v[213:214]
	v_fma_f64 v[43:44], v[209:210], v[41:42], -v[43:44]
	v_mul_f64 v[209:210], v[209:210], v[213:214]
	v_add_f64 v[37:38], v[37:38], -v[43:44]
	v_fma_f64 v[209:210], v[211:212], v[41:42], v[209:210]
	v_add_f64 v[39:40], v[39:40], -v[209:210]
	ds_read2_b64 v[209:212], v253 offset0:90 offset1:91
	s_waitcnt lgkmcnt(0)
	v_mul_f64 v[43:44], v[211:212], v[213:214]
	v_fma_f64 v[43:44], v[209:210], v[41:42], -v[43:44]
	v_mul_f64 v[209:210], v[209:210], v[213:214]
	v_add_f64 v[33:34], v[33:34], -v[43:44]
	v_fma_f64 v[209:210], v[211:212], v[41:42], v[209:210]
	v_add_f64 v[35:36], v[35:36], -v[209:210]
	ds_read2_b64 v[209:212], v253 offset0:92 offset1:93
	;; [unrolled: 8-line block ×9, first 2 shown]
	s_waitcnt lgkmcnt(0)
	v_mul_f64 v[43:44], v[211:212], v[213:214]
	v_fma_f64 v[43:44], v[209:210], v[41:42], -v[43:44]
	v_mul_f64 v[209:210], v[209:210], v[213:214]
	v_add_f64 v[1:2], v[1:2], -v[43:44]
	v_fma_f64 v[209:210], v[211:212], v[41:42], v[209:210]
	v_mov_b32_e32 v43, v213
	v_mov_b32_e32 v44, v214
	v_add_f64 v[3:4], v[3:4], -v[209:210]
.LBB107_397:
	s_or_b32 exec_lo, exec_lo, s1
	s_mov_b32 s2, exec_lo
	s_waitcnt_vscnt null, 0x0
	s_barrier
	buffer_gl0_inv
	v_cmpx_eq_u32_e32 44, v0
	s_cbranch_execz .LBB107_404
; %bb.398:
	ds_write2_b64 v255, v[37:38], v[39:40] offset1:1
	ds_write2_b64 v253, v[33:34], v[35:36] offset0:90 offset1:91
	ds_write2_b64 v253, v[29:30], v[31:32] offset0:92 offset1:93
	;; [unrolled: 1-line block ×9, first 2 shown]
	ds_read2_b64 v[209:212], v255 offset1:1
	s_waitcnt lgkmcnt(0)
	v_cmp_neq_f64_e32 vcc_lo, 0, v[209:210]
	v_cmp_neq_f64_e64 s1, 0, v[211:212]
	s_or_b32 s1, vcc_lo, s1
	s_and_b32 exec_lo, exec_lo, s1
	s_cbranch_execz .LBB107_404
; %bb.399:
	v_cmp_ngt_f64_e64 s1, |v[209:210]|, |v[211:212]|
                                        ; implicit-def: $vgpr213_vgpr214
	s_and_saveexec_b32 s3, s1
	s_xor_b32 s1, exec_lo, s3
                                        ; implicit-def: $vgpr215_vgpr216
	s_cbranch_execz .LBB107_401
; %bb.400:
	v_div_scale_f64 v[213:214], null, v[211:212], v[211:212], v[209:210]
	v_div_scale_f64 v[219:220], vcc_lo, v[209:210], v[211:212], v[209:210]
	v_rcp_f64_e32 v[215:216], v[213:214]
	v_fma_f64 v[217:218], -v[213:214], v[215:216], 1.0
	v_fma_f64 v[215:216], v[215:216], v[217:218], v[215:216]
	v_fma_f64 v[217:218], -v[213:214], v[215:216], 1.0
	v_fma_f64 v[215:216], v[215:216], v[217:218], v[215:216]
	v_mul_f64 v[217:218], v[219:220], v[215:216]
	v_fma_f64 v[213:214], -v[213:214], v[217:218], v[219:220]
	v_div_fmas_f64 v[213:214], v[213:214], v[215:216], v[217:218]
	v_div_fixup_f64 v[213:214], v[213:214], v[211:212], v[209:210]
	v_fma_f64 v[209:210], v[209:210], v[213:214], v[211:212]
	v_div_scale_f64 v[211:212], null, v[209:210], v[209:210], 1.0
	v_rcp_f64_e32 v[215:216], v[211:212]
	v_fma_f64 v[217:218], -v[211:212], v[215:216], 1.0
	v_fma_f64 v[215:216], v[215:216], v[217:218], v[215:216]
	v_fma_f64 v[217:218], -v[211:212], v[215:216], 1.0
	v_fma_f64 v[215:216], v[215:216], v[217:218], v[215:216]
	v_div_scale_f64 v[217:218], vcc_lo, 1.0, v[209:210], 1.0
	v_mul_f64 v[219:220], v[217:218], v[215:216]
	v_fma_f64 v[211:212], -v[211:212], v[219:220], v[217:218]
	v_div_fmas_f64 v[211:212], v[211:212], v[215:216], v[219:220]
	v_div_fixup_f64 v[215:216], v[211:212], v[209:210], 1.0
                                        ; implicit-def: $vgpr209_vgpr210
	v_mul_f64 v[213:214], v[213:214], v[215:216]
	v_xor_b32_e32 v216, 0x80000000, v216
.LBB107_401:
	s_andn2_saveexec_b32 s1, s1
	s_cbranch_execz .LBB107_403
; %bb.402:
	v_div_scale_f64 v[213:214], null, v[209:210], v[209:210], v[211:212]
	v_div_scale_f64 v[219:220], vcc_lo, v[211:212], v[209:210], v[211:212]
	v_rcp_f64_e32 v[215:216], v[213:214]
	v_fma_f64 v[217:218], -v[213:214], v[215:216], 1.0
	v_fma_f64 v[215:216], v[215:216], v[217:218], v[215:216]
	v_fma_f64 v[217:218], -v[213:214], v[215:216], 1.0
	v_fma_f64 v[215:216], v[215:216], v[217:218], v[215:216]
	v_mul_f64 v[217:218], v[219:220], v[215:216]
	v_fma_f64 v[213:214], -v[213:214], v[217:218], v[219:220]
	v_div_fmas_f64 v[213:214], v[213:214], v[215:216], v[217:218]
	v_div_fixup_f64 v[215:216], v[213:214], v[209:210], v[211:212]
	v_fma_f64 v[209:210], v[211:212], v[215:216], v[209:210]
	v_div_scale_f64 v[211:212], null, v[209:210], v[209:210], 1.0
	v_rcp_f64_e32 v[213:214], v[211:212]
	v_fma_f64 v[217:218], -v[211:212], v[213:214], 1.0
	v_fma_f64 v[213:214], v[213:214], v[217:218], v[213:214]
	v_fma_f64 v[217:218], -v[211:212], v[213:214], 1.0
	v_fma_f64 v[213:214], v[213:214], v[217:218], v[213:214]
	v_div_scale_f64 v[217:218], vcc_lo, 1.0, v[209:210], 1.0
	v_mul_f64 v[219:220], v[217:218], v[213:214]
	v_fma_f64 v[211:212], -v[211:212], v[219:220], v[217:218]
	v_div_fmas_f64 v[211:212], v[211:212], v[213:214], v[219:220]
	v_div_fixup_f64 v[213:214], v[211:212], v[209:210], 1.0
	v_mul_f64 v[215:216], v[215:216], -v[213:214]
.LBB107_403:
	s_or_b32 exec_lo, exec_lo, s1
	ds_write2_b64 v255, v[213:214], v[215:216] offset1:1
.LBB107_404:
	s_or_b32 exec_lo, exec_lo, s2
	s_waitcnt lgkmcnt(0)
	s_barrier
	buffer_gl0_inv
	ds_read2_b64 v[209:212], v255 offset1:1
	s_mov_b32 s1, exec_lo
	s_waitcnt lgkmcnt(0)
	buffer_store_dword v209, off, s[16:19], 0 offset:1176 ; 4-byte Folded Spill
	buffer_store_dword v210, off, s[16:19], 0 offset:1180 ; 4-byte Folded Spill
	;; [unrolled: 1-line block ×4, first 2 shown]
	v_cmpx_lt_u32_e32 44, v0
	s_cbranch_execz .LBB107_406
; %bb.405:
	s_clause 0x3
	buffer_load_dword v215, off, s[16:19], 0 offset:1176
	buffer_load_dword v216, off, s[16:19], 0 offset:1180
	;; [unrolled: 1-line block ×4, first 2 shown]
	s_waitcnt vmcnt(2)
	v_mul_f64 v[209:210], v[215:216], v[39:40]
	s_waitcnt vmcnt(0)
	v_mul_f64 v[39:40], v[217:218], v[39:40]
	v_fma_f64 v[213:214], v[217:218], v[37:38], v[209:210]
	ds_read2_b64 v[209:212], v253 offset0:90 offset1:91
	v_fma_f64 v[37:38], v[215:216], v[37:38], -v[39:40]
	s_waitcnt lgkmcnt(0)
	v_mul_f64 v[39:40], v[211:212], v[213:214]
	v_fma_f64 v[39:40], v[209:210], v[37:38], -v[39:40]
	v_mul_f64 v[209:210], v[209:210], v[213:214]
	v_add_f64 v[33:34], v[33:34], -v[39:40]
	v_fma_f64 v[209:210], v[211:212], v[37:38], v[209:210]
	v_add_f64 v[35:36], v[35:36], -v[209:210]
	ds_read2_b64 v[209:212], v253 offset0:92 offset1:93
	s_waitcnt lgkmcnt(0)
	v_mul_f64 v[39:40], v[211:212], v[213:214]
	v_fma_f64 v[39:40], v[209:210], v[37:38], -v[39:40]
	v_mul_f64 v[209:210], v[209:210], v[213:214]
	v_add_f64 v[29:30], v[29:30], -v[39:40]
	v_fma_f64 v[209:210], v[211:212], v[37:38], v[209:210]
	v_add_f64 v[31:32], v[31:32], -v[209:210]
	ds_read2_b64 v[209:212], v253 offset0:94 offset1:95
	;; [unrolled: 8-line block ×8, first 2 shown]
	s_waitcnt lgkmcnt(0)
	v_mul_f64 v[39:40], v[211:212], v[213:214]
	v_fma_f64 v[39:40], v[209:210], v[37:38], -v[39:40]
	v_mul_f64 v[209:210], v[209:210], v[213:214]
	v_add_f64 v[1:2], v[1:2], -v[39:40]
	v_fma_f64 v[209:210], v[211:212], v[37:38], v[209:210]
	v_mov_b32_e32 v39, v213
	v_mov_b32_e32 v40, v214
	v_add_f64 v[3:4], v[3:4], -v[209:210]
.LBB107_406:
	s_or_b32 exec_lo, exec_lo, s1
	s_mov_b32 s2, exec_lo
	s_waitcnt_vscnt null, 0x0
	s_barrier
	buffer_gl0_inv
	v_cmpx_eq_u32_e32 45, v0
	s_cbranch_execz .LBB107_413
; %bb.407:
	ds_write2_b64 v255, v[33:34], v[35:36] offset1:1
	ds_write2_b64 v253, v[29:30], v[31:32] offset0:92 offset1:93
	ds_write2_b64 v253, v[25:26], v[27:28] offset0:94 offset1:95
	;; [unrolled: 1-line block ×8, first 2 shown]
	ds_read2_b64 v[209:212], v255 offset1:1
	s_waitcnt lgkmcnt(0)
	v_cmp_neq_f64_e32 vcc_lo, 0, v[209:210]
	v_cmp_neq_f64_e64 s1, 0, v[211:212]
	s_or_b32 s1, vcc_lo, s1
	s_and_b32 exec_lo, exec_lo, s1
	s_cbranch_execz .LBB107_413
; %bb.408:
	v_cmp_ngt_f64_e64 s1, |v[209:210]|, |v[211:212]|
                                        ; implicit-def: $vgpr213_vgpr214
	s_and_saveexec_b32 s3, s1
	s_xor_b32 s1, exec_lo, s3
                                        ; implicit-def: $vgpr215_vgpr216
	s_cbranch_execz .LBB107_410
; %bb.409:
	v_div_scale_f64 v[213:214], null, v[211:212], v[211:212], v[209:210]
	v_div_scale_f64 v[219:220], vcc_lo, v[209:210], v[211:212], v[209:210]
	v_rcp_f64_e32 v[215:216], v[213:214]
	v_fma_f64 v[217:218], -v[213:214], v[215:216], 1.0
	v_fma_f64 v[215:216], v[215:216], v[217:218], v[215:216]
	v_fma_f64 v[217:218], -v[213:214], v[215:216], 1.0
	v_fma_f64 v[215:216], v[215:216], v[217:218], v[215:216]
	v_mul_f64 v[217:218], v[219:220], v[215:216]
	v_fma_f64 v[213:214], -v[213:214], v[217:218], v[219:220]
	v_div_fmas_f64 v[213:214], v[213:214], v[215:216], v[217:218]
	v_div_fixup_f64 v[213:214], v[213:214], v[211:212], v[209:210]
	v_fma_f64 v[209:210], v[209:210], v[213:214], v[211:212]
	v_div_scale_f64 v[211:212], null, v[209:210], v[209:210], 1.0
	v_rcp_f64_e32 v[215:216], v[211:212]
	v_fma_f64 v[217:218], -v[211:212], v[215:216], 1.0
	v_fma_f64 v[215:216], v[215:216], v[217:218], v[215:216]
	v_fma_f64 v[217:218], -v[211:212], v[215:216], 1.0
	v_fma_f64 v[215:216], v[215:216], v[217:218], v[215:216]
	v_div_scale_f64 v[217:218], vcc_lo, 1.0, v[209:210], 1.0
	v_mul_f64 v[219:220], v[217:218], v[215:216]
	v_fma_f64 v[211:212], -v[211:212], v[219:220], v[217:218]
	v_div_fmas_f64 v[211:212], v[211:212], v[215:216], v[219:220]
	v_div_fixup_f64 v[215:216], v[211:212], v[209:210], 1.0
                                        ; implicit-def: $vgpr209_vgpr210
	v_mul_f64 v[213:214], v[213:214], v[215:216]
	v_xor_b32_e32 v216, 0x80000000, v216
.LBB107_410:
	s_andn2_saveexec_b32 s1, s1
	s_cbranch_execz .LBB107_412
; %bb.411:
	v_div_scale_f64 v[213:214], null, v[209:210], v[209:210], v[211:212]
	v_div_scale_f64 v[219:220], vcc_lo, v[211:212], v[209:210], v[211:212]
	v_rcp_f64_e32 v[215:216], v[213:214]
	v_fma_f64 v[217:218], -v[213:214], v[215:216], 1.0
	v_fma_f64 v[215:216], v[215:216], v[217:218], v[215:216]
	v_fma_f64 v[217:218], -v[213:214], v[215:216], 1.0
	v_fma_f64 v[215:216], v[215:216], v[217:218], v[215:216]
	v_mul_f64 v[217:218], v[219:220], v[215:216]
	v_fma_f64 v[213:214], -v[213:214], v[217:218], v[219:220]
	v_div_fmas_f64 v[213:214], v[213:214], v[215:216], v[217:218]
	v_div_fixup_f64 v[215:216], v[213:214], v[209:210], v[211:212]
	v_fma_f64 v[209:210], v[211:212], v[215:216], v[209:210]
	v_div_scale_f64 v[211:212], null, v[209:210], v[209:210], 1.0
	v_rcp_f64_e32 v[213:214], v[211:212]
	v_fma_f64 v[217:218], -v[211:212], v[213:214], 1.0
	v_fma_f64 v[213:214], v[213:214], v[217:218], v[213:214]
	v_fma_f64 v[217:218], -v[211:212], v[213:214], 1.0
	v_fma_f64 v[213:214], v[213:214], v[217:218], v[213:214]
	v_div_scale_f64 v[217:218], vcc_lo, 1.0, v[209:210], 1.0
	v_mul_f64 v[219:220], v[217:218], v[213:214]
	v_fma_f64 v[211:212], -v[211:212], v[219:220], v[217:218]
	v_div_fmas_f64 v[211:212], v[211:212], v[213:214], v[219:220]
	v_div_fixup_f64 v[213:214], v[211:212], v[209:210], 1.0
	v_mul_f64 v[215:216], v[215:216], -v[213:214]
.LBB107_412:
	s_or_b32 exec_lo, exec_lo, s1
	ds_write2_b64 v255, v[213:214], v[215:216] offset1:1
.LBB107_413:
	s_or_b32 exec_lo, exec_lo, s2
	s_waitcnt lgkmcnt(0)
	s_barrier
	buffer_gl0_inv
	ds_read2_b64 v[217:220], v255 offset1:1
	s_mov_b32 s1, exec_lo
	v_cmpx_lt_u32_e32 45, v0
	s_cbranch_execz .LBB107_415
; %bb.414:
	s_waitcnt lgkmcnt(0)
	v_mul_f64 v[209:210], v[217:218], v[35:36]
	v_mul_f64 v[35:36], v[219:220], v[35:36]
	v_fma_f64 v[213:214], v[219:220], v[33:34], v[209:210]
	ds_read2_b64 v[209:212], v253 offset0:92 offset1:93
	v_fma_f64 v[33:34], v[217:218], v[33:34], -v[35:36]
	s_waitcnt lgkmcnt(0)
	v_mul_f64 v[35:36], v[211:212], v[213:214]
	v_fma_f64 v[35:36], v[209:210], v[33:34], -v[35:36]
	v_mul_f64 v[209:210], v[209:210], v[213:214]
	v_add_f64 v[29:30], v[29:30], -v[35:36]
	v_fma_f64 v[209:210], v[211:212], v[33:34], v[209:210]
	v_add_f64 v[31:32], v[31:32], -v[209:210]
	ds_read2_b64 v[209:212], v253 offset0:94 offset1:95
	s_waitcnt lgkmcnt(0)
	v_mul_f64 v[35:36], v[211:212], v[213:214]
	v_fma_f64 v[35:36], v[209:210], v[33:34], -v[35:36]
	v_mul_f64 v[209:210], v[209:210], v[213:214]
	v_add_f64 v[25:26], v[25:26], -v[35:36]
	v_fma_f64 v[209:210], v[211:212], v[33:34], v[209:210]
	v_add_f64 v[27:28], v[27:28], -v[209:210]
	ds_read2_b64 v[209:212], v253 offset0:96 offset1:97
	;; [unrolled: 8-line block ×7, first 2 shown]
	s_waitcnt lgkmcnt(0)
	v_mul_f64 v[35:36], v[211:212], v[213:214]
	v_fma_f64 v[35:36], v[209:210], v[33:34], -v[35:36]
	v_mul_f64 v[209:210], v[209:210], v[213:214]
	v_add_f64 v[1:2], v[1:2], -v[35:36]
	v_fma_f64 v[209:210], v[211:212], v[33:34], v[209:210]
	v_mov_b32_e32 v35, v213
	v_mov_b32_e32 v36, v214
	v_add_f64 v[3:4], v[3:4], -v[209:210]
.LBB107_415:
	s_or_b32 exec_lo, exec_lo, s1
	s_mov_b32 s2, exec_lo
	s_waitcnt lgkmcnt(0)
	s_barrier
	buffer_gl0_inv
	v_cmpx_eq_u32_e32 46, v0
	s_cbranch_execz .LBB107_422
; %bb.416:
	ds_write2_b64 v255, v[29:30], v[31:32] offset1:1
	ds_write2_b64 v253, v[25:26], v[27:28] offset0:94 offset1:95
	ds_write2_b64 v253, v[21:22], v[23:24] offset0:96 offset1:97
	;; [unrolled: 1-line block ×7, first 2 shown]
	ds_read2_b64 v[209:212], v255 offset1:1
	s_waitcnt lgkmcnt(0)
	v_cmp_neq_f64_e32 vcc_lo, 0, v[209:210]
	v_cmp_neq_f64_e64 s1, 0, v[211:212]
	s_or_b32 s1, vcc_lo, s1
	s_and_b32 exec_lo, exec_lo, s1
	s_cbranch_execz .LBB107_422
; %bb.417:
	v_cmp_ngt_f64_e64 s1, |v[209:210]|, |v[211:212]|
                                        ; implicit-def: $vgpr213_vgpr214
	s_and_saveexec_b32 s3, s1
	s_xor_b32 s1, exec_lo, s3
                                        ; implicit-def: $vgpr215_vgpr216
	s_cbranch_execz .LBB107_419
; %bb.418:
	v_div_scale_f64 v[213:214], null, v[211:212], v[211:212], v[209:210]
	v_div_scale_f64 v[223:224], vcc_lo, v[209:210], v[211:212], v[209:210]
	v_rcp_f64_e32 v[215:216], v[213:214]
	v_fma_f64 v[221:222], -v[213:214], v[215:216], 1.0
	v_fma_f64 v[215:216], v[215:216], v[221:222], v[215:216]
	v_fma_f64 v[221:222], -v[213:214], v[215:216], 1.0
	v_fma_f64 v[215:216], v[215:216], v[221:222], v[215:216]
	v_mul_f64 v[221:222], v[223:224], v[215:216]
	v_fma_f64 v[213:214], -v[213:214], v[221:222], v[223:224]
	v_div_fmas_f64 v[213:214], v[213:214], v[215:216], v[221:222]
	v_div_fixup_f64 v[213:214], v[213:214], v[211:212], v[209:210]
	v_fma_f64 v[209:210], v[209:210], v[213:214], v[211:212]
	v_div_scale_f64 v[211:212], null, v[209:210], v[209:210], 1.0
	v_rcp_f64_e32 v[215:216], v[211:212]
	v_fma_f64 v[221:222], -v[211:212], v[215:216], 1.0
	v_fma_f64 v[215:216], v[215:216], v[221:222], v[215:216]
	v_fma_f64 v[221:222], -v[211:212], v[215:216], 1.0
	v_fma_f64 v[215:216], v[215:216], v[221:222], v[215:216]
	v_div_scale_f64 v[221:222], vcc_lo, 1.0, v[209:210], 1.0
	v_mul_f64 v[223:224], v[221:222], v[215:216]
	v_fma_f64 v[211:212], -v[211:212], v[223:224], v[221:222]
	v_div_fmas_f64 v[211:212], v[211:212], v[215:216], v[223:224]
	v_div_fixup_f64 v[215:216], v[211:212], v[209:210], 1.0
                                        ; implicit-def: $vgpr209_vgpr210
	v_mul_f64 v[213:214], v[213:214], v[215:216]
	v_xor_b32_e32 v216, 0x80000000, v216
.LBB107_419:
	s_andn2_saveexec_b32 s1, s1
	s_cbranch_execz .LBB107_421
; %bb.420:
	v_div_scale_f64 v[213:214], null, v[209:210], v[209:210], v[211:212]
	v_div_scale_f64 v[223:224], vcc_lo, v[211:212], v[209:210], v[211:212]
	v_rcp_f64_e32 v[215:216], v[213:214]
	v_fma_f64 v[221:222], -v[213:214], v[215:216], 1.0
	v_fma_f64 v[215:216], v[215:216], v[221:222], v[215:216]
	v_fma_f64 v[221:222], -v[213:214], v[215:216], 1.0
	v_fma_f64 v[215:216], v[215:216], v[221:222], v[215:216]
	v_mul_f64 v[221:222], v[223:224], v[215:216]
	v_fma_f64 v[213:214], -v[213:214], v[221:222], v[223:224]
	v_div_fmas_f64 v[213:214], v[213:214], v[215:216], v[221:222]
	v_div_fixup_f64 v[215:216], v[213:214], v[209:210], v[211:212]
	v_fma_f64 v[209:210], v[211:212], v[215:216], v[209:210]
	v_div_scale_f64 v[211:212], null, v[209:210], v[209:210], 1.0
	v_rcp_f64_e32 v[213:214], v[211:212]
	v_fma_f64 v[221:222], -v[211:212], v[213:214], 1.0
	v_fma_f64 v[213:214], v[213:214], v[221:222], v[213:214]
	v_fma_f64 v[221:222], -v[211:212], v[213:214], 1.0
	v_fma_f64 v[213:214], v[213:214], v[221:222], v[213:214]
	v_div_scale_f64 v[221:222], vcc_lo, 1.0, v[209:210], 1.0
	v_mul_f64 v[223:224], v[221:222], v[213:214]
	v_fma_f64 v[211:212], -v[211:212], v[223:224], v[221:222]
	v_div_fmas_f64 v[211:212], v[211:212], v[213:214], v[223:224]
	v_div_fixup_f64 v[213:214], v[211:212], v[209:210], 1.0
	v_mul_f64 v[215:216], v[215:216], -v[213:214]
.LBB107_421:
	s_or_b32 exec_lo, exec_lo, s1
	ds_write2_b64 v255, v[213:214], v[215:216] offset1:1
.LBB107_422:
	s_or_b32 exec_lo, exec_lo, s2
	s_waitcnt lgkmcnt(0)
	s_barrier
	buffer_gl0_inv
	ds_read2_b64 v[221:224], v255 offset1:1
	s_mov_b32 s1, exec_lo
	v_cmpx_lt_u32_e32 46, v0
	s_cbranch_execz .LBB107_424
; %bb.423:
	s_waitcnt lgkmcnt(0)
	v_mul_f64 v[209:210], v[221:222], v[31:32]
	v_mul_f64 v[31:32], v[223:224], v[31:32]
	v_fma_f64 v[213:214], v[223:224], v[29:30], v[209:210]
	ds_read2_b64 v[209:212], v253 offset0:94 offset1:95
	v_fma_f64 v[29:30], v[221:222], v[29:30], -v[31:32]
	s_waitcnt lgkmcnt(0)
	v_mul_f64 v[31:32], v[211:212], v[213:214]
	v_fma_f64 v[31:32], v[209:210], v[29:30], -v[31:32]
	v_mul_f64 v[209:210], v[209:210], v[213:214]
	v_add_f64 v[25:26], v[25:26], -v[31:32]
	v_fma_f64 v[209:210], v[211:212], v[29:30], v[209:210]
	v_add_f64 v[27:28], v[27:28], -v[209:210]
	ds_read2_b64 v[209:212], v253 offset0:96 offset1:97
	s_waitcnt lgkmcnt(0)
	v_mul_f64 v[31:32], v[211:212], v[213:214]
	v_fma_f64 v[31:32], v[209:210], v[29:30], -v[31:32]
	v_mul_f64 v[209:210], v[209:210], v[213:214]
	v_add_f64 v[21:22], v[21:22], -v[31:32]
	v_fma_f64 v[209:210], v[211:212], v[29:30], v[209:210]
	v_add_f64 v[23:24], v[23:24], -v[209:210]
	ds_read2_b64 v[209:212], v253 offset0:98 offset1:99
	;; [unrolled: 8-line block ×6, first 2 shown]
	s_waitcnt lgkmcnt(0)
	v_mul_f64 v[31:32], v[211:212], v[213:214]
	v_fma_f64 v[31:32], v[209:210], v[29:30], -v[31:32]
	v_mul_f64 v[209:210], v[209:210], v[213:214]
	v_add_f64 v[1:2], v[1:2], -v[31:32]
	v_fma_f64 v[209:210], v[211:212], v[29:30], v[209:210]
	v_mov_b32_e32 v31, v213
	v_mov_b32_e32 v32, v214
	v_add_f64 v[3:4], v[3:4], -v[209:210]
.LBB107_424:
	s_or_b32 exec_lo, exec_lo, s1
	s_mov_b32 s2, exec_lo
	s_waitcnt lgkmcnt(0)
	s_barrier
	buffer_gl0_inv
	v_cmpx_eq_u32_e32 47, v0
	s_cbranch_execz .LBB107_431
; %bb.425:
	ds_write2_b64 v255, v[25:26], v[27:28] offset1:1
	ds_write2_b64 v253, v[21:22], v[23:24] offset0:96 offset1:97
	ds_write2_b64 v253, v[17:18], v[19:20] offset0:98 offset1:99
	;; [unrolled: 1-line block ×6, first 2 shown]
	ds_read2_b64 v[209:212], v255 offset1:1
	s_waitcnt lgkmcnt(0)
	v_cmp_neq_f64_e32 vcc_lo, 0, v[209:210]
	v_cmp_neq_f64_e64 s1, 0, v[211:212]
	s_or_b32 s1, vcc_lo, s1
	s_and_b32 exec_lo, exec_lo, s1
	s_cbranch_execz .LBB107_431
; %bb.426:
	v_cmp_ngt_f64_e64 s1, |v[209:210]|, |v[211:212]|
                                        ; implicit-def: $vgpr213_vgpr214
	s_and_saveexec_b32 s3, s1
	s_xor_b32 s1, exec_lo, s3
                                        ; implicit-def: $vgpr215_vgpr216
	s_cbranch_execz .LBB107_428
; %bb.427:
	v_div_scale_f64 v[213:214], null, v[211:212], v[211:212], v[209:210]
	v_div_scale_f64 v[227:228], vcc_lo, v[209:210], v[211:212], v[209:210]
	v_rcp_f64_e32 v[215:216], v[213:214]
	v_fma_f64 v[225:226], -v[213:214], v[215:216], 1.0
	v_fma_f64 v[215:216], v[215:216], v[225:226], v[215:216]
	v_fma_f64 v[225:226], -v[213:214], v[215:216], 1.0
	v_fma_f64 v[215:216], v[215:216], v[225:226], v[215:216]
	v_mul_f64 v[225:226], v[227:228], v[215:216]
	v_fma_f64 v[213:214], -v[213:214], v[225:226], v[227:228]
	v_div_fmas_f64 v[213:214], v[213:214], v[215:216], v[225:226]
	v_div_fixup_f64 v[213:214], v[213:214], v[211:212], v[209:210]
	v_fma_f64 v[209:210], v[209:210], v[213:214], v[211:212]
	v_div_scale_f64 v[211:212], null, v[209:210], v[209:210], 1.0
	v_rcp_f64_e32 v[215:216], v[211:212]
	v_fma_f64 v[225:226], -v[211:212], v[215:216], 1.0
	v_fma_f64 v[215:216], v[215:216], v[225:226], v[215:216]
	v_fma_f64 v[225:226], -v[211:212], v[215:216], 1.0
	v_fma_f64 v[215:216], v[215:216], v[225:226], v[215:216]
	v_div_scale_f64 v[225:226], vcc_lo, 1.0, v[209:210], 1.0
	v_mul_f64 v[227:228], v[225:226], v[215:216]
	v_fma_f64 v[211:212], -v[211:212], v[227:228], v[225:226]
	v_div_fmas_f64 v[211:212], v[211:212], v[215:216], v[227:228]
	v_div_fixup_f64 v[215:216], v[211:212], v[209:210], 1.0
                                        ; implicit-def: $vgpr209_vgpr210
	v_mul_f64 v[213:214], v[213:214], v[215:216]
	v_xor_b32_e32 v216, 0x80000000, v216
.LBB107_428:
	s_andn2_saveexec_b32 s1, s1
	s_cbranch_execz .LBB107_430
; %bb.429:
	v_div_scale_f64 v[213:214], null, v[209:210], v[209:210], v[211:212]
	v_div_scale_f64 v[227:228], vcc_lo, v[211:212], v[209:210], v[211:212]
	v_rcp_f64_e32 v[215:216], v[213:214]
	v_fma_f64 v[225:226], -v[213:214], v[215:216], 1.0
	v_fma_f64 v[215:216], v[215:216], v[225:226], v[215:216]
	v_fma_f64 v[225:226], -v[213:214], v[215:216], 1.0
	v_fma_f64 v[215:216], v[215:216], v[225:226], v[215:216]
	v_mul_f64 v[225:226], v[227:228], v[215:216]
	v_fma_f64 v[213:214], -v[213:214], v[225:226], v[227:228]
	v_div_fmas_f64 v[213:214], v[213:214], v[215:216], v[225:226]
	v_div_fixup_f64 v[215:216], v[213:214], v[209:210], v[211:212]
	v_fma_f64 v[209:210], v[211:212], v[215:216], v[209:210]
	v_div_scale_f64 v[211:212], null, v[209:210], v[209:210], 1.0
	v_rcp_f64_e32 v[213:214], v[211:212]
	v_fma_f64 v[225:226], -v[211:212], v[213:214], 1.0
	v_fma_f64 v[213:214], v[213:214], v[225:226], v[213:214]
	v_fma_f64 v[225:226], -v[211:212], v[213:214], 1.0
	v_fma_f64 v[213:214], v[213:214], v[225:226], v[213:214]
	v_div_scale_f64 v[225:226], vcc_lo, 1.0, v[209:210], 1.0
	v_mul_f64 v[227:228], v[225:226], v[213:214]
	v_fma_f64 v[211:212], -v[211:212], v[227:228], v[225:226]
	v_div_fmas_f64 v[211:212], v[211:212], v[213:214], v[227:228]
	v_div_fixup_f64 v[213:214], v[211:212], v[209:210], 1.0
	v_mul_f64 v[215:216], v[215:216], -v[213:214]
.LBB107_430:
	s_or_b32 exec_lo, exec_lo, s1
	ds_write2_b64 v255, v[213:214], v[215:216] offset1:1
.LBB107_431:
	s_or_b32 exec_lo, exec_lo, s2
	s_waitcnt lgkmcnt(0)
	s_barrier
	buffer_gl0_inv
	ds_read2_b64 v[225:228], v255 offset1:1
	s_mov_b32 s1, exec_lo
	v_cmpx_lt_u32_e32 47, v0
	s_cbranch_execz .LBB107_433
; %bb.432:
	s_waitcnt lgkmcnt(0)
	v_mul_f64 v[209:210], v[225:226], v[27:28]
	v_mul_f64 v[27:28], v[227:228], v[27:28]
	v_fma_f64 v[213:214], v[227:228], v[25:26], v[209:210]
	ds_read2_b64 v[209:212], v253 offset0:96 offset1:97
	v_fma_f64 v[25:26], v[225:226], v[25:26], -v[27:28]
	s_waitcnt lgkmcnt(0)
	v_mul_f64 v[27:28], v[211:212], v[213:214]
	v_fma_f64 v[27:28], v[209:210], v[25:26], -v[27:28]
	v_mul_f64 v[209:210], v[209:210], v[213:214]
	v_add_f64 v[21:22], v[21:22], -v[27:28]
	v_fma_f64 v[209:210], v[211:212], v[25:26], v[209:210]
	v_add_f64 v[23:24], v[23:24], -v[209:210]
	ds_read2_b64 v[209:212], v253 offset0:98 offset1:99
	s_waitcnt lgkmcnt(0)
	v_mul_f64 v[27:28], v[211:212], v[213:214]
	v_fma_f64 v[27:28], v[209:210], v[25:26], -v[27:28]
	v_mul_f64 v[209:210], v[209:210], v[213:214]
	v_add_f64 v[17:18], v[17:18], -v[27:28]
	v_fma_f64 v[209:210], v[211:212], v[25:26], v[209:210]
	v_add_f64 v[19:20], v[19:20], -v[209:210]
	ds_read2_b64 v[209:212], v253 offset0:100 offset1:101
	;; [unrolled: 8-line block ×5, first 2 shown]
	s_waitcnt lgkmcnt(0)
	v_mul_f64 v[27:28], v[211:212], v[213:214]
	v_fma_f64 v[27:28], v[209:210], v[25:26], -v[27:28]
	v_mul_f64 v[209:210], v[209:210], v[213:214]
	v_add_f64 v[1:2], v[1:2], -v[27:28]
	v_fma_f64 v[209:210], v[211:212], v[25:26], v[209:210]
	v_mov_b32_e32 v27, v213
	v_mov_b32_e32 v28, v214
	v_add_f64 v[3:4], v[3:4], -v[209:210]
.LBB107_433:
	s_or_b32 exec_lo, exec_lo, s1
	s_mov_b32 s2, exec_lo
	s_waitcnt lgkmcnt(0)
	s_barrier
	buffer_gl0_inv
	v_cmpx_eq_u32_e32 48, v0
	s_cbranch_execz .LBB107_440
; %bb.434:
	ds_write2_b64 v255, v[21:22], v[23:24] offset1:1
	ds_write2_b64 v253, v[17:18], v[19:20] offset0:98 offset1:99
	ds_write2_b64 v253, v[13:14], v[15:16] offset0:100 offset1:101
	;; [unrolled: 1-line block ×5, first 2 shown]
	ds_read2_b64 v[209:212], v255 offset1:1
	s_waitcnt lgkmcnt(0)
	v_cmp_neq_f64_e32 vcc_lo, 0, v[209:210]
	v_cmp_neq_f64_e64 s1, 0, v[211:212]
	s_or_b32 s1, vcc_lo, s1
	s_and_b32 exec_lo, exec_lo, s1
	s_cbranch_execz .LBB107_440
; %bb.435:
	v_cmp_ngt_f64_e64 s1, |v[209:210]|, |v[211:212]|
                                        ; implicit-def: $vgpr213_vgpr214
	s_and_saveexec_b32 s3, s1
	s_xor_b32 s1, exec_lo, s3
                                        ; implicit-def: $vgpr215_vgpr216
	s_cbranch_execz .LBB107_437
; %bb.436:
	v_div_scale_f64 v[213:214], null, v[211:212], v[211:212], v[209:210]
	v_div_scale_f64 v[231:232], vcc_lo, v[209:210], v[211:212], v[209:210]
	v_rcp_f64_e32 v[215:216], v[213:214]
	v_fma_f64 v[229:230], -v[213:214], v[215:216], 1.0
	v_fma_f64 v[215:216], v[215:216], v[229:230], v[215:216]
	v_fma_f64 v[229:230], -v[213:214], v[215:216], 1.0
	v_fma_f64 v[215:216], v[215:216], v[229:230], v[215:216]
	v_mul_f64 v[229:230], v[231:232], v[215:216]
	v_fma_f64 v[213:214], -v[213:214], v[229:230], v[231:232]
	v_div_fmas_f64 v[213:214], v[213:214], v[215:216], v[229:230]
	v_div_fixup_f64 v[213:214], v[213:214], v[211:212], v[209:210]
	v_fma_f64 v[209:210], v[209:210], v[213:214], v[211:212]
	v_div_scale_f64 v[211:212], null, v[209:210], v[209:210], 1.0
	v_rcp_f64_e32 v[215:216], v[211:212]
	v_fma_f64 v[229:230], -v[211:212], v[215:216], 1.0
	v_fma_f64 v[215:216], v[215:216], v[229:230], v[215:216]
	v_fma_f64 v[229:230], -v[211:212], v[215:216], 1.0
	v_fma_f64 v[215:216], v[215:216], v[229:230], v[215:216]
	v_div_scale_f64 v[229:230], vcc_lo, 1.0, v[209:210], 1.0
	v_mul_f64 v[231:232], v[229:230], v[215:216]
	v_fma_f64 v[211:212], -v[211:212], v[231:232], v[229:230]
	v_div_fmas_f64 v[211:212], v[211:212], v[215:216], v[231:232]
	v_div_fixup_f64 v[215:216], v[211:212], v[209:210], 1.0
                                        ; implicit-def: $vgpr209_vgpr210
	v_mul_f64 v[213:214], v[213:214], v[215:216]
	v_xor_b32_e32 v216, 0x80000000, v216
.LBB107_437:
	s_andn2_saveexec_b32 s1, s1
	s_cbranch_execz .LBB107_439
; %bb.438:
	v_div_scale_f64 v[213:214], null, v[209:210], v[209:210], v[211:212]
	v_div_scale_f64 v[231:232], vcc_lo, v[211:212], v[209:210], v[211:212]
	v_rcp_f64_e32 v[215:216], v[213:214]
	v_fma_f64 v[229:230], -v[213:214], v[215:216], 1.0
	v_fma_f64 v[215:216], v[215:216], v[229:230], v[215:216]
	v_fma_f64 v[229:230], -v[213:214], v[215:216], 1.0
	v_fma_f64 v[215:216], v[215:216], v[229:230], v[215:216]
	v_mul_f64 v[229:230], v[231:232], v[215:216]
	v_fma_f64 v[213:214], -v[213:214], v[229:230], v[231:232]
	v_div_fmas_f64 v[213:214], v[213:214], v[215:216], v[229:230]
	v_div_fixup_f64 v[215:216], v[213:214], v[209:210], v[211:212]
	v_fma_f64 v[209:210], v[211:212], v[215:216], v[209:210]
	v_div_scale_f64 v[211:212], null, v[209:210], v[209:210], 1.0
	v_rcp_f64_e32 v[213:214], v[211:212]
	v_fma_f64 v[229:230], -v[211:212], v[213:214], 1.0
	v_fma_f64 v[213:214], v[213:214], v[229:230], v[213:214]
	v_fma_f64 v[229:230], -v[211:212], v[213:214], 1.0
	v_fma_f64 v[213:214], v[213:214], v[229:230], v[213:214]
	v_div_scale_f64 v[229:230], vcc_lo, 1.0, v[209:210], 1.0
	v_mul_f64 v[231:232], v[229:230], v[213:214]
	v_fma_f64 v[211:212], -v[211:212], v[231:232], v[229:230]
	v_div_fmas_f64 v[211:212], v[211:212], v[213:214], v[231:232]
	v_div_fixup_f64 v[213:214], v[211:212], v[209:210], 1.0
	v_mul_f64 v[215:216], v[215:216], -v[213:214]
.LBB107_439:
	s_or_b32 exec_lo, exec_lo, s1
	ds_write2_b64 v255, v[213:214], v[215:216] offset1:1
.LBB107_440:
	s_or_b32 exec_lo, exec_lo, s2
	s_waitcnt lgkmcnt(0)
	s_barrier
	buffer_gl0_inv
	ds_read2_b64 v[229:232], v255 offset1:1
	s_mov_b32 s1, exec_lo
	v_cmpx_lt_u32_e32 48, v0
	s_cbranch_execz .LBB107_442
; %bb.441:
	s_waitcnt lgkmcnt(0)
	v_mul_f64 v[209:210], v[229:230], v[23:24]
	v_mul_f64 v[23:24], v[231:232], v[23:24]
	v_fma_f64 v[213:214], v[231:232], v[21:22], v[209:210]
	ds_read2_b64 v[209:212], v253 offset0:98 offset1:99
	v_fma_f64 v[21:22], v[229:230], v[21:22], -v[23:24]
	s_waitcnt lgkmcnt(0)
	v_mul_f64 v[23:24], v[211:212], v[213:214]
	v_fma_f64 v[23:24], v[209:210], v[21:22], -v[23:24]
	v_mul_f64 v[209:210], v[209:210], v[213:214]
	v_add_f64 v[17:18], v[17:18], -v[23:24]
	v_fma_f64 v[209:210], v[211:212], v[21:22], v[209:210]
	v_add_f64 v[19:20], v[19:20], -v[209:210]
	ds_read2_b64 v[209:212], v253 offset0:100 offset1:101
	s_waitcnt lgkmcnt(0)
	v_mul_f64 v[23:24], v[211:212], v[213:214]
	v_fma_f64 v[23:24], v[209:210], v[21:22], -v[23:24]
	v_mul_f64 v[209:210], v[209:210], v[213:214]
	v_add_f64 v[13:14], v[13:14], -v[23:24]
	v_fma_f64 v[209:210], v[211:212], v[21:22], v[209:210]
	v_add_f64 v[15:16], v[15:16], -v[209:210]
	ds_read2_b64 v[209:212], v253 offset0:102 offset1:103
	;; [unrolled: 8-line block ×4, first 2 shown]
	s_waitcnt lgkmcnt(0)
	v_mul_f64 v[23:24], v[211:212], v[213:214]
	v_fma_f64 v[23:24], v[209:210], v[21:22], -v[23:24]
	v_mul_f64 v[209:210], v[209:210], v[213:214]
	v_add_f64 v[1:2], v[1:2], -v[23:24]
	v_fma_f64 v[209:210], v[211:212], v[21:22], v[209:210]
	v_mov_b32_e32 v23, v213
	v_mov_b32_e32 v24, v214
	v_add_f64 v[3:4], v[3:4], -v[209:210]
.LBB107_442:
	s_or_b32 exec_lo, exec_lo, s1
	s_mov_b32 s2, exec_lo
	s_waitcnt lgkmcnt(0)
	s_barrier
	buffer_gl0_inv
	v_cmpx_eq_u32_e32 49, v0
	s_cbranch_execz .LBB107_449
; %bb.443:
	ds_write2_b64 v255, v[17:18], v[19:20] offset1:1
	ds_write2_b64 v253, v[13:14], v[15:16] offset0:100 offset1:101
	ds_write2_b64 v253, v[9:10], v[11:12] offset0:102 offset1:103
	;; [unrolled: 1-line block ×4, first 2 shown]
	ds_read2_b64 v[209:212], v255 offset1:1
	s_waitcnt lgkmcnt(0)
	v_cmp_neq_f64_e32 vcc_lo, 0, v[209:210]
	v_cmp_neq_f64_e64 s1, 0, v[211:212]
	s_or_b32 s1, vcc_lo, s1
	s_and_b32 exec_lo, exec_lo, s1
	s_cbranch_execz .LBB107_449
; %bb.444:
	v_cmp_ngt_f64_e64 s1, |v[209:210]|, |v[211:212]|
                                        ; implicit-def: $vgpr213_vgpr214
	s_and_saveexec_b32 s3, s1
	s_xor_b32 s1, exec_lo, s3
                                        ; implicit-def: $vgpr215_vgpr216
	s_cbranch_execz .LBB107_446
; %bb.445:
	v_div_scale_f64 v[213:214], null, v[211:212], v[211:212], v[209:210]
	v_div_scale_f64 v[235:236], vcc_lo, v[209:210], v[211:212], v[209:210]
	v_rcp_f64_e32 v[215:216], v[213:214]
	v_fma_f64 v[233:234], -v[213:214], v[215:216], 1.0
	v_fma_f64 v[215:216], v[215:216], v[233:234], v[215:216]
	v_fma_f64 v[233:234], -v[213:214], v[215:216], 1.0
	v_fma_f64 v[215:216], v[215:216], v[233:234], v[215:216]
	v_mul_f64 v[233:234], v[235:236], v[215:216]
	v_fma_f64 v[213:214], -v[213:214], v[233:234], v[235:236]
	v_div_fmas_f64 v[213:214], v[213:214], v[215:216], v[233:234]
	v_div_fixup_f64 v[213:214], v[213:214], v[211:212], v[209:210]
	v_fma_f64 v[209:210], v[209:210], v[213:214], v[211:212]
	v_div_scale_f64 v[211:212], null, v[209:210], v[209:210], 1.0
	v_rcp_f64_e32 v[215:216], v[211:212]
	v_fma_f64 v[233:234], -v[211:212], v[215:216], 1.0
	v_fma_f64 v[215:216], v[215:216], v[233:234], v[215:216]
	v_fma_f64 v[233:234], -v[211:212], v[215:216], 1.0
	v_fma_f64 v[215:216], v[215:216], v[233:234], v[215:216]
	v_div_scale_f64 v[233:234], vcc_lo, 1.0, v[209:210], 1.0
	v_mul_f64 v[235:236], v[233:234], v[215:216]
	v_fma_f64 v[211:212], -v[211:212], v[235:236], v[233:234]
	v_div_fmas_f64 v[211:212], v[211:212], v[215:216], v[235:236]
	v_div_fixup_f64 v[215:216], v[211:212], v[209:210], 1.0
                                        ; implicit-def: $vgpr209_vgpr210
	v_mul_f64 v[213:214], v[213:214], v[215:216]
	v_xor_b32_e32 v216, 0x80000000, v216
.LBB107_446:
	s_andn2_saveexec_b32 s1, s1
	s_cbranch_execz .LBB107_448
; %bb.447:
	v_div_scale_f64 v[213:214], null, v[209:210], v[209:210], v[211:212]
	v_div_scale_f64 v[235:236], vcc_lo, v[211:212], v[209:210], v[211:212]
	v_rcp_f64_e32 v[215:216], v[213:214]
	v_fma_f64 v[233:234], -v[213:214], v[215:216], 1.0
	v_fma_f64 v[215:216], v[215:216], v[233:234], v[215:216]
	v_fma_f64 v[233:234], -v[213:214], v[215:216], 1.0
	v_fma_f64 v[215:216], v[215:216], v[233:234], v[215:216]
	v_mul_f64 v[233:234], v[235:236], v[215:216]
	v_fma_f64 v[213:214], -v[213:214], v[233:234], v[235:236]
	v_div_fmas_f64 v[213:214], v[213:214], v[215:216], v[233:234]
	v_div_fixup_f64 v[215:216], v[213:214], v[209:210], v[211:212]
	v_fma_f64 v[209:210], v[211:212], v[215:216], v[209:210]
	v_div_scale_f64 v[211:212], null, v[209:210], v[209:210], 1.0
	v_rcp_f64_e32 v[213:214], v[211:212]
	v_fma_f64 v[233:234], -v[211:212], v[213:214], 1.0
	v_fma_f64 v[213:214], v[213:214], v[233:234], v[213:214]
	v_fma_f64 v[233:234], -v[211:212], v[213:214], 1.0
	v_fma_f64 v[213:214], v[213:214], v[233:234], v[213:214]
	v_div_scale_f64 v[233:234], vcc_lo, 1.0, v[209:210], 1.0
	v_mul_f64 v[235:236], v[233:234], v[213:214]
	v_fma_f64 v[211:212], -v[211:212], v[235:236], v[233:234]
	v_div_fmas_f64 v[211:212], v[211:212], v[213:214], v[235:236]
	v_div_fixup_f64 v[213:214], v[211:212], v[209:210], 1.0
	v_mul_f64 v[215:216], v[215:216], -v[213:214]
.LBB107_448:
	s_or_b32 exec_lo, exec_lo, s1
	ds_write2_b64 v255, v[213:214], v[215:216] offset1:1
.LBB107_449:
	s_or_b32 exec_lo, exec_lo, s2
	s_waitcnt lgkmcnt(0)
	s_barrier
	buffer_gl0_inv
	ds_read2_b64 v[233:236], v255 offset1:1
	s_mov_b32 s1, exec_lo
	v_cmpx_lt_u32_e32 49, v0
	s_cbranch_execz .LBB107_451
; %bb.450:
	s_waitcnt lgkmcnt(0)
	v_mul_f64 v[209:210], v[233:234], v[19:20]
	v_mul_f64 v[19:20], v[235:236], v[19:20]
	v_fma_f64 v[213:214], v[235:236], v[17:18], v[209:210]
	ds_read2_b64 v[209:212], v253 offset0:100 offset1:101
	v_fma_f64 v[17:18], v[233:234], v[17:18], -v[19:20]
	s_waitcnt lgkmcnt(0)
	v_mul_f64 v[19:20], v[211:212], v[213:214]
	v_fma_f64 v[19:20], v[209:210], v[17:18], -v[19:20]
	v_mul_f64 v[209:210], v[209:210], v[213:214]
	v_add_f64 v[13:14], v[13:14], -v[19:20]
	v_fma_f64 v[209:210], v[211:212], v[17:18], v[209:210]
	v_add_f64 v[15:16], v[15:16], -v[209:210]
	ds_read2_b64 v[209:212], v253 offset0:102 offset1:103
	s_waitcnt lgkmcnt(0)
	v_mul_f64 v[19:20], v[211:212], v[213:214]
	v_fma_f64 v[19:20], v[209:210], v[17:18], -v[19:20]
	v_mul_f64 v[209:210], v[209:210], v[213:214]
	v_add_f64 v[9:10], v[9:10], -v[19:20]
	v_fma_f64 v[209:210], v[211:212], v[17:18], v[209:210]
	v_add_f64 v[11:12], v[11:12], -v[209:210]
	ds_read2_b64 v[209:212], v253 offset0:104 offset1:105
	;; [unrolled: 8-line block ×3, first 2 shown]
	s_waitcnt lgkmcnt(0)
	v_mul_f64 v[19:20], v[211:212], v[213:214]
	v_fma_f64 v[19:20], v[209:210], v[17:18], -v[19:20]
	v_mul_f64 v[209:210], v[209:210], v[213:214]
	v_add_f64 v[1:2], v[1:2], -v[19:20]
	v_fma_f64 v[209:210], v[211:212], v[17:18], v[209:210]
	v_mov_b32_e32 v19, v213
	v_mov_b32_e32 v20, v214
	v_add_f64 v[3:4], v[3:4], -v[209:210]
.LBB107_451:
	s_or_b32 exec_lo, exec_lo, s1
	s_mov_b32 s2, exec_lo
	s_waitcnt lgkmcnt(0)
	s_barrier
	buffer_gl0_inv
	v_cmpx_eq_u32_e32 50, v0
	s_cbranch_execz .LBB107_458
; %bb.452:
	ds_write2_b64 v255, v[13:14], v[15:16] offset1:1
	ds_write2_b64 v253, v[9:10], v[11:12] offset0:102 offset1:103
	ds_write2_b64 v253, v[5:6], v[7:8] offset0:104 offset1:105
	;; [unrolled: 1-line block ×3, first 2 shown]
	ds_read2_b64 v[209:212], v255 offset1:1
	s_waitcnt lgkmcnt(0)
	v_cmp_neq_f64_e32 vcc_lo, 0, v[209:210]
	v_cmp_neq_f64_e64 s1, 0, v[211:212]
	s_or_b32 s1, vcc_lo, s1
	s_and_b32 exec_lo, exec_lo, s1
	s_cbranch_execz .LBB107_458
; %bb.453:
	v_cmp_ngt_f64_e64 s1, |v[209:210]|, |v[211:212]|
                                        ; implicit-def: $vgpr213_vgpr214
	s_and_saveexec_b32 s3, s1
	s_xor_b32 s1, exec_lo, s3
                                        ; implicit-def: $vgpr215_vgpr216
	s_cbranch_execz .LBB107_455
; %bb.454:
	v_div_scale_f64 v[213:214], null, v[211:212], v[211:212], v[209:210]
	v_div_scale_f64 v[239:240], vcc_lo, v[209:210], v[211:212], v[209:210]
	v_rcp_f64_e32 v[215:216], v[213:214]
	v_fma_f64 v[237:238], -v[213:214], v[215:216], 1.0
	v_fma_f64 v[215:216], v[215:216], v[237:238], v[215:216]
	v_fma_f64 v[237:238], -v[213:214], v[215:216], 1.0
	v_fma_f64 v[215:216], v[215:216], v[237:238], v[215:216]
	v_mul_f64 v[237:238], v[239:240], v[215:216]
	v_fma_f64 v[213:214], -v[213:214], v[237:238], v[239:240]
	v_div_fmas_f64 v[213:214], v[213:214], v[215:216], v[237:238]
	v_div_fixup_f64 v[213:214], v[213:214], v[211:212], v[209:210]
	v_fma_f64 v[209:210], v[209:210], v[213:214], v[211:212]
	v_div_scale_f64 v[211:212], null, v[209:210], v[209:210], 1.0
	v_rcp_f64_e32 v[215:216], v[211:212]
	v_fma_f64 v[237:238], -v[211:212], v[215:216], 1.0
	v_fma_f64 v[215:216], v[215:216], v[237:238], v[215:216]
	v_fma_f64 v[237:238], -v[211:212], v[215:216], 1.0
	v_fma_f64 v[215:216], v[215:216], v[237:238], v[215:216]
	v_div_scale_f64 v[237:238], vcc_lo, 1.0, v[209:210], 1.0
	v_mul_f64 v[239:240], v[237:238], v[215:216]
	v_fma_f64 v[211:212], -v[211:212], v[239:240], v[237:238]
	v_div_fmas_f64 v[211:212], v[211:212], v[215:216], v[239:240]
	v_div_fixup_f64 v[215:216], v[211:212], v[209:210], 1.0
                                        ; implicit-def: $vgpr209_vgpr210
	v_mul_f64 v[213:214], v[213:214], v[215:216]
	v_xor_b32_e32 v216, 0x80000000, v216
.LBB107_455:
	s_andn2_saveexec_b32 s1, s1
	s_cbranch_execz .LBB107_457
; %bb.456:
	v_div_scale_f64 v[213:214], null, v[209:210], v[209:210], v[211:212]
	v_div_scale_f64 v[239:240], vcc_lo, v[211:212], v[209:210], v[211:212]
	v_rcp_f64_e32 v[215:216], v[213:214]
	v_fma_f64 v[237:238], -v[213:214], v[215:216], 1.0
	v_fma_f64 v[215:216], v[215:216], v[237:238], v[215:216]
	v_fma_f64 v[237:238], -v[213:214], v[215:216], 1.0
	v_fma_f64 v[215:216], v[215:216], v[237:238], v[215:216]
	v_mul_f64 v[237:238], v[239:240], v[215:216]
	v_fma_f64 v[213:214], -v[213:214], v[237:238], v[239:240]
	v_div_fmas_f64 v[213:214], v[213:214], v[215:216], v[237:238]
	v_div_fixup_f64 v[215:216], v[213:214], v[209:210], v[211:212]
	v_fma_f64 v[209:210], v[211:212], v[215:216], v[209:210]
	v_div_scale_f64 v[211:212], null, v[209:210], v[209:210], 1.0
	v_rcp_f64_e32 v[213:214], v[211:212]
	v_fma_f64 v[237:238], -v[211:212], v[213:214], 1.0
	v_fma_f64 v[213:214], v[213:214], v[237:238], v[213:214]
	v_fma_f64 v[237:238], -v[211:212], v[213:214], 1.0
	v_fma_f64 v[213:214], v[213:214], v[237:238], v[213:214]
	v_div_scale_f64 v[237:238], vcc_lo, 1.0, v[209:210], 1.0
	v_mul_f64 v[239:240], v[237:238], v[213:214]
	v_fma_f64 v[211:212], -v[211:212], v[239:240], v[237:238]
	v_div_fmas_f64 v[211:212], v[211:212], v[213:214], v[239:240]
	v_div_fixup_f64 v[213:214], v[211:212], v[209:210], 1.0
	v_mul_f64 v[215:216], v[215:216], -v[213:214]
.LBB107_457:
	s_or_b32 exec_lo, exec_lo, s1
	ds_write2_b64 v255, v[213:214], v[215:216] offset1:1
.LBB107_458:
	s_or_b32 exec_lo, exec_lo, s2
	s_waitcnt lgkmcnt(0)
	s_barrier
	buffer_gl0_inv
	ds_read2_b64 v[237:240], v255 offset1:1
	s_mov_b32 s1, exec_lo
	v_cmpx_lt_u32_e32 50, v0
	s_cbranch_execz .LBB107_460
; %bb.459:
	s_waitcnt lgkmcnt(0)
	v_mul_f64 v[209:210], v[237:238], v[15:16]
	v_mul_f64 v[15:16], v[239:240], v[15:16]
	v_fma_f64 v[213:214], v[239:240], v[13:14], v[209:210]
	ds_read2_b64 v[209:212], v253 offset0:102 offset1:103
	v_fma_f64 v[13:14], v[237:238], v[13:14], -v[15:16]
	s_waitcnt lgkmcnt(0)
	v_mul_f64 v[15:16], v[211:212], v[213:214]
	v_fma_f64 v[15:16], v[209:210], v[13:14], -v[15:16]
	v_mul_f64 v[209:210], v[209:210], v[213:214]
	v_add_f64 v[9:10], v[9:10], -v[15:16]
	v_fma_f64 v[209:210], v[211:212], v[13:14], v[209:210]
	v_add_f64 v[11:12], v[11:12], -v[209:210]
	ds_read2_b64 v[209:212], v253 offset0:104 offset1:105
	s_waitcnt lgkmcnt(0)
	v_mul_f64 v[15:16], v[211:212], v[213:214]
	v_fma_f64 v[15:16], v[209:210], v[13:14], -v[15:16]
	v_mul_f64 v[209:210], v[209:210], v[213:214]
	v_add_f64 v[5:6], v[5:6], -v[15:16]
	v_fma_f64 v[209:210], v[211:212], v[13:14], v[209:210]
	v_add_f64 v[7:8], v[7:8], -v[209:210]
	ds_read2_b64 v[209:212], v253 offset0:106 offset1:107
	s_waitcnt lgkmcnt(0)
	v_mul_f64 v[15:16], v[211:212], v[213:214]
	v_fma_f64 v[15:16], v[209:210], v[13:14], -v[15:16]
	v_mul_f64 v[209:210], v[209:210], v[213:214]
	v_add_f64 v[1:2], v[1:2], -v[15:16]
	v_fma_f64 v[209:210], v[211:212], v[13:14], v[209:210]
	v_mov_b32_e32 v15, v213
	v_mov_b32_e32 v16, v214
	v_add_f64 v[3:4], v[3:4], -v[209:210]
.LBB107_460:
	s_or_b32 exec_lo, exec_lo, s1
	s_mov_b32 s2, exec_lo
	s_waitcnt lgkmcnt(0)
	s_barrier
	buffer_gl0_inv
	v_cmpx_eq_u32_e32 51, v0
	s_cbranch_execz .LBB107_467
; %bb.461:
	ds_write2_b64 v255, v[9:10], v[11:12] offset1:1
	ds_write2_b64 v253, v[5:6], v[7:8] offset0:104 offset1:105
	ds_write2_b64 v253, v[1:2], v[3:4] offset0:106 offset1:107
	ds_read2_b64 v[209:212], v255 offset1:1
	s_waitcnt lgkmcnt(0)
	v_cmp_neq_f64_e32 vcc_lo, 0, v[209:210]
	v_cmp_neq_f64_e64 s1, 0, v[211:212]
	s_or_b32 s1, vcc_lo, s1
	s_and_b32 exec_lo, exec_lo, s1
	s_cbranch_execz .LBB107_467
; %bb.462:
	v_cmp_ngt_f64_e64 s1, |v[209:210]|, |v[211:212]|
                                        ; implicit-def: $vgpr213_vgpr214
	s_and_saveexec_b32 s3, s1
	s_xor_b32 s1, exec_lo, s3
                                        ; implicit-def: $vgpr215_vgpr216
	s_cbranch_execz .LBB107_464
; %bb.463:
	v_div_scale_f64 v[213:214], null, v[211:212], v[211:212], v[209:210]
	v_div_scale_f64 v[243:244], vcc_lo, v[209:210], v[211:212], v[209:210]
	v_rcp_f64_e32 v[215:216], v[213:214]
	v_fma_f64 v[241:242], -v[213:214], v[215:216], 1.0
	v_fma_f64 v[215:216], v[215:216], v[241:242], v[215:216]
	v_fma_f64 v[241:242], -v[213:214], v[215:216], 1.0
	v_fma_f64 v[215:216], v[215:216], v[241:242], v[215:216]
	v_mul_f64 v[241:242], v[243:244], v[215:216]
	v_fma_f64 v[213:214], -v[213:214], v[241:242], v[243:244]
	v_div_fmas_f64 v[213:214], v[213:214], v[215:216], v[241:242]
	v_div_fixup_f64 v[213:214], v[213:214], v[211:212], v[209:210]
	v_fma_f64 v[209:210], v[209:210], v[213:214], v[211:212]
	v_div_scale_f64 v[211:212], null, v[209:210], v[209:210], 1.0
	v_rcp_f64_e32 v[215:216], v[211:212]
	v_fma_f64 v[241:242], -v[211:212], v[215:216], 1.0
	v_fma_f64 v[215:216], v[215:216], v[241:242], v[215:216]
	v_fma_f64 v[241:242], -v[211:212], v[215:216], 1.0
	v_fma_f64 v[215:216], v[215:216], v[241:242], v[215:216]
	v_div_scale_f64 v[241:242], vcc_lo, 1.0, v[209:210], 1.0
	v_mul_f64 v[243:244], v[241:242], v[215:216]
	v_fma_f64 v[211:212], -v[211:212], v[243:244], v[241:242]
	v_div_fmas_f64 v[211:212], v[211:212], v[215:216], v[243:244]
	v_div_fixup_f64 v[215:216], v[211:212], v[209:210], 1.0
                                        ; implicit-def: $vgpr209_vgpr210
	v_mul_f64 v[213:214], v[213:214], v[215:216]
	v_xor_b32_e32 v216, 0x80000000, v216
.LBB107_464:
	s_andn2_saveexec_b32 s1, s1
	s_cbranch_execz .LBB107_466
; %bb.465:
	v_div_scale_f64 v[213:214], null, v[209:210], v[209:210], v[211:212]
	v_div_scale_f64 v[243:244], vcc_lo, v[211:212], v[209:210], v[211:212]
	v_rcp_f64_e32 v[215:216], v[213:214]
	v_fma_f64 v[241:242], -v[213:214], v[215:216], 1.0
	v_fma_f64 v[215:216], v[215:216], v[241:242], v[215:216]
	v_fma_f64 v[241:242], -v[213:214], v[215:216], 1.0
	v_fma_f64 v[215:216], v[215:216], v[241:242], v[215:216]
	v_mul_f64 v[241:242], v[243:244], v[215:216]
	v_fma_f64 v[213:214], -v[213:214], v[241:242], v[243:244]
	v_div_fmas_f64 v[213:214], v[213:214], v[215:216], v[241:242]
	v_div_fixup_f64 v[215:216], v[213:214], v[209:210], v[211:212]
	v_fma_f64 v[209:210], v[211:212], v[215:216], v[209:210]
	v_div_scale_f64 v[211:212], null, v[209:210], v[209:210], 1.0
	v_rcp_f64_e32 v[213:214], v[211:212]
	v_fma_f64 v[241:242], -v[211:212], v[213:214], 1.0
	v_fma_f64 v[213:214], v[213:214], v[241:242], v[213:214]
	v_fma_f64 v[241:242], -v[211:212], v[213:214], 1.0
	v_fma_f64 v[213:214], v[213:214], v[241:242], v[213:214]
	v_div_scale_f64 v[241:242], vcc_lo, 1.0, v[209:210], 1.0
	v_mul_f64 v[243:244], v[241:242], v[213:214]
	v_fma_f64 v[211:212], -v[211:212], v[243:244], v[241:242]
	v_div_fmas_f64 v[211:212], v[211:212], v[213:214], v[243:244]
	v_div_fixup_f64 v[213:214], v[211:212], v[209:210], 1.0
	v_mul_f64 v[215:216], v[215:216], -v[213:214]
.LBB107_466:
	s_or_b32 exec_lo, exec_lo, s1
	ds_write2_b64 v255, v[213:214], v[215:216] offset1:1
.LBB107_467:
	s_or_b32 exec_lo, exec_lo, s2
	s_waitcnt lgkmcnt(0)
	s_barrier
	buffer_gl0_inv
	ds_read2_b64 v[241:244], v255 offset1:1
	s_mov_b32 s1, exec_lo
	v_cmpx_lt_u32_e32 51, v0
	s_cbranch_execz .LBB107_469
; %bb.468:
	s_waitcnt lgkmcnt(0)
	v_mul_f64 v[209:210], v[241:242], v[11:12]
	v_mul_f64 v[11:12], v[243:244], v[11:12]
	v_fma_f64 v[213:214], v[243:244], v[9:10], v[209:210]
	ds_read2_b64 v[209:212], v253 offset0:104 offset1:105
	v_fma_f64 v[9:10], v[241:242], v[9:10], -v[11:12]
	s_waitcnt lgkmcnt(0)
	v_mul_f64 v[11:12], v[211:212], v[213:214]
	v_fma_f64 v[11:12], v[209:210], v[9:10], -v[11:12]
	v_mul_f64 v[209:210], v[209:210], v[213:214]
	v_add_f64 v[5:6], v[5:6], -v[11:12]
	v_fma_f64 v[209:210], v[211:212], v[9:10], v[209:210]
	v_add_f64 v[7:8], v[7:8], -v[209:210]
	ds_read2_b64 v[209:212], v253 offset0:106 offset1:107
	s_waitcnt lgkmcnt(0)
	v_mul_f64 v[11:12], v[211:212], v[213:214]
	v_fma_f64 v[11:12], v[209:210], v[9:10], -v[11:12]
	v_mul_f64 v[209:210], v[209:210], v[213:214]
	v_add_f64 v[1:2], v[1:2], -v[11:12]
	v_fma_f64 v[209:210], v[211:212], v[9:10], v[209:210]
	v_mov_b32_e32 v11, v213
	v_mov_b32_e32 v12, v214
	v_add_f64 v[3:4], v[3:4], -v[209:210]
.LBB107_469:
	s_or_b32 exec_lo, exec_lo, s1
	s_mov_b32 s2, exec_lo
	s_waitcnt lgkmcnt(0)
	s_barrier
	buffer_gl0_inv
	v_cmpx_eq_u32_e32 52, v0
	s_cbranch_execz .LBB107_476
; %bb.470:
	ds_write2_b64 v255, v[5:6], v[7:8] offset1:1
	ds_write2_b64 v253, v[1:2], v[3:4] offset0:106 offset1:107
	ds_read2_b64 v[209:212], v255 offset1:1
	s_waitcnt lgkmcnt(0)
	v_cmp_neq_f64_e32 vcc_lo, 0, v[209:210]
	v_cmp_neq_f64_e64 s1, 0, v[211:212]
	s_or_b32 s1, vcc_lo, s1
	s_and_b32 exec_lo, exec_lo, s1
	s_cbranch_execz .LBB107_476
; %bb.471:
	v_cmp_ngt_f64_e64 s1, |v[209:210]|, |v[211:212]|
                                        ; implicit-def: $vgpr213_vgpr214
	s_and_saveexec_b32 s3, s1
	s_xor_b32 s1, exec_lo, s3
                                        ; implicit-def: $vgpr215_vgpr216
	s_cbranch_execz .LBB107_473
; %bb.472:
	v_div_scale_f64 v[213:214], null, v[211:212], v[211:212], v[209:210]
	v_mov_b32_e32 v205, v247
	v_mov_b32_e32 v206, v248
	v_div_scale_f64 v[247:248], vcc_lo, v[209:210], v[211:212], v[209:210]
	v_rcp_f64_e32 v[215:216], v[213:214]
	v_fma_f64 v[245:246], -v[213:214], v[215:216], 1.0
	v_fma_f64 v[215:216], v[215:216], v[245:246], v[215:216]
	v_fma_f64 v[245:246], -v[213:214], v[215:216], 1.0
	v_fma_f64 v[215:216], v[215:216], v[245:246], v[215:216]
	v_mul_f64 v[245:246], v[247:248], v[215:216]
	v_fma_f64 v[213:214], -v[213:214], v[245:246], v[247:248]
	v_div_fmas_f64 v[213:214], v[213:214], v[215:216], v[245:246]
	v_div_fixup_f64 v[213:214], v[213:214], v[211:212], v[209:210]
	v_fma_f64 v[209:210], v[209:210], v[213:214], v[211:212]
	v_div_scale_f64 v[211:212], null, v[209:210], v[209:210], 1.0
	v_rcp_f64_e32 v[215:216], v[211:212]
	v_fma_f64 v[245:246], -v[211:212], v[215:216], 1.0
	v_fma_f64 v[215:216], v[215:216], v[245:246], v[215:216]
	v_fma_f64 v[245:246], -v[211:212], v[215:216], 1.0
	v_fma_f64 v[215:216], v[215:216], v[245:246], v[215:216]
	v_div_scale_f64 v[245:246], vcc_lo, 1.0, v[209:210], 1.0
	v_mul_f64 v[247:248], v[245:246], v[215:216]
	v_fma_f64 v[211:212], -v[211:212], v[247:248], v[245:246]
	v_div_fmas_f64 v[211:212], v[211:212], v[215:216], v[247:248]
	v_mov_b32_e32 v248, v206
	v_mov_b32_e32 v247, v205
	v_div_fixup_f64 v[215:216], v[211:212], v[209:210], 1.0
                                        ; implicit-def: $vgpr209_vgpr210
	v_mul_f64 v[213:214], v[213:214], v[215:216]
	v_xor_b32_e32 v216, 0x80000000, v216
.LBB107_473:
	s_andn2_saveexec_b32 s1, s1
	s_cbranch_execz .LBB107_475
; %bb.474:
	v_div_scale_f64 v[213:214], null, v[209:210], v[209:210], v[211:212]
	v_mov_b32_e32 v205, v247
	v_mov_b32_e32 v206, v248
	v_div_scale_f64 v[247:248], vcc_lo, v[211:212], v[209:210], v[211:212]
	v_rcp_f64_e32 v[215:216], v[213:214]
	v_fma_f64 v[245:246], -v[213:214], v[215:216], 1.0
	v_fma_f64 v[215:216], v[215:216], v[245:246], v[215:216]
	v_fma_f64 v[245:246], -v[213:214], v[215:216], 1.0
	v_fma_f64 v[215:216], v[215:216], v[245:246], v[215:216]
	v_mul_f64 v[245:246], v[247:248], v[215:216]
	v_fma_f64 v[213:214], -v[213:214], v[245:246], v[247:248]
	v_div_fmas_f64 v[213:214], v[213:214], v[215:216], v[245:246]
	v_div_fixup_f64 v[215:216], v[213:214], v[209:210], v[211:212]
	v_fma_f64 v[209:210], v[211:212], v[215:216], v[209:210]
	v_div_scale_f64 v[211:212], null, v[209:210], v[209:210], 1.0
	v_rcp_f64_e32 v[213:214], v[211:212]
	v_fma_f64 v[245:246], -v[211:212], v[213:214], 1.0
	v_fma_f64 v[213:214], v[213:214], v[245:246], v[213:214]
	v_fma_f64 v[245:246], -v[211:212], v[213:214], 1.0
	v_fma_f64 v[213:214], v[213:214], v[245:246], v[213:214]
	v_div_scale_f64 v[245:246], vcc_lo, 1.0, v[209:210], 1.0
	v_mul_f64 v[247:248], v[245:246], v[213:214]
	v_fma_f64 v[211:212], -v[211:212], v[247:248], v[245:246]
	v_div_fmas_f64 v[211:212], v[211:212], v[213:214], v[247:248]
	v_mov_b32_e32 v248, v206
	v_mov_b32_e32 v247, v205
	v_div_fixup_f64 v[213:214], v[211:212], v[209:210], 1.0
	v_mul_f64 v[215:216], v[215:216], -v[213:214]
.LBB107_475:
	s_or_b32 exec_lo, exec_lo, s1
	ds_write2_b64 v255, v[213:214], v[215:216] offset1:1
.LBB107_476:
	s_or_b32 exec_lo, exec_lo, s2
	s_waitcnt lgkmcnt(0)
	s_barrier
	buffer_gl0_inv
	ds_read2_b64 v[213:216], v255 offset1:1
	s_mov_b32 s1, exec_lo
	v_cmpx_lt_u32_e32 52, v0
	s_cbranch_execz .LBB107_478
; %bb.477:
	s_waitcnt lgkmcnt(0)
	v_mul_f64 v[209:210], v[213:214], v[7:8]
	v_mul_f64 v[7:8], v[215:216], v[7:8]
	v_fma_f64 v[245:246], v[215:216], v[5:6], v[209:210]
	ds_read2_b64 v[209:212], v253 offset0:106 offset1:107
	v_fma_f64 v[5:6], v[213:214], v[5:6], -v[7:8]
	s_waitcnt lgkmcnt(0)
	v_mul_f64 v[7:8], v[211:212], v[245:246]
	v_fma_f64 v[7:8], v[209:210], v[5:6], -v[7:8]
	v_mul_f64 v[209:210], v[209:210], v[245:246]
	v_add_f64 v[1:2], v[1:2], -v[7:8]
	v_fma_f64 v[209:210], v[211:212], v[5:6], v[209:210]
	v_mov_b32_e32 v7, v245
	v_mov_b32_e32 v8, v246
	v_add_f64 v[3:4], v[3:4], -v[209:210]
.LBB107_478:
	s_or_b32 exec_lo, exec_lo, s1
	s_mov_b32 s2, exec_lo
	s_waitcnt lgkmcnt(0)
	s_barrier
	buffer_gl0_inv
	v_cmpx_eq_u32_e32 53, v0
	s_cbranch_execz .LBB107_485
; %bb.479:
	v_cmp_neq_f64_e32 vcc_lo, 0, v[1:2]
	v_cmp_neq_f64_e64 s1, 0, v[3:4]
	ds_write2_b64 v255, v[1:2], v[3:4] offset1:1
	s_or_b32 s1, vcc_lo, s1
	s_and_b32 exec_lo, exec_lo, s1
	s_cbranch_execz .LBB107_485
; %bb.480:
	v_cmp_ngt_f64_e64 s1, |v[1:2]|, |v[3:4]|
                                        ; implicit-def: $vgpr209_vgpr210
	s_and_saveexec_b32 s3, s1
	s_xor_b32 s1, exec_lo, s3
                                        ; implicit-def: $vgpr211_vgpr212
	s_cbranch_execz .LBB107_482
; %bb.481:
	v_div_scale_f64 v[209:210], null, v[3:4], v[3:4], v[1:2]
	v_mov_b32_e32 v197, v203
	v_mov_b32_e32 v198, v204
	;; [unrolled: 1-line block ×6, first 2 shown]
	v_div_scale_f64 v[247:248], vcc_lo, v[1:2], v[3:4], v[1:2]
	v_mov_b32_e32 v252, v250
	v_mov_b32_e32 v251, v249
	;; [unrolled: 1-line block ×12, first 2 shown]
	v_rcp_f64_e32 v[211:212], v[209:210]
	v_mov_b32_e32 v196, v194
	v_mov_b32_e32 v195, v193
	v_mov_b32_e32 v193, v199
	v_mov_b32_e32 v194, v200
	v_mov_b32_e32 v199, v207
	v_mov_b32_e32 v200, v208
	v_fma_f64 v[245:246], -v[209:210], v[211:212], 1.0
	v_fma_f64 v[211:212], v[211:212], v[245:246], v[211:212]
	v_fma_f64 v[245:246], -v[209:210], v[211:212], 1.0
	v_fma_f64 v[211:212], v[211:212], v[245:246], v[211:212]
	v_mul_f64 v[245:246], v[247:248], v[211:212]
	v_fma_f64 v[209:210], -v[209:210], v[245:246], v[247:248]
	v_div_fmas_f64 v[209:210], v[209:210], v[211:212], v[245:246]
	v_div_fixup_f64 v[209:210], v[209:210], v[3:4], v[1:2]
	v_fma_f64 v[211:212], v[1:2], v[209:210], v[3:4]
	v_div_scale_f64 v[245:246], null, v[211:212], v[211:212], 1.0
	v_rcp_f64_e32 v[247:248], v[245:246]
	v_fma_f64 v[253:254], -v[245:246], v[247:248], 1.0
	v_fma_f64 v[247:248], v[247:248], v[253:254], v[247:248]
	v_fma_f64 v[253:254], -v[245:246], v[247:248], 1.0
	v_fma_f64 v[247:248], v[247:248], v[253:254], v[247:248]
	v_div_scale_f64 v[253:254], vcc_lo, 1.0, v[211:212], 1.0
	v_mul_f64 v[205:206], v[253:254], v[247:248]
	v_fma_f64 v[207:208], -v[245:246], v[205:206], v[253:254]
	v_div_fmas_f64 v[205:206], v[207:208], v[247:248], v[205:206]
	v_mov_b32_e32 v208, v200
	v_mov_b32_e32 v207, v199
	;; [unrolled: 1-line block ×21, first 2 shown]
	v_div_fixup_f64 v[211:212], v[205:206], v[211:212], 1.0
	v_mov_b32_e32 v204, v198
	v_mov_b32_e32 v250, v252
	;; [unrolled: 1-line block ×3, first 2 shown]
	v_mul_f64 v[209:210], v[209:210], v[211:212]
	v_xor_b32_e32 v212, 0x80000000, v212
.LBB107_482:
	s_andn2_saveexec_b32 s1, s1
	s_cbranch_execz .LBB107_484
; %bb.483:
	v_div_scale_f64 v[205:206], null, v[1:2], v[1:2], v[3:4]
	v_mov_b32_e32 v254, v208
	v_mov_b32_e32 v253, v207
	v_div_scale_f64 v[211:212], vcc_lo, v[3:4], v[1:2], v[3:4]
	v_mov_b32_e32 v197, v203
	v_mov_b32_e32 v198, v204
	;; [unrolled: 1-line block ×6, first 2 shown]
	v_rcp_f64_e32 v[207:208], v[205:206]
	v_fma_f64 v[209:210], -v[205:206], v[207:208], 1.0
	v_fma_f64 v[207:208], v[207:208], v[209:210], v[207:208]
	v_fma_f64 v[209:210], -v[205:206], v[207:208], 1.0
	v_fma_f64 v[207:208], v[207:208], v[209:210], v[207:208]
	v_mul_f64 v[209:210], v[211:212], v[207:208]
	v_fma_f64 v[205:206], -v[205:206], v[209:210], v[211:212]
	v_div_fmas_f64 v[205:206], v[205:206], v[207:208], v[209:210]
	v_div_fixup_f64 v[205:206], v[205:206], v[1:2], v[3:4]
	v_fma_f64 v[207:208], v[3:4], v[205:206], v[1:2]
	v_div_scale_f64 v[209:210], null, v[207:208], v[207:208], 1.0
	v_rcp_f64_e32 v[211:212], v[209:210]
	v_fma_f64 v[245:246], -v[209:210], v[211:212], 1.0
	v_fma_f64 v[211:212], v[211:212], v[245:246], v[211:212]
	v_fma_f64 v[245:246], -v[209:210], v[211:212], 1.0
	v_fma_f64 v[211:212], v[211:212], v[245:246], v[211:212]
	v_div_scale_f64 v[245:246], vcc_lo, 1.0, v[207:208], 1.0
	v_mul_f64 v[247:248], v[245:246], v[211:212]
	v_fma_f64 v[209:210], -v[209:210], v[247:248], v[245:246]
	v_div_fmas_f64 v[209:210], v[209:210], v[211:212], v[247:248]
	v_mov_b32_e32 v248, v202
	v_mov_b32_e32 v247, v201
	;; [unrolled: 1-line block ×6, first 2 shown]
	v_div_fixup_f64 v[209:210], v[209:210], v[207:208], 1.0
	v_mov_b32_e32 v207, v253
	v_mov_b32_e32 v208, v254
	v_mul_f64 v[211:212], v[205:206], -v[209:210]
.LBB107_484:
	s_or_b32 exec_lo, exec_lo, s1
	ds_write2_b64 v255, v[209:210], v[211:212] offset1:1
.LBB107_485:
	s_or_b32 exec_lo, exec_lo, s2
	s_waitcnt lgkmcnt(0)
	s_barrier
	buffer_gl0_inv
	ds_read2_b64 v[209:212], v255 offset1:1
	s_mov_b32 s1, exec_lo
	v_cmpx_lt_u32_e32 53, v0
	s_cbranch_execz .LBB107_487
; %bb.486:
	s_waitcnt lgkmcnt(0)
	v_mul_f64 v[205:206], v[211:212], v[3:4]
	v_mul_f64 v[3:4], v[209:210], v[3:4]
	v_fma_f64 v[205:206], v[209:210], v[1:2], -v[205:206]
	v_fma_f64 v[3:4], v[211:212], v[1:2], v[3:4]
	v_mov_b32_e32 v1, v205
	v_mov_b32_e32 v2, v206
.LBB107_487:
	s_or_b32 exec_lo, exec_lo, s1
	s_waitcnt lgkmcnt(0)
	s_barrier
	buffer_gl0_inv
	s_and_saveexec_b32 s7, s0
	s_cbranch_execz .LBB107_490
; %bb.488:
	s_clause 0x3
	buffer_load_dword v251, off, s[16:19], 0 offset:472
	buffer_load_dword v252, off, s[16:19], 0 offset:476
	;; [unrolled: 1-line block ×4, first 2 shown]
	v_lshlrev_b64 v[205:206], 2, v[193:194]
	s_waitcnt vmcnt(2)
	v_cmp_eq_f64_e32 vcc_lo, 0, v[251:252]
	s_waitcnt vmcnt(0)
	v_cmp_eq_f64_e64 s0, 0, v[253:254]
	s_clause 0x3
	buffer_load_dword v251, off, s[16:19], 0 offset:496
	buffer_load_dword v252, off, s[16:19], 0 offset:500
	;; [unrolled: 1-line block ×4, first 2 shown]
	s_and_b32 s0, vcc_lo, s0
	v_cndmask_b32_e64 v0, 0, 1, s0
	s_waitcnt vmcnt(2)
	v_cmp_neq_f64_e64 s1, 0, v[251:252]
	s_waitcnt vmcnt(0)
	v_cmp_neq_f64_e64 s2, 0, v[253:254]
	s_clause 0x3
	buffer_load_dword v251, off, s[16:19], 0 offset:512
	buffer_load_dword v252, off, s[16:19], 0 offset:516
	;; [unrolled: 1-line block ×4, first 2 shown]
	s_or_b32 s1, s1, s2
	s_or_b32 s0, s1, s0
	v_cndmask_b32_e64 v0, 2, v0, s0
	v_cmp_eq_u32_e64 s0, 0, v0
	s_waitcnt vmcnt(2)
	v_cmp_eq_f64_e64 s3, 0, v[251:252]
	s_waitcnt vmcnt(0)
	v_cmp_eq_f64_e64 s4, 0, v[253:254]
	s_clause 0x3
	buffer_load_dword v251, off, s[16:19], 0 offset:528
	buffer_load_dword v252, off, s[16:19], 0 offset:532
	;; [unrolled: 1-line block ×4, first 2 shown]
	s_and_b32 s3, s3, s4
	s_and_b32 s0, s3, s0
	v_cndmask_b32_e64 v0, v0, 3, s0
	v_cmp_eq_u32_e64 s0, 0, v0
	s_waitcnt vmcnt(2)
	v_cmp_eq_f64_e64 s5, 0, v[251:252]
	s_waitcnt vmcnt(0)
	v_cmp_eq_f64_e32 vcc_lo, 0, v[253:254]
	s_clause 0x3
	buffer_load_dword v251, off, s[16:19], 0 offset:544
	buffer_load_dword v252, off, s[16:19], 0 offset:548
	buffer_load_dword v253, off, s[16:19], 0 offset:552
	buffer_load_dword v254, off, s[16:19], 0 offset:556
	s_and_b32 s5, s5, vcc_lo
	s_and_b32 s0, s5, s0
	v_cndmask_b32_e64 v0, v0, 4, s0
	v_cmp_eq_u32_e32 vcc_lo, 0, v0
	s_waitcnt vmcnt(2)
	v_cmp_eq_f64_e64 s1, 0, v[251:252]
	s_waitcnt vmcnt(0)
	v_cmp_eq_f64_e64 s2, 0, v[253:254]
	s_clause 0x3
	buffer_load_dword v251, off, s[16:19], 0 offset:560
	buffer_load_dword v252, off, s[16:19], 0 offset:564
	buffer_load_dword v253, off, s[16:19], 0 offset:568
	buffer_load_dword v254, off, s[16:19], 0 offset:572
	s_and_b32 s1, s1, s2
	s_and_b32 s1, s1, vcc_lo
	v_cndmask_b32_e64 v0, v0, 5, s1
	v_cmp_eq_u32_e32 vcc_lo, 0, v0
	s_waitcnt vmcnt(2)
	v_cmp_eq_f64_e64 s3, 0, v[251:252]
	s_waitcnt vmcnt(0)
	v_cmp_eq_f64_e64 s4, 0, v[253:254]
	s_clause 0x3
	buffer_load_dword v251, off, s[16:19], 0 offset:576
	buffer_load_dword v252, off, s[16:19], 0 offset:580
	buffer_load_dword v253, off, s[16:19], 0 offset:584
	buffer_load_dword v254, off, s[16:19], 0 offset:588
	s_and_b32 s3, s3, s4
	s_and_b32 s3, s3, vcc_lo
	v_cndmask_b32_e64 v0, v0, 6, s3
	v_cmp_eq_u32_e32 vcc_lo, 0, v0
	s_waitcnt vmcnt(2)
	v_cmp_eq_f64_e64 s0, 0, v[251:252]
	s_waitcnt vmcnt(0)
	v_cmp_eq_f64_e64 s5, 0, v[253:254]
	s_clause 0x3
	buffer_load_dword v251, off, s[16:19], 0 offset:592
	buffer_load_dword v252, off, s[16:19], 0 offset:596
	buffer_load_dword v253, off, s[16:19], 0 offset:600
	buffer_load_dword v254, off, s[16:19], 0 offset:604
	s_and_b32 s0, s0, s5
	s_and_b32 s0, s0, vcc_lo
	v_cndmask_b32_e64 v0, v0, 7, s0
	v_cmp_eq_u32_e32 vcc_lo, 0, v0
	s_waitcnt vmcnt(2)
	v_cmp_eq_f64_e64 s1, 0, v[251:252]
	s_waitcnt vmcnt(0)
	v_cmp_eq_f64_e64 s2, 0, v[253:254]
	s_clause 0x3
	buffer_load_dword v251, off, s[16:19], 0 offset:608
	buffer_load_dword v252, off, s[16:19], 0 offset:612
	buffer_load_dword v253, off, s[16:19], 0 offset:616
	buffer_load_dword v254, off, s[16:19], 0 offset:620
	s_and_b32 s1, s1, s2
	s_and_b32 s1, s1, vcc_lo
	v_cndmask_b32_e64 v0, v0, 8, s1
	v_cmp_eq_u32_e32 vcc_lo, 0, v0
	s_waitcnt vmcnt(2)
	v_cmp_eq_f64_e64 s3, 0, v[251:252]
	s_waitcnt vmcnt(0)
	v_cmp_eq_f64_e64 s4, 0, v[253:254]
	s_clause 0x3
	buffer_load_dword v251, off, s[16:19], 0 offset:624
	buffer_load_dword v252, off, s[16:19], 0 offset:628
	buffer_load_dword v253, off, s[16:19], 0 offset:632
	buffer_load_dword v254, off, s[16:19], 0 offset:636
	s_and_b32 s3, s3, s4
	s_and_b32 s3, s3, vcc_lo
	v_cndmask_b32_e64 v0, v0, 9, s3
	v_cmp_eq_u32_e32 vcc_lo, 0, v0
	s_waitcnt vmcnt(2)
	v_cmp_eq_f64_e64 s0, 0, v[251:252]
	s_waitcnt vmcnt(0)
	v_cmp_eq_f64_e64 s5, 0, v[253:254]
	s_clause 0x3
	buffer_load_dword v251, off, s[16:19], 0 offset:640
	buffer_load_dword v252, off, s[16:19], 0 offset:644
	buffer_load_dword v253, off, s[16:19], 0 offset:648
	buffer_load_dword v254, off, s[16:19], 0 offset:652
	s_and_b32 s0, s0, s5
	s_and_b32 s0, s0, vcc_lo
	v_cndmask_b32_e64 v0, v0, 10, s0
	v_cmp_eq_u32_e32 vcc_lo, 0, v0
	s_waitcnt vmcnt(2)
	v_cmp_eq_f64_e64 s1, 0, v[251:252]
	s_waitcnt vmcnt(0)
	v_cmp_eq_f64_e64 s2, 0, v[253:254]
	s_clause 0x3
	buffer_load_dword v251, off, s[16:19], 0 offset:656
	buffer_load_dword v252, off, s[16:19], 0 offset:660
	buffer_load_dword v253, off, s[16:19], 0 offset:664
	buffer_load_dword v254, off, s[16:19], 0 offset:668
	s_and_b32 s1, s1, s2
	s_and_b32 s1, s1, vcc_lo
	v_cndmask_b32_e64 v0, v0, 11, s1
	v_cmp_eq_u32_e32 vcc_lo, 0, v0
	s_waitcnt vmcnt(2)
	v_cmp_eq_f64_e64 s3, 0, v[251:252]
	s_waitcnt vmcnt(0)
	v_cmp_eq_f64_e64 s4, 0, v[253:254]
	s_clause 0x3
	buffer_load_dword v251, off, s[16:19], 0 offset:672
	buffer_load_dword v252, off, s[16:19], 0 offset:676
	buffer_load_dword v253, off, s[16:19], 0 offset:680
	buffer_load_dword v254, off, s[16:19], 0 offset:684
	s_and_b32 s3, s3, s4
	s_and_b32 s3, s3, vcc_lo
	v_cndmask_b32_e64 v0, v0, 12, s3
	v_cmp_eq_u32_e32 vcc_lo, 0, v0
	s_waitcnt vmcnt(2)
	v_cmp_eq_f64_e64 s0, 0, v[251:252]
	s_waitcnt vmcnt(0)
	v_cmp_eq_f64_e64 s5, 0, v[253:254]
	s_clause 0x3
	buffer_load_dword v251, off, s[16:19], 0 offset:688
	buffer_load_dword v252, off, s[16:19], 0 offset:692
	buffer_load_dword v253, off, s[16:19], 0 offset:696
	buffer_load_dword v254, off, s[16:19], 0 offset:700
	s_and_b32 s0, s0, s5
	s_and_b32 s0, s0, vcc_lo
	v_cndmask_b32_e64 v0, v0, 13, s0
	v_cmp_eq_u32_e32 vcc_lo, 0, v0
	s_waitcnt vmcnt(2)
	v_cmp_eq_f64_e64 s1, 0, v[251:252]
	s_waitcnt vmcnt(0)
	v_cmp_eq_f64_e64 s2, 0, v[253:254]
	s_clause 0x3
	buffer_load_dword v251, off, s[16:19], 0 offset:704
	buffer_load_dword v252, off, s[16:19], 0 offset:708
	buffer_load_dword v253, off, s[16:19], 0 offset:712
	buffer_load_dword v254, off, s[16:19], 0 offset:716
	s_and_b32 s1, s1, s2
	s_and_b32 s1, s1, vcc_lo
	v_cndmask_b32_e64 v0, v0, 14, s1
	v_cmp_eq_u32_e32 vcc_lo, 0, v0
	s_waitcnt vmcnt(2)
	v_cmp_eq_f64_e64 s3, 0, v[251:252]
	s_waitcnt vmcnt(0)
	v_cmp_eq_f64_e64 s4, 0, v[253:254]
	s_clause 0x3
	buffer_load_dword v251, off, s[16:19], 0 offset:720
	buffer_load_dword v252, off, s[16:19], 0 offset:724
	buffer_load_dword v253, off, s[16:19], 0 offset:728
	buffer_load_dword v254, off, s[16:19], 0 offset:732
	s_and_b32 s3, s3, s4
	s_and_b32 s3, s3, vcc_lo
	v_cndmask_b32_e64 v0, v0, 15, s3
	v_cmp_eq_u32_e32 vcc_lo, 0, v0
	s_waitcnt vmcnt(2)
	v_cmp_eq_f64_e64 s0, 0, v[251:252]
	s_waitcnt vmcnt(0)
	v_cmp_eq_f64_e64 s5, 0, v[253:254]
	s_clause 0x3
	buffer_load_dword v251, off, s[16:19], 0 offset:736
	buffer_load_dword v252, off, s[16:19], 0 offset:740
	buffer_load_dword v253, off, s[16:19], 0 offset:744
	buffer_load_dword v254, off, s[16:19], 0 offset:748
	s_and_b32 s0, s0, s5
	s_and_b32 s0, s0, vcc_lo
	v_cndmask_b32_e64 v0, v0, 16, s0
	v_cmp_eq_u32_e32 vcc_lo, 0, v0
	s_waitcnt vmcnt(2)
	v_cmp_eq_f64_e64 s1, 0, v[251:252]
	s_waitcnt vmcnt(0)
	v_cmp_eq_f64_e64 s2, 0, v[253:254]
	s_clause 0x3
	buffer_load_dword v251, off, s[16:19], 0 offset:752
	buffer_load_dword v252, off, s[16:19], 0 offset:756
	buffer_load_dword v253, off, s[16:19], 0 offset:760
	buffer_load_dword v254, off, s[16:19], 0 offset:764
	s_and_b32 s1, s1, s2
	s_and_b32 s1, s1, vcc_lo
	v_cndmask_b32_e64 v0, v0, 17, s1
	v_cmp_eq_u32_e32 vcc_lo, 0, v0
	s_waitcnt vmcnt(2)
	v_cmp_eq_f64_e64 s3, 0, v[251:252]
	s_waitcnt vmcnt(0)
	v_cmp_eq_f64_e64 s4, 0, v[253:254]
	s_clause 0x3
	buffer_load_dword v251, off, s[16:19], 0 offset:768
	buffer_load_dword v252, off, s[16:19], 0 offset:772
	buffer_load_dword v253, off, s[16:19], 0 offset:776
	buffer_load_dword v254, off, s[16:19], 0 offset:780
	s_and_b32 s3, s3, s4
	s_and_b32 s3, s3, vcc_lo
	v_cndmask_b32_e64 v0, v0, 18, s3
	v_cmp_eq_u32_e32 vcc_lo, 0, v0
	s_waitcnt vmcnt(2)
	v_cmp_eq_f64_e64 s0, 0, v[251:252]
	s_waitcnt vmcnt(0)
	v_cmp_eq_f64_e64 s5, 0, v[253:254]
	s_clause 0x3
	buffer_load_dword v251, off, s[16:19], 0 offset:784
	buffer_load_dword v252, off, s[16:19], 0 offset:788
	buffer_load_dword v253, off, s[16:19], 0 offset:792
	buffer_load_dword v254, off, s[16:19], 0 offset:796
	s_and_b32 s0, s0, s5
	s_and_b32 s0, s0, vcc_lo
	v_cndmask_b32_e64 v0, v0, 19, s0
	v_cmp_eq_u32_e32 vcc_lo, 0, v0
	s_waitcnt vmcnt(2)
	v_cmp_eq_f64_e64 s1, 0, v[251:252]
	s_waitcnt vmcnt(0)
	v_cmp_eq_f64_e64 s2, 0, v[253:254]
	s_clause 0x3
	buffer_load_dword v251, off, s[16:19], 0 offset:800
	buffer_load_dword v252, off, s[16:19], 0 offset:804
	buffer_load_dword v253, off, s[16:19], 0 offset:808
	buffer_load_dword v254, off, s[16:19], 0 offset:812
	s_and_b32 s1, s1, s2
	s_and_b32 s1, s1, vcc_lo
	v_cndmask_b32_e64 v0, v0, 20, s1
	v_cmp_eq_u32_e32 vcc_lo, 0, v0
	s_waitcnt vmcnt(2)
	v_cmp_eq_f64_e64 s3, 0, v[251:252]
	s_waitcnt vmcnt(0)
	v_cmp_eq_f64_e64 s4, 0, v[253:254]
	s_clause 0x3
	buffer_load_dword v251, off, s[16:19], 0 offset:816
	buffer_load_dword v252, off, s[16:19], 0 offset:820
	buffer_load_dword v253, off, s[16:19], 0 offset:824
	buffer_load_dword v254, off, s[16:19], 0 offset:828
	s_and_b32 s3, s3, s4
	s_and_b32 s3, s3, vcc_lo
	v_cndmask_b32_e64 v0, v0, 21, s3
	v_cmp_eq_u32_e32 vcc_lo, 0, v0
	s_waitcnt vmcnt(2)
	v_cmp_eq_f64_e64 s0, 0, v[251:252]
	s_waitcnt vmcnt(0)
	v_cmp_eq_f64_e64 s5, 0, v[253:254]
	s_clause 0x3
	buffer_load_dword v251, off, s[16:19], 0 offset:832
	buffer_load_dword v252, off, s[16:19], 0 offset:836
	buffer_load_dword v253, off, s[16:19], 0 offset:840
	buffer_load_dword v254, off, s[16:19], 0 offset:844
	s_and_b32 s0, s0, s5
	s_and_b32 s0, s0, vcc_lo
	v_cndmask_b32_e64 v0, v0, 22, s0
	v_cmp_eq_u32_e32 vcc_lo, 0, v0
	s_waitcnt vmcnt(2)
	v_cmp_eq_f64_e64 s1, 0, v[251:252]
	s_waitcnt vmcnt(0)
	v_cmp_eq_f64_e64 s2, 0, v[253:254]
	s_clause 0x3
	buffer_load_dword v251, off, s[16:19], 0 offset:848
	buffer_load_dword v252, off, s[16:19], 0 offset:852
	buffer_load_dword v253, off, s[16:19], 0 offset:856
	buffer_load_dword v254, off, s[16:19], 0 offset:860
	s_and_b32 s0, s1, s2
	v_cmp_eq_f64_e64 s1, 0, v[181:182]
	v_cmp_eq_f64_e64 s2, 0, v[183:184]
	s_and_b32 s0, s0, vcc_lo
	v_cndmask_b32_e64 v0, v0, 23, s0
	v_cmp_eq_u32_e32 vcc_lo, 0, v0
	s_and_b32 s1, s1, s2
	s_waitcnt vmcnt(2)
	v_cmp_eq_f64_e64 s3, 0, v[251:252]
	s_waitcnt vmcnt(0)
	v_cmp_eq_f64_e64 s4, 0, v[253:254]
	s_clause 0x7
	buffer_load_dword v251, off, s[16:19], 0 offset:864
	buffer_load_dword v252, off, s[16:19], 0 offset:868
	;; [unrolled: 1-line block ×8, first 2 shown]
	s_and_b32 s0, s3, s4
	s_and_b32 s0, s0, vcc_lo
	v_cndmask_b32_e64 v0, v0, 24, s0
	v_cmp_eq_u32_e64 s3, 0, v0
	s_waitcnt vmcnt(6)
	v_cmp_eq_f64_e64 s5, 0, v[251:252]
	s_waitcnt vmcnt(2)
	v_cmp_eq_f64_e32 vcc_lo, 0, v[181:182]
	v_cmp_eq_f64_e64 s6, 0, v[253:254]
	v_add_co_u32 v253, s4, s10, v205
	v_add_co_ci_u32_e64 v254, null, s11, v206, s4
	s_waitcnt vmcnt(0)
	v_cmp_eq_f64_e64 s0, 0, v[183:184]
	global_load_dword v205, v[253:254], off
	s_clause 0x3
	buffer_load_dword v181, off, s[16:19], 0 offset:904
	buffer_load_dword v182, off, s[16:19], 0 offset:908
	;; [unrolled: 1-line block ×4, first 2 shown]
	s_and_b32 s5, s5, s6
	s_and_b32 s3, s5, s3
	v_cndmask_b32_e64 v0, v0, 25, s3
	s_and_b32 s0, vcc_lo, s0
	v_cmp_eq_u32_e64 s3, 0, v0
	s_and_b32 s1, s1, s3
	v_cndmask_b32_e64 v0, v0, 26, s1
	v_cmp_eq_u32_e64 s1, 0, v0
	s_and_b32 s0, s0, s1
	v_cndmask_b32_e64 v0, v0, 27, s0
	v_cmp_eq_u32_e32 vcc_lo, 0, v0
	s_waitcnt vmcnt(2)
	v_cmp_eq_f64_e64 s4, 0, v[181:182]
	s_waitcnt vmcnt(0)
	v_cmp_eq_f64_e64 s5, 0, v[183:184]
	s_clause 0x3
	buffer_load_dword v181, off, s[16:19], 0 offset:920
	buffer_load_dword v182, off, s[16:19], 0 offset:924
	buffer_load_dword v183, off, s[16:19], 0 offset:928
	buffer_load_dword v184, off, s[16:19], 0 offset:932
	s_and_b32 s4, s4, s5
	s_and_b32 s4, s4, vcc_lo
	v_cndmask_b32_e64 v0, v0, 28, s4
	v_cmp_eq_u32_e32 vcc_lo, 0, v0
	s_waitcnt vmcnt(2)
	v_cmp_eq_f64_e64 s2, 0, v[181:182]
	s_waitcnt vmcnt(0)
	v_cmp_eq_f64_e64 s3, 0, v[183:184]
	s_clause 0x3
	buffer_load_dword v181, off, s[16:19], 0 offset:936
	buffer_load_dword v182, off, s[16:19], 0 offset:940
	buffer_load_dword v183, off, s[16:19], 0 offset:944
	buffer_load_dword v184, off, s[16:19], 0 offset:948
	s_and_b32 s2, s2, s3
	s_and_b32 s2, s2, vcc_lo
	;; [unrolled: 13-line block ×15, first 2 shown]
	v_cndmask_b32_e64 v0, v0, 42, s0
	v_cmp_eq_u32_e32 vcc_lo, 0, v0
	s_waitcnt vmcnt(2)
	v_cmp_eq_f64_e64 s4, 0, v[181:182]
	s_waitcnt vmcnt(0)
	v_cmp_eq_f64_e64 s5, 0, v[183:184]
	s_clause 0x3
	buffer_load_dword v181, off, s[16:19], 0 offset:1160
	buffer_load_dword v182, off, s[16:19], 0 offset:1164
	;; [unrolled: 1-line block ×4, first 2 shown]
	s_and_b32 s4, s4, s5
	v_cmp_eq_f64_e64 s5, 0, v[219:220]
	s_and_b32 s4, s4, vcc_lo
	v_cndmask_b32_e64 v0, v0, 43, s4
	v_cmp_eq_f64_e64 s4, 0, v[217:218]
	v_cmp_eq_u32_e32 vcc_lo, 0, v0
	s_and_b32 s4, s4, s5
	v_cmp_eq_f64_e64 s5, 0, v[231:232]
	s_waitcnt vmcnt(2)
	v_cmp_eq_f64_e64 s2, 0, v[181:182]
	s_waitcnt vmcnt(0)
	v_cmp_eq_f64_e64 s3, 0, v[183:184]
	s_clause 0x3
	buffer_load_dword v181, off, s[16:19], 0 offset:1176
	buffer_load_dword v182, off, s[16:19], 0 offset:1180
	;; [unrolled: 1-line block ×4, first 2 shown]
	s_and_b32 s2, s2, s3
	v_cmp_eq_f64_e64 s3, 0, v[223:224]
	s_and_b32 s2, s2, vcc_lo
	v_cndmask_b32_e64 v0, v0, 44, s2
	v_cmp_eq_f64_e64 s2, 0, v[221:222]
	v_cmp_eq_u32_e32 vcc_lo, 0, v0
	s_and_b32 s2, s2, s3
	v_cmp_eq_f64_e64 s3, 0, v[235:236]
	s_waitcnt vmcnt(2)
	v_cmp_eq_f64_e64 s0, 0, v[181:182]
	s_waitcnt vmcnt(0)
	v_cmp_eq_f64_e64 s1, 0, v[183:184]
	s_and_b32 s0, s0, s1
	v_cmp_eq_f64_e64 s1, 0, v[227:228]
	s_and_b32 s0, s0, vcc_lo
	v_cndmask_b32_e64 v0, v0, 45, s0
	v_cmp_eq_f64_e64 s0, 0, v[225:226]
	v_cmp_eq_u32_e32 vcc_lo, 0, v0
	s_and_b32 s4, s4, vcc_lo
	v_cndmask_b32_e64 v0, v0, 46, s4
	v_cmp_eq_f64_e64 s4, 0, v[229:230]
	v_cmp_eq_u32_e32 vcc_lo, 0, v0
	s_and_b32 s2, s2, vcc_lo
	s_and_b32 s0, s0, s1
	v_cndmask_b32_e64 v0, v0, 47, s2
	v_cmp_eq_f64_e64 s2, 0, v[233:234]
	v_cmp_eq_f64_e64 s1, 0, v[239:240]
	v_cmp_eq_u32_e32 vcc_lo, 0, v0
	s_and_b32 s0, s0, vcc_lo
	s_and_b32 s4, s4, s5
	v_cndmask_b32_e64 v0, v0, 48, s0
	v_cmp_eq_f64_e64 s0, 0, v[237:238]
	v_cmp_eq_f64_e64 s5, 0, v[243:244]
	v_cmp_eq_u32_e32 vcc_lo, 0, v0
	s_and_b32 s4, s4, vcc_lo
	s_and_b32 s2, s2, s3
	v_cndmask_b32_e64 v0, v0, 49, s4
	v_cmp_eq_f64_e64 s4, 0, v[241:242]
	v_cmp_eq_f64_e64 s3, 0, v[215:216]
	v_cmp_eq_u32_e32 vcc_lo, 0, v0
	s_and_b32 s2, s2, vcc_lo
	s_and_b32 s0, s0, s1
	v_cndmask_b32_e64 v0, v0, 50, s2
	v_cmp_eq_f64_e64 s2, 0, v[213:214]
	v_cmp_eq_f64_e64 s1, 0, v[211:212]
	v_cmp_eq_u32_e32 vcc_lo, 0, v0
	s_and_b32 s0, s0, vcc_lo
	s_and_b32 s4, s4, s5
	v_cndmask_b32_e64 v0, v0, 51, s0
	v_cmp_eq_f64_e64 s0, 0, v[209:210]
	v_cmp_eq_u32_e32 vcc_lo, 0, v0
	s_and_b32 s4, s4, vcc_lo
	s_and_b32 s2, s2, s3
	v_cndmask_b32_e64 v0, v0, 52, s4
	v_cmp_eq_u32_e32 vcc_lo, 0, v0
	s_and_b32 s2, s2, vcc_lo
	s_and_b32 s0, s0, s1
	v_cndmask_b32_e64 v0, v0, 53, s2
	v_cmp_eq_u32_e32 vcc_lo, 0, v0
	s_and_b32 s0, s0, vcc_lo
	v_cmp_eq_u32_e32 vcc_lo, 0, v205
	v_cndmask_b32_e64 v0, v0, 54, s0
	v_cmp_ne_u32_e64 s0, 0, v0
	s_and_b32 s0, vcc_lo, s0
	s_and_b32 exec_lo, exec_lo, s0
	s_cbranch_execz .LBB107_490
; %bb.489:
	v_add_nc_u32_e32 v0, s13, v0
	global_store_dword v[253:254], v0, off
.LBB107_490:
	s_or_b32 exec_lo, exec_lo, s7
	s_clause 0x5
	buffer_load_dword v181, off, s[16:19], 0 offset:456
	buffer_load_dword v182, off, s[16:19], 0 offset:460
	;; [unrolled: 1-line block ×6, first 2 shown]
	s_waitcnt vmcnt(0)
	global_store_dwordx4 v[181:182], v[209:212], off
	s_clause 0x5
	buffer_load_dword v181, off, s[16:19], 0 offset:464
	buffer_load_dword v182, off, s[16:19], 0 offset:468
	;; [unrolled: 1-line block ×6, first 2 shown]
	s_waitcnt vmcnt(0)
	global_store_dwordx4 v[181:182], v[209:212], off
	s_clause 0x3
	buffer_load_dword v209, off, s[16:19], 0 offset:96
	buffer_load_dword v210, off, s[16:19], 0 offset:100
	;; [unrolled: 1-line block ×4, first 2 shown]
	s_waitcnt vmcnt(0)
	global_store_dwordx4 v[201:202], v[209:212], off
	s_clause 0x5
	buffer_load_dword v201, off, s[16:19], 0 offset:144
	buffer_load_dword v202, off, s[16:19], 0 offset:148
	;; [unrolled: 1-line block ×6, first 2 shown]
	s_waitcnt vmcnt(0)
	global_store_dwordx4 v[201:202], v[209:212], off
	s_clause 0x3
	buffer_load_dword v209, off, s[16:19], 0 offset:64
	buffer_load_dword v210, off, s[16:19], 0 offset:68
	buffer_load_dword v211, off, s[16:19], 0 offset:72
	buffer_load_dword v212, off, s[16:19], 0 offset:76
	s_waitcnt vmcnt(0)
	global_store_dwordx4 v[247:248], v[209:212], off
	s_clause 0x3
	buffer_load_dword v209, off, s[16:19], 0 offset:48
	buffer_load_dword v210, off, s[16:19], 0 offset:52
	buffer_load_dword v211, off, s[16:19], 0 offset:56
	buffer_load_dword v212, off, s[16:19], 0 offset:60
	;; [unrolled: 7-line block ×3, first 2 shown]
	buffer_load_dword v203, off, s[16:19], 0 offset:40
	buffer_load_dword v204, off, s[16:19], 0 offset:44
	s_waitcnt vmcnt(0)
	global_store_dwordx4 v[193:194], v[201:204], off
	s_clause 0x3
	buffer_load_dword v201, off, s[16:19], 0 offset:16
	buffer_load_dword v202, off, s[16:19], 0 offset:20
	;; [unrolled: 1-line block ×4, first 2 shown]
	s_waitcnt vmcnt(0)
	global_store_dwordx4 v[207:208], v[201:204], off
	s_clause 0x3
	buffer_load_dword v201, off, s[16:19], 0
	buffer_load_dword v202, off, s[16:19], 0 offset:4
	buffer_load_dword v203, off, s[16:19], 0 offset:8
	buffer_load_dword v204, off, s[16:19], 0 offset:12
	s_waitcnt vmcnt(0)
	global_store_dwordx4 v[199:200], v[201:204], off
	s_clause 0x1
	buffer_load_dword v181, off, s[16:19], 0 offset:272
	buffer_load_dword v182, off, s[16:19], 0 offset:276
	s_waitcnt vmcnt(0)
	global_store_dwordx4 v[181:182], v[177:180], off
	s_clause 0x1
	buffer_load_dword v177, off, s[16:19], 0 offset:160
	buffer_load_dword v178, off, s[16:19], 0 offset:164
	;; [unrolled: 5-line block ×15, first 2 shown]
	s_waitcnt vmcnt(0)
	global_store_dwordx4 v[125:126], v[121:124], off
	global_store_dwordx4 v[195:196], v[117:120], off
	s_clause 0x1
	buffer_load_dword v117, off, s[16:19], 0 offset:280
	buffer_load_dword v118, off, s[16:19], 0 offset:284
	s_waitcnt vmcnt(0)
	global_store_dwordx4 v[117:118], v[113:116], off
	global_store_dwordx4 v[189:190], v[109:112], off
	global_store_dwordx4 v[191:192], v[105:108], off
	s_clause 0x1
	buffer_load_dword v105, off, s[16:19], 0 offset:288
	buffer_load_dword v106, off, s[16:19], 0 offset:292
	s_waitcnt vmcnt(0)
	global_store_dwordx4 v[105:106], v[101:104], off
	;; [unrolled: 7-line block ×3, first 2 shown]
	global_store_dwordx4 v[249:250], v[85:88], off
	s_clause 0x1
	buffer_load_dword v85, off, s[16:19], 0 offset:880
	buffer_load_dword v86, off, s[16:19], 0 offset:884
	s_waitcnt vmcnt(0)
	global_store_dwordx4 v[85:86], v[81:84], off
	s_clause 0x1
	buffer_load_dword v81, off, s[16:19], 0 offset:296
	buffer_load_dword v82, off, s[16:19], 0 offset:300
	s_waitcnt vmcnt(0)
	global_store_dwordx4 v[81:82], v[77:80], off
	s_clause 0x1
	buffer_load_dword v77, off, s[16:19], 0 offset:304
	buffer_load_dword v78, off, s[16:19], 0 offset:308
	s_waitcnt vmcnt(0)
	global_store_dwordx4 v[77:78], v[73:76], off
	s_clause 0x1
	buffer_load_dword v73, off, s[16:19], 0 offset:312
	buffer_load_dword v74, off, s[16:19], 0 offset:316
	s_waitcnt vmcnt(0)
	global_store_dwordx4 v[73:74], v[69:72], off
	s_clause 0x1
	buffer_load_dword v69, off, s[16:19], 0 offset:320
	buffer_load_dword v70, off, s[16:19], 0 offset:324
	s_waitcnt vmcnt(0)
	global_store_dwordx4 v[69:70], v[65:68], off
	s_clause 0x1
	buffer_load_dword v65, off, s[16:19], 0 offset:328
	buffer_load_dword v66, off, s[16:19], 0 offset:332
	s_waitcnt vmcnt(0)
	global_store_dwordx4 v[65:66], v[61:64], off
	s_clause 0x1
	buffer_load_dword v61, off, s[16:19], 0 offset:336
	buffer_load_dword v62, off, s[16:19], 0 offset:340
	s_waitcnt vmcnt(0)
	global_store_dwordx4 v[61:62], v[57:60], off
	s_clause 0x1
	buffer_load_dword v57, off, s[16:19], 0 offset:344
	buffer_load_dword v58, off, s[16:19], 0 offset:348
	s_waitcnt vmcnt(0)
	global_store_dwordx4 v[57:58], v[53:56], off
	s_clause 0x1
	buffer_load_dword v53, off, s[16:19], 0 offset:352
	buffer_load_dword v54, off, s[16:19], 0 offset:356
	s_waitcnt vmcnt(0)
	global_store_dwordx4 v[53:54], v[49:52], off
	s_clause 0x1
	buffer_load_dword v49, off, s[16:19], 0 offset:360
	buffer_load_dword v50, off, s[16:19], 0 offset:364
	s_waitcnt vmcnt(0)
	global_store_dwordx4 v[49:50], v[45:48], off
	s_clause 0x1
	buffer_load_dword v45, off, s[16:19], 0 offset:368
	buffer_load_dword v46, off, s[16:19], 0 offset:372
	s_waitcnt vmcnt(0)
	global_store_dwordx4 v[45:46], v[41:44], off
	s_clause 0x1
	buffer_load_dword v41, off, s[16:19], 0 offset:376
	buffer_load_dword v42, off, s[16:19], 0 offset:380
	s_waitcnt vmcnt(0)
	global_store_dwordx4 v[41:42], v[37:40], off
	s_clause 0x1
	buffer_load_dword v37, off, s[16:19], 0 offset:384
	buffer_load_dword v38, off, s[16:19], 0 offset:388
	s_waitcnt vmcnt(0)
	global_store_dwordx4 v[37:38], v[33:36], off
	s_clause 0x1
	buffer_load_dword v33, off, s[16:19], 0 offset:392
	buffer_load_dword v34, off, s[16:19], 0 offset:396
	s_waitcnt vmcnt(0)
	global_store_dwordx4 v[33:34], v[29:32], off
	s_clause 0x1
	buffer_load_dword v29, off, s[16:19], 0 offset:400
	buffer_load_dword v30, off, s[16:19], 0 offset:404
	s_waitcnt vmcnt(0)
	global_store_dwordx4 v[29:30], v[25:28], off
	s_clause 0x1
	buffer_load_dword v25, off, s[16:19], 0 offset:408
	buffer_load_dword v26, off, s[16:19], 0 offset:412
	s_waitcnt vmcnt(0)
	global_store_dwordx4 v[25:26], v[21:24], off
	s_clause 0x1
	buffer_load_dword v21, off, s[16:19], 0 offset:416
	buffer_load_dword v22, off, s[16:19], 0 offset:420
	s_waitcnt vmcnt(0)
	global_store_dwordx4 v[21:22], v[17:20], off
	s_clause 0x1
	buffer_load_dword v17, off, s[16:19], 0 offset:424
	buffer_load_dword v18, off, s[16:19], 0 offset:428
	s_waitcnt vmcnt(0)
	global_store_dwordx4 v[17:18], v[13:16], off
	s_clause 0x1
	buffer_load_dword v13, off, s[16:19], 0 offset:432
	buffer_load_dword v14, off, s[16:19], 0 offset:436
	s_waitcnt vmcnt(0)
	global_store_dwordx4 v[13:14], v[9:12], off
	s_clause 0x1
	buffer_load_dword v9, off, s[16:19], 0 offset:440
	buffer_load_dword v10, off, s[16:19], 0 offset:444
	s_waitcnt vmcnt(0)
	global_store_dwordx4 v[9:10], v[5:8], off
	s_clause 0x1
	buffer_load_dword v5, off, s[16:19], 0 offset:448
	buffer_load_dword v6, off, s[16:19], 0 offset:452
	s_waitcnt vmcnt(0)
	global_store_dwordx4 v[5:6], v[1:4], off
.LBB107_491:
	s_endpgm
	.section	.rodata,"a",@progbits
	.p2align	6, 0x0
	.amdhsa_kernel _ZN9rocsolver6v33100L23getf2_npvt_small_kernelILi54E19rocblas_complex_numIdEiiPS3_EEvT1_T3_lS5_lPT2_S5_S5_
		.amdhsa_group_segment_fixed_size 0
		.amdhsa_private_segment_fixed_size 1196
		.amdhsa_kernarg_size 312
		.amdhsa_user_sgpr_count 6
		.amdhsa_user_sgpr_private_segment_buffer 1
		.amdhsa_user_sgpr_dispatch_ptr 0
		.amdhsa_user_sgpr_queue_ptr 0
		.amdhsa_user_sgpr_kernarg_segment_ptr 1
		.amdhsa_user_sgpr_dispatch_id 0
		.amdhsa_user_sgpr_flat_scratch_init 0
		.amdhsa_user_sgpr_private_segment_size 0
		.amdhsa_wavefront_size32 1
		.amdhsa_uses_dynamic_stack 0
		.amdhsa_system_sgpr_private_segment_wavefront_offset 1
		.amdhsa_system_sgpr_workgroup_id_x 1
		.amdhsa_system_sgpr_workgroup_id_y 1
		.amdhsa_system_sgpr_workgroup_id_z 0
		.amdhsa_system_sgpr_workgroup_info 0
		.amdhsa_system_vgpr_workitem_id 1
		.amdhsa_next_free_vgpr 256
		.amdhsa_next_free_sgpr 22
		.amdhsa_reserve_vcc 1
		.amdhsa_reserve_flat_scratch 0
		.amdhsa_float_round_mode_32 0
		.amdhsa_float_round_mode_16_64 0
		.amdhsa_float_denorm_mode_32 3
		.amdhsa_float_denorm_mode_16_64 3
		.amdhsa_dx10_clamp 1
		.amdhsa_ieee_mode 1
		.amdhsa_fp16_overflow 0
		.amdhsa_workgroup_processor_mode 1
		.amdhsa_memory_ordered 1
		.amdhsa_forward_progress 1
		.amdhsa_shared_vgpr_count 0
		.amdhsa_exception_fp_ieee_invalid_op 0
		.amdhsa_exception_fp_denorm_src 0
		.amdhsa_exception_fp_ieee_div_zero 0
		.amdhsa_exception_fp_ieee_overflow 0
		.amdhsa_exception_fp_ieee_underflow 0
		.amdhsa_exception_fp_ieee_inexact 0
		.amdhsa_exception_int_div_zero 0
	.end_amdhsa_kernel
	.section	.text._ZN9rocsolver6v33100L23getf2_npvt_small_kernelILi54E19rocblas_complex_numIdEiiPS3_EEvT1_T3_lS5_lPT2_S5_S5_,"axG",@progbits,_ZN9rocsolver6v33100L23getf2_npvt_small_kernelILi54E19rocblas_complex_numIdEiiPS3_EEvT1_T3_lS5_lPT2_S5_S5_,comdat
.Lfunc_end107:
	.size	_ZN9rocsolver6v33100L23getf2_npvt_small_kernelILi54E19rocblas_complex_numIdEiiPS3_EEvT1_T3_lS5_lPT2_S5_S5_, .Lfunc_end107-_ZN9rocsolver6v33100L23getf2_npvt_small_kernelILi54E19rocblas_complex_numIdEiiPS3_EEvT1_T3_lS5_lPT2_S5_S5_
                                        ; -- End function
	.set _ZN9rocsolver6v33100L23getf2_npvt_small_kernelILi54E19rocblas_complex_numIdEiiPS3_EEvT1_T3_lS5_lPT2_S5_S5_.num_vgpr, 256
	.set _ZN9rocsolver6v33100L23getf2_npvt_small_kernelILi54E19rocblas_complex_numIdEiiPS3_EEvT1_T3_lS5_lPT2_S5_S5_.num_agpr, 0
	.set _ZN9rocsolver6v33100L23getf2_npvt_small_kernelILi54E19rocblas_complex_numIdEiiPS3_EEvT1_T3_lS5_lPT2_S5_S5_.numbered_sgpr, 22
	.set _ZN9rocsolver6v33100L23getf2_npvt_small_kernelILi54E19rocblas_complex_numIdEiiPS3_EEvT1_T3_lS5_lPT2_S5_S5_.num_named_barrier, 0
	.set _ZN9rocsolver6v33100L23getf2_npvt_small_kernelILi54E19rocblas_complex_numIdEiiPS3_EEvT1_T3_lS5_lPT2_S5_S5_.private_seg_size, 1196
	.set _ZN9rocsolver6v33100L23getf2_npvt_small_kernelILi54E19rocblas_complex_numIdEiiPS3_EEvT1_T3_lS5_lPT2_S5_S5_.uses_vcc, 1
	.set _ZN9rocsolver6v33100L23getf2_npvt_small_kernelILi54E19rocblas_complex_numIdEiiPS3_EEvT1_T3_lS5_lPT2_S5_S5_.uses_flat_scratch, 0
	.set _ZN9rocsolver6v33100L23getf2_npvt_small_kernelILi54E19rocblas_complex_numIdEiiPS3_EEvT1_T3_lS5_lPT2_S5_S5_.has_dyn_sized_stack, 0
	.set _ZN9rocsolver6v33100L23getf2_npvt_small_kernelILi54E19rocblas_complex_numIdEiiPS3_EEvT1_T3_lS5_lPT2_S5_S5_.has_recursion, 0
	.set _ZN9rocsolver6v33100L23getf2_npvt_small_kernelILi54E19rocblas_complex_numIdEiiPS3_EEvT1_T3_lS5_lPT2_S5_S5_.has_indirect_call, 0
	.section	.AMDGPU.csdata,"",@progbits
; Kernel info:
; codeLenInByte = 146364
; TotalNumSgprs: 24
; NumVgprs: 256
; ScratchSize: 1196
; MemoryBound: 1
; FloatMode: 240
; IeeeMode: 1
; LDSByteSize: 0 bytes/workgroup (compile time only)
; SGPRBlocks: 0
; VGPRBlocks: 31
; NumSGPRsForWavesPerEU: 24
; NumVGPRsForWavesPerEU: 256
; Occupancy: 4
; WaveLimiterHint : 0
; COMPUTE_PGM_RSRC2:SCRATCH_EN: 1
; COMPUTE_PGM_RSRC2:USER_SGPR: 6
; COMPUTE_PGM_RSRC2:TRAP_HANDLER: 0
; COMPUTE_PGM_RSRC2:TGID_X_EN: 1
; COMPUTE_PGM_RSRC2:TGID_Y_EN: 1
; COMPUTE_PGM_RSRC2:TGID_Z_EN: 0
; COMPUTE_PGM_RSRC2:TIDIG_COMP_CNT: 1
	.section	.text._ZN9rocsolver6v33100L18getf2_small_kernelILi55E19rocblas_complex_numIdEiiPS3_EEvT1_T3_lS5_lPS5_llPT2_S5_S5_S7_l,"axG",@progbits,_ZN9rocsolver6v33100L18getf2_small_kernelILi55E19rocblas_complex_numIdEiiPS3_EEvT1_T3_lS5_lPS5_llPT2_S5_S5_S7_l,comdat
	.globl	_ZN9rocsolver6v33100L18getf2_small_kernelILi55E19rocblas_complex_numIdEiiPS3_EEvT1_T3_lS5_lPS5_llPT2_S5_S5_S7_l ; -- Begin function _ZN9rocsolver6v33100L18getf2_small_kernelILi55E19rocblas_complex_numIdEiiPS3_EEvT1_T3_lS5_lPS5_llPT2_S5_S5_S7_l
	.p2align	8
	.type	_ZN9rocsolver6v33100L18getf2_small_kernelILi55E19rocblas_complex_numIdEiiPS3_EEvT1_T3_lS5_lPS5_llPT2_S5_S5_S7_l,@function
_ZN9rocsolver6v33100L18getf2_small_kernelILi55E19rocblas_complex_numIdEiiPS3_EEvT1_T3_lS5_lPS5_llPT2_S5_S5_S7_l: ; @_ZN9rocsolver6v33100L18getf2_small_kernelILi55E19rocblas_complex_numIdEiiPS3_EEvT1_T3_lS5_lPS5_llPT2_S5_S5_S7_l
; %bb.0:
	s_mov_b64 s[22:23], s[2:3]
	s_mov_b64 s[20:21], s[0:1]
	s_clause 0x1
	s_load_dword s0, s[4:5], 0x6c
	s_load_dwordx2 s[16:17], s[4:5], 0x48
	s_add_u32 s20, s20, s8
	s_addc_u32 s21, s21, 0
	s_waitcnt lgkmcnt(0)
	s_lshr_b32 s0, s0, 16
	v_mad_u64_u32 v[8:9], null, s7, s0, v[1:2]
	s_mov_b32 s0, exec_lo
	v_cmpx_gt_i32_e64 s16, v8
	s_cbranch_execnz .LBB108_1
; %bb.1159:
	s_getpc_b64 s[18:19]
.Lpost_getpc10:
	s_add_u32 s18, s18, (.LBB108_1158-.Lpost_getpc10)&4294967295
	s_addc_u32 s19, s19, (.LBB108_1158-.Lpost_getpc10)>>32
	s_setpc_b64 s[18:19]
.LBB108_1:
	s_load_dwordx4 s[0:3], s[4:5], 0x50
	v_mov_b32_e32 v2, 0
	v_ashrrev_i32_e32 v9, 31, v8
	v_mov_b32_e32 v3, 0
	s_waitcnt lgkmcnt(0)
	s_cmp_eq_u64 s[0:1], 0
	s_cselect_b32 s16, -1, 0
	s_and_b32 vcc_lo, exec_lo, s16
	s_cbranch_vccnz .LBB108_3
; %bb.2:
	v_mul_lo_u32 v4, s3, v8
	v_mul_lo_u32 v5, s2, v9
	v_mad_u64_u32 v[2:3], null, s2, v8, 0
	v_add3_u32 v3, v3, v5, v4
	v_lshlrev_b64 v[2:3], 2, v[2:3]
	v_add_co_u32 v2, vcc_lo, s0, v2
	v_add_co_ci_u32_e64 v3, null, s1, v3, vcc_lo
.LBB108_3:
	buffer_store_dword v2, off, s[20:23], 0 ; 4-byte Folded Spill
	buffer_store_dword v3, off, s[20:23], 0 offset:4 ; 4-byte Folded Spill
	s_clause 0x2
	s_load_dwordx8 s[8:15], s[4:5], 0x20
	s_load_dword s6, s[4:5], 0x18
	s_load_dwordx4 s[0:3], s[4:5], 0x8
	v_mov_b32_e32 v233, v9
	v_mov_b32_e32 v232, v8
	v_lshlrev_b32_e32 v212, 4, v0
	s_waitcnt lgkmcnt(0)
	v_mul_lo_u32 v5, s9, v8
	v_mul_lo_u32 v7, s8, v9
	v_mad_u64_u32 v[2:3], null, s8, v8, 0
	v_add3_u32 v4, s6, s6, v0
	s_lshl_b64 s[2:3], s[2:3], 4
	s_ashr_i32 s7, s6, 31
	s_clause 0x1
	s_load_dword s8, s[4:5], 0x0
	s_load_dwordx2 s[4:5], s[4:5], 0x40
	v_add_nc_u32_e32 v6, s6, v4
	v_add3_u32 v3, v3, v7, v5
	v_ashrrev_i32_e32 v5, 31, v4
	v_add_nc_u32_e32 v8, s6, v6
	v_lshlrev_b64 v[2:3], 4, v[2:3]
	v_ashrrev_i32_e32 v7, 31, v6
	v_lshlrev_b64 v[4:5], 4, v[4:5]
	v_ashrrev_i32_e32 v9, 31, v8
	v_add_nc_u32_e32 v10, s6, v8
	v_add_co_u32 v12, vcc_lo, s0, v2
	v_add_co_ci_u32_e64 v13, null, s1, v3, vcc_lo
	v_lshlrev_b64 v[2:3], 4, v[8:9]
	v_add_nc_u32_e32 v8, s6, v10
	v_add_co_u32 v255, vcc_lo, v12, s2
	v_ashrrev_i32_e32 v11, 31, v10
	v_lshlrev_b64 v[6:7], 4, v[6:7]
	v_add_nc_u32_e32 v12, s6, v8
	v_add_co_ci_u32_e64 v234, null, s3, v13, vcc_lo
	v_ashrrev_i32_e32 v9, 31, v8
	v_lshlrev_b64 v[10:11], 4, v[10:11]
	v_add_nc_u32_e32 v14, s6, v12
	v_ashrrev_i32_e32 v13, 31, v12
	v_add_co_u32 v4, vcc_lo, v255, v4
	v_add_co_ci_u32_e64 v5, null, v234, v5, vcc_lo
	v_add_nc_u32_e32 v16, s6, v14
	v_ashrrev_i32_e32 v15, 31, v14
	v_add_co_u32 v6, vcc_lo, v255, v6
	v_lshlrev_b64 v[8:9], 4, v[8:9]
	v_add_nc_u32_e32 v18, s6, v16
	v_add_co_ci_u32_e64 v7, null, v234, v7, vcc_lo
	v_add_co_u32 v2, vcc_lo, v255, v2
	v_add_nc_u32_e32 v20, s6, v18
	v_lshlrev_b64 v[12:13], 4, v[12:13]
	v_ashrrev_i32_e32 v17, 31, v16
	v_add_co_ci_u32_e64 v3, null, v234, v3, vcc_lo
	v_add_nc_u32_e32 v22, s6, v20
	v_add_co_u32 v10, vcc_lo, v255, v10
	v_lshlrev_b64 v[14:15], 4, v[14:15]
	v_ashrrev_i32_e32 v19, 31, v18
	v_add_nc_u32_e32 v26, s6, v22
	v_add_co_ci_u32_e64 v11, null, v234, v11, vcc_lo
	v_add_co_u32 v8, vcc_lo, v255, v8
	v_add_nc_u32_e32 v28, s6, v26
	v_ashrrev_i32_e32 v21, 31, v20
	v_add_co_ci_u32_e64 v9, null, v234, v9, vcc_lo
	v_add_co_u32 v12, vcc_lo, v255, v12
	v_add_nc_u32_e32 v30, s6, v28
	v_lshlrev_b64 v[16:17], 4, v[16:17]
	v_ashrrev_i32_e32 v23, 31, v22
	v_add_co_ci_u32_e64 v13, null, v234, v13, vcc_lo
	v_add_nc_u32_e32 v32, s6, v30
	v_add_co_u32 v14, vcc_lo, v255, v14
	v_lshlrev_b64 v[18:19], 4, v[18:19]
	v_ashrrev_i32_e32 v27, 31, v26
	v_add_nc_u32_e32 v34, s6, v32
	v_add_co_ci_u32_e64 v15, null, v234, v15, vcc_lo
	v_add_co_u32 v24, vcc_lo, v255, v212
	v_add_nc_u32_e32 v36, s6, v34
	v_lshlrev_b64 v[20:21], 4, v[20:21]
	v_ashrrev_i32_e32 v29, 31, v28
	v_add_co_ci_u32_e64 v25, null, 0, v234, vcc_lo
	v_add_nc_u32_e32 v38, s6, v36
	v_add_co_u32 v16, vcc_lo, v255, v16
	v_lshlrev_b64 v[22:23], 4, v[22:23]
	v_ashrrev_i32_e32 v31, 31, v30
	v_add_nc_u32_e32 v40, s6, v38
	;; [unrolled: 11-line block ×6, first 2 shown]
	v_add_co_ci_u32_e64 v35, null, v234, v35, vcc_lo
	v_add_co_u32 v36, vcc_lo, v255, v36
	v_lshlrev_b64 v[42:43], 4, v[42:43]
	v_add_nc_u32_e32 v66, s6, v64
	v_ashrrev_i32_e32 v49, 31, v48
	v_add_co_ci_u32_e64 v37, null, v234, v37, vcc_lo
	v_add_co_u32 v38, vcc_lo, v255, v38
	v_lshlrev_b64 v[44:45], 4, v[44:45]
	v_ashrrev_i32_e32 v51, 31, v50
	v_add_co_ci_u32_e64 v39, null, v234, v39, vcc_lo
	v_add_co_u32 v40, vcc_lo, v255, v40
	v_lshlrev_b64 v[46:47], 4, v[46:47]
	v_ashrrev_i32_e32 v53, 31, v52
	v_add_nc_u32_e32 v68, s6, v66
	v_add_co_ci_u32_e64 v41, null, v234, v41, vcc_lo
	v_add_co_u32 v42, vcc_lo, v255, v42
	v_lshlrev_b64 v[48:49], 4, v[48:49]
	v_ashrrev_i32_e32 v55, 31, v54
	v_add_co_ci_u32_e64 v43, null, v234, v43, vcc_lo
	v_add_co_u32 v44, vcc_lo, v255, v44
	v_lshlrev_b64 v[50:51], 4, v[50:51]
	v_ashrrev_i32_e32 v57, 31, v56
	v_add_co_ci_u32_e64 v45, null, v234, v45, vcc_lo
	v_add_co_u32 v46, vcc_lo, v255, v46
	v_lshlrev_b64 v[52:53], 4, v[52:53]
	v_add_nc_u32_e32 v70, s6, v68
	v_ashrrev_i32_e32 v59, 31, v58
	v_add_co_ci_u32_e64 v47, null, v234, v47, vcc_lo
	v_add_co_u32 v48, vcc_lo, v255, v48
	v_lshlrev_b64 v[54:55], 4, v[54:55]
	v_ashrrev_i32_e32 v61, 31, v60
	v_add_co_ci_u32_e64 v49, null, v234, v49, vcc_lo
	v_add_co_u32 v50, vcc_lo, v255, v50
	v_lshlrev_b64 v[56:57], 4, v[56:57]
	v_ashrrev_i32_e32 v63, 31, v62
	v_add_nc_u32_e32 v72, s6, v70
	v_add_co_ci_u32_e64 v51, null, v234, v51, vcc_lo
	v_add_co_u32 v52, vcc_lo, v255, v52
	v_lshlrev_b64 v[58:59], 4, v[58:59]
	v_ashrrev_i32_e32 v65, 31, v64
	v_add_co_ci_u32_e64 v53, null, v234, v53, vcc_lo
	v_add_co_u32 v54, vcc_lo, v255, v54
	v_lshlrev_b64 v[60:61], 4, v[60:61]
	v_ashrrev_i32_e32 v67, 31, v66
	v_add_co_ci_u32_e64 v55, null, v234, v55, vcc_lo
	v_add_co_u32 v56, vcc_lo, v255, v56
	v_lshlrev_b64 v[62:63], 4, v[62:63]
	v_add_nc_u32_e32 v74, s6, v72
	v_ashrrev_i32_e32 v69, 31, v68
	v_add_co_ci_u32_e64 v57, null, v234, v57, vcc_lo
	v_add_co_u32 v58, vcc_lo, v255, v58
	v_lshlrev_b64 v[64:65], 4, v[64:65]
	v_ashrrev_i32_e32 v71, 31, v70
	v_add_co_ci_u32_e64 v59, null, v234, v59, vcc_lo
	v_add_co_u32 v60, vcc_lo, v255, v60
	v_lshlrev_b64 v[66:67], 4, v[66:67]
	v_ashrrev_i32_e32 v73, 31, v72
	v_add_nc_u32_e32 v76, s6, v74
	v_add_co_ci_u32_e64 v61, null, v234, v61, vcc_lo
	v_add_co_u32 v62, vcc_lo, v255, v62
	v_lshlrev_b64 v[68:69], 4, v[68:69]
	v_ashrrev_i32_e32 v75, 31, v74
	v_add_co_ci_u32_e64 v63, null, v234, v63, vcc_lo
	v_add_co_u32 v64, vcc_lo, v255, v64
	v_lshlrev_b64 v[70:71], 4, v[70:71]
	v_add_co_ci_u32_e64 v65, null, v234, v65, vcc_lo
	v_add_co_u32 v66, vcc_lo, v255, v66
	v_lshlrev_b64 v[72:73], 4, v[72:73]
	v_add_nc_u32_e32 v78, s6, v76
	v_add_co_ci_u32_e64 v67, null, v234, v67, vcc_lo
	v_add_co_u32 v68, vcc_lo, v255, v68
	v_lshlrev_b64 v[74:75], 4, v[74:75]
	v_ashrrev_i32_e32 v77, 31, v76
	v_add_co_ci_u32_e64 v69, null, v234, v69, vcc_lo
	v_add_co_u32 v70, vcc_lo, v255, v70
	v_ashrrev_i32_e32 v79, 31, v78
	v_add_nc_u32_e32 v80, s6, v78
	v_add_co_ci_u32_e64 v71, null, v234, v71, vcc_lo
	v_add_co_u32 v72, vcc_lo, v255, v72
	v_lshlrev_b64 v[76:77], 4, v[76:77]
	v_add_co_ci_u32_e64 v73, null, v234, v73, vcc_lo
	v_add_co_u32 v222, vcc_lo, v255, v74
	v_add_co_ci_u32_e64 v223, null, v234, v75, vcc_lo
	v_lshlrev_b64 v[74:75], 4, v[78:79]
	v_ashrrev_i32_e32 v81, 31, v80
	v_add_nc_u32_e32 v78, s6, v80
	v_add_co_u32 v224, vcc_lo, v255, v76
	v_add_co_ci_u32_e64 v225, null, v234, v77, vcc_lo
	v_lshlrev_b64 v[76:77], 4, v[80:81]
	v_ashrrev_i32_e32 v79, 31, v78
	v_add_nc_u32_e32 v80, s6, v78
	;; [unrolled: 5-line block ×11, first 2 shown]
	v_add_co_u32 v251, vcc_lo, v255, v76
	v_add_co_ci_u32_e64 v252, null, v234, v77, vcc_lo
	v_lshlrev_b64 v[76:77], 4, v[80:81]
	v_add_nc_u32_e32 v80, s6, v78
	v_ashrrev_i32_e32 v79, 31, v78
	v_add_co_u32 v253, vcc_lo, v255, v74
	v_add_co_ci_u32_e64 v254, null, v234, v75, vcc_lo
	v_lshlrev_b64 v[74:75], 4, v[78:79]
	v_add_nc_u32_e32 v78, s6, v80
	v_ashrrev_i32_e32 v81, 31, v80
	v_add_co_u32 v226, vcc_lo, v255, v76
	v_add_co_ci_u32_e64 v227, null, v234, v77, vcc_lo
	v_ashrrev_i32_e32 v79, 31, v78
	v_add_co_u32 v228, vcc_lo, v255, v74
	v_add_nc_u32_e32 v74, s6, v78
	v_lshlrev_b64 v[76:77], 4, v[80:81]
	v_lshlrev_b64 v[78:79], 4, v[78:79]
	v_add_co_ci_u32_e64 v229, null, v234, v75, vcc_lo
	v_ashrrev_i32_e32 v75, 31, v74
	s_lshl_b64 s[2:3], s[6:7], 4
	v_add_co_u32 v214, vcc_lo, v255, v76
	v_add_co_ci_u32_e64 v215, null, v234, v77, vcc_lo
	v_add_co_u32 v216, vcc_lo, v255, v78
	v_lshlrev_b64 v[74:75], 4, v[74:75]
	v_add_co_ci_u32_e64 v217, null, v234, v79, vcc_lo
	v_add_co_u32 v76, vcc_lo, v24, s2
	v_add_co_ci_u32_e64 v77, null, s3, v25, vcc_lo
	v_add_co_u32 v210, vcc_lo, v255, v74
	v_add_co_ci_u32_e64 v211, null, v234, v75, vcc_lo
	s_clause 0x1
	global_load_dwordx4 v[218:221], v[24:25], off
	global_load_dwordx4 v[74:77], v[76:77], off
	s_waitcnt lgkmcnt(0)
	s_max_i32 s0, s8, 55
	s_cmp_lt_i32 s8, 2
	s_waitcnt vmcnt(0)
	buffer_store_dword v74, off, s[20:23], 0 offset:8 ; 4-byte Folded Spill
	buffer_store_dword v75, off, s[20:23], 0 offset:12 ; 4-byte Folded Spill
	;; [unrolled: 1-line block ×4, first 2 shown]
	global_load_dwordx4 v[74:77], v[4:5], off
	s_waitcnt vmcnt(0)
	buffer_store_dword v74, off, s[20:23], 0 offset:24 ; 4-byte Folded Spill
	buffer_store_dword v75, off, s[20:23], 0 offset:28 ; 4-byte Folded Spill
	;; [unrolled: 1-line block ×4, first 2 shown]
	s_clause 0x33
	global_load_dwordx4 v[206:209], v[6:7], off
	global_load_dwordx4 v[202:205], v[2:3], off
	;; [unrolled: 1-line block ×52, first 2 shown]
	v_mul_lo_u32 v210, s0, v1
	v_mov_b32_e32 v252, v221
	v_mov_b32_e32 v251, v220
	v_mov_b32_e32 v250, v219
	v_mov_b32_e32 v249, v218
	v_mov_b32_e32 v230, 0
	v_lshl_add_u32 v1, v210, 4, 0
	v_lshlrev_b32_e32 v253, 4, v210
	v_add_nc_u32_e32 v211, v1, v212
	ds_write2_b64 v211, v[249:250], v[251:252] offset1:1
	s_waitcnt vmcnt(0) lgkmcnt(0)
	s_waitcnt_vscnt null, 0x0
	s_barrier
	buffer_gl0_inv
	ds_read2_b64 v[222:225], v1 offset1:1
	s_cbranch_scc1 .LBB108_6
; %bb.4:
	v_add3_u32 v231, v253, 0, 16
	v_mov_b32_e32 v230, 0
	s_mov_b32 s1, 1
	s_inst_prefetch 0x1
	.p2align	6
.LBB108_5:                              ; =>This Inner Loop Header: Depth=1
	s_waitcnt lgkmcnt(0)
	v_cmp_gt_f64_e32 vcc_lo, 0, v[224:225]
	v_cmp_gt_f64_e64 s0, 0, v[222:223]
	ds_read2_b64 v[235:238], v231 offset1:1
	v_xor_b32_e32 v211, 0x80000000, v223
	v_xor_b32_e32 v213, 0x80000000, v225
	v_mov_b32_e32 v210, v222
	v_mov_b32_e32 v212, v224
	v_add_nc_u32_e32 v231, 16, v231
	s_waitcnt lgkmcnt(0)
	v_xor_b32_e32 v215, 0x80000000, v238
	v_cndmask_b32_e64 v211, v223, v211, s0
	v_cndmask_b32_e32 v213, v225, v213, vcc_lo
	v_cmp_gt_f64_e32 vcc_lo, 0, v[237:238]
	v_cmp_gt_f64_e64 s0, 0, v[235:236]
	v_mov_b32_e32 v214, v237
	v_add_f64 v[210:211], v[210:211], v[212:213]
	v_xor_b32_e32 v213, 0x80000000, v236
	v_mov_b32_e32 v212, v235
	v_cndmask_b32_e32 v215, v238, v215, vcc_lo
	v_cndmask_b32_e64 v213, v236, v213, s0
	v_add_f64 v[212:213], v[212:213], v[214:215]
	v_cmp_lt_f64_e32 vcc_lo, v[210:211], v[212:213]
	v_cndmask_b32_e32 v223, v223, v236, vcc_lo
	v_cndmask_b32_e32 v222, v222, v235, vcc_lo
	v_cndmask_b32_e32 v225, v225, v238, vcc_lo
	v_cndmask_b32_e32 v224, v224, v237, vcc_lo
	v_cndmask_b32_e64 v230, v230, s1, vcc_lo
	s_add_i32 s1, s1, 1
	s_cmp_eq_u32 s8, s1
	s_cbranch_scc0 .LBB108_5
.LBB108_6:
	s_inst_prefetch 0x2
	s_clause 0x9
	buffer_load_dword v245, off, s[20:23], 0 offset:8
	buffer_load_dword v246, off, s[20:23], 0 offset:12
	;; [unrolled: 1-line block ×8, first 2 shown]
	buffer_load_dword v218, off, s[20:23], 0
	buffer_load_dword v219, off, s[20:23], 0 offset:4
	s_waitcnt lgkmcnt(0)
	v_cmp_neq_f64_e32 vcc_lo, 0, v[222:223]
	v_cmp_neq_f64_e64 s0, 0, v[224:225]
	v_mov_b32_e32 v220, v232
	v_mov_b32_e32 v221, v233
	;; [unrolled: 1-line block ×4, first 2 shown]
	s_or_b32 s1, vcc_lo, s0
	s_and_saveexec_b32 s0, s1
	s_cbranch_execz .LBB108_12
; %bb.7:
	v_cmp_ngt_f64_e64 s1, |v[222:223]|, |v[224:225]|
	s_and_saveexec_b32 s7, s1
	s_xor_b32 s1, exec_lo, s7
	s_cbranch_execz .LBB108_9
; %bb.8:
	v_div_scale_f64 v[210:211], null, v[224:225], v[224:225], v[222:223]
	v_div_scale_f64 v[216:217], vcc_lo, v[222:223], v[224:225], v[222:223]
	v_rcp_f64_e32 v[212:213], v[210:211]
	v_fma_f64 v[214:215], -v[210:211], v[212:213], 1.0
	v_fma_f64 v[212:213], v[212:213], v[214:215], v[212:213]
	v_fma_f64 v[214:215], -v[210:211], v[212:213], 1.0
	v_fma_f64 v[212:213], v[212:213], v[214:215], v[212:213]
	v_mul_f64 v[214:215], v[216:217], v[212:213]
	v_fma_f64 v[210:211], -v[210:211], v[214:215], v[216:217]
	v_div_fmas_f64 v[210:211], v[210:211], v[212:213], v[214:215]
	v_div_fixup_f64 v[210:211], v[210:211], v[224:225], v[222:223]
	v_fma_f64 v[212:213], v[222:223], v[210:211], v[224:225]
	v_div_scale_f64 v[214:215], null, v[212:213], v[212:213], 1.0
	v_rcp_f64_e32 v[216:217], v[214:215]
	v_fma_f64 v[222:223], -v[214:215], v[216:217], 1.0
	v_fma_f64 v[216:217], v[216:217], v[222:223], v[216:217]
	v_fma_f64 v[222:223], -v[214:215], v[216:217], 1.0
	v_fma_f64 v[216:217], v[216:217], v[222:223], v[216:217]
	v_div_scale_f64 v[222:223], vcc_lo, 1.0, v[212:213], 1.0
	v_mul_f64 v[224:225], v[222:223], v[216:217]
	v_fma_f64 v[214:215], -v[214:215], v[224:225], v[222:223]
	v_div_fmas_f64 v[214:215], v[214:215], v[216:217], v[224:225]
	v_div_fixup_f64 v[224:225], v[214:215], v[212:213], 1.0
	v_mul_f64 v[222:223], v[210:211], v[224:225]
	v_xor_b32_e32 v225, 0x80000000, v225
.LBB108_9:
	s_andn2_saveexec_b32 s1, s1
	s_cbranch_execz .LBB108_11
; %bb.10:
	v_div_scale_f64 v[210:211], null, v[222:223], v[222:223], v[224:225]
	v_div_scale_f64 v[216:217], vcc_lo, v[224:225], v[222:223], v[224:225]
	v_rcp_f64_e32 v[212:213], v[210:211]
	v_fma_f64 v[214:215], -v[210:211], v[212:213], 1.0
	v_fma_f64 v[212:213], v[212:213], v[214:215], v[212:213]
	v_fma_f64 v[214:215], -v[210:211], v[212:213], 1.0
	v_fma_f64 v[212:213], v[212:213], v[214:215], v[212:213]
	v_mul_f64 v[214:215], v[216:217], v[212:213]
	v_fma_f64 v[210:211], -v[210:211], v[214:215], v[216:217]
	v_div_fmas_f64 v[210:211], v[210:211], v[212:213], v[214:215]
	v_div_fixup_f64 v[210:211], v[210:211], v[222:223], v[224:225]
	v_fma_f64 v[212:213], v[224:225], v[210:211], v[222:223]
	v_div_scale_f64 v[214:215], null, v[212:213], v[212:213], 1.0
	v_rcp_f64_e32 v[216:217], v[214:215]
	v_fma_f64 v[222:223], -v[214:215], v[216:217], 1.0
	v_fma_f64 v[216:217], v[216:217], v[222:223], v[216:217]
	v_fma_f64 v[222:223], -v[214:215], v[216:217], 1.0
	v_fma_f64 v[216:217], v[216:217], v[222:223], v[216:217]
	v_div_scale_f64 v[222:223], vcc_lo, 1.0, v[212:213], 1.0
	v_mul_f64 v[224:225], v[222:223], v[216:217]
	v_fma_f64 v[214:215], -v[214:215], v[224:225], v[222:223]
	v_div_fmas_f64 v[214:215], v[214:215], v[216:217], v[224:225]
	v_div_fixup_f64 v[222:223], v[214:215], v[212:213], 1.0
	v_mul_f64 v[224:225], v[210:211], -v[222:223]
.LBB108_11:
	s_or_b32 exec_lo, exec_lo, s1
	v_mov_b32_e32 v237, 0
	v_mov_b32_e32 v235, 2
.LBB108_12:
	s_or_b32 exec_lo, exec_lo, s0
	s_mov_b32 s0, exec_lo
	v_cmpx_ne_u32_e64 v0, v230
	s_xor_b32 s0, exec_lo, s0
	s_cbranch_execz .LBB108_18
; %bb.13:
	s_mov_b32 s1, exec_lo
	v_cmpx_eq_u32_e32 0, v0
	s_cbranch_execz .LBB108_17
; %bb.14:
	v_cmp_ne_u32_e32 vcc_lo, 0, v230
	s_xor_b32 s7, s16, -1
	s_and_b32 s9, s7, vcc_lo
	s_and_saveexec_b32 s7, s9
	s_cbranch_execz .LBB108_16
; %bb.15:
	v_ashrrev_i32_e32 v231, 31, v230
	v_lshlrev_b64 v[210:211], 2, v[230:231]
	s_waitcnt vmcnt(1)
	v_add_co_u32 v210, vcc_lo, v218, v210
	s_waitcnt vmcnt(0)
	v_add_co_ci_u32_e64 v211, null, v219, v211, vcc_lo
	s_clause 0x1
	global_load_dword v0, v[210:211], off
	global_load_dword v212, v[218:219], off
	s_waitcnt vmcnt(1)
	global_store_dword v[218:219], v0, off
	s_waitcnt vmcnt(0)
	global_store_dword v[210:211], v212, off
.LBB108_16:
	s_or_b32 exec_lo, exec_lo, s7
	v_mov_b32_e32 v0, v230
.LBB108_17:
	s_or_b32 exec_lo, exec_lo, s1
.LBB108_18:
	s_or_saveexec_b32 s0, s0
	v_mov_b32_e32 v236, v0
	s_xor_b32 exec_lo, exec_lo, s0
	s_cbranch_execz .LBB108_20
; %bb.19:
	v_mov_b32_e32 v236, 0
	s_waitcnt vmcnt(6)
	ds_write2_b64 v1, v[245:246], v[247:248] offset0:2 offset1:3
	s_waitcnt vmcnt(2)
	ds_write2_b64 v1, v[226:227], v[228:229] offset0:4 offset1:5
	ds_write2_b64 v1, v[206:207], v[208:209] offset0:6 offset1:7
	;; [unrolled: 1-line block ×53, first 2 shown]
.LBB108_20:
	s_or_b32 exec_lo, exec_lo, s0
	s_mov_b32 s0, exec_lo
	s_waitcnt vmcnt(0) lgkmcnt(0)
	s_waitcnt_vscnt null, 0x0
	s_barrier
	buffer_gl0_inv
	v_cmpx_lt_i32_e32 0, v236
	s_cbranch_execz .LBB108_22
; %bb.21:
	v_mul_f64 v[210:211], v[224:225], v[251:252]
	v_fma_f64 v[230:231], v[222:223], v[249:250], -v[210:211]
	v_mul_f64 v[210:211], v[222:223], v[251:252]
	v_fma_f64 v[251:252], v[224:225], v[249:250], v[210:211]
	ds_read2_b64 v[222:225], v1 offset0:2 offset1:3
	v_mov_b32_e32 v250, v231
	v_mov_b32_e32 v249, v230
	s_waitcnt lgkmcnt(0)
	v_mul_f64 v[210:211], v[224:225], v[251:252]
	v_mul_f64 v[212:213], v[222:223], v[251:252]
	v_fma_f64 v[210:211], v[222:223], v[230:231], -v[210:211]
	v_fma_f64 v[212:213], v[224:225], v[230:231], v[212:213]
	ds_read2_b64 v[222:225], v1 offset0:4 offset1:5
	v_add_f64 v[245:246], v[245:246], -v[210:211]
	v_add_f64 v[247:248], v[247:248], -v[212:213]
	s_waitcnt lgkmcnt(0)
	v_mul_f64 v[210:211], v[224:225], v[251:252]
	v_mul_f64 v[212:213], v[222:223], v[251:252]
	v_fma_f64 v[210:211], v[222:223], v[230:231], -v[210:211]
	v_fma_f64 v[212:213], v[224:225], v[230:231], v[212:213]
	ds_read2_b64 v[222:225], v1 offset0:6 offset1:7
	v_add_f64 v[226:227], v[226:227], -v[210:211]
	v_add_f64 v[228:229], v[228:229], -v[212:213]
	;; [unrolled: 8-line block ×53, first 2 shown]
	s_waitcnt lgkmcnt(0)
	v_mul_f64 v[210:211], v[224:225], v[251:252]
	v_mul_f64 v[212:213], v[222:223], v[251:252]
	v_fma_f64 v[210:211], v[222:223], v[230:231], -v[210:211]
	v_fma_f64 v[212:213], v[224:225], v[230:231], v[212:213]
	v_add_f64 v[2:3], v[2:3], -v[210:211]
	v_add_f64 v[4:5], v[4:5], -v[212:213]
.LBB108_22:
	s_or_b32 exec_lo, exec_lo, s0
	v_lshl_add_u32 v210, v236, 4, v1
	s_barrier
	buffer_gl0_inv
	v_mov_b32_e32 v230, 1
	ds_write2_b64 v210, v[245:246], v[247:248] offset1:1
	s_waitcnt lgkmcnt(0)
	s_barrier
	buffer_gl0_inv
	ds_read2_b64 v[222:225], v1 offset0:2 offset1:3
	s_cmp_lt_i32 s8, 3
	s_cbranch_scc1 .LBB108_25
; %bb.23:
	v_add3_u32 v231, v253, 0, 32
	v_mov_b32_e32 v230, 1
	s_mov_b32 s1, 2
	s_inst_prefetch 0x1
	.p2align	6
.LBB108_24:                             ; =>This Inner Loop Header: Depth=1
	s_waitcnt lgkmcnt(0)
	v_cmp_gt_f64_e32 vcc_lo, 0, v[224:225]
	v_cmp_gt_f64_e64 s0, 0, v[222:223]
	ds_read2_b64 v[238:241], v231 offset1:1
	v_xor_b32_e32 v211, 0x80000000, v223
	v_xor_b32_e32 v213, 0x80000000, v225
	v_mov_b32_e32 v210, v222
	v_mov_b32_e32 v212, v224
	v_add_nc_u32_e32 v231, 16, v231
	s_waitcnt lgkmcnt(0)
	v_xor_b32_e32 v215, 0x80000000, v241
	v_cndmask_b32_e64 v211, v223, v211, s0
	v_cndmask_b32_e32 v213, v225, v213, vcc_lo
	v_cmp_gt_f64_e32 vcc_lo, 0, v[240:241]
	v_cmp_gt_f64_e64 s0, 0, v[238:239]
	v_mov_b32_e32 v214, v240
	v_add_f64 v[210:211], v[210:211], v[212:213]
	v_xor_b32_e32 v213, 0x80000000, v239
	v_mov_b32_e32 v212, v238
	v_cndmask_b32_e32 v215, v241, v215, vcc_lo
	v_cndmask_b32_e64 v213, v239, v213, s0
	v_add_f64 v[212:213], v[212:213], v[214:215]
	v_cmp_lt_f64_e32 vcc_lo, v[210:211], v[212:213]
	v_cndmask_b32_e32 v223, v223, v239, vcc_lo
	v_cndmask_b32_e32 v222, v222, v238, vcc_lo
	;; [unrolled: 1-line block ×4, first 2 shown]
	v_cndmask_b32_e64 v230, v230, s1, vcc_lo
	s_add_i32 s1, s1, 1
	s_cmp_lg_u32 s8, s1
	s_cbranch_scc1 .LBB108_24
.LBB108_25:
	s_inst_prefetch 0x2
	s_waitcnt lgkmcnt(0)
	v_cmp_neq_f64_e32 vcc_lo, 0, v[222:223]
	v_cmp_neq_f64_e64 s0, 0, v[224:225]
	s_or_b32 s1, vcc_lo, s0
	s_and_saveexec_b32 s0, s1
	s_cbranch_execz .LBB108_31
; %bb.26:
	v_cmp_ngt_f64_e64 s1, |v[222:223]|, |v[224:225]|
	s_and_saveexec_b32 s7, s1
	s_xor_b32 s1, exec_lo, s7
	s_cbranch_execz .LBB108_28
; %bb.27:
	v_div_scale_f64 v[210:211], null, v[224:225], v[224:225], v[222:223]
	v_div_scale_f64 v[216:217], vcc_lo, v[222:223], v[224:225], v[222:223]
	v_rcp_f64_e32 v[212:213], v[210:211]
	v_fma_f64 v[214:215], -v[210:211], v[212:213], 1.0
	v_fma_f64 v[212:213], v[212:213], v[214:215], v[212:213]
	v_fma_f64 v[214:215], -v[210:211], v[212:213], 1.0
	v_fma_f64 v[212:213], v[212:213], v[214:215], v[212:213]
	v_mul_f64 v[214:215], v[216:217], v[212:213]
	v_fma_f64 v[210:211], -v[210:211], v[214:215], v[216:217]
	v_div_fmas_f64 v[210:211], v[210:211], v[212:213], v[214:215]
	v_div_fixup_f64 v[210:211], v[210:211], v[224:225], v[222:223]
	v_fma_f64 v[212:213], v[222:223], v[210:211], v[224:225]
	v_div_scale_f64 v[214:215], null, v[212:213], v[212:213], 1.0
	v_rcp_f64_e32 v[216:217], v[214:215]
	v_fma_f64 v[222:223], -v[214:215], v[216:217], 1.0
	v_fma_f64 v[216:217], v[216:217], v[222:223], v[216:217]
	v_fma_f64 v[222:223], -v[214:215], v[216:217], 1.0
	v_fma_f64 v[216:217], v[216:217], v[222:223], v[216:217]
	v_div_scale_f64 v[222:223], vcc_lo, 1.0, v[212:213], 1.0
	v_mul_f64 v[224:225], v[222:223], v[216:217]
	v_fma_f64 v[214:215], -v[214:215], v[224:225], v[222:223]
	v_div_fmas_f64 v[214:215], v[214:215], v[216:217], v[224:225]
	v_div_fixup_f64 v[224:225], v[214:215], v[212:213], 1.0
	v_mul_f64 v[222:223], v[210:211], v[224:225]
	v_xor_b32_e32 v225, 0x80000000, v225
.LBB108_28:
	s_andn2_saveexec_b32 s1, s1
	s_cbranch_execz .LBB108_30
; %bb.29:
	v_div_scale_f64 v[210:211], null, v[222:223], v[222:223], v[224:225]
	v_div_scale_f64 v[216:217], vcc_lo, v[224:225], v[222:223], v[224:225]
	v_rcp_f64_e32 v[212:213], v[210:211]
	v_fma_f64 v[214:215], -v[210:211], v[212:213], 1.0
	v_fma_f64 v[212:213], v[212:213], v[214:215], v[212:213]
	v_fma_f64 v[214:215], -v[210:211], v[212:213], 1.0
	v_fma_f64 v[212:213], v[212:213], v[214:215], v[212:213]
	v_mul_f64 v[214:215], v[216:217], v[212:213]
	v_fma_f64 v[210:211], -v[210:211], v[214:215], v[216:217]
	v_div_fmas_f64 v[210:211], v[210:211], v[212:213], v[214:215]
	v_div_fixup_f64 v[210:211], v[210:211], v[222:223], v[224:225]
	v_fma_f64 v[212:213], v[224:225], v[210:211], v[222:223]
	v_div_scale_f64 v[214:215], null, v[212:213], v[212:213], 1.0
	v_rcp_f64_e32 v[216:217], v[214:215]
	v_fma_f64 v[222:223], -v[214:215], v[216:217], 1.0
	v_fma_f64 v[216:217], v[216:217], v[222:223], v[216:217]
	v_fma_f64 v[222:223], -v[214:215], v[216:217], 1.0
	v_fma_f64 v[216:217], v[216:217], v[222:223], v[216:217]
	v_div_scale_f64 v[222:223], vcc_lo, 1.0, v[212:213], 1.0
	v_mul_f64 v[224:225], v[222:223], v[216:217]
	v_fma_f64 v[214:215], -v[214:215], v[224:225], v[222:223]
	v_div_fmas_f64 v[214:215], v[214:215], v[216:217], v[224:225]
	v_div_fixup_f64 v[222:223], v[214:215], v[212:213], 1.0
	v_mul_f64 v[224:225], v[210:211], -v[222:223]
.LBB108_30:
	s_or_b32 exec_lo, exec_lo, s1
	v_mov_b32_e32 v235, v237
.LBB108_31:
	s_or_b32 exec_lo, exec_lo, s0
	s_mov_b32 s0, exec_lo
	v_cmpx_ne_u32_e64 v236, v230
	s_xor_b32 s0, exec_lo, s0
	s_cbranch_execz .LBB108_37
; %bb.32:
	s_mov_b32 s1, exec_lo
	v_cmpx_eq_u32_e32 1, v236
	s_cbranch_execz .LBB108_36
; %bb.33:
	v_cmp_ne_u32_e32 vcc_lo, 1, v230
	s_xor_b32 s7, s16, -1
	s_and_b32 s9, s7, vcc_lo
	s_and_saveexec_b32 s7, s9
	s_cbranch_execz .LBB108_35
; %bb.34:
	v_ashrrev_i32_e32 v231, 31, v230
	v_lshlrev_b64 v[210:211], 2, v[230:231]
	v_add_co_u32 v210, vcc_lo, v218, v210
	v_add_co_ci_u32_e64 v211, null, v219, v211, vcc_lo
	s_clause 0x1
	global_load_dword v0, v[210:211], off
	global_load_dword v212, v[218:219], off offset:4
	s_waitcnt vmcnt(1)
	global_store_dword v[218:219], v0, off offset:4
	s_waitcnt vmcnt(0)
	global_store_dword v[210:211], v212, off
.LBB108_35:
	s_or_b32 exec_lo, exec_lo, s7
	v_mov_b32_e32 v236, v230
	v_mov_b32_e32 v0, v230
.LBB108_36:
	s_or_b32 exec_lo, exec_lo, s1
.LBB108_37:
	s_andn2_saveexec_b32 s0, s0
	s_cbranch_execz .LBB108_39
; %bb.38:
	v_mov_b32_e32 v236, 1
	ds_write2_b64 v1, v[226:227], v[228:229] offset0:4 offset1:5
	ds_write2_b64 v1, v[206:207], v[208:209] offset0:6 offset1:7
	;; [unrolled: 1-line block ×53, first 2 shown]
.LBB108_39:
	s_or_b32 exec_lo, exec_lo, s0
	s_mov_b32 s0, exec_lo
	s_waitcnt lgkmcnt(0)
	s_waitcnt_vscnt null, 0x0
	s_barrier
	buffer_gl0_inv
	v_cmpx_lt_i32_e32 1, v236
	s_cbranch_execz .LBB108_41
; %bb.40:
	v_mul_f64 v[210:211], v[224:225], v[247:248]
	v_fma_f64 v[230:231], v[222:223], v[245:246], -v[210:211]
	v_mul_f64 v[210:211], v[222:223], v[247:248]
	v_fma_f64 v[247:248], v[224:225], v[245:246], v[210:211]
	ds_read2_b64 v[222:225], v1 offset0:4 offset1:5
	v_mov_b32_e32 v246, v231
	v_mov_b32_e32 v245, v230
	s_waitcnt lgkmcnt(0)
	v_mul_f64 v[210:211], v[224:225], v[247:248]
	v_mul_f64 v[212:213], v[222:223], v[247:248]
	v_fma_f64 v[210:211], v[222:223], v[230:231], -v[210:211]
	v_fma_f64 v[212:213], v[224:225], v[230:231], v[212:213]
	ds_read2_b64 v[222:225], v1 offset0:6 offset1:7
	v_add_f64 v[226:227], v[226:227], -v[210:211]
	v_add_f64 v[228:229], v[228:229], -v[212:213]
	s_waitcnt lgkmcnt(0)
	v_mul_f64 v[210:211], v[224:225], v[247:248]
	v_mul_f64 v[212:213], v[222:223], v[247:248]
	v_fma_f64 v[210:211], v[222:223], v[230:231], -v[210:211]
	v_fma_f64 v[212:213], v[224:225], v[230:231], v[212:213]
	ds_read2_b64 v[222:225], v1 offset0:8 offset1:9
	v_add_f64 v[206:207], v[206:207], -v[210:211]
	v_add_f64 v[208:209], v[208:209], -v[212:213]
	;; [unrolled: 8-line block ×52, first 2 shown]
	s_waitcnt lgkmcnt(0)
	v_mul_f64 v[210:211], v[224:225], v[247:248]
	v_mul_f64 v[212:213], v[222:223], v[247:248]
	v_fma_f64 v[210:211], v[222:223], v[230:231], -v[210:211]
	v_fma_f64 v[212:213], v[224:225], v[230:231], v[212:213]
	v_add_f64 v[2:3], v[2:3], -v[210:211]
	v_add_f64 v[4:5], v[4:5], -v[212:213]
.LBB108_41:
	s_or_b32 exec_lo, exec_lo, s0
	v_lshl_add_u32 v210, v236, 4, v1
	s_barrier
	buffer_gl0_inv
	v_mov_b32_e32 v230, 2
	ds_write2_b64 v210, v[226:227], v[228:229] offset1:1
	s_waitcnt lgkmcnt(0)
	s_barrier
	buffer_gl0_inv
	ds_read2_b64 v[222:225], v1 offset0:4 offset1:5
	s_cmp_lt_i32 s8, 4
	s_cbranch_scc1 .LBB108_44
; %bb.42:
	v_add3_u32 v231, v253, 0, 48
	v_mov_b32_e32 v230, 2
	s_mov_b32 s1, 3
	s_inst_prefetch 0x1
	.p2align	6
.LBB108_43:                             ; =>This Inner Loop Header: Depth=1
	s_waitcnt lgkmcnt(0)
	v_cmp_gt_f64_e32 vcc_lo, 0, v[224:225]
	v_cmp_gt_f64_e64 s0, 0, v[222:223]
	ds_read2_b64 v[237:240], v231 offset1:1
	v_xor_b32_e32 v211, 0x80000000, v223
	v_xor_b32_e32 v213, 0x80000000, v225
	v_mov_b32_e32 v210, v222
	v_mov_b32_e32 v212, v224
	v_add_nc_u32_e32 v231, 16, v231
	s_waitcnt lgkmcnt(0)
	v_xor_b32_e32 v215, 0x80000000, v240
	v_cndmask_b32_e64 v211, v223, v211, s0
	v_cndmask_b32_e32 v213, v225, v213, vcc_lo
	v_cmp_gt_f64_e32 vcc_lo, 0, v[239:240]
	v_cmp_gt_f64_e64 s0, 0, v[237:238]
	v_mov_b32_e32 v214, v239
	v_add_f64 v[210:211], v[210:211], v[212:213]
	v_xor_b32_e32 v213, 0x80000000, v238
	v_mov_b32_e32 v212, v237
	v_cndmask_b32_e32 v215, v240, v215, vcc_lo
	v_cndmask_b32_e64 v213, v238, v213, s0
	v_add_f64 v[212:213], v[212:213], v[214:215]
	v_cmp_lt_f64_e32 vcc_lo, v[210:211], v[212:213]
	v_cndmask_b32_e32 v223, v223, v238, vcc_lo
	v_cndmask_b32_e32 v222, v222, v237, vcc_lo
	;; [unrolled: 1-line block ×4, first 2 shown]
	v_cndmask_b32_e64 v230, v230, s1, vcc_lo
	s_add_i32 s1, s1, 1
	s_cmp_lg_u32 s8, s1
	s_cbranch_scc1 .LBB108_43
.LBB108_44:
	s_inst_prefetch 0x2
	s_waitcnt lgkmcnt(0)
	v_cmp_eq_f64_e32 vcc_lo, 0, v[222:223]
	v_cmp_eq_f64_e64 s0, 0, v[224:225]
	s_and_b32 s0, vcc_lo, s0
	s_and_saveexec_b32 s1, s0
	s_xor_b32 s0, exec_lo, s1
; %bb.45:
	v_cmp_ne_u32_e32 vcc_lo, 0, v235
	v_cndmask_b32_e32 v235, 3, v235, vcc_lo
; %bb.46:
	s_andn2_saveexec_b32 s0, s0
	s_cbranch_execz .LBB108_52
; %bb.47:
	v_cmp_ngt_f64_e64 s1, |v[222:223]|, |v[224:225]|
	s_and_saveexec_b32 s7, s1
	s_xor_b32 s1, exec_lo, s7
	s_cbranch_execz .LBB108_49
; %bb.48:
	v_div_scale_f64 v[210:211], null, v[224:225], v[224:225], v[222:223]
	v_div_scale_f64 v[216:217], vcc_lo, v[222:223], v[224:225], v[222:223]
	v_rcp_f64_e32 v[212:213], v[210:211]
	v_fma_f64 v[214:215], -v[210:211], v[212:213], 1.0
	v_fma_f64 v[212:213], v[212:213], v[214:215], v[212:213]
	v_fma_f64 v[214:215], -v[210:211], v[212:213], 1.0
	v_fma_f64 v[212:213], v[212:213], v[214:215], v[212:213]
	v_mul_f64 v[214:215], v[216:217], v[212:213]
	v_fma_f64 v[210:211], -v[210:211], v[214:215], v[216:217]
	v_div_fmas_f64 v[210:211], v[210:211], v[212:213], v[214:215]
	v_div_fixup_f64 v[210:211], v[210:211], v[224:225], v[222:223]
	v_fma_f64 v[212:213], v[222:223], v[210:211], v[224:225]
	v_div_scale_f64 v[214:215], null, v[212:213], v[212:213], 1.0
	v_rcp_f64_e32 v[216:217], v[214:215]
	v_fma_f64 v[222:223], -v[214:215], v[216:217], 1.0
	v_fma_f64 v[216:217], v[216:217], v[222:223], v[216:217]
	v_fma_f64 v[222:223], -v[214:215], v[216:217], 1.0
	v_fma_f64 v[216:217], v[216:217], v[222:223], v[216:217]
	v_div_scale_f64 v[222:223], vcc_lo, 1.0, v[212:213], 1.0
	v_mul_f64 v[224:225], v[222:223], v[216:217]
	v_fma_f64 v[214:215], -v[214:215], v[224:225], v[222:223]
	v_div_fmas_f64 v[214:215], v[214:215], v[216:217], v[224:225]
	v_div_fixup_f64 v[224:225], v[214:215], v[212:213], 1.0
	v_mul_f64 v[222:223], v[210:211], v[224:225]
	v_xor_b32_e32 v225, 0x80000000, v225
.LBB108_49:
	s_andn2_saveexec_b32 s1, s1
	s_cbranch_execz .LBB108_51
; %bb.50:
	v_div_scale_f64 v[210:211], null, v[222:223], v[222:223], v[224:225]
	v_div_scale_f64 v[216:217], vcc_lo, v[224:225], v[222:223], v[224:225]
	v_rcp_f64_e32 v[212:213], v[210:211]
	v_fma_f64 v[214:215], -v[210:211], v[212:213], 1.0
	v_fma_f64 v[212:213], v[212:213], v[214:215], v[212:213]
	v_fma_f64 v[214:215], -v[210:211], v[212:213], 1.0
	v_fma_f64 v[212:213], v[212:213], v[214:215], v[212:213]
	v_mul_f64 v[214:215], v[216:217], v[212:213]
	v_fma_f64 v[210:211], -v[210:211], v[214:215], v[216:217]
	v_div_fmas_f64 v[210:211], v[210:211], v[212:213], v[214:215]
	v_div_fixup_f64 v[210:211], v[210:211], v[222:223], v[224:225]
	v_fma_f64 v[212:213], v[224:225], v[210:211], v[222:223]
	v_div_scale_f64 v[214:215], null, v[212:213], v[212:213], 1.0
	v_rcp_f64_e32 v[216:217], v[214:215]
	v_fma_f64 v[222:223], -v[214:215], v[216:217], 1.0
	v_fma_f64 v[216:217], v[216:217], v[222:223], v[216:217]
	v_fma_f64 v[222:223], -v[214:215], v[216:217], 1.0
	v_fma_f64 v[216:217], v[216:217], v[222:223], v[216:217]
	v_div_scale_f64 v[222:223], vcc_lo, 1.0, v[212:213], 1.0
	v_mul_f64 v[224:225], v[222:223], v[216:217]
	v_fma_f64 v[214:215], -v[214:215], v[224:225], v[222:223]
	v_div_fmas_f64 v[214:215], v[214:215], v[216:217], v[224:225]
	v_div_fixup_f64 v[222:223], v[214:215], v[212:213], 1.0
	v_mul_f64 v[224:225], v[210:211], -v[222:223]
.LBB108_51:
	s_or_b32 exec_lo, exec_lo, s1
.LBB108_52:
	s_or_b32 exec_lo, exec_lo, s0
	s_mov_b32 s0, exec_lo
	v_cmpx_ne_u32_e64 v236, v230
	s_xor_b32 s0, exec_lo, s0
	s_cbranch_execz .LBB108_58
; %bb.53:
	s_mov_b32 s1, exec_lo
	v_cmpx_eq_u32_e32 2, v236
	s_cbranch_execz .LBB108_57
; %bb.54:
	v_cmp_ne_u32_e32 vcc_lo, 2, v230
	s_xor_b32 s7, s16, -1
	s_and_b32 s9, s7, vcc_lo
	s_and_saveexec_b32 s7, s9
	s_cbranch_execz .LBB108_56
; %bb.55:
	v_ashrrev_i32_e32 v231, 31, v230
	v_lshlrev_b64 v[210:211], 2, v[230:231]
	v_add_co_u32 v210, vcc_lo, v218, v210
	v_add_co_ci_u32_e64 v211, null, v219, v211, vcc_lo
	s_clause 0x1
	global_load_dword v0, v[210:211], off
	global_load_dword v212, v[218:219], off offset:8
	s_waitcnt vmcnt(1)
	global_store_dword v[218:219], v0, off offset:8
	s_waitcnt vmcnt(0)
	global_store_dword v[210:211], v212, off
.LBB108_56:
	s_or_b32 exec_lo, exec_lo, s7
	v_mov_b32_e32 v236, v230
	v_mov_b32_e32 v0, v230
.LBB108_57:
	s_or_b32 exec_lo, exec_lo, s1
.LBB108_58:
	s_andn2_saveexec_b32 s0, s0
	s_cbranch_execz .LBB108_60
; %bb.59:
	v_mov_b32_e32 v236, 2
	ds_write2_b64 v1, v[206:207], v[208:209] offset0:6 offset1:7
	ds_write2_b64 v1, v[202:203], v[204:205] offset0:8 offset1:9
	;; [unrolled: 1-line block ×52, first 2 shown]
.LBB108_60:
	s_or_b32 exec_lo, exec_lo, s0
	s_mov_b32 s0, exec_lo
	s_waitcnt lgkmcnt(0)
	s_waitcnt_vscnt null, 0x0
	s_barrier
	buffer_gl0_inv
	v_cmpx_lt_i32_e32 2, v236
	s_cbranch_execz .LBB108_62
; %bb.61:
	v_mul_f64 v[210:211], v[224:225], v[228:229]
	v_fma_f64 v[230:231], v[222:223], v[226:227], -v[210:211]
	v_mul_f64 v[210:211], v[222:223], v[228:229]
	v_fma_f64 v[228:229], v[224:225], v[226:227], v[210:211]
	ds_read2_b64 v[222:225], v1 offset0:6 offset1:7
	v_mov_b32_e32 v226, v230
	v_mov_b32_e32 v227, v231
	s_waitcnt lgkmcnt(0)
	v_mul_f64 v[210:211], v[224:225], v[228:229]
	v_mul_f64 v[212:213], v[222:223], v[228:229]
	v_fma_f64 v[210:211], v[222:223], v[230:231], -v[210:211]
	v_fma_f64 v[212:213], v[224:225], v[230:231], v[212:213]
	ds_read2_b64 v[222:225], v1 offset0:8 offset1:9
	v_add_f64 v[206:207], v[206:207], -v[210:211]
	v_add_f64 v[208:209], v[208:209], -v[212:213]
	s_waitcnt lgkmcnt(0)
	v_mul_f64 v[210:211], v[224:225], v[228:229]
	v_mul_f64 v[212:213], v[222:223], v[228:229]
	v_fma_f64 v[210:211], v[222:223], v[230:231], -v[210:211]
	v_fma_f64 v[212:213], v[224:225], v[230:231], v[212:213]
	ds_read2_b64 v[222:225], v1 offset0:10 offset1:11
	v_add_f64 v[202:203], v[202:203], -v[210:211]
	v_add_f64 v[204:205], v[204:205], -v[212:213]
	;; [unrolled: 8-line block ×51, first 2 shown]
	s_waitcnt lgkmcnt(0)
	v_mul_f64 v[210:211], v[224:225], v[228:229]
	v_mul_f64 v[212:213], v[222:223], v[228:229]
	v_fma_f64 v[210:211], v[222:223], v[230:231], -v[210:211]
	v_fma_f64 v[212:213], v[224:225], v[230:231], v[212:213]
	v_add_f64 v[2:3], v[2:3], -v[210:211]
	v_add_f64 v[4:5], v[4:5], -v[212:213]
.LBB108_62:
	s_or_b32 exec_lo, exec_lo, s0
	v_lshl_add_u32 v210, v236, 4, v1
	s_barrier
	buffer_gl0_inv
	v_mov_b32_e32 v230, 3
	ds_write2_b64 v210, v[206:207], v[208:209] offset1:1
	s_waitcnt lgkmcnt(0)
	s_barrier
	buffer_gl0_inv
	ds_read2_b64 v[222:225], v1 offset0:6 offset1:7
	s_cmp_lt_i32 s8, 5
	s_mov_b32 s1, 4
	s_cbranch_scc1 .LBB108_65
; %bb.63:
	v_add3_u32 v231, v253, 0, 64
	v_mov_b32_e32 v230, 3
	s_inst_prefetch 0x1
	.p2align	6
.LBB108_64:                             ; =>This Inner Loop Header: Depth=1
	s_waitcnt lgkmcnt(0)
	v_cmp_gt_f64_e32 vcc_lo, 0, v[224:225]
	v_cmp_gt_f64_e64 s0, 0, v[222:223]
	ds_read2_b64 v[237:240], v231 offset1:1
	v_xor_b32_e32 v211, 0x80000000, v223
	v_xor_b32_e32 v213, 0x80000000, v225
	v_mov_b32_e32 v210, v222
	v_mov_b32_e32 v212, v224
	v_add_nc_u32_e32 v231, 16, v231
	s_waitcnt lgkmcnt(0)
	v_xor_b32_e32 v215, 0x80000000, v240
	v_cndmask_b32_e64 v211, v223, v211, s0
	v_cndmask_b32_e32 v213, v225, v213, vcc_lo
	v_cmp_gt_f64_e32 vcc_lo, 0, v[239:240]
	v_cmp_gt_f64_e64 s0, 0, v[237:238]
	v_mov_b32_e32 v214, v239
	v_add_f64 v[210:211], v[210:211], v[212:213]
	v_xor_b32_e32 v213, 0x80000000, v238
	v_mov_b32_e32 v212, v237
	v_cndmask_b32_e32 v215, v240, v215, vcc_lo
	v_cndmask_b32_e64 v213, v238, v213, s0
	v_add_f64 v[212:213], v[212:213], v[214:215]
	v_cmp_lt_f64_e32 vcc_lo, v[210:211], v[212:213]
	v_cndmask_b32_e32 v223, v223, v238, vcc_lo
	v_cndmask_b32_e32 v222, v222, v237, vcc_lo
	;; [unrolled: 1-line block ×4, first 2 shown]
	v_cndmask_b32_e64 v230, v230, s1, vcc_lo
	s_add_i32 s1, s1, 1
	s_cmp_lg_u32 s8, s1
	s_cbranch_scc1 .LBB108_64
.LBB108_65:
	s_inst_prefetch 0x2
	s_waitcnt lgkmcnt(0)
	v_cmp_eq_f64_e32 vcc_lo, 0, v[222:223]
	v_cmp_eq_f64_e64 s0, 0, v[224:225]
	s_and_b32 s0, vcc_lo, s0
	s_and_saveexec_b32 s1, s0
	s_xor_b32 s0, exec_lo, s1
; %bb.66:
	v_cmp_ne_u32_e32 vcc_lo, 0, v235
	v_cndmask_b32_e32 v235, 4, v235, vcc_lo
; %bb.67:
	s_andn2_saveexec_b32 s0, s0
	s_cbranch_execz .LBB108_73
; %bb.68:
	v_cmp_ngt_f64_e64 s1, |v[222:223]|, |v[224:225]|
	s_and_saveexec_b32 s7, s1
	s_xor_b32 s1, exec_lo, s7
	s_cbranch_execz .LBB108_70
; %bb.69:
	v_div_scale_f64 v[210:211], null, v[224:225], v[224:225], v[222:223]
	v_div_scale_f64 v[216:217], vcc_lo, v[222:223], v[224:225], v[222:223]
	v_rcp_f64_e32 v[212:213], v[210:211]
	v_fma_f64 v[214:215], -v[210:211], v[212:213], 1.0
	v_fma_f64 v[212:213], v[212:213], v[214:215], v[212:213]
	v_fma_f64 v[214:215], -v[210:211], v[212:213], 1.0
	v_fma_f64 v[212:213], v[212:213], v[214:215], v[212:213]
	v_mul_f64 v[214:215], v[216:217], v[212:213]
	v_fma_f64 v[210:211], -v[210:211], v[214:215], v[216:217]
	v_div_fmas_f64 v[210:211], v[210:211], v[212:213], v[214:215]
	v_div_fixup_f64 v[210:211], v[210:211], v[224:225], v[222:223]
	v_fma_f64 v[212:213], v[222:223], v[210:211], v[224:225]
	v_div_scale_f64 v[214:215], null, v[212:213], v[212:213], 1.0
	v_rcp_f64_e32 v[216:217], v[214:215]
	v_fma_f64 v[222:223], -v[214:215], v[216:217], 1.0
	v_fma_f64 v[216:217], v[216:217], v[222:223], v[216:217]
	v_fma_f64 v[222:223], -v[214:215], v[216:217], 1.0
	v_fma_f64 v[216:217], v[216:217], v[222:223], v[216:217]
	v_div_scale_f64 v[222:223], vcc_lo, 1.0, v[212:213], 1.0
	v_mul_f64 v[224:225], v[222:223], v[216:217]
	v_fma_f64 v[214:215], -v[214:215], v[224:225], v[222:223]
	v_div_fmas_f64 v[214:215], v[214:215], v[216:217], v[224:225]
	v_div_fixup_f64 v[224:225], v[214:215], v[212:213], 1.0
	v_mul_f64 v[222:223], v[210:211], v[224:225]
	v_xor_b32_e32 v225, 0x80000000, v225
.LBB108_70:
	s_andn2_saveexec_b32 s1, s1
	s_cbranch_execz .LBB108_72
; %bb.71:
	v_div_scale_f64 v[210:211], null, v[222:223], v[222:223], v[224:225]
	v_div_scale_f64 v[216:217], vcc_lo, v[224:225], v[222:223], v[224:225]
	v_rcp_f64_e32 v[212:213], v[210:211]
	v_fma_f64 v[214:215], -v[210:211], v[212:213], 1.0
	v_fma_f64 v[212:213], v[212:213], v[214:215], v[212:213]
	v_fma_f64 v[214:215], -v[210:211], v[212:213], 1.0
	v_fma_f64 v[212:213], v[212:213], v[214:215], v[212:213]
	v_mul_f64 v[214:215], v[216:217], v[212:213]
	v_fma_f64 v[210:211], -v[210:211], v[214:215], v[216:217]
	v_div_fmas_f64 v[210:211], v[210:211], v[212:213], v[214:215]
	v_div_fixup_f64 v[210:211], v[210:211], v[222:223], v[224:225]
	v_fma_f64 v[212:213], v[224:225], v[210:211], v[222:223]
	v_div_scale_f64 v[214:215], null, v[212:213], v[212:213], 1.0
	v_rcp_f64_e32 v[216:217], v[214:215]
	v_fma_f64 v[222:223], -v[214:215], v[216:217], 1.0
	v_fma_f64 v[216:217], v[216:217], v[222:223], v[216:217]
	v_fma_f64 v[222:223], -v[214:215], v[216:217], 1.0
	v_fma_f64 v[216:217], v[216:217], v[222:223], v[216:217]
	v_div_scale_f64 v[222:223], vcc_lo, 1.0, v[212:213], 1.0
	v_mul_f64 v[224:225], v[222:223], v[216:217]
	v_fma_f64 v[214:215], -v[214:215], v[224:225], v[222:223]
	v_div_fmas_f64 v[214:215], v[214:215], v[216:217], v[224:225]
	v_div_fixup_f64 v[222:223], v[214:215], v[212:213], 1.0
	v_mul_f64 v[224:225], v[210:211], -v[222:223]
.LBB108_72:
	s_or_b32 exec_lo, exec_lo, s1
.LBB108_73:
	s_or_b32 exec_lo, exec_lo, s0
	s_mov_b32 s0, exec_lo
	v_cmpx_ne_u32_e64 v236, v230
	s_xor_b32 s0, exec_lo, s0
	s_cbranch_execz .LBB108_79
; %bb.74:
	s_mov_b32 s1, exec_lo
	v_cmpx_eq_u32_e32 3, v236
	s_cbranch_execz .LBB108_78
; %bb.75:
	v_cmp_ne_u32_e32 vcc_lo, 3, v230
	s_xor_b32 s7, s16, -1
	s_and_b32 s9, s7, vcc_lo
	s_and_saveexec_b32 s7, s9
	s_cbranch_execz .LBB108_77
; %bb.76:
	v_ashrrev_i32_e32 v231, 31, v230
	v_lshlrev_b64 v[210:211], 2, v[230:231]
	v_add_co_u32 v210, vcc_lo, v218, v210
	v_add_co_ci_u32_e64 v211, null, v219, v211, vcc_lo
	s_clause 0x1
	global_load_dword v0, v[210:211], off
	global_load_dword v212, v[218:219], off offset:12
	s_waitcnt vmcnt(1)
	global_store_dword v[218:219], v0, off offset:12
	s_waitcnt vmcnt(0)
	global_store_dword v[210:211], v212, off
.LBB108_77:
	s_or_b32 exec_lo, exec_lo, s7
	v_mov_b32_e32 v236, v230
	v_mov_b32_e32 v0, v230
.LBB108_78:
	s_or_b32 exec_lo, exec_lo, s1
.LBB108_79:
	s_andn2_saveexec_b32 s0, s0
	s_cbranch_execz .LBB108_81
; %bb.80:
	v_mov_b32_e32 v236, 3
	ds_write2_b64 v1, v[202:203], v[204:205] offset0:8 offset1:9
	ds_write2_b64 v1, v[198:199], v[200:201] offset0:10 offset1:11
	;; [unrolled: 1-line block ×51, first 2 shown]
.LBB108_81:
	s_or_b32 exec_lo, exec_lo, s0
	s_mov_b32 s0, exec_lo
	s_waitcnt lgkmcnt(0)
	s_waitcnt_vscnt null, 0x0
	s_barrier
	buffer_gl0_inv
	v_cmpx_lt_i32_e32 3, v236
	s_cbranch_execz .LBB108_83
; %bb.82:
	v_mul_f64 v[210:211], v[224:225], v[208:209]
	v_mul_f64 v[208:209], v[222:223], v[208:209]
	v_fma_f64 v[230:231], v[222:223], v[206:207], -v[210:211]
	v_fma_f64 v[208:209], v[224:225], v[206:207], v[208:209]
	ds_read2_b64 v[222:225], v1 offset0:8 offset1:9
	s_waitcnt lgkmcnt(0)
	v_mul_f64 v[206:207], v[224:225], v[208:209]
	v_mul_f64 v[210:211], v[222:223], v[208:209]
	v_fma_f64 v[206:207], v[222:223], v[230:231], -v[206:207]
	v_fma_f64 v[210:211], v[224:225], v[230:231], v[210:211]
	ds_read2_b64 v[222:225], v1 offset0:10 offset1:11
	v_add_f64 v[202:203], v[202:203], -v[206:207]
	v_add_f64 v[204:205], v[204:205], -v[210:211]
	s_waitcnt lgkmcnt(0)
	v_mul_f64 v[206:207], v[224:225], v[208:209]
	v_mul_f64 v[210:211], v[222:223], v[208:209]
	v_fma_f64 v[206:207], v[222:223], v[230:231], -v[206:207]
	v_fma_f64 v[210:211], v[224:225], v[230:231], v[210:211]
	ds_read2_b64 v[222:225], v1 offset0:12 offset1:13
	v_add_f64 v[198:199], v[198:199], -v[206:207]
	v_add_f64 v[200:201], v[200:201], -v[210:211]
	;; [unrolled: 8-line block ×50, first 2 shown]
	s_waitcnt lgkmcnt(0)
	v_mul_f64 v[206:207], v[224:225], v[208:209]
	v_mul_f64 v[210:211], v[222:223], v[208:209]
	v_fma_f64 v[206:207], v[222:223], v[230:231], -v[206:207]
	v_fma_f64 v[210:211], v[224:225], v[230:231], v[210:211]
	v_add_f64 v[2:3], v[2:3], -v[206:207]
	v_add_f64 v[4:5], v[4:5], -v[210:211]
	v_mov_b32_e32 v206, v230
	v_mov_b32_e32 v207, v231
.LBB108_83:
	s_or_b32 exec_lo, exec_lo, s0
	v_lshl_add_u32 v210, v236, 4, v1
	s_barrier
	buffer_gl0_inv
	v_mov_b32_e32 v230, 4
	ds_write2_b64 v210, v[202:203], v[204:205] offset1:1
	s_waitcnt lgkmcnt(0)
	s_barrier
	buffer_gl0_inv
	ds_read2_b64 v[222:225], v1 offset0:8 offset1:9
	s_cmp_lt_i32 s8, 6
	s_cbranch_scc1 .LBB108_86
; %bb.84:
	v_mov_b32_e32 v230, 4
	v_add3_u32 v231, v253, 0, 0x50
	s_mov_b32 s1, 5
	s_inst_prefetch 0x1
	.p2align	6
.LBB108_85:                             ; =>This Inner Loop Header: Depth=1
	s_waitcnt lgkmcnt(0)
	v_cmp_gt_f64_e32 vcc_lo, 0, v[224:225]
	v_cmp_gt_f64_e64 s0, 0, v[222:223]
	ds_read2_b64 v[237:240], v231 offset1:1
	v_xor_b32_e32 v211, 0x80000000, v223
	v_xor_b32_e32 v213, 0x80000000, v225
	v_mov_b32_e32 v210, v222
	v_mov_b32_e32 v212, v224
	v_add_nc_u32_e32 v231, 16, v231
	s_waitcnt lgkmcnt(0)
	v_xor_b32_e32 v215, 0x80000000, v240
	v_cndmask_b32_e64 v211, v223, v211, s0
	v_cndmask_b32_e32 v213, v225, v213, vcc_lo
	v_cmp_gt_f64_e32 vcc_lo, 0, v[239:240]
	v_cmp_gt_f64_e64 s0, 0, v[237:238]
	v_mov_b32_e32 v214, v239
	v_add_f64 v[210:211], v[210:211], v[212:213]
	v_xor_b32_e32 v213, 0x80000000, v238
	v_mov_b32_e32 v212, v237
	v_cndmask_b32_e32 v215, v240, v215, vcc_lo
	v_cndmask_b32_e64 v213, v238, v213, s0
	v_add_f64 v[212:213], v[212:213], v[214:215]
	v_cmp_lt_f64_e32 vcc_lo, v[210:211], v[212:213]
	v_cndmask_b32_e32 v223, v223, v238, vcc_lo
	v_cndmask_b32_e32 v222, v222, v237, vcc_lo
	;; [unrolled: 1-line block ×4, first 2 shown]
	v_cndmask_b32_e64 v230, v230, s1, vcc_lo
	s_add_i32 s1, s1, 1
	s_cmp_lg_u32 s8, s1
	s_cbranch_scc1 .LBB108_85
.LBB108_86:
	s_inst_prefetch 0x2
	s_waitcnt lgkmcnt(0)
	v_cmp_eq_f64_e32 vcc_lo, 0, v[222:223]
	v_cmp_eq_f64_e64 s0, 0, v[224:225]
	s_and_b32 s0, vcc_lo, s0
	s_and_saveexec_b32 s1, s0
	s_xor_b32 s0, exec_lo, s1
; %bb.87:
	v_cmp_ne_u32_e32 vcc_lo, 0, v235
	v_cndmask_b32_e32 v235, 5, v235, vcc_lo
; %bb.88:
	s_andn2_saveexec_b32 s0, s0
	s_cbranch_execz .LBB108_94
; %bb.89:
	v_cmp_ngt_f64_e64 s1, |v[222:223]|, |v[224:225]|
	s_and_saveexec_b32 s7, s1
	s_xor_b32 s1, exec_lo, s7
	s_cbranch_execz .LBB108_91
; %bb.90:
	v_div_scale_f64 v[210:211], null, v[224:225], v[224:225], v[222:223]
	v_div_scale_f64 v[216:217], vcc_lo, v[222:223], v[224:225], v[222:223]
	v_rcp_f64_e32 v[212:213], v[210:211]
	v_fma_f64 v[214:215], -v[210:211], v[212:213], 1.0
	v_fma_f64 v[212:213], v[212:213], v[214:215], v[212:213]
	v_fma_f64 v[214:215], -v[210:211], v[212:213], 1.0
	v_fma_f64 v[212:213], v[212:213], v[214:215], v[212:213]
	v_mul_f64 v[214:215], v[216:217], v[212:213]
	v_fma_f64 v[210:211], -v[210:211], v[214:215], v[216:217]
	v_div_fmas_f64 v[210:211], v[210:211], v[212:213], v[214:215]
	v_div_fixup_f64 v[210:211], v[210:211], v[224:225], v[222:223]
	v_fma_f64 v[212:213], v[222:223], v[210:211], v[224:225]
	v_div_scale_f64 v[214:215], null, v[212:213], v[212:213], 1.0
	v_rcp_f64_e32 v[216:217], v[214:215]
	v_fma_f64 v[222:223], -v[214:215], v[216:217], 1.0
	v_fma_f64 v[216:217], v[216:217], v[222:223], v[216:217]
	v_fma_f64 v[222:223], -v[214:215], v[216:217], 1.0
	v_fma_f64 v[216:217], v[216:217], v[222:223], v[216:217]
	v_div_scale_f64 v[222:223], vcc_lo, 1.0, v[212:213], 1.0
	v_mul_f64 v[224:225], v[222:223], v[216:217]
	v_fma_f64 v[214:215], -v[214:215], v[224:225], v[222:223]
	v_div_fmas_f64 v[214:215], v[214:215], v[216:217], v[224:225]
	v_div_fixup_f64 v[224:225], v[214:215], v[212:213], 1.0
	v_mul_f64 v[222:223], v[210:211], v[224:225]
	v_xor_b32_e32 v225, 0x80000000, v225
.LBB108_91:
	s_andn2_saveexec_b32 s1, s1
	s_cbranch_execz .LBB108_93
; %bb.92:
	v_div_scale_f64 v[210:211], null, v[222:223], v[222:223], v[224:225]
	v_div_scale_f64 v[216:217], vcc_lo, v[224:225], v[222:223], v[224:225]
	v_rcp_f64_e32 v[212:213], v[210:211]
	v_fma_f64 v[214:215], -v[210:211], v[212:213], 1.0
	v_fma_f64 v[212:213], v[212:213], v[214:215], v[212:213]
	v_fma_f64 v[214:215], -v[210:211], v[212:213], 1.0
	v_fma_f64 v[212:213], v[212:213], v[214:215], v[212:213]
	v_mul_f64 v[214:215], v[216:217], v[212:213]
	v_fma_f64 v[210:211], -v[210:211], v[214:215], v[216:217]
	v_div_fmas_f64 v[210:211], v[210:211], v[212:213], v[214:215]
	v_div_fixup_f64 v[210:211], v[210:211], v[222:223], v[224:225]
	v_fma_f64 v[212:213], v[224:225], v[210:211], v[222:223]
	v_div_scale_f64 v[214:215], null, v[212:213], v[212:213], 1.0
	v_rcp_f64_e32 v[216:217], v[214:215]
	v_fma_f64 v[222:223], -v[214:215], v[216:217], 1.0
	v_fma_f64 v[216:217], v[216:217], v[222:223], v[216:217]
	v_fma_f64 v[222:223], -v[214:215], v[216:217], 1.0
	v_fma_f64 v[216:217], v[216:217], v[222:223], v[216:217]
	v_div_scale_f64 v[222:223], vcc_lo, 1.0, v[212:213], 1.0
	v_mul_f64 v[224:225], v[222:223], v[216:217]
	v_fma_f64 v[214:215], -v[214:215], v[224:225], v[222:223]
	v_div_fmas_f64 v[214:215], v[214:215], v[216:217], v[224:225]
	v_div_fixup_f64 v[222:223], v[214:215], v[212:213], 1.0
	v_mul_f64 v[224:225], v[210:211], -v[222:223]
.LBB108_93:
	s_or_b32 exec_lo, exec_lo, s1
.LBB108_94:
	s_or_b32 exec_lo, exec_lo, s0
	s_mov_b32 s0, exec_lo
	v_cmpx_ne_u32_e64 v236, v230
	s_xor_b32 s0, exec_lo, s0
	s_cbranch_execz .LBB108_100
; %bb.95:
	s_mov_b32 s1, exec_lo
	v_cmpx_eq_u32_e32 4, v236
	s_cbranch_execz .LBB108_99
; %bb.96:
	v_cmp_ne_u32_e32 vcc_lo, 4, v230
	s_xor_b32 s7, s16, -1
	s_and_b32 s9, s7, vcc_lo
	s_and_saveexec_b32 s7, s9
	s_cbranch_execz .LBB108_98
; %bb.97:
	v_ashrrev_i32_e32 v231, 31, v230
	v_lshlrev_b64 v[210:211], 2, v[230:231]
	v_add_co_u32 v210, vcc_lo, v218, v210
	v_add_co_ci_u32_e64 v211, null, v219, v211, vcc_lo
	s_clause 0x1
	global_load_dword v0, v[210:211], off
	global_load_dword v212, v[218:219], off offset:16
	s_waitcnt vmcnt(1)
	global_store_dword v[218:219], v0, off offset:16
	s_waitcnt vmcnt(0)
	global_store_dword v[210:211], v212, off
.LBB108_98:
	s_or_b32 exec_lo, exec_lo, s7
	v_mov_b32_e32 v236, v230
	v_mov_b32_e32 v0, v230
.LBB108_99:
	s_or_b32 exec_lo, exec_lo, s1
.LBB108_100:
	s_andn2_saveexec_b32 s0, s0
	s_cbranch_execz .LBB108_102
; %bb.101:
	v_mov_b32_e32 v236, 4
	ds_write2_b64 v1, v[198:199], v[200:201] offset0:10 offset1:11
	ds_write2_b64 v1, v[194:195], v[196:197] offset0:12 offset1:13
	;; [unrolled: 1-line block ×50, first 2 shown]
.LBB108_102:
	s_or_b32 exec_lo, exec_lo, s0
	s_mov_b32 s0, exec_lo
	s_waitcnt lgkmcnt(0)
	s_waitcnt_vscnt null, 0x0
	s_barrier
	buffer_gl0_inv
	v_cmpx_lt_i32_e32 4, v236
	s_cbranch_execz .LBB108_104
; %bb.103:
	v_mul_f64 v[210:211], v[224:225], v[204:205]
	v_mul_f64 v[204:205], v[222:223], v[204:205]
	v_fma_f64 v[230:231], v[222:223], v[202:203], -v[210:211]
	v_fma_f64 v[204:205], v[224:225], v[202:203], v[204:205]
	ds_read2_b64 v[222:225], v1 offset0:10 offset1:11
	s_waitcnt lgkmcnt(0)
	v_mul_f64 v[202:203], v[224:225], v[204:205]
	v_mul_f64 v[210:211], v[222:223], v[204:205]
	v_fma_f64 v[202:203], v[222:223], v[230:231], -v[202:203]
	v_fma_f64 v[210:211], v[224:225], v[230:231], v[210:211]
	ds_read2_b64 v[222:225], v1 offset0:12 offset1:13
	v_add_f64 v[198:199], v[198:199], -v[202:203]
	v_add_f64 v[200:201], v[200:201], -v[210:211]
	s_waitcnt lgkmcnt(0)
	v_mul_f64 v[202:203], v[224:225], v[204:205]
	v_mul_f64 v[210:211], v[222:223], v[204:205]
	v_fma_f64 v[202:203], v[222:223], v[230:231], -v[202:203]
	v_fma_f64 v[210:211], v[224:225], v[230:231], v[210:211]
	ds_read2_b64 v[222:225], v1 offset0:14 offset1:15
	v_add_f64 v[194:195], v[194:195], -v[202:203]
	v_add_f64 v[196:197], v[196:197], -v[210:211]
	s_waitcnt lgkmcnt(0)
	v_mul_f64 v[202:203], v[224:225], v[204:205]
	v_mul_f64 v[210:211], v[222:223], v[204:205]
	v_fma_f64 v[202:203], v[222:223], v[230:231], -v[202:203]
	v_fma_f64 v[210:211], v[224:225], v[230:231], v[210:211]
	ds_read2_b64 v[222:225], v1 offset0:16 offset1:17
	v_add_f64 v[190:191], v[190:191], -v[202:203]
	v_add_f64 v[192:193], v[192:193], -v[210:211]
	s_waitcnt lgkmcnt(0)
	v_mul_f64 v[202:203], v[224:225], v[204:205]
	v_mul_f64 v[210:211], v[222:223], v[204:205]
	v_fma_f64 v[202:203], v[222:223], v[230:231], -v[202:203]
	v_fma_f64 v[210:211], v[224:225], v[230:231], v[210:211]
	ds_read2_b64 v[222:225], v1 offset0:18 offset1:19
	v_add_f64 v[186:187], v[186:187], -v[202:203]
	v_add_f64 v[188:189], v[188:189], -v[210:211]
	s_waitcnt lgkmcnt(0)
	v_mul_f64 v[202:203], v[224:225], v[204:205]
	v_mul_f64 v[210:211], v[222:223], v[204:205]
	v_fma_f64 v[202:203], v[222:223], v[230:231], -v[202:203]
	v_fma_f64 v[210:211], v[224:225], v[230:231], v[210:211]
	ds_read2_b64 v[222:225], v1 offset0:20 offset1:21
	v_add_f64 v[182:183], v[182:183], -v[202:203]
	v_add_f64 v[184:185], v[184:185], -v[210:211]
	s_waitcnt lgkmcnt(0)
	v_mul_f64 v[202:203], v[224:225], v[204:205]
	v_mul_f64 v[210:211], v[222:223], v[204:205]
	v_fma_f64 v[202:203], v[222:223], v[230:231], -v[202:203]
	v_fma_f64 v[210:211], v[224:225], v[230:231], v[210:211]
	ds_read2_b64 v[222:225], v1 offset0:22 offset1:23
	v_add_f64 v[178:179], v[178:179], -v[202:203]
	v_add_f64 v[180:181], v[180:181], -v[210:211]
	s_waitcnt lgkmcnt(0)
	v_mul_f64 v[202:203], v[224:225], v[204:205]
	v_mul_f64 v[210:211], v[222:223], v[204:205]
	v_fma_f64 v[202:203], v[222:223], v[230:231], -v[202:203]
	v_fma_f64 v[210:211], v[224:225], v[230:231], v[210:211]
	ds_read2_b64 v[222:225], v1 offset0:24 offset1:25
	v_add_f64 v[174:175], v[174:175], -v[202:203]
	v_add_f64 v[176:177], v[176:177], -v[210:211]
	s_waitcnt lgkmcnt(0)
	v_mul_f64 v[202:203], v[224:225], v[204:205]
	v_mul_f64 v[210:211], v[222:223], v[204:205]
	v_fma_f64 v[202:203], v[222:223], v[230:231], -v[202:203]
	v_fma_f64 v[210:211], v[224:225], v[230:231], v[210:211]
	ds_read2_b64 v[222:225], v1 offset0:26 offset1:27
	v_add_f64 v[170:171], v[170:171], -v[202:203]
	v_add_f64 v[172:173], v[172:173], -v[210:211]
	s_waitcnt lgkmcnt(0)
	v_mul_f64 v[202:203], v[224:225], v[204:205]
	v_mul_f64 v[210:211], v[222:223], v[204:205]
	v_fma_f64 v[202:203], v[222:223], v[230:231], -v[202:203]
	v_fma_f64 v[210:211], v[224:225], v[230:231], v[210:211]
	ds_read2_b64 v[222:225], v1 offset0:28 offset1:29
	v_add_f64 v[166:167], v[166:167], -v[202:203]
	v_add_f64 v[168:169], v[168:169], -v[210:211]
	s_waitcnt lgkmcnt(0)
	v_mul_f64 v[202:203], v[224:225], v[204:205]
	v_mul_f64 v[210:211], v[222:223], v[204:205]
	v_fma_f64 v[202:203], v[222:223], v[230:231], -v[202:203]
	v_fma_f64 v[210:211], v[224:225], v[230:231], v[210:211]
	ds_read2_b64 v[222:225], v1 offset0:30 offset1:31
	v_add_f64 v[162:163], v[162:163], -v[202:203]
	v_add_f64 v[164:165], v[164:165], -v[210:211]
	s_waitcnt lgkmcnt(0)
	v_mul_f64 v[202:203], v[224:225], v[204:205]
	v_mul_f64 v[210:211], v[222:223], v[204:205]
	v_fma_f64 v[202:203], v[222:223], v[230:231], -v[202:203]
	v_fma_f64 v[210:211], v[224:225], v[230:231], v[210:211]
	ds_read2_b64 v[222:225], v1 offset0:32 offset1:33
	v_add_f64 v[158:159], v[158:159], -v[202:203]
	v_add_f64 v[160:161], v[160:161], -v[210:211]
	s_waitcnt lgkmcnt(0)
	v_mul_f64 v[202:203], v[224:225], v[204:205]
	v_mul_f64 v[210:211], v[222:223], v[204:205]
	v_fma_f64 v[202:203], v[222:223], v[230:231], -v[202:203]
	v_fma_f64 v[210:211], v[224:225], v[230:231], v[210:211]
	ds_read2_b64 v[222:225], v1 offset0:34 offset1:35
	v_add_f64 v[154:155], v[154:155], -v[202:203]
	v_add_f64 v[156:157], v[156:157], -v[210:211]
	s_waitcnt lgkmcnt(0)
	v_mul_f64 v[202:203], v[224:225], v[204:205]
	v_mul_f64 v[210:211], v[222:223], v[204:205]
	v_fma_f64 v[202:203], v[222:223], v[230:231], -v[202:203]
	v_fma_f64 v[210:211], v[224:225], v[230:231], v[210:211]
	ds_read2_b64 v[222:225], v1 offset0:36 offset1:37
	v_add_f64 v[150:151], v[150:151], -v[202:203]
	v_add_f64 v[152:153], v[152:153], -v[210:211]
	s_waitcnt lgkmcnt(0)
	v_mul_f64 v[202:203], v[224:225], v[204:205]
	v_mul_f64 v[210:211], v[222:223], v[204:205]
	v_fma_f64 v[202:203], v[222:223], v[230:231], -v[202:203]
	v_fma_f64 v[210:211], v[224:225], v[230:231], v[210:211]
	ds_read2_b64 v[222:225], v1 offset0:38 offset1:39
	v_add_f64 v[146:147], v[146:147], -v[202:203]
	v_add_f64 v[148:149], v[148:149], -v[210:211]
	s_waitcnt lgkmcnt(0)
	v_mul_f64 v[202:203], v[224:225], v[204:205]
	v_mul_f64 v[210:211], v[222:223], v[204:205]
	v_fma_f64 v[202:203], v[222:223], v[230:231], -v[202:203]
	v_fma_f64 v[210:211], v[224:225], v[230:231], v[210:211]
	ds_read2_b64 v[222:225], v1 offset0:40 offset1:41
	v_add_f64 v[142:143], v[142:143], -v[202:203]
	v_add_f64 v[144:145], v[144:145], -v[210:211]
	s_waitcnt lgkmcnt(0)
	v_mul_f64 v[202:203], v[224:225], v[204:205]
	v_mul_f64 v[210:211], v[222:223], v[204:205]
	v_fma_f64 v[202:203], v[222:223], v[230:231], -v[202:203]
	v_fma_f64 v[210:211], v[224:225], v[230:231], v[210:211]
	ds_read2_b64 v[222:225], v1 offset0:42 offset1:43
	v_add_f64 v[138:139], v[138:139], -v[202:203]
	v_add_f64 v[140:141], v[140:141], -v[210:211]
	s_waitcnt lgkmcnt(0)
	v_mul_f64 v[202:203], v[224:225], v[204:205]
	v_mul_f64 v[210:211], v[222:223], v[204:205]
	v_fma_f64 v[202:203], v[222:223], v[230:231], -v[202:203]
	v_fma_f64 v[210:211], v[224:225], v[230:231], v[210:211]
	ds_read2_b64 v[222:225], v1 offset0:44 offset1:45
	v_add_f64 v[134:135], v[134:135], -v[202:203]
	v_add_f64 v[136:137], v[136:137], -v[210:211]
	s_waitcnt lgkmcnt(0)
	v_mul_f64 v[202:203], v[224:225], v[204:205]
	v_mul_f64 v[210:211], v[222:223], v[204:205]
	v_fma_f64 v[202:203], v[222:223], v[230:231], -v[202:203]
	v_fma_f64 v[210:211], v[224:225], v[230:231], v[210:211]
	ds_read2_b64 v[222:225], v1 offset0:46 offset1:47
	v_add_f64 v[130:131], v[130:131], -v[202:203]
	v_add_f64 v[132:133], v[132:133], -v[210:211]
	s_waitcnt lgkmcnt(0)
	v_mul_f64 v[202:203], v[224:225], v[204:205]
	v_mul_f64 v[210:211], v[222:223], v[204:205]
	v_fma_f64 v[202:203], v[222:223], v[230:231], -v[202:203]
	v_fma_f64 v[210:211], v[224:225], v[230:231], v[210:211]
	ds_read2_b64 v[222:225], v1 offset0:48 offset1:49
	v_add_f64 v[126:127], v[126:127], -v[202:203]
	v_add_f64 v[128:129], v[128:129], -v[210:211]
	s_waitcnt lgkmcnt(0)
	v_mul_f64 v[202:203], v[224:225], v[204:205]
	v_mul_f64 v[210:211], v[222:223], v[204:205]
	v_fma_f64 v[202:203], v[222:223], v[230:231], -v[202:203]
	v_fma_f64 v[210:211], v[224:225], v[230:231], v[210:211]
	ds_read2_b64 v[222:225], v1 offset0:50 offset1:51
	v_add_f64 v[122:123], v[122:123], -v[202:203]
	v_add_f64 v[124:125], v[124:125], -v[210:211]
	s_waitcnt lgkmcnt(0)
	v_mul_f64 v[202:203], v[224:225], v[204:205]
	v_mul_f64 v[210:211], v[222:223], v[204:205]
	v_fma_f64 v[202:203], v[222:223], v[230:231], -v[202:203]
	v_fma_f64 v[210:211], v[224:225], v[230:231], v[210:211]
	ds_read2_b64 v[222:225], v1 offset0:52 offset1:53
	v_add_f64 v[118:119], v[118:119], -v[202:203]
	v_add_f64 v[120:121], v[120:121], -v[210:211]
	s_waitcnt lgkmcnt(0)
	v_mul_f64 v[202:203], v[224:225], v[204:205]
	v_mul_f64 v[210:211], v[222:223], v[204:205]
	v_fma_f64 v[202:203], v[222:223], v[230:231], -v[202:203]
	v_fma_f64 v[210:211], v[224:225], v[230:231], v[210:211]
	ds_read2_b64 v[222:225], v1 offset0:54 offset1:55
	v_add_f64 v[114:115], v[114:115], -v[202:203]
	v_add_f64 v[116:117], v[116:117], -v[210:211]
	s_waitcnt lgkmcnt(0)
	v_mul_f64 v[202:203], v[224:225], v[204:205]
	v_mul_f64 v[210:211], v[222:223], v[204:205]
	v_fma_f64 v[202:203], v[222:223], v[230:231], -v[202:203]
	v_fma_f64 v[210:211], v[224:225], v[230:231], v[210:211]
	ds_read2_b64 v[222:225], v1 offset0:56 offset1:57
	v_add_f64 v[110:111], v[110:111], -v[202:203]
	v_add_f64 v[112:113], v[112:113], -v[210:211]
	s_waitcnt lgkmcnt(0)
	v_mul_f64 v[202:203], v[224:225], v[204:205]
	v_mul_f64 v[210:211], v[222:223], v[204:205]
	v_fma_f64 v[202:203], v[222:223], v[230:231], -v[202:203]
	v_fma_f64 v[210:211], v[224:225], v[230:231], v[210:211]
	ds_read2_b64 v[222:225], v1 offset0:58 offset1:59
	v_add_f64 v[106:107], v[106:107], -v[202:203]
	v_add_f64 v[108:109], v[108:109], -v[210:211]
	s_waitcnt lgkmcnt(0)
	v_mul_f64 v[202:203], v[224:225], v[204:205]
	v_mul_f64 v[210:211], v[222:223], v[204:205]
	v_fma_f64 v[202:203], v[222:223], v[230:231], -v[202:203]
	v_fma_f64 v[210:211], v[224:225], v[230:231], v[210:211]
	ds_read2_b64 v[222:225], v1 offset0:60 offset1:61
	v_add_f64 v[102:103], v[102:103], -v[202:203]
	v_add_f64 v[104:105], v[104:105], -v[210:211]
	s_waitcnt lgkmcnt(0)
	v_mul_f64 v[202:203], v[224:225], v[204:205]
	v_mul_f64 v[210:211], v[222:223], v[204:205]
	v_fma_f64 v[202:203], v[222:223], v[230:231], -v[202:203]
	v_fma_f64 v[210:211], v[224:225], v[230:231], v[210:211]
	ds_read2_b64 v[222:225], v1 offset0:62 offset1:63
	v_add_f64 v[98:99], v[98:99], -v[202:203]
	v_add_f64 v[100:101], v[100:101], -v[210:211]
	s_waitcnt lgkmcnt(0)
	v_mul_f64 v[202:203], v[224:225], v[204:205]
	v_mul_f64 v[210:211], v[222:223], v[204:205]
	v_fma_f64 v[202:203], v[222:223], v[230:231], -v[202:203]
	v_fma_f64 v[210:211], v[224:225], v[230:231], v[210:211]
	ds_read2_b64 v[222:225], v1 offset0:64 offset1:65
	v_add_f64 v[94:95], v[94:95], -v[202:203]
	v_add_f64 v[96:97], v[96:97], -v[210:211]
	s_waitcnt lgkmcnt(0)
	v_mul_f64 v[202:203], v[224:225], v[204:205]
	v_mul_f64 v[210:211], v[222:223], v[204:205]
	v_fma_f64 v[202:203], v[222:223], v[230:231], -v[202:203]
	v_fma_f64 v[210:211], v[224:225], v[230:231], v[210:211]
	ds_read2_b64 v[222:225], v1 offset0:66 offset1:67
	v_add_f64 v[90:91], v[90:91], -v[202:203]
	v_add_f64 v[92:93], v[92:93], -v[210:211]
	s_waitcnt lgkmcnt(0)
	v_mul_f64 v[202:203], v[224:225], v[204:205]
	v_mul_f64 v[210:211], v[222:223], v[204:205]
	v_fma_f64 v[202:203], v[222:223], v[230:231], -v[202:203]
	v_fma_f64 v[210:211], v[224:225], v[230:231], v[210:211]
	ds_read2_b64 v[222:225], v1 offset0:68 offset1:69
	v_add_f64 v[86:87], v[86:87], -v[202:203]
	v_add_f64 v[88:89], v[88:89], -v[210:211]
	s_waitcnt lgkmcnt(0)
	v_mul_f64 v[202:203], v[224:225], v[204:205]
	v_mul_f64 v[210:211], v[222:223], v[204:205]
	v_fma_f64 v[202:203], v[222:223], v[230:231], -v[202:203]
	v_fma_f64 v[210:211], v[224:225], v[230:231], v[210:211]
	ds_read2_b64 v[222:225], v1 offset0:70 offset1:71
	v_add_f64 v[82:83], v[82:83], -v[202:203]
	v_add_f64 v[84:85], v[84:85], -v[210:211]
	s_waitcnt lgkmcnt(0)
	v_mul_f64 v[202:203], v[224:225], v[204:205]
	v_mul_f64 v[210:211], v[222:223], v[204:205]
	v_fma_f64 v[202:203], v[222:223], v[230:231], -v[202:203]
	v_fma_f64 v[210:211], v[224:225], v[230:231], v[210:211]
	ds_read2_b64 v[222:225], v1 offset0:72 offset1:73
	v_add_f64 v[78:79], v[78:79], -v[202:203]
	v_add_f64 v[80:81], v[80:81], -v[210:211]
	s_waitcnt lgkmcnt(0)
	v_mul_f64 v[202:203], v[224:225], v[204:205]
	v_mul_f64 v[210:211], v[222:223], v[204:205]
	v_fma_f64 v[202:203], v[222:223], v[230:231], -v[202:203]
	v_fma_f64 v[210:211], v[224:225], v[230:231], v[210:211]
	ds_read2_b64 v[222:225], v1 offset0:74 offset1:75
	v_add_f64 v[74:75], v[74:75], -v[202:203]
	v_add_f64 v[76:77], v[76:77], -v[210:211]
	s_waitcnt lgkmcnt(0)
	v_mul_f64 v[202:203], v[224:225], v[204:205]
	v_mul_f64 v[210:211], v[222:223], v[204:205]
	v_fma_f64 v[202:203], v[222:223], v[230:231], -v[202:203]
	v_fma_f64 v[210:211], v[224:225], v[230:231], v[210:211]
	ds_read2_b64 v[222:225], v1 offset0:76 offset1:77
	v_add_f64 v[70:71], v[70:71], -v[202:203]
	v_add_f64 v[72:73], v[72:73], -v[210:211]
	s_waitcnt lgkmcnt(0)
	v_mul_f64 v[202:203], v[224:225], v[204:205]
	v_mul_f64 v[210:211], v[222:223], v[204:205]
	v_fma_f64 v[202:203], v[222:223], v[230:231], -v[202:203]
	v_fma_f64 v[210:211], v[224:225], v[230:231], v[210:211]
	ds_read2_b64 v[222:225], v1 offset0:78 offset1:79
	v_add_f64 v[66:67], v[66:67], -v[202:203]
	v_add_f64 v[68:69], v[68:69], -v[210:211]
	s_waitcnt lgkmcnt(0)
	v_mul_f64 v[202:203], v[224:225], v[204:205]
	v_mul_f64 v[210:211], v[222:223], v[204:205]
	v_fma_f64 v[202:203], v[222:223], v[230:231], -v[202:203]
	v_fma_f64 v[210:211], v[224:225], v[230:231], v[210:211]
	ds_read2_b64 v[222:225], v1 offset0:80 offset1:81
	v_add_f64 v[62:63], v[62:63], -v[202:203]
	v_add_f64 v[64:65], v[64:65], -v[210:211]
	s_waitcnt lgkmcnt(0)
	v_mul_f64 v[202:203], v[224:225], v[204:205]
	v_mul_f64 v[210:211], v[222:223], v[204:205]
	v_fma_f64 v[202:203], v[222:223], v[230:231], -v[202:203]
	v_fma_f64 v[210:211], v[224:225], v[230:231], v[210:211]
	ds_read2_b64 v[222:225], v1 offset0:82 offset1:83
	v_add_f64 v[58:59], v[58:59], -v[202:203]
	v_add_f64 v[60:61], v[60:61], -v[210:211]
	s_waitcnt lgkmcnt(0)
	v_mul_f64 v[202:203], v[224:225], v[204:205]
	v_mul_f64 v[210:211], v[222:223], v[204:205]
	v_fma_f64 v[202:203], v[222:223], v[230:231], -v[202:203]
	v_fma_f64 v[210:211], v[224:225], v[230:231], v[210:211]
	ds_read2_b64 v[222:225], v1 offset0:84 offset1:85
	v_add_f64 v[54:55], v[54:55], -v[202:203]
	v_add_f64 v[56:57], v[56:57], -v[210:211]
	s_waitcnt lgkmcnt(0)
	v_mul_f64 v[202:203], v[224:225], v[204:205]
	v_mul_f64 v[210:211], v[222:223], v[204:205]
	v_fma_f64 v[202:203], v[222:223], v[230:231], -v[202:203]
	v_fma_f64 v[210:211], v[224:225], v[230:231], v[210:211]
	ds_read2_b64 v[222:225], v1 offset0:86 offset1:87
	v_add_f64 v[50:51], v[50:51], -v[202:203]
	v_add_f64 v[52:53], v[52:53], -v[210:211]
	s_waitcnt lgkmcnt(0)
	v_mul_f64 v[202:203], v[224:225], v[204:205]
	v_mul_f64 v[210:211], v[222:223], v[204:205]
	v_fma_f64 v[202:203], v[222:223], v[230:231], -v[202:203]
	v_fma_f64 v[210:211], v[224:225], v[230:231], v[210:211]
	ds_read2_b64 v[222:225], v1 offset0:88 offset1:89
	v_add_f64 v[46:47], v[46:47], -v[202:203]
	v_add_f64 v[48:49], v[48:49], -v[210:211]
	s_waitcnt lgkmcnt(0)
	v_mul_f64 v[202:203], v[224:225], v[204:205]
	v_mul_f64 v[210:211], v[222:223], v[204:205]
	v_fma_f64 v[202:203], v[222:223], v[230:231], -v[202:203]
	v_fma_f64 v[210:211], v[224:225], v[230:231], v[210:211]
	ds_read2_b64 v[222:225], v1 offset0:90 offset1:91
	v_add_f64 v[42:43], v[42:43], -v[202:203]
	v_add_f64 v[44:45], v[44:45], -v[210:211]
	s_waitcnt lgkmcnt(0)
	v_mul_f64 v[202:203], v[224:225], v[204:205]
	v_mul_f64 v[210:211], v[222:223], v[204:205]
	v_fma_f64 v[202:203], v[222:223], v[230:231], -v[202:203]
	v_fma_f64 v[210:211], v[224:225], v[230:231], v[210:211]
	ds_read2_b64 v[222:225], v1 offset0:92 offset1:93
	v_add_f64 v[38:39], v[38:39], -v[202:203]
	v_add_f64 v[40:41], v[40:41], -v[210:211]
	s_waitcnt lgkmcnt(0)
	v_mul_f64 v[202:203], v[224:225], v[204:205]
	v_mul_f64 v[210:211], v[222:223], v[204:205]
	v_fma_f64 v[202:203], v[222:223], v[230:231], -v[202:203]
	v_fma_f64 v[210:211], v[224:225], v[230:231], v[210:211]
	ds_read2_b64 v[222:225], v1 offset0:94 offset1:95
	v_add_f64 v[34:35], v[34:35], -v[202:203]
	v_add_f64 v[36:37], v[36:37], -v[210:211]
	s_waitcnt lgkmcnt(0)
	v_mul_f64 v[202:203], v[224:225], v[204:205]
	v_mul_f64 v[210:211], v[222:223], v[204:205]
	v_fma_f64 v[202:203], v[222:223], v[230:231], -v[202:203]
	v_fma_f64 v[210:211], v[224:225], v[230:231], v[210:211]
	ds_read2_b64 v[222:225], v1 offset0:96 offset1:97
	v_add_f64 v[30:31], v[30:31], -v[202:203]
	v_add_f64 v[32:33], v[32:33], -v[210:211]
	s_waitcnt lgkmcnt(0)
	v_mul_f64 v[202:203], v[224:225], v[204:205]
	v_mul_f64 v[210:211], v[222:223], v[204:205]
	v_fma_f64 v[202:203], v[222:223], v[230:231], -v[202:203]
	v_fma_f64 v[210:211], v[224:225], v[230:231], v[210:211]
	ds_read2_b64 v[222:225], v1 offset0:98 offset1:99
	v_add_f64 v[26:27], v[26:27], -v[202:203]
	v_add_f64 v[28:29], v[28:29], -v[210:211]
	s_waitcnt lgkmcnt(0)
	v_mul_f64 v[202:203], v[224:225], v[204:205]
	v_mul_f64 v[210:211], v[222:223], v[204:205]
	v_fma_f64 v[202:203], v[222:223], v[230:231], -v[202:203]
	v_fma_f64 v[210:211], v[224:225], v[230:231], v[210:211]
	ds_read2_b64 v[222:225], v1 offset0:100 offset1:101
	v_add_f64 v[22:23], v[22:23], -v[202:203]
	v_add_f64 v[24:25], v[24:25], -v[210:211]
	s_waitcnt lgkmcnt(0)
	v_mul_f64 v[202:203], v[224:225], v[204:205]
	v_mul_f64 v[210:211], v[222:223], v[204:205]
	v_fma_f64 v[202:203], v[222:223], v[230:231], -v[202:203]
	v_fma_f64 v[210:211], v[224:225], v[230:231], v[210:211]
	ds_read2_b64 v[222:225], v1 offset0:102 offset1:103
	v_add_f64 v[18:19], v[18:19], -v[202:203]
	v_add_f64 v[20:21], v[20:21], -v[210:211]
	s_waitcnt lgkmcnt(0)
	v_mul_f64 v[202:203], v[224:225], v[204:205]
	v_mul_f64 v[210:211], v[222:223], v[204:205]
	v_fma_f64 v[202:203], v[222:223], v[230:231], -v[202:203]
	v_fma_f64 v[210:211], v[224:225], v[230:231], v[210:211]
	ds_read2_b64 v[222:225], v1 offset0:104 offset1:105
	v_add_f64 v[14:15], v[14:15], -v[202:203]
	v_add_f64 v[16:17], v[16:17], -v[210:211]
	s_waitcnt lgkmcnt(0)
	v_mul_f64 v[202:203], v[224:225], v[204:205]
	v_mul_f64 v[210:211], v[222:223], v[204:205]
	v_fma_f64 v[202:203], v[222:223], v[230:231], -v[202:203]
	v_fma_f64 v[210:211], v[224:225], v[230:231], v[210:211]
	ds_read2_b64 v[222:225], v1 offset0:106 offset1:107
	v_add_f64 v[10:11], v[10:11], -v[202:203]
	v_add_f64 v[12:13], v[12:13], -v[210:211]
	s_waitcnt lgkmcnt(0)
	v_mul_f64 v[202:203], v[224:225], v[204:205]
	v_mul_f64 v[210:211], v[222:223], v[204:205]
	v_fma_f64 v[202:203], v[222:223], v[230:231], -v[202:203]
	v_fma_f64 v[210:211], v[224:225], v[230:231], v[210:211]
	ds_read2_b64 v[222:225], v1 offset0:108 offset1:109
	v_add_f64 v[6:7], v[6:7], -v[202:203]
	v_add_f64 v[8:9], v[8:9], -v[210:211]
	s_waitcnt lgkmcnt(0)
	v_mul_f64 v[202:203], v[224:225], v[204:205]
	v_mul_f64 v[210:211], v[222:223], v[204:205]
	v_fma_f64 v[202:203], v[222:223], v[230:231], -v[202:203]
	v_fma_f64 v[210:211], v[224:225], v[230:231], v[210:211]
	v_add_f64 v[2:3], v[2:3], -v[202:203]
	v_add_f64 v[4:5], v[4:5], -v[210:211]
	v_mov_b32_e32 v202, v230
	v_mov_b32_e32 v203, v231
.LBB108_104:
	s_or_b32 exec_lo, exec_lo, s0
	v_lshl_add_u32 v210, v236, 4, v1
	s_barrier
	buffer_gl0_inv
	v_mov_b32_e32 v230, 5
	ds_write2_b64 v210, v[198:199], v[200:201] offset1:1
	s_waitcnt lgkmcnt(0)
	s_barrier
	buffer_gl0_inv
	ds_read2_b64 v[222:225], v1 offset0:10 offset1:11
	s_cmp_lt_i32 s8, 7
	s_cbranch_scc1 .LBB108_107
; %bb.105:
	v_add3_u32 v231, v253, 0, 0x60
	v_mov_b32_e32 v230, 5
	s_mov_b32 s1, 6
	s_inst_prefetch 0x1
	.p2align	6
.LBB108_106:                            ; =>This Inner Loop Header: Depth=1
	s_waitcnt lgkmcnt(0)
	v_cmp_gt_f64_e32 vcc_lo, 0, v[224:225]
	v_cmp_gt_f64_e64 s0, 0, v[222:223]
	ds_read2_b64 v[237:240], v231 offset1:1
	v_xor_b32_e32 v211, 0x80000000, v223
	v_xor_b32_e32 v213, 0x80000000, v225
	v_mov_b32_e32 v210, v222
	v_mov_b32_e32 v212, v224
	v_add_nc_u32_e32 v231, 16, v231
	s_waitcnt lgkmcnt(0)
	v_xor_b32_e32 v215, 0x80000000, v240
	v_cndmask_b32_e64 v211, v223, v211, s0
	v_cndmask_b32_e32 v213, v225, v213, vcc_lo
	v_cmp_gt_f64_e32 vcc_lo, 0, v[239:240]
	v_cmp_gt_f64_e64 s0, 0, v[237:238]
	v_mov_b32_e32 v214, v239
	v_add_f64 v[210:211], v[210:211], v[212:213]
	v_xor_b32_e32 v213, 0x80000000, v238
	v_mov_b32_e32 v212, v237
	v_cndmask_b32_e32 v215, v240, v215, vcc_lo
	v_cndmask_b32_e64 v213, v238, v213, s0
	v_add_f64 v[212:213], v[212:213], v[214:215]
	v_cmp_lt_f64_e32 vcc_lo, v[210:211], v[212:213]
	v_cndmask_b32_e32 v223, v223, v238, vcc_lo
	v_cndmask_b32_e32 v222, v222, v237, vcc_lo
	;; [unrolled: 1-line block ×4, first 2 shown]
	v_cndmask_b32_e64 v230, v230, s1, vcc_lo
	s_add_i32 s1, s1, 1
	s_cmp_lg_u32 s8, s1
	s_cbranch_scc1 .LBB108_106
.LBB108_107:
	s_inst_prefetch 0x2
	s_waitcnt lgkmcnt(0)
	v_cmp_eq_f64_e32 vcc_lo, 0, v[222:223]
	v_cmp_eq_f64_e64 s0, 0, v[224:225]
	s_and_b32 s0, vcc_lo, s0
	s_and_saveexec_b32 s1, s0
	s_xor_b32 s0, exec_lo, s1
; %bb.108:
	v_cmp_ne_u32_e32 vcc_lo, 0, v235
	v_cndmask_b32_e32 v235, 6, v235, vcc_lo
; %bb.109:
	s_andn2_saveexec_b32 s0, s0
	s_cbranch_execz .LBB108_115
; %bb.110:
	v_cmp_ngt_f64_e64 s1, |v[222:223]|, |v[224:225]|
	s_and_saveexec_b32 s7, s1
	s_xor_b32 s1, exec_lo, s7
	s_cbranch_execz .LBB108_112
; %bb.111:
	v_div_scale_f64 v[210:211], null, v[224:225], v[224:225], v[222:223]
	v_div_scale_f64 v[216:217], vcc_lo, v[222:223], v[224:225], v[222:223]
	v_rcp_f64_e32 v[212:213], v[210:211]
	v_fma_f64 v[214:215], -v[210:211], v[212:213], 1.0
	v_fma_f64 v[212:213], v[212:213], v[214:215], v[212:213]
	v_fma_f64 v[214:215], -v[210:211], v[212:213], 1.0
	v_fma_f64 v[212:213], v[212:213], v[214:215], v[212:213]
	v_mul_f64 v[214:215], v[216:217], v[212:213]
	v_fma_f64 v[210:211], -v[210:211], v[214:215], v[216:217]
	v_div_fmas_f64 v[210:211], v[210:211], v[212:213], v[214:215]
	v_div_fixup_f64 v[210:211], v[210:211], v[224:225], v[222:223]
	v_fma_f64 v[212:213], v[222:223], v[210:211], v[224:225]
	v_div_scale_f64 v[214:215], null, v[212:213], v[212:213], 1.0
	v_rcp_f64_e32 v[216:217], v[214:215]
	v_fma_f64 v[222:223], -v[214:215], v[216:217], 1.0
	v_fma_f64 v[216:217], v[216:217], v[222:223], v[216:217]
	v_fma_f64 v[222:223], -v[214:215], v[216:217], 1.0
	v_fma_f64 v[216:217], v[216:217], v[222:223], v[216:217]
	v_div_scale_f64 v[222:223], vcc_lo, 1.0, v[212:213], 1.0
	v_mul_f64 v[224:225], v[222:223], v[216:217]
	v_fma_f64 v[214:215], -v[214:215], v[224:225], v[222:223]
	v_div_fmas_f64 v[214:215], v[214:215], v[216:217], v[224:225]
	v_div_fixup_f64 v[224:225], v[214:215], v[212:213], 1.0
	v_mul_f64 v[222:223], v[210:211], v[224:225]
	v_xor_b32_e32 v225, 0x80000000, v225
.LBB108_112:
	s_andn2_saveexec_b32 s1, s1
	s_cbranch_execz .LBB108_114
; %bb.113:
	v_div_scale_f64 v[210:211], null, v[222:223], v[222:223], v[224:225]
	v_div_scale_f64 v[216:217], vcc_lo, v[224:225], v[222:223], v[224:225]
	v_rcp_f64_e32 v[212:213], v[210:211]
	v_fma_f64 v[214:215], -v[210:211], v[212:213], 1.0
	v_fma_f64 v[212:213], v[212:213], v[214:215], v[212:213]
	v_fma_f64 v[214:215], -v[210:211], v[212:213], 1.0
	v_fma_f64 v[212:213], v[212:213], v[214:215], v[212:213]
	v_mul_f64 v[214:215], v[216:217], v[212:213]
	v_fma_f64 v[210:211], -v[210:211], v[214:215], v[216:217]
	v_div_fmas_f64 v[210:211], v[210:211], v[212:213], v[214:215]
	v_div_fixup_f64 v[210:211], v[210:211], v[222:223], v[224:225]
	v_fma_f64 v[212:213], v[224:225], v[210:211], v[222:223]
	v_div_scale_f64 v[214:215], null, v[212:213], v[212:213], 1.0
	v_rcp_f64_e32 v[216:217], v[214:215]
	v_fma_f64 v[222:223], -v[214:215], v[216:217], 1.0
	v_fma_f64 v[216:217], v[216:217], v[222:223], v[216:217]
	v_fma_f64 v[222:223], -v[214:215], v[216:217], 1.0
	v_fma_f64 v[216:217], v[216:217], v[222:223], v[216:217]
	v_div_scale_f64 v[222:223], vcc_lo, 1.0, v[212:213], 1.0
	v_mul_f64 v[224:225], v[222:223], v[216:217]
	v_fma_f64 v[214:215], -v[214:215], v[224:225], v[222:223]
	v_div_fmas_f64 v[214:215], v[214:215], v[216:217], v[224:225]
	v_div_fixup_f64 v[222:223], v[214:215], v[212:213], 1.0
	v_mul_f64 v[224:225], v[210:211], -v[222:223]
.LBB108_114:
	s_or_b32 exec_lo, exec_lo, s1
.LBB108_115:
	s_or_b32 exec_lo, exec_lo, s0
	s_mov_b32 s0, exec_lo
	v_cmpx_ne_u32_e64 v236, v230
	s_xor_b32 s0, exec_lo, s0
	s_cbranch_execz .LBB108_121
; %bb.116:
	s_mov_b32 s1, exec_lo
	v_cmpx_eq_u32_e32 5, v236
	s_cbranch_execz .LBB108_120
; %bb.117:
	v_cmp_ne_u32_e32 vcc_lo, 5, v230
	s_xor_b32 s7, s16, -1
	s_and_b32 s9, s7, vcc_lo
	s_and_saveexec_b32 s7, s9
	s_cbranch_execz .LBB108_119
; %bb.118:
	v_ashrrev_i32_e32 v231, 31, v230
	v_lshlrev_b64 v[210:211], 2, v[230:231]
	v_add_co_u32 v210, vcc_lo, v218, v210
	v_add_co_ci_u32_e64 v211, null, v219, v211, vcc_lo
	s_clause 0x1
	global_load_dword v0, v[210:211], off
	global_load_dword v212, v[218:219], off offset:20
	s_waitcnt vmcnt(1)
	global_store_dword v[218:219], v0, off offset:20
	s_waitcnt vmcnt(0)
	global_store_dword v[210:211], v212, off
.LBB108_119:
	s_or_b32 exec_lo, exec_lo, s7
	v_mov_b32_e32 v236, v230
	v_mov_b32_e32 v0, v230
.LBB108_120:
	s_or_b32 exec_lo, exec_lo, s1
.LBB108_121:
	s_andn2_saveexec_b32 s0, s0
	s_cbranch_execz .LBB108_123
; %bb.122:
	v_mov_b32_e32 v236, 5
	ds_write2_b64 v1, v[194:195], v[196:197] offset0:12 offset1:13
	ds_write2_b64 v1, v[190:191], v[192:193] offset0:14 offset1:15
	;; [unrolled: 1-line block ×49, first 2 shown]
.LBB108_123:
	s_or_b32 exec_lo, exec_lo, s0
	s_mov_b32 s0, exec_lo
	s_waitcnt lgkmcnt(0)
	s_waitcnt_vscnt null, 0x0
	s_barrier
	buffer_gl0_inv
	v_cmpx_lt_i32_e32 5, v236
	s_cbranch_execz .LBB108_125
; %bb.124:
	v_mul_f64 v[210:211], v[224:225], v[200:201]
	v_mul_f64 v[200:201], v[222:223], v[200:201]
	v_fma_f64 v[230:231], v[222:223], v[198:199], -v[210:211]
	v_fma_f64 v[200:201], v[224:225], v[198:199], v[200:201]
	ds_read2_b64 v[222:225], v1 offset0:12 offset1:13
	s_waitcnt lgkmcnt(0)
	v_mul_f64 v[198:199], v[224:225], v[200:201]
	v_mul_f64 v[210:211], v[222:223], v[200:201]
	v_fma_f64 v[198:199], v[222:223], v[230:231], -v[198:199]
	v_fma_f64 v[210:211], v[224:225], v[230:231], v[210:211]
	ds_read2_b64 v[222:225], v1 offset0:14 offset1:15
	v_add_f64 v[194:195], v[194:195], -v[198:199]
	v_add_f64 v[196:197], v[196:197], -v[210:211]
	s_waitcnt lgkmcnt(0)
	v_mul_f64 v[198:199], v[224:225], v[200:201]
	v_mul_f64 v[210:211], v[222:223], v[200:201]
	v_fma_f64 v[198:199], v[222:223], v[230:231], -v[198:199]
	v_fma_f64 v[210:211], v[224:225], v[230:231], v[210:211]
	ds_read2_b64 v[222:225], v1 offset0:16 offset1:17
	v_add_f64 v[190:191], v[190:191], -v[198:199]
	v_add_f64 v[192:193], v[192:193], -v[210:211]
	;; [unrolled: 8-line block ×48, first 2 shown]
	s_waitcnt lgkmcnt(0)
	v_mul_f64 v[198:199], v[224:225], v[200:201]
	v_mul_f64 v[210:211], v[222:223], v[200:201]
	v_fma_f64 v[198:199], v[222:223], v[230:231], -v[198:199]
	v_fma_f64 v[210:211], v[224:225], v[230:231], v[210:211]
	v_add_f64 v[2:3], v[2:3], -v[198:199]
	v_add_f64 v[4:5], v[4:5], -v[210:211]
	v_mov_b32_e32 v198, v230
	v_mov_b32_e32 v199, v231
.LBB108_125:
	s_or_b32 exec_lo, exec_lo, s0
	v_lshl_add_u32 v210, v236, 4, v1
	s_barrier
	buffer_gl0_inv
	v_mov_b32_e32 v230, 6
	ds_write2_b64 v210, v[194:195], v[196:197] offset1:1
	s_waitcnt lgkmcnt(0)
	s_barrier
	buffer_gl0_inv
	ds_read2_b64 v[222:225], v1 offset0:12 offset1:13
	s_cmp_lt_i32 s8, 8
	s_cbranch_scc1 .LBB108_128
; %bb.126:
	v_add3_u32 v231, v253, 0, 0x70
	v_mov_b32_e32 v230, 6
	s_mov_b32 s1, 7
	s_inst_prefetch 0x1
	.p2align	6
.LBB108_127:                            ; =>This Inner Loop Header: Depth=1
	s_waitcnt lgkmcnt(0)
	v_cmp_gt_f64_e32 vcc_lo, 0, v[224:225]
	v_cmp_gt_f64_e64 s0, 0, v[222:223]
	ds_read2_b64 v[237:240], v231 offset1:1
	v_xor_b32_e32 v211, 0x80000000, v223
	v_xor_b32_e32 v213, 0x80000000, v225
	v_mov_b32_e32 v210, v222
	v_mov_b32_e32 v212, v224
	v_add_nc_u32_e32 v231, 16, v231
	s_waitcnt lgkmcnt(0)
	v_xor_b32_e32 v215, 0x80000000, v240
	v_cndmask_b32_e64 v211, v223, v211, s0
	v_cndmask_b32_e32 v213, v225, v213, vcc_lo
	v_cmp_gt_f64_e32 vcc_lo, 0, v[239:240]
	v_cmp_gt_f64_e64 s0, 0, v[237:238]
	v_mov_b32_e32 v214, v239
	v_add_f64 v[210:211], v[210:211], v[212:213]
	v_xor_b32_e32 v213, 0x80000000, v238
	v_mov_b32_e32 v212, v237
	v_cndmask_b32_e32 v215, v240, v215, vcc_lo
	v_cndmask_b32_e64 v213, v238, v213, s0
	v_add_f64 v[212:213], v[212:213], v[214:215]
	v_cmp_lt_f64_e32 vcc_lo, v[210:211], v[212:213]
	v_cndmask_b32_e32 v223, v223, v238, vcc_lo
	v_cndmask_b32_e32 v222, v222, v237, vcc_lo
	;; [unrolled: 1-line block ×4, first 2 shown]
	v_cndmask_b32_e64 v230, v230, s1, vcc_lo
	s_add_i32 s1, s1, 1
	s_cmp_lg_u32 s8, s1
	s_cbranch_scc1 .LBB108_127
.LBB108_128:
	s_inst_prefetch 0x2
	s_waitcnt lgkmcnt(0)
	v_cmp_eq_f64_e32 vcc_lo, 0, v[222:223]
	v_cmp_eq_f64_e64 s0, 0, v[224:225]
	s_and_b32 s0, vcc_lo, s0
	s_and_saveexec_b32 s1, s0
	s_xor_b32 s0, exec_lo, s1
; %bb.129:
	v_cmp_ne_u32_e32 vcc_lo, 0, v235
	v_cndmask_b32_e32 v235, 7, v235, vcc_lo
; %bb.130:
	s_andn2_saveexec_b32 s0, s0
	s_cbranch_execz .LBB108_136
; %bb.131:
	v_cmp_ngt_f64_e64 s1, |v[222:223]|, |v[224:225]|
	s_and_saveexec_b32 s7, s1
	s_xor_b32 s1, exec_lo, s7
	s_cbranch_execz .LBB108_133
; %bb.132:
	v_div_scale_f64 v[210:211], null, v[224:225], v[224:225], v[222:223]
	v_div_scale_f64 v[216:217], vcc_lo, v[222:223], v[224:225], v[222:223]
	v_rcp_f64_e32 v[212:213], v[210:211]
	v_fma_f64 v[214:215], -v[210:211], v[212:213], 1.0
	v_fma_f64 v[212:213], v[212:213], v[214:215], v[212:213]
	v_fma_f64 v[214:215], -v[210:211], v[212:213], 1.0
	v_fma_f64 v[212:213], v[212:213], v[214:215], v[212:213]
	v_mul_f64 v[214:215], v[216:217], v[212:213]
	v_fma_f64 v[210:211], -v[210:211], v[214:215], v[216:217]
	v_div_fmas_f64 v[210:211], v[210:211], v[212:213], v[214:215]
	v_div_fixup_f64 v[210:211], v[210:211], v[224:225], v[222:223]
	v_fma_f64 v[212:213], v[222:223], v[210:211], v[224:225]
	v_div_scale_f64 v[214:215], null, v[212:213], v[212:213], 1.0
	v_rcp_f64_e32 v[216:217], v[214:215]
	v_fma_f64 v[222:223], -v[214:215], v[216:217], 1.0
	v_fma_f64 v[216:217], v[216:217], v[222:223], v[216:217]
	v_fma_f64 v[222:223], -v[214:215], v[216:217], 1.0
	v_fma_f64 v[216:217], v[216:217], v[222:223], v[216:217]
	v_div_scale_f64 v[222:223], vcc_lo, 1.0, v[212:213], 1.0
	v_mul_f64 v[224:225], v[222:223], v[216:217]
	v_fma_f64 v[214:215], -v[214:215], v[224:225], v[222:223]
	v_div_fmas_f64 v[214:215], v[214:215], v[216:217], v[224:225]
	v_div_fixup_f64 v[224:225], v[214:215], v[212:213], 1.0
	v_mul_f64 v[222:223], v[210:211], v[224:225]
	v_xor_b32_e32 v225, 0x80000000, v225
.LBB108_133:
	s_andn2_saveexec_b32 s1, s1
	s_cbranch_execz .LBB108_135
; %bb.134:
	v_div_scale_f64 v[210:211], null, v[222:223], v[222:223], v[224:225]
	v_div_scale_f64 v[216:217], vcc_lo, v[224:225], v[222:223], v[224:225]
	v_rcp_f64_e32 v[212:213], v[210:211]
	v_fma_f64 v[214:215], -v[210:211], v[212:213], 1.0
	v_fma_f64 v[212:213], v[212:213], v[214:215], v[212:213]
	v_fma_f64 v[214:215], -v[210:211], v[212:213], 1.0
	v_fma_f64 v[212:213], v[212:213], v[214:215], v[212:213]
	v_mul_f64 v[214:215], v[216:217], v[212:213]
	v_fma_f64 v[210:211], -v[210:211], v[214:215], v[216:217]
	v_div_fmas_f64 v[210:211], v[210:211], v[212:213], v[214:215]
	v_div_fixup_f64 v[210:211], v[210:211], v[222:223], v[224:225]
	v_fma_f64 v[212:213], v[224:225], v[210:211], v[222:223]
	v_div_scale_f64 v[214:215], null, v[212:213], v[212:213], 1.0
	v_rcp_f64_e32 v[216:217], v[214:215]
	v_fma_f64 v[222:223], -v[214:215], v[216:217], 1.0
	v_fma_f64 v[216:217], v[216:217], v[222:223], v[216:217]
	v_fma_f64 v[222:223], -v[214:215], v[216:217], 1.0
	v_fma_f64 v[216:217], v[216:217], v[222:223], v[216:217]
	v_div_scale_f64 v[222:223], vcc_lo, 1.0, v[212:213], 1.0
	v_mul_f64 v[224:225], v[222:223], v[216:217]
	v_fma_f64 v[214:215], -v[214:215], v[224:225], v[222:223]
	v_div_fmas_f64 v[214:215], v[214:215], v[216:217], v[224:225]
	v_div_fixup_f64 v[222:223], v[214:215], v[212:213], 1.0
	v_mul_f64 v[224:225], v[210:211], -v[222:223]
.LBB108_135:
	s_or_b32 exec_lo, exec_lo, s1
.LBB108_136:
	s_or_b32 exec_lo, exec_lo, s0
	s_mov_b32 s0, exec_lo
	v_cmpx_ne_u32_e64 v236, v230
	s_xor_b32 s0, exec_lo, s0
	s_cbranch_execz .LBB108_142
; %bb.137:
	s_mov_b32 s1, exec_lo
	v_cmpx_eq_u32_e32 6, v236
	s_cbranch_execz .LBB108_141
; %bb.138:
	v_cmp_ne_u32_e32 vcc_lo, 6, v230
	s_xor_b32 s7, s16, -1
	s_and_b32 s9, s7, vcc_lo
	s_and_saveexec_b32 s7, s9
	s_cbranch_execz .LBB108_140
; %bb.139:
	v_ashrrev_i32_e32 v231, 31, v230
	v_lshlrev_b64 v[210:211], 2, v[230:231]
	v_add_co_u32 v210, vcc_lo, v218, v210
	v_add_co_ci_u32_e64 v211, null, v219, v211, vcc_lo
	s_clause 0x1
	global_load_dword v0, v[210:211], off
	global_load_dword v212, v[218:219], off offset:24
	s_waitcnt vmcnt(1)
	global_store_dword v[218:219], v0, off offset:24
	s_waitcnt vmcnt(0)
	global_store_dword v[210:211], v212, off
.LBB108_140:
	s_or_b32 exec_lo, exec_lo, s7
	v_mov_b32_e32 v236, v230
	v_mov_b32_e32 v0, v230
.LBB108_141:
	s_or_b32 exec_lo, exec_lo, s1
.LBB108_142:
	s_andn2_saveexec_b32 s0, s0
	s_cbranch_execz .LBB108_144
; %bb.143:
	v_mov_b32_e32 v236, 6
	ds_write2_b64 v1, v[190:191], v[192:193] offset0:14 offset1:15
	ds_write2_b64 v1, v[186:187], v[188:189] offset0:16 offset1:17
	;; [unrolled: 1-line block ×48, first 2 shown]
.LBB108_144:
	s_or_b32 exec_lo, exec_lo, s0
	s_mov_b32 s0, exec_lo
	s_waitcnt lgkmcnt(0)
	s_waitcnt_vscnt null, 0x0
	s_barrier
	buffer_gl0_inv
	v_cmpx_lt_i32_e32 6, v236
	s_cbranch_execz .LBB108_146
; %bb.145:
	v_mul_f64 v[210:211], v[224:225], v[196:197]
	v_mul_f64 v[196:197], v[222:223], v[196:197]
	v_fma_f64 v[230:231], v[222:223], v[194:195], -v[210:211]
	v_fma_f64 v[196:197], v[224:225], v[194:195], v[196:197]
	ds_read2_b64 v[222:225], v1 offset0:14 offset1:15
	s_waitcnt lgkmcnt(0)
	v_mul_f64 v[194:195], v[224:225], v[196:197]
	v_mul_f64 v[210:211], v[222:223], v[196:197]
	v_fma_f64 v[194:195], v[222:223], v[230:231], -v[194:195]
	v_fma_f64 v[210:211], v[224:225], v[230:231], v[210:211]
	ds_read2_b64 v[222:225], v1 offset0:16 offset1:17
	v_add_f64 v[190:191], v[190:191], -v[194:195]
	v_add_f64 v[192:193], v[192:193], -v[210:211]
	s_waitcnt lgkmcnt(0)
	v_mul_f64 v[194:195], v[224:225], v[196:197]
	v_mul_f64 v[210:211], v[222:223], v[196:197]
	v_fma_f64 v[194:195], v[222:223], v[230:231], -v[194:195]
	v_fma_f64 v[210:211], v[224:225], v[230:231], v[210:211]
	ds_read2_b64 v[222:225], v1 offset0:18 offset1:19
	v_add_f64 v[186:187], v[186:187], -v[194:195]
	v_add_f64 v[188:189], v[188:189], -v[210:211]
	;; [unrolled: 8-line block ×47, first 2 shown]
	s_waitcnt lgkmcnt(0)
	v_mul_f64 v[194:195], v[224:225], v[196:197]
	v_mul_f64 v[210:211], v[222:223], v[196:197]
	v_fma_f64 v[194:195], v[222:223], v[230:231], -v[194:195]
	v_fma_f64 v[210:211], v[224:225], v[230:231], v[210:211]
	v_add_f64 v[2:3], v[2:3], -v[194:195]
	v_add_f64 v[4:5], v[4:5], -v[210:211]
	v_mov_b32_e32 v194, v230
	v_mov_b32_e32 v195, v231
.LBB108_146:
	s_or_b32 exec_lo, exec_lo, s0
	v_lshl_add_u32 v210, v236, 4, v1
	s_barrier
	buffer_gl0_inv
	v_mov_b32_e32 v230, 7
	ds_write2_b64 v210, v[190:191], v[192:193] offset1:1
	s_waitcnt lgkmcnt(0)
	s_barrier
	buffer_gl0_inv
	ds_read2_b64 v[222:225], v1 offset0:14 offset1:15
	s_cmp_lt_i32 s8, 9
	s_cbranch_scc1 .LBB108_149
; %bb.147:
	v_add3_u32 v231, v253, 0, 0x80
	v_mov_b32_e32 v230, 7
	s_mov_b32 s1, 8
	s_inst_prefetch 0x1
	.p2align	6
.LBB108_148:                            ; =>This Inner Loop Header: Depth=1
	s_waitcnt lgkmcnt(0)
	v_cmp_gt_f64_e32 vcc_lo, 0, v[224:225]
	v_cmp_gt_f64_e64 s0, 0, v[222:223]
	ds_read2_b64 v[237:240], v231 offset1:1
	v_xor_b32_e32 v211, 0x80000000, v223
	v_xor_b32_e32 v213, 0x80000000, v225
	v_mov_b32_e32 v210, v222
	v_mov_b32_e32 v212, v224
	v_add_nc_u32_e32 v231, 16, v231
	s_waitcnt lgkmcnt(0)
	v_xor_b32_e32 v215, 0x80000000, v240
	v_cndmask_b32_e64 v211, v223, v211, s0
	v_cndmask_b32_e32 v213, v225, v213, vcc_lo
	v_cmp_gt_f64_e32 vcc_lo, 0, v[239:240]
	v_cmp_gt_f64_e64 s0, 0, v[237:238]
	v_mov_b32_e32 v214, v239
	v_add_f64 v[210:211], v[210:211], v[212:213]
	v_xor_b32_e32 v213, 0x80000000, v238
	v_mov_b32_e32 v212, v237
	v_cndmask_b32_e32 v215, v240, v215, vcc_lo
	v_cndmask_b32_e64 v213, v238, v213, s0
	v_add_f64 v[212:213], v[212:213], v[214:215]
	v_cmp_lt_f64_e32 vcc_lo, v[210:211], v[212:213]
	v_cndmask_b32_e32 v223, v223, v238, vcc_lo
	v_cndmask_b32_e32 v222, v222, v237, vcc_lo
	v_cndmask_b32_e32 v225, v225, v240, vcc_lo
	v_cndmask_b32_e32 v224, v224, v239, vcc_lo
	v_cndmask_b32_e64 v230, v230, s1, vcc_lo
	s_add_i32 s1, s1, 1
	s_cmp_lg_u32 s8, s1
	s_cbranch_scc1 .LBB108_148
.LBB108_149:
	s_inst_prefetch 0x2
	s_waitcnt lgkmcnt(0)
	v_cmp_eq_f64_e32 vcc_lo, 0, v[222:223]
	v_cmp_eq_f64_e64 s0, 0, v[224:225]
	s_and_b32 s0, vcc_lo, s0
	s_and_saveexec_b32 s1, s0
	s_xor_b32 s0, exec_lo, s1
; %bb.150:
	v_cmp_ne_u32_e32 vcc_lo, 0, v235
	v_cndmask_b32_e32 v235, 8, v235, vcc_lo
; %bb.151:
	s_andn2_saveexec_b32 s0, s0
	s_cbranch_execz .LBB108_157
; %bb.152:
	v_cmp_ngt_f64_e64 s1, |v[222:223]|, |v[224:225]|
	s_and_saveexec_b32 s7, s1
	s_xor_b32 s1, exec_lo, s7
	s_cbranch_execz .LBB108_154
; %bb.153:
	v_div_scale_f64 v[210:211], null, v[224:225], v[224:225], v[222:223]
	v_div_scale_f64 v[216:217], vcc_lo, v[222:223], v[224:225], v[222:223]
	v_rcp_f64_e32 v[212:213], v[210:211]
	v_fma_f64 v[214:215], -v[210:211], v[212:213], 1.0
	v_fma_f64 v[212:213], v[212:213], v[214:215], v[212:213]
	v_fma_f64 v[214:215], -v[210:211], v[212:213], 1.0
	v_fma_f64 v[212:213], v[212:213], v[214:215], v[212:213]
	v_mul_f64 v[214:215], v[216:217], v[212:213]
	v_fma_f64 v[210:211], -v[210:211], v[214:215], v[216:217]
	v_div_fmas_f64 v[210:211], v[210:211], v[212:213], v[214:215]
	v_div_fixup_f64 v[210:211], v[210:211], v[224:225], v[222:223]
	v_fma_f64 v[212:213], v[222:223], v[210:211], v[224:225]
	v_div_scale_f64 v[214:215], null, v[212:213], v[212:213], 1.0
	v_rcp_f64_e32 v[216:217], v[214:215]
	v_fma_f64 v[222:223], -v[214:215], v[216:217], 1.0
	v_fma_f64 v[216:217], v[216:217], v[222:223], v[216:217]
	v_fma_f64 v[222:223], -v[214:215], v[216:217], 1.0
	v_fma_f64 v[216:217], v[216:217], v[222:223], v[216:217]
	v_div_scale_f64 v[222:223], vcc_lo, 1.0, v[212:213], 1.0
	v_mul_f64 v[224:225], v[222:223], v[216:217]
	v_fma_f64 v[214:215], -v[214:215], v[224:225], v[222:223]
	v_div_fmas_f64 v[214:215], v[214:215], v[216:217], v[224:225]
	v_div_fixup_f64 v[224:225], v[214:215], v[212:213], 1.0
	v_mul_f64 v[222:223], v[210:211], v[224:225]
	v_xor_b32_e32 v225, 0x80000000, v225
.LBB108_154:
	s_andn2_saveexec_b32 s1, s1
	s_cbranch_execz .LBB108_156
; %bb.155:
	v_div_scale_f64 v[210:211], null, v[222:223], v[222:223], v[224:225]
	v_div_scale_f64 v[216:217], vcc_lo, v[224:225], v[222:223], v[224:225]
	v_rcp_f64_e32 v[212:213], v[210:211]
	v_fma_f64 v[214:215], -v[210:211], v[212:213], 1.0
	v_fma_f64 v[212:213], v[212:213], v[214:215], v[212:213]
	v_fma_f64 v[214:215], -v[210:211], v[212:213], 1.0
	v_fma_f64 v[212:213], v[212:213], v[214:215], v[212:213]
	v_mul_f64 v[214:215], v[216:217], v[212:213]
	v_fma_f64 v[210:211], -v[210:211], v[214:215], v[216:217]
	v_div_fmas_f64 v[210:211], v[210:211], v[212:213], v[214:215]
	v_div_fixup_f64 v[210:211], v[210:211], v[222:223], v[224:225]
	v_fma_f64 v[212:213], v[224:225], v[210:211], v[222:223]
	v_div_scale_f64 v[214:215], null, v[212:213], v[212:213], 1.0
	v_rcp_f64_e32 v[216:217], v[214:215]
	v_fma_f64 v[222:223], -v[214:215], v[216:217], 1.0
	v_fma_f64 v[216:217], v[216:217], v[222:223], v[216:217]
	v_fma_f64 v[222:223], -v[214:215], v[216:217], 1.0
	v_fma_f64 v[216:217], v[216:217], v[222:223], v[216:217]
	v_div_scale_f64 v[222:223], vcc_lo, 1.0, v[212:213], 1.0
	v_mul_f64 v[224:225], v[222:223], v[216:217]
	v_fma_f64 v[214:215], -v[214:215], v[224:225], v[222:223]
	v_div_fmas_f64 v[214:215], v[214:215], v[216:217], v[224:225]
	v_div_fixup_f64 v[222:223], v[214:215], v[212:213], 1.0
	v_mul_f64 v[224:225], v[210:211], -v[222:223]
.LBB108_156:
	s_or_b32 exec_lo, exec_lo, s1
.LBB108_157:
	s_or_b32 exec_lo, exec_lo, s0
	s_mov_b32 s0, exec_lo
	v_cmpx_ne_u32_e64 v236, v230
	s_xor_b32 s0, exec_lo, s0
	s_cbranch_execz .LBB108_163
; %bb.158:
	s_mov_b32 s1, exec_lo
	v_cmpx_eq_u32_e32 7, v236
	s_cbranch_execz .LBB108_162
; %bb.159:
	v_cmp_ne_u32_e32 vcc_lo, 7, v230
	s_xor_b32 s7, s16, -1
	s_and_b32 s9, s7, vcc_lo
	s_and_saveexec_b32 s7, s9
	s_cbranch_execz .LBB108_161
; %bb.160:
	v_ashrrev_i32_e32 v231, 31, v230
	v_lshlrev_b64 v[210:211], 2, v[230:231]
	v_add_co_u32 v210, vcc_lo, v218, v210
	v_add_co_ci_u32_e64 v211, null, v219, v211, vcc_lo
	s_clause 0x1
	global_load_dword v0, v[210:211], off
	global_load_dword v212, v[218:219], off offset:28
	s_waitcnt vmcnt(1)
	global_store_dword v[218:219], v0, off offset:28
	s_waitcnt vmcnt(0)
	global_store_dword v[210:211], v212, off
.LBB108_161:
	s_or_b32 exec_lo, exec_lo, s7
	v_mov_b32_e32 v236, v230
	v_mov_b32_e32 v0, v230
.LBB108_162:
	s_or_b32 exec_lo, exec_lo, s1
.LBB108_163:
	s_andn2_saveexec_b32 s0, s0
	s_cbranch_execz .LBB108_165
; %bb.164:
	v_mov_b32_e32 v236, 7
	ds_write2_b64 v1, v[186:187], v[188:189] offset0:16 offset1:17
	ds_write2_b64 v1, v[182:183], v[184:185] offset0:18 offset1:19
	;; [unrolled: 1-line block ×47, first 2 shown]
.LBB108_165:
	s_or_b32 exec_lo, exec_lo, s0
	s_mov_b32 s0, exec_lo
	s_waitcnt lgkmcnt(0)
	s_waitcnt_vscnt null, 0x0
	s_barrier
	buffer_gl0_inv
	v_cmpx_lt_i32_e32 7, v236
	s_cbranch_execz .LBB108_167
; %bb.166:
	v_mul_f64 v[210:211], v[224:225], v[192:193]
	v_mul_f64 v[192:193], v[222:223], v[192:193]
	v_fma_f64 v[230:231], v[222:223], v[190:191], -v[210:211]
	v_fma_f64 v[192:193], v[224:225], v[190:191], v[192:193]
	ds_read2_b64 v[222:225], v1 offset0:16 offset1:17
	s_waitcnt lgkmcnt(0)
	v_mul_f64 v[190:191], v[224:225], v[192:193]
	v_mul_f64 v[210:211], v[222:223], v[192:193]
	v_fma_f64 v[190:191], v[222:223], v[230:231], -v[190:191]
	v_fma_f64 v[210:211], v[224:225], v[230:231], v[210:211]
	ds_read2_b64 v[222:225], v1 offset0:18 offset1:19
	v_add_f64 v[186:187], v[186:187], -v[190:191]
	v_add_f64 v[188:189], v[188:189], -v[210:211]
	s_waitcnt lgkmcnt(0)
	v_mul_f64 v[190:191], v[224:225], v[192:193]
	v_mul_f64 v[210:211], v[222:223], v[192:193]
	v_fma_f64 v[190:191], v[222:223], v[230:231], -v[190:191]
	v_fma_f64 v[210:211], v[224:225], v[230:231], v[210:211]
	ds_read2_b64 v[222:225], v1 offset0:20 offset1:21
	v_add_f64 v[182:183], v[182:183], -v[190:191]
	v_add_f64 v[184:185], v[184:185], -v[210:211]
	;; [unrolled: 8-line block ×46, first 2 shown]
	s_waitcnt lgkmcnt(0)
	v_mul_f64 v[190:191], v[224:225], v[192:193]
	v_mul_f64 v[210:211], v[222:223], v[192:193]
	v_fma_f64 v[190:191], v[222:223], v[230:231], -v[190:191]
	v_fma_f64 v[210:211], v[224:225], v[230:231], v[210:211]
	v_add_f64 v[2:3], v[2:3], -v[190:191]
	v_add_f64 v[4:5], v[4:5], -v[210:211]
	v_mov_b32_e32 v190, v230
	v_mov_b32_e32 v191, v231
.LBB108_167:
	s_or_b32 exec_lo, exec_lo, s0
	v_lshl_add_u32 v210, v236, 4, v1
	s_barrier
	buffer_gl0_inv
	v_mov_b32_e32 v230, 8
	ds_write2_b64 v210, v[186:187], v[188:189] offset1:1
	s_waitcnt lgkmcnt(0)
	s_barrier
	buffer_gl0_inv
	ds_read2_b64 v[222:225], v1 offset0:16 offset1:17
	s_cmp_lt_i32 s8, 10
	s_cbranch_scc1 .LBB108_170
; %bb.168:
	v_add3_u32 v231, v253, 0, 0x90
	v_mov_b32_e32 v230, 8
	s_mov_b32 s1, 9
	s_inst_prefetch 0x1
	.p2align	6
.LBB108_169:                            ; =>This Inner Loop Header: Depth=1
	s_waitcnt lgkmcnt(0)
	v_cmp_gt_f64_e32 vcc_lo, 0, v[224:225]
	v_cmp_gt_f64_e64 s0, 0, v[222:223]
	ds_read2_b64 v[237:240], v231 offset1:1
	v_xor_b32_e32 v211, 0x80000000, v223
	v_xor_b32_e32 v213, 0x80000000, v225
	v_mov_b32_e32 v210, v222
	v_mov_b32_e32 v212, v224
	v_add_nc_u32_e32 v231, 16, v231
	s_waitcnt lgkmcnt(0)
	v_xor_b32_e32 v215, 0x80000000, v240
	v_cndmask_b32_e64 v211, v223, v211, s0
	v_cndmask_b32_e32 v213, v225, v213, vcc_lo
	v_cmp_gt_f64_e32 vcc_lo, 0, v[239:240]
	v_cmp_gt_f64_e64 s0, 0, v[237:238]
	v_mov_b32_e32 v214, v239
	v_add_f64 v[210:211], v[210:211], v[212:213]
	v_xor_b32_e32 v213, 0x80000000, v238
	v_mov_b32_e32 v212, v237
	v_cndmask_b32_e32 v215, v240, v215, vcc_lo
	v_cndmask_b32_e64 v213, v238, v213, s0
	v_add_f64 v[212:213], v[212:213], v[214:215]
	v_cmp_lt_f64_e32 vcc_lo, v[210:211], v[212:213]
	v_cndmask_b32_e32 v223, v223, v238, vcc_lo
	v_cndmask_b32_e32 v222, v222, v237, vcc_lo
	v_cndmask_b32_e32 v225, v225, v240, vcc_lo
	v_cndmask_b32_e32 v224, v224, v239, vcc_lo
	v_cndmask_b32_e64 v230, v230, s1, vcc_lo
	s_add_i32 s1, s1, 1
	s_cmp_lg_u32 s8, s1
	s_cbranch_scc1 .LBB108_169
.LBB108_170:
	s_inst_prefetch 0x2
	s_waitcnt lgkmcnt(0)
	v_cmp_eq_f64_e32 vcc_lo, 0, v[222:223]
	v_cmp_eq_f64_e64 s0, 0, v[224:225]
	s_and_b32 s0, vcc_lo, s0
	s_and_saveexec_b32 s1, s0
	s_xor_b32 s0, exec_lo, s1
; %bb.171:
	v_cmp_ne_u32_e32 vcc_lo, 0, v235
	v_cndmask_b32_e32 v235, 9, v235, vcc_lo
; %bb.172:
	s_andn2_saveexec_b32 s0, s0
	s_cbranch_execz .LBB108_178
; %bb.173:
	v_cmp_ngt_f64_e64 s1, |v[222:223]|, |v[224:225]|
	s_and_saveexec_b32 s7, s1
	s_xor_b32 s1, exec_lo, s7
	s_cbranch_execz .LBB108_175
; %bb.174:
	v_div_scale_f64 v[210:211], null, v[224:225], v[224:225], v[222:223]
	v_div_scale_f64 v[216:217], vcc_lo, v[222:223], v[224:225], v[222:223]
	v_rcp_f64_e32 v[212:213], v[210:211]
	v_fma_f64 v[214:215], -v[210:211], v[212:213], 1.0
	v_fma_f64 v[212:213], v[212:213], v[214:215], v[212:213]
	v_fma_f64 v[214:215], -v[210:211], v[212:213], 1.0
	v_fma_f64 v[212:213], v[212:213], v[214:215], v[212:213]
	v_mul_f64 v[214:215], v[216:217], v[212:213]
	v_fma_f64 v[210:211], -v[210:211], v[214:215], v[216:217]
	v_div_fmas_f64 v[210:211], v[210:211], v[212:213], v[214:215]
	v_div_fixup_f64 v[210:211], v[210:211], v[224:225], v[222:223]
	v_fma_f64 v[212:213], v[222:223], v[210:211], v[224:225]
	v_div_scale_f64 v[214:215], null, v[212:213], v[212:213], 1.0
	v_rcp_f64_e32 v[216:217], v[214:215]
	v_fma_f64 v[222:223], -v[214:215], v[216:217], 1.0
	v_fma_f64 v[216:217], v[216:217], v[222:223], v[216:217]
	v_fma_f64 v[222:223], -v[214:215], v[216:217], 1.0
	v_fma_f64 v[216:217], v[216:217], v[222:223], v[216:217]
	v_div_scale_f64 v[222:223], vcc_lo, 1.0, v[212:213], 1.0
	v_mul_f64 v[224:225], v[222:223], v[216:217]
	v_fma_f64 v[214:215], -v[214:215], v[224:225], v[222:223]
	v_div_fmas_f64 v[214:215], v[214:215], v[216:217], v[224:225]
	v_div_fixup_f64 v[224:225], v[214:215], v[212:213], 1.0
	v_mul_f64 v[222:223], v[210:211], v[224:225]
	v_xor_b32_e32 v225, 0x80000000, v225
.LBB108_175:
	s_andn2_saveexec_b32 s1, s1
	s_cbranch_execz .LBB108_177
; %bb.176:
	v_div_scale_f64 v[210:211], null, v[222:223], v[222:223], v[224:225]
	v_div_scale_f64 v[216:217], vcc_lo, v[224:225], v[222:223], v[224:225]
	v_rcp_f64_e32 v[212:213], v[210:211]
	v_fma_f64 v[214:215], -v[210:211], v[212:213], 1.0
	v_fma_f64 v[212:213], v[212:213], v[214:215], v[212:213]
	v_fma_f64 v[214:215], -v[210:211], v[212:213], 1.0
	v_fma_f64 v[212:213], v[212:213], v[214:215], v[212:213]
	v_mul_f64 v[214:215], v[216:217], v[212:213]
	v_fma_f64 v[210:211], -v[210:211], v[214:215], v[216:217]
	v_div_fmas_f64 v[210:211], v[210:211], v[212:213], v[214:215]
	v_div_fixup_f64 v[210:211], v[210:211], v[222:223], v[224:225]
	v_fma_f64 v[212:213], v[224:225], v[210:211], v[222:223]
	v_div_scale_f64 v[214:215], null, v[212:213], v[212:213], 1.0
	v_rcp_f64_e32 v[216:217], v[214:215]
	v_fma_f64 v[222:223], -v[214:215], v[216:217], 1.0
	v_fma_f64 v[216:217], v[216:217], v[222:223], v[216:217]
	v_fma_f64 v[222:223], -v[214:215], v[216:217], 1.0
	v_fma_f64 v[216:217], v[216:217], v[222:223], v[216:217]
	v_div_scale_f64 v[222:223], vcc_lo, 1.0, v[212:213], 1.0
	v_mul_f64 v[224:225], v[222:223], v[216:217]
	v_fma_f64 v[214:215], -v[214:215], v[224:225], v[222:223]
	v_div_fmas_f64 v[214:215], v[214:215], v[216:217], v[224:225]
	v_div_fixup_f64 v[222:223], v[214:215], v[212:213], 1.0
	v_mul_f64 v[224:225], v[210:211], -v[222:223]
.LBB108_177:
	s_or_b32 exec_lo, exec_lo, s1
.LBB108_178:
	s_or_b32 exec_lo, exec_lo, s0
	s_mov_b32 s0, exec_lo
	v_cmpx_ne_u32_e64 v236, v230
	s_xor_b32 s0, exec_lo, s0
	s_cbranch_execz .LBB108_184
; %bb.179:
	s_mov_b32 s1, exec_lo
	v_cmpx_eq_u32_e32 8, v236
	s_cbranch_execz .LBB108_183
; %bb.180:
	v_cmp_ne_u32_e32 vcc_lo, 8, v230
	s_xor_b32 s7, s16, -1
	s_and_b32 s9, s7, vcc_lo
	s_and_saveexec_b32 s7, s9
	s_cbranch_execz .LBB108_182
; %bb.181:
	v_ashrrev_i32_e32 v231, 31, v230
	v_lshlrev_b64 v[210:211], 2, v[230:231]
	v_add_co_u32 v210, vcc_lo, v218, v210
	v_add_co_ci_u32_e64 v211, null, v219, v211, vcc_lo
	s_clause 0x1
	global_load_dword v0, v[210:211], off
	global_load_dword v212, v[218:219], off offset:32
	s_waitcnt vmcnt(1)
	global_store_dword v[218:219], v0, off offset:32
	s_waitcnt vmcnt(0)
	global_store_dword v[210:211], v212, off
.LBB108_182:
	s_or_b32 exec_lo, exec_lo, s7
	v_mov_b32_e32 v236, v230
	v_mov_b32_e32 v0, v230
.LBB108_183:
	s_or_b32 exec_lo, exec_lo, s1
.LBB108_184:
	s_andn2_saveexec_b32 s0, s0
	s_cbranch_execz .LBB108_186
; %bb.185:
	v_mov_b32_e32 v236, 8
	ds_write2_b64 v1, v[182:183], v[184:185] offset0:18 offset1:19
	ds_write2_b64 v1, v[178:179], v[180:181] offset0:20 offset1:21
	;; [unrolled: 1-line block ×46, first 2 shown]
.LBB108_186:
	s_or_b32 exec_lo, exec_lo, s0
	s_mov_b32 s0, exec_lo
	s_waitcnt lgkmcnt(0)
	s_waitcnt_vscnt null, 0x0
	s_barrier
	buffer_gl0_inv
	v_cmpx_lt_i32_e32 8, v236
	s_cbranch_execz .LBB108_188
; %bb.187:
	v_mul_f64 v[210:211], v[224:225], v[188:189]
	v_mul_f64 v[188:189], v[222:223], v[188:189]
	v_fma_f64 v[230:231], v[222:223], v[186:187], -v[210:211]
	v_fma_f64 v[188:189], v[224:225], v[186:187], v[188:189]
	ds_read2_b64 v[222:225], v1 offset0:18 offset1:19
	s_waitcnt lgkmcnt(0)
	v_mul_f64 v[186:187], v[224:225], v[188:189]
	v_mul_f64 v[210:211], v[222:223], v[188:189]
	v_fma_f64 v[186:187], v[222:223], v[230:231], -v[186:187]
	v_fma_f64 v[210:211], v[224:225], v[230:231], v[210:211]
	ds_read2_b64 v[222:225], v1 offset0:20 offset1:21
	v_add_f64 v[182:183], v[182:183], -v[186:187]
	v_add_f64 v[184:185], v[184:185], -v[210:211]
	s_waitcnt lgkmcnt(0)
	v_mul_f64 v[186:187], v[224:225], v[188:189]
	v_mul_f64 v[210:211], v[222:223], v[188:189]
	v_fma_f64 v[186:187], v[222:223], v[230:231], -v[186:187]
	v_fma_f64 v[210:211], v[224:225], v[230:231], v[210:211]
	ds_read2_b64 v[222:225], v1 offset0:22 offset1:23
	v_add_f64 v[178:179], v[178:179], -v[186:187]
	v_add_f64 v[180:181], v[180:181], -v[210:211]
	;; [unrolled: 8-line block ×45, first 2 shown]
	s_waitcnt lgkmcnt(0)
	v_mul_f64 v[186:187], v[224:225], v[188:189]
	v_mul_f64 v[210:211], v[222:223], v[188:189]
	v_fma_f64 v[186:187], v[222:223], v[230:231], -v[186:187]
	v_fma_f64 v[210:211], v[224:225], v[230:231], v[210:211]
	v_add_f64 v[2:3], v[2:3], -v[186:187]
	v_add_f64 v[4:5], v[4:5], -v[210:211]
	v_mov_b32_e32 v186, v230
	v_mov_b32_e32 v187, v231
.LBB108_188:
	s_or_b32 exec_lo, exec_lo, s0
	v_lshl_add_u32 v210, v236, 4, v1
	s_barrier
	buffer_gl0_inv
	v_mov_b32_e32 v230, 9
	ds_write2_b64 v210, v[182:183], v[184:185] offset1:1
	s_waitcnt lgkmcnt(0)
	s_barrier
	buffer_gl0_inv
	ds_read2_b64 v[222:225], v1 offset0:18 offset1:19
	s_cmp_lt_i32 s8, 11
	s_cbranch_scc1 .LBB108_191
; %bb.189:
	v_add3_u32 v231, v253, 0, 0xa0
	v_mov_b32_e32 v230, 9
	s_mov_b32 s1, 10
	s_inst_prefetch 0x1
	.p2align	6
.LBB108_190:                            ; =>This Inner Loop Header: Depth=1
	s_waitcnt lgkmcnt(0)
	v_cmp_gt_f64_e32 vcc_lo, 0, v[224:225]
	v_cmp_gt_f64_e64 s0, 0, v[222:223]
	ds_read2_b64 v[237:240], v231 offset1:1
	v_xor_b32_e32 v211, 0x80000000, v223
	v_xor_b32_e32 v213, 0x80000000, v225
	v_mov_b32_e32 v210, v222
	v_mov_b32_e32 v212, v224
	v_add_nc_u32_e32 v231, 16, v231
	s_waitcnt lgkmcnt(0)
	v_xor_b32_e32 v215, 0x80000000, v240
	v_cndmask_b32_e64 v211, v223, v211, s0
	v_cndmask_b32_e32 v213, v225, v213, vcc_lo
	v_cmp_gt_f64_e32 vcc_lo, 0, v[239:240]
	v_cmp_gt_f64_e64 s0, 0, v[237:238]
	v_mov_b32_e32 v214, v239
	v_add_f64 v[210:211], v[210:211], v[212:213]
	v_xor_b32_e32 v213, 0x80000000, v238
	v_mov_b32_e32 v212, v237
	v_cndmask_b32_e32 v215, v240, v215, vcc_lo
	v_cndmask_b32_e64 v213, v238, v213, s0
	v_add_f64 v[212:213], v[212:213], v[214:215]
	v_cmp_lt_f64_e32 vcc_lo, v[210:211], v[212:213]
	v_cndmask_b32_e32 v223, v223, v238, vcc_lo
	v_cndmask_b32_e32 v222, v222, v237, vcc_lo
	;; [unrolled: 1-line block ×4, first 2 shown]
	v_cndmask_b32_e64 v230, v230, s1, vcc_lo
	s_add_i32 s1, s1, 1
	s_cmp_lg_u32 s8, s1
	s_cbranch_scc1 .LBB108_190
.LBB108_191:
	s_inst_prefetch 0x2
	s_waitcnt lgkmcnt(0)
	v_cmp_eq_f64_e32 vcc_lo, 0, v[222:223]
	v_cmp_eq_f64_e64 s0, 0, v[224:225]
	s_and_b32 s0, vcc_lo, s0
	s_and_saveexec_b32 s1, s0
	s_xor_b32 s0, exec_lo, s1
; %bb.192:
	v_cmp_ne_u32_e32 vcc_lo, 0, v235
	v_cndmask_b32_e32 v235, 10, v235, vcc_lo
; %bb.193:
	s_andn2_saveexec_b32 s0, s0
	s_cbranch_execz .LBB108_199
; %bb.194:
	v_cmp_ngt_f64_e64 s1, |v[222:223]|, |v[224:225]|
	s_and_saveexec_b32 s7, s1
	s_xor_b32 s1, exec_lo, s7
	s_cbranch_execz .LBB108_196
; %bb.195:
	v_div_scale_f64 v[210:211], null, v[224:225], v[224:225], v[222:223]
	v_div_scale_f64 v[216:217], vcc_lo, v[222:223], v[224:225], v[222:223]
	v_rcp_f64_e32 v[212:213], v[210:211]
	v_fma_f64 v[214:215], -v[210:211], v[212:213], 1.0
	v_fma_f64 v[212:213], v[212:213], v[214:215], v[212:213]
	v_fma_f64 v[214:215], -v[210:211], v[212:213], 1.0
	v_fma_f64 v[212:213], v[212:213], v[214:215], v[212:213]
	v_mul_f64 v[214:215], v[216:217], v[212:213]
	v_fma_f64 v[210:211], -v[210:211], v[214:215], v[216:217]
	v_div_fmas_f64 v[210:211], v[210:211], v[212:213], v[214:215]
	v_div_fixup_f64 v[210:211], v[210:211], v[224:225], v[222:223]
	v_fma_f64 v[212:213], v[222:223], v[210:211], v[224:225]
	v_div_scale_f64 v[214:215], null, v[212:213], v[212:213], 1.0
	v_rcp_f64_e32 v[216:217], v[214:215]
	v_fma_f64 v[222:223], -v[214:215], v[216:217], 1.0
	v_fma_f64 v[216:217], v[216:217], v[222:223], v[216:217]
	v_fma_f64 v[222:223], -v[214:215], v[216:217], 1.0
	v_fma_f64 v[216:217], v[216:217], v[222:223], v[216:217]
	v_div_scale_f64 v[222:223], vcc_lo, 1.0, v[212:213], 1.0
	v_mul_f64 v[224:225], v[222:223], v[216:217]
	v_fma_f64 v[214:215], -v[214:215], v[224:225], v[222:223]
	v_div_fmas_f64 v[214:215], v[214:215], v[216:217], v[224:225]
	v_div_fixup_f64 v[224:225], v[214:215], v[212:213], 1.0
	v_mul_f64 v[222:223], v[210:211], v[224:225]
	v_xor_b32_e32 v225, 0x80000000, v225
.LBB108_196:
	s_andn2_saveexec_b32 s1, s1
	s_cbranch_execz .LBB108_198
; %bb.197:
	v_div_scale_f64 v[210:211], null, v[222:223], v[222:223], v[224:225]
	v_div_scale_f64 v[216:217], vcc_lo, v[224:225], v[222:223], v[224:225]
	v_rcp_f64_e32 v[212:213], v[210:211]
	v_fma_f64 v[214:215], -v[210:211], v[212:213], 1.0
	v_fma_f64 v[212:213], v[212:213], v[214:215], v[212:213]
	v_fma_f64 v[214:215], -v[210:211], v[212:213], 1.0
	v_fma_f64 v[212:213], v[212:213], v[214:215], v[212:213]
	v_mul_f64 v[214:215], v[216:217], v[212:213]
	v_fma_f64 v[210:211], -v[210:211], v[214:215], v[216:217]
	v_div_fmas_f64 v[210:211], v[210:211], v[212:213], v[214:215]
	v_div_fixup_f64 v[210:211], v[210:211], v[222:223], v[224:225]
	v_fma_f64 v[212:213], v[224:225], v[210:211], v[222:223]
	v_div_scale_f64 v[214:215], null, v[212:213], v[212:213], 1.0
	v_rcp_f64_e32 v[216:217], v[214:215]
	v_fma_f64 v[222:223], -v[214:215], v[216:217], 1.0
	v_fma_f64 v[216:217], v[216:217], v[222:223], v[216:217]
	v_fma_f64 v[222:223], -v[214:215], v[216:217], 1.0
	v_fma_f64 v[216:217], v[216:217], v[222:223], v[216:217]
	v_div_scale_f64 v[222:223], vcc_lo, 1.0, v[212:213], 1.0
	v_mul_f64 v[224:225], v[222:223], v[216:217]
	v_fma_f64 v[214:215], -v[214:215], v[224:225], v[222:223]
	v_div_fmas_f64 v[214:215], v[214:215], v[216:217], v[224:225]
	v_div_fixup_f64 v[222:223], v[214:215], v[212:213], 1.0
	v_mul_f64 v[224:225], v[210:211], -v[222:223]
.LBB108_198:
	s_or_b32 exec_lo, exec_lo, s1
.LBB108_199:
	s_or_b32 exec_lo, exec_lo, s0
	s_mov_b32 s0, exec_lo
	v_cmpx_ne_u32_e64 v236, v230
	s_xor_b32 s0, exec_lo, s0
	s_cbranch_execz .LBB108_205
; %bb.200:
	s_mov_b32 s1, exec_lo
	v_cmpx_eq_u32_e32 9, v236
	s_cbranch_execz .LBB108_204
; %bb.201:
	v_cmp_ne_u32_e32 vcc_lo, 9, v230
	s_xor_b32 s7, s16, -1
	s_and_b32 s9, s7, vcc_lo
	s_and_saveexec_b32 s7, s9
	s_cbranch_execz .LBB108_203
; %bb.202:
	v_ashrrev_i32_e32 v231, 31, v230
	v_lshlrev_b64 v[210:211], 2, v[230:231]
	v_add_co_u32 v210, vcc_lo, v218, v210
	v_add_co_ci_u32_e64 v211, null, v219, v211, vcc_lo
	s_clause 0x1
	global_load_dword v0, v[210:211], off
	global_load_dword v212, v[218:219], off offset:36
	s_waitcnt vmcnt(1)
	global_store_dword v[218:219], v0, off offset:36
	s_waitcnt vmcnt(0)
	global_store_dword v[210:211], v212, off
.LBB108_203:
	s_or_b32 exec_lo, exec_lo, s7
	v_mov_b32_e32 v236, v230
	v_mov_b32_e32 v0, v230
.LBB108_204:
	s_or_b32 exec_lo, exec_lo, s1
.LBB108_205:
	s_andn2_saveexec_b32 s0, s0
	s_cbranch_execz .LBB108_207
; %bb.206:
	v_mov_b32_e32 v236, 9
	ds_write2_b64 v1, v[178:179], v[180:181] offset0:20 offset1:21
	ds_write2_b64 v1, v[174:175], v[176:177] offset0:22 offset1:23
	;; [unrolled: 1-line block ×45, first 2 shown]
.LBB108_207:
	s_or_b32 exec_lo, exec_lo, s0
	s_mov_b32 s0, exec_lo
	s_waitcnt lgkmcnt(0)
	s_waitcnt_vscnt null, 0x0
	s_barrier
	buffer_gl0_inv
	v_cmpx_lt_i32_e32 9, v236
	s_cbranch_execz .LBB108_209
; %bb.208:
	v_mul_f64 v[210:211], v[224:225], v[184:185]
	v_mul_f64 v[184:185], v[222:223], v[184:185]
	v_fma_f64 v[230:231], v[222:223], v[182:183], -v[210:211]
	v_fma_f64 v[184:185], v[224:225], v[182:183], v[184:185]
	ds_read2_b64 v[222:225], v1 offset0:20 offset1:21
	s_waitcnt lgkmcnt(0)
	v_mul_f64 v[182:183], v[224:225], v[184:185]
	v_mul_f64 v[210:211], v[222:223], v[184:185]
	v_fma_f64 v[182:183], v[222:223], v[230:231], -v[182:183]
	v_fma_f64 v[210:211], v[224:225], v[230:231], v[210:211]
	ds_read2_b64 v[222:225], v1 offset0:22 offset1:23
	v_add_f64 v[178:179], v[178:179], -v[182:183]
	v_add_f64 v[180:181], v[180:181], -v[210:211]
	s_waitcnt lgkmcnt(0)
	v_mul_f64 v[182:183], v[224:225], v[184:185]
	v_mul_f64 v[210:211], v[222:223], v[184:185]
	v_fma_f64 v[182:183], v[222:223], v[230:231], -v[182:183]
	v_fma_f64 v[210:211], v[224:225], v[230:231], v[210:211]
	ds_read2_b64 v[222:225], v1 offset0:24 offset1:25
	v_add_f64 v[174:175], v[174:175], -v[182:183]
	v_add_f64 v[176:177], v[176:177], -v[210:211]
	;; [unrolled: 8-line block ×44, first 2 shown]
	s_waitcnt lgkmcnt(0)
	v_mul_f64 v[182:183], v[224:225], v[184:185]
	v_mul_f64 v[210:211], v[222:223], v[184:185]
	v_fma_f64 v[182:183], v[222:223], v[230:231], -v[182:183]
	v_fma_f64 v[210:211], v[224:225], v[230:231], v[210:211]
	v_add_f64 v[2:3], v[2:3], -v[182:183]
	v_add_f64 v[4:5], v[4:5], -v[210:211]
	v_mov_b32_e32 v182, v230
	v_mov_b32_e32 v183, v231
.LBB108_209:
	s_or_b32 exec_lo, exec_lo, s0
	v_lshl_add_u32 v210, v236, 4, v1
	s_barrier
	buffer_gl0_inv
	v_mov_b32_e32 v230, 10
	ds_write2_b64 v210, v[178:179], v[180:181] offset1:1
	s_waitcnt lgkmcnt(0)
	s_barrier
	buffer_gl0_inv
	ds_read2_b64 v[222:225], v1 offset0:20 offset1:21
	s_cmp_lt_i32 s8, 12
	s_cbranch_scc1 .LBB108_212
; %bb.210:
	v_add3_u32 v231, v253, 0, 0xb0
	v_mov_b32_e32 v230, 10
	s_mov_b32 s1, 11
	s_inst_prefetch 0x1
	.p2align	6
.LBB108_211:                            ; =>This Inner Loop Header: Depth=1
	s_waitcnt lgkmcnt(0)
	v_cmp_gt_f64_e32 vcc_lo, 0, v[224:225]
	v_cmp_gt_f64_e64 s0, 0, v[222:223]
	ds_read2_b64 v[237:240], v231 offset1:1
	v_xor_b32_e32 v211, 0x80000000, v223
	v_xor_b32_e32 v213, 0x80000000, v225
	v_mov_b32_e32 v210, v222
	v_mov_b32_e32 v212, v224
	v_add_nc_u32_e32 v231, 16, v231
	s_waitcnt lgkmcnt(0)
	v_xor_b32_e32 v215, 0x80000000, v240
	v_cndmask_b32_e64 v211, v223, v211, s0
	v_cndmask_b32_e32 v213, v225, v213, vcc_lo
	v_cmp_gt_f64_e32 vcc_lo, 0, v[239:240]
	v_cmp_gt_f64_e64 s0, 0, v[237:238]
	v_mov_b32_e32 v214, v239
	v_add_f64 v[210:211], v[210:211], v[212:213]
	v_xor_b32_e32 v213, 0x80000000, v238
	v_mov_b32_e32 v212, v237
	v_cndmask_b32_e32 v215, v240, v215, vcc_lo
	v_cndmask_b32_e64 v213, v238, v213, s0
	v_add_f64 v[212:213], v[212:213], v[214:215]
	v_cmp_lt_f64_e32 vcc_lo, v[210:211], v[212:213]
	v_cndmask_b32_e32 v223, v223, v238, vcc_lo
	v_cndmask_b32_e32 v222, v222, v237, vcc_lo
	;; [unrolled: 1-line block ×4, first 2 shown]
	v_cndmask_b32_e64 v230, v230, s1, vcc_lo
	s_add_i32 s1, s1, 1
	s_cmp_lg_u32 s8, s1
	s_cbranch_scc1 .LBB108_211
.LBB108_212:
	s_inst_prefetch 0x2
	s_waitcnt lgkmcnt(0)
	v_cmp_eq_f64_e32 vcc_lo, 0, v[222:223]
	v_cmp_eq_f64_e64 s0, 0, v[224:225]
	s_and_b32 s0, vcc_lo, s0
	s_and_saveexec_b32 s1, s0
	s_xor_b32 s0, exec_lo, s1
; %bb.213:
	v_cmp_ne_u32_e32 vcc_lo, 0, v235
	v_cndmask_b32_e32 v235, 11, v235, vcc_lo
; %bb.214:
	s_andn2_saveexec_b32 s0, s0
	s_cbranch_execz .LBB108_220
; %bb.215:
	v_cmp_ngt_f64_e64 s1, |v[222:223]|, |v[224:225]|
	s_and_saveexec_b32 s7, s1
	s_xor_b32 s1, exec_lo, s7
	s_cbranch_execz .LBB108_217
; %bb.216:
	v_div_scale_f64 v[210:211], null, v[224:225], v[224:225], v[222:223]
	v_div_scale_f64 v[216:217], vcc_lo, v[222:223], v[224:225], v[222:223]
	v_rcp_f64_e32 v[212:213], v[210:211]
	v_fma_f64 v[214:215], -v[210:211], v[212:213], 1.0
	v_fma_f64 v[212:213], v[212:213], v[214:215], v[212:213]
	v_fma_f64 v[214:215], -v[210:211], v[212:213], 1.0
	v_fma_f64 v[212:213], v[212:213], v[214:215], v[212:213]
	v_mul_f64 v[214:215], v[216:217], v[212:213]
	v_fma_f64 v[210:211], -v[210:211], v[214:215], v[216:217]
	v_div_fmas_f64 v[210:211], v[210:211], v[212:213], v[214:215]
	v_div_fixup_f64 v[210:211], v[210:211], v[224:225], v[222:223]
	v_fma_f64 v[212:213], v[222:223], v[210:211], v[224:225]
	v_div_scale_f64 v[214:215], null, v[212:213], v[212:213], 1.0
	v_rcp_f64_e32 v[216:217], v[214:215]
	v_fma_f64 v[222:223], -v[214:215], v[216:217], 1.0
	v_fma_f64 v[216:217], v[216:217], v[222:223], v[216:217]
	v_fma_f64 v[222:223], -v[214:215], v[216:217], 1.0
	v_fma_f64 v[216:217], v[216:217], v[222:223], v[216:217]
	v_div_scale_f64 v[222:223], vcc_lo, 1.0, v[212:213], 1.0
	v_mul_f64 v[224:225], v[222:223], v[216:217]
	v_fma_f64 v[214:215], -v[214:215], v[224:225], v[222:223]
	v_div_fmas_f64 v[214:215], v[214:215], v[216:217], v[224:225]
	v_div_fixup_f64 v[224:225], v[214:215], v[212:213], 1.0
	v_mul_f64 v[222:223], v[210:211], v[224:225]
	v_xor_b32_e32 v225, 0x80000000, v225
.LBB108_217:
	s_andn2_saveexec_b32 s1, s1
	s_cbranch_execz .LBB108_219
; %bb.218:
	v_div_scale_f64 v[210:211], null, v[222:223], v[222:223], v[224:225]
	v_div_scale_f64 v[216:217], vcc_lo, v[224:225], v[222:223], v[224:225]
	v_rcp_f64_e32 v[212:213], v[210:211]
	v_fma_f64 v[214:215], -v[210:211], v[212:213], 1.0
	v_fma_f64 v[212:213], v[212:213], v[214:215], v[212:213]
	v_fma_f64 v[214:215], -v[210:211], v[212:213], 1.0
	v_fma_f64 v[212:213], v[212:213], v[214:215], v[212:213]
	v_mul_f64 v[214:215], v[216:217], v[212:213]
	v_fma_f64 v[210:211], -v[210:211], v[214:215], v[216:217]
	v_div_fmas_f64 v[210:211], v[210:211], v[212:213], v[214:215]
	v_div_fixup_f64 v[210:211], v[210:211], v[222:223], v[224:225]
	v_fma_f64 v[212:213], v[224:225], v[210:211], v[222:223]
	v_div_scale_f64 v[214:215], null, v[212:213], v[212:213], 1.0
	v_rcp_f64_e32 v[216:217], v[214:215]
	v_fma_f64 v[222:223], -v[214:215], v[216:217], 1.0
	v_fma_f64 v[216:217], v[216:217], v[222:223], v[216:217]
	v_fma_f64 v[222:223], -v[214:215], v[216:217], 1.0
	v_fma_f64 v[216:217], v[216:217], v[222:223], v[216:217]
	v_div_scale_f64 v[222:223], vcc_lo, 1.0, v[212:213], 1.0
	v_mul_f64 v[224:225], v[222:223], v[216:217]
	v_fma_f64 v[214:215], -v[214:215], v[224:225], v[222:223]
	v_div_fmas_f64 v[214:215], v[214:215], v[216:217], v[224:225]
	v_div_fixup_f64 v[222:223], v[214:215], v[212:213], 1.0
	v_mul_f64 v[224:225], v[210:211], -v[222:223]
.LBB108_219:
	s_or_b32 exec_lo, exec_lo, s1
.LBB108_220:
	s_or_b32 exec_lo, exec_lo, s0
	s_mov_b32 s0, exec_lo
	v_cmpx_ne_u32_e64 v236, v230
	s_xor_b32 s0, exec_lo, s0
	s_cbranch_execz .LBB108_226
; %bb.221:
	s_mov_b32 s1, exec_lo
	v_cmpx_eq_u32_e32 10, v236
	s_cbranch_execz .LBB108_225
; %bb.222:
	v_cmp_ne_u32_e32 vcc_lo, 10, v230
	s_xor_b32 s7, s16, -1
	s_and_b32 s9, s7, vcc_lo
	s_and_saveexec_b32 s7, s9
	s_cbranch_execz .LBB108_224
; %bb.223:
	v_ashrrev_i32_e32 v231, 31, v230
	v_lshlrev_b64 v[210:211], 2, v[230:231]
	v_add_co_u32 v210, vcc_lo, v218, v210
	v_add_co_ci_u32_e64 v211, null, v219, v211, vcc_lo
	s_clause 0x1
	global_load_dword v0, v[210:211], off
	global_load_dword v212, v[218:219], off offset:40
	s_waitcnt vmcnt(1)
	global_store_dword v[218:219], v0, off offset:40
	s_waitcnt vmcnt(0)
	global_store_dword v[210:211], v212, off
.LBB108_224:
	s_or_b32 exec_lo, exec_lo, s7
	v_mov_b32_e32 v236, v230
	v_mov_b32_e32 v0, v230
.LBB108_225:
	s_or_b32 exec_lo, exec_lo, s1
.LBB108_226:
	s_andn2_saveexec_b32 s0, s0
	s_cbranch_execz .LBB108_228
; %bb.227:
	v_mov_b32_e32 v236, 10
	ds_write2_b64 v1, v[174:175], v[176:177] offset0:22 offset1:23
	ds_write2_b64 v1, v[170:171], v[172:173] offset0:24 offset1:25
	;; [unrolled: 1-line block ×44, first 2 shown]
.LBB108_228:
	s_or_b32 exec_lo, exec_lo, s0
	s_mov_b32 s0, exec_lo
	s_waitcnt lgkmcnt(0)
	s_waitcnt_vscnt null, 0x0
	s_barrier
	buffer_gl0_inv
	v_cmpx_lt_i32_e32 10, v236
	s_cbranch_execz .LBB108_230
; %bb.229:
	v_mul_f64 v[210:211], v[224:225], v[180:181]
	v_mul_f64 v[180:181], v[222:223], v[180:181]
	v_fma_f64 v[230:231], v[222:223], v[178:179], -v[210:211]
	v_fma_f64 v[180:181], v[224:225], v[178:179], v[180:181]
	ds_read2_b64 v[222:225], v1 offset0:22 offset1:23
	s_waitcnt lgkmcnt(0)
	v_mul_f64 v[178:179], v[224:225], v[180:181]
	v_mul_f64 v[210:211], v[222:223], v[180:181]
	v_fma_f64 v[178:179], v[222:223], v[230:231], -v[178:179]
	v_fma_f64 v[210:211], v[224:225], v[230:231], v[210:211]
	ds_read2_b64 v[222:225], v1 offset0:24 offset1:25
	v_add_f64 v[174:175], v[174:175], -v[178:179]
	v_add_f64 v[176:177], v[176:177], -v[210:211]
	s_waitcnt lgkmcnt(0)
	v_mul_f64 v[178:179], v[224:225], v[180:181]
	v_mul_f64 v[210:211], v[222:223], v[180:181]
	v_fma_f64 v[178:179], v[222:223], v[230:231], -v[178:179]
	v_fma_f64 v[210:211], v[224:225], v[230:231], v[210:211]
	ds_read2_b64 v[222:225], v1 offset0:26 offset1:27
	v_add_f64 v[170:171], v[170:171], -v[178:179]
	v_add_f64 v[172:173], v[172:173], -v[210:211]
	;; [unrolled: 8-line block ×43, first 2 shown]
	s_waitcnt lgkmcnt(0)
	v_mul_f64 v[178:179], v[224:225], v[180:181]
	v_mul_f64 v[210:211], v[222:223], v[180:181]
	v_fma_f64 v[178:179], v[222:223], v[230:231], -v[178:179]
	v_fma_f64 v[210:211], v[224:225], v[230:231], v[210:211]
	v_add_f64 v[2:3], v[2:3], -v[178:179]
	v_add_f64 v[4:5], v[4:5], -v[210:211]
	v_mov_b32_e32 v178, v230
	v_mov_b32_e32 v179, v231
.LBB108_230:
	s_or_b32 exec_lo, exec_lo, s0
	v_lshl_add_u32 v210, v236, 4, v1
	s_barrier
	buffer_gl0_inv
	v_mov_b32_e32 v230, 11
	ds_write2_b64 v210, v[174:175], v[176:177] offset1:1
	s_waitcnt lgkmcnt(0)
	s_barrier
	buffer_gl0_inv
	ds_read2_b64 v[222:225], v1 offset0:22 offset1:23
	s_cmp_lt_i32 s8, 13
	s_cbranch_scc1 .LBB108_233
; %bb.231:
	v_add3_u32 v231, v253, 0, 0xc0
	v_mov_b32_e32 v230, 11
	s_mov_b32 s1, 12
	s_inst_prefetch 0x1
	.p2align	6
.LBB108_232:                            ; =>This Inner Loop Header: Depth=1
	s_waitcnt lgkmcnt(0)
	v_cmp_gt_f64_e32 vcc_lo, 0, v[224:225]
	v_cmp_gt_f64_e64 s0, 0, v[222:223]
	ds_read2_b64 v[237:240], v231 offset1:1
	v_xor_b32_e32 v211, 0x80000000, v223
	v_xor_b32_e32 v213, 0x80000000, v225
	v_mov_b32_e32 v210, v222
	v_mov_b32_e32 v212, v224
	v_add_nc_u32_e32 v231, 16, v231
	s_waitcnt lgkmcnt(0)
	v_xor_b32_e32 v215, 0x80000000, v240
	v_cndmask_b32_e64 v211, v223, v211, s0
	v_cndmask_b32_e32 v213, v225, v213, vcc_lo
	v_cmp_gt_f64_e32 vcc_lo, 0, v[239:240]
	v_cmp_gt_f64_e64 s0, 0, v[237:238]
	v_mov_b32_e32 v214, v239
	v_add_f64 v[210:211], v[210:211], v[212:213]
	v_xor_b32_e32 v213, 0x80000000, v238
	v_mov_b32_e32 v212, v237
	v_cndmask_b32_e32 v215, v240, v215, vcc_lo
	v_cndmask_b32_e64 v213, v238, v213, s0
	v_add_f64 v[212:213], v[212:213], v[214:215]
	v_cmp_lt_f64_e32 vcc_lo, v[210:211], v[212:213]
	v_cndmask_b32_e32 v223, v223, v238, vcc_lo
	v_cndmask_b32_e32 v222, v222, v237, vcc_lo
	;; [unrolled: 1-line block ×4, first 2 shown]
	v_cndmask_b32_e64 v230, v230, s1, vcc_lo
	s_add_i32 s1, s1, 1
	s_cmp_lg_u32 s8, s1
	s_cbranch_scc1 .LBB108_232
.LBB108_233:
	s_inst_prefetch 0x2
	s_waitcnt lgkmcnt(0)
	v_cmp_eq_f64_e32 vcc_lo, 0, v[222:223]
	v_cmp_eq_f64_e64 s0, 0, v[224:225]
	s_and_b32 s0, vcc_lo, s0
	s_and_saveexec_b32 s1, s0
	s_xor_b32 s0, exec_lo, s1
; %bb.234:
	v_cmp_ne_u32_e32 vcc_lo, 0, v235
	v_cndmask_b32_e32 v235, 12, v235, vcc_lo
; %bb.235:
	s_andn2_saveexec_b32 s0, s0
	s_cbranch_execz .LBB108_241
; %bb.236:
	v_cmp_ngt_f64_e64 s1, |v[222:223]|, |v[224:225]|
	s_and_saveexec_b32 s7, s1
	s_xor_b32 s1, exec_lo, s7
	s_cbranch_execz .LBB108_238
; %bb.237:
	v_div_scale_f64 v[210:211], null, v[224:225], v[224:225], v[222:223]
	v_div_scale_f64 v[216:217], vcc_lo, v[222:223], v[224:225], v[222:223]
	v_rcp_f64_e32 v[212:213], v[210:211]
	v_fma_f64 v[214:215], -v[210:211], v[212:213], 1.0
	v_fma_f64 v[212:213], v[212:213], v[214:215], v[212:213]
	v_fma_f64 v[214:215], -v[210:211], v[212:213], 1.0
	v_fma_f64 v[212:213], v[212:213], v[214:215], v[212:213]
	v_mul_f64 v[214:215], v[216:217], v[212:213]
	v_fma_f64 v[210:211], -v[210:211], v[214:215], v[216:217]
	v_div_fmas_f64 v[210:211], v[210:211], v[212:213], v[214:215]
	v_div_fixup_f64 v[210:211], v[210:211], v[224:225], v[222:223]
	v_fma_f64 v[212:213], v[222:223], v[210:211], v[224:225]
	v_div_scale_f64 v[214:215], null, v[212:213], v[212:213], 1.0
	v_rcp_f64_e32 v[216:217], v[214:215]
	v_fma_f64 v[222:223], -v[214:215], v[216:217], 1.0
	v_fma_f64 v[216:217], v[216:217], v[222:223], v[216:217]
	v_fma_f64 v[222:223], -v[214:215], v[216:217], 1.0
	v_fma_f64 v[216:217], v[216:217], v[222:223], v[216:217]
	v_div_scale_f64 v[222:223], vcc_lo, 1.0, v[212:213], 1.0
	v_mul_f64 v[224:225], v[222:223], v[216:217]
	v_fma_f64 v[214:215], -v[214:215], v[224:225], v[222:223]
	v_div_fmas_f64 v[214:215], v[214:215], v[216:217], v[224:225]
	v_div_fixup_f64 v[224:225], v[214:215], v[212:213], 1.0
	v_mul_f64 v[222:223], v[210:211], v[224:225]
	v_xor_b32_e32 v225, 0x80000000, v225
.LBB108_238:
	s_andn2_saveexec_b32 s1, s1
	s_cbranch_execz .LBB108_240
; %bb.239:
	v_div_scale_f64 v[210:211], null, v[222:223], v[222:223], v[224:225]
	v_div_scale_f64 v[216:217], vcc_lo, v[224:225], v[222:223], v[224:225]
	v_rcp_f64_e32 v[212:213], v[210:211]
	v_fma_f64 v[214:215], -v[210:211], v[212:213], 1.0
	v_fma_f64 v[212:213], v[212:213], v[214:215], v[212:213]
	v_fma_f64 v[214:215], -v[210:211], v[212:213], 1.0
	v_fma_f64 v[212:213], v[212:213], v[214:215], v[212:213]
	v_mul_f64 v[214:215], v[216:217], v[212:213]
	v_fma_f64 v[210:211], -v[210:211], v[214:215], v[216:217]
	v_div_fmas_f64 v[210:211], v[210:211], v[212:213], v[214:215]
	v_div_fixup_f64 v[210:211], v[210:211], v[222:223], v[224:225]
	v_fma_f64 v[212:213], v[224:225], v[210:211], v[222:223]
	v_div_scale_f64 v[214:215], null, v[212:213], v[212:213], 1.0
	v_rcp_f64_e32 v[216:217], v[214:215]
	v_fma_f64 v[222:223], -v[214:215], v[216:217], 1.0
	v_fma_f64 v[216:217], v[216:217], v[222:223], v[216:217]
	v_fma_f64 v[222:223], -v[214:215], v[216:217], 1.0
	v_fma_f64 v[216:217], v[216:217], v[222:223], v[216:217]
	v_div_scale_f64 v[222:223], vcc_lo, 1.0, v[212:213], 1.0
	v_mul_f64 v[224:225], v[222:223], v[216:217]
	v_fma_f64 v[214:215], -v[214:215], v[224:225], v[222:223]
	v_div_fmas_f64 v[214:215], v[214:215], v[216:217], v[224:225]
	v_div_fixup_f64 v[222:223], v[214:215], v[212:213], 1.0
	v_mul_f64 v[224:225], v[210:211], -v[222:223]
.LBB108_240:
	s_or_b32 exec_lo, exec_lo, s1
.LBB108_241:
	s_or_b32 exec_lo, exec_lo, s0
	s_mov_b32 s0, exec_lo
	v_cmpx_ne_u32_e64 v236, v230
	s_xor_b32 s0, exec_lo, s0
	s_cbranch_execz .LBB108_247
; %bb.242:
	s_mov_b32 s1, exec_lo
	v_cmpx_eq_u32_e32 11, v236
	s_cbranch_execz .LBB108_246
; %bb.243:
	v_cmp_ne_u32_e32 vcc_lo, 11, v230
	s_xor_b32 s7, s16, -1
	s_and_b32 s9, s7, vcc_lo
	s_and_saveexec_b32 s7, s9
	s_cbranch_execz .LBB108_245
; %bb.244:
	v_ashrrev_i32_e32 v231, 31, v230
	v_lshlrev_b64 v[210:211], 2, v[230:231]
	v_add_co_u32 v210, vcc_lo, v218, v210
	v_add_co_ci_u32_e64 v211, null, v219, v211, vcc_lo
	s_clause 0x1
	global_load_dword v0, v[210:211], off
	global_load_dword v212, v[218:219], off offset:44
	s_waitcnt vmcnt(1)
	global_store_dword v[218:219], v0, off offset:44
	s_waitcnt vmcnt(0)
	global_store_dword v[210:211], v212, off
.LBB108_245:
	s_or_b32 exec_lo, exec_lo, s7
	v_mov_b32_e32 v236, v230
	v_mov_b32_e32 v0, v230
.LBB108_246:
	s_or_b32 exec_lo, exec_lo, s1
.LBB108_247:
	s_andn2_saveexec_b32 s0, s0
	s_cbranch_execz .LBB108_249
; %bb.248:
	v_mov_b32_e32 v236, 11
	ds_write2_b64 v1, v[170:171], v[172:173] offset0:24 offset1:25
	ds_write2_b64 v1, v[166:167], v[168:169] offset0:26 offset1:27
	;; [unrolled: 1-line block ×43, first 2 shown]
.LBB108_249:
	s_or_b32 exec_lo, exec_lo, s0
	s_mov_b32 s0, exec_lo
	s_waitcnt lgkmcnt(0)
	s_waitcnt_vscnt null, 0x0
	s_barrier
	buffer_gl0_inv
	v_cmpx_lt_i32_e32 11, v236
	s_cbranch_execz .LBB108_251
; %bb.250:
	v_mul_f64 v[210:211], v[224:225], v[176:177]
	v_mul_f64 v[176:177], v[222:223], v[176:177]
	v_fma_f64 v[230:231], v[222:223], v[174:175], -v[210:211]
	v_fma_f64 v[176:177], v[224:225], v[174:175], v[176:177]
	ds_read2_b64 v[222:225], v1 offset0:24 offset1:25
	s_waitcnt lgkmcnt(0)
	v_mul_f64 v[174:175], v[224:225], v[176:177]
	v_mul_f64 v[210:211], v[222:223], v[176:177]
	v_fma_f64 v[174:175], v[222:223], v[230:231], -v[174:175]
	v_fma_f64 v[210:211], v[224:225], v[230:231], v[210:211]
	ds_read2_b64 v[222:225], v1 offset0:26 offset1:27
	v_add_f64 v[170:171], v[170:171], -v[174:175]
	v_add_f64 v[172:173], v[172:173], -v[210:211]
	s_waitcnt lgkmcnt(0)
	v_mul_f64 v[174:175], v[224:225], v[176:177]
	v_mul_f64 v[210:211], v[222:223], v[176:177]
	v_fma_f64 v[174:175], v[222:223], v[230:231], -v[174:175]
	v_fma_f64 v[210:211], v[224:225], v[230:231], v[210:211]
	ds_read2_b64 v[222:225], v1 offset0:28 offset1:29
	v_add_f64 v[166:167], v[166:167], -v[174:175]
	v_add_f64 v[168:169], v[168:169], -v[210:211]
	;; [unrolled: 8-line block ×42, first 2 shown]
	s_waitcnt lgkmcnt(0)
	v_mul_f64 v[174:175], v[224:225], v[176:177]
	v_mul_f64 v[210:211], v[222:223], v[176:177]
	v_fma_f64 v[174:175], v[222:223], v[230:231], -v[174:175]
	v_fma_f64 v[210:211], v[224:225], v[230:231], v[210:211]
	v_add_f64 v[2:3], v[2:3], -v[174:175]
	v_add_f64 v[4:5], v[4:5], -v[210:211]
	v_mov_b32_e32 v174, v230
	v_mov_b32_e32 v175, v231
.LBB108_251:
	s_or_b32 exec_lo, exec_lo, s0
	v_lshl_add_u32 v210, v236, 4, v1
	s_barrier
	buffer_gl0_inv
	v_mov_b32_e32 v230, 12
	ds_write2_b64 v210, v[170:171], v[172:173] offset1:1
	s_waitcnt lgkmcnt(0)
	s_barrier
	buffer_gl0_inv
	ds_read2_b64 v[222:225], v1 offset0:24 offset1:25
	s_cmp_lt_i32 s8, 14
	s_cbranch_scc1 .LBB108_254
; %bb.252:
	v_add3_u32 v231, v253, 0, 0xd0
	v_mov_b32_e32 v230, 12
	s_mov_b32 s1, 13
	s_inst_prefetch 0x1
	.p2align	6
.LBB108_253:                            ; =>This Inner Loop Header: Depth=1
	s_waitcnt lgkmcnt(0)
	v_cmp_gt_f64_e32 vcc_lo, 0, v[224:225]
	v_cmp_gt_f64_e64 s0, 0, v[222:223]
	ds_read2_b64 v[237:240], v231 offset1:1
	v_xor_b32_e32 v211, 0x80000000, v223
	v_xor_b32_e32 v213, 0x80000000, v225
	v_mov_b32_e32 v210, v222
	v_mov_b32_e32 v212, v224
	v_add_nc_u32_e32 v231, 16, v231
	s_waitcnt lgkmcnt(0)
	v_xor_b32_e32 v215, 0x80000000, v240
	v_cndmask_b32_e64 v211, v223, v211, s0
	v_cndmask_b32_e32 v213, v225, v213, vcc_lo
	v_cmp_gt_f64_e32 vcc_lo, 0, v[239:240]
	v_cmp_gt_f64_e64 s0, 0, v[237:238]
	v_mov_b32_e32 v214, v239
	v_add_f64 v[210:211], v[210:211], v[212:213]
	v_xor_b32_e32 v213, 0x80000000, v238
	v_mov_b32_e32 v212, v237
	v_cndmask_b32_e32 v215, v240, v215, vcc_lo
	v_cndmask_b32_e64 v213, v238, v213, s0
	v_add_f64 v[212:213], v[212:213], v[214:215]
	v_cmp_lt_f64_e32 vcc_lo, v[210:211], v[212:213]
	v_cndmask_b32_e32 v223, v223, v238, vcc_lo
	v_cndmask_b32_e32 v222, v222, v237, vcc_lo
	;; [unrolled: 1-line block ×4, first 2 shown]
	v_cndmask_b32_e64 v230, v230, s1, vcc_lo
	s_add_i32 s1, s1, 1
	s_cmp_lg_u32 s8, s1
	s_cbranch_scc1 .LBB108_253
.LBB108_254:
	s_inst_prefetch 0x2
	s_waitcnt lgkmcnt(0)
	v_cmp_eq_f64_e32 vcc_lo, 0, v[222:223]
	v_cmp_eq_f64_e64 s0, 0, v[224:225]
	s_and_b32 s0, vcc_lo, s0
	s_and_saveexec_b32 s1, s0
	s_xor_b32 s0, exec_lo, s1
; %bb.255:
	v_cmp_ne_u32_e32 vcc_lo, 0, v235
	v_cndmask_b32_e32 v235, 13, v235, vcc_lo
; %bb.256:
	s_andn2_saveexec_b32 s0, s0
	s_cbranch_execz .LBB108_262
; %bb.257:
	v_cmp_ngt_f64_e64 s1, |v[222:223]|, |v[224:225]|
	s_and_saveexec_b32 s7, s1
	s_xor_b32 s1, exec_lo, s7
	s_cbranch_execz .LBB108_259
; %bb.258:
	v_div_scale_f64 v[210:211], null, v[224:225], v[224:225], v[222:223]
	v_div_scale_f64 v[216:217], vcc_lo, v[222:223], v[224:225], v[222:223]
	v_rcp_f64_e32 v[212:213], v[210:211]
	v_fma_f64 v[214:215], -v[210:211], v[212:213], 1.0
	v_fma_f64 v[212:213], v[212:213], v[214:215], v[212:213]
	v_fma_f64 v[214:215], -v[210:211], v[212:213], 1.0
	v_fma_f64 v[212:213], v[212:213], v[214:215], v[212:213]
	v_mul_f64 v[214:215], v[216:217], v[212:213]
	v_fma_f64 v[210:211], -v[210:211], v[214:215], v[216:217]
	v_div_fmas_f64 v[210:211], v[210:211], v[212:213], v[214:215]
	v_div_fixup_f64 v[210:211], v[210:211], v[224:225], v[222:223]
	v_fma_f64 v[212:213], v[222:223], v[210:211], v[224:225]
	v_div_scale_f64 v[214:215], null, v[212:213], v[212:213], 1.0
	v_rcp_f64_e32 v[216:217], v[214:215]
	v_fma_f64 v[222:223], -v[214:215], v[216:217], 1.0
	v_fma_f64 v[216:217], v[216:217], v[222:223], v[216:217]
	v_fma_f64 v[222:223], -v[214:215], v[216:217], 1.0
	v_fma_f64 v[216:217], v[216:217], v[222:223], v[216:217]
	v_div_scale_f64 v[222:223], vcc_lo, 1.0, v[212:213], 1.0
	v_mul_f64 v[224:225], v[222:223], v[216:217]
	v_fma_f64 v[214:215], -v[214:215], v[224:225], v[222:223]
	v_div_fmas_f64 v[214:215], v[214:215], v[216:217], v[224:225]
	v_div_fixup_f64 v[224:225], v[214:215], v[212:213], 1.0
	v_mul_f64 v[222:223], v[210:211], v[224:225]
	v_xor_b32_e32 v225, 0x80000000, v225
.LBB108_259:
	s_andn2_saveexec_b32 s1, s1
	s_cbranch_execz .LBB108_261
; %bb.260:
	v_div_scale_f64 v[210:211], null, v[222:223], v[222:223], v[224:225]
	v_div_scale_f64 v[216:217], vcc_lo, v[224:225], v[222:223], v[224:225]
	v_rcp_f64_e32 v[212:213], v[210:211]
	v_fma_f64 v[214:215], -v[210:211], v[212:213], 1.0
	v_fma_f64 v[212:213], v[212:213], v[214:215], v[212:213]
	v_fma_f64 v[214:215], -v[210:211], v[212:213], 1.0
	v_fma_f64 v[212:213], v[212:213], v[214:215], v[212:213]
	v_mul_f64 v[214:215], v[216:217], v[212:213]
	v_fma_f64 v[210:211], -v[210:211], v[214:215], v[216:217]
	v_div_fmas_f64 v[210:211], v[210:211], v[212:213], v[214:215]
	v_div_fixup_f64 v[210:211], v[210:211], v[222:223], v[224:225]
	v_fma_f64 v[212:213], v[224:225], v[210:211], v[222:223]
	v_div_scale_f64 v[214:215], null, v[212:213], v[212:213], 1.0
	v_rcp_f64_e32 v[216:217], v[214:215]
	v_fma_f64 v[222:223], -v[214:215], v[216:217], 1.0
	v_fma_f64 v[216:217], v[216:217], v[222:223], v[216:217]
	v_fma_f64 v[222:223], -v[214:215], v[216:217], 1.0
	v_fma_f64 v[216:217], v[216:217], v[222:223], v[216:217]
	v_div_scale_f64 v[222:223], vcc_lo, 1.0, v[212:213], 1.0
	v_mul_f64 v[224:225], v[222:223], v[216:217]
	v_fma_f64 v[214:215], -v[214:215], v[224:225], v[222:223]
	v_div_fmas_f64 v[214:215], v[214:215], v[216:217], v[224:225]
	v_div_fixup_f64 v[222:223], v[214:215], v[212:213], 1.0
	v_mul_f64 v[224:225], v[210:211], -v[222:223]
.LBB108_261:
	s_or_b32 exec_lo, exec_lo, s1
.LBB108_262:
	s_or_b32 exec_lo, exec_lo, s0
	s_mov_b32 s0, exec_lo
	v_cmpx_ne_u32_e64 v236, v230
	s_xor_b32 s0, exec_lo, s0
	s_cbranch_execz .LBB108_268
; %bb.263:
	s_mov_b32 s1, exec_lo
	v_cmpx_eq_u32_e32 12, v236
	s_cbranch_execz .LBB108_267
; %bb.264:
	v_cmp_ne_u32_e32 vcc_lo, 12, v230
	s_xor_b32 s7, s16, -1
	s_and_b32 s9, s7, vcc_lo
	s_and_saveexec_b32 s7, s9
	s_cbranch_execz .LBB108_266
; %bb.265:
	v_ashrrev_i32_e32 v231, 31, v230
	v_lshlrev_b64 v[210:211], 2, v[230:231]
	v_add_co_u32 v210, vcc_lo, v218, v210
	v_add_co_ci_u32_e64 v211, null, v219, v211, vcc_lo
	s_clause 0x1
	global_load_dword v0, v[210:211], off
	global_load_dword v212, v[218:219], off offset:48
	s_waitcnt vmcnt(1)
	global_store_dword v[218:219], v0, off offset:48
	s_waitcnt vmcnt(0)
	global_store_dword v[210:211], v212, off
.LBB108_266:
	s_or_b32 exec_lo, exec_lo, s7
	v_mov_b32_e32 v236, v230
	v_mov_b32_e32 v0, v230
.LBB108_267:
	s_or_b32 exec_lo, exec_lo, s1
.LBB108_268:
	s_andn2_saveexec_b32 s0, s0
	s_cbranch_execz .LBB108_270
; %bb.269:
	v_mov_b32_e32 v236, 12
	ds_write2_b64 v1, v[166:167], v[168:169] offset0:26 offset1:27
	ds_write2_b64 v1, v[162:163], v[164:165] offset0:28 offset1:29
	;; [unrolled: 1-line block ×42, first 2 shown]
.LBB108_270:
	s_or_b32 exec_lo, exec_lo, s0
	s_mov_b32 s0, exec_lo
	s_waitcnt lgkmcnt(0)
	s_waitcnt_vscnt null, 0x0
	s_barrier
	buffer_gl0_inv
	v_cmpx_lt_i32_e32 12, v236
	s_cbranch_execz .LBB108_272
; %bb.271:
	v_mul_f64 v[210:211], v[224:225], v[172:173]
	v_mul_f64 v[172:173], v[222:223], v[172:173]
	v_fma_f64 v[230:231], v[222:223], v[170:171], -v[210:211]
	v_fma_f64 v[172:173], v[224:225], v[170:171], v[172:173]
	ds_read2_b64 v[222:225], v1 offset0:26 offset1:27
	s_waitcnt lgkmcnt(0)
	v_mul_f64 v[170:171], v[224:225], v[172:173]
	v_mul_f64 v[210:211], v[222:223], v[172:173]
	v_fma_f64 v[170:171], v[222:223], v[230:231], -v[170:171]
	v_fma_f64 v[210:211], v[224:225], v[230:231], v[210:211]
	ds_read2_b64 v[222:225], v1 offset0:28 offset1:29
	v_add_f64 v[166:167], v[166:167], -v[170:171]
	v_add_f64 v[168:169], v[168:169], -v[210:211]
	s_waitcnt lgkmcnt(0)
	v_mul_f64 v[170:171], v[224:225], v[172:173]
	v_mul_f64 v[210:211], v[222:223], v[172:173]
	v_fma_f64 v[170:171], v[222:223], v[230:231], -v[170:171]
	v_fma_f64 v[210:211], v[224:225], v[230:231], v[210:211]
	ds_read2_b64 v[222:225], v1 offset0:30 offset1:31
	v_add_f64 v[162:163], v[162:163], -v[170:171]
	v_add_f64 v[164:165], v[164:165], -v[210:211]
	;; [unrolled: 8-line block ×41, first 2 shown]
	s_waitcnt lgkmcnt(0)
	v_mul_f64 v[170:171], v[224:225], v[172:173]
	v_mul_f64 v[210:211], v[222:223], v[172:173]
	v_fma_f64 v[170:171], v[222:223], v[230:231], -v[170:171]
	v_fma_f64 v[210:211], v[224:225], v[230:231], v[210:211]
	v_add_f64 v[2:3], v[2:3], -v[170:171]
	v_add_f64 v[4:5], v[4:5], -v[210:211]
	v_mov_b32_e32 v170, v230
	v_mov_b32_e32 v171, v231
.LBB108_272:
	s_or_b32 exec_lo, exec_lo, s0
	v_lshl_add_u32 v210, v236, 4, v1
	s_barrier
	buffer_gl0_inv
	v_mov_b32_e32 v230, 13
	ds_write2_b64 v210, v[166:167], v[168:169] offset1:1
	s_waitcnt lgkmcnt(0)
	s_barrier
	buffer_gl0_inv
	ds_read2_b64 v[222:225], v1 offset0:26 offset1:27
	s_cmp_lt_i32 s8, 15
	s_cbranch_scc1 .LBB108_275
; %bb.273:
	v_add3_u32 v231, v253, 0, 0xe0
	v_mov_b32_e32 v230, 13
	s_mov_b32 s1, 14
	s_inst_prefetch 0x1
	.p2align	6
.LBB108_274:                            ; =>This Inner Loop Header: Depth=1
	s_waitcnt lgkmcnt(0)
	v_cmp_gt_f64_e32 vcc_lo, 0, v[224:225]
	v_cmp_gt_f64_e64 s0, 0, v[222:223]
	ds_read2_b64 v[237:240], v231 offset1:1
	v_xor_b32_e32 v211, 0x80000000, v223
	v_xor_b32_e32 v213, 0x80000000, v225
	v_mov_b32_e32 v210, v222
	v_mov_b32_e32 v212, v224
	v_add_nc_u32_e32 v231, 16, v231
	s_waitcnt lgkmcnt(0)
	v_xor_b32_e32 v215, 0x80000000, v240
	v_cndmask_b32_e64 v211, v223, v211, s0
	v_cndmask_b32_e32 v213, v225, v213, vcc_lo
	v_cmp_gt_f64_e32 vcc_lo, 0, v[239:240]
	v_cmp_gt_f64_e64 s0, 0, v[237:238]
	v_mov_b32_e32 v214, v239
	v_add_f64 v[210:211], v[210:211], v[212:213]
	v_xor_b32_e32 v213, 0x80000000, v238
	v_mov_b32_e32 v212, v237
	v_cndmask_b32_e32 v215, v240, v215, vcc_lo
	v_cndmask_b32_e64 v213, v238, v213, s0
	v_add_f64 v[212:213], v[212:213], v[214:215]
	v_cmp_lt_f64_e32 vcc_lo, v[210:211], v[212:213]
	v_cndmask_b32_e32 v223, v223, v238, vcc_lo
	v_cndmask_b32_e32 v222, v222, v237, vcc_lo
	;; [unrolled: 1-line block ×4, first 2 shown]
	v_cndmask_b32_e64 v230, v230, s1, vcc_lo
	s_add_i32 s1, s1, 1
	s_cmp_lg_u32 s8, s1
	s_cbranch_scc1 .LBB108_274
.LBB108_275:
	s_inst_prefetch 0x2
	s_waitcnt lgkmcnt(0)
	v_cmp_eq_f64_e32 vcc_lo, 0, v[222:223]
	v_cmp_eq_f64_e64 s0, 0, v[224:225]
	s_and_b32 s0, vcc_lo, s0
	s_and_saveexec_b32 s1, s0
	s_xor_b32 s0, exec_lo, s1
; %bb.276:
	v_cmp_ne_u32_e32 vcc_lo, 0, v235
	v_cndmask_b32_e32 v235, 14, v235, vcc_lo
; %bb.277:
	s_andn2_saveexec_b32 s0, s0
	s_cbranch_execz .LBB108_283
; %bb.278:
	v_cmp_ngt_f64_e64 s1, |v[222:223]|, |v[224:225]|
	s_and_saveexec_b32 s7, s1
	s_xor_b32 s1, exec_lo, s7
	s_cbranch_execz .LBB108_280
; %bb.279:
	v_div_scale_f64 v[210:211], null, v[224:225], v[224:225], v[222:223]
	v_div_scale_f64 v[216:217], vcc_lo, v[222:223], v[224:225], v[222:223]
	v_rcp_f64_e32 v[212:213], v[210:211]
	v_fma_f64 v[214:215], -v[210:211], v[212:213], 1.0
	v_fma_f64 v[212:213], v[212:213], v[214:215], v[212:213]
	v_fma_f64 v[214:215], -v[210:211], v[212:213], 1.0
	v_fma_f64 v[212:213], v[212:213], v[214:215], v[212:213]
	v_mul_f64 v[214:215], v[216:217], v[212:213]
	v_fma_f64 v[210:211], -v[210:211], v[214:215], v[216:217]
	v_div_fmas_f64 v[210:211], v[210:211], v[212:213], v[214:215]
	v_div_fixup_f64 v[210:211], v[210:211], v[224:225], v[222:223]
	v_fma_f64 v[212:213], v[222:223], v[210:211], v[224:225]
	v_div_scale_f64 v[214:215], null, v[212:213], v[212:213], 1.0
	v_rcp_f64_e32 v[216:217], v[214:215]
	v_fma_f64 v[222:223], -v[214:215], v[216:217], 1.0
	v_fma_f64 v[216:217], v[216:217], v[222:223], v[216:217]
	v_fma_f64 v[222:223], -v[214:215], v[216:217], 1.0
	v_fma_f64 v[216:217], v[216:217], v[222:223], v[216:217]
	v_div_scale_f64 v[222:223], vcc_lo, 1.0, v[212:213], 1.0
	v_mul_f64 v[224:225], v[222:223], v[216:217]
	v_fma_f64 v[214:215], -v[214:215], v[224:225], v[222:223]
	v_div_fmas_f64 v[214:215], v[214:215], v[216:217], v[224:225]
	v_div_fixup_f64 v[224:225], v[214:215], v[212:213], 1.0
	v_mul_f64 v[222:223], v[210:211], v[224:225]
	v_xor_b32_e32 v225, 0x80000000, v225
.LBB108_280:
	s_andn2_saveexec_b32 s1, s1
	s_cbranch_execz .LBB108_282
; %bb.281:
	v_div_scale_f64 v[210:211], null, v[222:223], v[222:223], v[224:225]
	v_div_scale_f64 v[216:217], vcc_lo, v[224:225], v[222:223], v[224:225]
	v_rcp_f64_e32 v[212:213], v[210:211]
	v_fma_f64 v[214:215], -v[210:211], v[212:213], 1.0
	v_fma_f64 v[212:213], v[212:213], v[214:215], v[212:213]
	v_fma_f64 v[214:215], -v[210:211], v[212:213], 1.0
	v_fma_f64 v[212:213], v[212:213], v[214:215], v[212:213]
	v_mul_f64 v[214:215], v[216:217], v[212:213]
	v_fma_f64 v[210:211], -v[210:211], v[214:215], v[216:217]
	v_div_fmas_f64 v[210:211], v[210:211], v[212:213], v[214:215]
	v_div_fixup_f64 v[210:211], v[210:211], v[222:223], v[224:225]
	v_fma_f64 v[212:213], v[224:225], v[210:211], v[222:223]
	v_div_scale_f64 v[214:215], null, v[212:213], v[212:213], 1.0
	v_rcp_f64_e32 v[216:217], v[214:215]
	v_fma_f64 v[222:223], -v[214:215], v[216:217], 1.0
	v_fma_f64 v[216:217], v[216:217], v[222:223], v[216:217]
	v_fma_f64 v[222:223], -v[214:215], v[216:217], 1.0
	v_fma_f64 v[216:217], v[216:217], v[222:223], v[216:217]
	v_div_scale_f64 v[222:223], vcc_lo, 1.0, v[212:213], 1.0
	v_mul_f64 v[224:225], v[222:223], v[216:217]
	v_fma_f64 v[214:215], -v[214:215], v[224:225], v[222:223]
	v_div_fmas_f64 v[214:215], v[214:215], v[216:217], v[224:225]
	v_div_fixup_f64 v[222:223], v[214:215], v[212:213], 1.0
	v_mul_f64 v[224:225], v[210:211], -v[222:223]
.LBB108_282:
	s_or_b32 exec_lo, exec_lo, s1
.LBB108_283:
	s_or_b32 exec_lo, exec_lo, s0
	s_mov_b32 s0, exec_lo
	v_cmpx_ne_u32_e64 v236, v230
	s_xor_b32 s0, exec_lo, s0
	s_cbranch_execz .LBB108_289
; %bb.284:
	s_mov_b32 s1, exec_lo
	v_cmpx_eq_u32_e32 13, v236
	s_cbranch_execz .LBB108_288
; %bb.285:
	v_cmp_ne_u32_e32 vcc_lo, 13, v230
	s_xor_b32 s7, s16, -1
	s_and_b32 s9, s7, vcc_lo
	s_and_saveexec_b32 s7, s9
	s_cbranch_execz .LBB108_287
; %bb.286:
	v_ashrrev_i32_e32 v231, 31, v230
	v_lshlrev_b64 v[210:211], 2, v[230:231]
	v_add_co_u32 v210, vcc_lo, v218, v210
	v_add_co_ci_u32_e64 v211, null, v219, v211, vcc_lo
	s_clause 0x1
	global_load_dword v0, v[210:211], off
	global_load_dword v212, v[218:219], off offset:52
	s_waitcnt vmcnt(1)
	global_store_dword v[218:219], v0, off offset:52
	s_waitcnt vmcnt(0)
	global_store_dword v[210:211], v212, off
.LBB108_287:
	s_or_b32 exec_lo, exec_lo, s7
	v_mov_b32_e32 v236, v230
	v_mov_b32_e32 v0, v230
.LBB108_288:
	s_or_b32 exec_lo, exec_lo, s1
.LBB108_289:
	s_andn2_saveexec_b32 s0, s0
	s_cbranch_execz .LBB108_291
; %bb.290:
	v_mov_b32_e32 v236, 13
	ds_write2_b64 v1, v[162:163], v[164:165] offset0:28 offset1:29
	ds_write2_b64 v1, v[158:159], v[160:161] offset0:30 offset1:31
	;; [unrolled: 1-line block ×41, first 2 shown]
.LBB108_291:
	s_or_b32 exec_lo, exec_lo, s0
	s_mov_b32 s0, exec_lo
	s_waitcnt lgkmcnt(0)
	s_waitcnt_vscnt null, 0x0
	s_barrier
	buffer_gl0_inv
	v_cmpx_lt_i32_e32 13, v236
	s_cbranch_execz .LBB108_293
; %bb.292:
	v_mul_f64 v[210:211], v[224:225], v[168:169]
	v_mul_f64 v[168:169], v[222:223], v[168:169]
	v_fma_f64 v[230:231], v[222:223], v[166:167], -v[210:211]
	v_fma_f64 v[168:169], v[224:225], v[166:167], v[168:169]
	ds_read2_b64 v[222:225], v1 offset0:28 offset1:29
	s_waitcnt lgkmcnt(0)
	v_mul_f64 v[166:167], v[224:225], v[168:169]
	v_mul_f64 v[210:211], v[222:223], v[168:169]
	v_fma_f64 v[166:167], v[222:223], v[230:231], -v[166:167]
	v_fma_f64 v[210:211], v[224:225], v[230:231], v[210:211]
	ds_read2_b64 v[222:225], v1 offset0:30 offset1:31
	v_add_f64 v[162:163], v[162:163], -v[166:167]
	v_add_f64 v[164:165], v[164:165], -v[210:211]
	s_waitcnt lgkmcnt(0)
	v_mul_f64 v[166:167], v[224:225], v[168:169]
	v_mul_f64 v[210:211], v[222:223], v[168:169]
	v_fma_f64 v[166:167], v[222:223], v[230:231], -v[166:167]
	v_fma_f64 v[210:211], v[224:225], v[230:231], v[210:211]
	ds_read2_b64 v[222:225], v1 offset0:32 offset1:33
	v_add_f64 v[158:159], v[158:159], -v[166:167]
	v_add_f64 v[160:161], v[160:161], -v[210:211]
	;; [unrolled: 8-line block ×40, first 2 shown]
	s_waitcnt lgkmcnt(0)
	v_mul_f64 v[166:167], v[224:225], v[168:169]
	v_mul_f64 v[210:211], v[222:223], v[168:169]
	v_fma_f64 v[166:167], v[222:223], v[230:231], -v[166:167]
	v_fma_f64 v[210:211], v[224:225], v[230:231], v[210:211]
	v_add_f64 v[2:3], v[2:3], -v[166:167]
	v_add_f64 v[4:5], v[4:5], -v[210:211]
	v_mov_b32_e32 v166, v230
	v_mov_b32_e32 v167, v231
.LBB108_293:
	s_or_b32 exec_lo, exec_lo, s0
	v_lshl_add_u32 v210, v236, 4, v1
	s_barrier
	buffer_gl0_inv
	v_mov_b32_e32 v230, 14
	ds_write2_b64 v210, v[162:163], v[164:165] offset1:1
	s_waitcnt lgkmcnt(0)
	s_barrier
	buffer_gl0_inv
	ds_read2_b64 v[222:225], v1 offset0:28 offset1:29
	s_cmp_lt_i32 s8, 16
	s_cbranch_scc1 .LBB108_296
; %bb.294:
	v_add3_u32 v231, v253, 0, 0xf0
	v_mov_b32_e32 v230, 14
	s_mov_b32 s1, 15
	s_inst_prefetch 0x1
	.p2align	6
.LBB108_295:                            ; =>This Inner Loop Header: Depth=1
	s_waitcnt lgkmcnt(0)
	v_cmp_gt_f64_e32 vcc_lo, 0, v[224:225]
	v_cmp_gt_f64_e64 s0, 0, v[222:223]
	ds_read2_b64 v[237:240], v231 offset1:1
	v_xor_b32_e32 v211, 0x80000000, v223
	v_xor_b32_e32 v213, 0x80000000, v225
	v_mov_b32_e32 v210, v222
	v_mov_b32_e32 v212, v224
	v_add_nc_u32_e32 v231, 16, v231
	s_waitcnt lgkmcnt(0)
	v_xor_b32_e32 v215, 0x80000000, v240
	v_cndmask_b32_e64 v211, v223, v211, s0
	v_cndmask_b32_e32 v213, v225, v213, vcc_lo
	v_cmp_gt_f64_e32 vcc_lo, 0, v[239:240]
	v_cmp_gt_f64_e64 s0, 0, v[237:238]
	v_mov_b32_e32 v214, v239
	v_add_f64 v[210:211], v[210:211], v[212:213]
	v_xor_b32_e32 v213, 0x80000000, v238
	v_mov_b32_e32 v212, v237
	v_cndmask_b32_e32 v215, v240, v215, vcc_lo
	v_cndmask_b32_e64 v213, v238, v213, s0
	v_add_f64 v[212:213], v[212:213], v[214:215]
	v_cmp_lt_f64_e32 vcc_lo, v[210:211], v[212:213]
	v_cndmask_b32_e32 v223, v223, v238, vcc_lo
	v_cndmask_b32_e32 v222, v222, v237, vcc_lo
	;; [unrolled: 1-line block ×4, first 2 shown]
	v_cndmask_b32_e64 v230, v230, s1, vcc_lo
	s_add_i32 s1, s1, 1
	s_cmp_lg_u32 s8, s1
	s_cbranch_scc1 .LBB108_295
.LBB108_296:
	s_inst_prefetch 0x2
	s_waitcnt lgkmcnt(0)
	v_cmp_eq_f64_e32 vcc_lo, 0, v[222:223]
	v_cmp_eq_f64_e64 s0, 0, v[224:225]
	s_and_b32 s0, vcc_lo, s0
	s_and_saveexec_b32 s1, s0
	s_xor_b32 s0, exec_lo, s1
; %bb.297:
	v_cmp_ne_u32_e32 vcc_lo, 0, v235
	v_cndmask_b32_e32 v235, 15, v235, vcc_lo
; %bb.298:
	s_andn2_saveexec_b32 s0, s0
	s_cbranch_execz .LBB108_304
; %bb.299:
	v_cmp_ngt_f64_e64 s1, |v[222:223]|, |v[224:225]|
	s_and_saveexec_b32 s7, s1
	s_xor_b32 s1, exec_lo, s7
	s_cbranch_execz .LBB108_301
; %bb.300:
	v_div_scale_f64 v[210:211], null, v[224:225], v[224:225], v[222:223]
	v_div_scale_f64 v[216:217], vcc_lo, v[222:223], v[224:225], v[222:223]
	v_rcp_f64_e32 v[212:213], v[210:211]
	v_fma_f64 v[214:215], -v[210:211], v[212:213], 1.0
	v_fma_f64 v[212:213], v[212:213], v[214:215], v[212:213]
	v_fma_f64 v[214:215], -v[210:211], v[212:213], 1.0
	v_fma_f64 v[212:213], v[212:213], v[214:215], v[212:213]
	v_mul_f64 v[214:215], v[216:217], v[212:213]
	v_fma_f64 v[210:211], -v[210:211], v[214:215], v[216:217]
	v_div_fmas_f64 v[210:211], v[210:211], v[212:213], v[214:215]
	v_div_fixup_f64 v[210:211], v[210:211], v[224:225], v[222:223]
	v_fma_f64 v[212:213], v[222:223], v[210:211], v[224:225]
	v_div_scale_f64 v[214:215], null, v[212:213], v[212:213], 1.0
	v_rcp_f64_e32 v[216:217], v[214:215]
	v_fma_f64 v[222:223], -v[214:215], v[216:217], 1.0
	v_fma_f64 v[216:217], v[216:217], v[222:223], v[216:217]
	v_fma_f64 v[222:223], -v[214:215], v[216:217], 1.0
	v_fma_f64 v[216:217], v[216:217], v[222:223], v[216:217]
	v_div_scale_f64 v[222:223], vcc_lo, 1.0, v[212:213], 1.0
	v_mul_f64 v[224:225], v[222:223], v[216:217]
	v_fma_f64 v[214:215], -v[214:215], v[224:225], v[222:223]
	v_div_fmas_f64 v[214:215], v[214:215], v[216:217], v[224:225]
	v_div_fixup_f64 v[224:225], v[214:215], v[212:213], 1.0
	v_mul_f64 v[222:223], v[210:211], v[224:225]
	v_xor_b32_e32 v225, 0x80000000, v225
.LBB108_301:
	s_andn2_saveexec_b32 s1, s1
	s_cbranch_execz .LBB108_303
; %bb.302:
	v_div_scale_f64 v[210:211], null, v[222:223], v[222:223], v[224:225]
	v_div_scale_f64 v[216:217], vcc_lo, v[224:225], v[222:223], v[224:225]
	v_rcp_f64_e32 v[212:213], v[210:211]
	v_fma_f64 v[214:215], -v[210:211], v[212:213], 1.0
	v_fma_f64 v[212:213], v[212:213], v[214:215], v[212:213]
	v_fma_f64 v[214:215], -v[210:211], v[212:213], 1.0
	v_fma_f64 v[212:213], v[212:213], v[214:215], v[212:213]
	v_mul_f64 v[214:215], v[216:217], v[212:213]
	v_fma_f64 v[210:211], -v[210:211], v[214:215], v[216:217]
	v_div_fmas_f64 v[210:211], v[210:211], v[212:213], v[214:215]
	v_div_fixup_f64 v[210:211], v[210:211], v[222:223], v[224:225]
	v_fma_f64 v[212:213], v[224:225], v[210:211], v[222:223]
	v_div_scale_f64 v[214:215], null, v[212:213], v[212:213], 1.0
	v_rcp_f64_e32 v[216:217], v[214:215]
	v_fma_f64 v[222:223], -v[214:215], v[216:217], 1.0
	v_fma_f64 v[216:217], v[216:217], v[222:223], v[216:217]
	v_fma_f64 v[222:223], -v[214:215], v[216:217], 1.0
	v_fma_f64 v[216:217], v[216:217], v[222:223], v[216:217]
	v_div_scale_f64 v[222:223], vcc_lo, 1.0, v[212:213], 1.0
	v_mul_f64 v[224:225], v[222:223], v[216:217]
	v_fma_f64 v[214:215], -v[214:215], v[224:225], v[222:223]
	v_div_fmas_f64 v[214:215], v[214:215], v[216:217], v[224:225]
	v_div_fixup_f64 v[222:223], v[214:215], v[212:213], 1.0
	v_mul_f64 v[224:225], v[210:211], -v[222:223]
.LBB108_303:
	s_or_b32 exec_lo, exec_lo, s1
.LBB108_304:
	s_or_b32 exec_lo, exec_lo, s0
	s_mov_b32 s0, exec_lo
	v_cmpx_ne_u32_e64 v236, v230
	s_xor_b32 s0, exec_lo, s0
	s_cbranch_execz .LBB108_310
; %bb.305:
	s_mov_b32 s1, exec_lo
	v_cmpx_eq_u32_e32 14, v236
	s_cbranch_execz .LBB108_309
; %bb.306:
	v_cmp_ne_u32_e32 vcc_lo, 14, v230
	s_xor_b32 s7, s16, -1
	s_and_b32 s9, s7, vcc_lo
	s_and_saveexec_b32 s7, s9
	s_cbranch_execz .LBB108_308
; %bb.307:
	v_ashrrev_i32_e32 v231, 31, v230
	v_lshlrev_b64 v[210:211], 2, v[230:231]
	v_add_co_u32 v210, vcc_lo, v218, v210
	v_add_co_ci_u32_e64 v211, null, v219, v211, vcc_lo
	s_clause 0x1
	global_load_dword v0, v[210:211], off
	global_load_dword v212, v[218:219], off offset:56
	s_waitcnt vmcnt(1)
	global_store_dword v[218:219], v0, off offset:56
	s_waitcnt vmcnt(0)
	global_store_dword v[210:211], v212, off
.LBB108_308:
	s_or_b32 exec_lo, exec_lo, s7
	v_mov_b32_e32 v236, v230
	v_mov_b32_e32 v0, v230
.LBB108_309:
	s_or_b32 exec_lo, exec_lo, s1
.LBB108_310:
	s_andn2_saveexec_b32 s0, s0
	s_cbranch_execz .LBB108_312
; %bb.311:
	v_mov_b32_e32 v236, 14
	ds_write2_b64 v1, v[158:159], v[160:161] offset0:30 offset1:31
	ds_write2_b64 v1, v[154:155], v[156:157] offset0:32 offset1:33
	;; [unrolled: 1-line block ×40, first 2 shown]
.LBB108_312:
	s_or_b32 exec_lo, exec_lo, s0
	s_mov_b32 s0, exec_lo
	s_waitcnt lgkmcnt(0)
	s_waitcnt_vscnt null, 0x0
	s_barrier
	buffer_gl0_inv
	v_cmpx_lt_i32_e32 14, v236
	s_cbranch_execz .LBB108_314
; %bb.313:
	v_mul_f64 v[210:211], v[224:225], v[164:165]
	v_mul_f64 v[164:165], v[222:223], v[164:165]
	v_fma_f64 v[230:231], v[222:223], v[162:163], -v[210:211]
	v_fma_f64 v[164:165], v[224:225], v[162:163], v[164:165]
	ds_read2_b64 v[222:225], v1 offset0:30 offset1:31
	s_waitcnt lgkmcnt(0)
	v_mul_f64 v[162:163], v[224:225], v[164:165]
	v_mul_f64 v[210:211], v[222:223], v[164:165]
	v_fma_f64 v[162:163], v[222:223], v[230:231], -v[162:163]
	v_fma_f64 v[210:211], v[224:225], v[230:231], v[210:211]
	ds_read2_b64 v[222:225], v1 offset0:32 offset1:33
	v_add_f64 v[158:159], v[158:159], -v[162:163]
	v_add_f64 v[160:161], v[160:161], -v[210:211]
	s_waitcnt lgkmcnt(0)
	v_mul_f64 v[162:163], v[224:225], v[164:165]
	v_mul_f64 v[210:211], v[222:223], v[164:165]
	v_fma_f64 v[162:163], v[222:223], v[230:231], -v[162:163]
	v_fma_f64 v[210:211], v[224:225], v[230:231], v[210:211]
	ds_read2_b64 v[222:225], v1 offset0:34 offset1:35
	v_add_f64 v[154:155], v[154:155], -v[162:163]
	v_add_f64 v[156:157], v[156:157], -v[210:211]
	;; [unrolled: 8-line block ×39, first 2 shown]
	s_waitcnt lgkmcnt(0)
	v_mul_f64 v[162:163], v[224:225], v[164:165]
	v_mul_f64 v[210:211], v[222:223], v[164:165]
	v_fma_f64 v[162:163], v[222:223], v[230:231], -v[162:163]
	v_fma_f64 v[210:211], v[224:225], v[230:231], v[210:211]
	v_add_f64 v[2:3], v[2:3], -v[162:163]
	v_add_f64 v[4:5], v[4:5], -v[210:211]
	v_mov_b32_e32 v162, v230
	v_mov_b32_e32 v163, v231
.LBB108_314:
	s_or_b32 exec_lo, exec_lo, s0
	v_lshl_add_u32 v210, v236, 4, v1
	s_barrier
	buffer_gl0_inv
	v_mov_b32_e32 v230, 15
	ds_write2_b64 v210, v[158:159], v[160:161] offset1:1
	s_waitcnt lgkmcnt(0)
	s_barrier
	buffer_gl0_inv
	ds_read2_b64 v[222:225], v1 offset0:30 offset1:31
	s_cmp_lt_i32 s8, 17
	s_cbranch_scc1 .LBB108_317
; %bb.315:
	v_add3_u32 v231, v253, 0, 0x100
	v_mov_b32_e32 v230, 15
	s_mov_b32 s1, 16
	s_inst_prefetch 0x1
	.p2align	6
.LBB108_316:                            ; =>This Inner Loop Header: Depth=1
	s_waitcnt lgkmcnt(0)
	v_cmp_gt_f64_e32 vcc_lo, 0, v[224:225]
	v_cmp_gt_f64_e64 s0, 0, v[222:223]
	ds_read2_b64 v[237:240], v231 offset1:1
	v_xor_b32_e32 v211, 0x80000000, v223
	v_xor_b32_e32 v213, 0x80000000, v225
	v_mov_b32_e32 v210, v222
	v_mov_b32_e32 v212, v224
	v_add_nc_u32_e32 v231, 16, v231
	s_waitcnt lgkmcnt(0)
	v_xor_b32_e32 v215, 0x80000000, v240
	v_cndmask_b32_e64 v211, v223, v211, s0
	v_cndmask_b32_e32 v213, v225, v213, vcc_lo
	v_cmp_gt_f64_e32 vcc_lo, 0, v[239:240]
	v_cmp_gt_f64_e64 s0, 0, v[237:238]
	v_mov_b32_e32 v214, v239
	v_add_f64 v[210:211], v[210:211], v[212:213]
	v_xor_b32_e32 v213, 0x80000000, v238
	v_mov_b32_e32 v212, v237
	v_cndmask_b32_e32 v215, v240, v215, vcc_lo
	v_cndmask_b32_e64 v213, v238, v213, s0
	v_add_f64 v[212:213], v[212:213], v[214:215]
	v_cmp_lt_f64_e32 vcc_lo, v[210:211], v[212:213]
	v_cndmask_b32_e32 v223, v223, v238, vcc_lo
	v_cndmask_b32_e32 v222, v222, v237, vcc_lo
	;; [unrolled: 1-line block ×4, first 2 shown]
	v_cndmask_b32_e64 v230, v230, s1, vcc_lo
	s_add_i32 s1, s1, 1
	s_cmp_lg_u32 s8, s1
	s_cbranch_scc1 .LBB108_316
.LBB108_317:
	s_inst_prefetch 0x2
	s_waitcnt lgkmcnt(0)
	v_cmp_eq_f64_e32 vcc_lo, 0, v[222:223]
	v_cmp_eq_f64_e64 s0, 0, v[224:225]
	s_and_b32 s0, vcc_lo, s0
	s_and_saveexec_b32 s1, s0
	s_xor_b32 s0, exec_lo, s1
; %bb.318:
	v_cmp_ne_u32_e32 vcc_lo, 0, v235
	v_cndmask_b32_e32 v235, 16, v235, vcc_lo
; %bb.319:
	s_andn2_saveexec_b32 s0, s0
	s_cbranch_execz .LBB108_325
; %bb.320:
	v_cmp_ngt_f64_e64 s1, |v[222:223]|, |v[224:225]|
	s_and_saveexec_b32 s7, s1
	s_xor_b32 s1, exec_lo, s7
	s_cbranch_execz .LBB108_322
; %bb.321:
	v_div_scale_f64 v[210:211], null, v[224:225], v[224:225], v[222:223]
	v_div_scale_f64 v[216:217], vcc_lo, v[222:223], v[224:225], v[222:223]
	v_rcp_f64_e32 v[212:213], v[210:211]
	v_fma_f64 v[214:215], -v[210:211], v[212:213], 1.0
	v_fma_f64 v[212:213], v[212:213], v[214:215], v[212:213]
	v_fma_f64 v[214:215], -v[210:211], v[212:213], 1.0
	v_fma_f64 v[212:213], v[212:213], v[214:215], v[212:213]
	v_mul_f64 v[214:215], v[216:217], v[212:213]
	v_fma_f64 v[210:211], -v[210:211], v[214:215], v[216:217]
	v_div_fmas_f64 v[210:211], v[210:211], v[212:213], v[214:215]
	v_div_fixup_f64 v[210:211], v[210:211], v[224:225], v[222:223]
	v_fma_f64 v[212:213], v[222:223], v[210:211], v[224:225]
	v_div_scale_f64 v[214:215], null, v[212:213], v[212:213], 1.0
	v_rcp_f64_e32 v[216:217], v[214:215]
	v_fma_f64 v[222:223], -v[214:215], v[216:217], 1.0
	v_fma_f64 v[216:217], v[216:217], v[222:223], v[216:217]
	v_fma_f64 v[222:223], -v[214:215], v[216:217], 1.0
	v_fma_f64 v[216:217], v[216:217], v[222:223], v[216:217]
	v_div_scale_f64 v[222:223], vcc_lo, 1.0, v[212:213], 1.0
	v_mul_f64 v[224:225], v[222:223], v[216:217]
	v_fma_f64 v[214:215], -v[214:215], v[224:225], v[222:223]
	v_div_fmas_f64 v[214:215], v[214:215], v[216:217], v[224:225]
	v_div_fixup_f64 v[224:225], v[214:215], v[212:213], 1.0
	v_mul_f64 v[222:223], v[210:211], v[224:225]
	v_xor_b32_e32 v225, 0x80000000, v225
.LBB108_322:
	s_andn2_saveexec_b32 s1, s1
	s_cbranch_execz .LBB108_324
; %bb.323:
	v_div_scale_f64 v[210:211], null, v[222:223], v[222:223], v[224:225]
	v_div_scale_f64 v[216:217], vcc_lo, v[224:225], v[222:223], v[224:225]
	v_rcp_f64_e32 v[212:213], v[210:211]
	v_fma_f64 v[214:215], -v[210:211], v[212:213], 1.0
	v_fma_f64 v[212:213], v[212:213], v[214:215], v[212:213]
	v_fma_f64 v[214:215], -v[210:211], v[212:213], 1.0
	v_fma_f64 v[212:213], v[212:213], v[214:215], v[212:213]
	v_mul_f64 v[214:215], v[216:217], v[212:213]
	v_fma_f64 v[210:211], -v[210:211], v[214:215], v[216:217]
	v_div_fmas_f64 v[210:211], v[210:211], v[212:213], v[214:215]
	v_div_fixup_f64 v[210:211], v[210:211], v[222:223], v[224:225]
	v_fma_f64 v[212:213], v[224:225], v[210:211], v[222:223]
	v_div_scale_f64 v[214:215], null, v[212:213], v[212:213], 1.0
	v_rcp_f64_e32 v[216:217], v[214:215]
	v_fma_f64 v[222:223], -v[214:215], v[216:217], 1.0
	v_fma_f64 v[216:217], v[216:217], v[222:223], v[216:217]
	v_fma_f64 v[222:223], -v[214:215], v[216:217], 1.0
	v_fma_f64 v[216:217], v[216:217], v[222:223], v[216:217]
	v_div_scale_f64 v[222:223], vcc_lo, 1.0, v[212:213], 1.0
	v_mul_f64 v[224:225], v[222:223], v[216:217]
	v_fma_f64 v[214:215], -v[214:215], v[224:225], v[222:223]
	v_div_fmas_f64 v[214:215], v[214:215], v[216:217], v[224:225]
	v_div_fixup_f64 v[222:223], v[214:215], v[212:213], 1.0
	v_mul_f64 v[224:225], v[210:211], -v[222:223]
.LBB108_324:
	s_or_b32 exec_lo, exec_lo, s1
.LBB108_325:
	s_or_b32 exec_lo, exec_lo, s0
	s_mov_b32 s0, exec_lo
	v_cmpx_ne_u32_e64 v236, v230
	s_xor_b32 s0, exec_lo, s0
	s_cbranch_execz .LBB108_331
; %bb.326:
	s_mov_b32 s1, exec_lo
	v_cmpx_eq_u32_e32 15, v236
	s_cbranch_execz .LBB108_330
; %bb.327:
	v_cmp_ne_u32_e32 vcc_lo, 15, v230
	s_xor_b32 s7, s16, -1
	s_and_b32 s9, s7, vcc_lo
	s_and_saveexec_b32 s7, s9
	s_cbranch_execz .LBB108_329
; %bb.328:
	v_ashrrev_i32_e32 v231, 31, v230
	v_lshlrev_b64 v[210:211], 2, v[230:231]
	v_add_co_u32 v210, vcc_lo, v218, v210
	v_add_co_ci_u32_e64 v211, null, v219, v211, vcc_lo
	s_clause 0x1
	global_load_dword v0, v[210:211], off
	global_load_dword v212, v[218:219], off offset:60
	s_waitcnt vmcnt(1)
	global_store_dword v[218:219], v0, off offset:60
	s_waitcnt vmcnt(0)
	global_store_dword v[210:211], v212, off
.LBB108_329:
	s_or_b32 exec_lo, exec_lo, s7
	v_mov_b32_e32 v236, v230
	v_mov_b32_e32 v0, v230
.LBB108_330:
	s_or_b32 exec_lo, exec_lo, s1
.LBB108_331:
	s_andn2_saveexec_b32 s0, s0
	s_cbranch_execz .LBB108_333
; %bb.332:
	v_mov_b32_e32 v236, 15
	ds_write2_b64 v1, v[154:155], v[156:157] offset0:32 offset1:33
	ds_write2_b64 v1, v[150:151], v[152:153] offset0:34 offset1:35
	;; [unrolled: 1-line block ×39, first 2 shown]
.LBB108_333:
	s_or_b32 exec_lo, exec_lo, s0
	s_mov_b32 s0, exec_lo
	s_waitcnt lgkmcnt(0)
	s_waitcnt_vscnt null, 0x0
	s_barrier
	buffer_gl0_inv
	v_cmpx_lt_i32_e32 15, v236
	s_cbranch_execz .LBB108_335
; %bb.334:
	v_mul_f64 v[210:211], v[224:225], v[160:161]
	v_mul_f64 v[160:161], v[222:223], v[160:161]
	v_fma_f64 v[230:231], v[222:223], v[158:159], -v[210:211]
	v_fma_f64 v[160:161], v[224:225], v[158:159], v[160:161]
	ds_read2_b64 v[222:225], v1 offset0:32 offset1:33
	s_waitcnt lgkmcnt(0)
	v_mul_f64 v[158:159], v[224:225], v[160:161]
	v_mul_f64 v[210:211], v[222:223], v[160:161]
	v_fma_f64 v[158:159], v[222:223], v[230:231], -v[158:159]
	v_fma_f64 v[210:211], v[224:225], v[230:231], v[210:211]
	ds_read2_b64 v[222:225], v1 offset0:34 offset1:35
	v_add_f64 v[154:155], v[154:155], -v[158:159]
	v_add_f64 v[156:157], v[156:157], -v[210:211]
	s_waitcnt lgkmcnt(0)
	v_mul_f64 v[158:159], v[224:225], v[160:161]
	v_mul_f64 v[210:211], v[222:223], v[160:161]
	v_fma_f64 v[158:159], v[222:223], v[230:231], -v[158:159]
	v_fma_f64 v[210:211], v[224:225], v[230:231], v[210:211]
	ds_read2_b64 v[222:225], v1 offset0:36 offset1:37
	v_add_f64 v[150:151], v[150:151], -v[158:159]
	v_add_f64 v[152:153], v[152:153], -v[210:211]
	;; [unrolled: 8-line block ×38, first 2 shown]
	s_waitcnt lgkmcnt(0)
	v_mul_f64 v[158:159], v[224:225], v[160:161]
	v_mul_f64 v[210:211], v[222:223], v[160:161]
	v_fma_f64 v[158:159], v[222:223], v[230:231], -v[158:159]
	v_fma_f64 v[210:211], v[224:225], v[230:231], v[210:211]
	v_add_f64 v[2:3], v[2:3], -v[158:159]
	v_add_f64 v[4:5], v[4:5], -v[210:211]
	v_mov_b32_e32 v158, v230
	v_mov_b32_e32 v159, v231
.LBB108_335:
	s_or_b32 exec_lo, exec_lo, s0
	v_lshl_add_u32 v210, v236, 4, v1
	s_barrier
	buffer_gl0_inv
	v_mov_b32_e32 v230, 16
	ds_write2_b64 v210, v[154:155], v[156:157] offset1:1
	s_waitcnt lgkmcnt(0)
	s_barrier
	buffer_gl0_inv
	ds_read2_b64 v[222:225], v1 offset0:32 offset1:33
	s_cmp_lt_i32 s8, 18
	s_cbranch_scc1 .LBB108_338
; %bb.336:
	v_add3_u32 v231, v253, 0, 0x110
	v_mov_b32_e32 v230, 16
	s_mov_b32 s1, 17
	s_inst_prefetch 0x1
	.p2align	6
.LBB108_337:                            ; =>This Inner Loop Header: Depth=1
	s_waitcnt lgkmcnt(0)
	v_cmp_gt_f64_e32 vcc_lo, 0, v[224:225]
	v_cmp_gt_f64_e64 s0, 0, v[222:223]
	ds_read2_b64 v[237:240], v231 offset1:1
	v_xor_b32_e32 v211, 0x80000000, v223
	v_xor_b32_e32 v213, 0x80000000, v225
	v_mov_b32_e32 v210, v222
	v_mov_b32_e32 v212, v224
	v_add_nc_u32_e32 v231, 16, v231
	s_waitcnt lgkmcnt(0)
	v_xor_b32_e32 v215, 0x80000000, v240
	v_cndmask_b32_e64 v211, v223, v211, s0
	v_cndmask_b32_e32 v213, v225, v213, vcc_lo
	v_cmp_gt_f64_e32 vcc_lo, 0, v[239:240]
	v_cmp_gt_f64_e64 s0, 0, v[237:238]
	v_mov_b32_e32 v214, v239
	v_add_f64 v[210:211], v[210:211], v[212:213]
	v_xor_b32_e32 v213, 0x80000000, v238
	v_mov_b32_e32 v212, v237
	v_cndmask_b32_e32 v215, v240, v215, vcc_lo
	v_cndmask_b32_e64 v213, v238, v213, s0
	v_add_f64 v[212:213], v[212:213], v[214:215]
	v_cmp_lt_f64_e32 vcc_lo, v[210:211], v[212:213]
	v_cndmask_b32_e32 v223, v223, v238, vcc_lo
	v_cndmask_b32_e32 v222, v222, v237, vcc_lo
	;; [unrolled: 1-line block ×4, first 2 shown]
	v_cndmask_b32_e64 v230, v230, s1, vcc_lo
	s_add_i32 s1, s1, 1
	s_cmp_lg_u32 s8, s1
	s_cbranch_scc1 .LBB108_337
.LBB108_338:
	s_inst_prefetch 0x2
	s_waitcnt lgkmcnt(0)
	v_cmp_eq_f64_e32 vcc_lo, 0, v[222:223]
	v_cmp_eq_f64_e64 s0, 0, v[224:225]
	s_and_b32 s0, vcc_lo, s0
	s_and_saveexec_b32 s1, s0
	s_xor_b32 s0, exec_lo, s1
; %bb.339:
	v_cmp_ne_u32_e32 vcc_lo, 0, v235
	v_cndmask_b32_e32 v235, 17, v235, vcc_lo
; %bb.340:
	s_andn2_saveexec_b32 s0, s0
	s_cbranch_execz .LBB108_346
; %bb.341:
	v_cmp_ngt_f64_e64 s1, |v[222:223]|, |v[224:225]|
	s_and_saveexec_b32 s7, s1
	s_xor_b32 s1, exec_lo, s7
	s_cbranch_execz .LBB108_343
; %bb.342:
	v_div_scale_f64 v[210:211], null, v[224:225], v[224:225], v[222:223]
	v_div_scale_f64 v[216:217], vcc_lo, v[222:223], v[224:225], v[222:223]
	v_rcp_f64_e32 v[212:213], v[210:211]
	v_fma_f64 v[214:215], -v[210:211], v[212:213], 1.0
	v_fma_f64 v[212:213], v[212:213], v[214:215], v[212:213]
	v_fma_f64 v[214:215], -v[210:211], v[212:213], 1.0
	v_fma_f64 v[212:213], v[212:213], v[214:215], v[212:213]
	v_mul_f64 v[214:215], v[216:217], v[212:213]
	v_fma_f64 v[210:211], -v[210:211], v[214:215], v[216:217]
	v_div_fmas_f64 v[210:211], v[210:211], v[212:213], v[214:215]
	v_div_fixup_f64 v[210:211], v[210:211], v[224:225], v[222:223]
	v_fma_f64 v[212:213], v[222:223], v[210:211], v[224:225]
	v_div_scale_f64 v[214:215], null, v[212:213], v[212:213], 1.0
	v_rcp_f64_e32 v[216:217], v[214:215]
	v_fma_f64 v[222:223], -v[214:215], v[216:217], 1.0
	v_fma_f64 v[216:217], v[216:217], v[222:223], v[216:217]
	v_fma_f64 v[222:223], -v[214:215], v[216:217], 1.0
	v_fma_f64 v[216:217], v[216:217], v[222:223], v[216:217]
	v_div_scale_f64 v[222:223], vcc_lo, 1.0, v[212:213], 1.0
	v_mul_f64 v[224:225], v[222:223], v[216:217]
	v_fma_f64 v[214:215], -v[214:215], v[224:225], v[222:223]
	v_div_fmas_f64 v[214:215], v[214:215], v[216:217], v[224:225]
	v_div_fixup_f64 v[224:225], v[214:215], v[212:213], 1.0
	v_mul_f64 v[222:223], v[210:211], v[224:225]
	v_xor_b32_e32 v225, 0x80000000, v225
.LBB108_343:
	s_andn2_saveexec_b32 s1, s1
	s_cbranch_execz .LBB108_345
; %bb.344:
	v_div_scale_f64 v[210:211], null, v[222:223], v[222:223], v[224:225]
	v_div_scale_f64 v[216:217], vcc_lo, v[224:225], v[222:223], v[224:225]
	v_rcp_f64_e32 v[212:213], v[210:211]
	v_fma_f64 v[214:215], -v[210:211], v[212:213], 1.0
	v_fma_f64 v[212:213], v[212:213], v[214:215], v[212:213]
	v_fma_f64 v[214:215], -v[210:211], v[212:213], 1.0
	v_fma_f64 v[212:213], v[212:213], v[214:215], v[212:213]
	v_mul_f64 v[214:215], v[216:217], v[212:213]
	v_fma_f64 v[210:211], -v[210:211], v[214:215], v[216:217]
	v_div_fmas_f64 v[210:211], v[210:211], v[212:213], v[214:215]
	v_div_fixup_f64 v[210:211], v[210:211], v[222:223], v[224:225]
	v_fma_f64 v[212:213], v[224:225], v[210:211], v[222:223]
	v_div_scale_f64 v[214:215], null, v[212:213], v[212:213], 1.0
	v_rcp_f64_e32 v[216:217], v[214:215]
	v_fma_f64 v[222:223], -v[214:215], v[216:217], 1.0
	v_fma_f64 v[216:217], v[216:217], v[222:223], v[216:217]
	v_fma_f64 v[222:223], -v[214:215], v[216:217], 1.0
	v_fma_f64 v[216:217], v[216:217], v[222:223], v[216:217]
	v_div_scale_f64 v[222:223], vcc_lo, 1.0, v[212:213], 1.0
	v_mul_f64 v[224:225], v[222:223], v[216:217]
	v_fma_f64 v[214:215], -v[214:215], v[224:225], v[222:223]
	v_div_fmas_f64 v[214:215], v[214:215], v[216:217], v[224:225]
	v_div_fixup_f64 v[222:223], v[214:215], v[212:213], 1.0
	v_mul_f64 v[224:225], v[210:211], -v[222:223]
.LBB108_345:
	s_or_b32 exec_lo, exec_lo, s1
.LBB108_346:
	s_or_b32 exec_lo, exec_lo, s0
	s_mov_b32 s0, exec_lo
	v_cmpx_ne_u32_e64 v236, v230
	s_xor_b32 s0, exec_lo, s0
	s_cbranch_execz .LBB108_352
; %bb.347:
	s_mov_b32 s1, exec_lo
	v_cmpx_eq_u32_e32 16, v236
	s_cbranch_execz .LBB108_351
; %bb.348:
	v_cmp_ne_u32_e32 vcc_lo, 16, v230
	s_xor_b32 s7, s16, -1
	s_and_b32 s9, s7, vcc_lo
	s_and_saveexec_b32 s7, s9
	s_cbranch_execz .LBB108_350
; %bb.349:
	v_ashrrev_i32_e32 v231, 31, v230
	v_lshlrev_b64 v[210:211], 2, v[230:231]
	v_add_co_u32 v210, vcc_lo, v218, v210
	v_add_co_ci_u32_e64 v211, null, v219, v211, vcc_lo
	s_clause 0x1
	global_load_dword v0, v[210:211], off
	global_load_dword v212, v[218:219], off offset:64
	s_waitcnt vmcnt(1)
	global_store_dword v[218:219], v0, off offset:64
	s_waitcnt vmcnt(0)
	global_store_dword v[210:211], v212, off
.LBB108_350:
	s_or_b32 exec_lo, exec_lo, s7
	v_mov_b32_e32 v236, v230
	v_mov_b32_e32 v0, v230
.LBB108_351:
	s_or_b32 exec_lo, exec_lo, s1
.LBB108_352:
	s_andn2_saveexec_b32 s0, s0
	s_cbranch_execz .LBB108_354
; %bb.353:
	v_mov_b32_e32 v236, 16
	ds_write2_b64 v1, v[150:151], v[152:153] offset0:34 offset1:35
	ds_write2_b64 v1, v[146:147], v[148:149] offset0:36 offset1:37
	;; [unrolled: 1-line block ×38, first 2 shown]
.LBB108_354:
	s_or_b32 exec_lo, exec_lo, s0
	s_mov_b32 s0, exec_lo
	s_waitcnt lgkmcnt(0)
	s_waitcnt_vscnt null, 0x0
	s_barrier
	buffer_gl0_inv
	v_cmpx_lt_i32_e32 16, v236
	s_cbranch_execz .LBB108_356
; %bb.355:
	v_mul_f64 v[210:211], v[224:225], v[156:157]
	v_mul_f64 v[156:157], v[222:223], v[156:157]
	v_fma_f64 v[230:231], v[222:223], v[154:155], -v[210:211]
	v_fma_f64 v[156:157], v[224:225], v[154:155], v[156:157]
	ds_read2_b64 v[222:225], v1 offset0:34 offset1:35
	s_waitcnt lgkmcnt(0)
	v_mul_f64 v[154:155], v[224:225], v[156:157]
	v_mul_f64 v[210:211], v[222:223], v[156:157]
	v_fma_f64 v[154:155], v[222:223], v[230:231], -v[154:155]
	v_fma_f64 v[210:211], v[224:225], v[230:231], v[210:211]
	ds_read2_b64 v[222:225], v1 offset0:36 offset1:37
	v_add_f64 v[150:151], v[150:151], -v[154:155]
	v_add_f64 v[152:153], v[152:153], -v[210:211]
	s_waitcnt lgkmcnt(0)
	v_mul_f64 v[154:155], v[224:225], v[156:157]
	v_mul_f64 v[210:211], v[222:223], v[156:157]
	v_fma_f64 v[154:155], v[222:223], v[230:231], -v[154:155]
	v_fma_f64 v[210:211], v[224:225], v[230:231], v[210:211]
	ds_read2_b64 v[222:225], v1 offset0:38 offset1:39
	v_add_f64 v[146:147], v[146:147], -v[154:155]
	v_add_f64 v[148:149], v[148:149], -v[210:211]
	;; [unrolled: 8-line block ×37, first 2 shown]
	s_waitcnt lgkmcnt(0)
	v_mul_f64 v[154:155], v[224:225], v[156:157]
	v_mul_f64 v[210:211], v[222:223], v[156:157]
	v_fma_f64 v[154:155], v[222:223], v[230:231], -v[154:155]
	v_fma_f64 v[210:211], v[224:225], v[230:231], v[210:211]
	v_add_f64 v[2:3], v[2:3], -v[154:155]
	v_add_f64 v[4:5], v[4:5], -v[210:211]
	v_mov_b32_e32 v154, v230
	v_mov_b32_e32 v155, v231
.LBB108_356:
	s_or_b32 exec_lo, exec_lo, s0
	v_lshl_add_u32 v210, v236, 4, v1
	s_barrier
	buffer_gl0_inv
	v_mov_b32_e32 v230, 17
	ds_write2_b64 v210, v[150:151], v[152:153] offset1:1
	s_waitcnt lgkmcnt(0)
	s_barrier
	buffer_gl0_inv
	ds_read2_b64 v[222:225], v1 offset0:34 offset1:35
	s_cmp_lt_i32 s8, 19
	s_cbranch_scc1 .LBB108_359
; %bb.357:
	v_add3_u32 v231, v253, 0, 0x120
	v_mov_b32_e32 v230, 17
	s_mov_b32 s1, 18
	s_inst_prefetch 0x1
	.p2align	6
.LBB108_358:                            ; =>This Inner Loop Header: Depth=1
	s_waitcnt lgkmcnt(0)
	v_cmp_gt_f64_e32 vcc_lo, 0, v[224:225]
	v_cmp_gt_f64_e64 s0, 0, v[222:223]
	ds_read2_b64 v[237:240], v231 offset1:1
	v_xor_b32_e32 v211, 0x80000000, v223
	v_xor_b32_e32 v213, 0x80000000, v225
	v_mov_b32_e32 v210, v222
	v_mov_b32_e32 v212, v224
	v_add_nc_u32_e32 v231, 16, v231
	s_waitcnt lgkmcnt(0)
	v_xor_b32_e32 v215, 0x80000000, v240
	v_cndmask_b32_e64 v211, v223, v211, s0
	v_cndmask_b32_e32 v213, v225, v213, vcc_lo
	v_cmp_gt_f64_e32 vcc_lo, 0, v[239:240]
	v_cmp_gt_f64_e64 s0, 0, v[237:238]
	v_mov_b32_e32 v214, v239
	v_add_f64 v[210:211], v[210:211], v[212:213]
	v_xor_b32_e32 v213, 0x80000000, v238
	v_mov_b32_e32 v212, v237
	v_cndmask_b32_e32 v215, v240, v215, vcc_lo
	v_cndmask_b32_e64 v213, v238, v213, s0
	v_add_f64 v[212:213], v[212:213], v[214:215]
	v_cmp_lt_f64_e32 vcc_lo, v[210:211], v[212:213]
	v_cndmask_b32_e32 v223, v223, v238, vcc_lo
	v_cndmask_b32_e32 v222, v222, v237, vcc_lo
	;; [unrolled: 1-line block ×4, first 2 shown]
	v_cndmask_b32_e64 v230, v230, s1, vcc_lo
	s_add_i32 s1, s1, 1
	s_cmp_lg_u32 s8, s1
	s_cbranch_scc1 .LBB108_358
.LBB108_359:
	s_inst_prefetch 0x2
	s_waitcnt lgkmcnt(0)
	v_cmp_eq_f64_e32 vcc_lo, 0, v[222:223]
	v_cmp_eq_f64_e64 s0, 0, v[224:225]
	s_and_b32 s0, vcc_lo, s0
	s_and_saveexec_b32 s1, s0
	s_xor_b32 s0, exec_lo, s1
; %bb.360:
	v_cmp_ne_u32_e32 vcc_lo, 0, v235
	v_cndmask_b32_e32 v235, 18, v235, vcc_lo
; %bb.361:
	s_andn2_saveexec_b32 s0, s0
	s_cbranch_execz .LBB108_367
; %bb.362:
	v_cmp_ngt_f64_e64 s1, |v[222:223]|, |v[224:225]|
	s_and_saveexec_b32 s7, s1
	s_xor_b32 s1, exec_lo, s7
	s_cbranch_execz .LBB108_364
; %bb.363:
	v_div_scale_f64 v[210:211], null, v[224:225], v[224:225], v[222:223]
	v_div_scale_f64 v[216:217], vcc_lo, v[222:223], v[224:225], v[222:223]
	v_rcp_f64_e32 v[212:213], v[210:211]
	v_fma_f64 v[214:215], -v[210:211], v[212:213], 1.0
	v_fma_f64 v[212:213], v[212:213], v[214:215], v[212:213]
	v_fma_f64 v[214:215], -v[210:211], v[212:213], 1.0
	v_fma_f64 v[212:213], v[212:213], v[214:215], v[212:213]
	v_mul_f64 v[214:215], v[216:217], v[212:213]
	v_fma_f64 v[210:211], -v[210:211], v[214:215], v[216:217]
	v_div_fmas_f64 v[210:211], v[210:211], v[212:213], v[214:215]
	v_div_fixup_f64 v[210:211], v[210:211], v[224:225], v[222:223]
	v_fma_f64 v[212:213], v[222:223], v[210:211], v[224:225]
	v_div_scale_f64 v[214:215], null, v[212:213], v[212:213], 1.0
	v_rcp_f64_e32 v[216:217], v[214:215]
	v_fma_f64 v[222:223], -v[214:215], v[216:217], 1.0
	v_fma_f64 v[216:217], v[216:217], v[222:223], v[216:217]
	v_fma_f64 v[222:223], -v[214:215], v[216:217], 1.0
	v_fma_f64 v[216:217], v[216:217], v[222:223], v[216:217]
	v_div_scale_f64 v[222:223], vcc_lo, 1.0, v[212:213], 1.0
	v_mul_f64 v[224:225], v[222:223], v[216:217]
	v_fma_f64 v[214:215], -v[214:215], v[224:225], v[222:223]
	v_div_fmas_f64 v[214:215], v[214:215], v[216:217], v[224:225]
	v_div_fixup_f64 v[224:225], v[214:215], v[212:213], 1.0
	v_mul_f64 v[222:223], v[210:211], v[224:225]
	v_xor_b32_e32 v225, 0x80000000, v225
.LBB108_364:
	s_andn2_saveexec_b32 s1, s1
	s_cbranch_execz .LBB108_366
; %bb.365:
	v_div_scale_f64 v[210:211], null, v[222:223], v[222:223], v[224:225]
	v_div_scale_f64 v[216:217], vcc_lo, v[224:225], v[222:223], v[224:225]
	v_rcp_f64_e32 v[212:213], v[210:211]
	v_fma_f64 v[214:215], -v[210:211], v[212:213], 1.0
	v_fma_f64 v[212:213], v[212:213], v[214:215], v[212:213]
	v_fma_f64 v[214:215], -v[210:211], v[212:213], 1.0
	v_fma_f64 v[212:213], v[212:213], v[214:215], v[212:213]
	v_mul_f64 v[214:215], v[216:217], v[212:213]
	v_fma_f64 v[210:211], -v[210:211], v[214:215], v[216:217]
	v_div_fmas_f64 v[210:211], v[210:211], v[212:213], v[214:215]
	v_div_fixup_f64 v[210:211], v[210:211], v[222:223], v[224:225]
	v_fma_f64 v[212:213], v[224:225], v[210:211], v[222:223]
	v_div_scale_f64 v[214:215], null, v[212:213], v[212:213], 1.0
	v_rcp_f64_e32 v[216:217], v[214:215]
	v_fma_f64 v[222:223], -v[214:215], v[216:217], 1.0
	v_fma_f64 v[216:217], v[216:217], v[222:223], v[216:217]
	v_fma_f64 v[222:223], -v[214:215], v[216:217], 1.0
	v_fma_f64 v[216:217], v[216:217], v[222:223], v[216:217]
	v_div_scale_f64 v[222:223], vcc_lo, 1.0, v[212:213], 1.0
	v_mul_f64 v[224:225], v[222:223], v[216:217]
	v_fma_f64 v[214:215], -v[214:215], v[224:225], v[222:223]
	v_div_fmas_f64 v[214:215], v[214:215], v[216:217], v[224:225]
	v_div_fixup_f64 v[222:223], v[214:215], v[212:213], 1.0
	v_mul_f64 v[224:225], v[210:211], -v[222:223]
.LBB108_366:
	s_or_b32 exec_lo, exec_lo, s1
.LBB108_367:
	s_or_b32 exec_lo, exec_lo, s0
	s_mov_b32 s0, exec_lo
	v_cmpx_ne_u32_e64 v236, v230
	s_xor_b32 s0, exec_lo, s0
	s_cbranch_execz .LBB108_373
; %bb.368:
	s_mov_b32 s1, exec_lo
	v_cmpx_eq_u32_e32 17, v236
	s_cbranch_execz .LBB108_372
; %bb.369:
	v_cmp_ne_u32_e32 vcc_lo, 17, v230
	s_xor_b32 s7, s16, -1
	s_and_b32 s9, s7, vcc_lo
	s_and_saveexec_b32 s7, s9
	s_cbranch_execz .LBB108_371
; %bb.370:
	v_ashrrev_i32_e32 v231, 31, v230
	v_lshlrev_b64 v[210:211], 2, v[230:231]
	v_add_co_u32 v210, vcc_lo, v218, v210
	v_add_co_ci_u32_e64 v211, null, v219, v211, vcc_lo
	s_clause 0x1
	global_load_dword v0, v[210:211], off
	global_load_dword v212, v[218:219], off offset:68
	s_waitcnt vmcnt(1)
	global_store_dword v[218:219], v0, off offset:68
	s_waitcnt vmcnt(0)
	global_store_dword v[210:211], v212, off
.LBB108_371:
	s_or_b32 exec_lo, exec_lo, s7
	v_mov_b32_e32 v236, v230
	v_mov_b32_e32 v0, v230
.LBB108_372:
	s_or_b32 exec_lo, exec_lo, s1
.LBB108_373:
	s_andn2_saveexec_b32 s0, s0
	s_cbranch_execz .LBB108_375
; %bb.374:
	v_mov_b32_e32 v236, 17
	ds_write2_b64 v1, v[146:147], v[148:149] offset0:36 offset1:37
	ds_write2_b64 v1, v[142:143], v[144:145] offset0:38 offset1:39
	;; [unrolled: 1-line block ×37, first 2 shown]
.LBB108_375:
	s_or_b32 exec_lo, exec_lo, s0
	s_mov_b32 s0, exec_lo
	s_waitcnt lgkmcnt(0)
	s_waitcnt_vscnt null, 0x0
	s_barrier
	buffer_gl0_inv
	v_cmpx_lt_i32_e32 17, v236
	s_cbranch_execz .LBB108_377
; %bb.376:
	v_mul_f64 v[210:211], v[224:225], v[152:153]
	v_mul_f64 v[152:153], v[222:223], v[152:153]
	v_fma_f64 v[230:231], v[222:223], v[150:151], -v[210:211]
	v_fma_f64 v[152:153], v[224:225], v[150:151], v[152:153]
	ds_read2_b64 v[222:225], v1 offset0:36 offset1:37
	s_waitcnt lgkmcnt(0)
	v_mul_f64 v[150:151], v[224:225], v[152:153]
	v_mul_f64 v[210:211], v[222:223], v[152:153]
	v_fma_f64 v[150:151], v[222:223], v[230:231], -v[150:151]
	v_fma_f64 v[210:211], v[224:225], v[230:231], v[210:211]
	ds_read2_b64 v[222:225], v1 offset0:38 offset1:39
	v_add_f64 v[146:147], v[146:147], -v[150:151]
	v_add_f64 v[148:149], v[148:149], -v[210:211]
	s_waitcnt lgkmcnt(0)
	v_mul_f64 v[150:151], v[224:225], v[152:153]
	v_mul_f64 v[210:211], v[222:223], v[152:153]
	v_fma_f64 v[150:151], v[222:223], v[230:231], -v[150:151]
	v_fma_f64 v[210:211], v[224:225], v[230:231], v[210:211]
	ds_read2_b64 v[222:225], v1 offset0:40 offset1:41
	v_add_f64 v[142:143], v[142:143], -v[150:151]
	v_add_f64 v[144:145], v[144:145], -v[210:211]
	;; [unrolled: 8-line block ×36, first 2 shown]
	s_waitcnt lgkmcnt(0)
	v_mul_f64 v[150:151], v[224:225], v[152:153]
	v_mul_f64 v[210:211], v[222:223], v[152:153]
	v_fma_f64 v[150:151], v[222:223], v[230:231], -v[150:151]
	v_fma_f64 v[210:211], v[224:225], v[230:231], v[210:211]
	v_add_f64 v[2:3], v[2:3], -v[150:151]
	v_add_f64 v[4:5], v[4:5], -v[210:211]
	v_mov_b32_e32 v150, v230
	v_mov_b32_e32 v151, v231
.LBB108_377:
	s_or_b32 exec_lo, exec_lo, s0
	v_lshl_add_u32 v210, v236, 4, v1
	s_barrier
	buffer_gl0_inv
	v_mov_b32_e32 v230, 18
	ds_write2_b64 v210, v[146:147], v[148:149] offset1:1
	s_waitcnt lgkmcnt(0)
	s_barrier
	buffer_gl0_inv
	ds_read2_b64 v[222:225], v1 offset0:36 offset1:37
	s_cmp_lt_i32 s8, 20
	s_cbranch_scc1 .LBB108_380
; %bb.378:
	v_add3_u32 v231, v253, 0, 0x130
	v_mov_b32_e32 v230, 18
	s_mov_b32 s1, 19
	s_inst_prefetch 0x1
	.p2align	6
.LBB108_379:                            ; =>This Inner Loop Header: Depth=1
	s_waitcnt lgkmcnt(0)
	v_cmp_gt_f64_e32 vcc_lo, 0, v[224:225]
	v_cmp_gt_f64_e64 s0, 0, v[222:223]
	ds_read2_b64 v[237:240], v231 offset1:1
	v_xor_b32_e32 v211, 0x80000000, v223
	v_xor_b32_e32 v213, 0x80000000, v225
	v_mov_b32_e32 v210, v222
	v_mov_b32_e32 v212, v224
	v_add_nc_u32_e32 v231, 16, v231
	s_waitcnt lgkmcnt(0)
	v_xor_b32_e32 v215, 0x80000000, v240
	v_cndmask_b32_e64 v211, v223, v211, s0
	v_cndmask_b32_e32 v213, v225, v213, vcc_lo
	v_cmp_gt_f64_e32 vcc_lo, 0, v[239:240]
	v_cmp_gt_f64_e64 s0, 0, v[237:238]
	v_mov_b32_e32 v214, v239
	v_add_f64 v[210:211], v[210:211], v[212:213]
	v_xor_b32_e32 v213, 0x80000000, v238
	v_mov_b32_e32 v212, v237
	v_cndmask_b32_e32 v215, v240, v215, vcc_lo
	v_cndmask_b32_e64 v213, v238, v213, s0
	v_add_f64 v[212:213], v[212:213], v[214:215]
	v_cmp_lt_f64_e32 vcc_lo, v[210:211], v[212:213]
	v_cndmask_b32_e32 v223, v223, v238, vcc_lo
	v_cndmask_b32_e32 v222, v222, v237, vcc_lo
	;; [unrolled: 1-line block ×4, first 2 shown]
	v_cndmask_b32_e64 v230, v230, s1, vcc_lo
	s_add_i32 s1, s1, 1
	s_cmp_lg_u32 s8, s1
	s_cbranch_scc1 .LBB108_379
.LBB108_380:
	s_inst_prefetch 0x2
	s_waitcnt lgkmcnt(0)
	v_cmp_eq_f64_e32 vcc_lo, 0, v[222:223]
	v_cmp_eq_f64_e64 s0, 0, v[224:225]
	s_and_b32 s0, vcc_lo, s0
	s_and_saveexec_b32 s1, s0
	s_xor_b32 s0, exec_lo, s1
; %bb.381:
	v_cmp_ne_u32_e32 vcc_lo, 0, v235
	v_cndmask_b32_e32 v235, 19, v235, vcc_lo
; %bb.382:
	s_andn2_saveexec_b32 s0, s0
	s_cbranch_execz .LBB108_388
; %bb.383:
	v_cmp_ngt_f64_e64 s1, |v[222:223]|, |v[224:225]|
	s_and_saveexec_b32 s7, s1
	s_xor_b32 s1, exec_lo, s7
	s_cbranch_execz .LBB108_385
; %bb.384:
	v_div_scale_f64 v[210:211], null, v[224:225], v[224:225], v[222:223]
	v_div_scale_f64 v[216:217], vcc_lo, v[222:223], v[224:225], v[222:223]
	v_rcp_f64_e32 v[212:213], v[210:211]
	v_fma_f64 v[214:215], -v[210:211], v[212:213], 1.0
	v_fma_f64 v[212:213], v[212:213], v[214:215], v[212:213]
	v_fma_f64 v[214:215], -v[210:211], v[212:213], 1.0
	v_fma_f64 v[212:213], v[212:213], v[214:215], v[212:213]
	v_mul_f64 v[214:215], v[216:217], v[212:213]
	v_fma_f64 v[210:211], -v[210:211], v[214:215], v[216:217]
	v_div_fmas_f64 v[210:211], v[210:211], v[212:213], v[214:215]
	v_div_fixup_f64 v[210:211], v[210:211], v[224:225], v[222:223]
	v_fma_f64 v[212:213], v[222:223], v[210:211], v[224:225]
	v_div_scale_f64 v[214:215], null, v[212:213], v[212:213], 1.0
	v_rcp_f64_e32 v[216:217], v[214:215]
	v_fma_f64 v[222:223], -v[214:215], v[216:217], 1.0
	v_fma_f64 v[216:217], v[216:217], v[222:223], v[216:217]
	v_fma_f64 v[222:223], -v[214:215], v[216:217], 1.0
	v_fma_f64 v[216:217], v[216:217], v[222:223], v[216:217]
	v_div_scale_f64 v[222:223], vcc_lo, 1.0, v[212:213], 1.0
	v_mul_f64 v[224:225], v[222:223], v[216:217]
	v_fma_f64 v[214:215], -v[214:215], v[224:225], v[222:223]
	v_div_fmas_f64 v[214:215], v[214:215], v[216:217], v[224:225]
	v_div_fixup_f64 v[224:225], v[214:215], v[212:213], 1.0
	v_mul_f64 v[222:223], v[210:211], v[224:225]
	v_xor_b32_e32 v225, 0x80000000, v225
.LBB108_385:
	s_andn2_saveexec_b32 s1, s1
	s_cbranch_execz .LBB108_387
; %bb.386:
	v_div_scale_f64 v[210:211], null, v[222:223], v[222:223], v[224:225]
	v_div_scale_f64 v[216:217], vcc_lo, v[224:225], v[222:223], v[224:225]
	v_rcp_f64_e32 v[212:213], v[210:211]
	v_fma_f64 v[214:215], -v[210:211], v[212:213], 1.0
	v_fma_f64 v[212:213], v[212:213], v[214:215], v[212:213]
	v_fma_f64 v[214:215], -v[210:211], v[212:213], 1.0
	v_fma_f64 v[212:213], v[212:213], v[214:215], v[212:213]
	v_mul_f64 v[214:215], v[216:217], v[212:213]
	v_fma_f64 v[210:211], -v[210:211], v[214:215], v[216:217]
	v_div_fmas_f64 v[210:211], v[210:211], v[212:213], v[214:215]
	v_div_fixup_f64 v[210:211], v[210:211], v[222:223], v[224:225]
	v_fma_f64 v[212:213], v[224:225], v[210:211], v[222:223]
	v_div_scale_f64 v[214:215], null, v[212:213], v[212:213], 1.0
	v_rcp_f64_e32 v[216:217], v[214:215]
	v_fma_f64 v[222:223], -v[214:215], v[216:217], 1.0
	v_fma_f64 v[216:217], v[216:217], v[222:223], v[216:217]
	v_fma_f64 v[222:223], -v[214:215], v[216:217], 1.0
	v_fma_f64 v[216:217], v[216:217], v[222:223], v[216:217]
	v_div_scale_f64 v[222:223], vcc_lo, 1.0, v[212:213], 1.0
	v_mul_f64 v[224:225], v[222:223], v[216:217]
	v_fma_f64 v[214:215], -v[214:215], v[224:225], v[222:223]
	v_div_fmas_f64 v[214:215], v[214:215], v[216:217], v[224:225]
	v_div_fixup_f64 v[222:223], v[214:215], v[212:213], 1.0
	v_mul_f64 v[224:225], v[210:211], -v[222:223]
.LBB108_387:
	s_or_b32 exec_lo, exec_lo, s1
.LBB108_388:
	s_or_b32 exec_lo, exec_lo, s0
	s_mov_b32 s0, exec_lo
	v_cmpx_ne_u32_e64 v236, v230
	s_xor_b32 s0, exec_lo, s0
	s_cbranch_execz .LBB108_394
; %bb.389:
	s_mov_b32 s1, exec_lo
	v_cmpx_eq_u32_e32 18, v236
	s_cbranch_execz .LBB108_393
; %bb.390:
	v_cmp_ne_u32_e32 vcc_lo, 18, v230
	s_xor_b32 s7, s16, -1
	s_and_b32 s9, s7, vcc_lo
	s_and_saveexec_b32 s7, s9
	s_cbranch_execz .LBB108_392
; %bb.391:
	v_ashrrev_i32_e32 v231, 31, v230
	v_lshlrev_b64 v[210:211], 2, v[230:231]
	v_add_co_u32 v210, vcc_lo, v218, v210
	v_add_co_ci_u32_e64 v211, null, v219, v211, vcc_lo
	s_clause 0x1
	global_load_dword v0, v[210:211], off
	global_load_dword v212, v[218:219], off offset:72
	s_waitcnt vmcnt(1)
	global_store_dword v[218:219], v0, off offset:72
	s_waitcnt vmcnt(0)
	global_store_dword v[210:211], v212, off
.LBB108_392:
	s_or_b32 exec_lo, exec_lo, s7
	v_mov_b32_e32 v236, v230
	v_mov_b32_e32 v0, v230
.LBB108_393:
	s_or_b32 exec_lo, exec_lo, s1
.LBB108_394:
	s_andn2_saveexec_b32 s0, s0
	s_cbranch_execz .LBB108_396
; %bb.395:
	v_mov_b32_e32 v236, 18
	ds_write2_b64 v1, v[142:143], v[144:145] offset0:38 offset1:39
	ds_write2_b64 v1, v[138:139], v[140:141] offset0:40 offset1:41
	;; [unrolled: 1-line block ×36, first 2 shown]
.LBB108_396:
	s_or_b32 exec_lo, exec_lo, s0
	s_mov_b32 s0, exec_lo
	s_waitcnt lgkmcnt(0)
	s_waitcnt_vscnt null, 0x0
	s_barrier
	buffer_gl0_inv
	v_cmpx_lt_i32_e32 18, v236
	s_cbranch_execz .LBB108_398
; %bb.397:
	v_mul_f64 v[210:211], v[224:225], v[148:149]
	v_mul_f64 v[148:149], v[222:223], v[148:149]
	v_fma_f64 v[230:231], v[222:223], v[146:147], -v[210:211]
	v_fma_f64 v[148:149], v[224:225], v[146:147], v[148:149]
	ds_read2_b64 v[222:225], v1 offset0:38 offset1:39
	s_waitcnt lgkmcnt(0)
	v_mul_f64 v[146:147], v[224:225], v[148:149]
	v_mul_f64 v[210:211], v[222:223], v[148:149]
	v_fma_f64 v[146:147], v[222:223], v[230:231], -v[146:147]
	v_fma_f64 v[210:211], v[224:225], v[230:231], v[210:211]
	ds_read2_b64 v[222:225], v1 offset0:40 offset1:41
	v_add_f64 v[142:143], v[142:143], -v[146:147]
	v_add_f64 v[144:145], v[144:145], -v[210:211]
	s_waitcnt lgkmcnt(0)
	v_mul_f64 v[146:147], v[224:225], v[148:149]
	v_mul_f64 v[210:211], v[222:223], v[148:149]
	v_fma_f64 v[146:147], v[222:223], v[230:231], -v[146:147]
	v_fma_f64 v[210:211], v[224:225], v[230:231], v[210:211]
	ds_read2_b64 v[222:225], v1 offset0:42 offset1:43
	v_add_f64 v[138:139], v[138:139], -v[146:147]
	v_add_f64 v[140:141], v[140:141], -v[210:211]
	;; [unrolled: 8-line block ×35, first 2 shown]
	s_waitcnt lgkmcnt(0)
	v_mul_f64 v[146:147], v[224:225], v[148:149]
	v_mul_f64 v[210:211], v[222:223], v[148:149]
	v_fma_f64 v[146:147], v[222:223], v[230:231], -v[146:147]
	v_fma_f64 v[210:211], v[224:225], v[230:231], v[210:211]
	v_add_f64 v[2:3], v[2:3], -v[146:147]
	v_add_f64 v[4:5], v[4:5], -v[210:211]
	v_mov_b32_e32 v146, v230
	v_mov_b32_e32 v147, v231
.LBB108_398:
	s_or_b32 exec_lo, exec_lo, s0
	v_lshl_add_u32 v210, v236, 4, v1
	s_barrier
	buffer_gl0_inv
	v_mov_b32_e32 v230, 19
	ds_write2_b64 v210, v[142:143], v[144:145] offset1:1
	s_waitcnt lgkmcnt(0)
	s_barrier
	buffer_gl0_inv
	ds_read2_b64 v[222:225], v1 offset0:38 offset1:39
	s_cmp_lt_i32 s8, 21
	s_cbranch_scc1 .LBB108_401
; %bb.399:
	v_add3_u32 v231, v253, 0, 0x140
	v_mov_b32_e32 v230, 19
	s_mov_b32 s1, 20
	s_inst_prefetch 0x1
	.p2align	6
.LBB108_400:                            ; =>This Inner Loop Header: Depth=1
	s_waitcnt lgkmcnt(0)
	v_cmp_gt_f64_e32 vcc_lo, 0, v[224:225]
	v_cmp_gt_f64_e64 s0, 0, v[222:223]
	ds_read2_b64 v[237:240], v231 offset1:1
	v_xor_b32_e32 v211, 0x80000000, v223
	v_xor_b32_e32 v213, 0x80000000, v225
	v_mov_b32_e32 v210, v222
	v_mov_b32_e32 v212, v224
	v_add_nc_u32_e32 v231, 16, v231
	s_waitcnt lgkmcnt(0)
	v_xor_b32_e32 v215, 0x80000000, v240
	v_cndmask_b32_e64 v211, v223, v211, s0
	v_cndmask_b32_e32 v213, v225, v213, vcc_lo
	v_cmp_gt_f64_e32 vcc_lo, 0, v[239:240]
	v_cmp_gt_f64_e64 s0, 0, v[237:238]
	v_mov_b32_e32 v214, v239
	v_add_f64 v[210:211], v[210:211], v[212:213]
	v_xor_b32_e32 v213, 0x80000000, v238
	v_mov_b32_e32 v212, v237
	v_cndmask_b32_e32 v215, v240, v215, vcc_lo
	v_cndmask_b32_e64 v213, v238, v213, s0
	v_add_f64 v[212:213], v[212:213], v[214:215]
	v_cmp_lt_f64_e32 vcc_lo, v[210:211], v[212:213]
	v_cndmask_b32_e32 v223, v223, v238, vcc_lo
	v_cndmask_b32_e32 v222, v222, v237, vcc_lo
	;; [unrolled: 1-line block ×4, first 2 shown]
	v_cndmask_b32_e64 v230, v230, s1, vcc_lo
	s_add_i32 s1, s1, 1
	s_cmp_lg_u32 s8, s1
	s_cbranch_scc1 .LBB108_400
.LBB108_401:
	s_inst_prefetch 0x2
	s_waitcnt lgkmcnt(0)
	v_cmp_eq_f64_e32 vcc_lo, 0, v[222:223]
	v_cmp_eq_f64_e64 s0, 0, v[224:225]
	s_and_b32 s0, vcc_lo, s0
	s_and_saveexec_b32 s1, s0
	s_xor_b32 s0, exec_lo, s1
; %bb.402:
	v_cmp_ne_u32_e32 vcc_lo, 0, v235
	v_cndmask_b32_e32 v235, 20, v235, vcc_lo
; %bb.403:
	s_andn2_saveexec_b32 s0, s0
	s_cbranch_execz .LBB108_409
; %bb.404:
	v_cmp_ngt_f64_e64 s1, |v[222:223]|, |v[224:225]|
	s_and_saveexec_b32 s7, s1
	s_xor_b32 s1, exec_lo, s7
	s_cbranch_execz .LBB108_406
; %bb.405:
	v_div_scale_f64 v[210:211], null, v[224:225], v[224:225], v[222:223]
	v_div_scale_f64 v[216:217], vcc_lo, v[222:223], v[224:225], v[222:223]
	v_rcp_f64_e32 v[212:213], v[210:211]
	v_fma_f64 v[214:215], -v[210:211], v[212:213], 1.0
	v_fma_f64 v[212:213], v[212:213], v[214:215], v[212:213]
	v_fma_f64 v[214:215], -v[210:211], v[212:213], 1.0
	v_fma_f64 v[212:213], v[212:213], v[214:215], v[212:213]
	v_mul_f64 v[214:215], v[216:217], v[212:213]
	v_fma_f64 v[210:211], -v[210:211], v[214:215], v[216:217]
	v_div_fmas_f64 v[210:211], v[210:211], v[212:213], v[214:215]
	v_div_fixup_f64 v[210:211], v[210:211], v[224:225], v[222:223]
	v_fma_f64 v[212:213], v[222:223], v[210:211], v[224:225]
	v_div_scale_f64 v[214:215], null, v[212:213], v[212:213], 1.0
	v_rcp_f64_e32 v[216:217], v[214:215]
	v_fma_f64 v[222:223], -v[214:215], v[216:217], 1.0
	v_fma_f64 v[216:217], v[216:217], v[222:223], v[216:217]
	v_fma_f64 v[222:223], -v[214:215], v[216:217], 1.0
	v_fma_f64 v[216:217], v[216:217], v[222:223], v[216:217]
	v_div_scale_f64 v[222:223], vcc_lo, 1.0, v[212:213], 1.0
	v_mul_f64 v[224:225], v[222:223], v[216:217]
	v_fma_f64 v[214:215], -v[214:215], v[224:225], v[222:223]
	v_div_fmas_f64 v[214:215], v[214:215], v[216:217], v[224:225]
	v_div_fixup_f64 v[224:225], v[214:215], v[212:213], 1.0
	v_mul_f64 v[222:223], v[210:211], v[224:225]
	v_xor_b32_e32 v225, 0x80000000, v225
.LBB108_406:
	s_andn2_saveexec_b32 s1, s1
	s_cbranch_execz .LBB108_408
; %bb.407:
	v_div_scale_f64 v[210:211], null, v[222:223], v[222:223], v[224:225]
	v_div_scale_f64 v[216:217], vcc_lo, v[224:225], v[222:223], v[224:225]
	v_rcp_f64_e32 v[212:213], v[210:211]
	v_fma_f64 v[214:215], -v[210:211], v[212:213], 1.0
	v_fma_f64 v[212:213], v[212:213], v[214:215], v[212:213]
	v_fma_f64 v[214:215], -v[210:211], v[212:213], 1.0
	v_fma_f64 v[212:213], v[212:213], v[214:215], v[212:213]
	v_mul_f64 v[214:215], v[216:217], v[212:213]
	v_fma_f64 v[210:211], -v[210:211], v[214:215], v[216:217]
	v_div_fmas_f64 v[210:211], v[210:211], v[212:213], v[214:215]
	v_div_fixup_f64 v[210:211], v[210:211], v[222:223], v[224:225]
	v_fma_f64 v[212:213], v[224:225], v[210:211], v[222:223]
	v_div_scale_f64 v[214:215], null, v[212:213], v[212:213], 1.0
	v_rcp_f64_e32 v[216:217], v[214:215]
	v_fma_f64 v[222:223], -v[214:215], v[216:217], 1.0
	v_fma_f64 v[216:217], v[216:217], v[222:223], v[216:217]
	v_fma_f64 v[222:223], -v[214:215], v[216:217], 1.0
	v_fma_f64 v[216:217], v[216:217], v[222:223], v[216:217]
	v_div_scale_f64 v[222:223], vcc_lo, 1.0, v[212:213], 1.0
	v_mul_f64 v[224:225], v[222:223], v[216:217]
	v_fma_f64 v[214:215], -v[214:215], v[224:225], v[222:223]
	v_div_fmas_f64 v[214:215], v[214:215], v[216:217], v[224:225]
	v_div_fixup_f64 v[222:223], v[214:215], v[212:213], 1.0
	v_mul_f64 v[224:225], v[210:211], -v[222:223]
.LBB108_408:
	s_or_b32 exec_lo, exec_lo, s1
.LBB108_409:
	s_or_b32 exec_lo, exec_lo, s0
	s_mov_b32 s0, exec_lo
	v_cmpx_ne_u32_e64 v236, v230
	s_xor_b32 s0, exec_lo, s0
	s_cbranch_execz .LBB108_415
; %bb.410:
	s_mov_b32 s1, exec_lo
	v_cmpx_eq_u32_e32 19, v236
	s_cbranch_execz .LBB108_414
; %bb.411:
	v_cmp_ne_u32_e32 vcc_lo, 19, v230
	s_xor_b32 s7, s16, -1
	s_and_b32 s9, s7, vcc_lo
	s_and_saveexec_b32 s7, s9
	s_cbranch_execz .LBB108_413
; %bb.412:
	v_ashrrev_i32_e32 v231, 31, v230
	v_lshlrev_b64 v[210:211], 2, v[230:231]
	v_add_co_u32 v210, vcc_lo, v218, v210
	v_add_co_ci_u32_e64 v211, null, v219, v211, vcc_lo
	s_clause 0x1
	global_load_dword v0, v[210:211], off
	global_load_dword v212, v[218:219], off offset:76
	s_waitcnt vmcnt(1)
	global_store_dword v[218:219], v0, off offset:76
	s_waitcnt vmcnt(0)
	global_store_dword v[210:211], v212, off
.LBB108_413:
	s_or_b32 exec_lo, exec_lo, s7
	v_mov_b32_e32 v236, v230
	v_mov_b32_e32 v0, v230
.LBB108_414:
	s_or_b32 exec_lo, exec_lo, s1
.LBB108_415:
	s_andn2_saveexec_b32 s0, s0
	s_cbranch_execz .LBB108_417
; %bb.416:
	v_mov_b32_e32 v236, 19
	ds_write2_b64 v1, v[138:139], v[140:141] offset0:40 offset1:41
	ds_write2_b64 v1, v[134:135], v[136:137] offset0:42 offset1:43
	;; [unrolled: 1-line block ×35, first 2 shown]
.LBB108_417:
	s_or_b32 exec_lo, exec_lo, s0
	s_mov_b32 s0, exec_lo
	s_waitcnt lgkmcnt(0)
	s_waitcnt_vscnt null, 0x0
	s_barrier
	buffer_gl0_inv
	v_cmpx_lt_i32_e32 19, v236
	s_cbranch_execz .LBB108_419
; %bb.418:
	v_mul_f64 v[210:211], v[224:225], v[144:145]
	v_mul_f64 v[144:145], v[222:223], v[144:145]
	v_fma_f64 v[230:231], v[222:223], v[142:143], -v[210:211]
	v_fma_f64 v[144:145], v[224:225], v[142:143], v[144:145]
	ds_read2_b64 v[222:225], v1 offset0:40 offset1:41
	s_waitcnt lgkmcnt(0)
	v_mul_f64 v[142:143], v[224:225], v[144:145]
	v_mul_f64 v[210:211], v[222:223], v[144:145]
	v_fma_f64 v[142:143], v[222:223], v[230:231], -v[142:143]
	v_fma_f64 v[210:211], v[224:225], v[230:231], v[210:211]
	ds_read2_b64 v[222:225], v1 offset0:42 offset1:43
	v_add_f64 v[138:139], v[138:139], -v[142:143]
	v_add_f64 v[140:141], v[140:141], -v[210:211]
	s_waitcnt lgkmcnt(0)
	v_mul_f64 v[142:143], v[224:225], v[144:145]
	v_mul_f64 v[210:211], v[222:223], v[144:145]
	v_fma_f64 v[142:143], v[222:223], v[230:231], -v[142:143]
	v_fma_f64 v[210:211], v[224:225], v[230:231], v[210:211]
	ds_read2_b64 v[222:225], v1 offset0:44 offset1:45
	v_add_f64 v[134:135], v[134:135], -v[142:143]
	v_add_f64 v[136:137], v[136:137], -v[210:211]
	s_waitcnt lgkmcnt(0)
	v_mul_f64 v[142:143], v[224:225], v[144:145]
	v_mul_f64 v[210:211], v[222:223], v[144:145]
	v_fma_f64 v[142:143], v[222:223], v[230:231], -v[142:143]
	v_fma_f64 v[210:211], v[224:225], v[230:231], v[210:211]
	ds_read2_b64 v[222:225], v1 offset0:46 offset1:47
	v_add_f64 v[130:131], v[130:131], -v[142:143]
	v_add_f64 v[132:133], v[132:133], -v[210:211]
	s_waitcnt lgkmcnt(0)
	v_mul_f64 v[142:143], v[224:225], v[144:145]
	v_mul_f64 v[210:211], v[222:223], v[144:145]
	v_fma_f64 v[142:143], v[222:223], v[230:231], -v[142:143]
	v_fma_f64 v[210:211], v[224:225], v[230:231], v[210:211]
	ds_read2_b64 v[222:225], v1 offset0:48 offset1:49
	v_add_f64 v[126:127], v[126:127], -v[142:143]
	v_add_f64 v[128:129], v[128:129], -v[210:211]
	s_waitcnt lgkmcnt(0)
	v_mul_f64 v[142:143], v[224:225], v[144:145]
	v_mul_f64 v[210:211], v[222:223], v[144:145]
	v_fma_f64 v[142:143], v[222:223], v[230:231], -v[142:143]
	v_fma_f64 v[210:211], v[224:225], v[230:231], v[210:211]
	ds_read2_b64 v[222:225], v1 offset0:50 offset1:51
	v_add_f64 v[122:123], v[122:123], -v[142:143]
	v_add_f64 v[124:125], v[124:125], -v[210:211]
	s_waitcnt lgkmcnt(0)
	v_mul_f64 v[142:143], v[224:225], v[144:145]
	v_mul_f64 v[210:211], v[222:223], v[144:145]
	v_fma_f64 v[142:143], v[222:223], v[230:231], -v[142:143]
	v_fma_f64 v[210:211], v[224:225], v[230:231], v[210:211]
	ds_read2_b64 v[222:225], v1 offset0:52 offset1:53
	v_add_f64 v[118:119], v[118:119], -v[142:143]
	v_add_f64 v[120:121], v[120:121], -v[210:211]
	s_waitcnt lgkmcnt(0)
	v_mul_f64 v[142:143], v[224:225], v[144:145]
	v_mul_f64 v[210:211], v[222:223], v[144:145]
	v_fma_f64 v[142:143], v[222:223], v[230:231], -v[142:143]
	v_fma_f64 v[210:211], v[224:225], v[230:231], v[210:211]
	ds_read2_b64 v[222:225], v1 offset0:54 offset1:55
	v_add_f64 v[114:115], v[114:115], -v[142:143]
	v_add_f64 v[116:117], v[116:117], -v[210:211]
	s_waitcnt lgkmcnt(0)
	v_mul_f64 v[142:143], v[224:225], v[144:145]
	v_mul_f64 v[210:211], v[222:223], v[144:145]
	v_fma_f64 v[142:143], v[222:223], v[230:231], -v[142:143]
	v_fma_f64 v[210:211], v[224:225], v[230:231], v[210:211]
	ds_read2_b64 v[222:225], v1 offset0:56 offset1:57
	v_add_f64 v[110:111], v[110:111], -v[142:143]
	v_add_f64 v[112:113], v[112:113], -v[210:211]
	s_waitcnt lgkmcnt(0)
	v_mul_f64 v[142:143], v[224:225], v[144:145]
	v_mul_f64 v[210:211], v[222:223], v[144:145]
	v_fma_f64 v[142:143], v[222:223], v[230:231], -v[142:143]
	v_fma_f64 v[210:211], v[224:225], v[230:231], v[210:211]
	ds_read2_b64 v[222:225], v1 offset0:58 offset1:59
	v_add_f64 v[106:107], v[106:107], -v[142:143]
	v_add_f64 v[108:109], v[108:109], -v[210:211]
	s_waitcnt lgkmcnt(0)
	v_mul_f64 v[142:143], v[224:225], v[144:145]
	v_mul_f64 v[210:211], v[222:223], v[144:145]
	v_fma_f64 v[142:143], v[222:223], v[230:231], -v[142:143]
	v_fma_f64 v[210:211], v[224:225], v[230:231], v[210:211]
	ds_read2_b64 v[222:225], v1 offset0:60 offset1:61
	v_add_f64 v[102:103], v[102:103], -v[142:143]
	v_add_f64 v[104:105], v[104:105], -v[210:211]
	s_waitcnt lgkmcnt(0)
	v_mul_f64 v[142:143], v[224:225], v[144:145]
	v_mul_f64 v[210:211], v[222:223], v[144:145]
	v_fma_f64 v[142:143], v[222:223], v[230:231], -v[142:143]
	v_fma_f64 v[210:211], v[224:225], v[230:231], v[210:211]
	ds_read2_b64 v[222:225], v1 offset0:62 offset1:63
	v_add_f64 v[98:99], v[98:99], -v[142:143]
	v_add_f64 v[100:101], v[100:101], -v[210:211]
	s_waitcnt lgkmcnt(0)
	v_mul_f64 v[142:143], v[224:225], v[144:145]
	v_mul_f64 v[210:211], v[222:223], v[144:145]
	v_fma_f64 v[142:143], v[222:223], v[230:231], -v[142:143]
	v_fma_f64 v[210:211], v[224:225], v[230:231], v[210:211]
	ds_read2_b64 v[222:225], v1 offset0:64 offset1:65
	v_add_f64 v[94:95], v[94:95], -v[142:143]
	v_add_f64 v[96:97], v[96:97], -v[210:211]
	s_waitcnt lgkmcnt(0)
	v_mul_f64 v[142:143], v[224:225], v[144:145]
	v_mul_f64 v[210:211], v[222:223], v[144:145]
	v_fma_f64 v[142:143], v[222:223], v[230:231], -v[142:143]
	v_fma_f64 v[210:211], v[224:225], v[230:231], v[210:211]
	ds_read2_b64 v[222:225], v1 offset0:66 offset1:67
	v_add_f64 v[90:91], v[90:91], -v[142:143]
	v_add_f64 v[92:93], v[92:93], -v[210:211]
	s_waitcnt lgkmcnt(0)
	v_mul_f64 v[142:143], v[224:225], v[144:145]
	v_mul_f64 v[210:211], v[222:223], v[144:145]
	v_fma_f64 v[142:143], v[222:223], v[230:231], -v[142:143]
	v_fma_f64 v[210:211], v[224:225], v[230:231], v[210:211]
	ds_read2_b64 v[222:225], v1 offset0:68 offset1:69
	v_add_f64 v[86:87], v[86:87], -v[142:143]
	v_add_f64 v[88:89], v[88:89], -v[210:211]
	s_waitcnt lgkmcnt(0)
	v_mul_f64 v[142:143], v[224:225], v[144:145]
	v_mul_f64 v[210:211], v[222:223], v[144:145]
	v_fma_f64 v[142:143], v[222:223], v[230:231], -v[142:143]
	v_fma_f64 v[210:211], v[224:225], v[230:231], v[210:211]
	ds_read2_b64 v[222:225], v1 offset0:70 offset1:71
	v_add_f64 v[82:83], v[82:83], -v[142:143]
	v_add_f64 v[84:85], v[84:85], -v[210:211]
	s_waitcnt lgkmcnt(0)
	v_mul_f64 v[142:143], v[224:225], v[144:145]
	v_mul_f64 v[210:211], v[222:223], v[144:145]
	v_fma_f64 v[142:143], v[222:223], v[230:231], -v[142:143]
	v_fma_f64 v[210:211], v[224:225], v[230:231], v[210:211]
	ds_read2_b64 v[222:225], v1 offset0:72 offset1:73
	v_add_f64 v[78:79], v[78:79], -v[142:143]
	v_add_f64 v[80:81], v[80:81], -v[210:211]
	s_waitcnt lgkmcnt(0)
	v_mul_f64 v[142:143], v[224:225], v[144:145]
	v_mul_f64 v[210:211], v[222:223], v[144:145]
	v_fma_f64 v[142:143], v[222:223], v[230:231], -v[142:143]
	v_fma_f64 v[210:211], v[224:225], v[230:231], v[210:211]
	ds_read2_b64 v[222:225], v1 offset0:74 offset1:75
	v_add_f64 v[74:75], v[74:75], -v[142:143]
	v_add_f64 v[76:77], v[76:77], -v[210:211]
	s_waitcnt lgkmcnt(0)
	v_mul_f64 v[142:143], v[224:225], v[144:145]
	v_mul_f64 v[210:211], v[222:223], v[144:145]
	v_fma_f64 v[142:143], v[222:223], v[230:231], -v[142:143]
	v_fma_f64 v[210:211], v[224:225], v[230:231], v[210:211]
	ds_read2_b64 v[222:225], v1 offset0:76 offset1:77
	v_add_f64 v[70:71], v[70:71], -v[142:143]
	v_add_f64 v[72:73], v[72:73], -v[210:211]
	s_waitcnt lgkmcnt(0)
	v_mul_f64 v[142:143], v[224:225], v[144:145]
	v_mul_f64 v[210:211], v[222:223], v[144:145]
	v_fma_f64 v[142:143], v[222:223], v[230:231], -v[142:143]
	v_fma_f64 v[210:211], v[224:225], v[230:231], v[210:211]
	ds_read2_b64 v[222:225], v1 offset0:78 offset1:79
	v_add_f64 v[66:67], v[66:67], -v[142:143]
	v_add_f64 v[68:69], v[68:69], -v[210:211]
	s_waitcnt lgkmcnt(0)
	v_mul_f64 v[142:143], v[224:225], v[144:145]
	v_mul_f64 v[210:211], v[222:223], v[144:145]
	v_fma_f64 v[142:143], v[222:223], v[230:231], -v[142:143]
	v_fma_f64 v[210:211], v[224:225], v[230:231], v[210:211]
	ds_read2_b64 v[222:225], v1 offset0:80 offset1:81
	v_add_f64 v[62:63], v[62:63], -v[142:143]
	v_add_f64 v[64:65], v[64:65], -v[210:211]
	s_waitcnt lgkmcnt(0)
	v_mul_f64 v[142:143], v[224:225], v[144:145]
	v_mul_f64 v[210:211], v[222:223], v[144:145]
	v_fma_f64 v[142:143], v[222:223], v[230:231], -v[142:143]
	v_fma_f64 v[210:211], v[224:225], v[230:231], v[210:211]
	ds_read2_b64 v[222:225], v1 offset0:82 offset1:83
	v_add_f64 v[58:59], v[58:59], -v[142:143]
	v_add_f64 v[60:61], v[60:61], -v[210:211]
	s_waitcnt lgkmcnt(0)
	v_mul_f64 v[142:143], v[224:225], v[144:145]
	v_mul_f64 v[210:211], v[222:223], v[144:145]
	v_fma_f64 v[142:143], v[222:223], v[230:231], -v[142:143]
	v_fma_f64 v[210:211], v[224:225], v[230:231], v[210:211]
	ds_read2_b64 v[222:225], v1 offset0:84 offset1:85
	v_add_f64 v[54:55], v[54:55], -v[142:143]
	v_add_f64 v[56:57], v[56:57], -v[210:211]
	s_waitcnt lgkmcnt(0)
	v_mul_f64 v[142:143], v[224:225], v[144:145]
	v_mul_f64 v[210:211], v[222:223], v[144:145]
	v_fma_f64 v[142:143], v[222:223], v[230:231], -v[142:143]
	v_fma_f64 v[210:211], v[224:225], v[230:231], v[210:211]
	ds_read2_b64 v[222:225], v1 offset0:86 offset1:87
	v_add_f64 v[50:51], v[50:51], -v[142:143]
	v_add_f64 v[52:53], v[52:53], -v[210:211]
	s_waitcnt lgkmcnt(0)
	v_mul_f64 v[142:143], v[224:225], v[144:145]
	v_mul_f64 v[210:211], v[222:223], v[144:145]
	v_fma_f64 v[142:143], v[222:223], v[230:231], -v[142:143]
	v_fma_f64 v[210:211], v[224:225], v[230:231], v[210:211]
	ds_read2_b64 v[222:225], v1 offset0:88 offset1:89
	v_add_f64 v[46:47], v[46:47], -v[142:143]
	v_add_f64 v[48:49], v[48:49], -v[210:211]
	s_waitcnt lgkmcnt(0)
	v_mul_f64 v[142:143], v[224:225], v[144:145]
	v_mul_f64 v[210:211], v[222:223], v[144:145]
	v_fma_f64 v[142:143], v[222:223], v[230:231], -v[142:143]
	v_fma_f64 v[210:211], v[224:225], v[230:231], v[210:211]
	ds_read2_b64 v[222:225], v1 offset0:90 offset1:91
	v_add_f64 v[42:43], v[42:43], -v[142:143]
	v_add_f64 v[44:45], v[44:45], -v[210:211]
	s_waitcnt lgkmcnt(0)
	v_mul_f64 v[142:143], v[224:225], v[144:145]
	v_mul_f64 v[210:211], v[222:223], v[144:145]
	v_fma_f64 v[142:143], v[222:223], v[230:231], -v[142:143]
	v_fma_f64 v[210:211], v[224:225], v[230:231], v[210:211]
	ds_read2_b64 v[222:225], v1 offset0:92 offset1:93
	v_add_f64 v[38:39], v[38:39], -v[142:143]
	v_add_f64 v[40:41], v[40:41], -v[210:211]
	s_waitcnt lgkmcnt(0)
	v_mul_f64 v[142:143], v[224:225], v[144:145]
	v_mul_f64 v[210:211], v[222:223], v[144:145]
	v_fma_f64 v[142:143], v[222:223], v[230:231], -v[142:143]
	v_fma_f64 v[210:211], v[224:225], v[230:231], v[210:211]
	ds_read2_b64 v[222:225], v1 offset0:94 offset1:95
	v_add_f64 v[34:35], v[34:35], -v[142:143]
	v_add_f64 v[36:37], v[36:37], -v[210:211]
	s_waitcnt lgkmcnt(0)
	v_mul_f64 v[142:143], v[224:225], v[144:145]
	v_mul_f64 v[210:211], v[222:223], v[144:145]
	v_fma_f64 v[142:143], v[222:223], v[230:231], -v[142:143]
	v_fma_f64 v[210:211], v[224:225], v[230:231], v[210:211]
	ds_read2_b64 v[222:225], v1 offset0:96 offset1:97
	v_add_f64 v[30:31], v[30:31], -v[142:143]
	v_add_f64 v[32:33], v[32:33], -v[210:211]
	s_waitcnt lgkmcnt(0)
	v_mul_f64 v[142:143], v[224:225], v[144:145]
	v_mul_f64 v[210:211], v[222:223], v[144:145]
	v_fma_f64 v[142:143], v[222:223], v[230:231], -v[142:143]
	v_fma_f64 v[210:211], v[224:225], v[230:231], v[210:211]
	ds_read2_b64 v[222:225], v1 offset0:98 offset1:99
	v_add_f64 v[26:27], v[26:27], -v[142:143]
	v_add_f64 v[28:29], v[28:29], -v[210:211]
	s_waitcnt lgkmcnt(0)
	v_mul_f64 v[142:143], v[224:225], v[144:145]
	v_mul_f64 v[210:211], v[222:223], v[144:145]
	v_fma_f64 v[142:143], v[222:223], v[230:231], -v[142:143]
	v_fma_f64 v[210:211], v[224:225], v[230:231], v[210:211]
	ds_read2_b64 v[222:225], v1 offset0:100 offset1:101
	v_add_f64 v[22:23], v[22:23], -v[142:143]
	v_add_f64 v[24:25], v[24:25], -v[210:211]
	s_waitcnt lgkmcnt(0)
	v_mul_f64 v[142:143], v[224:225], v[144:145]
	v_mul_f64 v[210:211], v[222:223], v[144:145]
	v_fma_f64 v[142:143], v[222:223], v[230:231], -v[142:143]
	v_fma_f64 v[210:211], v[224:225], v[230:231], v[210:211]
	ds_read2_b64 v[222:225], v1 offset0:102 offset1:103
	v_add_f64 v[18:19], v[18:19], -v[142:143]
	v_add_f64 v[20:21], v[20:21], -v[210:211]
	s_waitcnt lgkmcnt(0)
	v_mul_f64 v[142:143], v[224:225], v[144:145]
	v_mul_f64 v[210:211], v[222:223], v[144:145]
	v_fma_f64 v[142:143], v[222:223], v[230:231], -v[142:143]
	v_fma_f64 v[210:211], v[224:225], v[230:231], v[210:211]
	ds_read2_b64 v[222:225], v1 offset0:104 offset1:105
	v_add_f64 v[14:15], v[14:15], -v[142:143]
	v_add_f64 v[16:17], v[16:17], -v[210:211]
	s_waitcnt lgkmcnt(0)
	v_mul_f64 v[142:143], v[224:225], v[144:145]
	v_mul_f64 v[210:211], v[222:223], v[144:145]
	v_fma_f64 v[142:143], v[222:223], v[230:231], -v[142:143]
	v_fma_f64 v[210:211], v[224:225], v[230:231], v[210:211]
	ds_read2_b64 v[222:225], v1 offset0:106 offset1:107
	v_add_f64 v[10:11], v[10:11], -v[142:143]
	v_add_f64 v[12:13], v[12:13], -v[210:211]
	s_waitcnt lgkmcnt(0)
	v_mul_f64 v[142:143], v[224:225], v[144:145]
	v_mul_f64 v[210:211], v[222:223], v[144:145]
	v_fma_f64 v[142:143], v[222:223], v[230:231], -v[142:143]
	v_fma_f64 v[210:211], v[224:225], v[230:231], v[210:211]
	ds_read2_b64 v[222:225], v1 offset0:108 offset1:109
	v_add_f64 v[6:7], v[6:7], -v[142:143]
	v_add_f64 v[8:9], v[8:9], -v[210:211]
	s_waitcnt lgkmcnt(0)
	v_mul_f64 v[142:143], v[224:225], v[144:145]
	v_mul_f64 v[210:211], v[222:223], v[144:145]
	v_fma_f64 v[142:143], v[222:223], v[230:231], -v[142:143]
	v_fma_f64 v[210:211], v[224:225], v[230:231], v[210:211]
	v_add_f64 v[2:3], v[2:3], -v[142:143]
	v_add_f64 v[4:5], v[4:5], -v[210:211]
	v_mov_b32_e32 v142, v230
	v_mov_b32_e32 v143, v231
.LBB108_419:
	s_or_b32 exec_lo, exec_lo, s0
	v_lshl_add_u32 v210, v236, 4, v1
	s_barrier
	buffer_gl0_inv
	v_mov_b32_e32 v230, 20
	ds_write2_b64 v210, v[138:139], v[140:141] offset1:1
	s_waitcnt lgkmcnt(0)
	s_barrier
	buffer_gl0_inv
	ds_read2_b64 v[222:225], v1 offset0:40 offset1:41
	s_cmp_lt_i32 s8, 22
	s_cbranch_scc1 .LBB108_422
; %bb.420:
	v_add3_u32 v231, v253, 0, 0x150
	v_mov_b32_e32 v230, 20
	s_mov_b32 s1, 21
	s_inst_prefetch 0x1
	.p2align	6
.LBB108_421:                            ; =>This Inner Loop Header: Depth=1
	s_waitcnt lgkmcnt(0)
	v_cmp_gt_f64_e32 vcc_lo, 0, v[224:225]
	v_cmp_gt_f64_e64 s0, 0, v[222:223]
	ds_read2_b64 v[237:240], v231 offset1:1
	v_xor_b32_e32 v211, 0x80000000, v223
	v_xor_b32_e32 v213, 0x80000000, v225
	v_mov_b32_e32 v210, v222
	v_mov_b32_e32 v212, v224
	v_add_nc_u32_e32 v231, 16, v231
	s_waitcnt lgkmcnt(0)
	v_xor_b32_e32 v215, 0x80000000, v240
	v_cndmask_b32_e64 v211, v223, v211, s0
	v_cndmask_b32_e32 v213, v225, v213, vcc_lo
	v_cmp_gt_f64_e32 vcc_lo, 0, v[239:240]
	v_cmp_gt_f64_e64 s0, 0, v[237:238]
	v_mov_b32_e32 v214, v239
	v_add_f64 v[210:211], v[210:211], v[212:213]
	v_xor_b32_e32 v213, 0x80000000, v238
	v_mov_b32_e32 v212, v237
	v_cndmask_b32_e32 v215, v240, v215, vcc_lo
	v_cndmask_b32_e64 v213, v238, v213, s0
	v_add_f64 v[212:213], v[212:213], v[214:215]
	v_cmp_lt_f64_e32 vcc_lo, v[210:211], v[212:213]
	v_cndmask_b32_e32 v223, v223, v238, vcc_lo
	v_cndmask_b32_e32 v222, v222, v237, vcc_lo
	;; [unrolled: 1-line block ×4, first 2 shown]
	v_cndmask_b32_e64 v230, v230, s1, vcc_lo
	s_add_i32 s1, s1, 1
	s_cmp_lg_u32 s8, s1
	s_cbranch_scc1 .LBB108_421
.LBB108_422:
	s_inst_prefetch 0x2
	s_waitcnt lgkmcnt(0)
	v_cmp_eq_f64_e32 vcc_lo, 0, v[222:223]
	v_cmp_eq_f64_e64 s0, 0, v[224:225]
	s_and_b32 s0, vcc_lo, s0
	s_and_saveexec_b32 s1, s0
	s_xor_b32 s0, exec_lo, s1
; %bb.423:
	v_cmp_ne_u32_e32 vcc_lo, 0, v235
	v_cndmask_b32_e32 v235, 21, v235, vcc_lo
; %bb.424:
	s_andn2_saveexec_b32 s0, s0
	s_cbranch_execz .LBB108_430
; %bb.425:
	v_cmp_ngt_f64_e64 s1, |v[222:223]|, |v[224:225]|
	s_and_saveexec_b32 s7, s1
	s_xor_b32 s1, exec_lo, s7
	s_cbranch_execz .LBB108_427
; %bb.426:
	v_div_scale_f64 v[210:211], null, v[224:225], v[224:225], v[222:223]
	v_div_scale_f64 v[216:217], vcc_lo, v[222:223], v[224:225], v[222:223]
	v_rcp_f64_e32 v[212:213], v[210:211]
	v_fma_f64 v[214:215], -v[210:211], v[212:213], 1.0
	v_fma_f64 v[212:213], v[212:213], v[214:215], v[212:213]
	v_fma_f64 v[214:215], -v[210:211], v[212:213], 1.0
	v_fma_f64 v[212:213], v[212:213], v[214:215], v[212:213]
	v_mul_f64 v[214:215], v[216:217], v[212:213]
	v_fma_f64 v[210:211], -v[210:211], v[214:215], v[216:217]
	v_div_fmas_f64 v[210:211], v[210:211], v[212:213], v[214:215]
	v_div_fixup_f64 v[210:211], v[210:211], v[224:225], v[222:223]
	v_fma_f64 v[212:213], v[222:223], v[210:211], v[224:225]
	v_div_scale_f64 v[214:215], null, v[212:213], v[212:213], 1.0
	v_rcp_f64_e32 v[216:217], v[214:215]
	v_fma_f64 v[222:223], -v[214:215], v[216:217], 1.0
	v_fma_f64 v[216:217], v[216:217], v[222:223], v[216:217]
	v_fma_f64 v[222:223], -v[214:215], v[216:217], 1.0
	v_fma_f64 v[216:217], v[216:217], v[222:223], v[216:217]
	v_div_scale_f64 v[222:223], vcc_lo, 1.0, v[212:213], 1.0
	v_mul_f64 v[224:225], v[222:223], v[216:217]
	v_fma_f64 v[214:215], -v[214:215], v[224:225], v[222:223]
	v_div_fmas_f64 v[214:215], v[214:215], v[216:217], v[224:225]
	v_div_fixup_f64 v[224:225], v[214:215], v[212:213], 1.0
	v_mul_f64 v[222:223], v[210:211], v[224:225]
	v_xor_b32_e32 v225, 0x80000000, v225
.LBB108_427:
	s_andn2_saveexec_b32 s1, s1
	s_cbranch_execz .LBB108_429
; %bb.428:
	v_div_scale_f64 v[210:211], null, v[222:223], v[222:223], v[224:225]
	v_div_scale_f64 v[216:217], vcc_lo, v[224:225], v[222:223], v[224:225]
	v_rcp_f64_e32 v[212:213], v[210:211]
	v_fma_f64 v[214:215], -v[210:211], v[212:213], 1.0
	v_fma_f64 v[212:213], v[212:213], v[214:215], v[212:213]
	v_fma_f64 v[214:215], -v[210:211], v[212:213], 1.0
	v_fma_f64 v[212:213], v[212:213], v[214:215], v[212:213]
	v_mul_f64 v[214:215], v[216:217], v[212:213]
	v_fma_f64 v[210:211], -v[210:211], v[214:215], v[216:217]
	v_div_fmas_f64 v[210:211], v[210:211], v[212:213], v[214:215]
	v_div_fixup_f64 v[210:211], v[210:211], v[222:223], v[224:225]
	v_fma_f64 v[212:213], v[224:225], v[210:211], v[222:223]
	v_div_scale_f64 v[214:215], null, v[212:213], v[212:213], 1.0
	v_rcp_f64_e32 v[216:217], v[214:215]
	v_fma_f64 v[222:223], -v[214:215], v[216:217], 1.0
	v_fma_f64 v[216:217], v[216:217], v[222:223], v[216:217]
	v_fma_f64 v[222:223], -v[214:215], v[216:217], 1.0
	v_fma_f64 v[216:217], v[216:217], v[222:223], v[216:217]
	v_div_scale_f64 v[222:223], vcc_lo, 1.0, v[212:213], 1.0
	v_mul_f64 v[224:225], v[222:223], v[216:217]
	v_fma_f64 v[214:215], -v[214:215], v[224:225], v[222:223]
	v_div_fmas_f64 v[214:215], v[214:215], v[216:217], v[224:225]
	v_div_fixup_f64 v[222:223], v[214:215], v[212:213], 1.0
	v_mul_f64 v[224:225], v[210:211], -v[222:223]
.LBB108_429:
	s_or_b32 exec_lo, exec_lo, s1
.LBB108_430:
	s_or_b32 exec_lo, exec_lo, s0
	s_mov_b32 s0, exec_lo
	v_cmpx_ne_u32_e64 v236, v230
	s_xor_b32 s0, exec_lo, s0
	s_cbranch_execz .LBB108_436
; %bb.431:
	s_mov_b32 s1, exec_lo
	v_cmpx_eq_u32_e32 20, v236
	s_cbranch_execz .LBB108_435
; %bb.432:
	v_cmp_ne_u32_e32 vcc_lo, 20, v230
	s_xor_b32 s7, s16, -1
	s_and_b32 s9, s7, vcc_lo
	s_and_saveexec_b32 s7, s9
	s_cbranch_execz .LBB108_434
; %bb.433:
	v_ashrrev_i32_e32 v231, 31, v230
	v_lshlrev_b64 v[210:211], 2, v[230:231]
	v_add_co_u32 v210, vcc_lo, v218, v210
	v_add_co_ci_u32_e64 v211, null, v219, v211, vcc_lo
	s_clause 0x1
	global_load_dword v0, v[210:211], off
	global_load_dword v212, v[218:219], off offset:80
	s_waitcnt vmcnt(1)
	global_store_dword v[218:219], v0, off offset:80
	s_waitcnt vmcnt(0)
	global_store_dword v[210:211], v212, off
.LBB108_434:
	s_or_b32 exec_lo, exec_lo, s7
	v_mov_b32_e32 v236, v230
	v_mov_b32_e32 v0, v230
.LBB108_435:
	s_or_b32 exec_lo, exec_lo, s1
.LBB108_436:
	s_andn2_saveexec_b32 s0, s0
	s_cbranch_execz .LBB108_438
; %bb.437:
	v_mov_b32_e32 v236, 20
	ds_write2_b64 v1, v[134:135], v[136:137] offset0:42 offset1:43
	ds_write2_b64 v1, v[130:131], v[132:133] offset0:44 offset1:45
	;; [unrolled: 1-line block ×34, first 2 shown]
.LBB108_438:
	s_or_b32 exec_lo, exec_lo, s0
	s_mov_b32 s0, exec_lo
	s_waitcnt lgkmcnt(0)
	s_waitcnt_vscnt null, 0x0
	s_barrier
	buffer_gl0_inv
	v_cmpx_lt_i32_e32 20, v236
	s_cbranch_execz .LBB108_440
; %bb.439:
	v_mul_f64 v[210:211], v[224:225], v[140:141]
	v_mul_f64 v[140:141], v[222:223], v[140:141]
	v_fma_f64 v[230:231], v[222:223], v[138:139], -v[210:211]
	v_fma_f64 v[140:141], v[224:225], v[138:139], v[140:141]
	ds_read2_b64 v[222:225], v1 offset0:42 offset1:43
	s_waitcnt lgkmcnt(0)
	v_mul_f64 v[138:139], v[224:225], v[140:141]
	v_mul_f64 v[210:211], v[222:223], v[140:141]
	v_fma_f64 v[138:139], v[222:223], v[230:231], -v[138:139]
	v_fma_f64 v[210:211], v[224:225], v[230:231], v[210:211]
	ds_read2_b64 v[222:225], v1 offset0:44 offset1:45
	v_add_f64 v[134:135], v[134:135], -v[138:139]
	v_add_f64 v[136:137], v[136:137], -v[210:211]
	s_waitcnt lgkmcnt(0)
	v_mul_f64 v[138:139], v[224:225], v[140:141]
	v_mul_f64 v[210:211], v[222:223], v[140:141]
	v_fma_f64 v[138:139], v[222:223], v[230:231], -v[138:139]
	v_fma_f64 v[210:211], v[224:225], v[230:231], v[210:211]
	ds_read2_b64 v[222:225], v1 offset0:46 offset1:47
	v_add_f64 v[130:131], v[130:131], -v[138:139]
	v_add_f64 v[132:133], v[132:133], -v[210:211]
	;; [unrolled: 8-line block ×33, first 2 shown]
	s_waitcnt lgkmcnt(0)
	v_mul_f64 v[138:139], v[224:225], v[140:141]
	v_mul_f64 v[210:211], v[222:223], v[140:141]
	v_fma_f64 v[138:139], v[222:223], v[230:231], -v[138:139]
	v_fma_f64 v[210:211], v[224:225], v[230:231], v[210:211]
	v_add_f64 v[2:3], v[2:3], -v[138:139]
	v_add_f64 v[4:5], v[4:5], -v[210:211]
	v_mov_b32_e32 v138, v230
	v_mov_b32_e32 v139, v231
.LBB108_440:
	s_or_b32 exec_lo, exec_lo, s0
	v_lshl_add_u32 v210, v236, 4, v1
	s_barrier
	buffer_gl0_inv
	v_mov_b32_e32 v230, 21
	ds_write2_b64 v210, v[134:135], v[136:137] offset1:1
	s_waitcnt lgkmcnt(0)
	s_barrier
	buffer_gl0_inv
	ds_read2_b64 v[222:225], v1 offset0:42 offset1:43
	s_cmp_lt_i32 s8, 23
	s_cbranch_scc1 .LBB108_443
; %bb.441:
	v_add3_u32 v231, v253, 0, 0x160
	v_mov_b32_e32 v230, 21
	s_mov_b32 s1, 22
	s_inst_prefetch 0x1
	.p2align	6
.LBB108_442:                            ; =>This Inner Loop Header: Depth=1
	s_waitcnt lgkmcnt(0)
	v_cmp_gt_f64_e32 vcc_lo, 0, v[224:225]
	v_cmp_gt_f64_e64 s0, 0, v[222:223]
	ds_read2_b64 v[237:240], v231 offset1:1
	v_xor_b32_e32 v211, 0x80000000, v223
	v_xor_b32_e32 v213, 0x80000000, v225
	v_mov_b32_e32 v210, v222
	v_mov_b32_e32 v212, v224
	v_add_nc_u32_e32 v231, 16, v231
	s_waitcnt lgkmcnt(0)
	v_xor_b32_e32 v215, 0x80000000, v240
	v_cndmask_b32_e64 v211, v223, v211, s0
	v_cndmask_b32_e32 v213, v225, v213, vcc_lo
	v_cmp_gt_f64_e32 vcc_lo, 0, v[239:240]
	v_cmp_gt_f64_e64 s0, 0, v[237:238]
	v_mov_b32_e32 v214, v239
	v_add_f64 v[210:211], v[210:211], v[212:213]
	v_xor_b32_e32 v213, 0x80000000, v238
	v_mov_b32_e32 v212, v237
	v_cndmask_b32_e32 v215, v240, v215, vcc_lo
	v_cndmask_b32_e64 v213, v238, v213, s0
	v_add_f64 v[212:213], v[212:213], v[214:215]
	v_cmp_lt_f64_e32 vcc_lo, v[210:211], v[212:213]
	v_cndmask_b32_e32 v223, v223, v238, vcc_lo
	v_cndmask_b32_e32 v222, v222, v237, vcc_lo
	;; [unrolled: 1-line block ×4, first 2 shown]
	v_cndmask_b32_e64 v230, v230, s1, vcc_lo
	s_add_i32 s1, s1, 1
	s_cmp_lg_u32 s8, s1
	s_cbranch_scc1 .LBB108_442
.LBB108_443:
	s_inst_prefetch 0x2
	s_waitcnt lgkmcnt(0)
	v_cmp_eq_f64_e32 vcc_lo, 0, v[222:223]
	v_cmp_eq_f64_e64 s0, 0, v[224:225]
	s_and_b32 s0, vcc_lo, s0
	s_and_saveexec_b32 s1, s0
	s_xor_b32 s0, exec_lo, s1
; %bb.444:
	v_cmp_ne_u32_e32 vcc_lo, 0, v235
	v_cndmask_b32_e32 v235, 22, v235, vcc_lo
; %bb.445:
	s_andn2_saveexec_b32 s0, s0
	s_cbranch_execz .LBB108_451
; %bb.446:
	v_cmp_ngt_f64_e64 s1, |v[222:223]|, |v[224:225]|
	s_and_saveexec_b32 s7, s1
	s_xor_b32 s1, exec_lo, s7
	s_cbranch_execz .LBB108_448
; %bb.447:
	v_div_scale_f64 v[210:211], null, v[224:225], v[224:225], v[222:223]
	v_div_scale_f64 v[216:217], vcc_lo, v[222:223], v[224:225], v[222:223]
	v_rcp_f64_e32 v[212:213], v[210:211]
	v_fma_f64 v[214:215], -v[210:211], v[212:213], 1.0
	v_fma_f64 v[212:213], v[212:213], v[214:215], v[212:213]
	v_fma_f64 v[214:215], -v[210:211], v[212:213], 1.0
	v_fma_f64 v[212:213], v[212:213], v[214:215], v[212:213]
	v_mul_f64 v[214:215], v[216:217], v[212:213]
	v_fma_f64 v[210:211], -v[210:211], v[214:215], v[216:217]
	v_div_fmas_f64 v[210:211], v[210:211], v[212:213], v[214:215]
	v_div_fixup_f64 v[210:211], v[210:211], v[224:225], v[222:223]
	v_fma_f64 v[212:213], v[222:223], v[210:211], v[224:225]
	v_div_scale_f64 v[214:215], null, v[212:213], v[212:213], 1.0
	v_rcp_f64_e32 v[216:217], v[214:215]
	v_fma_f64 v[222:223], -v[214:215], v[216:217], 1.0
	v_fma_f64 v[216:217], v[216:217], v[222:223], v[216:217]
	v_fma_f64 v[222:223], -v[214:215], v[216:217], 1.0
	v_fma_f64 v[216:217], v[216:217], v[222:223], v[216:217]
	v_div_scale_f64 v[222:223], vcc_lo, 1.0, v[212:213], 1.0
	v_mul_f64 v[224:225], v[222:223], v[216:217]
	v_fma_f64 v[214:215], -v[214:215], v[224:225], v[222:223]
	v_div_fmas_f64 v[214:215], v[214:215], v[216:217], v[224:225]
	v_div_fixup_f64 v[224:225], v[214:215], v[212:213], 1.0
	v_mul_f64 v[222:223], v[210:211], v[224:225]
	v_xor_b32_e32 v225, 0x80000000, v225
.LBB108_448:
	s_andn2_saveexec_b32 s1, s1
	s_cbranch_execz .LBB108_450
; %bb.449:
	v_div_scale_f64 v[210:211], null, v[222:223], v[222:223], v[224:225]
	v_div_scale_f64 v[216:217], vcc_lo, v[224:225], v[222:223], v[224:225]
	v_rcp_f64_e32 v[212:213], v[210:211]
	v_fma_f64 v[214:215], -v[210:211], v[212:213], 1.0
	v_fma_f64 v[212:213], v[212:213], v[214:215], v[212:213]
	v_fma_f64 v[214:215], -v[210:211], v[212:213], 1.0
	v_fma_f64 v[212:213], v[212:213], v[214:215], v[212:213]
	v_mul_f64 v[214:215], v[216:217], v[212:213]
	v_fma_f64 v[210:211], -v[210:211], v[214:215], v[216:217]
	v_div_fmas_f64 v[210:211], v[210:211], v[212:213], v[214:215]
	v_div_fixup_f64 v[210:211], v[210:211], v[222:223], v[224:225]
	v_fma_f64 v[212:213], v[224:225], v[210:211], v[222:223]
	v_div_scale_f64 v[214:215], null, v[212:213], v[212:213], 1.0
	v_rcp_f64_e32 v[216:217], v[214:215]
	v_fma_f64 v[222:223], -v[214:215], v[216:217], 1.0
	v_fma_f64 v[216:217], v[216:217], v[222:223], v[216:217]
	v_fma_f64 v[222:223], -v[214:215], v[216:217], 1.0
	v_fma_f64 v[216:217], v[216:217], v[222:223], v[216:217]
	v_div_scale_f64 v[222:223], vcc_lo, 1.0, v[212:213], 1.0
	v_mul_f64 v[224:225], v[222:223], v[216:217]
	v_fma_f64 v[214:215], -v[214:215], v[224:225], v[222:223]
	v_div_fmas_f64 v[214:215], v[214:215], v[216:217], v[224:225]
	v_div_fixup_f64 v[222:223], v[214:215], v[212:213], 1.0
	v_mul_f64 v[224:225], v[210:211], -v[222:223]
.LBB108_450:
	s_or_b32 exec_lo, exec_lo, s1
.LBB108_451:
	s_or_b32 exec_lo, exec_lo, s0
	s_mov_b32 s0, exec_lo
	v_cmpx_ne_u32_e64 v236, v230
	s_xor_b32 s0, exec_lo, s0
	s_cbranch_execz .LBB108_457
; %bb.452:
	s_mov_b32 s1, exec_lo
	v_cmpx_eq_u32_e32 21, v236
	s_cbranch_execz .LBB108_456
; %bb.453:
	v_cmp_ne_u32_e32 vcc_lo, 21, v230
	s_xor_b32 s7, s16, -1
	s_and_b32 s9, s7, vcc_lo
	s_and_saveexec_b32 s7, s9
	s_cbranch_execz .LBB108_455
; %bb.454:
	v_ashrrev_i32_e32 v231, 31, v230
	v_lshlrev_b64 v[210:211], 2, v[230:231]
	v_add_co_u32 v210, vcc_lo, v218, v210
	v_add_co_ci_u32_e64 v211, null, v219, v211, vcc_lo
	s_clause 0x1
	global_load_dword v0, v[210:211], off
	global_load_dword v212, v[218:219], off offset:84
	s_waitcnt vmcnt(1)
	global_store_dword v[218:219], v0, off offset:84
	s_waitcnt vmcnt(0)
	global_store_dword v[210:211], v212, off
.LBB108_455:
	s_or_b32 exec_lo, exec_lo, s7
	v_mov_b32_e32 v236, v230
	v_mov_b32_e32 v0, v230
.LBB108_456:
	s_or_b32 exec_lo, exec_lo, s1
.LBB108_457:
	s_andn2_saveexec_b32 s0, s0
	s_cbranch_execz .LBB108_459
; %bb.458:
	v_mov_b32_e32 v236, 21
	ds_write2_b64 v1, v[130:131], v[132:133] offset0:44 offset1:45
	ds_write2_b64 v1, v[126:127], v[128:129] offset0:46 offset1:47
	;; [unrolled: 1-line block ×33, first 2 shown]
.LBB108_459:
	s_or_b32 exec_lo, exec_lo, s0
	s_mov_b32 s0, exec_lo
	s_waitcnt lgkmcnt(0)
	s_waitcnt_vscnt null, 0x0
	s_barrier
	buffer_gl0_inv
	v_cmpx_lt_i32_e32 21, v236
	s_cbranch_execz .LBB108_461
; %bb.460:
	v_mul_f64 v[210:211], v[224:225], v[136:137]
	v_mul_f64 v[136:137], v[222:223], v[136:137]
	v_fma_f64 v[230:231], v[222:223], v[134:135], -v[210:211]
	v_fma_f64 v[136:137], v[224:225], v[134:135], v[136:137]
	ds_read2_b64 v[222:225], v1 offset0:44 offset1:45
	s_waitcnt lgkmcnt(0)
	v_mul_f64 v[134:135], v[224:225], v[136:137]
	v_mul_f64 v[210:211], v[222:223], v[136:137]
	v_fma_f64 v[134:135], v[222:223], v[230:231], -v[134:135]
	v_fma_f64 v[210:211], v[224:225], v[230:231], v[210:211]
	ds_read2_b64 v[222:225], v1 offset0:46 offset1:47
	v_add_f64 v[130:131], v[130:131], -v[134:135]
	v_add_f64 v[132:133], v[132:133], -v[210:211]
	s_waitcnt lgkmcnt(0)
	v_mul_f64 v[134:135], v[224:225], v[136:137]
	v_mul_f64 v[210:211], v[222:223], v[136:137]
	v_fma_f64 v[134:135], v[222:223], v[230:231], -v[134:135]
	v_fma_f64 v[210:211], v[224:225], v[230:231], v[210:211]
	ds_read2_b64 v[222:225], v1 offset0:48 offset1:49
	v_add_f64 v[126:127], v[126:127], -v[134:135]
	v_add_f64 v[128:129], v[128:129], -v[210:211]
	;; [unrolled: 8-line block ×32, first 2 shown]
	s_waitcnt lgkmcnt(0)
	v_mul_f64 v[134:135], v[224:225], v[136:137]
	v_mul_f64 v[210:211], v[222:223], v[136:137]
	v_fma_f64 v[134:135], v[222:223], v[230:231], -v[134:135]
	v_fma_f64 v[210:211], v[224:225], v[230:231], v[210:211]
	v_add_f64 v[2:3], v[2:3], -v[134:135]
	v_add_f64 v[4:5], v[4:5], -v[210:211]
	v_mov_b32_e32 v134, v230
	v_mov_b32_e32 v135, v231
.LBB108_461:
	s_or_b32 exec_lo, exec_lo, s0
	v_lshl_add_u32 v210, v236, 4, v1
	s_barrier
	buffer_gl0_inv
	v_mov_b32_e32 v230, 22
	ds_write2_b64 v210, v[130:131], v[132:133] offset1:1
	s_waitcnt lgkmcnt(0)
	s_barrier
	buffer_gl0_inv
	ds_read2_b64 v[222:225], v1 offset0:44 offset1:45
	s_cmp_lt_i32 s8, 24
	s_cbranch_scc1 .LBB108_464
; %bb.462:
	v_add3_u32 v231, v253, 0, 0x170
	v_mov_b32_e32 v230, 22
	s_mov_b32 s1, 23
	s_inst_prefetch 0x1
	.p2align	6
.LBB108_463:                            ; =>This Inner Loop Header: Depth=1
	s_waitcnt lgkmcnt(0)
	v_cmp_gt_f64_e32 vcc_lo, 0, v[224:225]
	v_cmp_gt_f64_e64 s0, 0, v[222:223]
	ds_read2_b64 v[237:240], v231 offset1:1
	v_xor_b32_e32 v211, 0x80000000, v223
	v_xor_b32_e32 v213, 0x80000000, v225
	v_mov_b32_e32 v210, v222
	v_mov_b32_e32 v212, v224
	v_add_nc_u32_e32 v231, 16, v231
	s_waitcnt lgkmcnt(0)
	v_xor_b32_e32 v215, 0x80000000, v240
	v_cndmask_b32_e64 v211, v223, v211, s0
	v_cndmask_b32_e32 v213, v225, v213, vcc_lo
	v_cmp_gt_f64_e32 vcc_lo, 0, v[239:240]
	v_cmp_gt_f64_e64 s0, 0, v[237:238]
	v_mov_b32_e32 v214, v239
	v_add_f64 v[210:211], v[210:211], v[212:213]
	v_xor_b32_e32 v213, 0x80000000, v238
	v_mov_b32_e32 v212, v237
	v_cndmask_b32_e32 v215, v240, v215, vcc_lo
	v_cndmask_b32_e64 v213, v238, v213, s0
	v_add_f64 v[212:213], v[212:213], v[214:215]
	v_cmp_lt_f64_e32 vcc_lo, v[210:211], v[212:213]
	v_cndmask_b32_e32 v223, v223, v238, vcc_lo
	v_cndmask_b32_e32 v222, v222, v237, vcc_lo
	;; [unrolled: 1-line block ×4, first 2 shown]
	v_cndmask_b32_e64 v230, v230, s1, vcc_lo
	s_add_i32 s1, s1, 1
	s_cmp_lg_u32 s8, s1
	s_cbranch_scc1 .LBB108_463
.LBB108_464:
	s_inst_prefetch 0x2
	s_waitcnt lgkmcnt(0)
	v_cmp_eq_f64_e32 vcc_lo, 0, v[222:223]
	v_cmp_eq_f64_e64 s0, 0, v[224:225]
	s_and_b32 s0, vcc_lo, s0
	s_and_saveexec_b32 s1, s0
	s_xor_b32 s0, exec_lo, s1
; %bb.465:
	v_cmp_ne_u32_e32 vcc_lo, 0, v235
	v_cndmask_b32_e32 v235, 23, v235, vcc_lo
; %bb.466:
	s_andn2_saveexec_b32 s0, s0
	s_cbranch_execz .LBB108_472
; %bb.467:
	v_cmp_ngt_f64_e64 s1, |v[222:223]|, |v[224:225]|
	s_and_saveexec_b32 s7, s1
	s_xor_b32 s1, exec_lo, s7
	s_cbranch_execz .LBB108_469
; %bb.468:
	v_div_scale_f64 v[210:211], null, v[224:225], v[224:225], v[222:223]
	v_div_scale_f64 v[216:217], vcc_lo, v[222:223], v[224:225], v[222:223]
	v_rcp_f64_e32 v[212:213], v[210:211]
	v_fma_f64 v[214:215], -v[210:211], v[212:213], 1.0
	v_fma_f64 v[212:213], v[212:213], v[214:215], v[212:213]
	v_fma_f64 v[214:215], -v[210:211], v[212:213], 1.0
	v_fma_f64 v[212:213], v[212:213], v[214:215], v[212:213]
	v_mul_f64 v[214:215], v[216:217], v[212:213]
	v_fma_f64 v[210:211], -v[210:211], v[214:215], v[216:217]
	v_div_fmas_f64 v[210:211], v[210:211], v[212:213], v[214:215]
	v_div_fixup_f64 v[210:211], v[210:211], v[224:225], v[222:223]
	v_fma_f64 v[212:213], v[222:223], v[210:211], v[224:225]
	v_div_scale_f64 v[214:215], null, v[212:213], v[212:213], 1.0
	v_rcp_f64_e32 v[216:217], v[214:215]
	v_fma_f64 v[222:223], -v[214:215], v[216:217], 1.0
	v_fma_f64 v[216:217], v[216:217], v[222:223], v[216:217]
	v_fma_f64 v[222:223], -v[214:215], v[216:217], 1.0
	v_fma_f64 v[216:217], v[216:217], v[222:223], v[216:217]
	v_div_scale_f64 v[222:223], vcc_lo, 1.0, v[212:213], 1.0
	v_mul_f64 v[224:225], v[222:223], v[216:217]
	v_fma_f64 v[214:215], -v[214:215], v[224:225], v[222:223]
	v_div_fmas_f64 v[214:215], v[214:215], v[216:217], v[224:225]
	v_div_fixup_f64 v[224:225], v[214:215], v[212:213], 1.0
	v_mul_f64 v[222:223], v[210:211], v[224:225]
	v_xor_b32_e32 v225, 0x80000000, v225
.LBB108_469:
	s_andn2_saveexec_b32 s1, s1
	s_cbranch_execz .LBB108_471
; %bb.470:
	v_div_scale_f64 v[210:211], null, v[222:223], v[222:223], v[224:225]
	v_div_scale_f64 v[216:217], vcc_lo, v[224:225], v[222:223], v[224:225]
	v_rcp_f64_e32 v[212:213], v[210:211]
	v_fma_f64 v[214:215], -v[210:211], v[212:213], 1.0
	v_fma_f64 v[212:213], v[212:213], v[214:215], v[212:213]
	v_fma_f64 v[214:215], -v[210:211], v[212:213], 1.0
	v_fma_f64 v[212:213], v[212:213], v[214:215], v[212:213]
	v_mul_f64 v[214:215], v[216:217], v[212:213]
	v_fma_f64 v[210:211], -v[210:211], v[214:215], v[216:217]
	v_div_fmas_f64 v[210:211], v[210:211], v[212:213], v[214:215]
	v_div_fixup_f64 v[210:211], v[210:211], v[222:223], v[224:225]
	v_fma_f64 v[212:213], v[224:225], v[210:211], v[222:223]
	v_div_scale_f64 v[214:215], null, v[212:213], v[212:213], 1.0
	v_rcp_f64_e32 v[216:217], v[214:215]
	v_fma_f64 v[222:223], -v[214:215], v[216:217], 1.0
	v_fma_f64 v[216:217], v[216:217], v[222:223], v[216:217]
	v_fma_f64 v[222:223], -v[214:215], v[216:217], 1.0
	v_fma_f64 v[216:217], v[216:217], v[222:223], v[216:217]
	v_div_scale_f64 v[222:223], vcc_lo, 1.0, v[212:213], 1.0
	v_mul_f64 v[224:225], v[222:223], v[216:217]
	v_fma_f64 v[214:215], -v[214:215], v[224:225], v[222:223]
	v_div_fmas_f64 v[214:215], v[214:215], v[216:217], v[224:225]
	v_div_fixup_f64 v[222:223], v[214:215], v[212:213], 1.0
	v_mul_f64 v[224:225], v[210:211], -v[222:223]
.LBB108_471:
	s_or_b32 exec_lo, exec_lo, s1
.LBB108_472:
	s_or_b32 exec_lo, exec_lo, s0
	s_mov_b32 s0, exec_lo
	v_cmpx_ne_u32_e64 v236, v230
	s_xor_b32 s0, exec_lo, s0
	s_cbranch_execz .LBB108_478
; %bb.473:
	s_mov_b32 s1, exec_lo
	v_cmpx_eq_u32_e32 22, v236
	s_cbranch_execz .LBB108_477
; %bb.474:
	v_cmp_ne_u32_e32 vcc_lo, 22, v230
	s_xor_b32 s7, s16, -1
	s_and_b32 s9, s7, vcc_lo
	s_and_saveexec_b32 s7, s9
	s_cbranch_execz .LBB108_476
; %bb.475:
	v_ashrrev_i32_e32 v231, 31, v230
	v_lshlrev_b64 v[210:211], 2, v[230:231]
	v_add_co_u32 v210, vcc_lo, v218, v210
	v_add_co_ci_u32_e64 v211, null, v219, v211, vcc_lo
	s_clause 0x1
	global_load_dword v0, v[210:211], off
	global_load_dword v212, v[218:219], off offset:88
	s_waitcnt vmcnt(1)
	global_store_dword v[218:219], v0, off offset:88
	s_waitcnt vmcnt(0)
	global_store_dword v[210:211], v212, off
.LBB108_476:
	s_or_b32 exec_lo, exec_lo, s7
	v_mov_b32_e32 v236, v230
	v_mov_b32_e32 v0, v230
.LBB108_477:
	s_or_b32 exec_lo, exec_lo, s1
.LBB108_478:
	s_andn2_saveexec_b32 s0, s0
	s_cbranch_execz .LBB108_480
; %bb.479:
	v_mov_b32_e32 v236, 22
	ds_write2_b64 v1, v[126:127], v[128:129] offset0:46 offset1:47
	ds_write2_b64 v1, v[122:123], v[124:125] offset0:48 offset1:49
	;; [unrolled: 1-line block ×32, first 2 shown]
.LBB108_480:
	s_or_b32 exec_lo, exec_lo, s0
	s_mov_b32 s0, exec_lo
	s_waitcnt lgkmcnt(0)
	s_waitcnt_vscnt null, 0x0
	s_barrier
	buffer_gl0_inv
	v_cmpx_lt_i32_e32 22, v236
	s_cbranch_execz .LBB108_482
; %bb.481:
	v_mul_f64 v[210:211], v[224:225], v[132:133]
	v_mul_f64 v[132:133], v[222:223], v[132:133]
	v_fma_f64 v[230:231], v[222:223], v[130:131], -v[210:211]
	v_fma_f64 v[132:133], v[224:225], v[130:131], v[132:133]
	ds_read2_b64 v[222:225], v1 offset0:46 offset1:47
	s_waitcnt lgkmcnt(0)
	v_mul_f64 v[130:131], v[224:225], v[132:133]
	v_mul_f64 v[210:211], v[222:223], v[132:133]
	v_fma_f64 v[130:131], v[222:223], v[230:231], -v[130:131]
	v_fma_f64 v[210:211], v[224:225], v[230:231], v[210:211]
	ds_read2_b64 v[222:225], v1 offset0:48 offset1:49
	v_add_f64 v[126:127], v[126:127], -v[130:131]
	v_add_f64 v[128:129], v[128:129], -v[210:211]
	s_waitcnt lgkmcnt(0)
	v_mul_f64 v[130:131], v[224:225], v[132:133]
	v_mul_f64 v[210:211], v[222:223], v[132:133]
	v_fma_f64 v[130:131], v[222:223], v[230:231], -v[130:131]
	v_fma_f64 v[210:211], v[224:225], v[230:231], v[210:211]
	ds_read2_b64 v[222:225], v1 offset0:50 offset1:51
	v_add_f64 v[122:123], v[122:123], -v[130:131]
	v_add_f64 v[124:125], v[124:125], -v[210:211]
	;; [unrolled: 8-line block ×31, first 2 shown]
	s_waitcnt lgkmcnt(0)
	v_mul_f64 v[130:131], v[224:225], v[132:133]
	v_mul_f64 v[210:211], v[222:223], v[132:133]
	v_fma_f64 v[130:131], v[222:223], v[230:231], -v[130:131]
	v_fma_f64 v[210:211], v[224:225], v[230:231], v[210:211]
	v_add_f64 v[2:3], v[2:3], -v[130:131]
	v_add_f64 v[4:5], v[4:5], -v[210:211]
	v_mov_b32_e32 v130, v230
	v_mov_b32_e32 v131, v231
.LBB108_482:
	s_or_b32 exec_lo, exec_lo, s0
	v_lshl_add_u32 v210, v236, 4, v1
	s_barrier
	buffer_gl0_inv
	v_mov_b32_e32 v230, 23
	ds_write2_b64 v210, v[126:127], v[128:129] offset1:1
	s_waitcnt lgkmcnt(0)
	s_barrier
	buffer_gl0_inv
	ds_read2_b64 v[222:225], v1 offset0:46 offset1:47
	s_cmp_lt_i32 s8, 25
	s_cbranch_scc1 .LBB108_485
; %bb.483:
	v_add3_u32 v231, v253, 0, 0x180
	v_mov_b32_e32 v230, 23
	s_mov_b32 s1, 24
	s_inst_prefetch 0x1
	.p2align	6
.LBB108_484:                            ; =>This Inner Loop Header: Depth=1
	s_waitcnt lgkmcnt(0)
	v_cmp_gt_f64_e32 vcc_lo, 0, v[224:225]
	v_cmp_gt_f64_e64 s0, 0, v[222:223]
	ds_read2_b64 v[237:240], v231 offset1:1
	v_xor_b32_e32 v211, 0x80000000, v223
	v_xor_b32_e32 v213, 0x80000000, v225
	v_mov_b32_e32 v210, v222
	v_mov_b32_e32 v212, v224
	v_add_nc_u32_e32 v231, 16, v231
	s_waitcnt lgkmcnt(0)
	v_xor_b32_e32 v215, 0x80000000, v240
	v_cndmask_b32_e64 v211, v223, v211, s0
	v_cndmask_b32_e32 v213, v225, v213, vcc_lo
	v_cmp_gt_f64_e32 vcc_lo, 0, v[239:240]
	v_cmp_gt_f64_e64 s0, 0, v[237:238]
	v_mov_b32_e32 v214, v239
	v_add_f64 v[210:211], v[210:211], v[212:213]
	v_xor_b32_e32 v213, 0x80000000, v238
	v_mov_b32_e32 v212, v237
	v_cndmask_b32_e32 v215, v240, v215, vcc_lo
	v_cndmask_b32_e64 v213, v238, v213, s0
	v_add_f64 v[212:213], v[212:213], v[214:215]
	v_cmp_lt_f64_e32 vcc_lo, v[210:211], v[212:213]
	v_cndmask_b32_e32 v223, v223, v238, vcc_lo
	v_cndmask_b32_e32 v222, v222, v237, vcc_lo
	;; [unrolled: 1-line block ×4, first 2 shown]
	v_cndmask_b32_e64 v230, v230, s1, vcc_lo
	s_add_i32 s1, s1, 1
	s_cmp_lg_u32 s8, s1
	s_cbranch_scc1 .LBB108_484
.LBB108_485:
	s_inst_prefetch 0x2
	s_waitcnt lgkmcnt(0)
	v_cmp_eq_f64_e32 vcc_lo, 0, v[222:223]
	v_cmp_eq_f64_e64 s0, 0, v[224:225]
	s_and_b32 s0, vcc_lo, s0
	s_and_saveexec_b32 s1, s0
	s_xor_b32 s0, exec_lo, s1
; %bb.486:
	v_cmp_ne_u32_e32 vcc_lo, 0, v235
	v_cndmask_b32_e32 v235, 24, v235, vcc_lo
; %bb.487:
	s_andn2_saveexec_b32 s0, s0
	s_cbranch_execz .LBB108_493
; %bb.488:
	v_cmp_ngt_f64_e64 s1, |v[222:223]|, |v[224:225]|
	s_and_saveexec_b32 s7, s1
	s_xor_b32 s1, exec_lo, s7
	s_cbranch_execz .LBB108_490
; %bb.489:
	v_div_scale_f64 v[210:211], null, v[224:225], v[224:225], v[222:223]
	v_div_scale_f64 v[216:217], vcc_lo, v[222:223], v[224:225], v[222:223]
	v_rcp_f64_e32 v[212:213], v[210:211]
	v_fma_f64 v[214:215], -v[210:211], v[212:213], 1.0
	v_fma_f64 v[212:213], v[212:213], v[214:215], v[212:213]
	v_fma_f64 v[214:215], -v[210:211], v[212:213], 1.0
	v_fma_f64 v[212:213], v[212:213], v[214:215], v[212:213]
	v_mul_f64 v[214:215], v[216:217], v[212:213]
	v_fma_f64 v[210:211], -v[210:211], v[214:215], v[216:217]
	v_div_fmas_f64 v[210:211], v[210:211], v[212:213], v[214:215]
	v_div_fixup_f64 v[210:211], v[210:211], v[224:225], v[222:223]
	v_fma_f64 v[212:213], v[222:223], v[210:211], v[224:225]
	v_div_scale_f64 v[214:215], null, v[212:213], v[212:213], 1.0
	v_rcp_f64_e32 v[216:217], v[214:215]
	v_fma_f64 v[222:223], -v[214:215], v[216:217], 1.0
	v_fma_f64 v[216:217], v[216:217], v[222:223], v[216:217]
	v_fma_f64 v[222:223], -v[214:215], v[216:217], 1.0
	v_fma_f64 v[216:217], v[216:217], v[222:223], v[216:217]
	v_div_scale_f64 v[222:223], vcc_lo, 1.0, v[212:213], 1.0
	v_mul_f64 v[224:225], v[222:223], v[216:217]
	v_fma_f64 v[214:215], -v[214:215], v[224:225], v[222:223]
	v_div_fmas_f64 v[214:215], v[214:215], v[216:217], v[224:225]
	v_div_fixup_f64 v[224:225], v[214:215], v[212:213], 1.0
	v_mul_f64 v[222:223], v[210:211], v[224:225]
	v_xor_b32_e32 v225, 0x80000000, v225
.LBB108_490:
	s_andn2_saveexec_b32 s1, s1
	s_cbranch_execz .LBB108_492
; %bb.491:
	v_div_scale_f64 v[210:211], null, v[222:223], v[222:223], v[224:225]
	v_div_scale_f64 v[216:217], vcc_lo, v[224:225], v[222:223], v[224:225]
	v_rcp_f64_e32 v[212:213], v[210:211]
	v_fma_f64 v[214:215], -v[210:211], v[212:213], 1.0
	v_fma_f64 v[212:213], v[212:213], v[214:215], v[212:213]
	v_fma_f64 v[214:215], -v[210:211], v[212:213], 1.0
	v_fma_f64 v[212:213], v[212:213], v[214:215], v[212:213]
	v_mul_f64 v[214:215], v[216:217], v[212:213]
	v_fma_f64 v[210:211], -v[210:211], v[214:215], v[216:217]
	v_div_fmas_f64 v[210:211], v[210:211], v[212:213], v[214:215]
	v_div_fixup_f64 v[210:211], v[210:211], v[222:223], v[224:225]
	v_fma_f64 v[212:213], v[224:225], v[210:211], v[222:223]
	v_div_scale_f64 v[214:215], null, v[212:213], v[212:213], 1.0
	v_rcp_f64_e32 v[216:217], v[214:215]
	v_fma_f64 v[222:223], -v[214:215], v[216:217], 1.0
	v_fma_f64 v[216:217], v[216:217], v[222:223], v[216:217]
	v_fma_f64 v[222:223], -v[214:215], v[216:217], 1.0
	v_fma_f64 v[216:217], v[216:217], v[222:223], v[216:217]
	v_div_scale_f64 v[222:223], vcc_lo, 1.0, v[212:213], 1.0
	v_mul_f64 v[224:225], v[222:223], v[216:217]
	v_fma_f64 v[214:215], -v[214:215], v[224:225], v[222:223]
	v_div_fmas_f64 v[214:215], v[214:215], v[216:217], v[224:225]
	v_div_fixup_f64 v[222:223], v[214:215], v[212:213], 1.0
	v_mul_f64 v[224:225], v[210:211], -v[222:223]
.LBB108_492:
	s_or_b32 exec_lo, exec_lo, s1
.LBB108_493:
	s_or_b32 exec_lo, exec_lo, s0
	s_mov_b32 s0, exec_lo
	v_cmpx_ne_u32_e64 v236, v230
	s_xor_b32 s0, exec_lo, s0
	s_cbranch_execz .LBB108_499
; %bb.494:
	s_mov_b32 s1, exec_lo
	v_cmpx_eq_u32_e32 23, v236
	s_cbranch_execz .LBB108_498
; %bb.495:
	v_cmp_ne_u32_e32 vcc_lo, 23, v230
	s_xor_b32 s7, s16, -1
	s_and_b32 s9, s7, vcc_lo
	s_and_saveexec_b32 s7, s9
	s_cbranch_execz .LBB108_497
; %bb.496:
	v_ashrrev_i32_e32 v231, 31, v230
	v_lshlrev_b64 v[210:211], 2, v[230:231]
	v_add_co_u32 v210, vcc_lo, v218, v210
	v_add_co_ci_u32_e64 v211, null, v219, v211, vcc_lo
	s_clause 0x1
	global_load_dword v0, v[210:211], off
	global_load_dword v212, v[218:219], off offset:92
	s_waitcnt vmcnt(1)
	global_store_dword v[218:219], v0, off offset:92
	s_waitcnt vmcnt(0)
	global_store_dword v[210:211], v212, off
.LBB108_497:
	s_or_b32 exec_lo, exec_lo, s7
	v_mov_b32_e32 v236, v230
	v_mov_b32_e32 v0, v230
.LBB108_498:
	s_or_b32 exec_lo, exec_lo, s1
.LBB108_499:
	s_andn2_saveexec_b32 s0, s0
	s_cbranch_execz .LBB108_501
; %bb.500:
	v_mov_b32_e32 v236, 23
	ds_write2_b64 v1, v[122:123], v[124:125] offset0:48 offset1:49
	ds_write2_b64 v1, v[118:119], v[120:121] offset0:50 offset1:51
	;; [unrolled: 1-line block ×31, first 2 shown]
.LBB108_501:
	s_or_b32 exec_lo, exec_lo, s0
	s_mov_b32 s0, exec_lo
	s_waitcnt lgkmcnt(0)
	s_waitcnt_vscnt null, 0x0
	s_barrier
	buffer_gl0_inv
	v_cmpx_lt_i32_e32 23, v236
	s_cbranch_execz .LBB108_503
; %bb.502:
	v_mul_f64 v[210:211], v[224:225], v[128:129]
	v_mul_f64 v[128:129], v[222:223], v[128:129]
	v_fma_f64 v[230:231], v[222:223], v[126:127], -v[210:211]
	v_fma_f64 v[128:129], v[224:225], v[126:127], v[128:129]
	ds_read2_b64 v[222:225], v1 offset0:48 offset1:49
	s_waitcnt lgkmcnt(0)
	v_mul_f64 v[126:127], v[224:225], v[128:129]
	v_mul_f64 v[210:211], v[222:223], v[128:129]
	v_fma_f64 v[126:127], v[222:223], v[230:231], -v[126:127]
	v_fma_f64 v[210:211], v[224:225], v[230:231], v[210:211]
	ds_read2_b64 v[222:225], v1 offset0:50 offset1:51
	v_add_f64 v[122:123], v[122:123], -v[126:127]
	v_add_f64 v[124:125], v[124:125], -v[210:211]
	s_waitcnt lgkmcnt(0)
	v_mul_f64 v[126:127], v[224:225], v[128:129]
	v_mul_f64 v[210:211], v[222:223], v[128:129]
	v_fma_f64 v[126:127], v[222:223], v[230:231], -v[126:127]
	v_fma_f64 v[210:211], v[224:225], v[230:231], v[210:211]
	ds_read2_b64 v[222:225], v1 offset0:52 offset1:53
	v_add_f64 v[118:119], v[118:119], -v[126:127]
	v_add_f64 v[120:121], v[120:121], -v[210:211]
	;; [unrolled: 8-line block ×30, first 2 shown]
	s_waitcnt lgkmcnt(0)
	v_mul_f64 v[126:127], v[224:225], v[128:129]
	v_mul_f64 v[210:211], v[222:223], v[128:129]
	v_fma_f64 v[126:127], v[222:223], v[230:231], -v[126:127]
	v_fma_f64 v[210:211], v[224:225], v[230:231], v[210:211]
	v_add_f64 v[2:3], v[2:3], -v[126:127]
	v_add_f64 v[4:5], v[4:5], -v[210:211]
	v_mov_b32_e32 v126, v230
	v_mov_b32_e32 v127, v231
.LBB108_503:
	s_or_b32 exec_lo, exec_lo, s0
	v_lshl_add_u32 v210, v236, 4, v1
	s_barrier
	buffer_gl0_inv
	v_mov_b32_e32 v230, 24
	ds_write2_b64 v210, v[122:123], v[124:125] offset1:1
	s_waitcnt lgkmcnt(0)
	s_barrier
	buffer_gl0_inv
	ds_read2_b64 v[222:225], v1 offset0:48 offset1:49
	s_cmp_lt_i32 s8, 26
	s_cbranch_scc1 .LBB108_506
; %bb.504:
	v_add3_u32 v231, v253, 0, 0x190
	v_mov_b32_e32 v230, 24
	s_mov_b32 s1, 25
	s_inst_prefetch 0x1
	.p2align	6
.LBB108_505:                            ; =>This Inner Loop Header: Depth=1
	s_waitcnt lgkmcnt(0)
	v_cmp_gt_f64_e32 vcc_lo, 0, v[224:225]
	v_cmp_gt_f64_e64 s0, 0, v[222:223]
	ds_read2_b64 v[237:240], v231 offset1:1
	v_xor_b32_e32 v211, 0x80000000, v223
	v_xor_b32_e32 v213, 0x80000000, v225
	v_mov_b32_e32 v210, v222
	v_mov_b32_e32 v212, v224
	v_add_nc_u32_e32 v231, 16, v231
	s_waitcnt lgkmcnt(0)
	v_xor_b32_e32 v215, 0x80000000, v240
	v_cndmask_b32_e64 v211, v223, v211, s0
	v_cndmask_b32_e32 v213, v225, v213, vcc_lo
	v_cmp_gt_f64_e32 vcc_lo, 0, v[239:240]
	v_cmp_gt_f64_e64 s0, 0, v[237:238]
	v_mov_b32_e32 v214, v239
	v_add_f64 v[210:211], v[210:211], v[212:213]
	v_xor_b32_e32 v213, 0x80000000, v238
	v_mov_b32_e32 v212, v237
	v_cndmask_b32_e32 v215, v240, v215, vcc_lo
	v_cndmask_b32_e64 v213, v238, v213, s0
	v_add_f64 v[212:213], v[212:213], v[214:215]
	v_cmp_lt_f64_e32 vcc_lo, v[210:211], v[212:213]
	v_cndmask_b32_e32 v223, v223, v238, vcc_lo
	v_cndmask_b32_e32 v222, v222, v237, vcc_lo
	;; [unrolled: 1-line block ×4, first 2 shown]
	v_cndmask_b32_e64 v230, v230, s1, vcc_lo
	s_add_i32 s1, s1, 1
	s_cmp_lg_u32 s8, s1
	s_cbranch_scc1 .LBB108_505
.LBB108_506:
	s_inst_prefetch 0x2
	s_waitcnt lgkmcnt(0)
	v_cmp_eq_f64_e32 vcc_lo, 0, v[222:223]
	v_cmp_eq_f64_e64 s0, 0, v[224:225]
	s_and_b32 s0, vcc_lo, s0
	s_and_saveexec_b32 s1, s0
	s_xor_b32 s0, exec_lo, s1
; %bb.507:
	v_cmp_ne_u32_e32 vcc_lo, 0, v235
	v_cndmask_b32_e32 v235, 25, v235, vcc_lo
; %bb.508:
	s_andn2_saveexec_b32 s0, s0
	s_cbranch_execz .LBB108_514
; %bb.509:
	v_cmp_ngt_f64_e64 s1, |v[222:223]|, |v[224:225]|
	s_and_saveexec_b32 s7, s1
	s_xor_b32 s1, exec_lo, s7
	s_cbranch_execz .LBB108_511
; %bb.510:
	v_div_scale_f64 v[210:211], null, v[224:225], v[224:225], v[222:223]
	v_div_scale_f64 v[216:217], vcc_lo, v[222:223], v[224:225], v[222:223]
	v_rcp_f64_e32 v[212:213], v[210:211]
	v_fma_f64 v[214:215], -v[210:211], v[212:213], 1.0
	v_fma_f64 v[212:213], v[212:213], v[214:215], v[212:213]
	v_fma_f64 v[214:215], -v[210:211], v[212:213], 1.0
	v_fma_f64 v[212:213], v[212:213], v[214:215], v[212:213]
	v_mul_f64 v[214:215], v[216:217], v[212:213]
	v_fma_f64 v[210:211], -v[210:211], v[214:215], v[216:217]
	v_div_fmas_f64 v[210:211], v[210:211], v[212:213], v[214:215]
	v_div_fixup_f64 v[210:211], v[210:211], v[224:225], v[222:223]
	v_fma_f64 v[212:213], v[222:223], v[210:211], v[224:225]
	v_div_scale_f64 v[214:215], null, v[212:213], v[212:213], 1.0
	v_rcp_f64_e32 v[216:217], v[214:215]
	v_fma_f64 v[222:223], -v[214:215], v[216:217], 1.0
	v_fma_f64 v[216:217], v[216:217], v[222:223], v[216:217]
	v_fma_f64 v[222:223], -v[214:215], v[216:217], 1.0
	v_fma_f64 v[216:217], v[216:217], v[222:223], v[216:217]
	v_div_scale_f64 v[222:223], vcc_lo, 1.0, v[212:213], 1.0
	v_mul_f64 v[224:225], v[222:223], v[216:217]
	v_fma_f64 v[214:215], -v[214:215], v[224:225], v[222:223]
	v_div_fmas_f64 v[214:215], v[214:215], v[216:217], v[224:225]
	v_div_fixup_f64 v[224:225], v[214:215], v[212:213], 1.0
	v_mul_f64 v[222:223], v[210:211], v[224:225]
	v_xor_b32_e32 v225, 0x80000000, v225
.LBB108_511:
	s_andn2_saveexec_b32 s1, s1
	s_cbranch_execz .LBB108_513
; %bb.512:
	v_div_scale_f64 v[210:211], null, v[222:223], v[222:223], v[224:225]
	v_div_scale_f64 v[216:217], vcc_lo, v[224:225], v[222:223], v[224:225]
	v_rcp_f64_e32 v[212:213], v[210:211]
	v_fma_f64 v[214:215], -v[210:211], v[212:213], 1.0
	v_fma_f64 v[212:213], v[212:213], v[214:215], v[212:213]
	v_fma_f64 v[214:215], -v[210:211], v[212:213], 1.0
	v_fma_f64 v[212:213], v[212:213], v[214:215], v[212:213]
	v_mul_f64 v[214:215], v[216:217], v[212:213]
	v_fma_f64 v[210:211], -v[210:211], v[214:215], v[216:217]
	v_div_fmas_f64 v[210:211], v[210:211], v[212:213], v[214:215]
	v_div_fixup_f64 v[210:211], v[210:211], v[222:223], v[224:225]
	v_fma_f64 v[212:213], v[224:225], v[210:211], v[222:223]
	v_div_scale_f64 v[214:215], null, v[212:213], v[212:213], 1.0
	v_rcp_f64_e32 v[216:217], v[214:215]
	v_fma_f64 v[222:223], -v[214:215], v[216:217], 1.0
	v_fma_f64 v[216:217], v[216:217], v[222:223], v[216:217]
	v_fma_f64 v[222:223], -v[214:215], v[216:217], 1.0
	v_fma_f64 v[216:217], v[216:217], v[222:223], v[216:217]
	v_div_scale_f64 v[222:223], vcc_lo, 1.0, v[212:213], 1.0
	v_mul_f64 v[224:225], v[222:223], v[216:217]
	v_fma_f64 v[214:215], -v[214:215], v[224:225], v[222:223]
	v_div_fmas_f64 v[214:215], v[214:215], v[216:217], v[224:225]
	v_div_fixup_f64 v[222:223], v[214:215], v[212:213], 1.0
	v_mul_f64 v[224:225], v[210:211], -v[222:223]
.LBB108_513:
	s_or_b32 exec_lo, exec_lo, s1
.LBB108_514:
	s_or_b32 exec_lo, exec_lo, s0
	s_mov_b32 s0, exec_lo
	v_cmpx_ne_u32_e64 v236, v230
	s_xor_b32 s0, exec_lo, s0
	s_cbranch_execz .LBB108_520
; %bb.515:
	s_mov_b32 s1, exec_lo
	v_cmpx_eq_u32_e32 24, v236
	s_cbranch_execz .LBB108_519
; %bb.516:
	v_cmp_ne_u32_e32 vcc_lo, 24, v230
	s_xor_b32 s7, s16, -1
	s_and_b32 s9, s7, vcc_lo
	s_and_saveexec_b32 s7, s9
	s_cbranch_execz .LBB108_518
; %bb.517:
	v_ashrrev_i32_e32 v231, 31, v230
	v_lshlrev_b64 v[210:211], 2, v[230:231]
	v_add_co_u32 v210, vcc_lo, v218, v210
	v_add_co_ci_u32_e64 v211, null, v219, v211, vcc_lo
	s_clause 0x1
	global_load_dword v0, v[210:211], off
	global_load_dword v212, v[218:219], off offset:96
	s_waitcnt vmcnt(1)
	global_store_dword v[218:219], v0, off offset:96
	s_waitcnt vmcnt(0)
	global_store_dword v[210:211], v212, off
.LBB108_518:
	s_or_b32 exec_lo, exec_lo, s7
	v_mov_b32_e32 v236, v230
	v_mov_b32_e32 v0, v230
.LBB108_519:
	s_or_b32 exec_lo, exec_lo, s1
.LBB108_520:
	s_andn2_saveexec_b32 s0, s0
	s_cbranch_execz .LBB108_522
; %bb.521:
	v_mov_b32_e32 v236, 24
	ds_write2_b64 v1, v[118:119], v[120:121] offset0:50 offset1:51
	ds_write2_b64 v1, v[114:115], v[116:117] offset0:52 offset1:53
	;; [unrolled: 1-line block ×30, first 2 shown]
.LBB108_522:
	s_or_b32 exec_lo, exec_lo, s0
	s_mov_b32 s0, exec_lo
	s_waitcnt lgkmcnt(0)
	s_waitcnt_vscnt null, 0x0
	s_barrier
	buffer_gl0_inv
	v_cmpx_lt_i32_e32 24, v236
	s_cbranch_execz .LBB108_524
; %bb.523:
	v_mul_f64 v[210:211], v[224:225], v[124:125]
	v_mul_f64 v[124:125], v[222:223], v[124:125]
	v_fma_f64 v[230:231], v[222:223], v[122:123], -v[210:211]
	v_fma_f64 v[124:125], v[224:225], v[122:123], v[124:125]
	ds_read2_b64 v[222:225], v1 offset0:50 offset1:51
	s_waitcnt lgkmcnt(0)
	v_mul_f64 v[122:123], v[224:225], v[124:125]
	v_mul_f64 v[210:211], v[222:223], v[124:125]
	v_fma_f64 v[122:123], v[222:223], v[230:231], -v[122:123]
	v_fma_f64 v[210:211], v[224:225], v[230:231], v[210:211]
	ds_read2_b64 v[222:225], v1 offset0:52 offset1:53
	v_add_f64 v[118:119], v[118:119], -v[122:123]
	v_add_f64 v[120:121], v[120:121], -v[210:211]
	s_waitcnt lgkmcnt(0)
	v_mul_f64 v[122:123], v[224:225], v[124:125]
	v_mul_f64 v[210:211], v[222:223], v[124:125]
	v_fma_f64 v[122:123], v[222:223], v[230:231], -v[122:123]
	v_fma_f64 v[210:211], v[224:225], v[230:231], v[210:211]
	ds_read2_b64 v[222:225], v1 offset0:54 offset1:55
	v_add_f64 v[114:115], v[114:115], -v[122:123]
	v_add_f64 v[116:117], v[116:117], -v[210:211]
	;; [unrolled: 8-line block ×29, first 2 shown]
	s_waitcnt lgkmcnt(0)
	v_mul_f64 v[122:123], v[224:225], v[124:125]
	v_mul_f64 v[210:211], v[222:223], v[124:125]
	v_fma_f64 v[122:123], v[222:223], v[230:231], -v[122:123]
	v_fma_f64 v[210:211], v[224:225], v[230:231], v[210:211]
	v_add_f64 v[2:3], v[2:3], -v[122:123]
	v_add_f64 v[4:5], v[4:5], -v[210:211]
	v_mov_b32_e32 v122, v230
	v_mov_b32_e32 v123, v231
.LBB108_524:
	s_or_b32 exec_lo, exec_lo, s0
	v_lshl_add_u32 v210, v236, 4, v1
	s_barrier
	buffer_gl0_inv
	v_mov_b32_e32 v230, 25
	ds_write2_b64 v210, v[118:119], v[120:121] offset1:1
	s_waitcnt lgkmcnt(0)
	s_barrier
	buffer_gl0_inv
	ds_read2_b64 v[222:225], v1 offset0:50 offset1:51
	s_cmp_lt_i32 s8, 27
	s_cbranch_scc1 .LBB108_527
; %bb.525:
	v_add3_u32 v231, v253, 0, 0x1a0
	v_mov_b32_e32 v230, 25
	s_mov_b32 s1, 26
	s_inst_prefetch 0x1
	.p2align	6
.LBB108_526:                            ; =>This Inner Loop Header: Depth=1
	s_waitcnt lgkmcnt(0)
	v_cmp_gt_f64_e32 vcc_lo, 0, v[224:225]
	v_cmp_gt_f64_e64 s0, 0, v[222:223]
	ds_read2_b64 v[237:240], v231 offset1:1
	v_xor_b32_e32 v211, 0x80000000, v223
	v_xor_b32_e32 v213, 0x80000000, v225
	v_mov_b32_e32 v210, v222
	v_mov_b32_e32 v212, v224
	v_add_nc_u32_e32 v231, 16, v231
	s_waitcnt lgkmcnt(0)
	v_xor_b32_e32 v215, 0x80000000, v240
	v_cndmask_b32_e64 v211, v223, v211, s0
	v_cndmask_b32_e32 v213, v225, v213, vcc_lo
	v_cmp_gt_f64_e32 vcc_lo, 0, v[239:240]
	v_cmp_gt_f64_e64 s0, 0, v[237:238]
	v_mov_b32_e32 v214, v239
	v_add_f64 v[210:211], v[210:211], v[212:213]
	v_xor_b32_e32 v213, 0x80000000, v238
	v_mov_b32_e32 v212, v237
	v_cndmask_b32_e32 v215, v240, v215, vcc_lo
	v_cndmask_b32_e64 v213, v238, v213, s0
	v_add_f64 v[212:213], v[212:213], v[214:215]
	v_cmp_lt_f64_e32 vcc_lo, v[210:211], v[212:213]
	v_cndmask_b32_e32 v223, v223, v238, vcc_lo
	v_cndmask_b32_e32 v222, v222, v237, vcc_lo
	;; [unrolled: 1-line block ×4, first 2 shown]
	v_cndmask_b32_e64 v230, v230, s1, vcc_lo
	s_add_i32 s1, s1, 1
	s_cmp_lg_u32 s8, s1
	s_cbranch_scc1 .LBB108_526
.LBB108_527:
	s_inst_prefetch 0x2
	s_waitcnt lgkmcnt(0)
	v_cmp_eq_f64_e32 vcc_lo, 0, v[222:223]
	v_cmp_eq_f64_e64 s0, 0, v[224:225]
	s_and_b32 s0, vcc_lo, s0
	s_and_saveexec_b32 s1, s0
	s_xor_b32 s0, exec_lo, s1
; %bb.528:
	v_cmp_ne_u32_e32 vcc_lo, 0, v235
	v_cndmask_b32_e32 v235, 26, v235, vcc_lo
; %bb.529:
	s_andn2_saveexec_b32 s0, s0
	s_cbranch_execz .LBB108_535
; %bb.530:
	v_cmp_ngt_f64_e64 s1, |v[222:223]|, |v[224:225]|
	s_and_saveexec_b32 s7, s1
	s_xor_b32 s1, exec_lo, s7
	s_cbranch_execz .LBB108_532
; %bb.531:
	v_div_scale_f64 v[210:211], null, v[224:225], v[224:225], v[222:223]
	v_div_scale_f64 v[216:217], vcc_lo, v[222:223], v[224:225], v[222:223]
	v_rcp_f64_e32 v[212:213], v[210:211]
	v_fma_f64 v[214:215], -v[210:211], v[212:213], 1.0
	v_fma_f64 v[212:213], v[212:213], v[214:215], v[212:213]
	v_fma_f64 v[214:215], -v[210:211], v[212:213], 1.0
	v_fma_f64 v[212:213], v[212:213], v[214:215], v[212:213]
	v_mul_f64 v[214:215], v[216:217], v[212:213]
	v_fma_f64 v[210:211], -v[210:211], v[214:215], v[216:217]
	v_div_fmas_f64 v[210:211], v[210:211], v[212:213], v[214:215]
	v_div_fixup_f64 v[210:211], v[210:211], v[224:225], v[222:223]
	v_fma_f64 v[212:213], v[222:223], v[210:211], v[224:225]
	v_div_scale_f64 v[214:215], null, v[212:213], v[212:213], 1.0
	v_rcp_f64_e32 v[216:217], v[214:215]
	v_fma_f64 v[222:223], -v[214:215], v[216:217], 1.0
	v_fma_f64 v[216:217], v[216:217], v[222:223], v[216:217]
	v_fma_f64 v[222:223], -v[214:215], v[216:217], 1.0
	v_fma_f64 v[216:217], v[216:217], v[222:223], v[216:217]
	v_div_scale_f64 v[222:223], vcc_lo, 1.0, v[212:213], 1.0
	v_mul_f64 v[224:225], v[222:223], v[216:217]
	v_fma_f64 v[214:215], -v[214:215], v[224:225], v[222:223]
	v_div_fmas_f64 v[214:215], v[214:215], v[216:217], v[224:225]
	v_div_fixup_f64 v[224:225], v[214:215], v[212:213], 1.0
	v_mul_f64 v[222:223], v[210:211], v[224:225]
	v_xor_b32_e32 v225, 0x80000000, v225
.LBB108_532:
	s_andn2_saveexec_b32 s1, s1
	s_cbranch_execz .LBB108_534
; %bb.533:
	v_div_scale_f64 v[210:211], null, v[222:223], v[222:223], v[224:225]
	v_div_scale_f64 v[216:217], vcc_lo, v[224:225], v[222:223], v[224:225]
	v_rcp_f64_e32 v[212:213], v[210:211]
	v_fma_f64 v[214:215], -v[210:211], v[212:213], 1.0
	v_fma_f64 v[212:213], v[212:213], v[214:215], v[212:213]
	v_fma_f64 v[214:215], -v[210:211], v[212:213], 1.0
	v_fma_f64 v[212:213], v[212:213], v[214:215], v[212:213]
	v_mul_f64 v[214:215], v[216:217], v[212:213]
	v_fma_f64 v[210:211], -v[210:211], v[214:215], v[216:217]
	v_div_fmas_f64 v[210:211], v[210:211], v[212:213], v[214:215]
	v_div_fixup_f64 v[210:211], v[210:211], v[222:223], v[224:225]
	v_fma_f64 v[212:213], v[224:225], v[210:211], v[222:223]
	v_div_scale_f64 v[214:215], null, v[212:213], v[212:213], 1.0
	v_rcp_f64_e32 v[216:217], v[214:215]
	v_fma_f64 v[222:223], -v[214:215], v[216:217], 1.0
	v_fma_f64 v[216:217], v[216:217], v[222:223], v[216:217]
	v_fma_f64 v[222:223], -v[214:215], v[216:217], 1.0
	v_fma_f64 v[216:217], v[216:217], v[222:223], v[216:217]
	v_div_scale_f64 v[222:223], vcc_lo, 1.0, v[212:213], 1.0
	v_mul_f64 v[224:225], v[222:223], v[216:217]
	v_fma_f64 v[214:215], -v[214:215], v[224:225], v[222:223]
	v_div_fmas_f64 v[214:215], v[214:215], v[216:217], v[224:225]
	v_div_fixup_f64 v[222:223], v[214:215], v[212:213], 1.0
	v_mul_f64 v[224:225], v[210:211], -v[222:223]
.LBB108_534:
	s_or_b32 exec_lo, exec_lo, s1
.LBB108_535:
	s_or_b32 exec_lo, exec_lo, s0
	s_mov_b32 s0, exec_lo
	v_cmpx_ne_u32_e64 v236, v230
	s_xor_b32 s0, exec_lo, s0
	s_cbranch_execz .LBB108_541
; %bb.536:
	s_mov_b32 s1, exec_lo
	v_cmpx_eq_u32_e32 25, v236
	s_cbranch_execz .LBB108_540
; %bb.537:
	v_cmp_ne_u32_e32 vcc_lo, 25, v230
	s_xor_b32 s7, s16, -1
	s_and_b32 s9, s7, vcc_lo
	s_and_saveexec_b32 s7, s9
	s_cbranch_execz .LBB108_539
; %bb.538:
	v_ashrrev_i32_e32 v231, 31, v230
	v_lshlrev_b64 v[210:211], 2, v[230:231]
	v_add_co_u32 v210, vcc_lo, v218, v210
	v_add_co_ci_u32_e64 v211, null, v219, v211, vcc_lo
	s_clause 0x1
	global_load_dword v0, v[210:211], off
	global_load_dword v212, v[218:219], off offset:100
	s_waitcnt vmcnt(1)
	global_store_dword v[218:219], v0, off offset:100
	s_waitcnt vmcnt(0)
	global_store_dword v[210:211], v212, off
.LBB108_539:
	s_or_b32 exec_lo, exec_lo, s7
	v_mov_b32_e32 v236, v230
	v_mov_b32_e32 v0, v230
.LBB108_540:
	s_or_b32 exec_lo, exec_lo, s1
.LBB108_541:
	s_andn2_saveexec_b32 s0, s0
	s_cbranch_execz .LBB108_543
; %bb.542:
	v_mov_b32_e32 v236, 25
	ds_write2_b64 v1, v[114:115], v[116:117] offset0:52 offset1:53
	ds_write2_b64 v1, v[110:111], v[112:113] offset0:54 offset1:55
	ds_write2_b64 v1, v[106:107], v[108:109] offset0:56 offset1:57
	ds_write2_b64 v1, v[102:103], v[104:105] offset0:58 offset1:59
	ds_write2_b64 v1, v[98:99], v[100:101] offset0:60 offset1:61
	ds_write2_b64 v1, v[94:95], v[96:97] offset0:62 offset1:63
	ds_write2_b64 v1, v[90:91], v[92:93] offset0:64 offset1:65
	ds_write2_b64 v1, v[86:87], v[88:89] offset0:66 offset1:67
	ds_write2_b64 v1, v[82:83], v[84:85] offset0:68 offset1:69
	ds_write2_b64 v1, v[78:79], v[80:81] offset0:70 offset1:71
	ds_write2_b64 v1, v[74:75], v[76:77] offset0:72 offset1:73
	ds_write2_b64 v1, v[70:71], v[72:73] offset0:74 offset1:75
	ds_write2_b64 v1, v[66:67], v[68:69] offset0:76 offset1:77
	ds_write2_b64 v1, v[62:63], v[64:65] offset0:78 offset1:79
	ds_write2_b64 v1, v[58:59], v[60:61] offset0:80 offset1:81
	ds_write2_b64 v1, v[54:55], v[56:57] offset0:82 offset1:83
	ds_write2_b64 v1, v[50:51], v[52:53] offset0:84 offset1:85
	ds_write2_b64 v1, v[46:47], v[48:49] offset0:86 offset1:87
	ds_write2_b64 v1, v[42:43], v[44:45] offset0:88 offset1:89
	ds_write2_b64 v1, v[38:39], v[40:41] offset0:90 offset1:91
	ds_write2_b64 v1, v[34:35], v[36:37] offset0:92 offset1:93
	ds_write2_b64 v1, v[30:31], v[32:33] offset0:94 offset1:95
	ds_write2_b64 v1, v[26:27], v[28:29] offset0:96 offset1:97
	ds_write2_b64 v1, v[22:23], v[24:25] offset0:98 offset1:99
	ds_write2_b64 v1, v[18:19], v[20:21] offset0:100 offset1:101
	ds_write2_b64 v1, v[14:15], v[16:17] offset0:102 offset1:103
	ds_write2_b64 v1, v[10:11], v[12:13] offset0:104 offset1:105
	ds_write2_b64 v1, v[6:7], v[8:9] offset0:106 offset1:107
	ds_write2_b64 v1, v[2:3], v[4:5] offset0:108 offset1:109
.LBB108_543:
	s_or_b32 exec_lo, exec_lo, s0
	s_mov_b32 s0, exec_lo
	s_waitcnt lgkmcnt(0)
	s_waitcnt_vscnt null, 0x0
	s_barrier
	buffer_gl0_inv
	v_cmpx_lt_i32_e32 25, v236
	s_cbranch_execz .LBB108_545
; %bb.544:
	v_mul_f64 v[210:211], v[224:225], v[120:121]
	v_mul_f64 v[120:121], v[222:223], v[120:121]
	v_fma_f64 v[230:231], v[222:223], v[118:119], -v[210:211]
	v_fma_f64 v[120:121], v[224:225], v[118:119], v[120:121]
	ds_read2_b64 v[222:225], v1 offset0:52 offset1:53
	s_waitcnt lgkmcnt(0)
	v_mul_f64 v[118:119], v[224:225], v[120:121]
	v_mul_f64 v[210:211], v[222:223], v[120:121]
	v_fma_f64 v[118:119], v[222:223], v[230:231], -v[118:119]
	v_fma_f64 v[210:211], v[224:225], v[230:231], v[210:211]
	ds_read2_b64 v[222:225], v1 offset0:54 offset1:55
	v_add_f64 v[114:115], v[114:115], -v[118:119]
	v_add_f64 v[116:117], v[116:117], -v[210:211]
	s_waitcnt lgkmcnt(0)
	v_mul_f64 v[118:119], v[224:225], v[120:121]
	v_mul_f64 v[210:211], v[222:223], v[120:121]
	v_fma_f64 v[118:119], v[222:223], v[230:231], -v[118:119]
	v_fma_f64 v[210:211], v[224:225], v[230:231], v[210:211]
	ds_read2_b64 v[222:225], v1 offset0:56 offset1:57
	v_add_f64 v[110:111], v[110:111], -v[118:119]
	v_add_f64 v[112:113], v[112:113], -v[210:211]
	;; [unrolled: 8-line block ×28, first 2 shown]
	s_waitcnt lgkmcnt(0)
	v_mul_f64 v[118:119], v[224:225], v[120:121]
	v_mul_f64 v[210:211], v[222:223], v[120:121]
	v_fma_f64 v[118:119], v[222:223], v[230:231], -v[118:119]
	v_fma_f64 v[210:211], v[224:225], v[230:231], v[210:211]
	v_add_f64 v[2:3], v[2:3], -v[118:119]
	v_add_f64 v[4:5], v[4:5], -v[210:211]
	v_mov_b32_e32 v118, v230
	v_mov_b32_e32 v119, v231
.LBB108_545:
	s_or_b32 exec_lo, exec_lo, s0
	v_lshl_add_u32 v210, v236, 4, v1
	s_barrier
	buffer_gl0_inv
	v_mov_b32_e32 v230, 26
	ds_write2_b64 v210, v[114:115], v[116:117] offset1:1
	s_waitcnt lgkmcnt(0)
	s_barrier
	buffer_gl0_inv
	ds_read2_b64 v[222:225], v1 offset0:52 offset1:53
	s_cmp_lt_i32 s8, 28
	s_cbranch_scc1 .LBB108_548
; %bb.546:
	v_add3_u32 v231, v253, 0, 0x1b0
	v_mov_b32_e32 v230, 26
	s_mov_b32 s1, 27
	s_inst_prefetch 0x1
	.p2align	6
.LBB108_547:                            ; =>This Inner Loop Header: Depth=1
	s_waitcnt lgkmcnt(0)
	v_cmp_gt_f64_e32 vcc_lo, 0, v[224:225]
	v_cmp_gt_f64_e64 s0, 0, v[222:223]
	ds_read2_b64 v[237:240], v231 offset1:1
	v_xor_b32_e32 v211, 0x80000000, v223
	v_xor_b32_e32 v213, 0x80000000, v225
	v_mov_b32_e32 v210, v222
	v_mov_b32_e32 v212, v224
	v_add_nc_u32_e32 v231, 16, v231
	s_waitcnt lgkmcnt(0)
	v_xor_b32_e32 v215, 0x80000000, v240
	v_cndmask_b32_e64 v211, v223, v211, s0
	v_cndmask_b32_e32 v213, v225, v213, vcc_lo
	v_cmp_gt_f64_e32 vcc_lo, 0, v[239:240]
	v_cmp_gt_f64_e64 s0, 0, v[237:238]
	v_mov_b32_e32 v214, v239
	v_add_f64 v[210:211], v[210:211], v[212:213]
	v_xor_b32_e32 v213, 0x80000000, v238
	v_mov_b32_e32 v212, v237
	v_cndmask_b32_e32 v215, v240, v215, vcc_lo
	v_cndmask_b32_e64 v213, v238, v213, s0
	v_add_f64 v[212:213], v[212:213], v[214:215]
	v_cmp_lt_f64_e32 vcc_lo, v[210:211], v[212:213]
	v_cndmask_b32_e32 v223, v223, v238, vcc_lo
	v_cndmask_b32_e32 v222, v222, v237, vcc_lo
	;; [unrolled: 1-line block ×4, first 2 shown]
	v_cndmask_b32_e64 v230, v230, s1, vcc_lo
	s_add_i32 s1, s1, 1
	s_cmp_lg_u32 s8, s1
	s_cbranch_scc1 .LBB108_547
.LBB108_548:
	s_inst_prefetch 0x2
	s_waitcnt lgkmcnt(0)
	v_cmp_eq_f64_e32 vcc_lo, 0, v[222:223]
	v_cmp_eq_f64_e64 s0, 0, v[224:225]
	s_and_b32 s0, vcc_lo, s0
	s_and_saveexec_b32 s1, s0
	s_xor_b32 s0, exec_lo, s1
; %bb.549:
	v_cmp_ne_u32_e32 vcc_lo, 0, v235
	v_cndmask_b32_e32 v235, 27, v235, vcc_lo
; %bb.550:
	s_andn2_saveexec_b32 s0, s0
	s_cbranch_execz .LBB108_556
; %bb.551:
	v_cmp_ngt_f64_e64 s1, |v[222:223]|, |v[224:225]|
	s_and_saveexec_b32 s7, s1
	s_xor_b32 s1, exec_lo, s7
	s_cbranch_execz .LBB108_553
; %bb.552:
	v_div_scale_f64 v[210:211], null, v[224:225], v[224:225], v[222:223]
	v_div_scale_f64 v[216:217], vcc_lo, v[222:223], v[224:225], v[222:223]
	v_rcp_f64_e32 v[212:213], v[210:211]
	v_fma_f64 v[214:215], -v[210:211], v[212:213], 1.0
	v_fma_f64 v[212:213], v[212:213], v[214:215], v[212:213]
	v_fma_f64 v[214:215], -v[210:211], v[212:213], 1.0
	v_fma_f64 v[212:213], v[212:213], v[214:215], v[212:213]
	v_mul_f64 v[214:215], v[216:217], v[212:213]
	v_fma_f64 v[210:211], -v[210:211], v[214:215], v[216:217]
	v_div_fmas_f64 v[210:211], v[210:211], v[212:213], v[214:215]
	v_div_fixup_f64 v[210:211], v[210:211], v[224:225], v[222:223]
	v_fma_f64 v[212:213], v[222:223], v[210:211], v[224:225]
	v_div_scale_f64 v[214:215], null, v[212:213], v[212:213], 1.0
	v_rcp_f64_e32 v[216:217], v[214:215]
	v_fma_f64 v[222:223], -v[214:215], v[216:217], 1.0
	v_fma_f64 v[216:217], v[216:217], v[222:223], v[216:217]
	v_fma_f64 v[222:223], -v[214:215], v[216:217], 1.0
	v_fma_f64 v[216:217], v[216:217], v[222:223], v[216:217]
	v_div_scale_f64 v[222:223], vcc_lo, 1.0, v[212:213], 1.0
	v_mul_f64 v[224:225], v[222:223], v[216:217]
	v_fma_f64 v[214:215], -v[214:215], v[224:225], v[222:223]
	v_div_fmas_f64 v[214:215], v[214:215], v[216:217], v[224:225]
	v_div_fixup_f64 v[224:225], v[214:215], v[212:213], 1.0
	v_mul_f64 v[222:223], v[210:211], v[224:225]
	v_xor_b32_e32 v225, 0x80000000, v225
.LBB108_553:
	s_andn2_saveexec_b32 s1, s1
	s_cbranch_execz .LBB108_555
; %bb.554:
	v_div_scale_f64 v[210:211], null, v[222:223], v[222:223], v[224:225]
	v_div_scale_f64 v[216:217], vcc_lo, v[224:225], v[222:223], v[224:225]
	v_rcp_f64_e32 v[212:213], v[210:211]
	v_fma_f64 v[214:215], -v[210:211], v[212:213], 1.0
	v_fma_f64 v[212:213], v[212:213], v[214:215], v[212:213]
	v_fma_f64 v[214:215], -v[210:211], v[212:213], 1.0
	v_fma_f64 v[212:213], v[212:213], v[214:215], v[212:213]
	v_mul_f64 v[214:215], v[216:217], v[212:213]
	v_fma_f64 v[210:211], -v[210:211], v[214:215], v[216:217]
	v_div_fmas_f64 v[210:211], v[210:211], v[212:213], v[214:215]
	v_div_fixup_f64 v[210:211], v[210:211], v[222:223], v[224:225]
	v_fma_f64 v[212:213], v[224:225], v[210:211], v[222:223]
	v_div_scale_f64 v[214:215], null, v[212:213], v[212:213], 1.0
	v_rcp_f64_e32 v[216:217], v[214:215]
	v_fma_f64 v[222:223], -v[214:215], v[216:217], 1.0
	v_fma_f64 v[216:217], v[216:217], v[222:223], v[216:217]
	v_fma_f64 v[222:223], -v[214:215], v[216:217], 1.0
	v_fma_f64 v[216:217], v[216:217], v[222:223], v[216:217]
	v_div_scale_f64 v[222:223], vcc_lo, 1.0, v[212:213], 1.0
	v_mul_f64 v[224:225], v[222:223], v[216:217]
	v_fma_f64 v[214:215], -v[214:215], v[224:225], v[222:223]
	v_div_fmas_f64 v[214:215], v[214:215], v[216:217], v[224:225]
	v_div_fixup_f64 v[222:223], v[214:215], v[212:213], 1.0
	v_mul_f64 v[224:225], v[210:211], -v[222:223]
.LBB108_555:
	s_or_b32 exec_lo, exec_lo, s1
.LBB108_556:
	s_or_b32 exec_lo, exec_lo, s0
	s_mov_b32 s0, exec_lo
	v_cmpx_ne_u32_e64 v236, v230
	s_xor_b32 s0, exec_lo, s0
	s_cbranch_execz .LBB108_562
; %bb.557:
	s_mov_b32 s1, exec_lo
	v_cmpx_eq_u32_e32 26, v236
	s_cbranch_execz .LBB108_561
; %bb.558:
	v_cmp_ne_u32_e32 vcc_lo, 26, v230
	s_xor_b32 s7, s16, -1
	s_and_b32 s9, s7, vcc_lo
	s_and_saveexec_b32 s7, s9
	s_cbranch_execz .LBB108_560
; %bb.559:
	v_ashrrev_i32_e32 v231, 31, v230
	v_lshlrev_b64 v[210:211], 2, v[230:231]
	v_add_co_u32 v210, vcc_lo, v218, v210
	v_add_co_ci_u32_e64 v211, null, v219, v211, vcc_lo
	s_clause 0x1
	global_load_dword v0, v[210:211], off
	global_load_dword v212, v[218:219], off offset:104
	s_waitcnt vmcnt(1)
	global_store_dword v[218:219], v0, off offset:104
	s_waitcnt vmcnt(0)
	global_store_dword v[210:211], v212, off
.LBB108_560:
	s_or_b32 exec_lo, exec_lo, s7
	v_mov_b32_e32 v236, v230
	v_mov_b32_e32 v0, v230
.LBB108_561:
	s_or_b32 exec_lo, exec_lo, s1
.LBB108_562:
	s_andn2_saveexec_b32 s0, s0
	s_cbranch_execz .LBB108_564
; %bb.563:
	v_mov_b32_e32 v236, 26
	ds_write2_b64 v1, v[110:111], v[112:113] offset0:54 offset1:55
	ds_write2_b64 v1, v[106:107], v[108:109] offset0:56 offset1:57
	;; [unrolled: 1-line block ×28, first 2 shown]
.LBB108_564:
	s_or_b32 exec_lo, exec_lo, s0
	s_mov_b32 s0, exec_lo
	s_waitcnt lgkmcnt(0)
	s_waitcnt_vscnt null, 0x0
	s_barrier
	buffer_gl0_inv
	v_cmpx_lt_i32_e32 26, v236
	s_cbranch_execz .LBB108_566
; %bb.565:
	v_mul_f64 v[210:211], v[224:225], v[116:117]
	v_mul_f64 v[116:117], v[222:223], v[116:117]
	v_fma_f64 v[230:231], v[222:223], v[114:115], -v[210:211]
	v_fma_f64 v[116:117], v[224:225], v[114:115], v[116:117]
	ds_read2_b64 v[222:225], v1 offset0:54 offset1:55
	s_waitcnt lgkmcnt(0)
	v_mul_f64 v[114:115], v[224:225], v[116:117]
	v_mul_f64 v[210:211], v[222:223], v[116:117]
	v_fma_f64 v[114:115], v[222:223], v[230:231], -v[114:115]
	v_fma_f64 v[210:211], v[224:225], v[230:231], v[210:211]
	ds_read2_b64 v[222:225], v1 offset0:56 offset1:57
	v_add_f64 v[110:111], v[110:111], -v[114:115]
	v_add_f64 v[112:113], v[112:113], -v[210:211]
	s_waitcnt lgkmcnt(0)
	v_mul_f64 v[114:115], v[224:225], v[116:117]
	v_mul_f64 v[210:211], v[222:223], v[116:117]
	v_fma_f64 v[114:115], v[222:223], v[230:231], -v[114:115]
	v_fma_f64 v[210:211], v[224:225], v[230:231], v[210:211]
	ds_read2_b64 v[222:225], v1 offset0:58 offset1:59
	v_add_f64 v[106:107], v[106:107], -v[114:115]
	v_add_f64 v[108:109], v[108:109], -v[210:211]
	;; [unrolled: 8-line block ×27, first 2 shown]
	s_waitcnt lgkmcnt(0)
	v_mul_f64 v[114:115], v[224:225], v[116:117]
	v_mul_f64 v[210:211], v[222:223], v[116:117]
	v_fma_f64 v[114:115], v[222:223], v[230:231], -v[114:115]
	v_fma_f64 v[210:211], v[224:225], v[230:231], v[210:211]
	v_add_f64 v[2:3], v[2:3], -v[114:115]
	v_add_f64 v[4:5], v[4:5], -v[210:211]
	v_mov_b32_e32 v114, v230
	v_mov_b32_e32 v115, v231
.LBB108_566:
	s_or_b32 exec_lo, exec_lo, s0
	v_lshl_add_u32 v210, v236, 4, v1
	s_barrier
	buffer_gl0_inv
	v_mov_b32_e32 v230, 27
	ds_write2_b64 v210, v[110:111], v[112:113] offset1:1
	s_waitcnt lgkmcnt(0)
	s_barrier
	buffer_gl0_inv
	ds_read2_b64 v[222:225], v1 offset0:54 offset1:55
	s_cmp_lt_i32 s8, 29
	s_cbranch_scc1 .LBB108_569
; %bb.567:
	v_add3_u32 v231, v253, 0, 0x1c0
	v_mov_b32_e32 v230, 27
	s_mov_b32 s1, 28
	s_inst_prefetch 0x1
	.p2align	6
.LBB108_568:                            ; =>This Inner Loop Header: Depth=1
	s_waitcnt lgkmcnt(0)
	v_cmp_gt_f64_e32 vcc_lo, 0, v[224:225]
	v_cmp_gt_f64_e64 s0, 0, v[222:223]
	ds_read2_b64 v[237:240], v231 offset1:1
	v_xor_b32_e32 v211, 0x80000000, v223
	v_xor_b32_e32 v213, 0x80000000, v225
	v_mov_b32_e32 v210, v222
	v_mov_b32_e32 v212, v224
	v_add_nc_u32_e32 v231, 16, v231
	s_waitcnt lgkmcnt(0)
	v_xor_b32_e32 v215, 0x80000000, v240
	v_cndmask_b32_e64 v211, v223, v211, s0
	v_cndmask_b32_e32 v213, v225, v213, vcc_lo
	v_cmp_gt_f64_e32 vcc_lo, 0, v[239:240]
	v_cmp_gt_f64_e64 s0, 0, v[237:238]
	v_mov_b32_e32 v214, v239
	v_add_f64 v[210:211], v[210:211], v[212:213]
	v_xor_b32_e32 v213, 0x80000000, v238
	v_mov_b32_e32 v212, v237
	v_cndmask_b32_e32 v215, v240, v215, vcc_lo
	v_cndmask_b32_e64 v213, v238, v213, s0
	v_add_f64 v[212:213], v[212:213], v[214:215]
	v_cmp_lt_f64_e32 vcc_lo, v[210:211], v[212:213]
	v_cndmask_b32_e32 v223, v223, v238, vcc_lo
	v_cndmask_b32_e32 v222, v222, v237, vcc_lo
	;; [unrolled: 1-line block ×4, first 2 shown]
	v_cndmask_b32_e64 v230, v230, s1, vcc_lo
	s_add_i32 s1, s1, 1
	s_cmp_lg_u32 s8, s1
	s_cbranch_scc1 .LBB108_568
.LBB108_569:
	s_inst_prefetch 0x2
	s_waitcnt lgkmcnt(0)
	v_cmp_eq_f64_e32 vcc_lo, 0, v[222:223]
	v_cmp_eq_f64_e64 s0, 0, v[224:225]
	s_and_b32 s0, vcc_lo, s0
	s_and_saveexec_b32 s1, s0
	s_xor_b32 s0, exec_lo, s1
; %bb.570:
	v_cmp_ne_u32_e32 vcc_lo, 0, v235
	v_cndmask_b32_e32 v235, 28, v235, vcc_lo
; %bb.571:
	s_andn2_saveexec_b32 s0, s0
	s_cbranch_execz .LBB108_577
; %bb.572:
	v_cmp_ngt_f64_e64 s1, |v[222:223]|, |v[224:225]|
	s_and_saveexec_b32 s7, s1
	s_xor_b32 s1, exec_lo, s7
	s_cbranch_execz .LBB108_574
; %bb.573:
	v_div_scale_f64 v[210:211], null, v[224:225], v[224:225], v[222:223]
	v_div_scale_f64 v[216:217], vcc_lo, v[222:223], v[224:225], v[222:223]
	v_rcp_f64_e32 v[212:213], v[210:211]
	v_fma_f64 v[214:215], -v[210:211], v[212:213], 1.0
	v_fma_f64 v[212:213], v[212:213], v[214:215], v[212:213]
	v_fma_f64 v[214:215], -v[210:211], v[212:213], 1.0
	v_fma_f64 v[212:213], v[212:213], v[214:215], v[212:213]
	v_mul_f64 v[214:215], v[216:217], v[212:213]
	v_fma_f64 v[210:211], -v[210:211], v[214:215], v[216:217]
	v_div_fmas_f64 v[210:211], v[210:211], v[212:213], v[214:215]
	v_div_fixup_f64 v[210:211], v[210:211], v[224:225], v[222:223]
	v_fma_f64 v[212:213], v[222:223], v[210:211], v[224:225]
	v_div_scale_f64 v[214:215], null, v[212:213], v[212:213], 1.0
	v_rcp_f64_e32 v[216:217], v[214:215]
	v_fma_f64 v[222:223], -v[214:215], v[216:217], 1.0
	v_fma_f64 v[216:217], v[216:217], v[222:223], v[216:217]
	v_fma_f64 v[222:223], -v[214:215], v[216:217], 1.0
	v_fma_f64 v[216:217], v[216:217], v[222:223], v[216:217]
	v_div_scale_f64 v[222:223], vcc_lo, 1.0, v[212:213], 1.0
	v_mul_f64 v[224:225], v[222:223], v[216:217]
	v_fma_f64 v[214:215], -v[214:215], v[224:225], v[222:223]
	v_div_fmas_f64 v[214:215], v[214:215], v[216:217], v[224:225]
	v_div_fixup_f64 v[224:225], v[214:215], v[212:213], 1.0
	v_mul_f64 v[222:223], v[210:211], v[224:225]
	v_xor_b32_e32 v225, 0x80000000, v225
.LBB108_574:
	s_andn2_saveexec_b32 s1, s1
	s_cbranch_execz .LBB108_576
; %bb.575:
	v_div_scale_f64 v[210:211], null, v[222:223], v[222:223], v[224:225]
	v_div_scale_f64 v[216:217], vcc_lo, v[224:225], v[222:223], v[224:225]
	v_rcp_f64_e32 v[212:213], v[210:211]
	v_fma_f64 v[214:215], -v[210:211], v[212:213], 1.0
	v_fma_f64 v[212:213], v[212:213], v[214:215], v[212:213]
	v_fma_f64 v[214:215], -v[210:211], v[212:213], 1.0
	v_fma_f64 v[212:213], v[212:213], v[214:215], v[212:213]
	v_mul_f64 v[214:215], v[216:217], v[212:213]
	v_fma_f64 v[210:211], -v[210:211], v[214:215], v[216:217]
	v_div_fmas_f64 v[210:211], v[210:211], v[212:213], v[214:215]
	v_div_fixup_f64 v[210:211], v[210:211], v[222:223], v[224:225]
	v_fma_f64 v[212:213], v[224:225], v[210:211], v[222:223]
	v_div_scale_f64 v[214:215], null, v[212:213], v[212:213], 1.0
	v_rcp_f64_e32 v[216:217], v[214:215]
	v_fma_f64 v[222:223], -v[214:215], v[216:217], 1.0
	v_fma_f64 v[216:217], v[216:217], v[222:223], v[216:217]
	v_fma_f64 v[222:223], -v[214:215], v[216:217], 1.0
	v_fma_f64 v[216:217], v[216:217], v[222:223], v[216:217]
	v_div_scale_f64 v[222:223], vcc_lo, 1.0, v[212:213], 1.0
	v_mul_f64 v[224:225], v[222:223], v[216:217]
	v_fma_f64 v[214:215], -v[214:215], v[224:225], v[222:223]
	v_div_fmas_f64 v[214:215], v[214:215], v[216:217], v[224:225]
	v_div_fixup_f64 v[222:223], v[214:215], v[212:213], 1.0
	v_mul_f64 v[224:225], v[210:211], -v[222:223]
.LBB108_576:
	s_or_b32 exec_lo, exec_lo, s1
.LBB108_577:
	s_or_b32 exec_lo, exec_lo, s0
	s_mov_b32 s0, exec_lo
	v_cmpx_ne_u32_e64 v236, v230
	s_xor_b32 s0, exec_lo, s0
	s_cbranch_execz .LBB108_583
; %bb.578:
	s_mov_b32 s1, exec_lo
	v_cmpx_eq_u32_e32 27, v236
	s_cbranch_execz .LBB108_582
; %bb.579:
	v_cmp_ne_u32_e32 vcc_lo, 27, v230
	s_xor_b32 s7, s16, -1
	s_and_b32 s9, s7, vcc_lo
	s_and_saveexec_b32 s7, s9
	s_cbranch_execz .LBB108_581
; %bb.580:
	v_ashrrev_i32_e32 v231, 31, v230
	v_lshlrev_b64 v[210:211], 2, v[230:231]
	v_add_co_u32 v210, vcc_lo, v218, v210
	v_add_co_ci_u32_e64 v211, null, v219, v211, vcc_lo
	s_clause 0x1
	global_load_dword v0, v[210:211], off
	global_load_dword v212, v[218:219], off offset:108
	s_waitcnt vmcnt(1)
	global_store_dword v[218:219], v0, off offset:108
	s_waitcnt vmcnt(0)
	global_store_dword v[210:211], v212, off
.LBB108_581:
	s_or_b32 exec_lo, exec_lo, s7
	v_mov_b32_e32 v236, v230
	v_mov_b32_e32 v0, v230
.LBB108_582:
	s_or_b32 exec_lo, exec_lo, s1
.LBB108_583:
	s_andn2_saveexec_b32 s0, s0
	s_cbranch_execz .LBB108_585
; %bb.584:
	v_mov_b32_e32 v236, 27
	ds_write2_b64 v1, v[106:107], v[108:109] offset0:56 offset1:57
	ds_write2_b64 v1, v[102:103], v[104:105] offset0:58 offset1:59
	;; [unrolled: 1-line block ×27, first 2 shown]
.LBB108_585:
	s_or_b32 exec_lo, exec_lo, s0
	s_mov_b32 s0, exec_lo
	s_waitcnt lgkmcnt(0)
	s_waitcnt_vscnt null, 0x0
	s_barrier
	buffer_gl0_inv
	v_cmpx_lt_i32_e32 27, v236
	s_cbranch_execz .LBB108_587
; %bb.586:
	v_mul_f64 v[210:211], v[224:225], v[112:113]
	v_mul_f64 v[112:113], v[222:223], v[112:113]
	v_fma_f64 v[230:231], v[222:223], v[110:111], -v[210:211]
	v_fma_f64 v[112:113], v[224:225], v[110:111], v[112:113]
	ds_read2_b64 v[222:225], v1 offset0:56 offset1:57
	s_waitcnt lgkmcnt(0)
	v_mul_f64 v[110:111], v[224:225], v[112:113]
	v_mul_f64 v[210:211], v[222:223], v[112:113]
	v_fma_f64 v[110:111], v[222:223], v[230:231], -v[110:111]
	v_fma_f64 v[210:211], v[224:225], v[230:231], v[210:211]
	ds_read2_b64 v[222:225], v1 offset0:58 offset1:59
	v_add_f64 v[106:107], v[106:107], -v[110:111]
	v_add_f64 v[108:109], v[108:109], -v[210:211]
	s_waitcnt lgkmcnt(0)
	v_mul_f64 v[110:111], v[224:225], v[112:113]
	v_mul_f64 v[210:211], v[222:223], v[112:113]
	v_fma_f64 v[110:111], v[222:223], v[230:231], -v[110:111]
	v_fma_f64 v[210:211], v[224:225], v[230:231], v[210:211]
	ds_read2_b64 v[222:225], v1 offset0:60 offset1:61
	v_add_f64 v[102:103], v[102:103], -v[110:111]
	v_add_f64 v[104:105], v[104:105], -v[210:211]
	;; [unrolled: 8-line block ×26, first 2 shown]
	s_waitcnt lgkmcnt(0)
	v_mul_f64 v[110:111], v[224:225], v[112:113]
	v_mul_f64 v[210:211], v[222:223], v[112:113]
	v_fma_f64 v[110:111], v[222:223], v[230:231], -v[110:111]
	v_fma_f64 v[210:211], v[224:225], v[230:231], v[210:211]
	v_add_f64 v[2:3], v[2:3], -v[110:111]
	v_add_f64 v[4:5], v[4:5], -v[210:211]
	v_mov_b32_e32 v110, v230
	v_mov_b32_e32 v111, v231
.LBB108_587:
	s_or_b32 exec_lo, exec_lo, s0
	v_lshl_add_u32 v210, v236, 4, v1
	s_barrier
	buffer_gl0_inv
	v_mov_b32_e32 v230, 28
	ds_write2_b64 v210, v[106:107], v[108:109] offset1:1
	s_waitcnt lgkmcnt(0)
	s_barrier
	buffer_gl0_inv
	ds_read2_b64 v[222:225], v1 offset0:56 offset1:57
	s_cmp_lt_i32 s8, 30
	s_cbranch_scc1 .LBB108_590
; %bb.588:
	v_add3_u32 v231, v253, 0, 0x1d0
	v_mov_b32_e32 v230, 28
	s_mov_b32 s1, 29
	s_inst_prefetch 0x1
	.p2align	6
.LBB108_589:                            ; =>This Inner Loop Header: Depth=1
	s_waitcnt lgkmcnt(0)
	v_cmp_gt_f64_e32 vcc_lo, 0, v[224:225]
	v_cmp_gt_f64_e64 s0, 0, v[222:223]
	ds_read2_b64 v[237:240], v231 offset1:1
	v_xor_b32_e32 v211, 0x80000000, v223
	v_xor_b32_e32 v213, 0x80000000, v225
	v_mov_b32_e32 v210, v222
	v_mov_b32_e32 v212, v224
	v_add_nc_u32_e32 v231, 16, v231
	s_waitcnt lgkmcnt(0)
	v_xor_b32_e32 v215, 0x80000000, v240
	v_cndmask_b32_e64 v211, v223, v211, s0
	v_cndmask_b32_e32 v213, v225, v213, vcc_lo
	v_cmp_gt_f64_e32 vcc_lo, 0, v[239:240]
	v_cmp_gt_f64_e64 s0, 0, v[237:238]
	v_mov_b32_e32 v214, v239
	v_add_f64 v[210:211], v[210:211], v[212:213]
	v_xor_b32_e32 v213, 0x80000000, v238
	v_mov_b32_e32 v212, v237
	v_cndmask_b32_e32 v215, v240, v215, vcc_lo
	v_cndmask_b32_e64 v213, v238, v213, s0
	v_add_f64 v[212:213], v[212:213], v[214:215]
	v_cmp_lt_f64_e32 vcc_lo, v[210:211], v[212:213]
	v_cndmask_b32_e32 v223, v223, v238, vcc_lo
	v_cndmask_b32_e32 v222, v222, v237, vcc_lo
	;; [unrolled: 1-line block ×4, first 2 shown]
	v_cndmask_b32_e64 v230, v230, s1, vcc_lo
	s_add_i32 s1, s1, 1
	s_cmp_lg_u32 s8, s1
	s_cbranch_scc1 .LBB108_589
.LBB108_590:
	s_inst_prefetch 0x2
	s_waitcnt lgkmcnt(0)
	v_cmp_eq_f64_e32 vcc_lo, 0, v[222:223]
	v_cmp_eq_f64_e64 s0, 0, v[224:225]
	s_and_b32 s0, vcc_lo, s0
	s_and_saveexec_b32 s1, s0
	s_xor_b32 s0, exec_lo, s1
; %bb.591:
	v_cmp_ne_u32_e32 vcc_lo, 0, v235
	v_cndmask_b32_e32 v235, 29, v235, vcc_lo
; %bb.592:
	s_andn2_saveexec_b32 s0, s0
	s_cbranch_execz .LBB108_598
; %bb.593:
	v_cmp_ngt_f64_e64 s1, |v[222:223]|, |v[224:225]|
	s_and_saveexec_b32 s7, s1
	s_xor_b32 s1, exec_lo, s7
	s_cbranch_execz .LBB108_595
; %bb.594:
	v_div_scale_f64 v[210:211], null, v[224:225], v[224:225], v[222:223]
	v_div_scale_f64 v[216:217], vcc_lo, v[222:223], v[224:225], v[222:223]
	v_rcp_f64_e32 v[212:213], v[210:211]
	v_fma_f64 v[214:215], -v[210:211], v[212:213], 1.0
	v_fma_f64 v[212:213], v[212:213], v[214:215], v[212:213]
	v_fma_f64 v[214:215], -v[210:211], v[212:213], 1.0
	v_fma_f64 v[212:213], v[212:213], v[214:215], v[212:213]
	v_mul_f64 v[214:215], v[216:217], v[212:213]
	v_fma_f64 v[210:211], -v[210:211], v[214:215], v[216:217]
	v_div_fmas_f64 v[210:211], v[210:211], v[212:213], v[214:215]
	v_div_fixup_f64 v[210:211], v[210:211], v[224:225], v[222:223]
	v_fma_f64 v[212:213], v[222:223], v[210:211], v[224:225]
	v_div_scale_f64 v[214:215], null, v[212:213], v[212:213], 1.0
	v_rcp_f64_e32 v[216:217], v[214:215]
	v_fma_f64 v[222:223], -v[214:215], v[216:217], 1.0
	v_fma_f64 v[216:217], v[216:217], v[222:223], v[216:217]
	v_fma_f64 v[222:223], -v[214:215], v[216:217], 1.0
	v_fma_f64 v[216:217], v[216:217], v[222:223], v[216:217]
	v_div_scale_f64 v[222:223], vcc_lo, 1.0, v[212:213], 1.0
	v_mul_f64 v[224:225], v[222:223], v[216:217]
	v_fma_f64 v[214:215], -v[214:215], v[224:225], v[222:223]
	v_div_fmas_f64 v[214:215], v[214:215], v[216:217], v[224:225]
	v_div_fixup_f64 v[224:225], v[214:215], v[212:213], 1.0
	v_mul_f64 v[222:223], v[210:211], v[224:225]
	v_xor_b32_e32 v225, 0x80000000, v225
.LBB108_595:
	s_andn2_saveexec_b32 s1, s1
	s_cbranch_execz .LBB108_597
; %bb.596:
	v_div_scale_f64 v[210:211], null, v[222:223], v[222:223], v[224:225]
	v_div_scale_f64 v[216:217], vcc_lo, v[224:225], v[222:223], v[224:225]
	v_rcp_f64_e32 v[212:213], v[210:211]
	v_fma_f64 v[214:215], -v[210:211], v[212:213], 1.0
	v_fma_f64 v[212:213], v[212:213], v[214:215], v[212:213]
	v_fma_f64 v[214:215], -v[210:211], v[212:213], 1.0
	v_fma_f64 v[212:213], v[212:213], v[214:215], v[212:213]
	v_mul_f64 v[214:215], v[216:217], v[212:213]
	v_fma_f64 v[210:211], -v[210:211], v[214:215], v[216:217]
	v_div_fmas_f64 v[210:211], v[210:211], v[212:213], v[214:215]
	v_div_fixup_f64 v[210:211], v[210:211], v[222:223], v[224:225]
	v_fma_f64 v[212:213], v[224:225], v[210:211], v[222:223]
	v_div_scale_f64 v[214:215], null, v[212:213], v[212:213], 1.0
	v_rcp_f64_e32 v[216:217], v[214:215]
	v_fma_f64 v[222:223], -v[214:215], v[216:217], 1.0
	v_fma_f64 v[216:217], v[216:217], v[222:223], v[216:217]
	v_fma_f64 v[222:223], -v[214:215], v[216:217], 1.0
	v_fma_f64 v[216:217], v[216:217], v[222:223], v[216:217]
	v_div_scale_f64 v[222:223], vcc_lo, 1.0, v[212:213], 1.0
	v_mul_f64 v[224:225], v[222:223], v[216:217]
	v_fma_f64 v[214:215], -v[214:215], v[224:225], v[222:223]
	v_div_fmas_f64 v[214:215], v[214:215], v[216:217], v[224:225]
	v_div_fixup_f64 v[222:223], v[214:215], v[212:213], 1.0
	v_mul_f64 v[224:225], v[210:211], -v[222:223]
.LBB108_597:
	s_or_b32 exec_lo, exec_lo, s1
.LBB108_598:
	s_or_b32 exec_lo, exec_lo, s0
	s_mov_b32 s0, exec_lo
	v_cmpx_ne_u32_e64 v236, v230
	s_xor_b32 s0, exec_lo, s0
	s_cbranch_execz .LBB108_604
; %bb.599:
	s_mov_b32 s1, exec_lo
	v_cmpx_eq_u32_e32 28, v236
	s_cbranch_execz .LBB108_603
; %bb.600:
	v_cmp_ne_u32_e32 vcc_lo, 28, v230
	s_xor_b32 s7, s16, -1
	s_and_b32 s9, s7, vcc_lo
	s_and_saveexec_b32 s7, s9
	s_cbranch_execz .LBB108_602
; %bb.601:
	v_ashrrev_i32_e32 v231, 31, v230
	v_lshlrev_b64 v[210:211], 2, v[230:231]
	v_add_co_u32 v210, vcc_lo, v218, v210
	v_add_co_ci_u32_e64 v211, null, v219, v211, vcc_lo
	s_clause 0x1
	global_load_dword v0, v[210:211], off
	global_load_dword v212, v[218:219], off offset:112
	s_waitcnt vmcnt(1)
	global_store_dword v[218:219], v0, off offset:112
	s_waitcnt vmcnt(0)
	global_store_dword v[210:211], v212, off
.LBB108_602:
	s_or_b32 exec_lo, exec_lo, s7
	v_mov_b32_e32 v236, v230
	v_mov_b32_e32 v0, v230
.LBB108_603:
	s_or_b32 exec_lo, exec_lo, s1
.LBB108_604:
	s_andn2_saveexec_b32 s0, s0
	s_cbranch_execz .LBB108_606
; %bb.605:
	v_mov_b32_e32 v236, 28
	ds_write2_b64 v1, v[102:103], v[104:105] offset0:58 offset1:59
	ds_write2_b64 v1, v[98:99], v[100:101] offset0:60 offset1:61
	;; [unrolled: 1-line block ×26, first 2 shown]
.LBB108_606:
	s_or_b32 exec_lo, exec_lo, s0
	s_mov_b32 s0, exec_lo
	s_waitcnt lgkmcnt(0)
	s_waitcnt_vscnt null, 0x0
	s_barrier
	buffer_gl0_inv
	v_cmpx_lt_i32_e32 28, v236
	s_cbranch_execz .LBB108_608
; %bb.607:
	v_mul_f64 v[210:211], v[224:225], v[108:109]
	v_mul_f64 v[108:109], v[222:223], v[108:109]
	v_fma_f64 v[230:231], v[222:223], v[106:107], -v[210:211]
	v_fma_f64 v[108:109], v[224:225], v[106:107], v[108:109]
	ds_read2_b64 v[222:225], v1 offset0:58 offset1:59
	s_waitcnt lgkmcnt(0)
	v_mul_f64 v[106:107], v[224:225], v[108:109]
	v_mul_f64 v[210:211], v[222:223], v[108:109]
	v_fma_f64 v[106:107], v[222:223], v[230:231], -v[106:107]
	v_fma_f64 v[210:211], v[224:225], v[230:231], v[210:211]
	ds_read2_b64 v[222:225], v1 offset0:60 offset1:61
	v_add_f64 v[102:103], v[102:103], -v[106:107]
	v_add_f64 v[104:105], v[104:105], -v[210:211]
	s_waitcnt lgkmcnt(0)
	v_mul_f64 v[106:107], v[224:225], v[108:109]
	v_mul_f64 v[210:211], v[222:223], v[108:109]
	v_fma_f64 v[106:107], v[222:223], v[230:231], -v[106:107]
	v_fma_f64 v[210:211], v[224:225], v[230:231], v[210:211]
	ds_read2_b64 v[222:225], v1 offset0:62 offset1:63
	v_add_f64 v[98:99], v[98:99], -v[106:107]
	v_add_f64 v[100:101], v[100:101], -v[210:211]
	;; [unrolled: 8-line block ×25, first 2 shown]
	s_waitcnt lgkmcnt(0)
	v_mul_f64 v[106:107], v[224:225], v[108:109]
	v_mul_f64 v[210:211], v[222:223], v[108:109]
	v_fma_f64 v[106:107], v[222:223], v[230:231], -v[106:107]
	v_fma_f64 v[210:211], v[224:225], v[230:231], v[210:211]
	v_add_f64 v[2:3], v[2:3], -v[106:107]
	v_add_f64 v[4:5], v[4:5], -v[210:211]
	v_mov_b32_e32 v106, v230
	v_mov_b32_e32 v107, v231
.LBB108_608:
	s_or_b32 exec_lo, exec_lo, s0
	v_lshl_add_u32 v210, v236, 4, v1
	s_barrier
	buffer_gl0_inv
	v_mov_b32_e32 v230, 29
	ds_write2_b64 v210, v[102:103], v[104:105] offset1:1
	s_waitcnt lgkmcnt(0)
	s_barrier
	buffer_gl0_inv
	ds_read2_b64 v[222:225], v1 offset0:58 offset1:59
	s_cmp_lt_i32 s8, 31
	s_cbranch_scc1 .LBB108_611
; %bb.609:
	v_add3_u32 v231, v253, 0, 0x1e0
	v_mov_b32_e32 v230, 29
	s_mov_b32 s1, 30
	s_inst_prefetch 0x1
	.p2align	6
.LBB108_610:                            ; =>This Inner Loop Header: Depth=1
	s_waitcnt lgkmcnt(0)
	v_cmp_gt_f64_e32 vcc_lo, 0, v[224:225]
	v_cmp_gt_f64_e64 s0, 0, v[222:223]
	ds_read2_b64 v[237:240], v231 offset1:1
	v_xor_b32_e32 v211, 0x80000000, v223
	v_xor_b32_e32 v213, 0x80000000, v225
	v_mov_b32_e32 v210, v222
	v_mov_b32_e32 v212, v224
	v_add_nc_u32_e32 v231, 16, v231
	s_waitcnt lgkmcnt(0)
	v_xor_b32_e32 v215, 0x80000000, v240
	v_cndmask_b32_e64 v211, v223, v211, s0
	v_cndmask_b32_e32 v213, v225, v213, vcc_lo
	v_cmp_gt_f64_e32 vcc_lo, 0, v[239:240]
	v_cmp_gt_f64_e64 s0, 0, v[237:238]
	v_mov_b32_e32 v214, v239
	v_add_f64 v[210:211], v[210:211], v[212:213]
	v_xor_b32_e32 v213, 0x80000000, v238
	v_mov_b32_e32 v212, v237
	v_cndmask_b32_e32 v215, v240, v215, vcc_lo
	v_cndmask_b32_e64 v213, v238, v213, s0
	v_add_f64 v[212:213], v[212:213], v[214:215]
	v_cmp_lt_f64_e32 vcc_lo, v[210:211], v[212:213]
	v_cndmask_b32_e32 v223, v223, v238, vcc_lo
	v_cndmask_b32_e32 v222, v222, v237, vcc_lo
	;; [unrolled: 1-line block ×4, first 2 shown]
	v_cndmask_b32_e64 v230, v230, s1, vcc_lo
	s_add_i32 s1, s1, 1
	s_cmp_lg_u32 s8, s1
	s_cbranch_scc1 .LBB108_610
.LBB108_611:
	s_inst_prefetch 0x2
	s_waitcnt lgkmcnt(0)
	v_cmp_eq_f64_e32 vcc_lo, 0, v[222:223]
	v_cmp_eq_f64_e64 s0, 0, v[224:225]
	s_and_b32 s0, vcc_lo, s0
	s_and_saveexec_b32 s1, s0
	s_xor_b32 s0, exec_lo, s1
; %bb.612:
	v_cmp_ne_u32_e32 vcc_lo, 0, v235
	v_cndmask_b32_e32 v235, 30, v235, vcc_lo
; %bb.613:
	s_andn2_saveexec_b32 s0, s0
	s_cbranch_execz .LBB108_619
; %bb.614:
	v_cmp_ngt_f64_e64 s1, |v[222:223]|, |v[224:225]|
	s_and_saveexec_b32 s7, s1
	s_xor_b32 s1, exec_lo, s7
	s_cbranch_execz .LBB108_616
; %bb.615:
	v_div_scale_f64 v[210:211], null, v[224:225], v[224:225], v[222:223]
	v_div_scale_f64 v[216:217], vcc_lo, v[222:223], v[224:225], v[222:223]
	v_rcp_f64_e32 v[212:213], v[210:211]
	v_fma_f64 v[214:215], -v[210:211], v[212:213], 1.0
	v_fma_f64 v[212:213], v[212:213], v[214:215], v[212:213]
	v_fma_f64 v[214:215], -v[210:211], v[212:213], 1.0
	v_fma_f64 v[212:213], v[212:213], v[214:215], v[212:213]
	v_mul_f64 v[214:215], v[216:217], v[212:213]
	v_fma_f64 v[210:211], -v[210:211], v[214:215], v[216:217]
	v_div_fmas_f64 v[210:211], v[210:211], v[212:213], v[214:215]
	v_div_fixup_f64 v[210:211], v[210:211], v[224:225], v[222:223]
	v_fma_f64 v[212:213], v[222:223], v[210:211], v[224:225]
	v_div_scale_f64 v[214:215], null, v[212:213], v[212:213], 1.0
	v_rcp_f64_e32 v[216:217], v[214:215]
	v_fma_f64 v[222:223], -v[214:215], v[216:217], 1.0
	v_fma_f64 v[216:217], v[216:217], v[222:223], v[216:217]
	v_fma_f64 v[222:223], -v[214:215], v[216:217], 1.0
	v_fma_f64 v[216:217], v[216:217], v[222:223], v[216:217]
	v_div_scale_f64 v[222:223], vcc_lo, 1.0, v[212:213], 1.0
	v_mul_f64 v[224:225], v[222:223], v[216:217]
	v_fma_f64 v[214:215], -v[214:215], v[224:225], v[222:223]
	v_div_fmas_f64 v[214:215], v[214:215], v[216:217], v[224:225]
	v_div_fixup_f64 v[224:225], v[214:215], v[212:213], 1.0
	v_mul_f64 v[222:223], v[210:211], v[224:225]
	v_xor_b32_e32 v225, 0x80000000, v225
.LBB108_616:
	s_andn2_saveexec_b32 s1, s1
	s_cbranch_execz .LBB108_618
; %bb.617:
	v_div_scale_f64 v[210:211], null, v[222:223], v[222:223], v[224:225]
	v_div_scale_f64 v[216:217], vcc_lo, v[224:225], v[222:223], v[224:225]
	v_rcp_f64_e32 v[212:213], v[210:211]
	v_fma_f64 v[214:215], -v[210:211], v[212:213], 1.0
	v_fma_f64 v[212:213], v[212:213], v[214:215], v[212:213]
	v_fma_f64 v[214:215], -v[210:211], v[212:213], 1.0
	v_fma_f64 v[212:213], v[212:213], v[214:215], v[212:213]
	v_mul_f64 v[214:215], v[216:217], v[212:213]
	v_fma_f64 v[210:211], -v[210:211], v[214:215], v[216:217]
	v_div_fmas_f64 v[210:211], v[210:211], v[212:213], v[214:215]
	v_div_fixup_f64 v[210:211], v[210:211], v[222:223], v[224:225]
	v_fma_f64 v[212:213], v[224:225], v[210:211], v[222:223]
	v_div_scale_f64 v[214:215], null, v[212:213], v[212:213], 1.0
	v_rcp_f64_e32 v[216:217], v[214:215]
	v_fma_f64 v[222:223], -v[214:215], v[216:217], 1.0
	v_fma_f64 v[216:217], v[216:217], v[222:223], v[216:217]
	v_fma_f64 v[222:223], -v[214:215], v[216:217], 1.0
	v_fma_f64 v[216:217], v[216:217], v[222:223], v[216:217]
	v_div_scale_f64 v[222:223], vcc_lo, 1.0, v[212:213], 1.0
	v_mul_f64 v[224:225], v[222:223], v[216:217]
	v_fma_f64 v[214:215], -v[214:215], v[224:225], v[222:223]
	v_div_fmas_f64 v[214:215], v[214:215], v[216:217], v[224:225]
	v_div_fixup_f64 v[222:223], v[214:215], v[212:213], 1.0
	v_mul_f64 v[224:225], v[210:211], -v[222:223]
.LBB108_618:
	s_or_b32 exec_lo, exec_lo, s1
.LBB108_619:
	s_or_b32 exec_lo, exec_lo, s0
	s_mov_b32 s0, exec_lo
	v_cmpx_ne_u32_e64 v236, v230
	s_xor_b32 s0, exec_lo, s0
	s_cbranch_execz .LBB108_625
; %bb.620:
	s_mov_b32 s1, exec_lo
	v_cmpx_eq_u32_e32 29, v236
	s_cbranch_execz .LBB108_624
; %bb.621:
	v_cmp_ne_u32_e32 vcc_lo, 29, v230
	s_xor_b32 s7, s16, -1
	s_and_b32 s9, s7, vcc_lo
	s_and_saveexec_b32 s7, s9
	s_cbranch_execz .LBB108_623
; %bb.622:
	v_ashrrev_i32_e32 v231, 31, v230
	v_lshlrev_b64 v[210:211], 2, v[230:231]
	v_add_co_u32 v210, vcc_lo, v218, v210
	v_add_co_ci_u32_e64 v211, null, v219, v211, vcc_lo
	s_clause 0x1
	global_load_dword v0, v[210:211], off
	global_load_dword v212, v[218:219], off offset:116
	s_waitcnt vmcnt(1)
	global_store_dword v[218:219], v0, off offset:116
	s_waitcnt vmcnt(0)
	global_store_dword v[210:211], v212, off
.LBB108_623:
	s_or_b32 exec_lo, exec_lo, s7
	v_mov_b32_e32 v236, v230
	v_mov_b32_e32 v0, v230
.LBB108_624:
	s_or_b32 exec_lo, exec_lo, s1
.LBB108_625:
	s_andn2_saveexec_b32 s0, s0
	s_cbranch_execz .LBB108_627
; %bb.626:
	v_mov_b32_e32 v236, 29
	ds_write2_b64 v1, v[98:99], v[100:101] offset0:60 offset1:61
	ds_write2_b64 v1, v[94:95], v[96:97] offset0:62 offset1:63
	;; [unrolled: 1-line block ×25, first 2 shown]
.LBB108_627:
	s_or_b32 exec_lo, exec_lo, s0
	s_mov_b32 s0, exec_lo
	s_waitcnt lgkmcnt(0)
	s_waitcnt_vscnt null, 0x0
	s_barrier
	buffer_gl0_inv
	v_cmpx_lt_i32_e32 29, v236
	s_cbranch_execz .LBB108_629
; %bb.628:
	v_mul_f64 v[210:211], v[224:225], v[104:105]
	v_mul_f64 v[104:105], v[222:223], v[104:105]
	v_fma_f64 v[230:231], v[222:223], v[102:103], -v[210:211]
	v_fma_f64 v[104:105], v[224:225], v[102:103], v[104:105]
	ds_read2_b64 v[222:225], v1 offset0:60 offset1:61
	s_waitcnt lgkmcnt(0)
	v_mul_f64 v[102:103], v[224:225], v[104:105]
	v_mul_f64 v[210:211], v[222:223], v[104:105]
	v_fma_f64 v[102:103], v[222:223], v[230:231], -v[102:103]
	v_fma_f64 v[210:211], v[224:225], v[230:231], v[210:211]
	ds_read2_b64 v[222:225], v1 offset0:62 offset1:63
	v_add_f64 v[98:99], v[98:99], -v[102:103]
	v_add_f64 v[100:101], v[100:101], -v[210:211]
	s_waitcnt lgkmcnt(0)
	v_mul_f64 v[102:103], v[224:225], v[104:105]
	v_mul_f64 v[210:211], v[222:223], v[104:105]
	v_fma_f64 v[102:103], v[222:223], v[230:231], -v[102:103]
	v_fma_f64 v[210:211], v[224:225], v[230:231], v[210:211]
	ds_read2_b64 v[222:225], v1 offset0:64 offset1:65
	v_add_f64 v[94:95], v[94:95], -v[102:103]
	v_add_f64 v[96:97], v[96:97], -v[210:211]
	;; [unrolled: 8-line block ×24, first 2 shown]
	s_waitcnt lgkmcnt(0)
	v_mul_f64 v[102:103], v[224:225], v[104:105]
	v_mul_f64 v[210:211], v[222:223], v[104:105]
	v_fma_f64 v[102:103], v[222:223], v[230:231], -v[102:103]
	v_fma_f64 v[210:211], v[224:225], v[230:231], v[210:211]
	v_add_f64 v[2:3], v[2:3], -v[102:103]
	v_add_f64 v[4:5], v[4:5], -v[210:211]
	v_mov_b32_e32 v102, v230
	v_mov_b32_e32 v103, v231
.LBB108_629:
	s_or_b32 exec_lo, exec_lo, s0
	v_lshl_add_u32 v210, v236, 4, v1
	s_barrier
	buffer_gl0_inv
	v_mov_b32_e32 v230, 30
	ds_write2_b64 v210, v[98:99], v[100:101] offset1:1
	s_waitcnt lgkmcnt(0)
	s_barrier
	buffer_gl0_inv
	ds_read2_b64 v[222:225], v1 offset0:60 offset1:61
	s_cmp_lt_i32 s8, 32
	s_cbranch_scc1 .LBB108_632
; %bb.630:
	v_add3_u32 v231, v253, 0, 0x1f0
	v_mov_b32_e32 v230, 30
	s_mov_b32 s1, 31
	s_inst_prefetch 0x1
	.p2align	6
.LBB108_631:                            ; =>This Inner Loop Header: Depth=1
	s_waitcnt lgkmcnt(0)
	v_cmp_gt_f64_e32 vcc_lo, 0, v[224:225]
	v_cmp_gt_f64_e64 s0, 0, v[222:223]
	ds_read2_b64 v[237:240], v231 offset1:1
	v_xor_b32_e32 v211, 0x80000000, v223
	v_xor_b32_e32 v213, 0x80000000, v225
	v_mov_b32_e32 v210, v222
	v_mov_b32_e32 v212, v224
	v_add_nc_u32_e32 v231, 16, v231
	s_waitcnt lgkmcnt(0)
	v_xor_b32_e32 v215, 0x80000000, v240
	v_cndmask_b32_e64 v211, v223, v211, s0
	v_cndmask_b32_e32 v213, v225, v213, vcc_lo
	v_cmp_gt_f64_e32 vcc_lo, 0, v[239:240]
	v_cmp_gt_f64_e64 s0, 0, v[237:238]
	v_mov_b32_e32 v214, v239
	v_add_f64 v[210:211], v[210:211], v[212:213]
	v_xor_b32_e32 v213, 0x80000000, v238
	v_mov_b32_e32 v212, v237
	v_cndmask_b32_e32 v215, v240, v215, vcc_lo
	v_cndmask_b32_e64 v213, v238, v213, s0
	v_add_f64 v[212:213], v[212:213], v[214:215]
	v_cmp_lt_f64_e32 vcc_lo, v[210:211], v[212:213]
	v_cndmask_b32_e32 v223, v223, v238, vcc_lo
	v_cndmask_b32_e32 v222, v222, v237, vcc_lo
	;; [unrolled: 1-line block ×4, first 2 shown]
	v_cndmask_b32_e64 v230, v230, s1, vcc_lo
	s_add_i32 s1, s1, 1
	s_cmp_lg_u32 s8, s1
	s_cbranch_scc1 .LBB108_631
.LBB108_632:
	s_inst_prefetch 0x2
	s_waitcnt lgkmcnt(0)
	v_cmp_eq_f64_e32 vcc_lo, 0, v[222:223]
	v_cmp_eq_f64_e64 s0, 0, v[224:225]
	s_and_b32 s0, vcc_lo, s0
	s_and_saveexec_b32 s1, s0
	s_xor_b32 s0, exec_lo, s1
; %bb.633:
	v_cmp_ne_u32_e32 vcc_lo, 0, v235
	v_cndmask_b32_e32 v235, 31, v235, vcc_lo
; %bb.634:
	s_andn2_saveexec_b32 s0, s0
	s_cbranch_execz .LBB108_640
; %bb.635:
	v_cmp_ngt_f64_e64 s1, |v[222:223]|, |v[224:225]|
	s_and_saveexec_b32 s7, s1
	s_xor_b32 s1, exec_lo, s7
	s_cbranch_execz .LBB108_637
; %bb.636:
	v_div_scale_f64 v[210:211], null, v[224:225], v[224:225], v[222:223]
	v_div_scale_f64 v[216:217], vcc_lo, v[222:223], v[224:225], v[222:223]
	v_rcp_f64_e32 v[212:213], v[210:211]
	v_fma_f64 v[214:215], -v[210:211], v[212:213], 1.0
	v_fma_f64 v[212:213], v[212:213], v[214:215], v[212:213]
	v_fma_f64 v[214:215], -v[210:211], v[212:213], 1.0
	v_fma_f64 v[212:213], v[212:213], v[214:215], v[212:213]
	v_mul_f64 v[214:215], v[216:217], v[212:213]
	v_fma_f64 v[210:211], -v[210:211], v[214:215], v[216:217]
	v_div_fmas_f64 v[210:211], v[210:211], v[212:213], v[214:215]
	v_div_fixup_f64 v[210:211], v[210:211], v[224:225], v[222:223]
	v_fma_f64 v[212:213], v[222:223], v[210:211], v[224:225]
	v_div_scale_f64 v[214:215], null, v[212:213], v[212:213], 1.0
	v_rcp_f64_e32 v[216:217], v[214:215]
	v_fma_f64 v[222:223], -v[214:215], v[216:217], 1.0
	v_fma_f64 v[216:217], v[216:217], v[222:223], v[216:217]
	v_fma_f64 v[222:223], -v[214:215], v[216:217], 1.0
	v_fma_f64 v[216:217], v[216:217], v[222:223], v[216:217]
	v_div_scale_f64 v[222:223], vcc_lo, 1.0, v[212:213], 1.0
	v_mul_f64 v[224:225], v[222:223], v[216:217]
	v_fma_f64 v[214:215], -v[214:215], v[224:225], v[222:223]
	v_div_fmas_f64 v[214:215], v[214:215], v[216:217], v[224:225]
	v_div_fixup_f64 v[224:225], v[214:215], v[212:213], 1.0
	v_mul_f64 v[222:223], v[210:211], v[224:225]
	v_xor_b32_e32 v225, 0x80000000, v225
.LBB108_637:
	s_andn2_saveexec_b32 s1, s1
	s_cbranch_execz .LBB108_639
; %bb.638:
	v_div_scale_f64 v[210:211], null, v[222:223], v[222:223], v[224:225]
	v_div_scale_f64 v[216:217], vcc_lo, v[224:225], v[222:223], v[224:225]
	v_rcp_f64_e32 v[212:213], v[210:211]
	v_fma_f64 v[214:215], -v[210:211], v[212:213], 1.0
	v_fma_f64 v[212:213], v[212:213], v[214:215], v[212:213]
	v_fma_f64 v[214:215], -v[210:211], v[212:213], 1.0
	v_fma_f64 v[212:213], v[212:213], v[214:215], v[212:213]
	v_mul_f64 v[214:215], v[216:217], v[212:213]
	v_fma_f64 v[210:211], -v[210:211], v[214:215], v[216:217]
	v_div_fmas_f64 v[210:211], v[210:211], v[212:213], v[214:215]
	v_div_fixup_f64 v[210:211], v[210:211], v[222:223], v[224:225]
	v_fma_f64 v[212:213], v[224:225], v[210:211], v[222:223]
	v_div_scale_f64 v[214:215], null, v[212:213], v[212:213], 1.0
	v_rcp_f64_e32 v[216:217], v[214:215]
	v_fma_f64 v[222:223], -v[214:215], v[216:217], 1.0
	v_fma_f64 v[216:217], v[216:217], v[222:223], v[216:217]
	v_fma_f64 v[222:223], -v[214:215], v[216:217], 1.0
	v_fma_f64 v[216:217], v[216:217], v[222:223], v[216:217]
	v_div_scale_f64 v[222:223], vcc_lo, 1.0, v[212:213], 1.0
	v_mul_f64 v[224:225], v[222:223], v[216:217]
	v_fma_f64 v[214:215], -v[214:215], v[224:225], v[222:223]
	v_div_fmas_f64 v[214:215], v[214:215], v[216:217], v[224:225]
	v_div_fixup_f64 v[222:223], v[214:215], v[212:213], 1.0
	v_mul_f64 v[224:225], v[210:211], -v[222:223]
.LBB108_639:
	s_or_b32 exec_lo, exec_lo, s1
.LBB108_640:
	s_or_b32 exec_lo, exec_lo, s0
	s_mov_b32 s0, exec_lo
	v_cmpx_ne_u32_e64 v236, v230
	s_xor_b32 s0, exec_lo, s0
	s_cbranch_execz .LBB108_646
; %bb.641:
	s_mov_b32 s1, exec_lo
	v_cmpx_eq_u32_e32 30, v236
	s_cbranch_execz .LBB108_645
; %bb.642:
	v_cmp_ne_u32_e32 vcc_lo, 30, v230
	s_xor_b32 s7, s16, -1
	s_and_b32 s9, s7, vcc_lo
	s_and_saveexec_b32 s7, s9
	s_cbranch_execz .LBB108_644
; %bb.643:
	v_ashrrev_i32_e32 v231, 31, v230
	v_lshlrev_b64 v[210:211], 2, v[230:231]
	v_add_co_u32 v210, vcc_lo, v218, v210
	v_add_co_ci_u32_e64 v211, null, v219, v211, vcc_lo
	s_clause 0x1
	global_load_dword v0, v[210:211], off
	global_load_dword v212, v[218:219], off offset:120
	s_waitcnt vmcnt(1)
	global_store_dword v[218:219], v0, off offset:120
	s_waitcnt vmcnt(0)
	global_store_dword v[210:211], v212, off
.LBB108_644:
	s_or_b32 exec_lo, exec_lo, s7
	v_mov_b32_e32 v236, v230
	v_mov_b32_e32 v0, v230
.LBB108_645:
	s_or_b32 exec_lo, exec_lo, s1
.LBB108_646:
	s_andn2_saveexec_b32 s0, s0
	s_cbranch_execz .LBB108_648
; %bb.647:
	v_mov_b32_e32 v236, 30
	ds_write2_b64 v1, v[94:95], v[96:97] offset0:62 offset1:63
	ds_write2_b64 v1, v[90:91], v[92:93] offset0:64 offset1:65
	;; [unrolled: 1-line block ×24, first 2 shown]
.LBB108_648:
	s_or_b32 exec_lo, exec_lo, s0
	s_mov_b32 s0, exec_lo
	s_waitcnt lgkmcnt(0)
	s_waitcnt_vscnt null, 0x0
	s_barrier
	buffer_gl0_inv
	v_cmpx_lt_i32_e32 30, v236
	s_cbranch_execz .LBB108_650
; %bb.649:
	v_mul_f64 v[210:211], v[224:225], v[100:101]
	v_mul_f64 v[100:101], v[222:223], v[100:101]
	v_fma_f64 v[230:231], v[222:223], v[98:99], -v[210:211]
	v_fma_f64 v[100:101], v[224:225], v[98:99], v[100:101]
	ds_read2_b64 v[222:225], v1 offset0:62 offset1:63
	s_waitcnt lgkmcnt(0)
	v_mul_f64 v[98:99], v[224:225], v[100:101]
	v_mul_f64 v[210:211], v[222:223], v[100:101]
	v_fma_f64 v[98:99], v[222:223], v[230:231], -v[98:99]
	v_fma_f64 v[210:211], v[224:225], v[230:231], v[210:211]
	ds_read2_b64 v[222:225], v1 offset0:64 offset1:65
	v_add_f64 v[94:95], v[94:95], -v[98:99]
	v_add_f64 v[96:97], v[96:97], -v[210:211]
	s_waitcnt lgkmcnt(0)
	v_mul_f64 v[98:99], v[224:225], v[100:101]
	v_mul_f64 v[210:211], v[222:223], v[100:101]
	v_fma_f64 v[98:99], v[222:223], v[230:231], -v[98:99]
	v_fma_f64 v[210:211], v[224:225], v[230:231], v[210:211]
	ds_read2_b64 v[222:225], v1 offset0:66 offset1:67
	v_add_f64 v[90:91], v[90:91], -v[98:99]
	v_add_f64 v[92:93], v[92:93], -v[210:211]
	;; [unrolled: 8-line block ×23, first 2 shown]
	s_waitcnt lgkmcnt(0)
	v_mul_f64 v[98:99], v[224:225], v[100:101]
	v_mul_f64 v[210:211], v[222:223], v[100:101]
	v_fma_f64 v[98:99], v[222:223], v[230:231], -v[98:99]
	v_fma_f64 v[210:211], v[224:225], v[230:231], v[210:211]
	v_add_f64 v[2:3], v[2:3], -v[98:99]
	v_add_f64 v[4:5], v[4:5], -v[210:211]
	v_mov_b32_e32 v98, v230
	v_mov_b32_e32 v99, v231
.LBB108_650:
	s_or_b32 exec_lo, exec_lo, s0
	v_lshl_add_u32 v210, v236, 4, v1
	s_barrier
	buffer_gl0_inv
	v_mov_b32_e32 v230, 31
	ds_write2_b64 v210, v[94:95], v[96:97] offset1:1
	s_waitcnt lgkmcnt(0)
	s_barrier
	buffer_gl0_inv
	ds_read2_b64 v[222:225], v1 offset0:62 offset1:63
	s_cmp_lt_i32 s8, 33
	s_cbranch_scc1 .LBB108_653
; %bb.651:
	v_add3_u32 v231, v253, 0, 0x200
	v_mov_b32_e32 v230, 31
	s_mov_b32 s1, 32
	s_inst_prefetch 0x1
	.p2align	6
.LBB108_652:                            ; =>This Inner Loop Header: Depth=1
	s_waitcnt lgkmcnt(0)
	v_cmp_gt_f64_e32 vcc_lo, 0, v[224:225]
	v_cmp_gt_f64_e64 s0, 0, v[222:223]
	ds_read2_b64 v[237:240], v231 offset1:1
	v_xor_b32_e32 v211, 0x80000000, v223
	v_xor_b32_e32 v213, 0x80000000, v225
	v_mov_b32_e32 v210, v222
	v_mov_b32_e32 v212, v224
	v_add_nc_u32_e32 v231, 16, v231
	s_waitcnt lgkmcnt(0)
	v_xor_b32_e32 v215, 0x80000000, v240
	v_cndmask_b32_e64 v211, v223, v211, s0
	v_cndmask_b32_e32 v213, v225, v213, vcc_lo
	v_cmp_gt_f64_e32 vcc_lo, 0, v[239:240]
	v_cmp_gt_f64_e64 s0, 0, v[237:238]
	v_mov_b32_e32 v214, v239
	v_add_f64 v[210:211], v[210:211], v[212:213]
	v_xor_b32_e32 v213, 0x80000000, v238
	v_mov_b32_e32 v212, v237
	v_cndmask_b32_e32 v215, v240, v215, vcc_lo
	v_cndmask_b32_e64 v213, v238, v213, s0
	v_add_f64 v[212:213], v[212:213], v[214:215]
	v_cmp_lt_f64_e32 vcc_lo, v[210:211], v[212:213]
	v_cndmask_b32_e32 v223, v223, v238, vcc_lo
	v_cndmask_b32_e32 v222, v222, v237, vcc_lo
	;; [unrolled: 1-line block ×4, first 2 shown]
	v_cndmask_b32_e64 v230, v230, s1, vcc_lo
	s_add_i32 s1, s1, 1
	s_cmp_lg_u32 s8, s1
	s_cbranch_scc1 .LBB108_652
.LBB108_653:
	s_inst_prefetch 0x2
	s_waitcnt lgkmcnt(0)
	v_cmp_eq_f64_e32 vcc_lo, 0, v[222:223]
	v_cmp_eq_f64_e64 s0, 0, v[224:225]
	s_and_b32 s0, vcc_lo, s0
	s_and_saveexec_b32 s1, s0
	s_xor_b32 s0, exec_lo, s1
; %bb.654:
	v_cmp_ne_u32_e32 vcc_lo, 0, v235
	v_cndmask_b32_e32 v235, 32, v235, vcc_lo
; %bb.655:
	s_andn2_saveexec_b32 s0, s0
	s_cbranch_execz .LBB108_661
; %bb.656:
	v_cmp_ngt_f64_e64 s1, |v[222:223]|, |v[224:225]|
	s_and_saveexec_b32 s7, s1
	s_xor_b32 s1, exec_lo, s7
	s_cbranch_execz .LBB108_658
; %bb.657:
	v_div_scale_f64 v[210:211], null, v[224:225], v[224:225], v[222:223]
	v_div_scale_f64 v[216:217], vcc_lo, v[222:223], v[224:225], v[222:223]
	v_rcp_f64_e32 v[212:213], v[210:211]
	v_fma_f64 v[214:215], -v[210:211], v[212:213], 1.0
	v_fma_f64 v[212:213], v[212:213], v[214:215], v[212:213]
	v_fma_f64 v[214:215], -v[210:211], v[212:213], 1.0
	v_fma_f64 v[212:213], v[212:213], v[214:215], v[212:213]
	v_mul_f64 v[214:215], v[216:217], v[212:213]
	v_fma_f64 v[210:211], -v[210:211], v[214:215], v[216:217]
	v_div_fmas_f64 v[210:211], v[210:211], v[212:213], v[214:215]
	v_div_fixup_f64 v[210:211], v[210:211], v[224:225], v[222:223]
	v_fma_f64 v[212:213], v[222:223], v[210:211], v[224:225]
	v_div_scale_f64 v[214:215], null, v[212:213], v[212:213], 1.0
	v_rcp_f64_e32 v[216:217], v[214:215]
	v_fma_f64 v[222:223], -v[214:215], v[216:217], 1.0
	v_fma_f64 v[216:217], v[216:217], v[222:223], v[216:217]
	v_fma_f64 v[222:223], -v[214:215], v[216:217], 1.0
	v_fma_f64 v[216:217], v[216:217], v[222:223], v[216:217]
	v_div_scale_f64 v[222:223], vcc_lo, 1.0, v[212:213], 1.0
	v_mul_f64 v[224:225], v[222:223], v[216:217]
	v_fma_f64 v[214:215], -v[214:215], v[224:225], v[222:223]
	v_div_fmas_f64 v[214:215], v[214:215], v[216:217], v[224:225]
	v_div_fixup_f64 v[224:225], v[214:215], v[212:213], 1.0
	v_mul_f64 v[222:223], v[210:211], v[224:225]
	v_xor_b32_e32 v225, 0x80000000, v225
.LBB108_658:
	s_andn2_saveexec_b32 s1, s1
	s_cbranch_execz .LBB108_660
; %bb.659:
	v_div_scale_f64 v[210:211], null, v[222:223], v[222:223], v[224:225]
	v_div_scale_f64 v[216:217], vcc_lo, v[224:225], v[222:223], v[224:225]
	v_rcp_f64_e32 v[212:213], v[210:211]
	v_fma_f64 v[214:215], -v[210:211], v[212:213], 1.0
	v_fma_f64 v[212:213], v[212:213], v[214:215], v[212:213]
	v_fma_f64 v[214:215], -v[210:211], v[212:213], 1.0
	v_fma_f64 v[212:213], v[212:213], v[214:215], v[212:213]
	v_mul_f64 v[214:215], v[216:217], v[212:213]
	v_fma_f64 v[210:211], -v[210:211], v[214:215], v[216:217]
	v_div_fmas_f64 v[210:211], v[210:211], v[212:213], v[214:215]
	v_div_fixup_f64 v[210:211], v[210:211], v[222:223], v[224:225]
	v_fma_f64 v[212:213], v[224:225], v[210:211], v[222:223]
	v_div_scale_f64 v[214:215], null, v[212:213], v[212:213], 1.0
	v_rcp_f64_e32 v[216:217], v[214:215]
	v_fma_f64 v[222:223], -v[214:215], v[216:217], 1.0
	v_fma_f64 v[216:217], v[216:217], v[222:223], v[216:217]
	v_fma_f64 v[222:223], -v[214:215], v[216:217], 1.0
	v_fma_f64 v[216:217], v[216:217], v[222:223], v[216:217]
	v_div_scale_f64 v[222:223], vcc_lo, 1.0, v[212:213], 1.0
	v_mul_f64 v[224:225], v[222:223], v[216:217]
	v_fma_f64 v[214:215], -v[214:215], v[224:225], v[222:223]
	v_div_fmas_f64 v[214:215], v[214:215], v[216:217], v[224:225]
	v_div_fixup_f64 v[222:223], v[214:215], v[212:213], 1.0
	v_mul_f64 v[224:225], v[210:211], -v[222:223]
.LBB108_660:
	s_or_b32 exec_lo, exec_lo, s1
.LBB108_661:
	s_or_b32 exec_lo, exec_lo, s0
	s_mov_b32 s0, exec_lo
	v_cmpx_ne_u32_e64 v236, v230
	s_xor_b32 s0, exec_lo, s0
	s_cbranch_execz .LBB108_667
; %bb.662:
	s_mov_b32 s1, exec_lo
	v_cmpx_eq_u32_e32 31, v236
	s_cbranch_execz .LBB108_666
; %bb.663:
	v_cmp_ne_u32_e32 vcc_lo, 31, v230
	s_xor_b32 s7, s16, -1
	s_and_b32 s9, s7, vcc_lo
	s_and_saveexec_b32 s7, s9
	s_cbranch_execz .LBB108_665
; %bb.664:
	v_ashrrev_i32_e32 v231, 31, v230
	v_lshlrev_b64 v[210:211], 2, v[230:231]
	v_add_co_u32 v210, vcc_lo, v218, v210
	v_add_co_ci_u32_e64 v211, null, v219, v211, vcc_lo
	s_clause 0x1
	global_load_dword v0, v[210:211], off
	global_load_dword v212, v[218:219], off offset:124
	s_waitcnt vmcnt(1)
	global_store_dword v[218:219], v0, off offset:124
	s_waitcnt vmcnt(0)
	global_store_dword v[210:211], v212, off
.LBB108_665:
	s_or_b32 exec_lo, exec_lo, s7
	v_mov_b32_e32 v236, v230
	v_mov_b32_e32 v0, v230
.LBB108_666:
	s_or_b32 exec_lo, exec_lo, s1
.LBB108_667:
	s_andn2_saveexec_b32 s0, s0
	s_cbranch_execz .LBB108_669
; %bb.668:
	v_mov_b32_e32 v236, 31
	ds_write2_b64 v1, v[90:91], v[92:93] offset0:64 offset1:65
	ds_write2_b64 v1, v[86:87], v[88:89] offset0:66 offset1:67
	;; [unrolled: 1-line block ×23, first 2 shown]
.LBB108_669:
	s_or_b32 exec_lo, exec_lo, s0
	s_mov_b32 s0, exec_lo
	s_waitcnt lgkmcnt(0)
	s_waitcnt_vscnt null, 0x0
	s_barrier
	buffer_gl0_inv
	v_cmpx_lt_i32_e32 31, v236
	s_cbranch_execz .LBB108_671
; %bb.670:
	v_mul_f64 v[210:211], v[224:225], v[96:97]
	v_mul_f64 v[96:97], v[222:223], v[96:97]
	v_fma_f64 v[230:231], v[222:223], v[94:95], -v[210:211]
	v_fma_f64 v[96:97], v[224:225], v[94:95], v[96:97]
	ds_read2_b64 v[222:225], v1 offset0:64 offset1:65
	s_waitcnt lgkmcnt(0)
	v_mul_f64 v[94:95], v[224:225], v[96:97]
	v_mul_f64 v[210:211], v[222:223], v[96:97]
	v_fma_f64 v[94:95], v[222:223], v[230:231], -v[94:95]
	v_fma_f64 v[210:211], v[224:225], v[230:231], v[210:211]
	ds_read2_b64 v[222:225], v1 offset0:66 offset1:67
	v_add_f64 v[90:91], v[90:91], -v[94:95]
	v_add_f64 v[92:93], v[92:93], -v[210:211]
	s_waitcnt lgkmcnt(0)
	v_mul_f64 v[94:95], v[224:225], v[96:97]
	v_mul_f64 v[210:211], v[222:223], v[96:97]
	v_fma_f64 v[94:95], v[222:223], v[230:231], -v[94:95]
	v_fma_f64 v[210:211], v[224:225], v[230:231], v[210:211]
	ds_read2_b64 v[222:225], v1 offset0:68 offset1:69
	v_add_f64 v[86:87], v[86:87], -v[94:95]
	v_add_f64 v[88:89], v[88:89], -v[210:211]
	;; [unrolled: 8-line block ×22, first 2 shown]
	s_waitcnt lgkmcnt(0)
	v_mul_f64 v[94:95], v[224:225], v[96:97]
	v_mul_f64 v[210:211], v[222:223], v[96:97]
	v_fma_f64 v[94:95], v[222:223], v[230:231], -v[94:95]
	v_fma_f64 v[210:211], v[224:225], v[230:231], v[210:211]
	v_add_f64 v[2:3], v[2:3], -v[94:95]
	v_add_f64 v[4:5], v[4:5], -v[210:211]
	v_mov_b32_e32 v94, v230
	v_mov_b32_e32 v95, v231
.LBB108_671:
	s_or_b32 exec_lo, exec_lo, s0
	v_lshl_add_u32 v210, v236, 4, v1
	s_barrier
	buffer_gl0_inv
	v_mov_b32_e32 v230, 32
	ds_write2_b64 v210, v[90:91], v[92:93] offset1:1
	s_waitcnt lgkmcnt(0)
	s_barrier
	buffer_gl0_inv
	ds_read2_b64 v[222:225], v1 offset0:64 offset1:65
	s_cmp_lt_i32 s8, 34
	s_cbranch_scc1 .LBB108_674
; %bb.672:
	v_add3_u32 v231, v253, 0, 0x210
	v_mov_b32_e32 v230, 32
	s_mov_b32 s1, 33
	s_inst_prefetch 0x1
	.p2align	6
.LBB108_673:                            ; =>This Inner Loop Header: Depth=1
	s_waitcnt lgkmcnt(0)
	v_cmp_gt_f64_e32 vcc_lo, 0, v[224:225]
	v_cmp_gt_f64_e64 s0, 0, v[222:223]
	ds_read2_b64 v[237:240], v231 offset1:1
	v_xor_b32_e32 v211, 0x80000000, v223
	v_xor_b32_e32 v213, 0x80000000, v225
	v_mov_b32_e32 v210, v222
	v_mov_b32_e32 v212, v224
	v_add_nc_u32_e32 v231, 16, v231
	s_waitcnt lgkmcnt(0)
	v_xor_b32_e32 v215, 0x80000000, v240
	v_cndmask_b32_e64 v211, v223, v211, s0
	v_cndmask_b32_e32 v213, v225, v213, vcc_lo
	v_cmp_gt_f64_e32 vcc_lo, 0, v[239:240]
	v_cmp_gt_f64_e64 s0, 0, v[237:238]
	v_mov_b32_e32 v214, v239
	v_add_f64 v[210:211], v[210:211], v[212:213]
	v_xor_b32_e32 v213, 0x80000000, v238
	v_mov_b32_e32 v212, v237
	v_cndmask_b32_e32 v215, v240, v215, vcc_lo
	v_cndmask_b32_e64 v213, v238, v213, s0
	v_add_f64 v[212:213], v[212:213], v[214:215]
	v_cmp_lt_f64_e32 vcc_lo, v[210:211], v[212:213]
	v_cndmask_b32_e32 v223, v223, v238, vcc_lo
	v_cndmask_b32_e32 v222, v222, v237, vcc_lo
	;; [unrolled: 1-line block ×4, first 2 shown]
	v_cndmask_b32_e64 v230, v230, s1, vcc_lo
	s_add_i32 s1, s1, 1
	s_cmp_lg_u32 s8, s1
	s_cbranch_scc1 .LBB108_673
.LBB108_674:
	s_inst_prefetch 0x2
	s_waitcnt lgkmcnt(0)
	v_cmp_eq_f64_e32 vcc_lo, 0, v[222:223]
	v_cmp_eq_f64_e64 s0, 0, v[224:225]
	s_and_b32 s0, vcc_lo, s0
	s_and_saveexec_b32 s1, s0
	s_xor_b32 s0, exec_lo, s1
; %bb.675:
	v_cmp_ne_u32_e32 vcc_lo, 0, v235
	v_cndmask_b32_e32 v235, 33, v235, vcc_lo
; %bb.676:
	s_andn2_saveexec_b32 s0, s0
	s_cbranch_execz .LBB108_682
; %bb.677:
	v_cmp_ngt_f64_e64 s1, |v[222:223]|, |v[224:225]|
	s_and_saveexec_b32 s7, s1
	s_xor_b32 s1, exec_lo, s7
	s_cbranch_execz .LBB108_679
; %bb.678:
	v_div_scale_f64 v[210:211], null, v[224:225], v[224:225], v[222:223]
	v_div_scale_f64 v[216:217], vcc_lo, v[222:223], v[224:225], v[222:223]
	v_rcp_f64_e32 v[212:213], v[210:211]
	v_fma_f64 v[214:215], -v[210:211], v[212:213], 1.0
	v_fma_f64 v[212:213], v[212:213], v[214:215], v[212:213]
	v_fma_f64 v[214:215], -v[210:211], v[212:213], 1.0
	v_fma_f64 v[212:213], v[212:213], v[214:215], v[212:213]
	v_mul_f64 v[214:215], v[216:217], v[212:213]
	v_fma_f64 v[210:211], -v[210:211], v[214:215], v[216:217]
	v_div_fmas_f64 v[210:211], v[210:211], v[212:213], v[214:215]
	v_div_fixup_f64 v[210:211], v[210:211], v[224:225], v[222:223]
	v_fma_f64 v[212:213], v[222:223], v[210:211], v[224:225]
	v_div_scale_f64 v[214:215], null, v[212:213], v[212:213], 1.0
	v_rcp_f64_e32 v[216:217], v[214:215]
	v_fma_f64 v[222:223], -v[214:215], v[216:217], 1.0
	v_fma_f64 v[216:217], v[216:217], v[222:223], v[216:217]
	v_fma_f64 v[222:223], -v[214:215], v[216:217], 1.0
	v_fma_f64 v[216:217], v[216:217], v[222:223], v[216:217]
	v_div_scale_f64 v[222:223], vcc_lo, 1.0, v[212:213], 1.0
	v_mul_f64 v[224:225], v[222:223], v[216:217]
	v_fma_f64 v[214:215], -v[214:215], v[224:225], v[222:223]
	v_div_fmas_f64 v[214:215], v[214:215], v[216:217], v[224:225]
	v_div_fixup_f64 v[224:225], v[214:215], v[212:213], 1.0
	v_mul_f64 v[222:223], v[210:211], v[224:225]
	v_xor_b32_e32 v225, 0x80000000, v225
.LBB108_679:
	s_andn2_saveexec_b32 s1, s1
	s_cbranch_execz .LBB108_681
; %bb.680:
	v_div_scale_f64 v[210:211], null, v[222:223], v[222:223], v[224:225]
	v_div_scale_f64 v[216:217], vcc_lo, v[224:225], v[222:223], v[224:225]
	v_rcp_f64_e32 v[212:213], v[210:211]
	v_fma_f64 v[214:215], -v[210:211], v[212:213], 1.0
	v_fma_f64 v[212:213], v[212:213], v[214:215], v[212:213]
	v_fma_f64 v[214:215], -v[210:211], v[212:213], 1.0
	v_fma_f64 v[212:213], v[212:213], v[214:215], v[212:213]
	v_mul_f64 v[214:215], v[216:217], v[212:213]
	v_fma_f64 v[210:211], -v[210:211], v[214:215], v[216:217]
	v_div_fmas_f64 v[210:211], v[210:211], v[212:213], v[214:215]
	v_div_fixup_f64 v[210:211], v[210:211], v[222:223], v[224:225]
	v_fma_f64 v[212:213], v[224:225], v[210:211], v[222:223]
	v_div_scale_f64 v[214:215], null, v[212:213], v[212:213], 1.0
	v_rcp_f64_e32 v[216:217], v[214:215]
	v_fma_f64 v[222:223], -v[214:215], v[216:217], 1.0
	v_fma_f64 v[216:217], v[216:217], v[222:223], v[216:217]
	v_fma_f64 v[222:223], -v[214:215], v[216:217], 1.0
	v_fma_f64 v[216:217], v[216:217], v[222:223], v[216:217]
	v_div_scale_f64 v[222:223], vcc_lo, 1.0, v[212:213], 1.0
	v_mul_f64 v[224:225], v[222:223], v[216:217]
	v_fma_f64 v[214:215], -v[214:215], v[224:225], v[222:223]
	v_div_fmas_f64 v[214:215], v[214:215], v[216:217], v[224:225]
	v_div_fixup_f64 v[222:223], v[214:215], v[212:213], 1.0
	v_mul_f64 v[224:225], v[210:211], -v[222:223]
.LBB108_681:
	s_or_b32 exec_lo, exec_lo, s1
.LBB108_682:
	s_or_b32 exec_lo, exec_lo, s0
	s_mov_b32 s0, exec_lo
	v_cmpx_ne_u32_e64 v236, v230
	s_xor_b32 s0, exec_lo, s0
	s_cbranch_execz .LBB108_688
; %bb.683:
	s_mov_b32 s1, exec_lo
	v_cmpx_eq_u32_e32 32, v236
	s_cbranch_execz .LBB108_687
; %bb.684:
	v_cmp_ne_u32_e32 vcc_lo, 32, v230
	s_xor_b32 s7, s16, -1
	s_and_b32 s9, s7, vcc_lo
	s_and_saveexec_b32 s7, s9
	s_cbranch_execz .LBB108_686
; %bb.685:
	v_ashrrev_i32_e32 v231, 31, v230
	v_lshlrev_b64 v[210:211], 2, v[230:231]
	v_add_co_u32 v210, vcc_lo, v218, v210
	v_add_co_ci_u32_e64 v211, null, v219, v211, vcc_lo
	s_clause 0x1
	global_load_dword v0, v[210:211], off
	global_load_dword v212, v[218:219], off offset:128
	s_waitcnt vmcnt(1)
	global_store_dword v[218:219], v0, off offset:128
	s_waitcnt vmcnt(0)
	global_store_dword v[210:211], v212, off
.LBB108_686:
	s_or_b32 exec_lo, exec_lo, s7
	v_mov_b32_e32 v236, v230
	v_mov_b32_e32 v0, v230
.LBB108_687:
	s_or_b32 exec_lo, exec_lo, s1
.LBB108_688:
	s_andn2_saveexec_b32 s0, s0
	s_cbranch_execz .LBB108_690
; %bb.689:
	v_mov_b32_e32 v236, 32
	ds_write2_b64 v1, v[86:87], v[88:89] offset0:66 offset1:67
	ds_write2_b64 v1, v[82:83], v[84:85] offset0:68 offset1:69
	;; [unrolled: 1-line block ×22, first 2 shown]
.LBB108_690:
	s_or_b32 exec_lo, exec_lo, s0
	s_mov_b32 s0, exec_lo
	s_waitcnt lgkmcnt(0)
	s_waitcnt_vscnt null, 0x0
	s_barrier
	buffer_gl0_inv
	v_cmpx_lt_i32_e32 32, v236
	s_cbranch_execz .LBB108_692
; %bb.691:
	v_mul_f64 v[210:211], v[224:225], v[92:93]
	v_mul_f64 v[92:93], v[222:223], v[92:93]
	v_fma_f64 v[230:231], v[222:223], v[90:91], -v[210:211]
	v_fma_f64 v[92:93], v[224:225], v[90:91], v[92:93]
	ds_read2_b64 v[222:225], v1 offset0:66 offset1:67
	s_waitcnt lgkmcnt(0)
	v_mul_f64 v[90:91], v[224:225], v[92:93]
	v_mul_f64 v[210:211], v[222:223], v[92:93]
	v_fma_f64 v[90:91], v[222:223], v[230:231], -v[90:91]
	v_fma_f64 v[210:211], v[224:225], v[230:231], v[210:211]
	ds_read2_b64 v[222:225], v1 offset0:68 offset1:69
	v_add_f64 v[86:87], v[86:87], -v[90:91]
	v_add_f64 v[88:89], v[88:89], -v[210:211]
	s_waitcnt lgkmcnt(0)
	v_mul_f64 v[90:91], v[224:225], v[92:93]
	v_mul_f64 v[210:211], v[222:223], v[92:93]
	v_fma_f64 v[90:91], v[222:223], v[230:231], -v[90:91]
	v_fma_f64 v[210:211], v[224:225], v[230:231], v[210:211]
	ds_read2_b64 v[222:225], v1 offset0:70 offset1:71
	v_add_f64 v[82:83], v[82:83], -v[90:91]
	v_add_f64 v[84:85], v[84:85], -v[210:211]
	;; [unrolled: 8-line block ×21, first 2 shown]
	s_waitcnt lgkmcnt(0)
	v_mul_f64 v[90:91], v[224:225], v[92:93]
	v_mul_f64 v[210:211], v[222:223], v[92:93]
	v_fma_f64 v[90:91], v[222:223], v[230:231], -v[90:91]
	v_fma_f64 v[210:211], v[224:225], v[230:231], v[210:211]
	v_add_f64 v[2:3], v[2:3], -v[90:91]
	v_add_f64 v[4:5], v[4:5], -v[210:211]
	v_mov_b32_e32 v90, v230
	v_mov_b32_e32 v91, v231
.LBB108_692:
	s_or_b32 exec_lo, exec_lo, s0
	v_lshl_add_u32 v210, v236, 4, v1
	s_barrier
	buffer_gl0_inv
	v_mov_b32_e32 v230, 33
	ds_write2_b64 v210, v[86:87], v[88:89] offset1:1
	s_waitcnt lgkmcnt(0)
	s_barrier
	buffer_gl0_inv
	ds_read2_b64 v[222:225], v1 offset0:66 offset1:67
	s_cmp_lt_i32 s8, 35
	s_cbranch_scc1 .LBB108_695
; %bb.693:
	v_add3_u32 v231, v253, 0, 0x220
	v_mov_b32_e32 v230, 33
	s_mov_b32 s1, 34
	s_inst_prefetch 0x1
	.p2align	6
.LBB108_694:                            ; =>This Inner Loop Header: Depth=1
	s_waitcnt lgkmcnt(0)
	v_cmp_gt_f64_e32 vcc_lo, 0, v[224:225]
	v_cmp_gt_f64_e64 s0, 0, v[222:223]
	ds_read2_b64 v[237:240], v231 offset1:1
	v_xor_b32_e32 v211, 0x80000000, v223
	v_xor_b32_e32 v213, 0x80000000, v225
	v_mov_b32_e32 v210, v222
	v_mov_b32_e32 v212, v224
	v_add_nc_u32_e32 v231, 16, v231
	s_waitcnt lgkmcnt(0)
	v_xor_b32_e32 v215, 0x80000000, v240
	v_cndmask_b32_e64 v211, v223, v211, s0
	v_cndmask_b32_e32 v213, v225, v213, vcc_lo
	v_cmp_gt_f64_e32 vcc_lo, 0, v[239:240]
	v_cmp_gt_f64_e64 s0, 0, v[237:238]
	v_mov_b32_e32 v214, v239
	v_add_f64 v[210:211], v[210:211], v[212:213]
	v_xor_b32_e32 v213, 0x80000000, v238
	v_mov_b32_e32 v212, v237
	v_cndmask_b32_e32 v215, v240, v215, vcc_lo
	v_cndmask_b32_e64 v213, v238, v213, s0
	v_add_f64 v[212:213], v[212:213], v[214:215]
	v_cmp_lt_f64_e32 vcc_lo, v[210:211], v[212:213]
	v_cndmask_b32_e32 v223, v223, v238, vcc_lo
	v_cndmask_b32_e32 v222, v222, v237, vcc_lo
	;; [unrolled: 1-line block ×4, first 2 shown]
	v_cndmask_b32_e64 v230, v230, s1, vcc_lo
	s_add_i32 s1, s1, 1
	s_cmp_lg_u32 s8, s1
	s_cbranch_scc1 .LBB108_694
.LBB108_695:
	s_inst_prefetch 0x2
	s_waitcnt lgkmcnt(0)
	v_cmp_eq_f64_e32 vcc_lo, 0, v[222:223]
	v_cmp_eq_f64_e64 s0, 0, v[224:225]
	s_and_b32 s0, vcc_lo, s0
	s_and_saveexec_b32 s1, s0
	s_xor_b32 s0, exec_lo, s1
; %bb.696:
	v_cmp_ne_u32_e32 vcc_lo, 0, v235
	v_cndmask_b32_e32 v235, 34, v235, vcc_lo
; %bb.697:
	s_andn2_saveexec_b32 s0, s0
	s_cbranch_execz .LBB108_703
; %bb.698:
	v_cmp_ngt_f64_e64 s1, |v[222:223]|, |v[224:225]|
	s_and_saveexec_b32 s7, s1
	s_xor_b32 s1, exec_lo, s7
	s_cbranch_execz .LBB108_700
; %bb.699:
	v_div_scale_f64 v[210:211], null, v[224:225], v[224:225], v[222:223]
	v_div_scale_f64 v[216:217], vcc_lo, v[222:223], v[224:225], v[222:223]
	v_rcp_f64_e32 v[212:213], v[210:211]
	v_fma_f64 v[214:215], -v[210:211], v[212:213], 1.0
	v_fma_f64 v[212:213], v[212:213], v[214:215], v[212:213]
	v_fma_f64 v[214:215], -v[210:211], v[212:213], 1.0
	v_fma_f64 v[212:213], v[212:213], v[214:215], v[212:213]
	v_mul_f64 v[214:215], v[216:217], v[212:213]
	v_fma_f64 v[210:211], -v[210:211], v[214:215], v[216:217]
	v_div_fmas_f64 v[210:211], v[210:211], v[212:213], v[214:215]
	v_div_fixup_f64 v[210:211], v[210:211], v[224:225], v[222:223]
	v_fma_f64 v[212:213], v[222:223], v[210:211], v[224:225]
	v_div_scale_f64 v[214:215], null, v[212:213], v[212:213], 1.0
	v_rcp_f64_e32 v[216:217], v[214:215]
	v_fma_f64 v[222:223], -v[214:215], v[216:217], 1.0
	v_fma_f64 v[216:217], v[216:217], v[222:223], v[216:217]
	v_fma_f64 v[222:223], -v[214:215], v[216:217], 1.0
	v_fma_f64 v[216:217], v[216:217], v[222:223], v[216:217]
	v_div_scale_f64 v[222:223], vcc_lo, 1.0, v[212:213], 1.0
	v_mul_f64 v[224:225], v[222:223], v[216:217]
	v_fma_f64 v[214:215], -v[214:215], v[224:225], v[222:223]
	v_div_fmas_f64 v[214:215], v[214:215], v[216:217], v[224:225]
	v_div_fixup_f64 v[224:225], v[214:215], v[212:213], 1.0
	v_mul_f64 v[222:223], v[210:211], v[224:225]
	v_xor_b32_e32 v225, 0x80000000, v225
.LBB108_700:
	s_andn2_saveexec_b32 s1, s1
	s_cbranch_execz .LBB108_702
; %bb.701:
	v_div_scale_f64 v[210:211], null, v[222:223], v[222:223], v[224:225]
	v_div_scale_f64 v[216:217], vcc_lo, v[224:225], v[222:223], v[224:225]
	v_rcp_f64_e32 v[212:213], v[210:211]
	v_fma_f64 v[214:215], -v[210:211], v[212:213], 1.0
	v_fma_f64 v[212:213], v[212:213], v[214:215], v[212:213]
	v_fma_f64 v[214:215], -v[210:211], v[212:213], 1.0
	v_fma_f64 v[212:213], v[212:213], v[214:215], v[212:213]
	v_mul_f64 v[214:215], v[216:217], v[212:213]
	v_fma_f64 v[210:211], -v[210:211], v[214:215], v[216:217]
	v_div_fmas_f64 v[210:211], v[210:211], v[212:213], v[214:215]
	v_div_fixup_f64 v[210:211], v[210:211], v[222:223], v[224:225]
	v_fma_f64 v[212:213], v[224:225], v[210:211], v[222:223]
	v_div_scale_f64 v[214:215], null, v[212:213], v[212:213], 1.0
	v_rcp_f64_e32 v[216:217], v[214:215]
	v_fma_f64 v[222:223], -v[214:215], v[216:217], 1.0
	v_fma_f64 v[216:217], v[216:217], v[222:223], v[216:217]
	v_fma_f64 v[222:223], -v[214:215], v[216:217], 1.0
	v_fma_f64 v[216:217], v[216:217], v[222:223], v[216:217]
	v_div_scale_f64 v[222:223], vcc_lo, 1.0, v[212:213], 1.0
	v_mul_f64 v[224:225], v[222:223], v[216:217]
	v_fma_f64 v[214:215], -v[214:215], v[224:225], v[222:223]
	v_div_fmas_f64 v[214:215], v[214:215], v[216:217], v[224:225]
	v_div_fixup_f64 v[222:223], v[214:215], v[212:213], 1.0
	v_mul_f64 v[224:225], v[210:211], -v[222:223]
.LBB108_702:
	s_or_b32 exec_lo, exec_lo, s1
.LBB108_703:
	s_or_b32 exec_lo, exec_lo, s0
	s_mov_b32 s0, exec_lo
	v_cmpx_ne_u32_e64 v236, v230
	s_xor_b32 s0, exec_lo, s0
	s_cbranch_execz .LBB108_709
; %bb.704:
	s_mov_b32 s1, exec_lo
	v_cmpx_eq_u32_e32 33, v236
	s_cbranch_execz .LBB108_708
; %bb.705:
	v_cmp_ne_u32_e32 vcc_lo, 33, v230
	s_xor_b32 s7, s16, -1
	s_and_b32 s9, s7, vcc_lo
	s_and_saveexec_b32 s7, s9
	s_cbranch_execz .LBB108_707
; %bb.706:
	v_ashrrev_i32_e32 v231, 31, v230
	v_lshlrev_b64 v[210:211], 2, v[230:231]
	v_add_co_u32 v210, vcc_lo, v218, v210
	v_add_co_ci_u32_e64 v211, null, v219, v211, vcc_lo
	s_clause 0x1
	global_load_dword v0, v[210:211], off
	global_load_dword v212, v[218:219], off offset:132
	s_waitcnt vmcnt(1)
	global_store_dword v[218:219], v0, off offset:132
	s_waitcnt vmcnt(0)
	global_store_dword v[210:211], v212, off
.LBB108_707:
	s_or_b32 exec_lo, exec_lo, s7
	v_mov_b32_e32 v236, v230
	v_mov_b32_e32 v0, v230
.LBB108_708:
	s_or_b32 exec_lo, exec_lo, s1
.LBB108_709:
	s_andn2_saveexec_b32 s0, s0
	s_cbranch_execz .LBB108_711
; %bb.710:
	v_mov_b32_e32 v236, 33
	ds_write2_b64 v1, v[82:83], v[84:85] offset0:68 offset1:69
	ds_write2_b64 v1, v[78:79], v[80:81] offset0:70 offset1:71
	ds_write2_b64 v1, v[74:75], v[76:77] offset0:72 offset1:73
	ds_write2_b64 v1, v[70:71], v[72:73] offset0:74 offset1:75
	ds_write2_b64 v1, v[66:67], v[68:69] offset0:76 offset1:77
	ds_write2_b64 v1, v[62:63], v[64:65] offset0:78 offset1:79
	ds_write2_b64 v1, v[58:59], v[60:61] offset0:80 offset1:81
	ds_write2_b64 v1, v[54:55], v[56:57] offset0:82 offset1:83
	ds_write2_b64 v1, v[50:51], v[52:53] offset0:84 offset1:85
	ds_write2_b64 v1, v[46:47], v[48:49] offset0:86 offset1:87
	ds_write2_b64 v1, v[42:43], v[44:45] offset0:88 offset1:89
	ds_write2_b64 v1, v[38:39], v[40:41] offset0:90 offset1:91
	ds_write2_b64 v1, v[34:35], v[36:37] offset0:92 offset1:93
	ds_write2_b64 v1, v[30:31], v[32:33] offset0:94 offset1:95
	ds_write2_b64 v1, v[26:27], v[28:29] offset0:96 offset1:97
	ds_write2_b64 v1, v[22:23], v[24:25] offset0:98 offset1:99
	ds_write2_b64 v1, v[18:19], v[20:21] offset0:100 offset1:101
	ds_write2_b64 v1, v[14:15], v[16:17] offset0:102 offset1:103
	ds_write2_b64 v1, v[10:11], v[12:13] offset0:104 offset1:105
	ds_write2_b64 v1, v[6:7], v[8:9] offset0:106 offset1:107
	ds_write2_b64 v1, v[2:3], v[4:5] offset0:108 offset1:109
.LBB108_711:
	s_or_b32 exec_lo, exec_lo, s0
	s_mov_b32 s0, exec_lo
	s_waitcnt lgkmcnt(0)
	s_waitcnt_vscnt null, 0x0
	s_barrier
	buffer_gl0_inv
	v_cmpx_lt_i32_e32 33, v236
	s_cbranch_execz .LBB108_713
; %bb.712:
	v_mul_f64 v[210:211], v[224:225], v[88:89]
	v_mul_f64 v[88:89], v[222:223], v[88:89]
	v_fma_f64 v[230:231], v[222:223], v[86:87], -v[210:211]
	v_fma_f64 v[88:89], v[224:225], v[86:87], v[88:89]
	ds_read2_b64 v[222:225], v1 offset0:68 offset1:69
	s_waitcnt lgkmcnt(0)
	v_mul_f64 v[86:87], v[224:225], v[88:89]
	v_mul_f64 v[210:211], v[222:223], v[88:89]
	v_fma_f64 v[86:87], v[222:223], v[230:231], -v[86:87]
	v_fma_f64 v[210:211], v[224:225], v[230:231], v[210:211]
	ds_read2_b64 v[222:225], v1 offset0:70 offset1:71
	v_add_f64 v[82:83], v[82:83], -v[86:87]
	v_add_f64 v[84:85], v[84:85], -v[210:211]
	s_waitcnt lgkmcnt(0)
	v_mul_f64 v[86:87], v[224:225], v[88:89]
	v_mul_f64 v[210:211], v[222:223], v[88:89]
	v_fma_f64 v[86:87], v[222:223], v[230:231], -v[86:87]
	v_fma_f64 v[210:211], v[224:225], v[230:231], v[210:211]
	ds_read2_b64 v[222:225], v1 offset0:72 offset1:73
	v_add_f64 v[78:79], v[78:79], -v[86:87]
	v_add_f64 v[80:81], v[80:81], -v[210:211]
	s_waitcnt lgkmcnt(0)
	v_mul_f64 v[86:87], v[224:225], v[88:89]
	v_mul_f64 v[210:211], v[222:223], v[88:89]
	v_fma_f64 v[86:87], v[222:223], v[230:231], -v[86:87]
	v_fma_f64 v[210:211], v[224:225], v[230:231], v[210:211]
	ds_read2_b64 v[222:225], v1 offset0:74 offset1:75
	v_add_f64 v[74:75], v[74:75], -v[86:87]
	v_add_f64 v[76:77], v[76:77], -v[210:211]
	s_waitcnt lgkmcnt(0)
	v_mul_f64 v[86:87], v[224:225], v[88:89]
	v_mul_f64 v[210:211], v[222:223], v[88:89]
	v_fma_f64 v[86:87], v[222:223], v[230:231], -v[86:87]
	v_fma_f64 v[210:211], v[224:225], v[230:231], v[210:211]
	ds_read2_b64 v[222:225], v1 offset0:76 offset1:77
	v_add_f64 v[70:71], v[70:71], -v[86:87]
	v_add_f64 v[72:73], v[72:73], -v[210:211]
	s_waitcnt lgkmcnt(0)
	v_mul_f64 v[86:87], v[224:225], v[88:89]
	v_mul_f64 v[210:211], v[222:223], v[88:89]
	v_fma_f64 v[86:87], v[222:223], v[230:231], -v[86:87]
	v_fma_f64 v[210:211], v[224:225], v[230:231], v[210:211]
	ds_read2_b64 v[222:225], v1 offset0:78 offset1:79
	v_add_f64 v[66:67], v[66:67], -v[86:87]
	v_add_f64 v[68:69], v[68:69], -v[210:211]
	s_waitcnt lgkmcnt(0)
	v_mul_f64 v[86:87], v[224:225], v[88:89]
	v_mul_f64 v[210:211], v[222:223], v[88:89]
	v_fma_f64 v[86:87], v[222:223], v[230:231], -v[86:87]
	v_fma_f64 v[210:211], v[224:225], v[230:231], v[210:211]
	ds_read2_b64 v[222:225], v1 offset0:80 offset1:81
	v_add_f64 v[62:63], v[62:63], -v[86:87]
	v_add_f64 v[64:65], v[64:65], -v[210:211]
	s_waitcnt lgkmcnt(0)
	v_mul_f64 v[86:87], v[224:225], v[88:89]
	v_mul_f64 v[210:211], v[222:223], v[88:89]
	v_fma_f64 v[86:87], v[222:223], v[230:231], -v[86:87]
	v_fma_f64 v[210:211], v[224:225], v[230:231], v[210:211]
	ds_read2_b64 v[222:225], v1 offset0:82 offset1:83
	v_add_f64 v[58:59], v[58:59], -v[86:87]
	v_add_f64 v[60:61], v[60:61], -v[210:211]
	s_waitcnt lgkmcnt(0)
	v_mul_f64 v[86:87], v[224:225], v[88:89]
	v_mul_f64 v[210:211], v[222:223], v[88:89]
	v_fma_f64 v[86:87], v[222:223], v[230:231], -v[86:87]
	v_fma_f64 v[210:211], v[224:225], v[230:231], v[210:211]
	ds_read2_b64 v[222:225], v1 offset0:84 offset1:85
	v_add_f64 v[54:55], v[54:55], -v[86:87]
	v_add_f64 v[56:57], v[56:57], -v[210:211]
	s_waitcnt lgkmcnt(0)
	v_mul_f64 v[86:87], v[224:225], v[88:89]
	v_mul_f64 v[210:211], v[222:223], v[88:89]
	v_fma_f64 v[86:87], v[222:223], v[230:231], -v[86:87]
	v_fma_f64 v[210:211], v[224:225], v[230:231], v[210:211]
	ds_read2_b64 v[222:225], v1 offset0:86 offset1:87
	v_add_f64 v[50:51], v[50:51], -v[86:87]
	v_add_f64 v[52:53], v[52:53], -v[210:211]
	s_waitcnt lgkmcnt(0)
	v_mul_f64 v[86:87], v[224:225], v[88:89]
	v_mul_f64 v[210:211], v[222:223], v[88:89]
	v_fma_f64 v[86:87], v[222:223], v[230:231], -v[86:87]
	v_fma_f64 v[210:211], v[224:225], v[230:231], v[210:211]
	ds_read2_b64 v[222:225], v1 offset0:88 offset1:89
	v_add_f64 v[46:47], v[46:47], -v[86:87]
	v_add_f64 v[48:49], v[48:49], -v[210:211]
	s_waitcnt lgkmcnt(0)
	v_mul_f64 v[86:87], v[224:225], v[88:89]
	v_mul_f64 v[210:211], v[222:223], v[88:89]
	v_fma_f64 v[86:87], v[222:223], v[230:231], -v[86:87]
	v_fma_f64 v[210:211], v[224:225], v[230:231], v[210:211]
	ds_read2_b64 v[222:225], v1 offset0:90 offset1:91
	v_add_f64 v[42:43], v[42:43], -v[86:87]
	v_add_f64 v[44:45], v[44:45], -v[210:211]
	s_waitcnt lgkmcnt(0)
	v_mul_f64 v[86:87], v[224:225], v[88:89]
	v_mul_f64 v[210:211], v[222:223], v[88:89]
	v_fma_f64 v[86:87], v[222:223], v[230:231], -v[86:87]
	v_fma_f64 v[210:211], v[224:225], v[230:231], v[210:211]
	ds_read2_b64 v[222:225], v1 offset0:92 offset1:93
	v_add_f64 v[38:39], v[38:39], -v[86:87]
	v_add_f64 v[40:41], v[40:41], -v[210:211]
	s_waitcnt lgkmcnt(0)
	v_mul_f64 v[86:87], v[224:225], v[88:89]
	v_mul_f64 v[210:211], v[222:223], v[88:89]
	v_fma_f64 v[86:87], v[222:223], v[230:231], -v[86:87]
	v_fma_f64 v[210:211], v[224:225], v[230:231], v[210:211]
	ds_read2_b64 v[222:225], v1 offset0:94 offset1:95
	v_add_f64 v[34:35], v[34:35], -v[86:87]
	v_add_f64 v[36:37], v[36:37], -v[210:211]
	s_waitcnt lgkmcnt(0)
	v_mul_f64 v[86:87], v[224:225], v[88:89]
	v_mul_f64 v[210:211], v[222:223], v[88:89]
	v_fma_f64 v[86:87], v[222:223], v[230:231], -v[86:87]
	v_fma_f64 v[210:211], v[224:225], v[230:231], v[210:211]
	ds_read2_b64 v[222:225], v1 offset0:96 offset1:97
	v_add_f64 v[30:31], v[30:31], -v[86:87]
	v_add_f64 v[32:33], v[32:33], -v[210:211]
	s_waitcnt lgkmcnt(0)
	v_mul_f64 v[86:87], v[224:225], v[88:89]
	v_mul_f64 v[210:211], v[222:223], v[88:89]
	v_fma_f64 v[86:87], v[222:223], v[230:231], -v[86:87]
	v_fma_f64 v[210:211], v[224:225], v[230:231], v[210:211]
	ds_read2_b64 v[222:225], v1 offset0:98 offset1:99
	v_add_f64 v[26:27], v[26:27], -v[86:87]
	v_add_f64 v[28:29], v[28:29], -v[210:211]
	s_waitcnt lgkmcnt(0)
	v_mul_f64 v[86:87], v[224:225], v[88:89]
	v_mul_f64 v[210:211], v[222:223], v[88:89]
	v_fma_f64 v[86:87], v[222:223], v[230:231], -v[86:87]
	v_fma_f64 v[210:211], v[224:225], v[230:231], v[210:211]
	ds_read2_b64 v[222:225], v1 offset0:100 offset1:101
	v_add_f64 v[22:23], v[22:23], -v[86:87]
	v_add_f64 v[24:25], v[24:25], -v[210:211]
	s_waitcnt lgkmcnt(0)
	v_mul_f64 v[86:87], v[224:225], v[88:89]
	v_mul_f64 v[210:211], v[222:223], v[88:89]
	v_fma_f64 v[86:87], v[222:223], v[230:231], -v[86:87]
	v_fma_f64 v[210:211], v[224:225], v[230:231], v[210:211]
	ds_read2_b64 v[222:225], v1 offset0:102 offset1:103
	v_add_f64 v[18:19], v[18:19], -v[86:87]
	v_add_f64 v[20:21], v[20:21], -v[210:211]
	s_waitcnt lgkmcnt(0)
	v_mul_f64 v[86:87], v[224:225], v[88:89]
	v_mul_f64 v[210:211], v[222:223], v[88:89]
	v_fma_f64 v[86:87], v[222:223], v[230:231], -v[86:87]
	v_fma_f64 v[210:211], v[224:225], v[230:231], v[210:211]
	ds_read2_b64 v[222:225], v1 offset0:104 offset1:105
	v_add_f64 v[14:15], v[14:15], -v[86:87]
	v_add_f64 v[16:17], v[16:17], -v[210:211]
	s_waitcnt lgkmcnt(0)
	v_mul_f64 v[86:87], v[224:225], v[88:89]
	v_mul_f64 v[210:211], v[222:223], v[88:89]
	v_fma_f64 v[86:87], v[222:223], v[230:231], -v[86:87]
	v_fma_f64 v[210:211], v[224:225], v[230:231], v[210:211]
	ds_read2_b64 v[222:225], v1 offset0:106 offset1:107
	v_add_f64 v[10:11], v[10:11], -v[86:87]
	v_add_f64 v[12:13], v[12:13], -v[210:211]
	s_waitcnt lgkmcnt(0)
	v_mul_f64 v[86:87], v[224:225], v[88:89]
	v_mul_f64 v[210:211], v[222:223], v[88:89]
	v_fma_f64 v[86:87], v[222:223], v[230:231], -v[86:87]
	v_fma_f64 v[210:211], v[224:225], v[230:231], v[210:211]
	ds_read2_b64 v[222:225], v1 offset0:108 offset1:109
	v_add_f64 v[6:7], v[6:7], -v[86:87]
	v_add_f64 v[8:9], v[8:9], -v[210:211]
	s_waitcnt lgkmcnt(0)
	v_mul_f64 v[86:87], v[224:225], v[88:89]
	v_mul_f64 v[210:211], v[222:223], v[88:89]
	v_fma_f64 v[86:87], v[222:223], v[230:231], -v[86:87]
	v_fma_f64 v[210:211], v[224:225], v[230:231], v[210:211]
	v_add_f64 v[2:3], v[2:3], -v[86:87]
	v_add_f64 v[4:5], v[4:5], -v[210:211]
	v_mov_b32_e32 v86, v230
	v_mov_b32_e32 v87, v231
.LBB108_713:
	s_or_b32 exec_lo, exec_lo, s0
	v_lshl_add_u32 v210, v236, 4, v1
	s_barrier
	buffer_gl0_inv
	v_mov_b32_e32 v230, 34
	ds_write2_b64 v210, v[82:83], v[84:85] offset1:1
	s_waitcnt lgkmcnt(0)
	s_barrier
	buffer_gl0_inv
	ds_read2_b64 v[222:225], v1 offset0:68 offset1:69
	s_cmp_lt_i32 s8, 36
	s_cbranch_scc1 .LBB108_716
; %bb.714:
	v_add3_u32 v231, v253, 0, 0x230
	v_mov_b32_e32 v230, 34
	s_mov_b32 s1, 35
	s_inst_prefetch 0x1
	.p2align	6
.LBB108_715:                            ; =>This Inner Loop Header: Depth=1
	s_waitcnt lgkmcnt(0)
	v_cmp_gt_f64_e32 vcc_lo, 0, v[224:225]
	v_cmp_gt_f64_e64 s0, 0, v[222:223]
	ds_read2_b64 v[237:240], v231 offset1:1
	v_xor_b32_e32 v211, 0x80000000, v223
	v_xor_b32_e32 v213, 0x80000000, v225
	v_mov_b32_e32 v210, v222
	v_mov_b32_e32 v212, v224
	v_add_nc_u32_e32 v231, 16, v231
	s_waitcnt lgkmcnt(0)
	v_xor_b32_e32 v215, 0x80000000, v240
	v_cndmask_b32_e64 v211, v223, v211, s0
	v_cndmask_b32_e32 v213, v225, v213, vcc_lo
	v_cmp_gt_f64_e32 vcc_lo, 0, v[239:240]
	v_cmp_gt_f64_e64 s0, 0, v[237:238]
	v_mov_b32_e32 v214, v239
	v_add_f64 v[210:211], v[210:211], v[212:213]
	v_xor_b32_e32 v213, 0x80000000, v238
	v_mov_b32_e32 v212, v237
	v_cndmask_b32_e32 v215, v240, v215, vcc_lo
	v_cndmask_b32_e64 v213, v238, v213, s0
	v_add_f64 v[212:213], v[212:213], v[214:215]
	v_cmp_lt_f64_e32 vcc_lo, v[210:211], v[212:213]
	v_cndmask_b32_e32 v223, v223, v238, vcc_lo
	v_cndmask_b32_e32 v222, v222, v237, vcc_lo
	;; [unrolled: 1-line block ×4, first 2 shown]
	v_cndmask_b32_e64 v230, v230, s1, vcc_lo
	s_add_i32 s1, s1, 1
	s_cmp_lg_u32 s8, s1
	s_cbranch_scc1 .LBB108_715
.LBB108_716:
	s_inst_prefetch 0x2
	s_waitcnt lgkmcnt(0)
	v_cmp_eq_f64_e32 vcc_lo, 0, v[222:223]
	v_cmp_eq_f64_e64 s0, 0, v[224:225]
	s_and_b32 s0, vcc_lo, s0
	s_and_saveexec_b32 s1, s0
	s_xor_b32 s0, exec_lo, s1
; %bb.717:
	v_cmp_ne_u32_e32 vcc_lo, 0, v235
	v_cndmask_b32_e32 v235, 35, v235, vcc_lo
; %bb.718:
	s_andn2_saveexec_b32 s0, s0
	s_cbranch_execz .LBB108_724
; %bb.719:
	v_cmp_ngt_f64_e64 s1, |v[222:223]|, |v[224:225]|
	s_and_saveexec_b32 s7, s1
	s_xor_b32 s1, exec_lo, s7
	s_cbranch_execz .LBB108_721
; %bb.720:
	v_div_scale_f64 v[210:211], null, v[224:225], v[224:225], v[222:223]
	v_div_scale_f64 v[216:217], vcc_lo, v[222:223], v[224:225], v[222:223]
	v_rcp_f64_e32 v[212:213], v[210:211]
	v_fma_f64 v[214:215], -v[210:211], v[212:213], 1.0
	v_fma_f64 v[212:213], v[212:213], v[214:215], v[212:213]
	v_fma_f64 v[214:215], -v[210:211], v[212:213], 1.0
	v_fma_f64 v[212:213], v[212:213], v[214:215], v[212:213]
	v_mul_f64 v[214:215], v[216:217], v[212:213]
	v_fma_f64 v[210:211], -v[210:211], v[214:215], v[216:217]
	v_div_fmas_f64 v[210:211], v[210:211], v[212:213], v[214:215]
	v_div_fixup_f64 v[210:211], v[210:211], v[224:225], v[222:223]
	v_fma_f64 v[212:213], v[222:223], v[210:211], v[224:225]
	v_div_scale_f64 v[214:215], null, v[212:213], v[212:213], 1.0
	v_rcp_f64_e32 v[216:217], v[214:215]
	v_fma_f64 v[222:223], -v[214:215], v[216:217], 1.0
	v_fma_f64 v[216:217], v[216:217], v[222:223], v[216:217]
	v_fma_f64 v[222:223], -v[214:215], v[216:217], 1.0
	v_fma_f64 v[216:217], v[216:217], v[222:223], v[216:217]
	v_div_scale_f64 v[222:223], vcc_lo, 1.0, v[212:213], 1.0
	v_mul_f64 v[224:225], v[222:223], v[216:217]
	v_fma_f64 v[214:215], -v[214:215], v[224:225], v[222:223]
	v_div_fmas_f64 v[214:215], v[214:215], v[216:217], v[224:225]
	v_div_fixup_f64 v[224:225], v[214:215], v[212:213], 1.0
	v_mul_f64 v[222:223], v[210:211], v[224:225]
	v_xor_b32_e32 v225, 0x80000000, v225
.LBB108_721:
	s_andn2_saveexec_b32 s1, s1
	s_cbranch_execz .LBB108_723
; %bb.722:
	v_div_scale_f64 v[210:211], null, v[222:223], v[222:223], v[224:225]
	v_div_scale_f64 v[216:217], vcc_lo, v[224:225], v[222:223], v[224:225]
	v_rcp_f64_e32 v[212:213], v[210:211]
	v_fma_f64 v[214:215], -v[210:211], v[212:213], 1.0
	v_fma_f64 v[212:213], v[212:213], v[214:215], v[212:213]
	v_fma_f64 v[214:215], -v[210:211], v[212:213], 1.0
	v_fma_f64 v[212:213], v[212:213], v[214:215], v[212:213]
	v_mul_f64 v[214:215], v[216:217], v[212:213]
	v_fma_f64 v[210:211], -v[210:211], v[214:215], v[216:217]
	v_div_fmas_f64 v[210:211], v[210:211], v[212:213], v[214:215]
	v_div_fixup_f64 v[210:211], v[210:211], v[222:223], v[224:225]
	v_fma_f64 v[212:213], v[224:225], v[210:211], v[222:223]
	v_div_scale_f64 v[214:215], null, v[212:213], v[212:213], 1.0
	v_rcp_f64_e32 v[216:217], v[214:215]
	v_fma_f64 v[222:223], -v[214:215], v[216:217], 1.0
	v_fma_f64 v[216:217], v[216:217], v[222:223], v[216:217]
	v_fma_f64 v[222:223], -v[214:215], v[216:217], 1.0
	v_fma_f64 v[216:217], v[216:217], v[222:223], v[216:217]
	v_div_scale_f64 v[222:223], vcc_lo, 1.0, v[212:213], 1.0
	v_mul_f64 v[224:225], v[222:223], v[216:217]
	v_fma_f64 v[214:215], -v[214:215], v[224:225], v[222:223]
	v_div_fmas_f64 v[214:215], v[214:215], v[216:217], v[224:225]
	v_div_fixup_f64 v[222:223], v[214:215], v[212:213], 1.0
	v_mul_f64 v[224:225], v[210:211], -v[222:223]
.LBB108_723:
	s_or_b32 exec_lo, exec_lo, s1
.LBB108_724:
	s_or_b32 exec_lo, exec_lo, s0
	s_mov_b32 s0, exec_lo
	v_cmpx_ne_u32_e64 v236, v230
	s_xor_b32 s0, exec_lo, s0
	s_cbranch_execz .LBB108_730
; %bb.725:
	s_mov_b32 s1, exec_lo
	v_cmpx_eq_u32_e32 34, v236
	s_cbranch_execz .LBB108_729
; %bb.726:
	v_cmp_ne_u32_e32 vcc_lo, 34, v230
	s_xor_b32 s7, s16, -1
	s_and_b32 s9, s7, vcc_lo
	s_and_saveexec_b32 s7, s9
	s_cbranch_execz .LBB108_728
; %bb.727:
	v_ashrrev_i32_e32 v231, 31, v230
	v_lshlrev_b64 v[210:211], 2, v[230:231]
	v_add_co_u32 v210, vcc_lo, v218, v210
	v_add_co_ci_u32_e64 v211, null, v219, v211, vcc_lo
	s_clause 0x1
	global_load_dword v0, v[210:211], off
	global_load_dword v212, v[218:219], off offset:136
	s_waitcnt vmcnt(1)
	global_store_dword v[218:219], v0, off offset:136
	s_waitcnt vmcnt(0)
	global_store_dword v[210:211], v212, off
.LBB108_728:
	s_or_b32 exec_lo, exec_lo, s7
	v_mov_b32_e32 v236, v230
	v_mov_b32_e32 v0, v230
.LBB108_729:
	s_or_b32 exec_lo, exec_lo, s1
.LBB108_730:
	s_andn2_saveexec_b32 s0, s0
	s_cbranch_execz .LBB108_732
; %bb.731:
	v_mov_b32_e32 v236, 34
	ds_write2_b64 v1, v[78:79], v[80:81] offset0:70 offset1:71
	ds_write2_b64 v1, v[74:75], v[76:77] offset0:72 offset1:73
	;; [unrolled: 1-line block ×20, first 2 shown]
.LBB108_732:
	s_or_b32 exec_lo, exec_lo, s0
	s_mov_b32 s0, exec_lo
	s_waitcnt lgkmcnt(0)
	s_waitcnt_vscnt null, 0x0
	s_barrier
	buffer_gl0_inv
	v_cmpx_lt_i32_e32 34, v236
	s_cbranch_execz .LBB108_734
; %bb.733:
	v_mul_f64 v[210:211], v[224:225], v[84:85]
	v_mul_f64 v[84:85], v[222:223], v[84:85]
	v_fma_f64 v[230:231], v[222:223], v[82:83], -v[210:211]
	v_fma_f64 v[84:85], v[224:225], v[82:83], v[84:85]
	ds_read2_b64 v[222:225], v1 offset0:70 offset1:71
	s_waitcnt lgkmcnt(0)
	v_mul_f64 v[82:83], v[224:225], v[84:85]
	v_mul_f64 v[210:211], v[222:223], v[84:85]
	v_fma_f64 v[82:83], v[222:223], v[230:231], -v[82:83]
	v_fma_f64 v[210:211], v[224:225], v[230:231], v[210:211]
	ds_read2_b64 v[222:225], v1 offset0:72 offset1:73
	v_add_f64 v[78:79], v[78:79], -v[82:83]
	v_add_f64 v[80:81], v[80:81], -v[210:211]
	s_waitcnt lgkmcnt(0)
	v_mul_f64 v[82:83], v[224:225], v[84:85]
	v_mul_f64 v[210:211], v[222:223], v[84:85]
	v_fma_f64 v[82:83], v[222:223], v[230:231], -v[82:83]
	v_fma_f64 v[210:211], v[224:225], v[230:231], v[210:211]
	ds_read2_b64 v[222:225], v1 offset0:74 offset1:75
	v_add_f64 v[74:75], v[74:75], -v[82:83]
	v_add_f64 v[76:77], v[76:77], -v[210:211]
	s_waitcnt lgkmcnt(0)
	v_mul_f64 v[82:83], v[224:225], v[84:85]
	v_mul_f64 v[210:211], v[222:223], v[84:85]
	v_fma_f64 v[82:83], v[222:223], v[230:231], -v[82:83]
	v_fma_f64 v[210:211], v[224:225], v[230:231], v[210:211]
	ds_read2_b64 v[222:225], v1 offset0:76 offset1:77
	v_add_f64 v[70:71], v[70:71], -v[82:83]
	v_add_f64 v[72:73], v[72:73], -v[210:211]
	s_waitcnt lgkmcnt(0)
	v_mul_f64 v[82:83], v[224:225], v[84:85]
	v_mul_f64 v[210:211], v[222:223], v[84:85]
	v_fma_f64 v[82:83], v[222:223], v[230:231], -v[82:83]
	v_fma_f64 v[210:211], v[224:225], v[230:231], v[210:211]
	ds_read2_b64 v[222:225], v1 offset0:78 offset1:79
	v_add_f64 v[66:67], v[66:67], -v[82:83]
	v_add_f64 v[68:69], v[68:69], -v[210:211]
	s_waitcnt lgkmcnt(0)
	v_mul_f64 v[82:83], v[224:225], v[84:85]
	v_mul_f64 v[210:211], v[222:223], v[84:85]
	v_fma_f64 v[82:83], v[222:223], v[230:231], -v[82:83]
	v_fma_f64 v[210:211], v[224:225], v[230:231], v[210:211]
	ds_read2_b64 v[222:225], v1 offset0:80 offset1:81
	v_add_f64 v[62:63], v[62:63], -v[82:83]
	v_add_f64 v[64:65], v[64:65], -v[210:211]
	s_waitcnt lgkmcnt(0)
	v_mul_f64 v[82:83], v[224:225], v[84:85]
	v_mul_f64 v[210:211], v[222:223], v[84:85]
	v_fma_f64 v[82:83], v[222:223], v[230:231], -v[82:83]
	v_fma_f64 v[210:211], v[224:225], v[230:231], v[210:211]
	ds_read2_b64 v[222:225], v1 offset0:82 offset1:83
	v_add_f64 v[58:59], v[58:59], -v[82:83]
	v_add_f64 v[60:61], v[60:61], -v[210:211]
	s_waitcnt lgkmcnt(0)
	v_mul_f64 v[82:83], v[224:225], v[84:85]
	v_mul_f64 v[210:211], v[222:223], v[84:85]
	v_fma_f64 v[82:83], v[222:223], v[230:231], -v[82:83]
	v_fma_f64 v[210:211], v[224:225], v[230:231], v[210:211]
	ds_read2_b64 v[222:225], v1 offset0:84 offset1:85
	v_add_f64 v[54:55], v[54:55], -v[82:83]
	v_add_f64 v[56:57], v[56:57], -v[210:211]
	s_waitcnt lgkmcnt(0)
	v_mul_f64 v[82:83], v[224:225], v[84:85]
	v_mul_f64 v[210:211], v[222:223], v[84:85]
	v_fma_f64 v[82:83], v[222:223], v[230:231], -v[82:83]
	v_fma_f64 v[210:211], v[224:225], v[230:231], v[210:211]
	ds_read2_b64 v[222:225], v1 offset0:86 offset1:87
	v_add_f64 v[50:51], v[50:51], -v[82:83]
	v_add_f64 v[52:53], v[52:53], -v[210:211]
	s_waitcnt lgkmcnt(0)
	v_mul_f64 v[82:83], v[224:225], v[84:85]
	v_mul_f64 v[210:211], v[222:223], v[84:85]
	v_fma_f64 v[82:83], v[222:223], v[230:231], -v[82:83]
	v_fma_f64 v[210:211], v[224:225], v[230:231], v[210:211]
	ds_read2_b64 v[222:225], v1 offset0:88 offset1:89
	v_add_f64 v[46:47], v[46:47], -v[82:83]
	v_add_f64 v[48:49], v[48:49], -v[210:211]
	s_waitcnt lgkmcnt(0)
	v_mul_f64 v[82:83], v[224:225], v[84:85]
	v_mul_f64 v[210:211], v[222:223], v[84:85]
	v_fma_f64 v[82:83], v[222:223], v[230:231], -v[82:83]
	v_fma_f64 v[210:211], v[224:225], v[230:231], v[210:211]
	ds_read2_b64 v[222:225], v1 offset0:90 offset1:91
	v_add_f64 v[42:43], v[42:43], -v[82:83]
	v_add_f64 v[44:45], v[44:45], -v[210:211]
	s_waitcnt lgkmcnt(0)
	v_mul_f64 v[82:83], v[224:225], v[84:85]
	v_mul_f64 v[210:211], v[222:223], v[84:85]
	v_fma_f64 v[82:83], v[222:223], v[230:231], -v[82:83]
	v_fma_f64 v[210:211], v[224:225], v[230:231], v[210:211]
	ds_read2_b64 v[222:225], v1 offset0:92 offset1:93
	v_add_f64 v[38:39], v[38:39], -v[82:83]
	v_add_f64 v[40:41], v[40:41], -v[210:211]
	s_waitcnt lgkmcnt(0)
	v_mul_f64 v[82:83], v[224:225], v[84:85]
	v_mul_f64 v[210:211], v[222:223], v[84:85]
	v_fma_f64 v[82:83], v[222:223], v[230:231], -v[82:83]
	v_fma_f64 v[210:211], v[224:225], v[230:231], v[210:211]
	ds_read2_b64 v[222:225], v1 offset0:94 offset1:95
	v_add_f64 v[34:35], v[34:35], -v[82:83]
	v_add_f64 v[36:37], v[36:37], -v[210:211]
	s_waitcnt lgkmcnt(0)
	v_mul_f64 v[82:83], v[224:225], v[84:85]
	v_mul_f64 v[210:211], v[222:223], v[84:85]
	v_fma_f64 v[82:83], v[222:223], v[230:231], -v[82:83]
	v_fma_f64 v[210:211], v[224:225], v[230:231], v[210:211]
	ds_read2_b64 v[222:225], v1 offset0:96 offset1:97
	v_add_f64 v[30:31], v[30:31], -v[82:83]
	v_add_f64 v[32:33], v[32:33], -v[210:211]
	s_waitcnt lgkmcnt(0)
	v_mul_f64 v[82:83], v[224:225], v[84:85]
	v_mul_f64 v[210:211], v[222:223], v[84:85]
	v_fma_f64 v[82:83], v[222:223], v[230:231], -v[82:83]
	v_fma_f64 v[210:211], v[224:225], v[230:231], v[210:211]
	ds_read2_b64 v[222:225], v1 offset0:98 offset1:99
	v_add_f64 v[26:27], v[26:27], -v[82:83]
	v_add_f64 v[28:29], v[28:29], -v[210:211]
	s_waitcnt lgkmcnt(0)
	v_mul_f64 v[82:83], v[224:225], v[84:85]
	v_mul_f64 v[210:211], v[222:223], v[84:85]
	v_fma_f64 v[82:83], v[222:223], v[230:231], -v[82:83]
	v_fma_f64 v[210:211], v[224:225], v[230:231], v[210:211]
	ds_read2_b64 v[222:225], v1 offset0:100 offset1:101
	v_add_f64 v[22:23], v[22:23], -v[82:83]
	v_add_f64 v[24:25], v[24:25], -v[210:211]
	s_waitcnt lgkmcnt(0)
	v_mul_f64 v[82:83], v[224:225], v[84:85]
	v_mul_f64 v[210:211], v[222:223], v[84:85]
	v_fma_f64 v[82:83], v[222:223], v[230:231], -v[82:83]
	v_fma_f64 v[210:211], v[224:225], v[230:231], v[210:211]
	ds_read2_b64 v[222:225], v1 offset0:102 offset1:103
	v_add_f64 v[18:19], v[18:19], -v[82:83]
	v_add_f64 v[20:21], v[20:21], -v[210:211]
	s_waitcnt lgkmcnt(0)
	v_mul_f64 v[82:83], v[224:225], v[84:85]
	v_mul_f64 v[210:211], v[222:223], v[84:85]
	v_fma_f64 v[82:83], v[222:223], v[230:231], -v[82:83]
	v_fma_f64 v[210:211], v[224:225], v[230:231], v[210:211]
	ds_read2_b64 v[222:225], v1 offset0:104 offset1:105
	v_add_f64 v[14:15], v[14:15], -v[82:83]
	v_add_f64 v[16:17], v[16:17], -v[210:211]
	s_waitcnt lgkmcnt(0)
	v_mul_f64 v[82:83], v[224:225], v[84:85]
	v_mul_f64 v[210:211], v[222:223], v[84:85]
	v_fma_f64 v[82:83], v[222:223], v[230:231], -v[82:83]
	v_fma_f64 v[210:211], v[224:225], v[230:231], v[210:211]
	ds_read2_b64 v[222:225], v1 offset0:106 offset1:107
	v_add_f64 v[10:11], v[10:11], -v[82:83]
	v_add_f64 v[12:13], v[12:13], -v[210:211]
	s_waitcnt lgkmcnt(0)
	v_mul_f64 v[82:83], v[224:225], v[84:85]
	v_mul_f64 v[210:211], v[222:223], v[84:85]
	v_fma_f64 v[82:83], v[222:223], v[230:231], -v[82:83]
	v_fma_f64 v[210:211], v[224:225], v[230:231], v[210:211]
	ds_read2_b64 v[222:225], v1 offset0:108 offset1:109
	v_add_f64 v[6:7], v[6:7], -v[82:83]
	v_add_f64 v[8:9], v[8:9], -v[210:211]
	s_waitcnt lgkmcnt(0)
	v_mul_f64 v[82:83], v[224:225], v[84:85]
	v_mul_f64 v[210:211], v[222:223], v[84:85]
	v_fma_f64 v[82:83], v[222:223], v[230:231], -v[82:83]
	v_fma_f64 v[210:211], v[224:225], v[230:231], v[210:211]
	v_add_f64 v[2:3], v[2:3], -v[82:83]
	v_add_f64 v[4:5], v[4:5], -v[210:211]
	v_mov_b32_e32 v82, v230
	v_mov_b32_e32 v83, v231
.LBB108_734:
	s_or_b32 exec_lo, exec_lo, s0
	v_lshl_add_u32 v210, v236, 4, v1
	s_barrier
	buffer_gl0_inv
	v_mov_b32_e32 v230, 35
	ds_write2_b64 v210, v[78:79], v[80:81] offset1:1
	s_waitcnt lgkmcnt(0)
	s_barrier
	buffer_gl0_inv
	ds_read2_b64 v[222:225], v1 offset0:70 offset1:71
	s_cmp_lt_i32 s8, 37
	s_cbranch_scc1 .LBB108_737
; %bb.735:
	v_add3_u32 v231, v253, 0, 0x240
	v_mov_b32_e32 v230, 35
	s_mov_b32 s1, 36
	s_inst_prefetch 0x1
	.p2align	6
.LBB108_736:                            ; =>This Inner Loop Header: Depth=1
	s_waitcnt lgkmcnt(0)
	v_cmp_gt_f64_e32 vcc_lo, 0, v[224:225]
	v_cmp_gt_f64_e64 s0, 0, v[222:223]
	ds_read2_b64 v[237:240], v231 offset1:1
	v_xor_b32_e32 v211, 0x80000000, v223
	v_xor_b32_e32 v213, 0x80000000, v225
	v_mov_b32_e32 v210, v222
	v_mov_b32_e32 v212, v224
	v_add_nc_u32_e32 v231, 16, v231
	s_waitcnt lgkmcnt(0)
	v_xor_b32_e32 v215, 0x80000000, v240
	v_cndmask_b32_e64 v211, v223, v211, s0
	v_cndmask_b32_e32 v213, v225, v213, vcc_lo
	v_cmp_gt_f64_e32 vcc_lo, 0, v[239:240]
	v_cmp_gt_f64_e64 s0, 0, v[237:238]
	v_mov_b32_e32 v214, v239
	v_add_f64 v[210:211], v[210:211], v[212:213]
	v_xor_b32_e32 v213, 0x80000000, v238
	v_mov_b32_e32 v212, v237
	v_cndmask_b32_e32 v215, v240, v215, vcc_lo
	v_cndmask_b32_e64 v213, v238, v213, s0
	v_add_f64 v[212:213], v[212:213], v[214:215]
	v_cmp_lt_f64_e32 vcc_lo, v[210:211], v[212:213]
	v_cndmask_b32_e32 v223, v223, v238, vcc_lo
	v_cndmask_b32_e32 v222, v222, v237, vcc_lo
	v_cndmask_b32_e32 v225, v225, v240, vcc_lo
	v_cndmask_b32_e32 v224, v224, v239, vcc_lo
	v_cndmask_b32_e64 v230, v230, s1, vcc_lo
	s_add_i32 s1, s1, 1
	s_cmp_lg_u32 s8, s1
	s_cbranch_scc1 .LBB108_736
.LBB108_737:
	s_inst_prefetch 0x2
	s_waitcnt lgkmcnt(0)
	v_cmp_eq_f64_e32 vcc_lo, 0, v[222:223]
	v_cmp_eq_f64_e64 s0, 0, v[224:225]
	s_and_b32 s0, vcc_lo, s0
	s_and_saveexec_b32 s1, s0
	s_xor_b32 s0, exec_lo, s1
; %bb.738:
	v_cmp_ne_u32_e32 vcc_lo, 0, v235
	v_cndmask_b32_e32 v235, 36, v235, vcc_lo
; %bb.739:
	s_andn2_saveexec_b32 s0, s0
	s_cbranch_execz .LBB108_745
; %bb.740:
	v_cmp_ngt_f64_e64 s1, |v[222:223]|, |v[224:225]|
	s_and_saveexec_b32 s7, s1
	s_xor_b32 s1, exec_lo, s7
	s_cbranch_execz .LBB108_742
; %bb.741:
	v_div_scale_f64 v[210:211], null, v[224:225], v[224:225], v[222:223]
	v_div_scale_f64 v[216:217], vcc_lo, v[222:223], v[224:225], v[222:223]
	v_rcp_f64_e32 v[212:213], v[210:211]
	v_fma_f64 v[214:215], -v[210:211], v[212:213], 1.0
	v_fma_f64 v[212:213], v[212:213], v[214:215], v[212:213]
	v_fma_f64 v[214:215], -v[210:211], v[212:213], 1.0
	v_fma_f64 v[212:213], v[212:213], v[214:215], v[212:213]
	v_mul_f64 v[214:215], v[216:217], v[212:213]
	v_fma_f64 v[210:211], -v[210:211], v[214:215], v[216:217]
	v_div_fmas_f64 v[210:211], v[210:211], v[212:213], v[214:215]
	v_div_fixup_f64 v[210:211], v[210:211], v[224:225], v[222:223]
	v_fma_f64 v[212:213], v[222:223], v[210:211], v[224:225]
	v_div_scale_f64 v[214:215], null, v[212:213], v[212:213], 1.0
	v_rcp_f64_e32 v[216:217], v[214:215]
	v_fma_f64 v[222:223], -v[214:215], v[216:217], 1.0
	v_fma_f64 v[216:217], v[216:217], v[222:223], v[216:217]
	v_fma_f64 v[222:223], -v[214:215], v[216:217], 1.0
	v_fma_f64 v[216:217], v[216:217], v[222:223], v[216:217]
	v_div_scale_f64 v[222:223], vcc_lo, 1.0, v[212:213], 1.0
	v_mul_f64 v[224:225], v[222:223], v[216:217]
	v_fma_f64 v[214:215], -v[214:215], v[224:225], v[222:223]
	v_div_fmas_f64 v[214:215], v[214:215], v[216:217], v[224:225]
	v_div_fixup_f64 v[224:225], v[214:215], v[212:213], 1.0
	v_mul_f64 v[222:223], v[210:211], v[224:225]
	v_xor_b32_e32 v225, 0x80000000, v225
.LBB108_742:
	s_andn2_saveexec_b32 s1, s1
	s_cbranch_execz .LBB108_744
; %bb.743:
	v_div_scale_f64 v[210:211], null, v[222:223], v[222:223], v[224:225]
	v_div_scale_f64 v[216:217], vcc_lo, v[224:225], v[222:223], v[224:225]
	v_rcp_f64_e32 v[212:213], v[210:211]
	v_fma_f64 v[214:215], -v[210:211], v[212:213], 1.0
	v_fma_f64 v[212:213], v[212:213], v[214:215], v[212:213]
	v_fma_f64 v[214:215], -v[210:211], v[212:213], 1.0
	v_fma_f64 v[212:213], v[212:213], v[214:215], v[212:213]
	v_mul_f64 v[214:215], v[216:217], v[212:213]
	v_fma_f64 v[210:211], -v[210:211], v[214:215], v[216:217]
	v_div_fmas_f64 v[210:211], v[210:211], v[212:213], v[214:215]
	v_div_fixup_f64 v[210:211], v[210:211], v[222:223], v[224:225]
	v_fma_f64 v[212:213], v[224:225], v[210:211], v[222:223]
	v_div_scale_f64 v[214:215], null, v[212:213], v[212:213], 1.0
	v_rcp_f64_e32 v[216:217], v[214:215]
	v_fma_f64 v[222:223], -v[214:215], v[216:217], 1.0
	v_fma_f64 v[216:217], v[216:217], v[222:223], v[216:217]
	v_fma_f64 v[222:223], -v[214:215], v[216:217], 1.0
	v_fma_f64 v[216:217], v[216:217], v[222:223], v[216:217]
	v_div_scale_f64 v[222:223], vcc_lo, 1.0, v[212:213], 1.0
	v_mul_f64 v[224:225], v[222:223], v[216:217]
	v_fma_f64 v[214:215], -v[214:215], v[224:225], v[222:223]
	v_div_fmas_f64 v[214:215], v[214:215], v[216:217], v[224:225]
	v_div_fixup_f64 v[222:223], v[214:215], v[212:213], 1.0
	v_mul_f64 v[224:225], v[210:211], -v[222:223]
.LBB108_744:
	s_or_b32 exec_lo, exec_lo, s1
.LBB108_745:
	s_or_b32 exec_lo, exec_lo, s0
	s_mov_b32 s0, exec_lo
	v_cmpx_ne_u32_e64 v236, v230
	s_xor_b32 s0, exec_lo, s0
	s_cbranch_execz .LBB108_751
; %bb.746:
	s_mov_b32 s1, exec_lo
	v_cmpx_eq_u32_e32 35, v236
	s_cbranch_execz .LBB108_750
; %bb.747:
	v_cmp_ne_u32_e32 vcc_lo, 35, v230
	s_xor_b32 s7, s16, -1
	s_and_b32 s9, s7, vcc_lo
	s_and_saveexec_b32 s7, s9
	s_cbranch_execz .LBB108_749
; %bb.748:
	v_ashrrev_i32_e32 v231, 31, v230
	v_lshlrev_b64 v[210:211], 2, v[230:231]
	v_add_co_u32 v210, vcc_lo, v218, v210
	v_add_co_ci_u32_e64 v211, null, v219, v211, vcc_lo
	s_clause 0x1
	global_load_dword v0, v[210:211], off
	global_load_dword v212, v[218:219], off offset:140
	s_waitcnt vmcnt(1)
	global_store_dword v[218:219], v0, off offset:140
	s_waitcnt vmcnt(0)
	global_store_dword v[210:211], v212, off
.LBB108_749:
	s_or_b32 exec_lo, exec_lo, s7
	v_mov_b32_e32 v236, v230
	v_mov_b32_e32 v0, v230
.LBB108_750:
	s_or_b32 exec_lo, exec_lo, s1
.LBB108_751:
	s_andn2_saveexec_b32 s0, s0
	s_cbranch_execz .LBB108_753
; %bb.752:
	v_mov_b32_e32 v236, 35
	ds_write2_b64 v1, v[74:75], v[76:77] offset0:72 offset1:73
	ds_write2_b64 v1, v[70:71], v[72:73] offset0:74 offset1:75
	;; [unrolled: 1-line block ×19, first 2 shown]
.LBB108_753:
	s_or_b32 exec_lo, exec_lo, s0
	s_mov_b32 s0, exec_lo
	s_waitcnt lgkmcnt(0)
	s_waitcnt_vscnt null, 0x0
	s_barrier
	buffer_gl0_inv
	v_cmpx_lt_i32_e32 35, v236
	s_cbranch_execz .LBB108_755
; %bb.754:
	v_mul_f64 v[210:211], v[224:225], v[80:81]
	v_mul_f64 v[80:81], v[222:223], v[80:81]
	v_fma_f64 v[230:231], v[222:223], v[78:79], -v[210:211]
	v_fma_f64 v[80:81], v[224:225], v[78:79], v[80:81]
	ds_read2_b64 v[222:225], v1 offset0:72 offset1:73
	s_waitcnt lgkmcnt(0)
	v_mul_f64 v[78:79], v[224:225], v[80:81]
	v_mul_f64 v[210:211], v[222:223], v[80:81]
	v_fma_f64 v[78:79], v[222:223], v[230:231], -v[78:79]
	v_fma_f64 v[210:211], v[224:225], v[230:231], v[210:211]
	ds_read2_b64 v[222:225], v1 offset0:74 offset1:75
	v_add_f64 v[74:75], v[74:75], -v[78:79]
	v_add_f64 v[76:77], v[76:77], -v[210:211]
	s_waitcnt lgkmcnt(0)
	v_mul_f64 v[78:79], v[224:225], v[80:81]
	v_mul_f64 v[210:211], v[222:223], v[80:81]
	v_fma_f64 v[78:79], v[222:223], v[230:231], -v[78:79]
	v_fma_f64 v[210:211], v[224:225], v[230:231], v[210:211]
	ds_read2_b64 v[222:225], v1 offset0:76 offset1:77
	v_add_f64 v[70:71], v[70:71], -v[78:79]
	v_add_f64 v[72:73], v[72:73], -v[210:211]
	;; [unrolled: 8-line block ×18, first 2 shown]
	s_waitcnt lgkmcnt(0)
	v_mul_f64 v[78:79], v[224:225], v[80:81]
	v_mul_f64 v[210:211], v[222:223], v[80:81]
	v_fma_f64 v[78:79], v[222:223], v[230:231], -v[78:79]
	v_fma_f64 v[210:211], v[224:225], v[230:231], v[210:211]
	v_add_f64 v[2:3], v[2:3], -v[78:79]
	v_add_f64 v[4:5], v[4:5], -v[210:211]
	v_mov_b32_e32 v78, v230
	v_mov_b32_e32 v79, v231
.LBB108_755:
	s_or_b32 exec_lo, exec_lo, s0
	v_lshl_add_u32 v210, v236, 4, v1
	s_barrier
	buffer_gl0_inv
	v_mov_b32_e32 v230, 36
	ds_write2_b64 v210, v[74:75], v[76:77] offset1:1
	s_waitcnt lgkmcnt(0)
	s_barrier
	buffer_gl0_inv
	ds_read2_b64 v[222:225], v1 offset0:72 offset1:73
	s_cmp_lt_i32 s8, 38
	s_cbranch_scc1 .LBB108_758
; %bb.756:
	v_add3_u32 v231, v253, 0, 0x250
	v_mov_b32_e32 v230, 36
	s_mov_b32 s1, 37
	s_inst_prefetch 0x1
	.p2align	6
.LBB108_757:                            ; =>This Inner Loop Header: Depth=1
	s_waitcnt lgkmcnt(0)
	v_cmp_gt_f64_e32 vcc_lo, 0, v[224:225]
	v_cmp_gt_f64_e64 s0, 0, v[222:223]
	ds_read2_b64 v[237:240], v231 offset1:1
	v_xor_b32_e32 v211, 0x80000000, v223
	v_xor_b32_e32 v213, 0x80000000, v225
	v_mov_b32_e32 v210, v222
	v_mov_b32_e32 v212, v224
	v_add_nc_u32_e32 v231, 16, v231
	s_waitcnt lgkmcnt(0)
	v_xor_b32_e32 v215, 0x80000000, v240
	v_cndmask_b32_e64 v211, v223, v211, s0
	v_cndmask_b32_e32 v213, v225, v213, vcc_lo
	v_cmp_gt_f64_e32 vcc_lo, 0, v[239:240]
	v_cmp_gt_f64_e64 s0, 0, v[237:238]
	v_mov_b32_e32 v214, v239
	v_add_f64 v[210:211], v[210:211], v[212:213]
	v_xor_b32_e32 v213, 0x80000000, v238
	v_mov_b32_e32 v212, v237
	v_cndmask_b32_e32 v215, v240, v215, vcc_lo
	v_cndmask_b32_e64 v213, v238, v213, s0
	v_add_f64 v[212:213], v[212:213], v[214:215]
	v_cmp_lt_f64_e32 vcc_lo, v[210:211], v[212:213]
	v_cndmask_b32_e32 v223, v223, v238, vcc_lo
	v_cndmask_b32_e32 v222, v222, v237, vcc_lo
	;; [unrolled: 1-line block ×4, first 2 shown]
	v_cndmask_b32_e64 v230, v230, s1, vcc_lo
	s_add_i32 s1, s1, 1
	s_cmp_lg_u32 s8, s1
	s_cbranch_scc1 .LBB108_757
.LBB108_758:
	s_inst_prefetch 0x2
	s_waitcnt lgkmcnt(0)
	v_cmp_eq_f64_e32 vcc_lo, 0, v[222:223]
	v_cmp_eq_f64_e64 s0, 0, v[224:225]
	s_and_b32 s0, vcc_lo, s0
	s_and_saveexec_b32 s1, s0
	s_xor_b32 s0, exec_lo, s1
; %bb.759:
	v_cmp_ne_u32_e32 vcc_lo, 0, v235
	v_cndmask_b32_e32 v235, 37, v235, vcc_lo
; %bb.760:
	s_andn2_saveexec_b32 s0, s0
	s_cbranch_execz .LBB108_766
; %bb.761:
	v_cmp_ngt_f64_e64 s1, |v[222:223]|, |v[224:225]|
	s_and_saveexec_b32 s7, s1
	s_xor_b32 s1, exec_lo, s7
	s_cbranch_execz .LBB108_763
; %bb.762:
	v_div_scale_f64 v[210:211], null, v[224:225], v[224:225], v[222:223]
	v_div_scale_f64 v[216:217], vcc_lo, v[222:223], v[224:225], v[222:223]
	v_rcp_f64_e32 v[212:213], v[210:211]
	v_fma_f64 v[214:215], -v[210:211], v[212:213], 1.0
	v_fma_f64 v[212:213], v[212:213], v[214:215], v[212:213]
	v_fma_f64 v[214:215], -v[210:211], v[212:213], 1.0
	v_fma_f64 v[212:213], v[212:213], v[214:215], v[212:213]
	v_mul_f64 v[214:215], v[216:217], v[212:213]
	v_fma_f64 v[210:211], -v[210:211], v[214:215], v[216:217]
	v_div_fmas_f64 v[210:211], v[210:211], v[212:213], v[214:215]
	v_div_fixup_f64 v[210:211], v[210:211], v[224:225], v[222:223]
	v_fma_f64 v[212:213], v[222:223], v[210:211], v[224:225]
	v_div_scale_f64 v[214:215], null, v[212:213], v[212:213], 1.0
	v_rcp_f64_e32 v[216:217], v[214:215]
	v_fma_f64 v[222:223], -v[214:215], v[216:217], 1.0
	v_fma_f64 v[216:217], v[216:217], v[222:223], v[216:217]
	v_fma_f64 v[222:223], -v[214:215], v[216:217], 1.0
	v_fma_f64 v[216:217], v[216:217], v[222:223], v[216:217]
	v_div_scale_f64 v[222:223], vcc_lo, 1.0, v[212:213], 1.0
	v_mul_f64 v[224:225], v[222:223], v[216:217]
	v_fma_f64 v[214:215], -v[214:215], v[224:225], v[222:223]
	v_div_fmas_f64 v[214:215], v[214:215], v[216:217], v[224:225]
	v_div_fixup_f64 v[224:225], v[214:215], v[212:213], 1.0
	v_mul_f64 v[222:223], v[210:211], v[224:225]
	v_xor_b32_e32 v225, 0x80000000, v225
.LBB108_763:
	s_andn2_saveexec_b32 s1, s1
	s_cbranch_execz .LBB108_765
; %bb.764:
	v_div_scale_f64 v[210:211], null, v[222:223], v[222:223], v[224:225]
	v_div_scale_f64 v[216:217], vcc_lo, v[224:225], v[222:223], v[224:225]
	v_rcp_f64_e32 v[212:213], v[210:211]
	v_fma_f64 v[214:215], -v[210:211], v[212:213], 1.0
	v_fma_f64 v[212:213], v[212:213], v[214:215], v[212:213]
	v_fma_f64 v[214:215], -v[210:211], v[212:213], 1.0
	v_fma_f64 v[212:213], v[212:213], v[214:215], v[212:213]
	v_mul_f64 v[214:215], v[216:217], v[212:213]
	v_fma_f64 v[210:211], -v[210:211], v[214:215], v[216:217]
	v_div_fmas_f64 v[210:211], v[210:211], v[212:213], v[214:215]
	v_div_fixup_f64 v[210:211], v[210:211], v[222:223], v[224:225]
	v_fma_f64 v[212:213], v[224:225], v[210:211], v[222:223]
	v_div_scale_f64 v[214:215], null, v[212:213], v[212:213], 1.0
	v_rcp_f64_e32 v[216:217], v[214:215]
	v_fma_f64 v[222:223], -v[214:215], v[216:217], 1.0
	v_fma_f64 v[216:217], v[216:217], v[222:223], v[216:217]
	v_fma_f64 v[222:223], -v[214:215], v[216:217], 1.0
	v_fma_f64 v[216:217], v[216:217], v[222:223], v[216:217]
	v_div_scale_f64 v[222:223], vcc_lo, 1.0, v[212:213], 1.0
	v_mul_f64 v[224:225], v[222:223], v[216:217]
	v_fma_f64 v[214:215], -v[214:215], v[224:225], v[222:223]
	v_div_fmas_f64 v[214:215], v[214:215], v[216:217], v[224:225]
	v_div_fixup_f64 v[222:223], v[214:215], v[212:213], 1.0
	v_mul_f64 v[224:225], v[210:211], -v[222:223]
.LBB108_765:
	s_or_b32 exec_lo, exec_lo, s1
.LBB108_766:
	s_or_b32 exec_lo, exec_lo, s0
	s_mov_b32 s0, exec_lo
	v_cmpx_ne_u32_e64 v236, v230
	s_xor_b32 s0, exec_lo, s0
	s_cbranch_execz .LBB108_772
; %bb.767:
	s_mov_b32 s1, exec_lo
	v_cmpx_eq_u32_e32 36, v236
	s_cbranch_execz .LBB108_771
; %bb.768:
	v_cmp_ne_u32_e32 vcc_lo, 36, v230
	s_xor_b32 s7, s16, -1
	s_and_b32 s9, s7, vcc_lo
	s_and_saveexec_b32 s7, s9
	s_cbranch_execz .LBB108_770
; %bb.769:
	v_ashrrev_i32_e32 v231, 31, v230
	v_lshlrev_b64 v[210:211], 2, v[230:231]
	v_add_co_u32 v210, vcc_lo, v218, v210
	v_add_co_ci_u32_e64 v211, null, v219, v211, vcc_lo
	s_clause 0x1
	global_load_dword v0, v[210:211], off
	global_load_dword v212, v[218:219], off offset:144
	s_waitcnt vmcnt(1)
	global_store_dword v[218:219], v0, off offset:144
	s_waitcnt vmcnt(0)
	global_store_dword v[210:211], v212, off
.LBB108_770:
	s_or_b32 exec_lo, exec_lo, s7
	v_mov_b32_e32 v236, v230
	v_mov_b32_e32 v0, v230
.LBB108_771:
	s_or_b32 exec_lo, exec_lo, s1
.LBB108_772:
	s_andn2_saveexec_b32 s0, s0
	s_cbranch_execz .LBB108_774
; %bb.773:
	v_mov_b32_e32 v236, 36
	ds_write2_b64 v1, v[70:71], v[72:73] offset0:74 offset1:75
	ds_write2_b64 v1, v[66:67], v[68:69] offset0:76 offset1:77
	;; [unrolled: 1-line block ×18, first 2 shown]
.LBB108_774:
	s_or_b32 exec_lo, exec_lo, s0
	s_mov_b32 s0, exec_lo
	s_waitcnt lgkmcnt(0)
	s_waitcnt_vscnt null, 0x0
	s_barrier
	buffer_gl0_inv
	v_cmpx_lt_i32_e32 36, v236
	s_cbranch_execz .LBB108_776
; %bb.775:
	v_mul_f64 v[210:211], v[224:225], v[76:77]
	v_mul_f64 v[76:77], v[222:223], v[76:77]
	v_fma_f64 v[230:231], v[222:223], v[74:75], -v[210:211]
	v_fma_f64 v[76:77], v[224:225], v[74:75], v[76:77]
	ds_read2_b64 v[222:225], v1 offset0:74 offset1:75
	s_waitcnt lgkmcnt(0)
	v_mul_f64 v[74:75], v[224:225], v[76:77]
	v_mul_f64 v[210:211], v[222:223], v[76:77]
	v_fma_f64 v[74:75], v[222:223], v[230:231], -v[74:75]
	v_fma_f64 v[210:211], v[224:225], v[230:231], v[210:211]
	ds_read2_b64 v[222:225], v1 offset0:76 offset1:77
	v_add_f64 v[70:71], v[70:71], -v[74:75]
	v_add_f64 v[72:73], v[72:73], -v[210:211]
	s_waitcnt lgkmcnt(0)
	v_mul_f64 v[74:75], v[224:225], v[76:77]
	v_mul_f64 v[210:211], v[222:223], v[76:77]
	v_fma_f64 v[74:75], v[222:223], v[230:231], -v[74:75]
	v_fma_f64 v[210:211], v[224:225], v[230:231], v[210:211]
	ds_read2_b64 v[222:225], v1 offset0:78 offset1:79
	v_add_f64 v[66:67], v[66:67], -v[74:75]
	v_add_f64 v[68:69], v[68:69], -v[210:211]
	;; [unrolled: 8-line block ×17, first 2 shown]
	s_waitcnt lgkmcnt(0)
	v_mul_f64 v[74:75], v[224:225], v[76:77]
	v_mul_f64 v[210:211], v[222:223], v[76:77]
	v_fma_f64 v[74:75], v[222:223], v[230:231], -v[74:75]
	v_fma_f64 v[210:211], v[224:225], v[230:231], v[210:211]
	v_add_f64 v[2:3], v[2:3], -v[74:75]
	v_add_f64 v[4:5], v[4:5], -v[210:211]
	v_mov_b32_e32 v74, v230
	v_mov_b32_e32 v75, v231
.LBB108_776:
	s_or_b32 exec_lo, exec_lo, s0
	v_lshl_add_u32 v210, v236, 4, v1
	s_barrier
	buffer_gl0_inv
	v_mov_b32_e32 v230, 37
	ds_write2_b64 v210, v[70:71], v[72:73] offset1:1
	s_waitcnt lgkmcnt(0)
	s_barrier
	buffer_gl0_inv
	ds_read2_b64 v[222:225], v1 offset0:74 offset1:75
	s_cmp_lt_i32 s8, 39
	s_cbranch_scc1 .LBB108_779
; %bb.777:
	v_add3_u32 v231, v253, 0, 0x260
	v_mov_b32_e32 v230, 37
	s_mov_b32 s1, 38
	s_inst_prefetch 0x1
	.p2align	6
.LBB108_778:                            ; =>This Inner Loop Header: Depth=1
	s_waitcnt lgkmcnt(0)
	v_cmp_gt_f64_e32 vcc_lo, 0, v[224:225]
	v_cmp_gt_f64_e64 s0, 0, v[222:223]
	ds_read2_b64 v[237:240], v231 offset1:1
	v_xor_b32_e32 v211, 0x80000000, v223
	v_xor_b32_e32 v213, 0x80000000, v225
	v_mov_b32_e32 v210, v222
	v_mov_b32_e32 v212, v224
	v_add_nc_u32_e32 v231, 16, v231
	s_waitcnt lgkmcnt(0)
	v_xor_b32_e32 v215, 0x80000000, v240
	v_cndmask_b32_e64 v211, v223, v211, s0
	v_cndmask_b32_e32 v213, v225, v213, vcc_lo
	v_cmp_gt_f64_e32 vcc_lo, 0, v[239:240]
	v_cmp_gt_f64_e64 s0, 0, v[237:238]
	v_mov_b32_e32 v214, v239
	v_add_f64 v[210:211], v[210:211], v[212:213]
	v_xor_b32_e32 v213, 0x80000000, v238
	v_mov_b32_e32 v212, v237
	v_cndmask_b32_e32 v215, v240, v215, vcc_lo
	v_cndmask_b32_e64 v213, v238, v213, s0
	v_add_f64 v[212:213], v[212:213], v[214:215]
	v_cmp_lt_f64_e32 vcc_lo, v[210:211], v[212:213]
	v_cndmask_b32_e32 v223, v223, v238, vcc_lo
	v_cndmask_b32_e32 v222, v222, v237, vcc_lo
	;; [unrolled: 1-line block ×4, first 2 shown]
	v_cndmask_b32_e64 v230, v230, s1, vcc_lo
	s_add_i32 s1, s1, 1
	s_cmp_lg_u32 s8, s1
	s_cbranch_scc1 .LBB108_778
.LBB108_779:
	s_inst_prefetch 0x2
	s_waitcnt lgkmcnt(0)
	v_cmp_eq_f64_e32 vcc_lo, 0, v[222:223]
	v_cmp_eq_f64_e64 s0, 0, v[224:225]
	s_and_b32 s0, vcc_lo, s0
	s_and_saveexec_b32 s1, s0
	s_xor_b32 s0, exec_lo, s1
; %bb.780:
	v_cmp_ne_u32_e32 vcc_lo, 0, v235
	v_cndmask_b32_e32 v235, 38, v235, vcc_lo
; %bb.781:
	s_andn2_saveexec_b32 s0, s0
	s_cbranch_execz .LBB108_787
; %bb.782:
	v_cmp_ngt_f64_e64 s1, |v[222:223]|, |v[224:225]|
	s_and_saveexec_b32 s7, s1
	s_xor_b32 s1, exec_lo, s7
	s_cbranch_execz .LBB108_784
; %bb.783:
	v_div_scale_f64 v[210:211], null, v[224:225], v[224:225], v[222:223]
	v_div_scale_f64 v[216:217], vcc_lo, v[222:223], v[224:225], v[222:223]
	v_rcp_f64_e32 v[212:213], v[210:211]
	v_fma_f64 v[214:215], -v[210:211], v[212:213], 1.0
	v_fma_f64 v[212:213], v[212:213], v[214:215], v[212:213]
	v_fma_f64 v[214:215], -v[210:211], v[212:213], 1.0
	v_fma_f64 v[212:213], v[212:213], v[214:215], v[212:213]
	v_mul_f64 v[214:215], v[216:217], v[212:213]
	v_fma_f64 v[210:211], -v[210:211], v[214:215], v[216:217]
	v_div_fmas_f64 v[210:211], v[210:211], v[212:213], v[214:215]
	v_div_fixup_f64 v[210:211], v[210:211], v[224:225], v[222:223]
	v_fma_f64 v[212:213], v[222:223], v[210:211], v[224:225]
	v_div_scale_f64 v[214:215], null, v[212:213], v[212:213], 1.0
	v_rcp_f64_e32 v[216:217], v[214:215]
	v_fma_f64 v[222:223], -v[214:215], v[216:217], 1.0
	v_fma_f64 v[216:217], v[216:217], v[222:223], v[216:217]
	v_fma_f64 v[222:223], -v[214:215], v[216:217], 1.0
	v_fma_f64 v[216:217], v[216:217], v[222:223], v[216:217]
	v_div_scale_f64 v[222:223], vcc_lo, 1.0, v[212:213], 1.0
	v_mul_f64 v[224:225], v[222:223], v[216:217]
	v_fma_f64 v[214:215], -v[214:215], v[224:225], v[222:223]
	v_div_fmas_f64 v[214:215], v[214:215], v[216:217], v[224:225]
	v_div_fixup_f64 v[224:225], v[214:215], v[212:213], 1.0
	v_mul_f64 v[222:223], v[210:211], v[224:225]
	v_xor_b32_e32 v225, 0x80000000, v225
.LBB108_784:
	s_andn2_saveexec_b32 s1, s1
	s_cbranch_execz .LBB108_786
; %bb.785:
	v_div_scale_f64 v[210:211], null, v[222:223], v[222:223], v[224:225]
	v_div_scale_f64 v[216:217], vcc_lo, v[224:225], v[222:223], v[224:225]
	v_rcp_f64_e32 v[212:213], v[210:211]
	v_fma_f64 v[214:215], -v[210:211], v[212:213], 1.0
	v_fma_f64 v[212:213], v[212:213], v[214:215], v[212:213]
	v_fma_f64 v[214:215], -v[210:211], v[212:213], 1.0
	v_fma_f64 v[212:213], v[212:213], v[214:215], v[212:213]
	v_mul_f64 v[214:215], v[216:217], v[212:213]
	v_fma_f64 v[210:211], -v[210:211], v[214:215], v[216:217]
	v_div_fmas_f64 v[210:211], v[210:211], v[212:213], v[214:215]
	v_div_fixup_f64 v[210:211], v[210:211], v[222:223], v[224:225]
	v_fma_f64 v[212:213], v[224:225], v[210:211], v[222:223]
	v_div_scale_f64 v[214:215], null, v[212:213], v[212:213], 1.0
	v_rcp_f64_e32 v[216:217], v[214:215]
	v_fma_f64 v[222:223], -v[214:215], v[216:217], 1.0
	v_fma_f64 v[216:217], v[216:217], v[222:223], v[216:217]
	v_fma_f64 v[222:223], -v[214:215], v[216:217], 1.0
	v_fma_f64 v[216:217], v[216:217], v[222:223], v[216:217]
	v_div_scale_f64 v[222:223], vcc_lo, 1.0, v[212:213], 1.0
	v_mul_f64 v[224:225], v[222:223], v[216:217]
	v_fma_f64 v[214:215], -v[214:215], v[224:225], v[222:223]
	v_div_fmas_f64 v[214:215], v[214:215], v[216:217], v[224:225]
	v_div_fixup_f64 v[222:223], v[214:215], v[212:213], 1.0
	v_mul_f64 v[224:225], v[210:211], -v[222:223]
.LBB108_786:
	s_or_b32 exec_lo, exec_lo, s1
.LBB108_787:
	s_or_b32 exec_lo, exec_lo, s0
	s_mov_b32 s0, exec_lo
	v_cmpx_ne_u32_e64 v236, v230
	s_xor_b32 s0, exec_lo, s0
	s_cbranch_execz .LBB108_793
; %bb.788:
	s_mov_b32 s1, exec_lo
	v_cmpx_eq_u32_e32 37, v236
	s_cbranch_execz .LBB108_792
; %bb.789:
	v_cmp_ne_u32_e32 vcc_lo, 37, v230
	s_xor_b32 s7, s16, -1
	s_and_b32 s9, s7, vcc_lo
	s_and_saveexec_b32 s7, s9
	s_cbranch_execz .LBB108_791
; %bb.790:
	v_ashrrev_i32_e32 v231, 31, v230
	v_lshlrev_b64 v[210:211], 2, v[230:231]
	v_add_co_u32 v210, vcc_lo, v218, v210
	v_add_co_ci_u32_e64 v211, null, v219, v211, vcc_lo
	s_clause 0x1
	global_load_dword v0, v[210:211], off
	global_load_dword v212, v[218:219], off offset:148
	s_waitcnt vmcnt(1)
	global_store_dword v[218:219], v0, off offset:148
	s_waitcnt vmcnt(0)
	global_store_dword v[210:211], v212, off
.LBB108_791:
	s_or_b32 exec_lo, exec_lo, s7
	v_mov_b32_e32 v236, v230
	v_mov_b32_e32 v0, v230
.LBB108_792:
	s_or_b32 exec_lo, exec_lo, s1
.LBB108_793:
	s_andn2_saveexec_b32 s0, s0
	s_cbranch_execz .LBB108_795
; %bb.794:
	v_mov_b32_e32 v236, 37
	ds_write2_b64 v1, v[66:67], v[68:69] offset0:76 offset1:77
	ds_write2_b64 v1, v[62:63], v[64:65] offset0:78 offset1:79
	;; [unrolled: 1-line block ×17, first 2 shown]
.LBB108_795:
	s_or_b32 exec_lo, exec_lo, s0
	s_mov_b32 s0, exec_lo
	s_waitcnt lgkmcnt(0)
	s_waitcnt_vscnt null, 0x0
	s_barrier
	buffer_gl0_inv
	v_cmpx_lt_i32_e32 37, v236
	s_cbranch_execz .LBB108_797
; %bb.796:
	v_mul_f64 v[210:211], v[224:225], v[72:73]
	v_mul_f64 v[72:73], v[222:223], v[72:73]
	v_fma_f64 v[230:231], v[222:223], v[70:71], -v[210:211]
	v_fma_f64 v[72:73], v[224:225], v[70:71], v[72:73]
	ds_read2_b64 v[222:225], v1 offset0:76 offset1:77
	s_waitcnt lgkmcnt(0)
	v_mul_f64 v[70:71], v[224:225], v[72:73]
	v_mul_f64 v[210:211], v[222:223], v[72:73]
	v_fma_f64 v[70:71], v[222:223], v[230:231], -v[70:71]
	v_fma_f64 v[210:211], v[224:225], v[230:231], v[210:211]
	ds_read2_b64 v[222:225], v1 offset0:78 offset1:79
	v_add_f64 v[66:67], v[66:67], -v[70:71]
	v_add_f64 v[68:69], v[68:69], -v[210:211]
	s_waitcnt lgkmcnt(0)
	v_mul_f64 v[70:71], v[224:225], v[72:73]
	v_mul_f64 v[210:211], v[222:223], v[72:73]
	v_fma_f64 v[70:71], v[222:223], v[230:231], -v[70:71]
	v_fma_f64 v[210:211], v[224:225], v[230:231], v[210:211]
	ds_read2_b64 v[222:225], v1 offset0:80 offset1:81
	v_add_f64 v[62:63], v[62:63], -v[70:71]
	v_add_f64 v[64:65], v[64:65], -v[210:211]
	;; [unrolled: 8-line block ×16, first 2 shown]
	s_waitcnt lgkmcnt(0)
	v_mul_f64 v[70:71], v[224:225], v[72:73]
	v_mul_f64 v[210:211], v[222:223], v[72:73]
	v_fma_f64 v[70:71], v[222:223], v[230:231], -v[70:71]
	v_fma_f64 v[210:211], v[224:225], v[230:231], v[210:211]
	v_add_f64 v[2:3], v[2:3], -v[70:71]
	v_add_f64 v[4:5], v[4:5], -v[210:211]
	v_mov_b32_e32 v70, v230
	v_mov_b32_e32 v71, v231
.LBB108_797:
	s_or_b32 exec_lo, exec_lo, s0
	v_lshl_add_u32 v210, v236, 4, v1
	s_barrier
	buffer_gl0_inv
	v_mov_b32_e32 v230, 38
	ds_write2_b64 v210, v[66:67], v[68:69] offset1:1
	s_waitcnt lgkmcnt(0)
	s_barrier
	buffer_gl0_inv
	ds_read2_b64 v[222:225], v1 offset0:76 offset1:77
	s_cmp_lt_i32 s8, 40
	s_cbranch_scc1 .LBB108_800
; %bb.798:
	v_add3_u32 v231, v253, 0, 0x270
	v_mov_b32_e32 v230, 38
	s_mov_b32 s1, 39
	s_inst_prefetch 0x1
	.p2align	6
.LBB108_799:                            ; =>This Inner Loop Header: Depth=1
	s_waitcnt lgkmcnt(0)
	v_cmp_gt_f64_e32 vcc_lo, 0, v[224:225]
	v_cmp_gt_f64_e64 s0, 0, v[222:223]
	ds_read2_b64 v[237:240], v231 offset1:1
	v_xor_b32_e32 v211, 0x80000000, v223
	v_xor_b32_e32 v213, 0x80000000, v225
	v_mov_b32_e32 v210, v222
	v_mov_b32_e32 v212, v224
	v_add_nc_u32_e32 v231, 16, v231
	s_waitcnt lgkmcnt(0)
	v_xor_b32_e32 v215, 0x80000000, v240
	v_cndmask_b32_e64 v211, v223, v211, s0
	v_cndmask_b32_e32 v213, v225, v213, vcc_lo
	v_cmp_gt_f64_e32 vcc_lo, 0, v[239:240]
	v_cmp_gt_f64_e64 s0, 0, v[237:238]
	v_mov_b32_e32 v214, v239
	v_add_f64 v[210:211], v[210:211], v[212:213]
	v_xor_b32_e32 v213, 0x80000000, v238
	v_mov_b32_e32 v212, v237
	v_cndmask_b32_e32 v215, v240, v215, vcc_lo
	v_cndmask_b32_e64 v213, v238, v213, s0
	v_add_f64 v[212:213], v[212:213], v[214:215]
	v_cmp_lt_f64_e32 vcc_lo, v[210:211], v[212:213]
	v_cndmask_b32_e32 v223, v223, v238, vcc_lo
	v_cndmask_b32_e32 v222, v222, v237, vcc_lo
	;; [unrolled: 1-line block ×4, first 2 shown]
	v_cndmask_b32_e64 v230, v230, s1, vcc_lo
	s_add_i32 s1, s1, 1
	s_cmp_lg_u32 s8, s1
	s_cbranch_scc1 .LBB108_799
.LBB108_800:
	s_inst_prefetch 0x2
	s_waitcnt lgkmcnt(0)
	v_cmp_eq_f64_e32 vcc_lo, 0, v[222:223]
	v_cmp_eq_f64_e64 s0, 0, v[224:225]
	s_and_b32 s0, vcc_lo, s0
	s_and_saveexec_b32 s1, s0
	s_xor_b32 s0, exec_lo, s1
; %bb.801:
	v_cmp_ne_u32_e32 vcc_lo, 0, v235
	v_cndmask_b32_e32 v235, 39, v235, vcc_lo
; %bb.802:
	s_andn2_saveexec_b32 s0, s0
	s_cbranch_execz .LBB108_808
; %bb.803:
	v_cmp_ngt_f64_e64 s1, |v[222:223]|, |v[224:225]|
	s_and_saveexec_b32 s7, s1
	s_xor_b32 s1, exec_lo, s7
	s_cbranch_execz .LBB108_805
; %bb.804:
	v_div_scale_f64 v[210:211], null, v[224:225], v[224:225], v[222:223]
	v_div_scale_f64 v[216:217], vcc_lo, v[222:223], v[224:225], v[222:223]
	v_rcp_f64_e32 v[212:213], v[210:211]
	v_fma_f64 v[214:215], -v[210:211], v[212:213], 1.0
	v_fma_f64 v[212:213], v[212:213], v[214:215], v[212:213]
	v_fma_f64 v[214:215], -v[210:211], v[212:213], 1.0
	v_fma_f64 v[212:213], v[212:213], v[214:215], v[212:213]
	v_mul_f64 v[214:215], v[216:217], v[212:213]
	v_fma_f64 v[210:211], -v[210:211], v[214:215], v[216:217]
	v_div_fmas_f64 v[210:211], v[210:211], v[212:213], v[214:215]
	v_div_fixup_f64 v[210:211], v[210:211], v[224:225], v[222:223]
	v_fma_f64 v[212:213], v[222:223], v[210:211], v[224:225]
	v_div_scale_f64 v[214:215], null, v[212:213], v[212:213], 1.0
	v_rcp_f64_e32 v[216:217], v[214:215]
	v_fma_f64 v[222:223], -v[214:215], v[216:217], 1.0
	v_fma_f64 v[216:217], v[216:217], v[222:223], v[216:217]
	v_fma_f64 v[222:223], -v[214:215], v[216:217], 1.0
	v_fma_f64 v[216:217], v[216:217], v[222:223], v[216:217]
	v_div_scale_f64 v[222:223], vcc_lo, 1.0, v[212:213], 1.0
	v_mul_f64 v[224:225], v[222:223], v[216:217]
	v_fma_f64 v[214:215], -v[214:215], v[224:225], v[222:223]
	v_div_fmas_f64 v[214:215], v[214:215], v[216:217], v[224:225]
	v_div_fixup_f64 v[224:225], v[214:215], v[212:213], 1.0
	v_mul_f64 v[222:223], v[210:211], v[224:225]
	v_xor_b32_e32 v225, 0x80000000, v225
.LBB108_805:
	s_andn2_saveexec_b32 s1, s1
	s_cbranch_execz .LBB108_807
; %bb.806:
	v_div_scale_f64 v[210:211], null, v[222:223], v[222:223], v[224:225]
	v_div_scale_f64 v[216:217], vcc_lo, v[224:225], v[222:223], v[224:225]
	v_rcp_f64_e32 v[212:213], v[210:211]
	v_fma_f64 v[214:215], -v[210:211], v[212:213], 1.0
	v_fma_f64 v[212:213], v[212:213], v[214:215], v[212:213]
	v_fma_f64 v[214:215], -v[210:211], v[212:213], 1.0
	v_fma_f64 v[212:213], v[212:213], v[214:215], v[212:213]
	v_mul_f64 v[214:215], v[216:217], v[212:213]
	v_fma_f64 v[210:211], -v[210:211], v[214:215], v[216:217]
	v_div_fmas_f64 v[210:211], v[210:211], v[212:213], v[214:215]
	v_div_fixup_f64 v[210:211], v[210:211], v[222:223], v[224:225]
	v_fma_f64 v[212:213], v[224:225], v[210:211], v[222:223]
	v_div_scale_f64 v[214:215], null, v[212:213], v[212:213], 1.0
	v_rcp_f64_e32 v[216:217], v[214:215]
	v_fma_f64 v[222:223], -v[214:215], v[216:217], 1.0
	v_fma_f64 v[216:217], v[216:217], v[222:223], v[216:217]
	v_fma_f64 v[222:223], -v[214:215], v[216:217], 1.0
	v_fma_f64 v[216:217], v[216:217], v[222:223], v[216:217]
	v_div_scale_f64 v[222:223], vcc_lo, 1.0, v[212:213], 1.0
	v_mul_f64 v[224:225], v[222:223], v[216:217]
	v_fma_f64 v[214:215], -v[214:215], v[224:225], v[222:223]
	v_div_fmas_f64 v[214:215], v[214:215], v[216:217], v[224:225]
	v_div_fixup_f64 v[222:223], v[214:215], v[212:213], 1.0
	v_mul_f64 v[224:225], v[210:211], -v[222:223]
.LBB108_807:
	s_or_b32 exec_lo, exec_lo, s1
.LBB108_808:
	s_or_b32 exec_lo, exec_lo, s0
	s_mov_b32 s0, exec_lo
	v_cmpx_ne_u32_e64 v236, v230
	s_xor_b32 s0, exec_lo, s0
	s_cbranch_execz .LBB108_814
; %bb.809:
	s_mov_b32 s1, exec_lo
	v_cmpx_eq_u32_e32 38, v236
	s_cbranch_execz .LBB108_813
; %bb.810:
	v_cmp_ne_u32_e32 vcc_lo, 38, v230
	s_xor_b32 s7, s16, -1
	s_and_b32 s9, s7, vcc_lo
	s_and_saveexec_b32 s7, s9
	s_cbranch_execz .LBB108_812
; %bb.811:
	v_ashrrev_i32_e32 v231, 31, v230
	v_lshlrev_b64 v[210:211], 2, v[230:231]
	v_add_co_u32 v210, vcc_lo, v218, v210
	v_add_co_ci_u32_e64 v211, null, v219, v211, vcc_lo
	s_clause 0x1
	global_load_dword v0, v[210:211], off
	global_load_dword v212, v[218:219], off offset:152
	s_waitcnt vmcnt(1)
	global_store_dword v[218:219], v0, off offset:152
	s_waitcnt vmcnt(0)
	global_store_dword v[210:211], v212, off
.LBB108_812:
	s_or_b32 exec_lo, exec_lo, s7
	v_mov_b32_e32 v236, v230
	v_mov_b32_e32 v0, v230
.LBB108_813:
	s_or_b32 exec_lo, exec_lo, s1
.LBB108_814:
	s_andn2_saveexec_b32 s0, s0
	s_cbranch_execz .LBB108_816
; %bb.815:
	v_mov_b32_e32 v236, 38
	ds_write2_b64 v1, v[62:63], v[64:65] offset0:78 offset1:79
	ds_write2_b64 v1, v[58:59], v[60:61] offset0:80 offset1:81
	;; [unrolled: 1-line block ×16, first 2 shown]
.LBB108_816:
	s_or_b32 exec_lo, exec_lo, s0
	s_mov_b32 s0, exec_lo
	s_waitcnt lgkmcnt(0)
	s_waitcnt_vscnt null, 0x0
	s_barrier
	buffer_gl0_inv
	v_cmpx_lt_i32_e32 38, v236
	s_cbranch_execz .LBB108_818
; %bb.817:
	v_mul_f64 v[210:211], v[222:223], v[68:69]
	v_mul_f64 v[68:69], v[224:225], v[68:69]
	v_fma_f64 v[230:231], v[224:225], v[66:67], v[210:211]
	v_fma_f64 v[66:67], v[222:223], v[66:67], -v[68:69]
	ds_read2_b64 v[222:225], v1 offset0:78 offset1:79
	s_waitcnt lgkmcnt(0)
	v_mul_f64 v[68:69], v[224:225], v[230:231]
	v_mul_f64 v[210:211], v[222:223], v[230:231]
	v_fma_f64 v[68:69], v[222:223], v[66:67], -v[68:69]
	v_fma_f64 v[210:211], v[224:225], v[66:67], v[210:211]
	ds_read2_b64 v[222:225], v1 offset0:80 offset1:81
	v_add_f64 v[62:63], v[62:63], -v[68:69]
	v_add_f64 v[64:65], v[64:65], -v[210:211]
	s_waitcnt lgkmcnt(0)
	v_mul_f64 v[68:69], v[224:225], v[230:231]
	v_mul_f64 v[210:211], v[222:223], v[230:231]
	v_fma_f64 v[68:69], v[222:223], v[66:67], -v[68:69]
	v_fma_f64 v[210:211], v[224:225], v[66:67], v[210:211]
	ds_read2_b64 v[222:225], v1 offset0:82 offset1:83
	v_add_f64 v[58:59], v[58:59], -v[68:69]
	v_add_f64 v[60:61], v[60:61], -v[210:211]
	;; [unrolled: 8-line block ×15, first 2 shown]
	s_waitcnt lgkmcnt(0)
	v_mul_f64 v[68:69], v[224:225], v[230:231]
	v_mul_f64 v[210:211], v[222:223], v[230:231]
	v_fma_f64 v[68:69], v[222:223], v[66:67], -v[68:69]
	v_fma_f64 v[210:211], v[224:225], v[66:67], v[210:211]
	v_add_f64 v[2:3], v[2:3], -v[68:69]
	v_add_f64 v[4:5], v[4:5], -v[210:211]
	v_mov_b32_e32 v68, v230
	v_mov_b32_e32 v69, v231
.LBB108_818:
	s_or_b32 exec_lo, exec_lo, s0
	v_lshl_add_u32 v210, v236, 4, v1
	s_barrier
	buffer_gl0_inv
	v_mov_b32_e32 v230, 39
	ds_write2_b64 v210, v[62:63], v[64:65] offset1:1
	s_waitcnt lgkmcnt(0)
	s_barrier
	buffer_gl0_inv
	ds_read2_b64 v[222:225], v1 offset0:78 offset1:79
	s_cmp_lt_i32 s8, 41
	s_cbranch_scc1 .LBB108_821
; %bb.819:
	v_add3_u32 v231, v253, 0, 0x280
	v_mov_b32_e32 v230, 39
	s_mov_b32 s1, 40
	s_inst_prefetch 0x1
	.p2align	6
.LBB108_820:                            ; =>This Inner Loop Header: Depth=1
	s_waitcnt lgkmcnt(0)
	v_cmp_gt_f64_e32 vcc_lo, 0, v[224:225]
	v_cmp_gt_f64_e64 s0, 0, v[222:223]
	ds_read2_b64 v[237:240], v231 offset1:1
	v_xor_b32_e32 v211, 0x80000000, v223
	v_xor_b32_e32 v213, 0x80000000, v225
	v_mov_b32_e32 v210, v222
	v_mov_b32_e32 v212, v224
	v_add_nc_u32_e32 v231, 16, v231
	s_waitcnt lgkmcnt(0)
	v_xor_b32_e32 v215, 0x80000000, v240
	v_cndmask_b32_e64 v211, v223, v211, s0
	v_cndmask_b32_e32 v213, v225, v213, vcc_lo
	v_cmp_gt_f64_e32 vcc_lo, 0, v[239:240]
	v_cmp_gt_f64_e64 s0, 0, v[237:238]
	v_mov_b32_e32 v214, v239
	v_add_f64 v[210:211], v[210:211], v[212:213]
	v_xor_b32_e32 v213, 0x80000000, v238
	v_mov_b32_e32 v212, v237
	v_cndmask_b32_e32 v215, v240, v215, vcc_lo
	v_cndmask_b32_e64 v213, v238, v213, s0
	v_add_f64 v[212:213], v[212:213], v[214:215]
	v_cmp_lt_f64_e32 vcc_lo, v[210:211], v[212:213]
	v_cndmask_b32_e32 v223, v223, v238, vcc_lo
	v_cndmask_b32_e32 v222, v222, v237, vcc_lo
	;; [unrolled: 1-line block ×4, first 2 shown]
	v_cndmask_b32_e64 v230, v230, s1, vcc_lo
	s_add_i32 s1, s1, 1
	s_cmp_lg_u32 s8, s1
	s_cbranch_scc1 .LBB108_820
.LBB108_821:
	s_inst_prefetch 0x2
	s_waitcnt lgkmcnt(0)
	v_cmp_eq_f64_e32 vcc_lo, 0, v[222:223]
	v_cmp_eq_f64_e64 s0, 0, v[224:225]
	s_and_b32 s0, vcc_lo, s0
	s_and_saveexec_b32 s1, s0
	s_xor_b32 s0, exec_lo, s1
; %bb.822:
	v_cmp_ne_u32_e32 vcc_lo, 0, v235
	v_cndmask_b32_e32 v235, 40, v235, vcc_lo
; %bb.823:
	s_andn2_saveexec_b32 s0, s0
	s_cbranch_execz .LBB108_829
; %bb.824:
	v_cmp_ngt_f64_e64 s1, |v[222:223]|, |v[224:225]|
	s_and_saveexec_b32 s7, s1
	s_xor_b32 s1, exec_lo, s7
	s_cbranch_execz .LBB108_826
; %bb.825:
	v_div_scale_f64 v[210:211], null, v[224:225], v[224:225], v[222:223]
	v_div_scale_f64 v[216:217], vcc_lo, v[222:223], v[224:225], v[222:223]
	v_rcp_f64_e32 v[212:213], v[210:211]
	v_fma_f64 v[214:215], -v[210:211], v[212:213], 1.0
	v_fma_f64 v[212:213], v[212:213], v[214:215], v[212:213]
	v_fma_f64 v[214:215], -v[210:211], v[212:213], 1.0
	v_fma_f64 v[212:213], v[212:213], v[214:215], v[212:213]
	v_mul_f64 v[214:215], v[216:217], v[212:213]
	v_fma_f64 v[210:211], -v[210:211], v[214:215], v[216:217]
	v_div_fmas_f64 v[210:211], v[210:211], v[212:213], v[214:215]
	v_div_fixup_f64 v[210:211], v[210:211], v[224:225], v[222:223]
	v_fma_f64 v[212:213], v[222:223], v[210:211], v[224:225]
	v_div_scale_f64 v[214:215], null, v[212:213], v[212:213], 1.0
	v_rcp_f64_e32 v[216:217], v[214:215]
	v_fma_f64 v[222:223], -v[214:215], v[216:217], 1.0
	v_fma_f64 v[216:217], v[216:217], v[222:223], v[216:217]
	v_fma_f64 v[222:223], -v[214:215], v[216:217], 1.0
	v_fma_f64 v[216:217], v[216:217], v[222:223], v[216:217]
	v_div_scale_f64 v[222:223], vcc_lo, 1.0, v[212:213], 1.0
	v_mul_f64 v[224:225], v[222:223], v[216:217]
	v_fma_f64 v[214:215], -v[214:215], v[224:225], v[222:223]
	v_div_fmas_f64 v[214:215], v[214:215], v[216:217], v[224:225]
	v_div_fixup_f64 v[224:225], v[214:215], v[212:213], 1.0
	v_mul_f64 v[222:223], v[210:211], v[224:225]
	v_xor_b32_e32 v225, 0x80000000, v225
.LBB108_826:
	s_andn2_saveexec_b32 s1, s1
	s_cbranch_execz .LBB108_828
; %bb.827:
	v_div_scale_f64 v[210:211], null, v[222:223], v[222:223], v[224:225]
	v_div_scale_f64 v[216:217], vcc_lo, v[224:225], v[222:223], v[224:225]
	v_rcp_f64_e32 v[212:213], v[210:211]
	v_fma_f64 v[214:215], -v[210:211], v[212:213], 1.0
	v_fma_f64 v[212:213], v[212:213], v[214:215], v[212:213]
	v_fma_f64 v[214:215], -v[210:211], v[212:213], 1.0
	v_fma_f64 v[212:213], v[212:213], v[214:215], v[212:213]
	v_mul_f64 v[214:215], v[216:217], v[212:213]
	v_fma_f64 v[210:211], -v[210:211], v[214:215], v[216:217]
	v_div_fmas_f64 v[210:211], v[210:211], v[212:213], v[214:215]
	v_div_fixup_f64 v[210:211], v[210:211], v[222:223], v[224:225]
	v_fma_f64 v[212:213], v[224:225], v[210:211], v[222:223]
	v_div_scale_f64 v[214:215], null, v[212:213], v[212:213], 1.0
	v_rcp_f64_e32 v[216:217], v[214:215]
	v_fma_f64 v[222:223], -v[214:215], v[216:217], 1.0
	v_fma_f64 v[216:217], v[216:217], v[222:223], v[216:217]
	v_fma_f64 v[222:223], -v[214:215], v[216:217], 1.0
	v_fma_f64 v[216:217], v[216:217], v[222:223], v[216:217]
	v_div_scale_f64 v[222:223], vcc_lo, 1.0, v[212:213], 1.0
	v_mul_f64 v[224:225], v[222:223], v[216:217]
	v_fma_f64 v[214:215], -v[214:215], v[224:225], v[222:223]
	v_div_fmas_f64 v[214:215], v[214:215], v[216:217], v[224:225]
	v_div_fixup_f64 v[222:223], v[214:215], v[212:213], 1.0
	v_mul_f64 v[224:225], v[210:211], -v[222:223]
.LBB108_828:
	s_or_b32 exec_lo, exec_lo, s1
.LBB108_829:
	s_or_b32 exec_lo, exec_lo, s0
	s_mov_b32 s0, exec_lo
	v_cmpx_ne_u32_e64 v236, v230
	s_xor_b32 s0, exec_lo, s0
	s_cbranch_execz .LBB108_835
; %bb.830:
	s_mov_b32 s1, exec_lo
	v_cmpx_eq_u32_e32 39, v236
	s_cbranch_execz .LBB108_834
; %bb.831:
	v_cmp_ne_u32_e32 vcc_lo, 39, v230
	s_xor_b32 s7, s16, -1
	s_and_b32 s9, s7, vcc_lo
	s_and_saveexec_b32 s7, s9
	s_cbranch_execz .LBB108_833
; %bb.832:
	v_ashrrev_i32_e32 v231, 31, v230
	v_lshlrev_b64 v[210:211], 2, v[230:231]
	v_add_co_u32 v210, vcc_lo, v218, v210
	v_add_co_ci_u32_e64 v211, null, v219, v211, vcc_lo
	s_clause 0x1
	global_load_dword v0, v[210:211], off
	global_load_dword v212, v[218:219], off offset:156
	s_waitcnt vmcnt(1)
	global_store_dword v[218:219], v0, off offset:156
	s_waitcnt vmcnt(0)
	global_store_dword v[210:211], v212, off
.LBB108_833:
	s_or_b32 exec_lo, exec_lo, s7
	v_mov_b32_e32 v236, v230
	v_mov_b32_e32 v0, v230
.LBB108_834:
	s_or_b32 exec_lo, exec_lo, s1
.LBB108_835:
	s_andn2_saveexec_b32 s0, s0
	s_cbranch_execz .LBB108_837
; %bb.836:
	v_mov_b32_e32 v236, 39
	ds_write2_b64 v1, v[58:59], v[60:61] offset0:80 offset1:81
	ds_write2_b64 v1, v[54:55], v[56:57] offset0:82 offset1:83
	;; [unrolled: 1-line block ×15, first 2 shown]
.LBB108_837:
	s_or_b32 exec_lo, exec_lo, s0
	s_mov_b32 s0, exec_lo
	s_waitcnt lgkmcnt(0)
	s_waitcnt_vscnt null, 0x0
	s_barrier
	buffer_gl0_inv
	v_cmpx_lt_i32_e32 39, v236
	s_cbranch_execz .LBB108_839
; %bb.838:
	v_mul_f64 v[210:211], v[222:223], v[64:65]
	v_mul_f64 v[64:65], v[224:225], v[64:65]
	v_fma_f64 v[230:231], v[224:225], v[62:63], v[210:211]
	v_fma_f64 v[62:63], v[222:223], v[62:63], -v[64:65]
	ds_read2_b64 v[222:225], v1 offset0:80 offset1:81
	s_waitcnt lgkmcnt(0)
	v_mul_f64 v[64:65], v[224:225], v[230:231]
	v_mul_f64 v[210:211], v[222:223], v[230:231]
	v_fma_f64 v[64:65], v[222:223], v[62:63], -v[64:65]
	v_fma_f64 v[210:211], v[224:225], v[62:63], v[210:211]
	ds_read2_b64 v[222:225], v1 offset0:82 offset1:83
	v_add_f64 v[58:59], v[58:59], -v[64:65]
	v_add_f64 v[60:61], v[60:61], -v[210:211]
	s_waitcnt lgkmcnt(0)
	v_mul_f64 v[64:65], v[224:225], v[230:231]
	v_mul_f64 v[210:211], v[222:223], v[230:231]
	v_fma_f64 v[64:65], v[222:223], v[62:63], -v[64:65]
	v_fma_f64 v[210:211], v[224:225], v[62:63], v[210:211]
	ds_read2_b64 v[222:225], v1 offset0:84 offset1:85
	v_add_f64 v[54:55], v[54:55], -v[64:65]
	v_add_f64 v[56:57], v[56:57], -v[210:211]
	;; [unrolled: 8-line block ×14, first 2 shown]
	s_waitcnt lgkmcnt(0)
	v_mul_f64 v[64:65], v[224:225], v[230:231]
	v_mul_f64 v[210:211], v[222:223], v[230:231]
	v_fma_f64 v[64:65], v[222:223], v[62:63], -v[64:65]
	v_fma_f64 v[210:211], v[224:225], v[62:63], v[210:211]
	v_add_f64 v[2:3], v[2:3], -v[64:65]
	v_add_f64 v[4:5], v[4:5], -v[210:211]
	v_mov_b32_e32 v64, v230
	v_mov_b32_e32 v65, v231
.LBB108_839:
	s_or_b32 exec_lo, exec_lo, s0
	v_lshl_add_u32 v210, v236, 4, v1
	s_barrier
	buffer_gl0_inv
	v_mov_b32_e32 v230, 40
	ds_write2_b64 v210, v[58:59], v[60:61] offset1:1
	s_waitcnt lgkmcnt(0)
	s_barrier
	buffer_gl0_inv
	ds_read2_b64 v[222:225], v1 offset0:80 offset1:81
	s_cmp_lt_i32 s8, 42
	s_cbranch_scc1 .LBB108_842
; %bb.840:
	v_add3_u32 v231, v253, 0, 0x290
	v_mov_b32_e32 v230, 40
	s_mov_b32 s1, 41
	s_inst_prefetch 0x1
	.p2align	6
.LBB108_841:                            ; =>This Inner Loop Header: Depth=1
	s_waitcnt lgkmcnt(0)
	v_cmp_gt_f64_e32 vcc_lo, 0, v[224:225]
	v_cmp_gt_f64_e64 s0, 0, v[222:223]
	ds_read2_b64 v[237:240], v231 offset1:1
	v_xor_b32_e32 v211, 0x80000000, v223
	v_xor_b32_e32 v213, 0x80000000, v225
	v_mov_b32_e32 v210, v222
	v_mov_b32_e32 v212, v224
	v_add_nc_u32_e32 v231, 16, v231
	s_waitcnt lgkmcnt(0)
	v_xor_b32_e32 v215, 0x80000000, v240
	v_cndmask_b32_e64 v211, v223, v211, s0
	v_cndmask_b32_e32 v213, v225, v213, vcc_lo
	v_cmp_gt_f64_e32 vcc_lo, 0, v[239:240]
	v_cmp_gt_f64_e64 s0, 0, v[237:238]
	v_mov_b32_e32 v214, v239
	v_add_f64 v[210:211], v[210:211], v[212:213]
	v_xor_b32_e32 v213, 0x80000000, v238
	v_mov_b32_e32 v212, v237
	v_cndmask_b32_e32 v215, v240, v215, vcc_lo
	v_cndmask_b32_e64 v213, v238, v213, s0
	v_add_f64 v[212:213], v[212:213], v[214:215]
	v_cmp_lt_f64_e32 vcc_lo, v[210:211], v[212:213]
	v_cndmask_b32_e32 v223, v223, v238, vcc_lo
	v_cndmask_b32_e32 v222, v222, v237, vcc_lo
	;; [unrolled: 1-line block ×4, first 2 shown]
	v_cndmask_b32_e64 v230, v230, s1, vcc_lo
	s_add_i32 s1, s1, 1
	s_cmp_lg_u32 s8, s1
	s_cbranch_scc1 .LBB108_841
.LBB108_842:
	s_inst_prefetch 0x2
	s_waitcnt lgkmcnt(0)
	v_cmp_eq_f64_e32 vcc_lo, 0, v[222:223]
	v_cmp_eq_f64_e64 s0, 0, v[224:225]
	s_and_b32 s0, vcc_lo, s0
	s_and_saveexec_b32 s1, s0
	s_xor_b32 s0, exec_lo, s1
; %bb.843:
	v_cmp_ne_u32_e32 vcc_lo, 0, v235
	v_cndmask_b32_e32 v235, 41, v235, vcc_lo
; %bb.844:
	s_andn2_saveexec_b32 s0, s0
	s_cbranch_execz .LBB108_850
; %bb.845:
	v_cmp_ngt_f64_e64 s1, |v[222:223]|, |v[224:225]|
	s_and_saveexec_b32 s7, s1
	s_xor_b32 s1, exec_lo, s7
	s_cbranch_execz .LBB108_847
; %bb.846:
	v_div_scale_f64 v[210:211], null, v[224:225], v[224:225], v[222:223]
	v_div_scale_f64 v[216:217], vcc_lo, v[222:223], v[224:225], v[222:223]
	v_rcp_f64_e32 v[212:213], v[210:211]
	v_fma_f64 v[214:215], -v[210:211], v[212:213], 1.0
	v_fma_f64 v[212:213], v[212:213], v[214:215], v[212:213]
	v_fma_f64 v[214:215], -v[210:211], v[212:213], 1.0
	v_fma_f64 v[212:213], v[212:213], v[214:215], v[212:213]
	v_mul_f64 v[214:215], v[216:217], v[212:213]
	v_fma_f64 v[210:211], -v[210:211], v[214:215], v[216:217]
	v_div_fmas_f64 v[210:211], v[210:211], v[212:213], v[214:215]
	v_div_fixup_f64 v[210:211], v[210:211], v[224:225], v[222:223]
	v_fma_f64 v[212:213], v[222:223], v[210:211], v[224:225]
	v_div_scale_f64 v[214:215], null, v[212:213], v[212:213], 1.0
	v_rcp_f64_e32 v[216:217], v[214:215]
	v_fma_f64 v[222:223], -v[214:215], v[216:217], 1.0
	v_fma_f64 v[216:217], v[216:217], v[222:223], v[216:217]
	v_fma_f64 v[222:223], -v[214:215], v[216:217], 1.0
	v_fma_f64 v[216:217], v[216:217], v[222:223], v[216:217]
	v_div_scale_f64 v[222:223], vcc_lo, 1.0, v[212:213], 1.0
	v_mul_f64 v[224:225], v[222:223], v[216:217]
	v_fma_f64 v[214:215], -v[214:215], v[224:225], v[222:223]
	v_div_fmas_f64 v[214:215], v[214:215], v[216:217], v[224:225]
	v_div_fixup_f64 v[224:225], v[214:215], v[212:213], 1.0
	v_mul_f64 v[222:223], v[210:211], v[224:225]
	v_xor_b32_e32 v225, 0x80000000, v225
.LBB108_847:
	s_andn2_saveexec_b32 s1, s1
	s_cbranch_execz .LBB108_849
; %bb.848:
	v_div_scale_f64 v[210:211], null, v[222:223], v[222:223], v[224:225]
	v_div_scale_f64 v[216:217], vcc_lo, v[224:225], v[222:223], v[224:225]
	v_rcp_f64_e32 v[212:213], v[210:211]
	v_fma_f64 v[214:215], -v[210:211], v[212:213], 1.0
	v_fma_f64 v[212:213], v[212:213], v[214:215], v[212:213]
	v_fma_f64 v[214:215], -v[210:211], v[212:213], 1.0
	v_fma_f64 v[212:213], v[212:213], v[214:215], v[212:213]
	v_mul_f64 v[214:215], v[216:217], v[212:213]
	v_fma_f64 v[210:211], -v[210:211], v[214:215], v[216:217]
	v_div_fmas_f64 v[210:211], v[210:211], v[212:213], v[214:215]
	v_div_fixup_f64 v[210:211], v[210:211], v[222:223], v[224:225]
	v_fma_f64 v[212:213], v[224:225], v[210:211], v[222:223]
	v_div_scale_f64 v[214:215], null, v[212:213], v[212:213], 1.0
	v_rcp_f64_e32 v[216:217], v[214:215]
	v_fma_f64 v[222:223], -v[214:215], v[216:217], 1.0
	v_fma_f64 v[216:217], v[216:217], v[222:223], v[216:217]
	v_fma_f64 v[222:223], -v[214:215], v[216:217], 1.0
	v_fma_f64 v[216:217], v[216:217], v[222:223], v[216:217]
	v_div_scale_f64 v[222:223], vcc_lo, 1.0, v[212:213], 1.0
	v_mul_f64 v[224:225], v[222:223], v[216:217]
	v_fma_f64 v[214:215], -v[214:215], v[224:225], v[222:223]
	v_div_fmas_f64 v[214:215], v[214:215], v[216:217], v[224:225]
	v_div_fixup_f64 v[222:223], v[214:215], v[212:213], 1.0
	v_mul_f64 v[224:225], v[210:211], -v[222:223]
.LBB108_849:
	s_or_b32 exec_lo, exec_lo, s1
.LBB108_850:
	s_or_b32 exec_lo, exec_lo, s0
	s_mov_b32 s0, exec_lo
	v_cmpx_ne_u32_e64 v236, v230
	s_xor_b32 s0, exec_lo, s0
	s_cbranch_execz .LBB108_856
; %bb.851:
	s_mov_b32 s1, exec_lo
	v_cmpx_eq_u32_e32 40, v236
	s_cbranch_execz .LBB108_855
; %bb.852:
	v_cmp_ne_u32_e32 vcc_lo, 40, v230
	s_xor_b32 s7, s16, -1
	s_and_b32 s9, s7, vcc_lo
	s_and_saveexec_b32 s7, s9
	s_cbranch_execz .LBB108_854
; %bb.853:
	v_ashrrev_i32_e32 v231, 31, v230
	v_lshlrev_b64 v[210:211], 2, v[230:231]
	v_add_co_u32 v210, vcc_lo, v218, v210
	v_add_co_ci_u32_e64 v211, null, v219, v211, vcc_lo
	s_clause 0x1
	global_load_dword v0, v[210:211], off
	global_load_dword v212, v[218:219], off offset:160
	s_waitcnt vmcnt(1)
	global_store_dword v[218:219], v0, off offset:160
	s_waitcnt vmcnt(0)
	global_store_dword v[210:211], v212, off
.LBB108_854:
	s_or_b32 exec_lo, exec_lo, s7
	v_mov_b32_e32 v236, v230
	v_mov_b32_e32 v0, v230
.LBB108_855:
	s_or_b32 exec_lo, exec_lo, s1
.LBB108_856:
	s_andn2_saveexec_b32 s0, s0
	s_cbranch_execz .LBB108_858
; %bb.857:
	v_mov_b32_e32 v236, 40
	ds_write2_b64 v1, v[54:55], v[56:57] offset0:82 offset1:83
	ds_write2_b64 v1, v[50:51], v[52:53] offset0:84 offset1:85
	ds_write2_b64 v1, v[46:47], v[48:49] offset0:86 offset1:87
	ds_write2_b64 v1, v[42:43], v[44:45] offset0:88 offset1:89
	ds_write2_b64 v1, v[38:39], v[40:41] offset0:90 offset1:91
	ds_write2_b64 v1, v[34:35], v[36:37] offset0:92 offset1:93
	ds_write2_b64 v1, v[30:31], v[32:33] offset0:94 offset1:95
	ds_write2_b64 v1, v[26:27], v[28:29] offset0:96 offset1:97
	ds_write2_b64 v1, v[22:23], v[24:25] offset0:98 offset1:99
	ds_write2_b64 v1, v[18:19], v[20:21] offset0:100 offset1:101
	ds_write2_b64 v1, v[14:15], v[16:17] offset0:102 offset1:103
	ds_write2_b64 v1, v[10:11], v[12:13] offset0:104 offset1:105
	ds_write2_b64 v1, v[6:7], v[8:9] offset0:106 offset1:107
	ds_write2_b64 v1, v[2:3], v[4:5] offset0:108 offset1:109
.LBB108_858:
	s_or_b32 exec_lo, exec_lo, s0
	s_mov_b32 s0, exec_lo
	s_waitcnt lgkmcnt(0)
	s_waitcnt_vscnt null, 0x0
	s_barrier
	buffer_gl0_inv
	v_cmpx_lt_i32_e32 40, v236
	s_cbranch_execz .LBB108_860
; %bb.859:
	v_mul_f64 v[210:211], v[222:223], v[60:61]
	v_mul_f64 v[60:61], v[224:225], v[60:61]
	v_fma_f64 v[210:211], v[224:225], v[58:59], v[210:211]
	v_fma_f64 v[58:59], v[222:223], v[58:59], -v[60:61]
	ds_read2_b64 v[222:225], v1 offset0:82 offset1:83
	s_waitcnt lgkmcnt(0)
	v_mul_f64 v[60:61], v[224:225], v[210:211]
	v_mul_f64 v[212:213], v[222:223], v[210:211]
	v_fma_f64 v[60:61], v[222:223], v[58:59], -v[60:61]
	v_fma_f64 v[212:213], v[224:225], v[58:59], v[212:213]
	ds_read2_b64 v[222:225], v1 offset0:84 offset1:85
	v_add_f64 v[54:55], v[54:55], -v[60:61]
	v_add_f64 v[56:57], v[56:57], -v[212:213]
	s_waitcnt lgkmcnt(0)
	v_mul_f64 v[60:61], v[224:225], v[210:211]
	v_mul_f64 v[212:213], v[222:223], v[210:211]
	v_fma_f64 v[60:61], v[222:223], v[58:59], -v[60:61]
	v_fma_f64 v[212:213], v[224:225], v[58:59], v[212:213]
	ds_read2_b64 v[222:225], v1 offset0:86 offset1:87
	v_add_f64 v[50:51], v[50:51], -v[60:61]
	v_add_f64 v[52:53], v[52:53], -v[212:213]
	;; [unrolled: 8-line block ×13, first 2 shown]
	s_waitcnt lgkmcnt(0)
	v_mul_f64 v[60:61], v[224:225], v[210:211]
	v_mul_f64 v[212:213], v[222:223], v[210:211]
	v_fma_f64 v[60:61], v[222:223], v[58:59], -v[60:61]
	v_fma_f64 v[212:213], v[224:225], v[58:59], v[212:213]
	v_add_f64 v[2:3], v[2:3], -v[60:61]
	v_add_f64 v[4:5], v[4:5], -v[212:213]
	v_mov_b32_e32 v60, v210
	v_mov_b32_e32 v61, v211
.LBB108_860:
	s_or_b32 exec_lo, exec_lo, s0
	v_lshl_add_u32 v210, v236, 4, v1
	s_barrier
	buffer_gl0_inv
	v_mov_b32_e32 v230, 41
	ds_write2_b64 v210, v[54:55], v[56:57] offset1:1
	s_waitcnt lgkmcnt(0)
	s_barrier
	buffer_gl0_inv
	ds_read2_b64 v[222:225], v1 offset0:82 offset1:83
	s_cmp_lt_i32 s8, 43
	s_cbranch_scc1 .LBB108_863
; %bb.861:
	v_add3_u32 v231, v253, 0, 0x2a0
	v_mov_b32_e32 v230, 41
	s_mov_b32 s1, 42
	s_inst_prefetch 0x1
	.p2align	6
.LBB108_862:                            ; =>This Inner Loop Header: Depth=1
	s_waitcnt lgkmcnt(0)
	v_cmp_gt_f64_e32 vcc_lo, 0, v[224:225]
	v_cmp_gt_f64_e64 s0, 0, v[222:223]
	ds_read2_b64 v[237:240], v231 offset1:1
	v_xor_b32_e32 v211, 0x80000000, v223
	v_xor_b32_e32 v213, 0x80000000, v225
	v_mov_b32_e32 v210, v222
	v_mov_b32_e32 v212, v224
	v_add_nc_u32_e32 v231, 16, v231
	s_waitcnt lgkmcnt(0)
	v_xor_b32_e32 v215, 0x80000000, v240
	v_cndmask_b32_e64 v211, v223, v211, s0
	v_cndmask_b32_e32 v213, v225, v213, vcc_lo
	v_cmp_gt_f64_e32 vcc_lo, 0, v[239:240]
	v_cmp_gt_f64_e64 s0, 0, v[237:238]
	v_mov_b32_e32 v214, v239
	v_add_f64 v[210:211], v[210:211], v[212:213]
	v_xor_b32_e32 v213, 0x80000000, v238
	v_mov_b32_e32 v212, v237
	v_cndmask_b32_e32 v215, v240, v215, vcc_lo
	v_cndmask_b32_e64 v213, v238, v213, s0
	v_add_f64 v[212:213], v[212:213], v[214:215]
	v_cmp_lt_f64_e32 vcc_lo, v[210:211], v[212:213]
	v_cndmask_b32_e32 v223, v223, v238, vcc_lo
	v_cndmask_b32_e32 v222, v222, v237, vcc_lo
	;; [unrolled: 1-line block ×4, first 2 shown]
	v_cndmask_b32_e64 v230, v230, s1, vcc_lo
	s_add_i32 s1, s1, 1
	s_cmp_lg_u32 s8, s1
	s_cbranch_scc1 .LBB108_862
.LBB108_863:
	s_inst_prefetch 0x2
	s_waitcnt lgkmcnt(0)
	v_cmp_eq_f64_e32 vcc_lo, 0, v[222:223]
	v_cmp_eq_f64_e64 s0, 0, v[224:225]
	s_and_b32 s0, vcc_lo, s0
	s_and_saveexec_b32 s1, s0
	s_xor_b32 s0, exec_lo, s1
; %bb.864:
	v_cmp_ne_u32_e32 vcc_lo, 0, v235
	v_cndmask_b32_e32 v235, 42, v235, vcc_lo
; %bb.865:
	s_andn2_saveexec_b32 s0, s0
	s_cbranch_execz .LBB108_871
; %bb.866:
	v_cmp_ngt_f64_e64 s1, |v[222:223]|, |v[224:225]|
	s_and_saveexec_b32 s7, s1
	s_xor_b32 s1, exec_lo, s7
	s_cbranch_execz .LBB108_868
; %bb.867:
	v_div_scale_f64 v[210:211], null, v[224:225], v[224:225], v[222:223]
	v_div_scale_f64 v[216:217], vcc_lo, v[222:223], v[224:225], v[222:223]
	v_rcp_f64_e32 v[212:213], v[210:211]
	v_fma_f64 v[214:215], -v[210:211], v[212:213], 1.0
	v_fma_f64 v[212:213], v[212:213], v[214:215], v[212:213]
	v_fma_f64 v[214:215], -v[210:211], v[212:213], 1.0
	v_fma_f64 v[212:213], v[212:213], v[214:215], v[212:213]
	v_mul_f64 v[214:215], v[216:217], v[212:213]
	v_fma_f64 v[210:211], -v[210:211], v[214:215], v[216:217]
	v_div_fmas_f64 v[210:211], v[210:211], v[212:213], v[214:215]
	v_div_fixup_f64 v[210:211], v[210:211], v[224:225], v[222:223]
	v_fma_f64 v[212:213], v[222:223], v[210:211], v[224:225]
	v_div_scale_f64 v[214:215], null, v[212:213], v[212:213], 1.0
	v_rcp_f64_e32 v[216:217], v[214:215]
	v_fma_f64 v[222:223], -v[214:215], v[216:217], 1.0
	v_fma_f64 v[216:217], v[216:217], v[222:223], v[216:217]
	v_fma_f64 v[222:223], -v[214:215], v[216:217], 1.0
	v_fma_f64 v[216:217], v[216:217], v[222:223], v[216:217]
	v_div_scale_f64 v[222:223], vcc_lo, 1.0, v[212:213], 1.0
	v_mul_f64 v[224:225], v[222:223], v[216:217]
	v_fma_f64 v[214:215], -v[214:215], v[224:225], v[222:223]
	v_div_fmas_f64 v[214:215], v[214:215], v[216:217], v[224:225]
	v_div_fixup_f64 v[224:225], v[214:215], v[212:213], 1.0
	v_mul_f64 v[222:223], v[210:211], v[224:225]
	v_xor_b32_e32 v225, 0x80000000, v225
.LBB108_868:
	s_andn2_saveexec_b32 s1, s1
	s_cbranch_execz .LBB108_870
; %bb.869:
	v_div_scale_f64 v[210:211], null, v[222:223], v[222:223], v[224:225]
	v_div_scale_f64 v[216:217], vcc_lo, v[224:225], v[222:223], v[224:225]
	v_rcp_f64_e32 v[212:213], v[210:211]
	v_fma_f64 v[214:215], -v[210:211], v[212:213], 1.0
	v_fma_f64 v[212:213], v[212:213], v[214:215], v[212:213]
	v_fma_f64 v[214:215], -v[210:211], v[212:213], 1.0
	v_fma_f64 v[212:213], v[212:213], v[214:215], v[212:213]
	v_mul_f64 v[214:215], v[216:217], v[212:213]
	v_fma_f64 v[210:211], -v[210:211], v[214:215], v[216:217]
	v_div_fmas_f64 v[210:211], v[210:211], v[212:213], v[214:215]
	v_div_fixup_f64 v[210:211], v[210:211], v[222:223], v[224:225]
	v_fma_f64 v[212:213], v[224:225], v[210:211], v[222:223]
	v_div_scale_f64 v[214:215], null, v[212:213], v[212:213], 1.0
	v_rcp_f64_e32 v[216:217], v[214:215]
	v_fma_f64 v[222:223], -v[214:215], v[216:217], 1.0
	v_fma_f64 v[216:217], v[216:217], v[222:223], v[216:217]
	v_fma_f64 v[222:223], -v[214:215], v[216:217], 1.0
	v_fma_f64 v[216:217], v[216:217], v[222:223], v[216:217]
	v_div_scale_f64 v[222:223], vcc_lo, 1.0, v[212:213], 1.0
	v_mul_f64 v[224:225], v[222:223], v[216:217]
	v_fma_f64 v[214:215], -v[214:215], v[224:225], v[222:223]
	v_div_fmas_f64 v[214:215], v[214:215], v[216:217], v[224:225]
	v_div_fixup_f64 v[222:223], v[214:215], v[212:213], 1.0
	v_mul_f64 v[224:225], v[210:211], -v[222:223]
.LBB108_870:
	s_or_b32 exec_lo, exec_lo, s1
.LBB108_871:
	s_or_b32 exec_lo, exec_lo, s0
	s_mov_b32 s0, exec_lo
	v_cmpx_ne_u32_e64 v236, v230
	s_xor_b32 s0, exec_lo, s0
	s_cbranch_execz .LBB108_877
; %bb.872:
	s_mov_b32 s1, exec_lo
	v_cmpx_eq_u32_e32 41, v236
	s_cbranch_execz .LBB108_876
; %bb.873:
	v_cmp_ne_u32_e32 vcc_lo, 41, v230
	s_xor_b32 s7, s16, -1
	s_and_b32 s9, s7, vcc_lo
	s_and_saveexec_b32 s7, s9
	s_cbranch_execz .LBB108_875
; %bb.874:
	v_ashrrev_i32_e32 v231, 31, v230
	v_lshlrev_b64 v[210:211], 2, v[230:231]
	v_add_co_u32 v210, vcc_lo, v218, v210
	v_add_co_ci_u32_e64 v211, null, v219, v211, vcc_lo
	s_clause 0x1
	global_load_dword v0, v[210:211], off
	global_load_dword v212, v[218:219], off offset:164
	s_waitcnt vmcnt(1)
	global_store_dword v[218:219], v0, off offset:164
	s_waitcnt vmcnt(0)
	global_store_dword v[210:211], v212, off
.LBB108_875:
	s_or_b32 exec_lo, exec_lo, s7
	v_mov_b32_e32 v236, v230
	v_mov_b32_e32 v0, v230
.LBB108_876:
	s_or_b32 exec_lo, exec_lo, s1
.LBB108_877:
	s_andn2_saveexec_b32 s0, s0
	s_cbranch_execz .LBB108_879
; %bb.878:
	v_mov_b32_e32 v236, 41
	ds_write2_b64 v1, v[50:51], v[52:53] offset0:84 offset1:85
	ds_write2_b64 v1, v[46:47], v[48:49] offset0:86 offset1:87
	ds_write2_b64 v1, v[42:43], v[44:45] offset0:88 offset1:89
	ds_write2_b64 v1, v[38:39], v[40:41] offset0:90 offset1:91
	ds_write2_b64 v1, v[34:35], v[36:37] offset0:92 offset1:93
	ds_write2_b64 v1, v[30:31], v[32:33] offset0:94 offset1:95
	ds_write2_b64 v1, v[26:27], v[28:29] offset0:96 offset1:97
	ds_write2_b64 v1, v[22:23], v[24:25] offset0:98 offset1:99
	ds_write2_b64 v1, v[18:19], v[20:21] offset0:100 offset1:101
	ds_write2_b64 v1, v[14:15], v[16:17] offset0:102 offset1:103
	ds_write2_b64 v1, v[10:11], v[12:13] offset0:104 offset1:105
	ds_write2_b64 v1, v[6:7], v[8:9] offset0:106 offset1:107
	ds_write2_b64 v1, v[2:3], v[4:5] offset0:108 offset1:109
.LBB108_879:
	s_or_b32 exec_lo, exec_lo, s0
	s_mov_b32 s0, exec_lo
	s_waitcnt lgkmcnt(0)
	s_waitcnt_vscnt null, 0x0
	s_barrier
	buffer_gl0_inv
	v_cmpx_lt_i32_e32 41, v236
	s_cbranch_execz .LBB108_881
; %bb.880:
	v_mul_f64 v[210:211], v[222:223], v[56:57]
	v_mul_f64 v[56:57], v[224:225], v[56:57]
	v_fma_f64 v[210:211], v[224:225], v[54:55], v[210:211]
	v_fma_f64 v[54:55], v[222:223], v[54:55], -v[56:57]
	ds_read2_b64 v[222:225], v1 offset0:84 offset1:85
	s_waitcnt lgkmcnt(0)
	v_mul_f64 v[56:57], v[224:225], v[210:211]
	v_mul_f64 v[212:213], v[222:223], v[210:211]
	v_fma_f64 v[56:57], v[222:223], v[54:55], -v[56:57]
	v_fma_f64 v[212:213], v[224:225], v[54:55], v[212:213]
	ds_read2_b64 v[222:225], v1 offset0:86 offset1:87
	v_add_f64 v[50:51], v[50:51], -v[56:57]
	v_add_f64 v[52:53], v[52:53], -v[212:213]
	s_waitcnt lgkmcnt(0)
	v_mul_f64 v[56:57], v[224:225], v[210:211]
	v_mul_f64 v[212:213], v[222:223], v[210:211]
	v_fma_f64 v[56:57], v[222:223], v[54:55], -v[56:57]
	v_fma_f64 v[212:213], v[224:225], v[54:55], v[212:213]
	ds_read2_b64 v[222:225], v1 offset0:88 offset1:89
	v_add_f64 v[46:47], v[46:47], -v[56:57]
	v_add_f64 v[48:49], v[48:49], -v[212:213]
	;; [unrolled: 8-line block ×12, first 2 shown]
	s_waitcnt lgkmcnt(0)
	v_mul_f64 v[56:57], v[224:225], v[210:211]
	v_mul_f64 v[212:213], v[222:223], v[210:211]
	v_fma_f64 v[56:57], v[222:223], v[54:55], -v[56:57]
	v_fma_f64 v[212:213], v[224:225], v[54:55], v[212:213]
	v_add_f64 v[2:3], v[2:3], -v[56:57]
	v_add_f64 v[4:5], v[4:5], -v[212:213]
	v_mov_b32_e32 v56, v210
	v_mov_b32_e32 v57, v211
.LBB108_881:
	s_or_b32 exec_lo, exec_lo, s0
	v_lshl_add_u32 v210, v236, 4, v1
	s_barrier
	buffer_gl0_inv
	v_mov_b32_e32 v230, 42
	ds_write2_b64 v210, v[50:51], v[52:53] offset1:1
	s_waitcnt lgkmcnt(0)
	s_barrier
	buffer_gl0_inv
	ds_read2_b64 v[222:225], v1 offset0:84 offset1:85
	s_cmp_lt_i32 s8, 44
	s_cbranch_scc1 .LBB108_884
; %bb.882:
	v_add3_u32 v231, v253, 0, 0x2b0
	v_mov_b32_e32 v230, 42
	s_mov_b32 s1, 43
	s_inst_prefetch 0x1
	.p2align	6
.LBB108_883:                            ; =>This Inner Loop Header: Depth=1
	s_waitcnt lgkmcnt(0)
	v_cmp_gt_f64_e32 vcc_lo, 0, v[224:225]
	v_cmp_gt_f64_e64 s0, 0, v[222:223]
	ds_read2_b64 v[237:240], v231 offset1:1
	v_xor_b32_e32 v211, 0x80000000, v223
	v_xor_b32_e32 v213, 0x80000000, v225
	v_mov_b32_e32 v210, v222
	v_mov_b32_e32 v212, v224
	v_add_nc_u32_e32 v231, 16, v231
	s_waitcnt lgkmcnt(0)
	v_xor_b32_e32 v215, 0x80000000, v240
	v_cndmask_b32_e64 v211, v223, v211, s0
	v_cndmask_b32_e32 v213, v225, v213, vcc_lo
	v_cmp_gt_f64_e32 vcc_lo, 0, v[239:240]
	v_cmp_gt_f64_e64 s0, 0, v[237:238]
	v_mov_b32_e32 v214, v239
	v_add_f64 v[210:211], v[210:211], v[212:213]
	v_xor_b32_e32 v213, 0x80000000, v238
	v_mov_b32_e32 v212, v237
	v_cndmask_b32_e32 v215, v240, v215, vcc_lo
	v_cndmask_b32_e64 v213, v238, v213, s0
	v_add_f64 v[212:213], v[212:213], v[214:215]
	v_cmp_lt_f64_e32 vcc_lo, v[210:211], v[212:213]
	v_cndmask_b32_e32 v223, v223, v238, vcc_lo
	v_cndmask_b32_e32 v222, v222, v237, vcc_lo
	;; [unrolled: 1-line block ×4, first 2 shown]
	v_cndmask_b32_e64 v230, v230, s1, vcc_lo
	s_add_i32 s1, s1, 1
	s_cmp_lg_u32 s8, s1
	s_cbranch_scc1 .LBB108_883
.LBB108_884:
	s_inst_prefetch 0x2
	s_waitcnt lgkmcnt(0)
	v_cmp_eq_f64_e32 vcc_lo, 0, v[222:223]
	v_cmp_eq_f64_e64 s0, 0, v[224:225]
	s_and_b32 s0, vcc_lo, s0
	s_and_saveexec_b32 s1, s0
	s_xor_b32 s0, exec_lo, s1
; %bb.885:
	v_cmp_ne_u32_e32 vcc_lo, 0, v235
	v_cndmask_b32_e32 v235, 43, v235, vcc_lo
; %bb.886:
	s_andn2_saveexec_b32 s0, s0
	s_cbranch_execz .LBB108_892
; %bb.887:
	v_cmp_ngt_f64_e64 s1, |v[222:223]|, |v[224:225]|
	s_and_saveexec_b32 s7, s1
	s_xor_b32 s1, exec_lo, s7
	s_cbranch_execz .LBB108_889
; %bb.888:
	v_div_scale_f64 v[210:211], null, v[224:225], v[224:225], v[222:223]
	v_div_scale_f64 v[216:217], vcc_lo, v[222:223], v[224:225], v[222:223]
	v_rcp_f64_e32 v[212:213], v[210:211]
	v_fma_f64 v[214:215], -v[210:211], v[212:213], 1.0
	v_fma_f64 v[212:213], v[212:213], v[214:215], v[212:213]
	v_fma_f64 v[214:215], -v[210:211], v[212:213], 1.0
	v_fma_f64 v[212:213], v[212:213], v[214:215], v[212:213]
	v_mul_f64 v[214:215], v[216:217], v[212:213]
	v_fma_f64 v[210:211], -v[210:211], v[214:215], v[216:217]
	v_div_fmas_f64 v[210:211], v[210:211], v[212:213], v[214:215]
	v_div_fixup_f64 v[210:211], v[210:211], v[224:225], v[222:223]
	v_fma_f64 v[212:213], v[222:223], v[210:211], v[224:225]
	v_div_scale_f64 v[214:215], null, v[212:213], v[212:213], 1.0
	v_rcp_f64_e32 v[216:217], v[214:215]
	v_fma_f64 v[222:223], -v[214:215], v[216:217], 1.0
	v_fma_f64 v[216:217], v[216:217], v[222:223], v[216:217]
	v_fma_f64 v[222:223], -v[214:215], v[216:217], 1.0
	v_fma_f64 v[216:217], v[216:217], v[222:223], v[216:217]
	v_div_scale_f64 v[222:223], vcc_lo, 1.0, v[212:213], 1.0
	v_mul_f64 v[224:225], v[222:223], v[216:217]
	v_fma_f64 v[214:215], -v[214:215], v[224:225], v[222:223]
	v_div_fmas_f64 v[214:215], v[214:215], v[216:217], v[224:225]
	v_div_fixup_f64 v[224:225], v[214:215], v[212:213], 1.0
	v_mul_f64 v[222:223], v[210:211], v[224:225]
	v_xor_b32_e32 v225, 0x80000000, v225
.LBB108_889:
	s_andn2_saveexec_b32 s1, s1
	s_cbranch_execz .LBB108_891
; %bb.890:
	v_div_scale_f64 v[210:211], null, v[222:223], v[222:223], v[224:225]
	v_div_scale_f64 v[216:217], vcc_lo, v[224:225], v[222:223], v[224:225]
	v_rcp_f64_e32 v[212:213], v[210:211]
	v_fma_f64 v[214:215], -v[210:211], v[212:213], 1.0
	v_fma_f64 v[212:213], v[212:213], v[214:215], v[212:213]
	v_fma_f64 v[214:215], -v[210:211], v[212:213], 1.0
	v_fma_f64 v[212:213], v[212:213], v[214:215], v[212:213]
	v_mul_f64 v[214:215], v[216:217], v[212:213]
	v_fma_f64 v[210:211], -v[210:211], v[214:215], v[216:217]
	v_div_fmas_f64 v[210:211], v[210:211], v[212:213], v[214:215]
	v_div_fixup_f64 v[210:211], v[210:211], v[222:223], v[224:225]
	v_fma_f64 v[212:213], v[224:225], v[210:211], v[222:223]
	v_div_scale_f64 v[214:215], null, v[212:213], v[212:213], 1.0
	v_rcp_f64_e32 v[216:217], v[214:215]
	v_fma_f64 v[222:223], -v[214:215], v[216:217], 1.0
	v_fma_f64 v[216:217], v[216:217], v[222:223], v[216:217]
	v_fma_f64 v[222:223], -v[214:215], v[216:217], 1.0
	v_fma_f64 v[216:217], v[216:217], v[222:223], v[216:217]
	v_div_scale_f64 v[222:223], vcc_lo, 1.0, v[212:213], 1.0
	v_mul_f64 v[224:225], v[222:223], v[216:217]
	v_fma_f64 v[214:215], -v[214:215], v[224:225], v[222:223]
	v_div_fmas_f64 v[214:215], v[214:215], v[216:217], v[224:225]
	v_div_fixup_f64 v[222:223], v[214:215], v[212:213], 1.0
	v_mul_f64 v[224:225], v[210:211], -v[222:223]
.LBB108_891:
	s_or_b32 exec_lo, exec_lo, s1
.LBB108_892:
	s_or_b32 exec_lo, exec_lo, s0
	s_mov_b32 s0, exec_lo
	v_cmpx_ne_u32_e64 v236, v230
	s_xor_b32 s0, exec_lo, s0
	s_cbranch_execz .LBB108_898
; %bb.893:
	s_mov_b32 s1, exec_lo
	v_cmpx_eq_u32_e32 42, v236
	s_cbranch_execz .LBB108_897
; %bb.894:
	v_cmp_ne_u32_e32 vcc_lo, 42, v230
	s_xor_b32 s7, s16, -1
	s_and_b32 s9, s7, vcc_lo
	s_and_saveexec_b32 s7, s9
	s_cbranch_execz .LBB108_896
; %bb.895:
	v_ashrrev_i32_e32 v231, 31, v230
	v_lshlrev_b64 v[210:211], 2, v[230:231]
	v_add_co_u32 v210, vcc_lo, v218, v210
	v_add_co_ci_u32_e64 v211, null, v219, v211, vcc_lo
	s_clause 0x1
	global_load_dword v0, v[210:211], off
	global_load_dword v212, v[218:219], off offset:168
	s_waitcnt vmcnt(1)
	global_store_dword v[218:219], v0, off offset:168
	s_waitcnt vmcnt(0)
	global_store_dword v[210:211], v212, off
.LBB108_896:
	s_or_b32 exec_lo, exec_lo, s7
	v_mov_b32_e32 v236, v230
	v_mov_b32_e32 v0, v230
.LBB108_897:
	s_or_b32 exec_lo, exec_lo, s1
.LBB108_898:
	s_andn2_saveexec_b32 s0, s0
	s_cbranch_execz .LBB108_900
; %bb.899:
	v_mov_b32_e32 v236, 42
	ds_write2_b64 v1, v[46:47], v[48:49] offset0:86 offset1:87
	ds_write2_b64 v1, v[42:43], v[44:45] offset0:88 offset1:89
	;; [unrolled: 1-line block ×12, first 2 shown]
.LBB108_900:
	s_or_b32 exec_lo, exec_lo, s0
	s_mov_b32 s0, exec_lo
	s_waitcnt lgkmcnt(0)
	s_waitcnt_vscnt null, 0x0
	s_barrier
	buffer_gl0_inv
	v_cmpx_lt_i32_e32 42, v236
	s_cbranch_execz .LBB108_902
; %bb.901:
	v_mul_f64 v[210:211], v[222:223], v[52:53]
	v_mul_f64 v[52:53], v[224:225], v[52:53]
	v_fma_f64 v[210:211], v[224:225], v[50:51], v[210:211]
	v_fma_f64 v[50:51], v[222:223], v[50:51], -v[52:53]
	ds_read2_b64 v[222:225], v1 offset0:86 offset1:87
	s_waitcnt lgkmcnt(0)
	v_mul_f64 v[52:53], v[224:225], v[210:211]
	v_mul_f64 v[212:213], v[222:223], v[210:211]
	v_fma_f64 v[52:53], v[222:223], v[50:51], -v[52:53]
	v_fma_f64 v[212:213], v[224:225], v[50:51], v[212:213]
	ds_read2_b64 v[222:225], v1 offset0:88 offset1:89
	v_add_f64 v[46:47], v[46:47], -v[52:53]
	v_add_f64 v[48:49], v[48:49], -v[212:213]
	s_waitcnt lgkmcnt(0)
	v_mul_f64 v[52:53], v[224:225], v[210:211]
	v_mul_f64 v[212:213], v[222:223], v[210:211]
	v_fma_f64 v[52:53], v[222:223], v[50:51], -v[52:53]
	v_fma_f64 v[212:213], v[224:225], v[50:51], v[212:213]
	ds_read2_b64 v[222:225], v1 offset0:90 offset1:91
	v_add_f64 v[42:43], v[42:43], -v[52:53]
	v_add_f64 v[44:45], v[44:45], -v[212:213]
	;; [unrolled: 8-line block ×11, first 2 shown]
	s_waitcnt lgkmcnt(0)
	v_mul_f64 v[52:53], v[224:225], v[210:211]
	v_mul_f64 v[212:213], v[222:223], v[210:211]
	v_fma_f64 v[52:53], v[222:223], v[50:51], -v[52:53]
	v_fma_f64 v[212:213], v[224:225], v[50:51], v[212:213]
	v_add_f64 v[2:3], v[2:3], -v[52:53]
	v_add_f64 v[4:5], v[4:5], -v[212:213]
	v_mov_b32_e32 v52, v210
	v_mov_b32_e32 v53, v211
.LBB108_902:
	s_or_b32 exec_lo, exec_lo, s0
	v_lshl_add_u32 v210, v236, 4, v1
	s_barrier
	buffer_gl0_inv
	v_mov_b32_e32 v230, 43
	ds_write2_b64 v210, v[46:47], v[48:49] offset1:1
	s_waitcnt lgkmcnt(0)
	s_barrier
	buffer_gl0_inv
	ds_read2_b64 v[222:225], v1 offset0:86 offset1:87
	s_cmp_lt_i32 s8, 45
	s_cbranch_scc1 .LBB108_905
; %bb.903:
	v_add3_u32 v231, v253, 0, 0x2c0
	v_mov_b32_e32 v230, 43
	s_mov_b32 s1, 44
	s_inst_prefetch 0x1
	.p2align	6
.LBB108_904:                            ; =>This Inner Loop Header: Depth=1
	s_waitcnt lgkmcnt(0)
	v_cmp_gt_f64_e32 vcc_lo, 0, v[224:225]
	v_cmp_gt_f64_e64 s0, 0, v[222:223]
	ds_read2_b64 v[237:240], v231 offset1:1
	v_xor_b32_e32 v211, 0x80000000, v223
	v_xor_b32_e32 v213, 0x80000000, v225
	v_mov_b32_e32 v210, v222
	v_mov_b32_e32 v212, v224
	v_add_nc_u32_e32 v231, 16, v231
	s_waitcnt lgkmcnt(0)
	v_xor_b32_e32 v215, 0x80000000, v240
	v_cndmask_b32_e64 v211, v223, v211, s0
	v_cndmask_b32_e32 v213, v225, v213, vcc_lo
	v_cmp_gt_f64_e32 vcc_lo, 0, v[239:240]
	v_cmp_gt_f64_e64 s0, 0, v[237:238]
	v_mov_b32_e32 v214, v239
	v_add_f64 v[210:211], v[210:211], v[212:213]
	v_xor_b32_e32 v213, 0x80000000, v238
	v_mov_b32_e32 v212, v237
	v_cndmask_b32_e32 v215, v240, v215, vcc_lo
	v_cndmask_b32_e64 v213, v238, v213, s0
	v_add_f64 v[212:213], v[212:213], v[214:215]
	v_cmp_lt_f64_e32 vcc_lo, v[210:211], v[212:213]
	v_cndmask_b32_e32 v223, v223, v238, vcc_lo
	v_cndmask_b32_e32 v222, v222, v237, vcc_lo
	;; [unrolled: 1-line block ×4, first 2 shown]
	v_cndmask_b32_e64 v230, v230, s1, vcc_lo
	s_add_i32 s1, s1, 1
	s_cmp_lg_u32 s8, s1
	s_cbranch_scc1 .LBB108_904
.LBB108_905:
	s_inst_prefetch 0x2
	s_waitcnt lgkmcnt(0)
	v_cmp_eq_f64_e32 vcc_lo, 0, v[222:223]
	v_cmp_eq_f64_e64 s0, 0, v[224:225]
	s_and_b32 s0, vcc_lo, s0
	s_and_saveexec_b32 s1, s0
	s_xor_b32 s0, exec_lo, s1
; %bb.906:
	v_cmp_ne_u32_e32 vcc_lo, 0, v235
	v_cndmask_b32_e32 v235, 44, v235, vcc_lo
; %bb.907:
	s_andn2_saveexec_b32 s0, s0
	s_cbranch_execz .LBB108_913
; %bb.908:
	v_cmp_ngt_f64_e64 s1, |v[222:223]|, |v[224:225]|
	s_and_saveexec_b32 s7, s1
	s_xor_b32 s1, exec_lo, s7
	s_cbranch_execz .LBB108_910
; %bb.909:
	v_div_scale_f64 v[210:211], null, v[224:225], v[224:225], v[222:223]
	v_div_scale_f64 v[216:217], vcc_lo, v[222:223], v[224:225], v[222:223]
	v_rcp_f64_e32 v[212:213], v[210:211]
	v_fma_f64 v[214:215], -v[210:211], v[212:213], 1.0
	v_fma_f64 v[212:213], v[212:213], v[214:215], v[212:213]
	v_fma_f64 v[214:215], -v[210:211], v[212:213], 1.0
	v_fma_f64 v[212:213], v[212:213], v[214:215], v[212:213]
	v_mul_f64 v[214:215], v[216:217], v[212:213]
	v_fma_f64 v[210:211], -v[210:211], v[214:215], v[216:217]
	v_div_fmas_f64 v[210:211], v[210:211], v[212:213], v[214:215]
	v_div_fixup_f64 v[210:211], v[210:211], v[224:225], v[222:223]
	v_fma_f64 v[212:213], v[222:223], v[210:211], v[224:225]
	v_div_scale_f64 v[214:215], null, v[212:213], v[212:213], 1.0
	v_rcp_f64_e32 v[216:217], v[214:215]
	v_fma_f64 v[222:223], -v[214:215], v[216:217], 1.0
	v_fma_f64 v[216:217], v[216:217], v[222:223], v[216:217]
	v_fma_f64 v[222:223], -v[214:215], v[216:217], 1.0
	v_fma_f64 v[216:217], v[216:217], v[222:223], v[216:217]
	v_div_scale_f64 v[222:223], vcc_lo, 1.0, v[212:213], 1.0
	v_mul_f64 v[224:225], v[222:223], v[216:217]
	v_fma_f64 v[214:215], -v[214:215], v[224:225], v[222:223]
	v_div_fmas_f64 v[214:215], v[214:215], v[216:217], v[224:225]
	v_div_fixup_f64 v[224:225], v[214:215], v[212:213], 1.0
	v_mul_f64 v[222:223], v[210:211], v[224:225]
	v_xor_b32_e32 v225, 0x80000000, v225
.LBB108_910:
	s_andn2_saveexec_b32 s1, s1
	s_cbranch_execz .LBB108_912
; %bb.911:
	v_div_scale_f64 v[210:211], null, v[222:223], v[222:223], v[224:225]
	v_div_scale_f64 v[216:217], vcc_lo, v[224:225], v[222:223], v[224:225]
	v_rcp_f64_e32 v[212:213], v[210:211]
	v_fma_f64 v[214:215], -v[210:211], v[212:213], 1.0
	v_fma_f64 v[212:213], v[212:213], v[214:215], v[212:213]
	v_fma_f64 v[214:215], -v[210:211], v[212:213], 1.0
	v_fma_f64 v[212:213], v[212:213], v[214:215], v[212:213]
	v_mul_f64 v[214:215], v[216:217], v[212:213]
	v_fma_f64 v[210:211], -v[210:211], v[214:215], v[216:217]
	v_div_fmas_f64 v[210:211], v[210:211], v[212:213], v[214:215]
	v_div_fixup_f64 v[210:211], v[210:211], v[222:223], v[224:225]
	v_fma_f64 v[212:213], v[224:225], v[210:211], v[222:223]
	v_div_scale_f64 v[214:215], null, v[212:213], v[212:213], 1.0
	v_rcp_f64_e32 v[216:217], v[214:215]
	v_fma_f64 v[222:223], -v[214:215], v[216:217], 1.0
	v_fma_f64 v[216:217], v[216:217], v[222:223], v[216:217]
	v_fma_f64 v[222:223], -v[214:215], v[216:217], 1.0
	v_fma_f64 v[216:217], v[216:217], v[222:223], v[216:217]
	v_div_scale_f64 v[222:223], vcc_lo, 1.0, v[212:213], 1.0
	v_mul_f64 v[224:225], v[222:223], v[216:217]
	v_fma_f64 v[214:215], -v[214:215], v[224:225], v[222:223]
	v_div_fmas_f64 v[214:215], v[214:215], v[216:217], v[224:225]
	v_div_fixup_f64 v[222:223], v[214:215], v[212:213], 1.0
	v_mul_f64 v[224:225], v[210:211], -v[222:223]
.LBB108_912:
	s_or_b32 exec_lo, exec_lo, s1
.LBB108_913:
	s_or_b32 exec_lo, exec_lo, s0
	s_mov_b32 s0, exec_lo
	v_cmpx_ne_u32_e64 v236, v230
	s_xor_b32 s0, exec_lo, s0
	s_cbranch_execz .LBB108_919
; %bb.914:
	s_mov_b32 s1, exec_lo
	v_cmpx_eq_u32_e32 43, v236
	s_cbranch_execz .LBB108_918
; %bb.915:
	v_cmp_ne_u32_e32 vcc_lo, 43, v230
	s_xor_b32 s7, s16, -1
	s_and_b32 s9, s7, vcc_lo
	s_and_saveexec_b32 s7, s9
	s_cbranch_execz .LBB108_917
; %bb.916:
	v_ashrrev_i32_e32 v231, 31, v230
	v_lshlrev_b64 v[210:211], 2, v[230:231]
	v_add_co_u32 v210, vcc_lo, v218, v210
	v_add_co_ci_u32_e64 v211, null, v219, v211, vcc_lo
	s_clause 0x1
	global_load_dword v0, v[210:211], off
	global_load_dword v212, v[218:219], off offset:172
	s_waitcnt vmcnt(1)
	global_store_dword v[218:219], v0, off offset:172
	s_waitcnt vmcnt(0)
	global_store_dword v[210:211], v212, off
.LBB108_917:
	s_or_b32 exec_lo, exec_lo, s7
	v_mov_b32_e32 v236, v230
	v_mov_b32_e32 v0, v230
.LBB108_918:
	s_or_b32 exec_lo, exec_lo, s1
.LBB108_919:
	s_andn2_saveexec_b32 s0, s0
	s_cbranch_execz .LBB108_921
; %bb.920:
	v_mov_b32_e32 v236, 43
	ds_write2_b64 v1, v[42:43], v[44:45] offset0:88 offset1:89
	ds_write2_b64 v1, v[38:39], v[40:41] offset0:90 offset1:91
	;; [unrolled: 1-line block ×11, first 2 shown]
.LBB108_921:
	s_or_b32 exec_lo, exec_lo, s0
	s_mov_b32 s0, exec_lo
	s_waitcnt lgkmcnt(0)
	s_waitcnt_vscnt null, 0x0
	s_barrier
	buffer_gl0_inv
	v_cmpx_lt_i32_e32 43, v236
	s_cbranch_execz .LBB108_923
; %bb.922:
	v_mul_f64 v[210:211], v[222:223], v[48:49]
	v_mul_f64 v[48:49], v[224:225], v[48:49]
	v_fma_f64 v[210:211], v[224:225], v[46:47], v[210:211]
	v_fma_f64 v[46:47], v[222:223], v[46:47], -v[48:49]
	ds_read2_b64 v[222:225], v1 offset0:88 offset1:89
	s_waitcnt lgkmcnt(0)
	v_mul_f64 v[48:49], v[224:225], v[210:211]
	v_mul_f64 v[212:213], v[222:223], v[210:211]
	v_fma_f64 v[48:49], v[222:223], v[46:47], -v[48:49]
	v_fma_f64 v[212:213], v[224:225], v[46:47], v[212:213]
	ds_read2_b64 v[222:225], v1 offset0:90 offset1:91
	v_add_f64 v[42:43], v[42:43], -v[48:49]
	v_add_f64 v[44:45], v[44:45], -v[212:213]
	s_waitcnt lgkmcnt(0)
	v_mul_f64 v[48:49], v[224:225], v[210:211]
	v_mul_f64 v[212:213], v[222:223], v[210:211]
	v_fma_f64 v[48:49], v[222:223], v[46:47], -v[48:49]
	v_fma_f64 v[212:213], v[224:225], v[46:47], v[212:213]
	ds_read2_b64 v[222:225], v1 offset0:92 offset1:93
	v_add_f64 v[38:39], v[38:39], -v[48:49]
	v_add_f64 v[40:41], v[40:41], -v[212:213]
	;; [unrolled: 8-line block ×10, first 2 shown]
	s_waitcnt lgkmcnt(0)
	v_mul_f64 v[48:49], v[224:225], v[210:211]
	v_mul_f64 v[212:213], v[222:223], v[210:211]
	v_fma_f64 v[48:49], v[222:223], v[46:47], -v[48:49]
	v_fma_f64 v[212:213], v[224:225], v[46:47], v[212:213]
	v_add_f64 v[2:3], v[2:3], -v[48:49]
	v_add_f64 v[4:5], v[4:5], -v[212:213]
	v_mov_b32_e32 v48, v210
	v_mov_b32_e32 v49, v211
.LBB108_923:
	s_or_b32 exec_lo, exec_lo, s0
	v_lshl_add_u32 v210, v236, 4, v1
	s_barrier
	buffer_gl0_inv
	v_mov_b32_e32 v230, 44
	ds_write2_b64 v210, v[42:43], v[44:45] offset1:1
	s_waitcnt lgkmcnt(0)
	s_barrier
	buffer_gl0_inv
	ds_read2_b64 v[222:225], v1 offset0:88 offset1:89
	s_cmp_lt_i32 s8, 46
	s_cbranch_scc1 .LBB108_926
; %bb.924:
	v_add3_u32 v231, v253, 0, 0x2d0
	v_mov_b32_e32 v230, 44
	s_mov_b32 s1, 45
	s_inst_prefetch 0x1
	.p2align	6
.LBB108_925:                            ; =>This Inner Loop Header: Depth=1
	s_waitcnt lgkmcnt(0)
	v_cmp_gt_f64_e32 vcc_lo, 0, v[224:225]
	v_cmp_gt_f64_e64 s0, 0, v[222:223]
	ds_read2_b64 v[237:240], v231 offset1:1
	v_xor_b32_e32 v211, 0x80000000, v223
	v_xor_b32_e32 v213, 0x80000000, v225
	v_mov_b32_e32 v210, v222
	v_mov_b32_e32 v212, v224
	v_add_nc_u32_e32 v231, 16, v231
	s_waitcnt lgkmcnt(0)
	v_xor_b32_e32 v215, 0x80000000, v240
	v_cndmask_b32_e64 v211, v223, v211, s0
	v_cndmask_b32_e32 v213, v225, v213, vcc_lo
	v_cmp_gt_f64_e32 vcc_lo, 0, v[239:240]
	v_cmp_gt_f64_e64 s0, 0, v[237:238]
	v_mov_b32_e32 v214, v239
	v_add_f64 v[210:211], v[210:211], v[212:213]
	v_xor_b32_e32 v213, 0x80000000, v238
	v_mov_b32_e32 v212, v237
	v_cndmask_b32_e32 v215, v240, v215, vcc_lo
	v_cndmask_b32_e64 v213, v238, v213, s0
	v_add_f64 v[212:213], v[212:213], v[214:215]
	v_cmp_lt_f64_e32 vcc_lo, v[210:211], v[212:213]
	v_cndmask_b32_e32 v223, v223, v238, vcc_lo
	v_cndmask_b32_e32 v222, v222, v237, vcc_lo
	;; [unrolled: 1-line block ×4, first 2 shown]
	v_cndmask_b32_e64 v230, v230, s1, vcc_lo
	s_add_i32 s1, s1, 1
	s_cmp_lg_u32 s8, s1
	s_cbranch_scc1 .LBB108_925
.LBB108_926:
	s_inst_prefetch 0x2
	s_waitcnt lgkmcnt(0)
	v_cmp_eq_f64_e32 vcc_lo, 0, v[222:223]
	v_cmp_eq_f64_e64 s0, 0, v[224:225]
	s_and_b32 s0, vcc_lo, s0
	s_and_saveexec_b32 s1, s0
	s_xor_b32 s0, exec_lo, s1
; %bb.927:
	v_cmp_ne_u32_e32 vcc_lo, 0, v235
	v_cndmask_b32_e32 v235, 45, v235, vcc_lo
; %bb.928:
	s_andn2_saveexec_b32 s0, s0
	s_cbranch_execz .LBB108_934
; %bb.929:
	v_cmp_ngt_f64_e64 s1, |v[222:223]|, |v[224:225]|
	s_and_saveexec_b32 s7, s1
	s_xor_b32 s1, exec_lo, s7
	s_cbranch_execz .LBB108_931
; %bb.930:
	v_div_scale_f64 v[210:211], null, v[224:225], v[224:225], v[222:223]
	v_div_scale_f64 v[216:217], vcc_lo, v[222:223], v[224:225], v[222:223]
	v_rcp_f64_e32 v[212:213], v[210:211]
	v_fma_f64 v[214:215], -v[210:211], v[212:213], 1.0
	v_fma_f64 v[212:213], v[212:213], v[214:215], v[212:213]
	v_fma_f64 v[214:215], -v[210:211], v[212:213], 1.0
	v_fma_f64 v[212:213], v[212:213], v[214:215], v[212:213]
	v_mul_f64 v[214:215], v[216:217], v[212:213]
	v_fma_f64 v[210:211], -v[210:211], v[214:215], v[216:217]
	v_div_fmas_f64 v[210:211], v[210:211], v[212:213], v[214:215]
	v_div_fixup_f64 v[210:211], v[210:211], v[224:225], v[222:223]
	v_fma_f64 v[212:213], v[222:223], v[210:211], v[224:225]
	v_div_scale_f64 v[214:215], null, v[212:213], v[212:213], 1.0
	v_rcp_f64_e32 v[216:217], v[214:215]
	v_fma_f64 v[222:223], -v[214:215], v[216:217], 1.0
	v_fma_f64 v[216:217], v[216:217], v[222:223], v[216:217]
	v_fma_f64 v[222:223], -v[214:215], v[216:217], 1.0
	v_fma_f64 v[216:217], v[216:217], v[222:223], v[216:217]
	v_div_scale_f64 v[222:223], vcc_lo, 1.0, v[212:213], 1.0
	v_mul_f64 v[224:225], v[222:223], v[216:217]
	v_fma_f64 v[214:215], -v[214:215], v[224:225], v[222:223]
	v_div_fmas_f64 v[214:215], v[214:215], v[216:217], v[224:225]
	v_div_fixup_f64 v[224:225], v[214:215], v[212:213], 1.0
	v_mul_f64 v[222:223], v[210:211], v[224:225]
	v_xor_b32_e32 v225, 0x80000000, v225
.LBB108_931:
	s_andn2_saveexec_b32 s1, s1
	s_cbranch_execz .LBB108_933
; %bb.932:
	v_div_scale_f64 v[210:211], null, v[222:223], v[222:223], v[224:225]
	v_div_scale_f64 v[216:217], vcc_lo, v[224:225], v[222:223], v[224:225]
	v_rcp_f64_e32 v[212:213], v[210:211]
	v_fma_f64 v[214:215], -v[210:211], v[212:213], 1.0
	v_fma_f64 v[212:213], v[212:213], v[214:215], v[212:213]
	v_fma_f64 v[214:215], -v[210:211], v[212:213], 1.0
	v_fma_f64 v[212:213], v[212:213], v[214:215], v[212:213]
	v_mul_f64 v[214:215], v[216:217], v[212:213]
	v_fma_f64 v[210:211], -v[210:211], v[214:215], v[216:217]
	v_div_fmas_f64 v[210:211], v[210:211], v[212:213], v[214:215]
	v_div_fixup_f64 v[210:211], v[210:211], v[222:223], v[224:225]
	v_fma_f64 v[212:213], v[224:225], v[210:211], v[222:223]
	v_div_scale_f64 v[214:215], null, v[212:213], v[212:213], 1.0
	v_rcp_f64_e32 v[216:217], v[214:215]
	v_fma_f64 v[222:223], -v[214:215], v[216:217], 1.0
	v_fma_f64 v[216:217], v[216:217], v[222:223], v[216:217]
	v_fma_f64 v[222:223], -v[214:215], v[216:217], 1.0
	v_fma_f64 v[216:217], v[216:217], v[222:223], v[216:217]
	v_div_scale_f64 v[222:223], vcc_lo, 1.0, v[212:213], 1.0
	v_mul_f64 v[224:225], v[222:223], v[216:217]
	v_fma_f64 v[214:215], -v[214:215], v[224:225], v[222:223]
	v_div_fmas_f64 v[214:215], v[214:215], v[216:217], v[224:225]
	v_div_fixup_f64 v[222:223], v[214:215], v[212:213], 1.0
	v_mul_f64 v[224:225], v[210:211], -v[222:223]
.LBB108_933:
	s_or_b32 exec_lo, exec_lo, s1
.LBB108_934:
	s_or_b32 exec_lo, exec_lo, s0
	s_mov_b32 s0, exec_lo
	v_cmpx_ne_u32_e64 v236, v230
	s_xor_b32 s0, exec_lo, s0
	s_cbranch_execz .LBB108_940
; %bb.935:
	s_mov_b32 s1, exec_lo
	v_cmpx_eq_u32_e32 44, v236
	s_cbranch_execz .LBB108_939
; %bb.936:
	v_cmp_ne_u32_e32 vcc_lo, 44, v230
	s_xor_b32 s7, s16, -1
	s_and_b32 s9, s7, vcc_lo
	s_and_saveexec_b32 s7, s9
	s_cbranch_execz .LBB108_938
; %bb.937:
	v_ashrrev_i32_e32 v231, 31, v230
	v_lshlrev_b64 v[210:211], 2, v[230:231]
	v_add_co_u32 v210, vcc_lo, v218, v210
	v_add_co_ci_u32_e64 v211, null, v219, v211, vcc_lo
	s_clause 0x1
	global_load_dword v0, v[210:211], off
	global_load_dword v212, v[218:219], off offset:176
	s_waitcnt vmcnt(1)
	global_store_dword v[218:219], v0, off offset:176
	s_waitcnt vmcnt(0)
	global_store_dword v[210:211], v212, off
.LBB108_938:
	s_or_b32 exec_lo, exec_lo, s7
	v_mov_b32_e32 v236, v230
	v_mov_b32_e32 v0, v230
.LBB108_939:
	s_or_b32 exec_lo, exec_lo, s1
.LBB108_940:
	s_andn2_saveexec_b32 s0, s0
	s_cbranch_execz .LBB108_942
; %bb.941:
	v_mov_b32_e32 v236, 44
	ds_write2_b64 v1, v[38:39], v[40:41] offset0:90 offset1:91
	ds_write2_b64 v1, v[34:35], v[36:37] offset0:92 offset1:93
	;; [unrolled: 1-line block ×10, first 2 shown]
.LBB108_942:
	s_or_b32 exec_lo, exec_lo, s0
	s_mov_b32 s0, exec_lo
	s_waitcnt lgkmcnt(0)
	s_waitcnt_vscnt null, 0x0
	s_barrier
	buffer_gl0_inv
	v_cmpx_lt_i32_e32 44, v236
	s_cbranch_execz .LBB108_944
; %bb.943:
	v_mul_f64 v[210:211], v[222:223], v[44:45]
	v_mul_f64 v[44:45], v[224:225], v[44:45]
	v_fma_f64 v[210:211], v[224:225], v[42:43], v[210:211]
	v_fma_f64 v[42:43], v[222:223], v[42:43], -v[44:45]
	ds_read2_b64 v[222:225], v1 offset0:90 offset1:91
	s_waitcnt lgkmcnt(0)
	v_mul_f64 v[44:45], v[224:225], v[210:211]
	v_mul_f64 v[212:213], v[222:223], v[210:211]
	v_fma_f64 v[44:45], v[222:223], v[42:43], -v[44:45]
	v_fma_f64 v[212:213], v[224:225], v[42:43], v[212:213]
	ds_read2_b64 v[222:225], v1 offset0:92 offset1:93
	v_add_f64 v[38:39], v[38:39], -v[44:45]
	v_add_f64 v[40:41], v[40:41], -v[212:213]
	s_waitcnt lgkmcnt(0)
	v_mul_f64 v[44:45], v[224:225], v[210:211]
	v_mul_f64 v[212:213], v[222:223], v[210:211]
	v_fma_f64 v[44:45], v[222:223], v[42:43], -v[44:45]
	v_fma_f64 v[212:213], v[224:225], v[42:43], v[212:213]
	ds_read2_b64 v[222:225], v1 offset0:94 offset1:95
	v_add_f64 v[34:35], v[34:35], -v[44:45]
	v_add_f64 v[36:37], v[36:37], -v[212:213]
	s_waitcnt lgkmcnt(0)
	v_mul_f64 v[44:45], v[224:225], v[210:211]
	v_mul_f64 v[212:213], v[222:223], v[210:211]
	v_fma_f64 v[44:45], v[222:223], v[42:43], -v[44:45]
	v_fma_f64 v[212:213], v[224:225], v[42:43], v[212:213]
	ds_read2_b64 v[222:225], v1 offset0:96 offset1:97
	v_add_f64 v[30:31], v[30:31], -v[44:45]
	v_add_f64 v[32:33], v[32:33], -v[212:213]
	s_waitcnt lgkmcnt(0)
	v_mul_f64 v[44:45], v[224:225], v[210:211]
	v_mul_f64 v[212:213], v[222:223], v[210:211]
	v_fma_f64 v[44:45], v[222:223], v[42:43], -v[44:45]
	v_fma_f64 v[212:213], v[224:225], v[42:43], v[212:213]
	ds_read2_b64 v[222:225], v1 offset0:98 offset1:99
	v_add_f64 v[26:27], v[26:27], -v[44:45]
	v_add_f64 v[28:29], v[28:29], -v[212:213]
	s_waitcnt lgkmcnt(0)
	v_mul_f64 v[44:45], v[224:225], v[210:211]
	v_mul_f64 v[212:213], v[222:223], v[210:211]
	v_fma_f64 v[44:45], v[222:223], v[42:43], -v[44:45]
	v_fma_f64 v[212:213], v[224:225], v[42:43], v[212:213]
	ds_read2_b64 v[222:225], v1 offset0:100 offset1:101
	v_add_f64 v[22:23], v[22:23], -v[44:45]
	v_add_f64 v[24:25], v[24:25], -v[212:213]
	s_waitcnt lgkmcnt(0)
	v_mul_f64 v[44:45], v[224:225], v[210:211]
	v_mul_f64 v[212:213], v[222:223], v[210:211]
	v_fma_f64 v[44:45], v[222:223], v[42:43], -v[44:45]
	v_fma_f64 v[212:213], v[224:225], v[42:43], v[212:213]
	ds_read2_b64 v[222:225], v1 offset0:102 offset1:103
	v_add_f64 v[18:19], v[18:19], -v[44:45]
	v_add_f64 v[20:21], v[20:21], -v[212:213]
	s_waitcnt lgkmcnt(0)
	v_mul_f64 v[44:45], v[224:225], v[210:211]
	v_mul_f64 v[212:213], v[222:223], v[210:211]
	v_fma_f64 v[44:45], v[222:223], v[42:43], -v[44:45]
	v_fma_f64 v[212:213], v[224:225], v[42:43], v[212:213]
	ds_read2_b64 v[222:225], v1 offset0:104 offset1:105
	v_add_f64 v[14:15], v[14:15], -v[44:45]
	v_add_f64 v[16:17], v[16:17], -v[212:213]
	s_waitcnt lgkmcnt(0)
	v_mul_f64 v[44:45], v[224:225], v[210:211]
	v_mul_f64 v[212:213], v[222:223], v[210:211]
	v_fma_f64 v[44:45], v[222:223], v[42:43], -v[44:45]
	v_fma_f64 v[212:213], v[224:225], v[42:43], v[212:213]
	ds_read2_b64 v[222:225], v1 offset0:106 offset1:107
	v_add_f64 v[10:11], v[10:11], -v[44:45]
	v_add_f64 v[12:13], v[12:13], -v[212:213]
	s_waitcnt lgkmcnt(0)
	v_mul_f64 v[44:45], v[224:225], v[210:211]
	v_mul_f64 v[212:213], v[222:223], v[210:211]
	v_fma_f64 v[44:45], v[222:223], v[42:43], -v[44:45]
	v_fma_f64 v[212:213], v[224:225], v[42:43], v[212:213]
	ds_read2_b64 v[222:225], v1 offset0:108 offset1:109
	v_add_f64 v[6:7], v[6:7], -v[44:45]
	v_add_f64 v[8:9], v[8:9], -v[212:213]
	s_waitcnt lgkmcnt(0)
	v_mul_f64 v[44:45], v[224:225], v[210:211]
	v_mul_f64 v[212:213], v[222:223], v[210:211]
	v_fma_f64 v[44:45], v[222:223], v[42:43], -v[44:45]
	v_fma_f64 v[212:213], v[224:225], v[42:43], v[212:213]
	v_add_f64 v[2:3], v[2:3], -v[44:45]
	v_add_f64 v[4:5], v[4:5], -v[212:213]
	v_mov_b32_e32 v44, v210
	v_mov_b32_e32 v45, v211
.LBB108_944:
	s_or_b32 exec_lo, exec_lo, s0
	v_lshl_add_u32 v210, v236, 4, v1
	s_barrier
	buffer_gl0_inv
	v_mov_b32_e32 v230, 45
	ds_write2_b64 v210, v[38:39], v[40:41] offset1:1
	s_waitcnt lgkmcnt(0)
	s_barrier
	buffer_gl0_inv
	ds_read2_b64 v[222:225], v1 offset0:90 offset1:91
	s_cmp_lt_i32 s8, 47
	s_cbranch_scc1 .LBB108_947
; %bb.945:
	v_add3_u32 v231, v253, 0, 0x2e0
	v_mov_b32_e32 v230, 45
	s_mov_b32 s1, 46
	s_inst_prefetch 0x1
	.p2align	6
.LBB108_946:                            ; =>This Inner Loop Header: Depth=1
	s_waitcnt lgkmcnt(0)
	v_cmp_gt_f64_e32 vcc_lo, 0, v[224:225]
	v_cmp_gt_f64_e64 s0, 0, v[222:223]
	ds_read2_b64 v[237:240], v231 offset1:1
	v_xor_b32_e32 v211, 0x80000000, v223
	v_xor_b32_e32 v213, 0x80000000, v225
	v_mov_b32_e32 v210, v222
	v_mov_b32_e32 v212, v224
	v_add_nc_u32_e32 v231, 16, v231
	s_waitcnt lgkmcnt(0)
	v_xor_b32_e32 v215, 0x80000000, v240
	v_cndmask_b32_e64 v211, v223, v211, s0
	v_cndmask_b32_e32 v213, v225, v213, vcc_lo
	v_cmp_gt_f64_e32 vcc_lo, 0, v[239:240]
	v_cmp_gt_f64_e64 s0, 0, v[237:238]
	v_mov_b32_e32 v214, v239
	v_add_f64 v[210:211], v[210:211], v[212:213]
	v_xor_b32_e32 v213, 0x80000000, v238
	v_mov_b32_e32 v212, v237
	v_cndmask_b32_e32 v215, v240, v215, vcc_lo
	v_cndmask_b32_e64 v213, v238, v213, s0
	v_add_f64 v[212:213], v[212:213], v[214:215]
	v_cmp_lt_f64_e32 vcc_lo, v[210:211], v[212:213]
	v_cndmask_b32_e32 v223, v223, v238, vcc_lo
	v_cndmask_b32_e32 v222, v222, v237, vcc_lo
	;; [unrolled: 1-line block ×4, first 2 shown]
	v_cndmask_b32_e64 v230, v230, s1, vcc_lo
	s_add_i32 s1, s1, 1
	s_cmp_lg_u32 s8, s1
	s_cbranch_scc1 .LBB108_946
.LBB108_947:
	s_inst_prefetch 0x2
	s_waitcnt lgkmcnt(0)
	v_cmp_eq_f64_e32 vcc_lo, 0, v[222:223]
	v_cmp_eq_f64_e64 s0, 0, v[224:225]
	s_and_b32 s0, vcc_lo, s0
	s_and_saveexec_b32 s1, s0
	s_xor_b32 s0, exec_lo, s1
; %bb.948:
	v_cmp_ne_u32_e32 vcc_lo, 0, v235
	v_cndmask_b32_e32 v235, 46, v235, vcc_lo
; %bb.949:
	s_andn2_saveexec_b32 s0, s0
	s_cbranch_execz .LBB108_955
; %bb.950:
	v_cmp_ngt_f64_e64 s1, |v[222:223]|, |v[224:225]|
	s_and_saveexec_b32 s7, s1
	s_xor_b32 s1, exec_lo, s7
	s_cbranch_execz .LBB108_952
; %bb.951:
	v_div_scale_f64 v[210:211], null, v[224:225], v[224:225], v[222:223]
	v_div_scale_f64 v[216:217], vcc_lo, v[222:223], v[224:225], v[222:223]
	v_rcp_f64_e32 v[212:213], v[210:211]
	v_fma_f64 v[214:215], -v[210:211], v[212:213], 1.0
	v_fma_f64 v[212:213], v[212:213], v[214:215], v[212:213]
	v_fma_f64 v[214:215], -v[210:211], v[212:213], 1.0
	v_fma_f64 v[212:213], v[212:213], v[214:215], v[212:213]
	v_mul_f64 v[214:215], v[216:217], v[212:213]
	v_fma_f64 v[210:211], -v[210:211], v[214:215], v[216:217]
	v_div_fmas_f64 v[210:211], v[210:211], v[212:213], v[214:215]
	v_div_fixup_f64 v[210:211], v[210:211], v[224:225], v[222:223]
	v_fma_f64 v[212:213], v[222:223], v[210:211], v[224:225]
	v_div_scale_f64 v[214:215], null, v[212:213], v[212:213], 1.0
	v_rcp_f64_e32 v[216:217], v[214:215]
	v_fma_f64 v[222:223], -v[214:215], v[216:217], 1.0
	v_fma_f64 v[216:217], v[216:217], v[222:223], v[216:217]
	v_fma_f64 v[222:223], -v[214:215], v[216:217], 1.0
	v_fma_f64 v[216:217], v[216:217], v[222:223], v[216:217]
	v_div_scale_f64 v[222:223], vcc_lo, 1.0, v[212:213], 1.0
	v_mul_f64 v[224:225], v[222:223], v[216:217]
	v_fma_f64 v[214:215], -v[214:215], v[224:225], v[222:223]
	v_div_fmas_f64 v[214:215], v[214:215], v[216:217], v[224:225]
	v_div_fixup_f64 v[224:225], v[214:215], v[212:213], 1.0
	v_mul_f64 v[222:223], v[210:211], v[224:225]
	v_xor_b32_e32 v225, 0x80000000, v225
.LBB108_952:
	s_andn2_saveexec_b32 s1, s1
	s_cbranch_execz .LBB108_954
; %bb.953:
	v_div_scale_f64 v[210:211], null, v[222:223], v[222:223], v[224:225]
	v_div_scale_f64 v[216:217], vcc_lo, v[224:225], v[222:223], v[224:225]
	v_rcp_f64_e32 v[212:213], v[210:211]
	v_fma_f64 v[214:215], -v[210:211], v[212:213], 1.0
	v_fma_f64 v[212:213], v[212:213], v[214:215], v[212:213]
	v_fma_f64 v[214:215], -v[210:211], v[212:213], 1.0
	v_fma_f64 v[212:213], v[212:213], v[214:215], v[212:213]
	v_mul_f64 v[214:215], v[216:217], v[212:213]
	v_fma_f64 v[210:211], -v[210:211], v[214:215], v[216:217]
	v_div_fmas_f64 v[210:211], v[210:211], v[212:213], v[214:215]
	v_div_fixup_f64 v[210:211], v[210:211], v[222:223], v[224:225]
	v_fma_f64 v[212:213], v[224:225], v[210:211], v[222:223]
	v_div_scale_f64 v[214:215], null, v[212:213], v[212:213], 1.0
	v_rcp_f64_e32 v[216:217], v[214:215]
	v_fma_f64 v[222:223], -v[214:215], v[216:217], 1.0
	v_fma_f64 v[216:217], v[216:217], v[222:223], v[216:217]
	v_fma_f64 v[222:223], -v[214:215], v[216:217], 1.0
	v_fma_f64 v[216:217], v[216:217], v[222:223], v[216:217]
	v_div_scale_f64 v[222:223], vcc_lo, 1.0, v[212:213], 1.0
	v_mul_f64 v[224:225], v[222:223], v[216:217]
	v_fma_f64 v[214:215], -v[214:215], v[224:225], v[222:223]
	v_div_fmas_f64 v[214:215], v[214:215], v[216:217], v[224:225]
	v_div_fixup_f64 v[222:223], v[214:215], v[212:213], 1.0
	v_mul_f64 v[224:225], v[210:211], -v[222:223]
.LBB108_954:
	s_or_b32 exec_lo, exec_lo, s1
.LBB108_955:
	s_or_b32 exec_lo, exec_lo, s0
	s_mov_b32 s0, exec_lo
	v_cmpx_ne_u32_e64 v236, v230
	s_xor_b32 s0, exec_lo, s0
	s_cbranch_execz .LBB108_961
; %bb.956:
	s_mov_b32 s1, exec_lo
	v_cmpx_eq_u32_e32 45, v236
	s_cbranch_execz .LBB108_960
; %bb.957:
	v_cmp_ne_u32_e32 vcc_lo, 45, v230
	s_xor_b32 s7, s16, -1
	s_and_b32 s9, s7, vcc_lo
	s_and_saveexec_b32 s7, s9
	s_cbranch_execz .LBB108_959
; %bb.958:
	v_ashrrev_i32_e32 v231, 31, v230
	v_lshlrev_b64 v[210:211], 2, v[230:231]
	v_add_co_u32 v210, vcc_lo, v218, v210
	v_add_co_ci_u32_e64 v211, null, v219, v211, vcc_lo
	s_clause 0x1
	global_load_dword v0, v[210:211], off
	global_load_dword v212, v[218:219], off offset:180
	s_waitcnt vmcnt(1)
	global_store_dword v[218:219], v0, off offset:180
	s_waitcnt vmcnt(0)
	global_store_dword v[210:211], v212, off
.LBB108_959:
	s_or_b32 exec_lo, exec_lo, s7
	v_mov_b32_e32 v236, v230
	v_mov_b32_e32 v0, v230
.LBB108_960:
	s_or_b32 exec_lo, exec_lo, s1
.LBB108_961:
	s_andn2_saveexec_b32 s0, s0
	s_cbranch_execz .LBB108_963
; %bb.962:
	v_mov_b32_e32 v236, 45
	ds_write2_b64 v1, v[34:35], v[36:37] offset0:92 offset1:93
	ds_write2_b64 v1, v[30:31], v[32:33] offset0:94 offset1:95
	;; [unrolled: 1-line block ×9, first 2 shown]
.LBB108_963:
	s_or_b32 exec_lo, exec_lo, s0
	s_mov_b32 s0, exec_lo
	s_waitcnt lgkmcnt(0)
	s_waitcnt_vscnt null, 0x0
	s_barrier
	buffer_gl0_inv
	v_cmpx_lt_i32_e32 45, v236
	s_cbranch_execz .LBB108_965
; %bb.964:
	v_mul_f64 v[210:211], v[222:223], v[40:41]
	v_mul_f64 v[40:41], v[224:225], v[40:41]
	v_fma_f64 v[210:211], v[224:225], v[38:39], v[210:211]
	v_fma_f64 v[38:39], v[222:223], v[38:39], -v[40:41]
	ds_read2_b64 v[222:225], v1 offset0:92 offset1:93
	s_waitcnt lgkmcnt(0)
	v_mul_f64 v[40:41], v[224:225], v[210:211]
	v_mul_f64 v[212:213], v[222:223], v[210:211]
	v_fma_f64 v[40:41], v[222:223], v[38:39], -v[40:41]
	v_fma_f64 v[212:213], v[224:225], v[38:39], v[212:213]
	ds_read2_b64 v[222:225], v1 offset0:94 offset1:95
	v_add_f64 v[34:35], v[34:35], -v[40:41]
	v_add_f64 v[36:37], v[36:37], -v[212:213]
	s_waitcnt lgkmcnt(0)
	v_mul_f64 v[40:41], v[224:225], v[210:211]
	v_mul_f64 v[212:213], v[222:223], v[210:211]
	v_fma_f64 v[40:41], v[222:223], v[38:39], -v[40:41]
	v_fma_f64 v[212:213], v[224:225], v[38:39], v[212:213]
	ds_read2_b64 v[222:225], v1 offset0:96 offset1:97
	v_add_f64 v[30:31], v[30:31], -v[40:41]
	v_add_f64 v[32:33], v[32:33], -v[212:213]
	s_waitcnt lgkmcnt(0)
	v_mul_f64 v[40:41], v[224:225], v[210:211]
	v_mul_f64 v[212:213], v[222:223], v[210:211]
	v_fma_f64 v[40:41], v[222:223], v[38:39], -v[40:41]
	v_fma_f64 v[212:213], v[224:225], v[38:39], v[212:213]
	ds_read2_b64 v[222:225], v1 offset0:98 offset1:99
	v_add_f64 v[26:27], v[26:27], -v[40:41]
	v_add_f64 v[28:29], v[28:29], -v[212:213]
	s_waitcnt lgkmcnt(0)
	v_mul_f64 v[40:41], v[224:225], v[210:211]
	v_mul_f64 v[212:213], v[222:223], v[210:211]
	v_fma_f64 v[40:41], v[222:223], v[38:39], -v[40:41]
	v_fma_f64 v[212:213], v[224:225], v[38:39], v[212:213]
	ds_read2_b64 v[222:225], v1 offset0:100 offset1:101
	v_add_f64 v[22:23], v[22:23], -v[40:41]
	v_add_f64 v[24:25], v[24:25], -v[212:213]
	s_waitcnt lgkmcnt(0)
	v_mul_f64 v[40:41], v[224:225], v[210:211]
	v_mul_f64 v[212:213], v[222:223], v[210:211]
	v_fma_f64 v[40:41], v[222:223], v[38:39], -v[40:41]
	v_fma_f64 v[212:213], v[224:225], v[38:39], v[212:213]
	ds_read2_b64 v[222:225], v1 offset0:102 offset1:103
	v_add_f64 v[18:19], v[18:19], -v[40:41]
	v_add_f64 v[20:21], v[20:21], -v[212:213]
	s_waitcnt lgkmcnt(0)
	v_mul_f64 v[40:41], v[224:225], v[210:211]
	v_mul_f64 v[212:213], v[222:223], v[210:211]
	v_fma_f64 v[40:41], v[222:223], v[38:39], -v[40:41]
	v_fma_f64 v[212:213], v[224:225], v[38:39], v[212:213]
	ds_read2_b64 v[222:225], v1 offset0:104 offset1:105
	v_add_f64 v[14:15], v[14:15], -v[40:41]
	v_add_f64 v[16:17], v[16:17], -v[212:213]
	s_waitcnt lgkmcnt(0)
	v_mul_f64 v[40:41], v[224:225], v[210:211]
	v_mul_f64 v[212:213], v[222:223], v[210:211]
	v_fma_f64 v[40:41], v[222:223], v[38:39], -v[40:41]
	v_fma_f64 v[212:213], v[224:225], v[38:39], v[212:213]
	ds_read2_b64 v[222:225], v1 offset0:106 offset1:107
	v_add_f64 v[10:11], v[10:11], -v[40:41]
	v_add_f64 v[12:13], v[12:13], -v[212:213]
	s_waitcnt lgkmcnt(0)
	v_mul_f64 v[40:41], v[224:225], v[210:211]
	v_mul_f64 v[212:213], v[222:223], v[210:211]
	v_fma_f64 v[40:41], v[222:223], v[38:39], -v[40:41]
	v_fma_f64 v[212:213], v[224:225], v[38:39], v[212:213]
	ds_read2_b64 v[222:225], v1 offset0:108 offset1:109
	v_add_f64 v[6:7], v[6:7], -v[40:41]
	v_add_f64 v[8:9], v[8:9], -v[212:213]
	s_waitcnt lgkmcnt(0)
	v_mul_f64 v[40:41], v[224:225], v[210:211]
	v_mul_f64 v[212:213], v[222:223], v[210:211]
	v_fma_f64 v[40:41], v[222:223], v[38:39], -v[40:41]
	v_fma_f64 v[212:213], v[224:225], v[38:39], v[212:213]
	v_add_f64 v[2:3], v[2:3], -v[40:41]
	v_add_f64 v[4:5], v[4:5], -v[212:213]
	v_mov_b32_e32 v40, v210
	v_mov_b32_e32 v41, v211
.LBB108_965:
	s_or_b32 exec_lo, exec_lo, s0
	v_lshl_add_u32 v210, v236, 4, v1
	s_barrier
	buffer_gl0_inv
	v_mov_b32_e32 v230, 46
	ds_write2_b64 v210, v[34:35], v[36:37] offset1:1
	s_waitcnt lgkmcnt(0)
	s_barrier
	buffer_gl0_inv
	ds_read2_b64 v[222:225], v1 offset0:92 offset1:93
	s_cmp_lt_i32 s8, 48
	s_cbranch_scc1 .LBB108_968
; %bb.966:
	v_add3_u32 v231, v253, 0, 0x2f0
	v_mov_b32_e32 v230, 46
	s_mov_b32 s1, 47
	s_inst_prefetch 0x1
	.p2align	6
.LBB108_967:                            ; =>This Inner Loop Header: Depth=1
	s_waitcnt lgkmcnt(0)
	v_cmp_gt_f64_e32 vcc_lo, 0, v[224:225]
	v_cmp_gt_f64_e64 s0, 0, v[222:223]
	ds_read2_b64 v[237:240], v231 offset1:1
	v_xor_b32_e32 v211, 0x80000000, v223
	v_xor_b32_e32 v213, 0x80000000, v225
	v_mov_b32_e32 v210, v222
	v_mov_b32_e32 v212, v224
	v_add_nc_u32_e32 v231, 16, v231
	s_waitcnt lgkmcnt(0)
	v_xor_b32_e32 v215, 0x80000000, v240
	v_cndmask_b32_e64 v211, v223, v211, s0
	v_cndmask_b32_e32 v213, v225, v213, vcc_lo
	v_cmp_gt_f64_e32 vcc_lo, 0, v[239:240]
	v_cmp_gt_f64_e64 s0, 0, v[237:238]
	v_mov_b32_e32 v214, v239
	v_add_f64 v[210:211], v[210:211], v[212:213]
	v_xor_b32_e32 v213, 0x80000000, v238
	v_mov_b32_e32 v212, v237
	v_cndmask_b32_e32 v215, v240, v215, vcc_lo
	v_cndmask_b32_e64 v213, v238, v213, s0
	v_add_f64 v[212:213], v[212:213], v[214:215]
	v_cmp_lt_f64_e32 vcc_lo, v[210:211], v[212:213]
	v_cndmask_b32_e32 v223, v223, v238, vcc_lo
	v_cndmask_b32_e32 v222, v222, v237, vcc_lo
	;; [unrolled: 1-line block ×4, first 2 shown]
	v_cndmask_b32_e64 v230, v230, s1, vcc_lo
	s_add_i32 s1, s1, 1
	s_cmp_lg_u32 s8, s1
	s_cbranch_scc1 .LBB108_967
.LBB108_968:
	s_inst_prefetch 0x2
	s_waitcnt lgkmcnt(0)
	v_cmp_eq_f64_e32 vcc_lo, 0, v[222:223]
	v_cmp_eq_f64_e64 s0, 0, v[224:225]
	s_and_b32 s0, vcc_lo, s0
	s_and_saveexec_b32 s1, s0
	s_xor_b32 s0, exec_lo, s1
; %bb.969:
	v_cmp_ne_u32_e32 vcc_lo, 0, v235
	v_cndmask_b32_e32 v235, 47, v235, vcc_lo
; %bb.970:
	s_andn2_saveexec_b32 s0, s0
	s_cbranch_execz .LBB108_976
; %bb.971:
	v_cmp_ngt_f64_e64 s1, |v[222:223]|, |v[224:225]|
	s_and_saveexec_b32 s7, s1
	s_xor_b32 s1, exec_lo, s7
	s_cbranch_execz .LBB108_973
; %bb.972:
	v_div_scale_f64 v[210:211], null, v[224:225], v[224:225], v[222:223]
	v_div_scale_f64 v[216:217], vcc_lo, v[222:223], v[224:225], v[222:223]
	v_rcp_f64_e32 v[212:213], v[210:211]
	v_fma_f64 v[214:215], -v[210:211], v[212:213], 1.0
	v_fma_f64 v[212:213], v[212:213], v[214:215], v[212:213]
	v_fma_f64 v[214:215], -v[210:211], v[212:213], 1.0
	v_fma_f64 v[212:213], v[212:213], v[214:215], v[212:213]
	v_mul_f64 v[214:215], v[216:217], v[212:213]
	v_fma_f64 v[210:211], -v[210:211], v[214:215], v[216:217]
	v_div_fmas_f64 v[210:211], v[210:211], v[212:213], v[214:215]
	v_div_fixup_f64 v[210:211], v[210:211], v[224:225], v[222:223]
	v_fma_f64 v[212:213], v[222:223], v[210:211], v[224:225]
	v_div_scale_f64 v[214:215], null, v[212:213], v[212:213], 1.0
	v_rcp_f64_e32 v[216:217], v[214:215]
	v_fma_f64 v[222:223], -v[214:215], v[216:217], 1.0
	v_fma_f64 v[216:217], v[216:217], v[222:223], v[216:217]
	v_fma_f64 v[222:223], -v[214:215], v[216:217], 1.0
	v_fma_f64 v[216:217], v[216:217], v[222:223], v[216:217]
	v_div_scale_f64 v[222:223], vcc_lo, 1.0, v[212:213], 1.0
	v_mul_f64 v[224:225], v[222:223], v[216:217]
	v_fma_f64 v[214:215], -v[214:215], v[224:225], v[222:223]
	v_div_fmas_f64 v[214:215], v[214:215], v[216:217], v[224:225]
	v_div_fixup_f64 v[224:225], v[214:215], v[212:213], 1.0
	v_mul_f64 v[222:223], v[210:211], v[224:225]
	v_xor_b32_e32 v225, 0x80000000, v225
.LBB108_973:
	s_andn2_saveexec_b32 s1, s1
	s_cbranch_execz .LBB108_975
; %bb.974:
	v_div_scale_f64 v[210:211], null, v[222:223], v[222:223], v[224:225]
	v_div_scale_f64 v[216:217], vcc_lo, v[224:225], v[222:223], v[224:225]
	v_rcp_f64_e32 v[212:213], v[210:211]
	v_fma_f64 v[214:215], -v[210:211], v[212:213], 1.0
	v_fma_f64 v[212:213], v[212:213], v[214:215], v[212:213]
	v_fma_f64 v[214:215], -v[210:211], v[212:213], 1.0
	v_fma_f64 v[212:213], v[212:213], v[214:215], v[212:213]
	v_mul_f64 v[214:215], v[216:217], v[212:213]
	v_fma_f64 v[210:211], -v[210:211], v[214:215], v[216:217]
	v_div_fmas_f64 v[210:211], v[210:211], v[212:213], v[214:215]
	v_div_fixup_f64 v[210:211], v[210:211], v[222:223], v[224:225]
	v_fma_f64 v[212:213], v[224:225], v[210:211], v[222:223]
	v_div_scale_f64 v[214:215], null, v[212:213], v[212:213], 1.0
	v_rcp_f64_e32 v[216:217], v[214:215]
	v_fma_f64 v[222:223], -v[214:215], v[216:217], 1.0
	v_fma_f64 v[216:217], v[216:217], v[222:223], v[216:217]
	v_fma_f64 v[222:223], -v[214:215], v[216:217], 1.0
	v_fma_f64 v[216:217], v[216:217], v[222:223], v[216:217]
	v_div_scale_f64 v[222:223], vcc_lo, 1.0, v[212:213], 1.0
	v_mul_f64 v[224:225], v[222:223], v[216:217]
	v_fma_f64 v[214:215], -v[214:215], v[224:225], v[222:223]
	v_div_fmas_f64 v[214:215], v[214:215], v[216:217], v[224:225]
	v_div_fixup_f64 v[222:223], v[214:215], v[212:213], 1.0
	v_mul_f64 v[224:225], v[210:211], -v[222:223]
.LBB108_975:
	s_or_b32 exec_lo, exec_lo, s1
.LBB108_976:
	s_or_b32 exec_lo, exec_lo, s0
	s_mov_b32 s0, exec_lo
	v_cmpx_ne_u32_e64 v236, v230
	s_xor_b32 s0, exec_lo, s0
	s_cbranch_execz .LBB108_982
; %bb.977:
	s_mov_b32 s1, exec_lo
	v_cmpx_eq_u32_e32 46, v236
	s_cbranch_execz .LBB108_981
; %bb.978:
	v_cmp_ne_u32_e32 vcc_lo, 46, v230
	s_xor_b32 s7, s16, -1
	s_and_b32 s9, s7, vcc_lo
	s_and_saveexec_b32 s7, s9
	s_cbranch_execz .LBB108_980
; %bb.979:
	v_ashrrev_i32_e32 v231, 31, v230
	v_lshlrev_b64 v[210:211], 2, v[230:231]
	v_add_co_u32 v210, vcc_lo, v218, v210
	v_add_co_ci_u32_e64 v211, null, v219, v211, vcc_lo
	s_clause 0x1
	global_load_dword v0, v[210:211], off
	global_load_dword v212, v[218:219], off offset:184
	s_waitcnt vmcnt(1)
	global_store_dword v[218:219], v0, off offset:184
	s_waitcnt vmcnt(0)
	global_store_dword v[210:211], v212, off
.LBB108_980:
	s_or_b32 exec_lo, exec_lo, s7
	v_mov_b32_e32 v236, v230
	v_mov_b32_e32 v0, v230
.LBB108_981:
	s_or_b32 exec_lo, exec_lo, s1
.LBB108_982:
	s_andn2_saveexec_b32 s0, s0
	s_cbranch_execz .LBB108_984
; %bb.983:
	v_mov_b32_e32 v236, 46
	ds_write2_b64 v1, v[30:31], v[32:33] offset0:94 offset1:95
	ds_write2_b64 v1, v[26:27], v[28:29] offset0:96 offset1:97
	;; [unrolled: 1-line block ×8, first 2 shown]
.LBB108_984:
	s_or_b32 exec_lo, exec_lo, s0
	s_mov_b32 s0, exec_lo
	s_waitcnt lgkmcnt(0)
	s_waitcnt_vscnt null, 0x0
	s_barrier
	buffer_gl0_inv
	v_cmpx_lt_i32_e32 46, v236
	s_cbranch_execz .LBB108_986
; %bb.985:
	v_mul_f64 v[210:211], v[222:223], v[36:37]
	v_mul_f64 v[36:37], v[224:225], v[36:37]
	v_fma_f64 v[210:211], v[224:225], v[34:35], v[210:211]
	v_fma_f64 v[34:35], v[222:223], v[34:35], -v[36:37]
	ds_read2_b64 v[222:225], v1 offset0:94 offset1:95
	s_waitcnt lgkmcnt(0)
	v_mul_f64 v[36:37], v[224:225], v[210:211]
	v_mul_f64 v[212:213], v[222:223], v[210:211]
	v_fma_f64 v[36:37], v[222:223], v[34:35], -v[36:37]
	v_fma_f64 v[212:213], v[224:225], v[34:35], v[212:213]
	ds_read2_b64 v[222:225], v1 offset0:96 offset1:97
	v_add_f64 v[30:31], v[30:31], -v[36:37]
	v_add_f64 v[32:33], v[32:33], -v[212:213]
	s_waitcnt lgkmcnt(0)
	v_mul_f64 v[36:37], v[224:225], v[210:211]
	v_mul_f64 v[212:213], v[222:223], v[210:211]
	v_fma_f64 v[36:37], v[222:223], v[34:35], -v[36:37]
	v_fma_f64 v[212:213], v[224:225], v[34:35], v[212:213]
	ds_read2_b64 v[222:225], v1 offset0:98 offset1:99
	v_add_f64 v[26:27], v[26:27], -v[36:37]
	v_add_f64 v[28:29], v[28:29], -v[212:213]
	;; [unrolled: 8-line block ×7, first 2 shown]
	s_waitcnt lgkmcnt(0)
	v_mul_f64 v[36:37], v[224:225], v[210:211]
	v_mul_f64 v[212:213], v[222:223], v[210:211]
	v_fma_f64 v[36:37], v[222:223], v[34:35], -v[36:37]
	v_fma_f64 v[212:213], v[224:225], v[34:35], v[212:213]
	v_add_f64 v[2:3], v[2:3], -v[36:37]
	v_add_f64 v[4:5], v[4:5], -v[212:213]
	v_mov_b32_e32 v36, v210
	v_mov_b32_e32 v37, v211
.LBB108_986:
	s_or_b32 exec_lo, exec_lo, s0
	v_lshl_add_u32 v210, v236, 4, v1
	s_barrier
	buffer_gl0_inv
	v_mov_b32_e32 v230, 47
	ds_write2_b64 v210, v[30:31], v[32:33] offset1:1
	s_waitcnt lgkmcnt(0)
	s_barrier
	buffer_gl0_inv
	ds_read2_b64 v[222:225], v1 offset0:94 offset1:95
	s_cmp_lt_i32 s8, 49
	s_cbranch_scc1 .LBB108_989
; %bb.987:
	v_add3_u32 v231, v253, 0, 0x300
	v_mov_b32_e32 v230, 47
	s_mov_b32 s1, 48
	s_inst_prefetch 0x1
	.p2align	6
.LBB108_988:                            ; =>This Inner Loop Header: Depth=1
	s_waitcnt lgkmcnt(0)
	v_cmp_gt_f64_e32 vcc_lo, 0, v[224:225]
	v_cmp_gt_f64_e64 s0, 0, v[222:223]
	ds_read2_b64 v[237:240], v231 offset1:1
	v_xor_b32_e32 v211, 0x80000000, v223
	v_xor_b32_e32 v213, 0x80000000, v225
	v_mov_b32_e32 v210, v222
	v_mov_b32_e32 v212, v224
	v_add_nc_u32_e32 v231, 16, v231
	s_waitcnt lgkmcnt(0)
	v_xor_b32_e32 v215, 0x80000000, v240
	v_cndmask_b32_e64 v211, v223, v211, s0
	v_cndmask_b32_e32 v213, v225, v213, vcc_lo
	v_cmp_gt_f64_e32 vcc_lo, 0, v[239:240]
	v_cmp_gt_f64_e64 s0, 0, v[237:238]
	v_mov_b32_e32 v214, v239
	v_add_f64 v[210:211], v[210:211], v[212:213]
	v_xor_b32_e32 v213, 0x80000000, v238
	v_mov_b32_e32 v212, v237
	v_cndmask_b32_e32 v215, v240, v215, vcc_lo
	v_cndmask_b32_e64 v213, v238, v213, s0
	v_add_f64 v[212:213], v[212:213], v[214:215]
	v_cmp_lt_f64_e32 vcc_lo, v[210:211], v[212:213]
	v_cndmask_b32_e32 v223, v223, v238, vcc_lo
	v_cndmask_b32_e32 v222, v222, v237, vcc_lo
	;; [unrolled: 1-line block ×4, first 2 shown]
	v_cndmask_b32_e64 v230, v230, s1, vcc_lo
	s_add_i32 s1, s1, 1
	s_cmp_lg_u32 s8, s1
	s_cbranch_scc1 .LBB108_988
.LBB108_989:
	s_inst_prefetch 0x2
	s_waitcnt lgkmcnt(0)
	v_cmp_eq_f64_e32 vcc_lo, 0, v[222:223]
	v_cmp_eq_f64_e64 s0, 0, v[224:225]
	s_and_b32 s0, vcc_lo, s0
	s_and_saveexec_b32 s1, s0
	s_xor_b32 s0, exec_lo, s1
; %bb.990:
	v_cmp_ne_u32_e32 vcc_lo, 0, v235
	v_cndmask_b32_e32 v235, 48, v235, vcc_lo
; %bb.991:
	s_andn2_saveexec_b32 s0, s0
	s_cbranch_execz .LBB108_997
; %bb.992:
	v_cmp_ngt_f64_e64 s1, |v[222:223]|, |v[224:225]|
	s_and_saveexec_b32 s7, s1
	s_xor_b32 s1, exec_lo, s7
	s_cbranch_execz .LBB108_994
; %bb.993:
	v_div_scale_f64 v[210:211], null, v[224:225], v[224:225], v[222:223]
	v_div_scale_f64 v[216:217], vcc_lo, v[222:223], v[224:225], v[222:223]
	v_rcp_f64_e32 v[212:213], v[210:211]
	v_fma_f64 v[214:215], -v[210:211], v[212:213], 1.0
	v_fma_f64 v[212:213], v[212:213], v[214:215], v[212:213]
	v_fma_f64 v[214:215], -v[210:211], v[212:213], 1.0
	v_fma_f64 v[212:213], v[212:213], v[214:215], v[212:213]
	v_mul_f64 v[214:215], v[216:217], v[212:213]
	v_fma_f64 v[210:211], -v[210:211], v[214:215], v[216:217]
	v_div_fmas_f64 v[210:211], v[210:211], v[212:213], v[214:215]
	v_div_fixup_f64 v[210:211], v[210:211], v[224:225], v[222:223]
	v_fma_f64 v[212:213], v[222:223], v[210:211], v[224:225]
	v_div_scale_f64 v[214:215], null, v[212:213], v[212:213], 1.0
	v_rcp_f64_e32 v[216:217], v[214:215]
	v_fma_f64 v[222:223], -v[214:215], v[216:217], 1.0
	v_fma_f64 v[216:217], v[216:217], v[222:223], v[216:217]
	v_fma_f64 v[222:223], -v[214:215], v[216:217], 1.0
	v_fma_f64 v[216:217], v[216:217], v[222:223], v[216:217]
	v_div_scale_f64 v[222:223], vcc_lo, 1.0, v[212:213], 1.0
	v_mul_f64 v[224:225], v[222:223], v[216:217]
	v_fma_f64 v[214:215], -v[214:215], v[224:225], v[222:223]
	v_div_fmas_f64 v[214:215], v[214:215], v[216:217], v[224:225]
	v_div_fixup_f64 v[224:225], v[214:215], v[212:213], 1.0
	v_mul_f64 v[222:223], v[210:211], v[224:225]
	v_xor_b32_e32 v225, 0x80000000, v225
.LBB108_994:
	s_andn2_saveexec_b32 s1, s1
	s_cbranch_execz .LBB108_996
; %bb.995:
	v_div_scale_f64 v[210:211], null, v[222:223], v[222:223], v[224:225]
	v_div_scale_f64 v[216:217], vcc_lo, v[224:225], v[222:223], v[224:225]
	v_rcp_f64_e32 v[212:213], v[210:211]
	v_fma_f64 v[214:215], -v[210:211], v[212:213], 1.0
	v_fma_f64 v[212:213], v[212:213], v[214:215], v[212:213]
	v_fma_f64 v[214:215], -v[210:211], v[212:213], 1.0
	v_fma_f64 v[212:213], v[212:213], v[214:215], v[212:213]
	v_mul_f64 v[214:215], v[216:217], v[212:213]
	v_fma_f64 v[210:211], -v[210:211], v[214:215], v[216:217]
	v_div_fmas_f64 v[210:211], v[210:211], v[212:213], v[214:215]
	v_div_fixup_f64 v[210:211], v[210:211], v[222:223], v[224:225]
	v_fma_f64 v[212:213], v[224:225], v[210:211], v[222:223]
	v_div_scale_f64 v[214:215], null, v[212:213], v[212:213], 1.0
	v_rcp_f64_e32 v[216:217], v[214:215]
	v_fma_f64 v[222:223], -v[214:215], v[216:217], 1.0
	v_fma_f64 v[216:217], v[216:217], v[222:223], v[216:217]
	v_fma_f64 v[222:223], -v[214:215], v[216:217], 1.0
	v_fma_f64 v[216:217], v[216:217], v[222:223], v[216:217]
	v_div_scale_f64 v[222:223], vcc_lo, 1.0, v[212:213], 1.0
	v_mul_f64 v[224:225], v[222:223], v[216:217]
	v_fma_f64 v[214:215], -v[214:215], v[224:225], v[222:223]
	v_div_fmas_f64 v[214:215], v[214:215], v[216:217], v[224:225]
	v_div_fixup_f64 v[222:223], v[214:215], v[212:213], 1.0
	v_mul_f64 v[224:225], v[210:211], -v[222:223]
.LBB108_996:
	s_or_b32 exec_lo, exec_lo, s1
.LBB108_997:
	s_or_b32 exec_lo, exec_lo, s0
	s_mov_b32 s0, exec_lo
	v_cmpx_ne_u32_e64 v236, v230
	s_xor_b32 s0, exec_lo, s0
	s_cbranch_execz .LBB108_1003
; %bb.998:
	s_mov_b32 s1, exec_lo
	v_cmpx_eq_u32_e32 47, v236
	s_cbranch_execz .LBB108_1002
; %bb.999:
	v_cmp_ne_u32_e32 vcc_lo, 47, v230
	s_xor_b32 s7, s16, -1
	s_and_b32 s9, s7, vcc_lo
	s_and_saveexec_b32 s7, s9
	s_cbranch_execz .LBB108_1001
; %bb.1000:
	v_ashrrev_i32_e32 v231, 31, v230
	v_lshlrev_b64 v[210:211], 2, v[230:231]
	v_add_co_u32 v210, vcc_lo, v218, v210
	v_add_co_ci_u32_e64 v211, null, v219, v211, vcc_lo
	s_clause 0x1
	global_load_dword v0, v[210:211], off
	global_load_dword v212, v[218:219], off offset:188
	s_waitcnt vmcnt(1)
	global_store_dword v[218:219], v0, off offset:188
	s_waitcnt vmcnt(0)
	global_store_dword v[210:211], v212, off
.LBB108_1001:
	s_or_b32 exec_lo, exec_lo, s7
	v_mov_b32_e32 v236, v230
	v_mov_b32_e32 v0, v230
.LBB108_1002:
	s_or_b32 exec_lo, exec_lo, s1
.LBB108_1003:
	s_andn2_saveexec_b32 s0, s0
	s_cbranch_execz .LBB108_1005
; %bb.1004:
	v_mov_b32_e32 v236, 47
	ds_write2_b64 v1, v[26:27], v[28:29] offset0:96 offset1:97
	ds_write2_b64 v1, v[22:23], v[24:25] offset0:98 offset1:99
	ds_write2_b64 v1, v[18:19], v[20:21] offset0:100 offset1:101
	ds_write2_b64 v1, v[14:15], v[16:17] offset0:102 offset1:103
	ds_write2_b64 v1, v[10:11], v[12:13] offset0:104 offset1:105
	ds_write2_b64 v1, v[6:7], v[8:9] offset0:106 offset1:107
	ds_write2_b64 v1, v[2:3], v[4:5] offset0:108 offset1:109
.LBB108_1005:
	s_or_b32 exec_lo, exec_lo, s0
	s_mov_b32 s0, exec_lo
	s_waitcnt lgkmcnt(0)
	s_waitcnt_vscnt null, 0x0
	s_barrier
	buffer_gl0_inv
	v_cmpx_lt_i32_e32 47, v236
	s_cbranch_execz .LBB108_1007
; %bb.1006:
	v_mul_f64 v[210:211], v[222:223], v[32:33]
	v_mul_f64 v[32:33], v[224:225], v[32:33]
	v_fma_f64 v[210:211], v[224:225], v[30:31], v[210:211]
	v_fma_f64 v[30:31], v[222:223], v[30:31], -v[32:33]
	ds_read2_b64 v[222:225], v1 offset0:96 offset1:97
	s_waitcnt lgkmcnt(0)
	v_mul_f64 v[32:33], v[224:225], v[210:211]
	v_mul_f64 v[212:213], v[222:223], v[210:211]
	v_fma_f64 v[32:33], v[222:223], v[30:31], -v[32:33]
	v_fma_f64 v[212:213], v[224:225], v[30:31], v[212:213]
	ds_read2_b64 v[222:225], v1 offset0:98 offset1:99
	v_add_f64 v[26:27], v[26:27], -v[32:33]
	v_add_f64 v[28:29], v[28:29], -v[212:213]
	s_waitcnt lgkmcnt(0)
	v_mul_f64 v[32:33], v[224:225], v[210:211]
	v_mul_f64 v[212:213], v[222:223], v[210:211]
	v_fma_f64 v[32:33], v[222:223], v[30:31], -v[32:33]
	v_fma_f64 v[212:213], v[224:225], v[30:31], v[212:213]
	ds_read2_b64 v[222:225], v1 offset0:100 offset1:101
	v_add_f64 v[22:23], v[22:23], -v[32:33]
	v_add_f64 v[24:25], v[24:25], -v[212:213]
	;; [unrolled: 8-line block ×6, first 2 shown]
	s_waitcnt lgkmcnt(0)
	v_mul_f64 v[32:33], v[224:225], v[210:211]
	v_mul_f64 v[212:213], v[222:223], v[210:211]
	v_fma_f64 v[32:33], v[222:223], v[30:31], -v[32:33]
	v_fma_f64 v[212:213], v[224:225], v[30:31], v[212:213]
	v_add_f64 v[2:3], v[2:3], -v[32:33]
	v_add_f64 v[4:5], v[4:5], -v[212:213]
	v_mov_b32_e32 v32, v210
	v_mov_b32_e32 v33, v211
.LBB108_1007:
	s_or_b32 exec_lo, exec_lo, s0
	v_lshl_add_u32 v210, v236, 4, v1
	s_barrier
	buffer_gl0_inv
	v_mov_b32_e32 v230, 48
	ds_write2_b64 v210, v[26:27], v[28:29] offset1:1
	s_waitcnt lgkmcnt(0)
	s_barrier
	buffer_gl0_inv
	ds_read2_b64 v[222:225], v1 offset0:96 offset1:97
	s_cmp_lt_i32 s8, 50
	s_cbranch_scc1 .LBB108_1010
; %bb.1008:
	v_add3_u32 v231, v253, 0, 0x310
	v_mov_b32_e32 v230, 48
	s_mov_b32 s1, 49
	s_inst_prefetch 0x1
	.p2align	6
.LBB108_1009:                           ; =>This Inner Loop Header: Depth=1
	s_waitcnt lgkmcnt(0)
	v_cmp_gt_f64_e32 vcc_lo, 0, v[224:225]
	v_cmp_gt_f64_e64 s0, 0, v[222:223]
	ds_read2_b64 v[237:240], v231 offset1:1
	v_xor_b32_e32 v211, 0x80000000, v223
	v_xor_b32_e32 v213, 0x80000000, v225
	v_mov_b32_e32 v210, v222
	v_mov_b32_e32 v212, v224
	v_add_nc_u32_e32 v231, 16, v231
	s_waitcnt lgkmcnt(0)
	v_xor_b32_e32 v215, 0x80000000, v240
	v_cndmask_b32_e64 v211, v223, v211, s0
	v_cndmask_b32_e32 v213, v225, v213, vcc_lo
	v_cmp_gt_f64_e32 vcc_lo, 0, v[239:240]
	v_cmp_gt_f64_e64 s0, 0, v[237:238]
	v_mov_b32_e32 v214, v239
	v_add_f64 v[210:211], v[210:211], v[212:213]
	v_xor_b32_e32 v213, 0x80000000, v238
	v_mov_b32_e32 v212, v237
	v_cndmask_b32_e32 v215, v240, v215, vcc_lo
	v_cndmask_b32_e64 v213, v238, v213, s0
	v_add_f64 v[212:213], v[212:213], v[214:215]
	v_cmp_lt_f64_e32 vcc_lo, v[210:211], v[212:213]
	v_cndmask_b32_e32 v223, v223, v238, vcc_lo
	v_cndmask_b32_e32 v222, v222, v237, vcc_lo
	;; [unrolled: 1-line block ×4, first 2 shown]
	v_cndmask_b32_e64 v230, v230, s1, vcc_lo
	s_add_i32 s1, s1, 1
	s_cmp_lg_u32 s8, s1
	s_cbranch_scc1 .LBB108_1009
.LBB108_1010:
	s_inst_prefetch 0x2
	s_waitcnt lgkmcnt(0)
	v_cmp_eq_f64_e32 vcc_lo, 0, v[222:223]
	v_cmp_eq_f64_e64 s0, 0, v[224:225]
	s_and_b32 s0, vcc_lo, s0
	s_and_saveexec_b32 s1, s0
	s_xor_b32 s0, exec_lo, s1
; %bb.1011:
	v_cmp_ne_u32_e32 vcc_lo, 0, v235
	v_cndmask_b32_e32 v235, 49, v235, vcc_lo
; %bb.1012:
	s_andn2_saveexec_b32 s0, s0
	s_cbranch_execz .LBB108_1018
; %bb.1013:
	v_cmp_ngt_f64_e64 s1, |v[222:223]|, |v[224:225]|
	s_and_saveexec_b32 s7, s1
	s_xor_b32 s1, exec_lo, s7
	s_cbranch_execz .LBB108_1015
; %bb.1014:
	v_div_scale_f64 v[210:211], null, v[224:225], v[224:225], v[222:223]
	v_div_scale_f64 v[216:217], vcc_lo, v[222:223], v[224:225], v[222:223]
	v_rcp_f64_e32 v[212:213], v[210:211]
	v_fma_f64 v[214:215], -v[210:211], v[212:213], 1.0
	v_fma_f64 v[212:213], v[212:213], v[214:215], v[212:213]
	v_fma_f64 v[214:215], -v[210:211], v[212:213], 1.0
	v_fma_f64 v[212:213], v[212:213], v[214:215], v[212:213]
	v_mul_f64 v[214:215], v[216:217], v[212:213]
	v_fma_f64 v[210:211], -v[210:211], v[214:215], v[216:217]
	v_div_fmas_f64 v[210:211], v[210:211], v[212:213], v[214:215]
	v_div_fixup_f64 v[210:211], v[210:211], v[224:225], v[222:223]
	v_fma_f64 v[212:213], v[222:223], v[210:211], v[224:225]
	v_div_scale_f64 v[214:215], null, v[212:213], v[212:213], 1.0
	v_rcp_f64_e32 v[216:217], v[214:215]
	v_fma_f64 v[222:223], -v[214:215], v[216:217], 1.0
	v_fma_f64 v[216:217], v[216:217], v[222:223], v[216:217]
	v_fma_f64 v[222:223], -v[214:215], v[216:217], 1.0
	v_fma_f64 v[216:217], v[216:217], v[222:223], v[216:217]
	v_div_scale_f64 v[222:223], vcc_lo, 1.0, v[212:213], 1.0
	v_mul_f64 v[224:225], v[222:223], v[216:217]
	v_fma_f64 v[214:215], -v[214:215], v[224:225], v[222:223]
	v_div_fmas_f64 v[214:215], v[214:215], v[216:217], v[224:225]
	v_div_fixup_f64 v[224:225], v[214:215], v[212:213], 1.0
	v_mul_f64 v[222:223], v[210:211], v[224:225]
	v_xor_b32_e32 v225, 0x80000000, v225
.LBB108_1015:
	s_andn2_saveexec_b32 s1, s1
	s_cbranch_execz .LBB108_1017
; %bb.1016:
	v_div_scale_f64 v[210:211], null, v[222:223], v[222:223], v[224:225]
	v_div_scale_f64 v[216:217], vcc_lo, v[224:225], v[222:223], v[224:225]
	v_rcp_f64_e32 v[212:213], v[210:211]
	v_fma_f64 v[214:215], -v[210:211], v[212:213], 1.0
	v_fma_f64 v[212:213], v[212:213], v[214:215], v[212:213]
	v_fma_f64 v[214:215], -v[210:211], v[212:213], 1.0
	v_fma_f64 v[212:213], v[212:213], v[214:215], v[212:213]
	v_mul_f64 v[214:215], v[216:217], v[212:213]
	v_fma_f64 v[210:211], -v[210:211], v[214:215], v[216:217]
	v_div_fmas_f64 v[210:211], v[210:211], v[212:213], v[214:215]
	v_div_fixup_f64 v[210:211], v[210:211], v[222:223], v[224:225]
	v_fma_f64 v[212:213], v[224:225], v[210:211], v[222:223]
	v_div_scale_f64 v[214:215], null, v[212:213], v[212:213], 1.0
	v_rcp_f64_e32 v[216:217], v[214:215]
	v_fma_f64 v[222:223], -v[214:215], v[216:217], 1.0
	v_fma_f64 v[216:217], v[216:217], v[222:223], v[216:217]
	v_fma_f64 v[222:223], -v[214:215], v[216:217], 1.0
	v_fma_f64 v[216:217], v[216:217], v[222:223], v[216:217]
	v_div_scale_f64 v[222:223], vcc_lo, 1.0, v[212:213], 1.0
	v_mul_f64 v[224:225], v[222:223], v[216:217]
	v_fma_f64 v[214:215], -v[214:215], v[224:225], v[222:223]
	v_div_fmas_f64 v[214:215], v[214:215], v[216:217], v[224:225]
	v_div_fixup_f64 v[222:223], v[214:215], v[212:213], 1.0
	v_mul_f64 v[224:225], v[210:211], -v[222:223]
.LBB108_1017:
	s_or_b32 exec_lo, exec_lo, s1
.LBB108_1018:
	s_or_b32 exec_lo, exec_lo, s0
	s_mov_b32 s0, exec_lo
	v_cmpx_ne_u32_e64 v236, v230
	s_xor_b32 s0, exec_lo, s0
	s_cbranch_execz .LBB108_1024
; %bb.1019:
	s_mov_b32 s1, exec_lo
	v_cmpx_eq_u32_e32 48, v236
	s_cbranch_execz .LBB108_1023
; %bb.1020:
	v_cmp_ne_u32_e32 vcc_lo, 48, v230
	s_xor_b32 s7, s16, -1
	s_and_b32 s9, s7, vcc_lo
	s_and_saveexec_b32 s7, s9
	s_cbranch_execz .LBB108_1022
; %bb.1021:
	v_ashrrev_i32_e32 v231, 31, v230
	v_lshlrev_b64 v[210:211], 2, v[230:231]
	v_add_co_u32 v210, vcc_lo, v218, v210
	v_add_co_ci_u32_e64 v211, null, v219, v211, vcc_lo
	s_clause 0x1
	global_load_dword v0, v[210:211], off
	global_load_dword v212, v[218:219], off offset:192
	s_waitcnt vmcnt(1)
	global_store_dword v[218:219], v0, off offset:192
	s_waitcnt vmcnt(0)
	global_store_dword v[210:211], v212, off
.LBB108_1022:
	s_or_b32 exec_lo, exec_lo, s7
	v_mov_b32_e32 v236, v230
	v_mov_b32_e32 v0, v230
.LBB108_1023:
	s_or_b32 exec_lo, exec_lo, s1
.LBB108_1024:
	s_andn2_saveexec_b32 s0, s0
	s_cbranch_execz .LBB108_1026
; %bb.1025:
	v_mov_b32_e32 v236, 48
	ds_write2_b64 v1, v[22:23], v[24:25] offset0:98 offset1:99
	ds_write2_b64 v1, v[18:19], v[20:21] offset0:100 offset1:101
	;; [unrolled: 1-line block ×6, first 2 shown]
.LBB108_1026:
	s_or_b32 exec_lo, exec_lo, s0
	s_mov_b32 s0, exec_lo
	s_waitcnt lgkmcnt(0)
	s_waitcnt_vscnt null, 0x0
	s_barrier
	buffer_gl0_inv
	v_cmpx_lt_i32_e32 48, v236
	s_cbranch_execz .LBB108_1028
; %bb.1027:
	v_mul_f64 v[210:211], v[222:223], v[28:29]
	v_mul_f64 v[28:29], v[224:225], v[28:29]
	v_fma_f64 v[210:211], v[224:225], v[26:27], v[210:211]
	v_fma_f64 v[26:27], v[222:223], v[26:27], -v[28:29]
	ds_read2_b64 v[222:225], v1 offset0:98 offset1:99
	s_waitcnt lgkmcnt(0)
	v_mul_f64 v[28:29], v[224:225], v[210:211]
	v_mul_f64 v[212:213], v[222:223], v[210:211]
	v_fma_f64 v[28:29], v[222:223], v[26:27], -v[28:29]
	v_fma_f64 v[212:213], v[224:225], v[26:27], v[212:213]
	ds_read2_b64 v[222:225], v1 offset0:100 offset1:101
	v_add_f64 v[22:23], v[22:23], -v[28:29]
	v_add_f64 v[24:25], v[24:25], -v[212:213]
	s_waitcnt lgkmcnt(0)
	v_mul_f64 v[28:29], v[224:225], v[210:211]
	v_mul_f64 v[212:213], v[222:223], v[210:211]
	v_fma_f64 v[28:29], v[222:223], v[26:27], -v[28:29]
	v_fma_f64 v[212:213], v[224:225], v[26:27], v[212:213]
	ds_read2_b64 v[222:225], v1 offset0:102 offset1:103
	v_add_f64 v[18:19], v[18:19], -v[28:29]
	v_add_f64 v[20:21], v[20:21], -v[212:213]
	;; [unrolled: 8-line block ×5, first 2 shown]
	s_waitcnt lgkmcnt(0)
	v_mul_f64 v[28:29], v[224:225], v[210:211]
	v_mul_f64 v[212:213], v[222:223], v[210:211]
	v_fma_f64 v[28:29], v[222:223], v[26:27], -v[28:29]
	v_fma_f64 v[212:213], v[224:225], v[26:27], v[212:213]
	v_add_f64 v[2:3], v[2:3], -v[28:29]
	v_add_f64 v[4:5], v[4:5], -v[212:213]
	v_mov_b32_e32 v28, v210
	v_mov_b32_e32 v29, v211
.LBB108_1028:
	s_or_b32 exec_lo, exec_lo, s0
	v_lshl_add_u32 v210, v236, 4, v1
	s_barrier
	buffer_gl0_inv
	v_mov_b32_e32 v230, 49
	ds_write2_b64 v210, v[22:23], v[24:25] offset1:1
	s_waitcnt lgkmcnt(0)
	s_barrier
	buffer_gl0_inv
	ds_read2_b64 v[222:225], v1 offset0:98 offset1:99
	s_cmp_lt_i32 s8, 51
	s_cbranch_scc1 .LBB108_1031
; %bb.1029:
	v_add3_u32 v231, v253, 0, 0x320
	v_mov_b32_e32 v230, 49
	s_mov_b32 s1, 50
	s_inst_prefetch 0x1
	.p2align	6
.LBB108_1030:                           ; =>This Inner Loop Header: Depth=1
	s_waitcnt lgkmcnt(0)
	v_cmp_gt_f64_e32 vcc_lo, 0, v[224:225]
	v_cmp_gt_f64_e64 s0, 0, v[222:223]
	ds_read2_b64 v[237:240], v231 offset1:1
	v_xor_b32_e32 v211, 0x80000000, v223
	v_xor_b32_e32 v213, 0x80000000, v225
	v_mov_b32_e32 v210, v222
	v_mov_b32_e32 v212, v224
	v_add_nc_u32_e32 v231, 16, v231
	s_waitcnt lgkmcnt(0)
	v_xor_b32_e32 v215, 0x80000000, v240
	v_cndmask_b32_e64 v211, v223, v211, s0
	v_cndmask_b32_e32 v213, v225, v213, vcc_lo
	v_cmp_gt_f64_e32 vcc_lo, 0, v[239:240]
	v_cmp_gt_f64_e64 s0, 0, v[237:238]
	v_mov_b32_e32 v214, v239
	v_add_f64 v[210:211], v[210:211], v[212:213]
	v_xor_b32_e32 v213, 0x80000000, v238
	v_mov_b32_e32 v212, v237
	v_cndmask_b32_e32 v215, v240, v215, vcc_lo
	v_cndmask_b32_e64 v213, v238, v213, s0
	v_add_f64 v[212:213], v[212:213], v[214:215]
	v_cmp_lt_f64_e32 vcc_lo, v[210:211], v[212:213]
	v_cndmask_b32_e32 v223, v223, v238, vcc_lo
	v_cndmask_b32_e32 v222, v222, v237, vcc_lo
	;; [unrolled: 1-line block ×4, first 2 shown]
	v_cndmask_b32_e64 v230, v230, s1, vcc_lo
	s_add_i32 s1, s1, 1
	s_cmp_lg_u32 s8, s1
	s_cbranch_scc1 .LBB108_1030
.LBB108_1031:
	s_inst_prefetch 0x2
	s_waitcnt lgkmcnt(0)
	v_cmp_eq_f64_e32 vcc_lo, 0, v[222:223]
	v_cmp_eq_f64_e64 s0, 0, v[224:225]
	s_and_b32 s0, vcc_lo, s0
	s_and_saveexec_b32 s1, s0
	s_xor_b32 s0, exec_lo, s1
; %bb.1032:
	v_cmp_ne_u32_e32 vcc_lo, 0, v235
	v_cndmask_b32_e32 v235, 50, v235, vcc_lo
; %bb.1033:
	s_andn2_saveexec_b32 s0, s0
	s_cbranch_execz .LBB108_1039
; %bb.1034:
	v_cmp_ngt_f64_e64 s1, |v[222:223]|, |v[224:225]|
	s_and_saveexec_b32 s7, s1
	s_xor_b32 s1, exec_lo, s7
	s_cbranch_execz .LBB108_1036
; %bb.1035:
	v_div_scale_f64 v[210:211], null, v[224:225], v[224:225], v[222:223]
	v_div_scale_f64 v[216:217], vcc_lo, v[222:223], v[224:225], v[222:223]
	v_rcp_f64_e32 v[212:213], v[210:211]
	v_fma_f64 v[214:215], -v[210:211], v[212:213], 1.0
	v_fma_f64 v[212:213], v[212:213], v[214:215], v[212:213]
	v_fma_f64 v[214:215], -v[210:211], v[212:213], 1.0
	v_fma_f64 v[212:213], v[212:213], v[214:215], v[212:213]
	v_mul_f64 v[214:215], v[216:217], v[212:213]
	v_fma_f64 v[210:211], -v[210:211], v[214:215], v[216:217]
	v_div_fmas_f64 v[210:211], v[210:211], v[212:213], v[214:215]
	v_div_fixup_f64 v[210:211], v[210:211], v[224:225], v[222:223]
	v_fma_f64 v[212:213], v[222:223], v[210:211], v[224:225]
	v_div_scale_f64 v[214:215], null, v[212:213], v[212:213], 1.0
	v_rcp_f64_e32 v[216:217], v[214:215]
	v_fma_f64 v[222:223], -v[214:215], v[216:217], 1.0
	v_fma_f64 v[216:217], v[216:217], v[222:223], v[216:217]
	v_fma_f64 v[222:223], -v[214:215], v[216:217], 1.0
	v_fma_f64 v[216:217], v[216:217], v[222:223], v[216:217]
	v_div_scale_f64 v[222:223], vcc_lo, 1.0, v[212:213], 1.0
	v_mul_f64 v[224:225], v[222:223], v[216:217]
	v_fma_f64 v[214:215], -v[214:215], v[224:225], v[222:223]
	v_div_fmas_f64 v[214:215], v[214:215], v[216:217], v[224:225]
	v_div_fixup_f64 v[224:225], v[214:215], v[212:213], 1.0
	v_mul_f64 v[222:223], v[210:211], v[224:225]
	v_xor_b32_e32 v225, 0x80000000, v225
.LBB108_1036:
	s_andn2_saveexec_b32 s1, s1
	s_cbranch_execz .LBB108_1038
; %bb.1037:
	v_div_scale_f64 v[210:211], null, v[222:223], v[222:223], v[224:225]
	v_div_scale_f64 v[216:217], vcc_lo, v[224:225], v[222:223], v[224:225]
	v_rcp_f64_e32 v[212:213], v[210:211]
	v_fma_f64 v[214:215], -v[210:211], v[212:213], 1.0
	v_fma_f64 v[212:213], v[212:213], v[214:215], v[212:213]
	v_fma_f64 v[214:215], -v[210:211], v[212:213], 1.0
	v_fma_f64 v[212:213], v[212:213], v[214:215], v[212:213]
	v_mul_f64 v[214:215], v[216:217], v[212:213]
	v_fma_f64 v[210:211], -v[210:211], v[214:215], v[216:217]
	v_div_fmas_f64 v[210:211], v[210:211], v[212:213], v[214:215]
	v_div_fixup_f64 v[210:211], v[210:211], v[222:223], v[224:225]
	v_fma_f64 v[212:213], v[224:225], v[210:211], v[222:223]
	v_div_scale_f64 v[214:215], null, v[212:213], v[212:213], 1.0
	v_rcp_f64_e32 v[216:217], v[214:215]
	v_fma_f64 v[222:223], -v[214:215], v[216:217], 1.0
	v_fma_f64 v[216:217], v[216:217], v[222:223], v[216:217]
	v_fma_f64 v[222:223], -v[214:215], v[216:217], 1.0
	v_fma_f64 v[216:217], v[216:217], v[222:223], v[216:217]
	v_div_scale_f64 v[222:223], vcc_lo, 1.0, v[212:213], 1.0
	v_mul_f64 v[224:225], v[222:223], v[216:217]
	v_fma_f64 v[214:215], -v[214:215], v[224:225], v[222:223]
	v_div_fmas_f64 v[214:215], v[214:215], v[216:217], v[224:225]
	v_div_fixup_f64 v[222:223], v[214:215], v[212:213], 1.0
	v_mul_f64 v[224:225], v[210:211], -v[222:223]
.LBB108_1038:
	s_or_b32 exec_lo, exec_lo, s1
.LBB108_1039:
	s_or_b32 exec_lo, exec_lo, s0
	s_mov_b32 s0, exec_lo
	v_cmpx_ne_u32_e64 v236, v230
	s_xor_b32 s0, exec_lo, s0
	s_cbranch_execz .LBB108_1045
; %bb.1040:
	s_mov_b32 s1, exec_lo
	v_cmpx_eq_u32_e32 49, v236
	s_cbranch_execz .LBB108_1044
; %bb.1041:
	v_cmp_ne_u32_e32 vcc_lo, 49, v230
	s_xor_b32 s7, s16, -1
	s_and_b32 s9, s7, vcc_lo
	s_and_saveexec_b32 s7, s9
	s_cbranch_execz .LBB108_1043
; %bb.1042:
	v_ashrrev_i32_e32 v231, 31, v230
	v_lshlrev_b64 v[210:211], 2, v[230:231]
	v_add_co_u32 v210, vcc_lo, v218, v210
	v_add_co_ci_u32_e64 v211, null, v219, v211, vcc_lo
	s_clause 0x1
	global_load_dword v0, v[210:211], off
	global_load_dword v212, v[218:219], off offset:196
	s_waitcnt vmcnt(1)
	global_store_dword v[218:219], v0, off offset:196
	s_waitcnt vmcnt(0)
	global_store_dword v[210:211], v212, off
.LBB108_1043:
	s_or_b32 exec_lo, exec_lo, s7
	v_mov_b32_e32 v236, v230
	v_mov_b32_e32 v0, v230
.LBB108_1044:
	s_or_b32 exec_lo, exec_lo, s1
.LBB108_1045:
	s_andn2_saveexec_b32 s0, s0
	s_cbranch_execz .LBB108_1047
; %bb.1046:
	v_mov_b32_e32 v236, 49
	ds_write2_b64 v1, v[18:19], v[20:21] offset0:100 offset1:101
	ds_write2_b64 v1, v[14:15], v[16:17] offset0:102 offset1:103
	;; [unrolled: 1-line block ×5, first 2 shown]
.LBB108_1047:
	s_or_b32 exec_lo, exec_lo, s0
	s_mov_b32 s0, exec_lo
	s_waitcnt lgkmcnt(0)
	s_waitcnt_vscnt null, 0x0
	s_barrier
	buffer_gl0_inv
	v_cmpx_lt_i32_e32 49, v236
	s_cbranch_execz .LBB108_1049
; %bb.1048:
	v_mul_f64 v[210:211], v[222:223], v[24:25]
	v_mul_f64 v[24:25], v[224:225], v[24:25]
	v_fma_f64 v[210:211], v[224:225], v[22:23], v[210:211]
	v_fma_f64 v[22:23], v[222:223], v[22:23], -v[24:25]
	ds_read2_b64 v[222:225], v1 offset0:100 offset1:101
	s_waitcnt lgkmcnt(0)
	v_mul_f64 v[24:25], v[224:225], v[210:211]
	v_mul_f64 v[212:213], v[222:223], v[210:211]
	v_fma_f64 v[24:25], v[222:223], v[22:23], -v[24:25]
	v_fma_f64 v[212:213], v[224:225], v[22:23], v[212:213]
	ds_read2_b64 v[222:225], v1 offset0:102 offset1:103
	v_add_f64 v[18:19], v[18:19], -v[24:25]
	v_add_f64 v[20:21], v[20:21], -v[212:213]
	s_waitcnt lgkmcnt(0)
	v_mul_f64 v[24:25], v[224:225], v[210:211]
	v_mul_f64 v[212:213], v[222:223], v[210:211]
	v_fma_f64 v[24:25], v[222:223], v[22:23], -v[24:25]
	v_fma_f64 v[212:213], v[224:225], v[22:23], v[212:213]
	ds_read2_b64 v[222:225], v1 offset0:104 offset1:105
	v_add_f64 v[14:15], v[14:15], -v[24:25]
	v_add_f64 v[16:17], v[16:17], -v[212:213]
	;; [unrolled: 8-line block ×4, first 2 shown]
	s_waitcnt lgkmcnt(0)
	v_mul_f64 v[24:25], v[224:225], v[210:211]
	v_mul_f64 v[212:213], v[222:223], v[210:211]
	v_fma_f64 v[24:25], v[222:223], v[22:23], -v[24:25]
	v_fma_f64 v[212:213], v[224:225], v[22:23], v[212:213]
	v_add_f64 v[2:3], v[2:3], -v[24:25]
	v_add_f64 v[4:5], v[4:5], -v[212:213]
	v_mov_b32_e32 v24, v210
	v_mov_b32_e32 v25, v211
.LBB108_1049:
	s_or_b32 exec_lo, exec_lo, s0
	v_lshl_add_u32 v210, v236, 4, v1
	s_barrier
	buffer_gl0_inv
	v_mov_b32_e32 v230, 50
	ds_write2_b64 v210, v[18:19], v[20:21] offset1:1
	s_waitcnt lgkmcnt(0)
	s_barrier
	buffer_gl0_inv
	ds_read2_b64 v[222:225], v1 offset0:100 offset1:101
	s_cmp_lt_i32 s8, 52
	s_cbranch_scc1 .LBB108_1052
; %bb.1050:
	v_add3_u32 v231, v253, 0, 0x330
	v_mov_b32_e32 v230, 50
	s_mov_b32 s1, 51
	s_inst_prefetch 0x1
	.p2align	6
.LBB108_1051:                           ; =>This Inner Loop Header: Depth=1
	s_waitcnt lgkmcnt(0)
	v_cmp_gt_f64_e32 vcc_lo, 0, v[224:225]
	v_cmp_gt_f64_e64 s0, 0, v[222:223]
	ds_read2_b64 v[237:240], v231 offset1:1
	v_xor_b32_e32 v211, 0x80000000, v223
	v_xor_b32_e32 v213, 0x80000000, v225
	v_mov_b32_e32 v210, v222
	v_mov_b32_e32 v212, v224
	v_add_nc_u32_e32 v231, 16, v231
	s_waitcnt lgkmcnt(0)
	v_xor_b32_e32 v215, 0x80000000, v240
	v_cndmask_b32_e64 v211, v223, v211, s0
	v_cndmask_b32_e32 v213, v225, v213, vcc_lo
	v_cmp_gt_f64_e32 vcc_lo, 0, v[239:240]
	v_cmp_gt_f64_e64 s0, 0, v[237:238]
	v_mov_b32_e32 v214, v239
	v_add_f64 v[210:211], v[210:211], v[212:213]
	v_xor_b32_e32 v213, 0x80000000, v238
	v_mov_b32_e32 v212, v237
	v_cndmask_b32_e32 v215, v240, v215, vcc_lo
	v_cndmask_b32_e64 v213, v238, v213, s0
	v_add_f64 v[212:213], v[212:213], v[214:215]
	v_cmp_lt_f64_e32 vcc_lo, v[210:211], v[212:213]
	v_cndmask_b32_e32 v223, v223, v238, vcc_lo
	v_cndmask_b32_e32 v222, v222, v237, vcc_lo
	;; [unrolled: 1-line block ×4, first 2 shown]
	v_cndmask_b32_e64 v230, v230, s1, vcc_lo
	s_add_i32 s1, s1, 1
	s_cmp_lg_u32 s8, s1
	s_cbranch_scc1 .LBB108_1051
.LBB108_1052:
	s_inst_prefetch 0x2
	s_waitcnt lgkmcnt(0)
	v_cmp_eq_f64_e32 vcc_lo, 0, v[222:223]
	v_cmp_eq_f64_e64 s0, 0, v[224:225]
	s_and_b32 s0, vcc_lo, s0
	s_and_saveexec_b32 s1, s0
	s_xor_b32 s0, exec_lo, s1
; %bb.1053:
	v_cmp_ne_u32_e32 vcc_lo, 0, v235
	v_cndmask_b32_e32 v235, 51, v235, vcc_lo
; %bb.1054:
	s_andn2_saveexec_b32 s0, s0
	s_cbranch_execz .LBB108_1060
; %bb.1055:
	v_cmp_ngt_f64_e64 s1, |v[222:223]|, |v[224:225]|
	s_and_saveexec_b32 s7, s1
	s_xor_b32 s1, exec_lo, s7
	s_cbranch_execz .LBB108_1057
; %bb.1056:
	v_div_scale_f64 v[210:211], null, v[224:225], v[224:225], v[222:223]
	v_div_scale_f64 v[216:217], vcc_lo, v[222:223], v[224:225], v[222:223]
	v_rcp_f64_e32 v[212:213], v[210:211]
	v_fma_f64 v[214:215], -v[210:211], v[212:213], 1.0
	v_fma_f64 v[212:213], v[212:213], v[214:215], v[212:213]
	v_fma_f64 v[214:215], -v[210:211], v[212:213], 1.0
	v_fma_f64 v[212:213], v[212:213], v[214:215], v[212:213]
	v_mul_f64 v[214:215], v[216:217], v[212:213]
	v_fma_f64 v[210:211], -v[210:211], v[214:215], v[216:217]
	v_div_fmas_f64 v[210:211], v[210:211], v[212:213], v[214:215]
	v_div_fixup_f64 v[210:211], v[210:211], v[224:225], v[222:223]
	v_fma_f64 v[212:213], v[222:223], v[210:211], v[224:225]
	v_div_scale_f64 v[214:215], null, v[212:213], v[212:213], 1.0
	v_rcp_f64_e32 v[216:217], v[214:215]
	v_fma_f64 v[222:223], -v[214:215], v[216:217], 1.0
	v_fma_f64 v[216:217], v[216:217], v[222:223], v[216:217]
	v_fma_f64 v[222:223], -v[214:215], v[216:217], 1.0
	v_fma_f64 v[216:217], v[216:217], v[222:223], v[216:217]
	v_div_scale_f64 v[222:223], vcc_lo, 1.0, v[212:213], 1.0
	v_mul_f64 v[224:225], v[222:223], v[216:217]
	v_fma_f64 v[214:215], -v[214:215], v[224:225], v[222:223]
	v_div_fmas_f64 v[214:215], v[214:215], v[216:217], v[224:225]
	v_div_fixup_f64 v[224:225], v[214:215], v[212:213], 1.0
	v_mul_f64 v[222:223], v[210:211], v[224:225]
	v_xor_b32_e32 v225, 0x80000000, v225
.LBB108_1057:
	s_andn2_saveexec_b32 s1, s1
	s_cbranch_execz .LBB108_1059
; %bb.1058:
	v_div_scale_f64 v[210:211], null, v[222:223], v[222:223], v[224:225]
	v_div_scale_f64 v[216:217], vcc_lo, v[224:225], v[222:223], v[224:225]
	v_rcp_f64_e32 v[212:213], v[210:211]
	v_fma_f64 v[214:215], -v[210:211], v[212:213], 1.0
	v_fma_f64 v[212:213], v[212:213], v[214:215], v[212:213]
	v_fma_f64 v[214:215], -v[210:211], v[212:213], 1.0
	v_fma_f64 v[212:213], v[212:213], v[214:215], v[212:213]
	v_mul_f64 v[214:215], v[216:217], v[212:213]
	v_fma_f64 v[210:211], -v[210:211], v[214:215], v[216:217]
	v_div_fmas_f64 v[210:211], v[210:211], v[212:213], v[214:215]
	v_div_fixup_f64 v[210:211], v[210:211], v[222:223], v[224:225]
	v_fma_f64 v[212:213], v[224:225], v[210:211], v[222:223]
	v_div_scale_f64 v[214:215], null, v[212:213], v[212:213], 1.0
	v_rcp_f64_e32 v[216:217], v[214:215]
	v_fma_f64 v[222:223], -v[214:215], v[216:217], 1.0
	v_fma_f64 v[216:217], v[216:217], v[222:223], v[216:217]
	v_fma_f64 v[222:223], -v[214:215], v[216:217], 1.0
	v_fma_f64 v[216:217], v[216:217], v[222:223], v[216:217]
	v_div_scale_f64 v[222:223], vcc_lo, 1.0, v[212:213], 1.0
	v_mul_f64 v[224:225], v[222:223], v[216:217]
	v_fma_f64 v[214:215], -v[214:215], v[224:225], v[222:223]
	v_div_fmas_f64 v[214:215], v[214:215], v[216:217], v[224:225]
	v_div_fixup_f64 v[222:223], v[214:215], v[212:213], 1.0
	v_mul_f64 v[224:225], v[210:211], -v[222:223]
.LBB108_1059:
	s_or_b32 exec_lo, exec_lo, s1
.LBB108_1060:
	s_or_b32 exec_lo, exec_lo, s0
	s_mov_b32 s0, exec_lo
	v_cmpx_ne_u32_e64 v236, v230
	s_xor_b32 s0, exec_lo, s0
	s_cbranch_execz .LBB108_1066
; %bb.1061:
	s_mov_b32 s1, exec_lo
	v_cmpx_eq_u32_e32 50, v236
	s_cbranch_execz .LBB108_1065
; %bb.1062:
	v_cmp_ne_u32_e32 vcc_lo, 50, v230
	s_xor_b32 s7, s16, -1
	s_and_b32 s9, s7, vcc_lo
	s_and_saveexec_b32 s7, s9
	s_cbranch_execz .LBB108_1064
; %bb.1063:
	v_ashrrev_i32_e32 v231, 31, v230
	v_lshlrev_b64 v[210:211], 2, v[230:231]
	v_add_co_u32 v210, vcc_lo, v218, v210
	v_add_co_ci_u32_e64 v211, null, v219, v211, vcc_lo
	s_clause 0x1
	global_load_dword v0, v[210:211], off
	global_load_dword v212, v[218:219], off offset:200
	s_waitcnt vmcnt(1)
	global_store_dword v[218:219], v0, off offset:200
	s_waitcnt vmcnt(0)
	global_store_dword v[210:211], v212, off
.LBB108_1064:
	s_or_b32 exec_lo, exec_lo, s7
	v_mov_b32_e32 v236, v230
	v_mov_b32_e32 v0, v230
.LBB108_1065:
	s_or_b32 exec_lo, exec_lo, s1
.LBB108_1066:
	s_andn2_saveexec_b32 s0, s0
	s_cbranch_execz .LBB108_1068
; %bb.1067:
	v_mov_b32_e32 v236, 50
	ds_write2_b64 v1, v[14:15], v[16:17] offset0:102 offset1:103
	ds_write2_b64 v1, v[10:11], v[12:13] offset0:104 offset1:105
	;; [unrolled: 1-line block ×4, first 2 shown]
.LBB108_1068:
	s_or_b32 exec_lo, exec_lo, s0
	s_mov_b32 s0, exec_lo
	s_waitcnt lgkmcnt(0)
	s_waitcnt_vscnt null, 0x0
	s_barrier
	buffer_gl0_inv
	v_cmpx_lt_i32_e32 50, v236
	s_cbranch_execz .LBB108_1070
; %bb.1069:
	v_mul_f64 v[210:211], v[222:223], v[20:21]
	v_mul_f64 v[20:21], v[224:225], v[20:21]
	v_fma_f64 v[210:211], v[224:225], v[18:19], v[210:211]
	v_fma_f64 v[18:19], v[222:223], v[18:19], -v[20:21]
	ds_read2_b64 v[222:225], v1 offset0:102 offset1:103
	s_waitcnt lgkmcnt(0)
	v_mul_f64 v[20:21], v[224:225], v[210:211]
	v_mul_f64 v[212:213], v[222:223], v[210:211]
	v_fma_f64 v[20:21], v[222:223], v[18:19], -v[20:21]
	v_fma_f64 v[212:213], v[224:225], v[18:19], v[212:213]
	ds_read2_b64 v[222:225], v1 offset0:104 offset1:105
	v_add_f64 v[14:15], v[14:15], -v[20:21]
	v_add_f64 v[16:17], v[16:17], -v[212:213]
	s_waitcnt lgkmcnt(0)
	v_mul_f64 v[20:21], v[224:225], v[210:211]
	v_mul_f64 v[212:213], v[222:223], v[210:211]
	v_fma_f64 v[20:21], v[222:223], v[18:19], -v[20:21]
	v_fma_f64 v[212:213], v[224:225], v[18:19], v[212:213]
	ds_read2_b64 v[222:225], v1 offset0:106 offset1:107
	v_add_f64 v[10:11], v[10:11], -v[20:21]
	v_add_f64 v[12:13], v[12:13], -v[212:213]
	;; [unrolled: 8-line block ×3, first 2 shown]
	s_waitcnt lgkmcnt(0)
	v_mul_f64 v[20:21], v[224:225], v[210:211]
	v_mul_f64 v[212:213], v[222:223], v[210:211]
	v_fma_f64 v[20:21], v[222:223], v[18:19], -v[20:21]
	v_fma_f64 v[212:213], v[224:225], v[18:19], v[212:213]
	v_add_f64 v[2:3], v[2:3], -v[20:21]
	v_add_f64 v[4:5], v[4:5], -v[212:213]
	v_mov_b32_e32 v20, v210
	v_mov_b32_e32 v21, v211
.LBB108_1070:
	s_or_b32 exec_lo, exec_lo, s0
	v_lshl_add_u32 v210, v236, 4, v1
	s_barrier
	buffer_gl0_inv
	v_mov_b32_e32 v230, 51
	ds_write2_b64 v210, v[14:15], v[16:17] offset1:1
	s_waitcnt lgkmcnt(0)
	s_barrier
	buffer_gl0_inv
	ds_read2_b64 v[222:225], v1 offset0:102 offset1:103
	s_cmp_lt_i32 s8, 53
	s_cbranch_scc1 .LBB108_1073
; %bb.1071:
	v_add3_u32 v231, v253, 0, 0x340
	v_mov_b32_e32 v230, 51
	s_mov_b32 s1, 52
	s_inst_prefetch 0x1
	.p2align	6
.LBB108_1072:                           ; =>This Inner Loop Header: Depth=1
	s_waitcnt lgkmcnt(0)
	v_cmp_gt_f64_e32 vcc_lo, 0, v[224:225]
	v_cmp_gt_f64_e64 s0, 0, v[222:223]
	ds_read2_b64 v[237:240], v231 offset1:1
	v_xor_b32_e32 v211, 0x80000000, v223
	v_xor_b32_e32 v213, 0x80000000, v225
	v_mov_b32_e32 v210, v222
	v_mov_b32_e32 v212, v224
	v_add_nc_u32_e32 v231, 16, v231
	s_waitcnt lgkmcnt(0)
	v_xor_b32_e32 v215, 0x80000000, v240
	v_cndmask_b32_e64 v211, v223, v211, s0
	v_cndmask_b32_e32 v213, v225, v213, vcc_lo
	v_cmp_gt_f64_e32 vcc_lo, 0, v[239:240]
	v_cmp_gt_f64_e64 s0, 0, v[237:238]
	v_mov_b32_e32 v214, v239
	v_add_f64 v[210:211], v[210:211], v[212:213]
	v_xor_b32_e32 v213, 0x80000000, v238
	v_mov_b32_e32 v212, v237
	v_cndmask_b32_e32 v215, v240, v215, vcc_lo
	v_cndmask_b32_e64 v213, v238, v213, s0
	v_add_f64 v[212:213], v[212:213], v[214:215]
	v_cmp_lt_f64_e32 vcc_lo, v[210:211], v[212:213]
	v_cndmask_b32_e32 v223, v223, v238, vcc_lo
	v_cndmask_b32_e32 v222, v222, v237, vcc_lo
	;; [unrolled: 1-line block ×4, first 2 shown]
	v_cndmask_b32_e64 v230, v230, s1, vcc_lo
	s_add_i32 s1, s1, 1
	s_cmp_lg_u32 s8, s1
	s_cbranch_scc1 .LBB108_1072
.LBB108_1073:
	s_inst_prefetch 0x2
	s_waitcnt lgkmcnt(0)
	v_cmp_eq_f64_e32 vcc_lo, 0, v[222:223]
	v_cmp_eq_f64_e64 s0, 0, v[224:225]
	s_and_b32 s0, vcc_lo, s0
	s_and_saveexec_b32 s1, s0
	s_xor_b32 s0, exec_lo, s1
; %bb.1074:
	v_cmp_ne_u32_e32 vcc_lo, 0, v235
	v_cndmask_b32_e32 v235, 52, v235, vcc_lo
; %bb.1075:
	s_andn2_saveexec_b32 s0, s0
	s_cbranch_execz .LBB108_1081
; %bb.1076:
	v_cmp_ngt_f64_e64 s1, |v[222:223]|, |v[224:225]|
	s_and_saveexec_b32 s7, s1
	s_xor_b32 s1, exec_lo, s7
	s_cbranch_execz .LBB108_1078
; %bb.1077:
	v_div_scale_f64 v[210:211], null, v[224:225], v[224:225], v[222:223]
	v_div_scale_f64 v[216:217], vcc_lo, v[222:223], v[224:225], v[222:223]
	v_rcp_f64_e32 v[212:213], v[210:211]
	v_fma_f64 v[214:215], -v[210:211], v[212:213], 1.0
	v_fma_f64 v[212:213], v[212:213], v[214:215], v[212:213]
	v_fma_f64 v[214:215], -v[210:211], v[212:213], 1.0
	v_fma_f64 v[212:213], v[212:213], v[214:215], v[212:213]
	v_mul_f64 v[214:215], v[216:217], v[212:213]
	v_fma_f64 v[210:211], -v[210:211], v[214:215], v[216:217]
	v_div_fmas_f64 v[210:211], v[210:211], v[212:213], v[214:215]
	v_div_fixup_f64 v[210:211], v[210:211], v[224:225], v[222:223]
	v_fma_f64 v[212:213], v[222:223], v[210:211], v[224:225]
	v_div_scale_f64 v[214:215], null, v[212:213], v[212:213], 1.0
	v_rcp_f64_e32 v[216:217], v[214:215]
	v_fma_f64 v[222:223], -v[214:215], v[216:217], 1.0
	v_fma_f64 v[216:217], v[216:217], v[222:223], v[216:217]
	v_fma_f64 v[222:223], -v[214:215], v[216:217], 1.0
	v_fma_f64 v[216:217], v[216:217], v[222:223], v[216:217]
	v_div_scale_f64 v[222:223], vcc_lo, 1.0, v[212:213], 1.0
	v_mul_f64 v[224:225], v[222:223], v[216:217]
	v_fma_f64 v[214:215], -v[214:215], v[224:225], v[222:223]
	v_div_fmas_f64 v[214:215], v[214:215], v[216:217], v[224:225]
	v_div_fixup_f64 v[224:225], v[214:215], v[212:213], 1.0
	v_mul_f64 v[222:223], v[210:211], v[224:225]
	v_xor_b32_e32 v225, 0x80000000, v225
.LBB108_1078:
	s_andn2_saveexec_b32 s1, s1
	s_cbranch_execz .LBB108_1080
; %bb.1079:
	v_div_scale_f64 v[210:211], null, v[222:223], v[222:223], v[224:225]
	v_div_scale_f64 v[216:217], vcc_lo, v[224:225], v[222:223], v[224:225]
	v_rcp_f64_e32 v[212:213], v[210:211]
	v_fma_f64 v[214:215], -v[210:211], v[212:213], 1.0
	v_fma_f64 v[212:213], v[212:213], v[214:215], v[212:213]
	v_fma_f64 v[214:215], -v[210:211], v[212:213], 1.0
	v_fma_f64 v[212:213], v[212:213], v[214:215], v[212:213]
	v_mul_f64 v[214:215], v[216:217], v[212:213]
	v_fma_f64 v[210:211], -v[210:211], v[214:215], v[216:217]
	v_div_fmas_f64 v[210:211], v[210:211], v[212:213], v[214:215]
	v_div_fixup_f64 v[210:211], v[210:211], v[222:223], v[224:225]
	v_fma_f64 v[212:213], v[224:225], v[210:211], v[222:223]
	v_div_scale_f64 v[214:215], null, v[212:213], v[212:213], 1.0
	v_rcp_f64_e32 v[216:217], v[214:215]
	v_fma_f64 v[222:223], -v[214:215], v[216:217], 1.0
	v_fma_f64 v[216:217], v[216:217], v[222:223], v[216:217]
	v_fma_f64 v[222:223], -v[214:215], v[216:217], 1.0
	v_fma_f64 v[216:217], v[216:217], v[222:223], v[216:217]
	v_div_scale_f64 v[222:223], vcc_lo, 1.0, v[212:213], 1.0
	v_mul_f64 v[224:225], v[222:223], v[216:217]
	v_fma_f64 v[214:215], -v[214:215], v[224:225], v[222:223]
	v_div_fmas_f64 v[214:215], v[214:215], v[216:217], v[224:225]
	v_div_fixup_f64 v[222:223], v[214:215], v[212:213], 1.0
	v_mul_f64 v[224:225], v[210:211], -v[222:223]
.LBB108_1080:
	s_or_b32 exec_lo, exec_lo, s1
.LBB108_1081:
	s_or_b32 exec_lo, exec_lo, s0
	s_mov_b32 s0, exec_lo
	v_cmpx_ne_u32_e64 v236, v230
	s_xor_b32 s0, exec_lo, s0
	s_cbranch_execz .LBB108_1087
; %bb.1082:
	s_mov_b32 s1, exec_lo
	v_cmpx_eq_u32_e32 51, v236
	s_cbranch_execz .LBB108_1086
; %bb.1083:
	v_cmp_ne_u32_e32 vcc_lo, 51, v230
	s_xor_b32 s7, s16, -1
	s_and_b32 s9, s7, vcc_lo
	s_and_saveexec_b32 s7, s9
	s_cbranch_execz .LBB108_1085
; %bb.1084:
	v_ashrrev_i32_e32 v231, 31, v230
	v_lshlrev_b64 v[210:211], 2, v[230:231]
	v_add_co_u32 v210, vcc_lo, v218, v210
	v_add_co_ci_u32_e64 v211, null, v219, v211, vcc_lo
	s_clause 0x1
	global_load_dword v0, v[210:211], off
	global_load_dword v212, v[218:219], off offset:204
	s_waitcnt vmcnt(1)
	global_store_dword v[218:219], v0, off offset:204
	s_waitcnt vmcnt(0)
	global_store_dword v[210:211], v212, off
.LBB108_1085:
	s_or_b32 exec_lo, exec_lo, s7
	v_mov_b32_e32 v236, v230
	v_mov_b32_e32 v0, v230
.LBB108_1086:
	s_or_b32 exec_lo, exec_lo, s1
.LBB108_1087:
	s_andn2_saveexec_b32 s0, s0
	s_cbranch_execz .LBB108_1089
; %bb.1088:
	v_mov_b32_e32 v236, 51
	ds_write2_b64 v1, v[10:11], v[12:13] offset0:104 offset1:105
	ds_write2_b64 v1, v[6:7], v[8:9] offset0:106 offset1:107
	;; [unrolled: 1-line block ×3, first 2 shown]
.LBB108_1089:
	s_or_b32 exec_lo, exec_lo, s0
	s_mov_b32 s0, exec_lo
	s_waitcnt lgkmcnt(0)
	s_waitcnt_vscnt null, 0x0
	s_barrier
	buffer_gl0_inv
	v_cmpx_lt_i32_e32 51, v236
	s_cbranch_execz .LBB108_1091
; %bb.1090:
	v_mul_f64 v[210:211], v[222:223], v[16:17]
	v_mul_f64 v[16:17], v[224:225], v[16:17]
	v_fma_f64 v[210:211], v[224:225], v[14:15], v[210:211]
	v_fma_f64 v[14:15], v[222:223], v[14:15], -v[16:17]
	ds_read2_b64 v[222:225], v1 offset0:104 offset1:105
	s_waitcnt lgkmcnt(0)
	v_mul_f64 v[16:17], v[224:225], v[210:211]
	v_mul_f64 v[212:213], v[222:223], v[210:211]
	v_fma_f64 v[16:17], v[222:223], v[14:15], -v[16:17]
	v_fma_f64 v[212:213], v[224:225], v[14:15], v[212:213]
	ds_read2_b64 v[222:225], v1 offset0:106 offset1:107
	v_add_f64 v[10:11], v[10:11], -v[16:17]
	v_add_f64 v[12:13], v[12:13], -v[212:213]
	s_waitcnt lgkmcnt(0)
	v_mul_f64 v[16:17], v[224:225], v[210:211]
	v_mul_f64 v[212:213], v[222:223], v[210:211]
	v_fma_f64 v[16:17], v[222:223], v[14:15], -v[16:17]
	v_fma_f64 v[212:213], v[224:225], v[14:15], v[212:213]
	ds_read2_b64 v[222:225], v1 offset0:108 offset1:109
	v_add_f64 v[6:7], v[6:7], -v[16:17]
	v_add_f64 v[8:9], v[8:9], -v[212:213]
	s_waitcnt lgkmcnt(0)
	v_mul_f64 v[16:17], v[224:225], v[210:211]
	v_mul_f64 v[212:213], v[222:223], v[210:211]
	v_fma_f64 v[16:17], v[222:223], v[14:15], -v[16:17]
	v_fma_f64 v[212:213], v[224:225], v[14:15], v[212:213]
	v_add_f64 v[2:3], v[2:3], -v[16:17]
	v_add_f64 v[4:5], v[4:5], -v[212:213]
	v_mov_b32_e32 v16, v210
	v_mov_b32_e32 v17, v211
.LBB108_1091:
	s_or_b32 exec_lo, exec_lo, s0
	v_lshl_add_u32 v210, v236, 4, v1
	s_barrier
	buffer_gl0_inv
	v_mov_b32_e32 v230, 52
	ds_write2_b64 v210, v[10:11], v[12:13] offset1:1
	s_waitcnt lgkmcnt(0)
	s_barrier
	buffer_gl0_inv
	ds_read2_b64 v[222:225], v1 offset0:104 offset1:105
	s_cmp_lt_i32 s8, 54
	s_cbranch_scc1 .LBB108_1094
; %bb.1092:
	v_add3_u32 v231, v253, 0, 0x350
	v_mov_b32_e32 v230, 52
	s_mov_b32 s1, 53
	s_inst_prefetch 0x1
	.p2align	6
.LBB108_1093:                           ; =>This Inner Loop Header: Depth=1
	s_waitcnt lgkmcnt(0)
	v_cmp_gt_f64_e32 vcc_lo, 0, v[224:225]
	v_cmp_gt_f64_e64 s0, 0, v[222:223]
	ds_read2_b64 v[237:240], v231 offset1:1
	v_xor_b32_e32 v211, 0x80000000, v223
	v_xor_b32_e32 v213, 0x80000000, v225
	v_mov_b32_e32 v210, v222
	v_mov_b32_e32 v212, v224
	v_add_nc_u32_e32 v231, 16, v231
	s_waitcnt lgkmcnt(0)
	v_xor_b32_e32 v215, 0x80000000, v240
	v_cndmask_b32_e64 v211, v223, v211, s0
	v_cndmask_b32_e32 v213, v225, v213, vcc_lo
	v_cmp_gt_f64_e32 vcc_lo, 0, v[239:240]
	v_cmp_gt_f64_e64 s0, 0, v[237:238]
	v_mov_b32_e32 v214, v239
	v_add_f64 v[210:211], v[210:211], v[212:213]
	v_xor_b32_e32 v213, 0x80000000, v238
	v_mov_b32_e32 v212, v237
	v_cndmask_b32_e32 v215, v240, v215, vcc_lo
	v_cndmask_b32_e64 v213, v238, v213, s0
	v_add_f64 v[212:213], v[212:213], v[214:215]
	v_cmp_lt_f64_e32 vcc_lo, v[210:211], v[212:213]
	v_cndmask_b32_e32 v223, v223, v238, vcc_lo
	v_cndmask_b32_e32 v222, v222, v237, vcc_lo
	v_cndmask_b32_e32 v225, v225, v240, vcc_lo
	v_cndmask_b32_e32 v224, v224, v239, vcc_lo
	v_cndmask_b32_e64 v230, v230, s1, vcc_lo
	s_add_i32 s1, s1, 1
	s_cmp_lg_u32 s8, s1
	s_cbranch_scc1 .LBB108_1093
.LBB108_1094:
	s_inst_prefetch 0x2
	s_waitcnt lgkmcnt(0)
	v_cmp_eq_f64_e32 vcc_lo, 0, v[222:223]
	v_cmp_eq_f64_e64 s0, 0, v[224:225]
	s_and_b32 s0, vcc_lo, s0
	s_and_saveexec_b32 s1, s0
	s_xor_b32 s0, exec_lo, s1
; %bb.1095:
	v_cmp_ne_u32_e32 vcc_lo, 0, v235
	v_cndmask_b32_e32 v235, 53, v235, vcc_lo
; %bb.1096:
	s_andn2_saveexec_b32 s0, s0
	s_cbranch_execz .LBB108_1102
; %bb.1097:
	v_cmp_ngt_f64_e64 s1, |v[222:223]|, |v[224:225]|
	s_and_saveexec_b32 s7, s1
	s_xor_b32 s1, exec_lo, s7
	s_cbranch_execz .LBB108_1099
; %bb.1098:
	v_div_scale_f64 v[210:211], null, v[224:225], v[224:225], v[222:223]
	v_div_scale_f64 v[216:217], vcc_lo, v[222:223], v[224:225], v[222:223]
	v_rcp_f64_e32 v[212:213], v[210:211]
	v_fma_f64 v[214:215], -v[210:211], v[212:213], 1.0
	v_fma_f64 v[212:213], v[212:213], v[214:215], v[212:213]
	v_fma_f64 v[214:215], -v[210:211], v[212:213], 1.0
	v_fma_f64 v[212:213], v[212:213], v[214:215], v[212:213]
	v_mul_f64 v[214:215], v[216:217], v[212:213]
	v_fma_f64 v[210:211], -v[210:211], v[214:215], v[216:217]
	v_div_fmas_f64 v[210:211], v[210:211], v[212:213], v[214:215]
	v_div_fixup_f64 v[210:211], v[210:211], v[224:225], v[222:223]
	v_fma_f64 v[212:213], v[222:223], v[210:211], v[224:225]
	v_div_scale_f64 v[214:215], null, v[212:213], v[212:213], 1.0
	v_rcp_f64_e32 v[216:217], v[214:215]
	v_fma_f64 v[222:223], -v[214:215], v[216:217], 1.0
	v_fma_f64 v[216:217], v[216:217], v[222:223], v[216:217]
	v_fma_f64 v[222:223], -v[214:215], v[216:217], 1.0
	v_fma_f64 v[216:217], v[216:217], v[222:223], v[216:217]
	v_div_scale_f64 v[222:223], vcc_lo, 1.0, v[212:213], 1.0
	v_mul_f64 v[224:225], v[222:223], v[216:217]
	v_fma_f64 v[214:215], -v[214:215], v[224:225], v[222:223]
	v_div_fmas_f64 v[214:215], v[214:215], v[216:217], v[224:225]
	v_div_fixup_f64 v[224:225], v[214:215], v[212:213], 1.0
	v_mul_f64 v[222:223], v[210:211], v[224:225]
	v_xor_b32_e32 v225, 0x80000000, v225
.LBB108_1099:
	s_andn2_saveexec_b32 s1, s1
	s_cbranch_execz .LBB108_1101
; %bb.1100:
	v_div_scale_f64 v[210:211], null, v[222:223], v[222:223], v[224:225]
	v_div_scale_f64 v[216:217], vcc_lo, v[224:225], v[222:223], v[224:225]
	v_rcp_f64_e32 v[212:213], v[210:211]
	v_fma_f64 v[214:215], -v[210:211], v[212:213], 1.0
	v_fma_f64 v[212:213], v[212:213], v[214:215], v[212:213]
	v_fma_f64 v[214:215], -v[210:211], v[212:213], 1.0
	v_fma_f64 v[212:213], v[212:213], v[214:215], v[212:213]
	v_mul_f64 v[214:215], v[216:217], v[212:213]
	v_fma_f64 v[210:211], -v[210:211], v[214:215], v[216:217]
	v_div_fmas_f64 v[210:211], v[210:211], v[212:213], v[214:215]
	v_div_fixup_f64 v[210:211], v[210:211], v[222:223], v[224:225]
	v_fma_f64 v[212:213], v[224:225], v[210:211], v[222:223]
	v_div_scale_f64 v[214:215], null, v[212:213], v[212:213], 1.0
	v_rcp_f64_e32 v[216:217], v[214:215]
	v_fma_f64 v[222:223], -v[214:215], v[216:217], 1.0
	v_fma_f64 v[216:217], v[216:217], v[222:223], v[216:217]
	v_fma_f64 v[222:223], -v[214:215], v[216:217], 1.0
	v_fma_f64 v[216:217], v[216:217], v[222:223], v[216:217]
	v_div_scale_f64 v[222:223], vcc_lo, 1.0, v[212:213], 1.0
	v_mul_f64 v[224:225], v[222:223], v[216:217]
	v_fma_f64 v[214:215], -v[214:215], v[224:225], v[222:223]
	v_div_fmas_f64 v[214:215], v[214:215], v[216:217], v[224:225]
	v_div_fixup_f64 v[222:223], v[214:215], v[212:213], 1.0
	v_mul_f64 v[224:225], v[210:211], -v[222:223]
.LBB108_1101:
	s_or_b32 exec_lo, exec_lo, s1
.LBB108_1102:
	s_or_b32 exec_lo, exec_lo, s0
	s_mov_b32 s0, exec_lo
	v_cmpx_ne_u32_e64 v236, v230
	s_xor_b32 s0, exec_lo, s0
	s_cbranch_execz .LBB108_1108
; %bb.1103:
	s_mov_b32 s1, exec_lo
	v_cmpx_eq_u32_e32 52, v236
	s_cbranch_execz .LBB108_1107
; %bb.1104:
	v_cmp_ne_u32_e32 vcc_lo, 52, v230
	s_xor_b32 s7, s16, -1
	s_and_b32 s9, s7, vcc_lo
	s_and_saveexec_b32 s7, s9
	s_cbranch_execz .LBB108_1106
; %bb.1105:
	v_ashrrev_i32_e32 v231, 31, v230
	v_lshlrev_b64 v[210:211], 2, v[230:231]
	v_add_co_u32 v210, vcc_lo, v218, v210
	v_add_co_ci_u32_e64 v211, null, v219, v211, vcc_lo
	s_clause 0x1
	global_load_dword v0, v[210:211], off
	global_load_dword v212, v[218:219], off offset:208
	s_waitcnt vmcnt(1)
	global_store_dword v[218:219], v0, off offset:208
	s_waitcnt vmcnt(0)
	global_store_dword v[210:211], v212, off
.LBB108_1106:
	s_or_b32 exec_lo, exec_lo, s7
	v_mov_b32_e32 v236, v230
	v_mov_b32_e32 v0, v230
.LBB108_1107:
	s_or_b32 exec_lo, exec_lo, s1
.LBB108_1108:
	s_andn2_saveexec_b32 s0, s0
	s_cbranch_execz .LBB108_1110
; %bb.1109:
	v_mov_b32_e32 v236, 52
	ds_write2_b64 v1, v[6:7], v[8:9] offset0:106 offset1:107
	ds_write2_b64 v1, v[2:3], v[4:5] offset0:108 offset1:109
.LBB108_1110:
	s_or_b32 exec_lo, exec_lo, s0
	s_mov_b32 s0, exec_lo
	s_waitcnt lgkmcnt(0)
	s_waitcnt_vscnt null, 0x0
	s_barrier
	buffer_gl0_inv
	v_cmpx_lt_i32_e32 52, v236
	s_cbranch_execz .LBB108_1112
; %bb.1111:
	v_mul_f64 v[210:211], v[222:223], v[12:13]
	v_mul_f64 v[12:13], v[224:225], v[12:13]
	ds_read2_b64 v[237:240], v1 offset0:106 offset1:107
	ds_read2_b64 v[241:244], v1 offset0:108 offset1:109
	v_fma_f64 v[210:211], v[224:225], v[10:11], v[210:211]
	v_fma_f64 v[10:11], v[222:223], v[10:11], -v[12:13]
	v_mov_b32_e32 v224, v226
	v_mov_b32_e32 v225, v227
	;; [unrolled: 1-line block ×8, first 2 shown]
	s_waitcnt lgkmcnt(1)
	v_mul_f64 v[12:13], v[239:240], v[210:211]
	v_mul_f64 v[212:213], v[237:238], v[210:211]
	s_waitcnt lgkmcnt(0)
	v_mul_f64 v[214:215], v[243:244], v[210:211]
	v_mul_f64 v[216:217], v[241:242], v[210:211]
	v_fma_f64 v[12:13], v[237:238], v[10:11], -v[12:13]
	v_fma_f64 v[212:213], v[239:240], v[10:11], v[212:213]
	v_fma_f64 v[214:215], v[241:242], v[10:11], -v[214:215]
	v_fma_f64 v[216:217], v[243:244], v[10:11], v[216:217]
	v_add_f64 v[6:7], v[6:7], -v[12:13]
	v_add_f64 v[8:9], v[8:9], -v[212:213]
	;; [unrolled: 1-line block ×4, first 2 shown]
	v_mov_b32_e32 v12, v210
	v_mov_b32_e32 v13, v211
.LBB108_1112:
	s_or_b32 exec_lo, exec_lo, s0
	v_lshl_add_u32 v210, v236, 4, v1
	s_barrier
	buffer_gl0_inv
	v_mov_b32_e32 v230, 53
	ds_write2_b64 v210, v[6:7], v[8:9] offset1:1
	s_waitcnt lgkmcnt(0)
	s_barrier
	buffer_gl0_inv
	ds_read2_b64 v[222:225], v1 offset0:106 offset1:107
	s_cmp_lt_i32 s8, 55
	s_cbranch_scc1 .LBB108_1115
; %bb.1113:
	v_add3_u32 v231, v253, 0, 0x360
	v_mov_b32_e32 v230, 53
	s_mov_b32 s1, 54
	s_inst_prefetch 0x1
	.p2align	6
.LBB108_1114:                           ; =>This Inner Loop Header: Depth=1
	s_waitcnt lgkmcnt(0)
	v_cmp_gt_f64_e32 vcc_lo, 0, v[224:225]
	v_cmp_gt_f64_e64 s0, 0, v[222:223]
	ds_read2_b64 v[237:240], v231 offset1:1
	v_xor_b32_e32 v211, 0x80000000, v223
	v_xor_b32_e32 v213, 0x80000000, v225
	v_mov_b32_e32 v210, v222
	v_mov_b32_e32 v212, v224
	v_add_nc_u32_e32 v231, 16, v231
	s_waitcnt lgkmcnt(0)
	v_xor_b32_e32 v215, 0x80000000, v240
	v_cndmask_b32_e64 v211, v223, v211, s0
	v_cndmask_b32_e32 v213, v225, v213, vcc_lo
	v_cmp_gt_f64_e32 vcc_lo, 0, v[239:240]
	v_cmp_gt_f64_e64 s0, 0, v[237:238]
	v_mov_b32_e32 v214, v239
	v_add_f64 v[210:211], v[210:211], v[212:213]
	v_xor_b32_e32 v213, 0x80000000, v238
	v_mov_b32_e32 v212, v237
	v_cndmask_b32_e32 v215, v240, v215, vcc_lo
	v_cndmask_b32_e64 v213, v238, v213, s0
	v_add_f64 v[212:213], v[212:213], v[214:215]
	v_cmp_lt_f64_e32 vcc_lo, v[210:211], v[212:213]
	v_cndmask_b32_e32 v223, v223, v238, vcc_lo
	v_cndmask_b32_e32 v222, v222, v237, vcc_lo
	v_cndmask_b32_e32 v225, v225, v240, vcc_lo
	v_cndmask_b32_e32 v224, v224, v239, vcc_lo
	v_cndmask_b32_e64 v230, v230, s1, vcc_lo
	s_add_i32 s1, s1, 1
	s_cmp_lg_u32 s8, s1
	s_cbranch_scc1 .LBB108_1114
.LBB108_1115:
	s_inst_prefetch 0x2
	s_waitcnt lgkmcnt(0)
	v_cmp_eq_f64_e32 vcc_lo, 0, v[222:223]
	v_cmp_eq_f64_e64 s0, 0, v[224:225]
	s_and_b32 s0, vcc_lo, s0
	s_and_saveexec_b32 s1, s0
	s_xor_b32 s0, exec_lo, s1
; %bb.1116:
	v_cmp_ne_u32_e32 vcc_lo, 0, v235
	v_cndmask_b32_e32 v235, 54, v235, vcc_lo
; %bb.1117:
	s_andn2_saveexec_b32 s0, s0
	s_cbranch_execz .LBB108_1123
; %bb.1118:
	v_cmp_ngt_f64_e64 s1, |v[222:223]|, |v[224:225]|
	s_and_saveexec_b32 s7, s1
	s_xor_b32 s1, exec_lo, s7
	s_cbranch_execz .LBB108_1120
; %bb.1119:
	v_div_scale_f64 v[210:211], null, v[224:225], v[224:225], v[222:223]
	v_div_scale_f64 v[216:217], vcc_lo, v[222:223], v[224:225], v[222:223]
	v_rcp_f64_e32 v[212:213], v[210:211]
	v_fma_f64 v[214:215], -v[210:211], v[212:213], 1.0
	v_fma_f64 v[212:213], v[212:213], v[214:215], v[212:213]
	v_fma_f64 v[214:215], -v[210:211], v[212:213], 1.0
	v_fma_f64 v[212:213], v[212:213], v[214:215], v[212:213]
	v_mul_f64 v[214:215], v[216:217], v[212:213]
	v_fma_f64 v[210:211], -v[210:211], v[214:215], v[216:217]
	v_div_fmas_f64 v[210:211], v[210:211], v[212:213], v[214:215]
	v_div_fixup_f64 v[210:211], v[210:211], v[224:225], v[222:223]
	v_fma_f64 v[212:213], v[222:223], v[210:211], v[224:225]
	v_div_scale_f64 v[214:215], null, v[212:213], v[212:213], 1.0
	v_rcp_f64_e32 v[216:217], v[214:215]
	v_fma_f64 v[222:223], -v[214:215], v[216:217], 1.0
	v_fma_f64 v[216:217], v[216:217], v[222:223], v[216:217]
	v_fma_f64 v[222:223], -v[214:215], v[216:217], 1.0
	v_fma_f64 v[216:217], v[216:217], v[222:223], v[216:217]
	v_div_scale_f64 v[222:223], vcc_lo, 1.0, v[212:213], 1.0
	v_mul_f64 v[224:225], v[222:223], v[216:217]
	v_fma_f64 v[214:215], -v[214:215], v[224:225], v[222:223]
	v_div_fmas_f64 v[214:215], v[214:215], v[216:217], v[224:225]
	v_div_fixup_f64 v[224:225], v[214:215], v[212:213], 1.0
	v_mul_f64 v[222:223], v[210:211], v[224:225]
	v_xor_b32_e32 v225, 0x80000000, v225
.LBB108_1120:
	s_andn2_saveexec_b32 s1, s1
	s_cbranch_execz .LBB108_1122
; %bb.1121:
	v_div_scale_f64 v[210:211], null, v[222:223], v[222:223], v[224:225]
	v_div_scale_f64 v[216:217], vcc_lo, v[224:225], v[222:223], v[224:225]
	v_rcp_f64_e32 v[212:213], v[210:211]
	v_fma_f64 v[214:215], -v[210:211], v[212:213], 1.0
	v_fma_f64 v[212:213], v[212:213], v[214:215], v[212:213]
	v_fma_f64 v[214:215], -v[210:211], v[212:213], 1.0
	v_fma_f64 v[212:213], v[212:213], v[214:215], v[212:213]
	v_mul_f64 v[214:215], v[216:217], v[212:213]
	v_fma_f64 v[210:211], -v[210:211], v[214:215], v[216:217]
	v_div_fmas_f64 v[210:211], v[210:211], v[212:213], v[214:215]
	v_div_fixup_f64 v[210:211], v[210:211], v[222:223], v[224:225]
	v_fma_f64 v[212:213], v[224:225], v[210:211], v[222:223]
	v_div_scale_f64 v[214:215], null, v[212:213], v[212:213], 1.0
	v_rcp_f64_e32 v[216:217], v[214:215]
	v_fma_f64 v[222:223], -v[214:215], v[216:217], 1.0
	v_fma_f64 v[216:217], v[216:217], v[222:223], v[216:217]
	v_fma_f64 v[222:223], -v[214:215], v[216:217], 1.0
	v_fma_f64 v[216:217], v[216:217], v[222:223], v[216:217]
	v_div_scale_f64 v[222:223], vcc_lo, 1.0, v[212:213], 1.0
	v_mul_f64 v[224:225], v[222:223], v[216:217]
	v_fma_f64 v[214:215], -v[214:215], v[224:225], v[222:223]
	v_div_fmas_f64 v[214:215], v[214:215], v[216:217], v[224:225]
	v_div_fixup_f64 v[222:223], v[214:215], v[212:213], 1.0
	v_mul_f64 v[224:225], v[210:211], -v[222:223]
.LBB108_1122:
	s_or_b32 exec_lo, exec_lo, s1
.LBB108_1123:
	s_or_b32 exec_lo, exec_lo, s0
	s_mov_b32 s0, exec_lo
	v_cmpx_ne_u32_e64 v236, v230
	s_xor_b32 s0, exec_lo, s0
	s_cbranch_execz .LBB108_1129
; %bb.1124:
	s_mov_b32 s1, exec_lo
	v_cmpx_eq_u32_e32 53, v236
	s_cbranch_execz .LBB108_1128
; %bb.1125:
	v_cmp_ne_u32_e32 vcc_lo, 53, v230
	s_xor_b32 s7, s16, -1
	s_and_b32 s9, s7, vcc_lo
	s_and_saveexec_b32 s7, s9
	s_cbranch_execz .LBB108_1127
; %bb.1126:
	v_ashrrev_i32_e32 v231, 31, v230
	v_lshlrev_b64 v[210:211], 2, v[230:231]
	v_add_co_u32 v210, vcc_lo, v218, v210
	v_add_co_ci_u32_e64 v211, null, v219, v211, vcc_lo
	s_clause 0x1
	global_load_dword v0, v[210:211], off
	global_load_dword v212, v[218:219], off offset:212
	s_waitcnt vmcnt(1)
	global_store_dword v[218:219], v0, off offset:212
	s_waitcnt vmcnt(0)
	global_store_dword v[210:211], v212, off
.LBB108_1127:
	s_or_b32 exec_lo, exec_lo, s7
	v_mov_b32_e32 v236, v230
	v_mov_b32_e32 v0, v230
.LBB108_1128:
	s_or_b32 exec_lo, exec_lo, s1
.LBB108_1129:
	s_andn2_saveexec_b32 s0, s0
; %bb.1130:
	v_mov_b32_e32 v236, 53
	ds_write2_b64 v1, v[2:3], v[4:5] offset0:108 offset1:109
; %bb.1131:
	s_or_b32 exec_lo, exec_lo, s0
	s_mov_b32 s0, exec_lo
	s_waitcnt lgkmcnt(0)
	s_waitcnt_vscnt null, 0x0
	s_barrier
	buffer_gl0_inv
	v_cmpx_lt_i32_e32 53, v236
	s_cbranch_execz .LBB108_1133
; %bb.1132:
	v_mul_f64 v[210:211], v[222:223], v[8:9]
	v_mul_f64 v[8:9], v[224:225], v[8:9]
	ds_read2_b64 v[237:240], v1 offset0:108 offset1:109
	v_fma_f64 v[210:211], v[224:225], v[6:7], v[210:211]
	v_fma_f64 v[6:7], v[222:223], v[6:7], -v[8:9]
	s_waitcnt lgkmcnt(0)
	v_mul_f64 v[8:9], v[239:240], v[210:211]
	v_mul_f64 v[212:213], v[237:238], v[210:211]
	v_fma_f64 v[8:9], v[237:238], v[6:7], -v[8:9]
	v_fma_f64 v[212:213], v[239:240], v[6:7], v[212:213]
	v_add_f64 v[2:3], v[2:3], -v[8:9]
	v_add_f64 v[4:5], v[4:5], -v[212:213]
	v_mov_b32_e32 v8, v210
	v_mov_b32_e32 v9, v211
.LBB108_1133:
	s_or_b32 exec_lo, exec_lo, s0
	v_lshl_add_u32 v210, v236, 4, v1
	s_barrier
	buffer_gl0_inv
	v_mov_b32_e32 v230, 54
	ds_write2_b64 v210, v[2:3], v[4:5] offset1:1
	s_waitcnt lgkmcnt(0)
	s_barrier
	buffer_gl0_inv
	ds_read2_b64 v[222:225], v1 offset0:108 offset1:109
	s_cmp_lt_i32 s8, 56
	s_cbranch_scc1 .LBB108_1136
; %bb.1134:
	v_add3_u32 v1, v253, 0, 0x370
	v_mov_b32_e32 v230, 54
	s_mov_b32 s1, 55
	s_inst_prefetch 0x1
	.p2align	6
.LBB108_1135:                           ; =>This Inner Loop Header: Depth=1
	s_waitcnt lgkmcnt(0)
	v_cmp_gt_f64_e32 vcc_lo, 0, v[224:225]
	v_cmp_gt_f64_e64 s0, 0, v[222:223]
	ds_read2_b64 v[237:240], v1 offset1:1
	v_xor_b32_e32 v211, 0x80000000, v223
	v_xor_b32_e32 v213, 0x80000000, v225
	v_mov_b32_e32 v210, v222
	v_mov_b32_e32 v212, v224
	v_add_nc_u32_e32 v1, 16, v1
	s_waitcnt lgkmcnt(0)
	v_xor_b32_e32 v215, 0x80000000, v240
	v_cndmask_b32_e64 v211, v223, v211, s0
	v_cndmask_b32_e32 v213, v225, v213, vcc_lo
	v_cmp_gt_f64_e32 vcc_lo, 0, v[239:240]
	v_cmp_gt_f64_e64 s0, 0, v[237:238]
	v_mov_b32_e32 v214, v239
	v_add_f64 v[210:211], v[210:211], v[212:213]
	v_xor_b32_e32 v213, 0x80000000, v238
	v_mov_b32_e32 v212, v237
	v_cndmask_b32_e32 v215, v240, v215, vcc_lo
	v_cndmask_b32_e64 v213, v238, v213, s0
	v_add_f64 v[212:213], v[212:213], v[214:215]
	v_cmp_lt_f64_e32 vcc_lo, v[210:211], v[212:213]
	v_cndmask_b32_e32 v223, v223, v238, vcc_lo
	v_cndmask_b32_e32 v222, v222, v237, vcc_lo
	;; [unrolled: 1-line block ×4, first 2 shown]
	v_cndmask_b32_e64 v230, v230, s1, vcc_lo
	s_add_i32 s1, s1, 1
	s_cmp_lg_u32 s8, s1
	s_cbranch_scc1 .LBB108_1135
.LBB108_1136:
	s_inst_prefetch 0x2
	s_waitcnt lgkmcnt(0)
	v_cmp_eq_f64_e32 vcc_lo, 0, v[222:223]
	v_cmp_eq_f64_e64 s0, 0, v[224:225]
	s_and_b32 s0, vcc_lo, s0
	s_and_saveexec_b32 s1, s0
	s_xor_b32 s0, exec_lo, s1
; %bb.1137:
	v_cmp_ne_u32_e32 vcc_lo, 0, v235
	v_cndmask_b32_e32 v235, 55, v235, vcc_lo
; %bb.1138:
	s_andn2_saveexec_b32 s0, s0
	s_cbranch_execz .LBB108_1144
; %bb.1139:
	v_cmp_ngt_f64_e64 s1, |v[222:223]|, |v[224:225]|
	s_and_saveexec_b32 s7, s1
	s_xor_b32 s1, exec_lo, s7
	s_cbranch_execz .LBB108_1141
; %bb.1140:
	v_div_scale_f64 v[210:211], null, v[224:225], v[224:225], v[222:223]
	v_div_scale_f64 v[216:217], vcc_lo, v[222:223], v[224:225], v[222:223]
	v_rcp_f64_e32 v[212:213], v[210:211]
	v_fma_f64 v[214:215], -v[210:211], v[212:213], 1.0
	v_fma_f64 v[212:213], v[212:213], v[214:215], v[212:213]
	v_fma_f64 v[214:215], -v[210:211], v[212:213], 1.0
	v_fma_f64 v[212:213], v[212:213], v[214:215], v[212:213]
	v_mul_f64 v[214:215], v[216:217], v[212:213]
	v_fma_f64 v[210:211], -v[210:211], v[214:215], v[216:217]
	v_div_fmas_f64 v[210:211], v[210:211], v[212:213], v[214:215]
	v_div_fixup_f64 v[210:211], v[210:211], v[224:225], v[222:223]
	v_fma_f64 v[212:213], v[222:223], v[210:211], v[224:225]
	v_div_scale_f64 v[214:215], null, v[212:213], v[212:213], 1.0
	v_rcp_f64_e32 v[216:217], v[214:215]
	v_fma_f64 v[222:223], -v[214:215], v[216:217], 1.0
	v_fma_f64 v[216:217], v[216:217], v[222:223], v[216:217]
	v_fma_f64 v[222:223], -v[214:215], v[216:217], 1.0
	v_fma_f64 v[216:217], v[216:217], v[222:223], v[216:217]
	v_div_scale_f64 v[222:223], vcc_lo, 1.0, v[212:213], 1.0
	v_mul_f64 v[224:225], v[222:223], v[216:217]
	v_fma_f64 v[214:215], -v[214:215], v[224:225], v[222:223]
	v_div_fmas_f64 v[214:215], v[214:215], v[216:217], v[224:225]
	v_div_fixup_f64 v[224:225], v[214:215], v[212:213], 1.0
	v_mul_f64 v[222:223], v[210:211], v[224:225]
	v_xor_b32_e32 v225, 0x80000000, v225
.LBB108_1141:
	s_andn2_saveexec_b32 s1, s1
	s_cbranch_execz .LBB108_1143
; %bb.1142:
	v_div_scale_f64 v[210:211], null, v[222:223], v[222:223], v[224:225]
	v_div_scale_f64 v[216:217], vcc_lo, v[224:225], v[222:223], v[224:225]
	v_rcp_f64_e32 v[212:213], v[210:211]
	v_fma_f64 v[214:215], -v[210:211], v[212:213], 1.0
	v_fma_f64 v[212:213], v[212:213], v[214:215], v[212:213]
	v_fma_f64 v[214:215], -v[210:211], v[212:213], 1.0
	v_fma_f64 v[212:213], v[212:213], v[214:215], v[212:213]
	v_mul_f64 v[214:215], v[216:217], v[212:213]
	v_fma_f64 v[210:211], -v[210:211], v[214:215], v[216:217]
	v_div_fmas_f64 v[210:211], v[210:211], v[212:213], v[214:215]
	v_div_fixup_f64 v[210:211], v[210:211], v[222:223], v[224:225]
	v_fma_f64 v[212:213], v[224:225], v[210:211], v[222:223]
	v_div_scale_f64 v[214:215], null, v[212:213], v[212:213], 1.0
	v_rcp_f64_e32 v[216:217], v[214:215]
	v_fma_f64 v[222:223], -v[214:215], v[216:217], 1.0
	v_fma_f64 v[216:217], v[216:217], v[222:223], v[216:217]
	v_fma_f64 v[222:223], -v[214:215], v[216:217], 1.0
	v_fma_f64 v[216:217], v[216:217], v[222:223], v[216:217]
	v_div_scale_f64 v[222:223], vcc_lo, 1.0, v[212:213], 1.0
	v_mul_f64 v[224:225], v[222:223], v[216:217]
	v_fma_f64 v[214:215], -v[214:215], v[224:225], v[222:223]
	v_div_fmas_f64 v[214:215], v[214:215], v[216:217], v[224:225]
	v_div_fixup_f64 v[222:223], v[214:215], v[212:213], 1.0
	v_mul_f64 v[224:225], v[210:211], -v[222:223]
.LBB108_1143:
	s_or_b32 exec_lo, exec_lo, s1
.LBB108_1144:
	s_or_b32 exec_lo, exec_lo, s0
	v_mov_b32_e32 v231, 54
	s_mov_b32 s0, exec_lo
	v_cmpx_ne_u32_e64 v236, v230
	s_cbranch_execz .LBB108_1150
; %bb.1145:
	s_mov_b32 s1, exec_lo
	v_cmpx_eq_u32_e32 54, v236
	s_cbranch_execz .LBB108_1149
; %bb.1146:
	v_cmp_ne_u32_e32 vcc_lo, 54, v230
	s_xor_b32 s7, s16, -1
	s_and_b32 s8, s7, vcc_lo
	s_and_saveexec_b32 s7, s8
	s_cbranch_execz .LBB108_1148
; %bb.1147:
	v_ashrrev_i32_e32 v231, 31, v230
	v_lshlrev_b64 v[0:1], 2, v[230:231]
	v_add_co_u32 v0, vcc_lo, v218, v0
	v_add_co_ci_u32_e64 v1, null, v219, v1, vcc_lo
	s_clause 0x1
	global_load_dword v210, v[0:1], off
	global_load_dword v211, v[218:219], off offset:216
	s_waitcnt vmcnt(1)
	global_store_dword v[218:219], v210, off offset:216
	s_waitcnt vmcnt(0)
	global_store_dword v[0:1], v211, off
.LBB108_1148:
	s_or_b32 exec_lo, exec_lo, s7
	v_mov_b32_e32 v236, v230
	v_mov_b32_e32 v0, v230
.LBB108_1149:
	s_or_b32 exec_lo, exec_lo, s1
	v_mov_b32_e32 v231, v236
.LBB108_1150:
	s_or_b32 exec_lo, exec_lo, s0
	s_mov_b32 s0, exec_lo
	s_waitcnt_vscnt null, 0x0
	s_barrier
	buffer_gl0_inv
	v_cmpx_lt_i32_e32 54, v231
	s_cbranch_execz .LBB108_1152
; %bb.1151:
	v_mul_f64 v[210:211], v[224:225], v[4:5]
	v_mul_f64 v[4:5], v[222:223], v[4:5]
	v_fma_f64 v[210:211], v[222:223], v[2:3], -v[210:211]
	v_fma_f64 v[4:5], v[224:225], v[2:3], v[4:5]
	v_mov_b32_e32 v2, v210
	v_mov_b32_e32 v3, v211
.LBB108_1152:
	s_or_b32 exec_lo, exec_lo, s0
	v_ashrrev_i32_e32 v232, 31, v231
	s_mov_b32 s0, exec_lo
	s_barrier
	buffer_gl0_inv
	v_cmpx_gt_i32_e32 55, v231
	s_cbranch_execz .LBB108_1154
; %bb.1153:
	v_mul_lo_u32 v1, s15, v220
	v_mul_lo_u32 v212, s14, v221
	v_mad_u64_u32 v[210:211], null, s14, v220, 0
	s_lshl_b64 s[8:9], s[12:13], 2
	v_add3_u32 v0, v0, s17, 1
	v_add3_u32 v211, v211, v212, v1
	v_lshlrev_b64 v[210:211], 2, v[210:211]
	v_add_co_u32 v1, vcc_lo, s10, v210
	v_add_co_ci_u32_e64 v212, null, s11, v211, vcc_lo
	v_lshlrev_b64 v[210:211], 2, v[231:232]
	v_add_co_u32 v1, vcc_lo, v1, s8
	v_add_co_ci_u32_e64 v212, null, s9, v212, vcc_lo
	v_add_co_u32 v210, vcc_lo, v1, v210
	v_add_co_ci_u32_e64 v211, null, v212, v211, vcc_lo
	global_store_dword v[210:211], v0, off
.LBB108_1154:
	s_or_b32 exec_lo, exec_lo, s0
	s_mov_b32 s1, exec_lo
	v_cmpx_eq_u32_e32 0, v231
	s_cbranch_execz .LBB108_1157
; %bb.1155:
	v_lshlrev_b64 v[0:1], 2, v[220:221]
	v_cmp_ne_u32_e64 s0, 0, v235
	v_add_co_u32 v0, vcc_lo, s4, v0
	v_add_co_ci_u32_e64 v1, null, s5, v1, vcc_lo
	global_load_dword v210, v[0:1], off
	s_waitcnt vmcnt(0)
	v_cmp_eq_u32_e32 vcc_lo, 0, v210
	s_and_b32 s0, vcc_lo, s0
	s_and_b32 exec_lo, exec_lo, s0
	s_cbranch_execz .LBB108_1157
; %bb.1156:
	v_add_nc_u32_e32 v210, s17, v235
	global_store_dword v[0:1], v210, off
.LBB108_1157:
	s_or_b32 exec_lo, exec_lo, s1
	v_add3_u32 v0, s6, s6, v231
	v_lshlrev_b64 v[210:211], 4, v[231:232]
	v_ashrrev_i32_e32 v1, 31, v0
	v_add_nc_u32_e32 v212, s6, v0
	v_add_co_u32 v210, vcc_lo, v255, v210
	v_add_co_ci_u32_e64 v211, null, v234, v211, vcc_lo
	v_lshlrev_b64 v[0:1], 4, v[0:1]
	v_ashrrev_i32_e32 v213, 31, v212
	v_add_nc_u32_e32 v214, s6, v212
	v_add_co_u32 v216, vcc_lo, v210, s2
	v_add_co_ci_u32_e64 v217, null, s3, v211, vcc_lo
	v_add_co_u32 v0, vcc_lo, v255, v0
	v_ashrrev_i32_e32 v215, 31, v214
	global_store_dwordx4 v[210:211], v[249:252], off
	v_lshlrev_b64 v[210:211], 4, v[212:213]
	v_add_nc_u32_e32 v212, s6, v214
	v_add_co_ci_u32_e64 v1, null, v234, v1, vcc_lo
	global_store_dwordx4 v[216:217], v[245:248], off
	global_store_dwordx4 v[0:1], v[226:229], off
	v_lshlrev_b64 v[0:1], 4, v[214:215]
	v_add_nc_u32_e32 v214, s6, v212
	v_add_co_u32 v210, vcc_lo, v255, v210
	v_ashrrev_i32_e32 v213, 31, v212
	v_add_co_ci_u32_e64 v211, null, v234, v211, vcc_lo
	v_add_nc_u32_e32 v216, s6, v214
	v_add_co_u32 v0, vcc_lo, v255, v0
	v_ashrrev_i32_e32 v215, 31, v214
	v_add_co_ci_u32_e64 v1, null, v234, v1, vcc_lo
	v_ashrrev_i32_e32 v217, 31, v216
	v_lshlrev_b64 v[212:213], 4, v[212:213]
	global_store_dwordx4 v[210:211], v[206:209], off
	global_store_dwordx4 v[0:1], v[202:205], off
	v_lshlrev_b64 v[0:1], 4, v[214:215]
	v_add_nc_u32_e32 v206, s6, v216
	v_lshlrev_b64 v[204:205], 4, v[216:217]
	v_add_co_u32 v202, vcc_lo, v255, v212
	v_add_co_ci_u32_e64 v203, null, v234, v213, vcc_lo
	v_add_co_u32 v0, vcc_lo, v255, v0
	v_add_co_ci_u32_e64 v1, null, v234, v1, vcc_lo
	v_add_co_u32 v204, vcc_lo, v255, v204
	v_add_nc_u32_e32 v208, s6, v206
	v_add_co_ci_u32_e64 v205, null, v234, v205, vcc_lo
	v_ashrrev_i32_e32 v207, 31, v206
	global_store_dwordx4 v[202:203], v[198:201], off
	global_store_dwordx4 v[0:1], v[194:197], off
	global_store_dwordx4 v[204:205], v[190:193], off
	v_add_nc_u32_e32 v190, s6, v208
	v_ashrrev_i32_e32 v209, 31, v208
	v_lshlrev_b64 v[198:199], 4, v[206:207]
	v_add_nc_u32_e32 v194, s6, v190
	v_lshlrev_b64 v[0:1], 4, v[208:209]
	v_ashrrev_i32_e32 v191, 31, v190
	v_add_co_u32 v192, vcc_lo, v255, v198
	v_add_nc_u32_e32 v196, s6, v194
	v_add_co_ci_u32_e64 v193, null, v234, v199, vcc_lo
	v_add_co_u32 v0, vcc_lo, v255, v0
	v_ashrrev_i32_e32 v195, 31, v194
	v_add_co_ci_u32_e64 v1, null, v234, v1, vcc_lo
	v_ashrrev_i32_e32 v197, 31, v196
	v_lshlrev_b64 v[190:191], 4, v[190:191]
	global_store_dwordx4 v[192:193], v[186:189], off
	global_store_dwordx4 v[0:1], v[182:185], off
	v_lshlrev_b64 v[0:1], 4, v[194:195]
	v_add_nc_u32_e32 v186, s6, v196
	v_lshlrev_b64 v[184:185], 4, v[196:197]
	v_add_co_u32 v182, vcc_lo, v255, v190
	v_add_co_ci_u32_e64 v183, null, v234, v191, vcc_lo
	v_add_co_u32 v0, vcc_lo, v255, v0
	v_add_co_ci_u32_e64 v1, null, v234, v1, vcc_lo
	v_add_co_u32 v184, vcc_lo, v255, v184
	v_add_nc_u32_e32 v188, s6, v186
	v_add_co_ci_u32_e64 v185, null, v234, v185, vcc_lo
	v_ashrrev_i32_e32 v187, 31, v186
	global_store_dwordx4 v[182:183], v[178:181], off
	global_store_dwordx4 v[0:1], v[174:177], off
	global_store_dwordx4 v[184:185], v[170:173], off
	v_add_nc_u32_e32 v170, s6, v188
	v_ashrrev_i32_e32 v189, 31, v188
	v_lshlrev_b64 v[178:179], 4, v[186:187]
	v_add_nc_u32_e32 v174, s6, v170
	v_lshlrev_b64 v[0:1], 4, v[188:189]
	v_ashrrev_i32_e32 v171, 31, v170
	v_add_co_u32 v172, vcc_lo, v255, v178
	v_add_nc_u32_e32 v176, s6, v174
	v_add_co_ci_u32_e64 v173, null, v234, v179, vcc_lo
	;; [unrolled: 30-line block ×8, first 2 shown]
	v_add_co_u32 v0, vcc_lo, v255, v0
	v_ashrrev_i32_e32 v55, 31, v54
	v_add_co_ci_u32_e64 v1, null, v234, v1, vcc_lo
	v_ashrrev_i32_e32 v57, 31, v56
	v_lshlrev_b64 v[50:51], 4, v[50:51]
	global_store_dwordx4 v[52:53], v[46:49], off
	global_store_dwordx4 v[0:1], v[42:45], off
	v_lshlrev_b64 v[0:1], 4, v[54:55]
	v_add_nc_u32_e32 v46, s6, v56
	v_lshlrev_b64 v[44:45], 4, v[56:57]
	v_add_co_u32 v42, vcc_lo, v255, v50
	v_add_co_ci_u32_e64 v43, null, v234, v51, vcc_lo
	v_add_co_u32 v0, vcc_lo, v255, v0
	v_add_nc_u32_e32 v48, s6, v46
	v_add_co_ci_u32_e64 v1, null, v234, v1, vcc_lo
	v_add_co_u32 v44, vcc_lo, v255, v44
	v_ashrrev_i32_e32 v47, 31, v46
	v_add_co_ci_u32_e64 v45, null, v234, v45, vcc_lo
	v_ashrrev_i32_e32 v49, 31, v48
	global_store_dwordx4 v[42:43], v[38:41], off
	v_lshlrev_b64 v[38:39], 4, v[46:47]
	global_store_dwordx4 v[0:1], v[34:37], off
	global_store_dwordx4 v[44:45], v[30:33], off
	v_add_nc_u32_e32 v30, s6, v48
	v_lshlrev_b64 v[0:1], 4, v[48:49]
	v_add_co_u32 v32, vcc_lo, v255, v38
	v_add_nc_u32_e32 v34, s6, v30
	v_add_co_ci_u32_e64 v33, null, v234, v39, vcc_lo
	v_add_co_u32 v0, vcc_lo, v255, v0
	v_add_co_ci_u32_e64 v1, null, v234, v1, vcc_lo
	v_add_nc_u32_e32 v36, s6, v34
	v_ashrrev_i32_e32 v31, 31, v30
	global_store_dwordx4 v[32:33], v[26:29], off
	global_store_dwordx4 v[0:1], v[22:25], off
	v_ashrrev_i32_e32 v35, 31, v34
	v_add_nc_u32_e32 v22, s6, v36
	v_lshlrev_b64 v[26:27], 4, v[30:31]
	v_ashrrev_i32_e32 v37, 31, v36
	v_lshlrev_b64 v[0:1], 4, v[34:35]
	v_add_nc_u32_e32 v28, s6, v22
	v_ashrrev_i32_e32 v23, 31, v22
	v_add_co_u32 v24, vcc_lo, v255, v26
	v_add_co_ci_u32_e64 v25, null, v234, v27, vcc_lo
	v_ashrrev_i32_e32 v29, 31, v28
	v_lshlrev_b64 v[26:27], 4, v[36:37]
	v_lshlrev_b64 v[22:23], 4, v[22:23]
	v_add_co_u32 v0, vcc_lo, v255, v0
	v_lshlrev_b64 v[28:29], 4, v[28:29]
	v_add_co_ci_u32_e64 v1, null, v234, v1, vcc_lo
	v_add_co_u32 v26, vcc_lo, v255, v26
	v_add_co_ci_u32_e64 v27, null, v234, v27, vcc_lo
	v_add_co_u32 v22, vcc_lo, v255, v22
	;; [unrolled: 2-line block ×3, first 2 shown]
	v_add_co_ci_u32_e64 v29, null, v234, v29, vcc_lo
	global_store_dwordx4 v[24:25], v[18:21], off
	global_store_dwordx4 v[0:1], v[14:17], off
	;; [unrolled: 1-line block ×5, first 2 shown]
.LBB108_1158:
	s_endpgm
	.section	.rodata,"a",@progbits
	.p2align	6, 0x0
	.amdhsa_kernel _ZN9rocsolver6v33100L18getf2_small_kernelILi55E19rocblas_complex_numIdEiiPS3_EEvT1_T3_lS5_lPS5_llPT2_S5_S5_S7_l
		.amdhsa_group_segment_fixed_size 0
		.amdhsa_private_segment_fixed_size 44
		.amdhsa_kernarg_size 352
		.amdhsa_user_sgpr_count 6
		.amdhsa_user_sgpr_private_segment_buffer 1
		.amdhsa_user_sgpr_dispatch_ptr 0
		.amdhsa_user_sgpr_queue_ptr 0
		.amdhsa_user_sgpr_kernarg_segment_ptr 1
		.amdhsa_user_sgpr_dispatch_id 0
		.amdhsa_user_sgpr_flat_scratch_init 0
		.amdhsa_user_sgpr_private_segment_size 0
		.amdhsa_wavefront_size32 1
		.amdhsa_uses_dynamic_stack 0
		.amdhsa_system_sgpr_private_segment_wavefront_offset 1
		.amdhsa_system_sgpr_workgroup_id_x 1
		.amdhsa_system_sgpr_workgroup_id_y 1
		.amdhsa_system_sgpr_workgroup_id_z 0
		.amdhsa_system_sgpr_workgroup_info 0
		.amdhsa_system_vgpr_workitem_id 1
		.amdhsa_next_free_vgpr 256
		.amdhsa_next_free_sgpr 24
		.amdhsa_reserve_vcc 1
		.amdhsa_reserve_flat_scratch 0
		.amdhsa_float_round_mode_32 0
		.amdhsa_float_round_mode_16_64 0
		.amdhsa_float_denorm_mode_32 3
		.amdhsa_float_denorm_mode_16_64 3
		.amdhsa_dx10_clamp 1
		.amdhsa_ieee_mode 1
		.amdhsa_fp16_overflow 0
		.amdhsa_workgroup_processor_mode 1
		.amdhsa_memory_ordered 1
		.amdhsa_forward_progress 1
		.amdhsa_shared_vgpr_count 0
		.amdhsa_exception_fp_ieee_invalid_op 0
		.amdhsa_exception_fp_denorm_src 0
		.amdhsa_exception_fp_ieee_div_zero 0
		.amdhsa_exception_fp_ieee_overflow 0
		.amdhsa_exception_fp_ieee_underflow 0
		.amdhsa_exception_fp_ieee_inexact 0
		.amdhsa_exception_int_div_zero 0
	.end_amdhsa_kernel
	.section	.text._ZN9rocsolver6v33100L18getf2_small_kernelILi55E19rocblas_complex_numIdEiiPS3_EEvT1_T3_lS5_lPS5_llPT2_S5_S5_S7_l,"axG",@progbits,_ZN9rocsolver6v33100L18getf2_small_kernelILi55E19rocblas_complex_numIdEiiPS3_EEvT1_T3_lS5_lPS5_llPT2_S5_S5_S7_l,comdat
.Lfunc_end108:
	.size	_ZN9rocsolver6v33100L18getf2_small_kernelILi55E19rocblas_complex_numIdEiiPS3_EEvT1_T3_lS5_lPS5_llPT2_S5_S5_S7_l, .Lfunc_end108-_ZN9rocsolver6v33100L18getf2_small_kernelILi55E19rocblas_complex_numIdEiiPS3_EEvT1_T3_lS5_lPS5_llPT2_S5_S5_S7_l
                                        ; -- End function
	.set _ZN9rocsolver6v33100L18getf2_small_kernelILi55E19rocblas_complex_numIdEiiPS3_EEvT1_T3_lS5_lPS5_llPT2_S5_S5_S7_l.num_vgpr, 256
	.set _ZN9rocsolver6v33100L18getf2_small_kernelILi55E19rocblas_complex_numIdEiiPS3_EEvT1_T3_lS5_lPS5_llPT2_S5_S5_S7_l.num_agpr, 0
	.set _ZN9rocsolver6v33100L18getf2_small_kernelILi55E19rocblas_complex_numIdEiiPS3_EEvT1_T3_lS5_lPS5_llPT2_S5_S5_S7_l.numbered_sgpr, 24
	.set _ZN9rocsolver6v33100L18getf2_small_kernelILi55E19rocblas_complex_numIdEiiPS3_EEvT1_T3_lS5_lPS5_llPT2_S5_S5_S7_l.num_named_barrier, 0
	.set _ZN9rocsolver6v33100L18getf2_small_kernelILi55E19rocblas_complex_numIdEiiPS3_EEvT1_T3_lS5_lPS5_llPT2_S5_S5_S7_l.private_seg_size, 44
	.set _ZN9rocsolver6v33100L18getf2_small_kernelILi55E19rocblas_complex_numIdEiiPS3_EEvT1_T3_lS5_lPS5_llPT2_S5_S5_S7_l.uses_vcc, 1
	.set _ZN9rocsolver6v33100L18getf2_small_kernelILi55E19rocblas_complex_numIdEiiPS3_EEvT1_T3_lS5_lPS5_llPT2_S5_S5_S7_l.uses_flat_scratch, 0
	.set _ZN9rocsolver6v33100L18getf2_small_kernelILi55E19rocblas_complex_numIdEiiPS3_EEvT1_T3_lS5_lPS5_llPT2_S5_S5_S7_l.has_dyn_sized_stack, 0
	.set _ZN9rocsolver6v33100L18getf2_small_kernelILi55E19rocblas_complex_numIdEiiPS3_EEvT1_T3_lS5_lPS5_llPT2_S5_S5_S7_l.has_recursion, 0
	.set _ZN9rocsolver6v33100L18getf2_small_kernelILi55E19rocblas_complex_numIdEiiPS3_EEvT1_T3_lS5_lPS5_llPT2_S5_S5_S7_l.has_indirect_call, 0
	.section	.AMDGPU.csdata,"",@progbits
; Kernel info:
; codeLenInByte = 160136
; TotalNumSgprs: 26
; NumVgprs: 256
; ScratchSize: 44
; MemoryBound: 0
; FloatMode: 240
; IeeeMode: 1
; LDSByteSize: 0 bytes/workgroup (compile time only)
; SGPRBlocks: 0
; VGPRBlocks: 31
; NumSGPRsForWavesPerEU: 26
; NumVGPRsForWavesPerEU: 256
; Occupancy: 4
; WaveLimiterHint : 0
; COMPUTE_PGM_RSRC2:SCRATCH_EN: 1
; COMPUTE_PGM_RSRC2:USER_SGPR: 6
; COMPUTE_PGM_RSRC2:TRAP_HANDLER: 0
; COMPUTE_PGM_RSRC2:TGID_X_EN: 1
; COMPUTE_PGM_RSRC2:TGID_Y_EN: 1
; COMPUTE_PGM_RSRC2:TGID_Z_EN: 0
; COMPUTE_PGM_RSRC2:TIDIG_COMP_CNT: 1
	.section	.text._ZN9rocsolver6v33100L23getf2_npvt_small_kernelILi55E19rocblas_complex_numIdEiiPS3_EEvT1_T3_lS5_lPT2_S5_S5_,"axG",@progbits,_ZN9rocsolver6v33100L23getf2_npvt_small_kernelILi55E19rocblas_complex_numIdEiiPS3_EEvT1_T3_lS5_lPT2_S5_S5_,comdat
	.globl	_ZN9rocsolver6v33100L23getf2_npvt_small_kernelILi55E19rocblas_complex_numIdEiiPS3_EEvT1_T3_lS5_lPT2_S5_S5_ ; -- Begin function _ZN9rocsolver6v33100L23getf2_npvt_small_kernelILi55E19rocblas_complex_numIdEiiPS3_EEvT1_T3_lS5_lPT2_S5_S5_
	.p2align	8
	.type	_ZN9rocsolver6v33100L23getf2_npvt_small_kernelILi55E19rocblas_complex_numIdEiiPS3_EEvT1_T3_lS5_lPT2_S5_S5_,@function
_ZN9rocsolver6v33100L23getf2_npvt_small_kernelILi55E19rocblas_complex_numIdEiiPS3_EEvT1_T3_lS5_lPT2_S5_S5_: ; @_ZN9rocsolver6v33100L23getf2_npvt_small_kernelILi55E19rocblas_complex_numIdEiiPS3_EEvT1_T3_lS5_lPT2_S5_S5_
; %bb.0:
	s_mov_b64 s[18:19], s[2:3]
	s_mov_b64 s[16:17], s[0:1]
	s_clause 0x1
	s_load_dword s0, s[4:5], 0x44
	s_load_dwordx2 s[12:13], s[4:5], 0x30
	s_add_u32 s16, s16, s8
	s_addc_u32 s17, s17, 0
	s_waitcnt lgkmcnt(0)
	s_lshr_b32 s14, s0, 16
	s_mov_b32 s0, exec_lo
	v_mad_u64_u32 v[199:200], null, s7, s14, v[1:2]
	v_cmpx_gt_i32_e64 s12, v199
	s_cbranch_execnz .LBB109_1
; %bb.501:
	s_getpc_b64 s[20:21]
.Lpost_getpc11:
	s_add_u32 s20, s20, (.LBB109_500-.Lpost_getpc11)&4294967295
	s_addc_u32 s21, s21, (.LBB109_500-.Lpost_getpc11)>>32
	s_setpc_b64 s[20:21]
.LBB109_1:
	s_clause 0x2
	s_load_dwordx4 s[8:11], s[4:5], 0x20
	s_load_dword s6, s[4:5], 0x18
	s_load_dwordx4 s[0:3], s[4:5], 0x8
	v_ashrrev_i32_e32 v200, 31, v199
	v_mad_u32_u24 v253, 0x370, v1, 0
	v_lshlrev_b32_e32 v1, 4, v1
	s_mulk_i32 s14, 0x370
	v_add3_u32 v255, 0, s14, v1
	s_waitcnt lgkmcnt(0)
	v_mul_lo_u32 v5, s9, v199
	v_mul_lo_u32 v7, s8, v200
	v_mad_u64_u32 v[2:3], null, s8, v199, 0
	v_add3_u32 v4, s6, s6, v0
	s_lshl_b64 s[2:3], s[2:3], 4
	s_ashr_i32 s7, s6, 31
	v_add_nc_u32_e32 v6, s6, v4
	v_add3_u32 v3, v3, v7, v5
	v_ashrrev_i32_e32 v5, 31, v4
	v_add_nc_u32_e32 v8, s6, v6
	v_lshlrev_b64 v[2:3], 4, v[2:3]
	v_ashrrev_i32_e32 v7, 31, v6
	v_lshlrev_b64 v[4:5], 4, v[4:5]
	v_add_nc_u32_e32 v10, s6, v8
	v_ashrrev_i32_e32 v9, 31, v8
	v_add_co_u32 v2, vcc_lo, s0, v2
	v_add_co_ci_u32_e64 v3, null, s1, v3, vcc_lo
	v_add_nc_u32_e32 v12, s6, v10
	v_add_co_u32 v2, vcc_lo, v2, s2
	v_lshlrev_b64 v[6:7], 4, v[6:7]
	v_ashrrev_i32_e32 v11, 31, v10
	v_add_co_ci_u32_e64 v3, null, s3, v3, vcc_lo
	v_add_nc_u32_e32 v14, s6, v12
	v_lshlrev_b64 v[8:9], 4, v[8:9]
	v_ashrrev_i32_e32 v13, 31, v12
	v_add_co_u32 v72, vcc_lo, v2, v4
	v_lshlrev_b64 v[10:11], 4, v[10:11]
	v_add_co_ci_u32_e64 v73, null, v3, v5, vcc_lo
	v_add_co_u32 v16, vcc_lo, v2, v6
	v_add_nc_u32_e32 v6, s6, v14
	v_lshlrev_b64 v[4:5], 4, v[12:13]
	v_ashrrev_i32_e32 v15, 31, v14
	v_add_co_ci_u32_e64 v17, null, v3, v7, vcc_lo
	v_add_co_u32 v207, vcc_lo, v2, v8
	v_add_co_ci_u32_e64 v208, null, v3, v9, vcc_lo
	v_add_co_u32 v74, vcc_lo, v2, v10
	v_ashrrev_i32_e32 v7, 31, v6
	v_add_nc_u32_e32 v10, s6, v6
	v_lshlrev_b64 v[8:9], 4, v[14:15]
	v_add_co_ci_u32_e64 v75, null, v3, v11, vcc_lo
	v_add_co_u32 v12, vcc_lo, v2, v4
	v_add_co_ci_u32_e64 v13, null, v3, v5, vcc_lo
	v_lshlrev_b64 v[4:5], 4, v[6:7]
	v_ashrrev_i32_e32 v11, 31, v10
	v_add_nc_u32_e32 v6, s6, v10
	v_add_co_u32 v197, vcc_lo, v2, v8
	v_add_co_ci_u32_e64 v198, null, v3, v9, vcc_lo
	v_lshlrev_b64 v[8:9], 4, v[10:11]
	v_ashrrev_i32_e32 v7, 31, v6
	v_add_nc_u32_e32 v10, s6, v6
	;; [unrolled: 5-line block ×44, first 2 shown]
	v_add_co_u32 v229, vcc_lo, v2, v4
	v_add_co_ci_u32_e64 v230, null, v3, v5, vcc_lo
	v_lshlrev_b64 v[4:5], 4, v[6:7]
	v_add_nc_u32_e32 v6, s6, v10
	v_ashrrev_i32_e32 v11, 31, v10
	v_add_co_u32 v231, vcc_lo, v2, v8
	v_add_co_ci_u32_e64 v232, null, v3, v9, vcc_lo
	v_ashrrev_i32_e32 v7, 31, v6
	v_lshlrev_b64 v[8:9], 4, v[10:11]
	v_add_co_u32 v10, vcc_lo, v2, v4
	v_add_co_ci_u32_e64 v11, null, v3, v5, vcc_lo
	v_lshlrev_b64 v[4:5], 4, v[6:7]
	v_lshlrev_b32_e32 v6, 4, v0
	v_add_co_u32 v7, vcc_lo, v2, v8
	v_add_co_ci_u32_e64 v8, null, v3, v9, vcc_lo
	v_add_co_u32 v233, vcc_lo, v2, v4
	v_add_co_ci_u32_e64 v234, null, v3, v5, vcc_lo
	;; [unrolled: 2-line block ×3, first 2 shown]
	s_lshl_b64 s[0:1], s[6:7], 4
	v_add_co_u32 v247, vcc_lo, v245, s0
	global_load_dwordx4 v[1:4], v[245:246], off
	v_add_co_ci_u32_e64 v248, null, s1, v246, vcc_lo
	v_cmp_ne_u32_e64 s1, 0, v0
	v_cmp_eq_u32_e64 s0, 0, v0
	s_waitcnt vmcnt(0)
	buffer_store_dword v1, off, s[16:19], 0 offset:48 ; 4-byte Folded Spill
	buffer_store_dword v2, off, s[16:19], 0 offset:52 ; 4-byte Folded Spill
	;; [unrolled: 1-line block ×4, first 2 shown]
	global_load_dwordx4 v[1:4], v[247:248], off
	s_waitcnt vmcnt(0)
	buffer_store_dword v1, off, s[16:19], 0 offset:32 ; 4-byte Folded Spill
	buffer_store_dword v2, off, s[16:19], 0 offset:36 ; 4-byte Folded Spill
	buffer_store_dword v3, off, s[16:19], 0 offset:40 ; 4-byte Folded Spill
	buffer_store_dword v4, off, s[16:19], 0 offset:44 ; 4-byte Folded Spill
	buffer_store_dword v72, off, s[16:19], 0 offset:1216 ; 4-byte Folded Spill
	buffer_store_dword v73, off, s[16:19], 0 offset:1220 ; 4-byte Folded Spill
	global_load_dwordx4 v[249:252], v[72:73], off
	buffer_store_dword v16, off, s[16:19], 0 offset:80 ; 4-byte Folded Spill
	buffer_store_dword v17, off, s[16:19], 0 offset:84 ; 4-byte Folded Spill
	global_load_dwordx4 v[1:4], v[16:17], off
	s_waitcnt vmcnt(0)
	buffer_store_dword v1, off, s[16:19], 0 offset:16 ; 4-byte Folded Spill
	buffer_store_dword v2, off, s[16:19], 0 offset:20 ; 4-byte Folded Spill
	;; [unrolled: 1-line block ×4, first 2 shown]
	global_load_dwordx4 v[1:4], v[207:208], off
	s_waitcnt vmcnt(0)
	buffer_store_dword v1, off, s[16:19], 0 ; 4-byte Folded Spill
	buffer_store_dword v2, off, s[16:19], 0 offset:4 ; 4-byte Folded Spill
	buffer_store_dword v3, off, s[16:19], 0 offset:8 ; 4-byte Folded Spill
	;; [unrolled: 1-line block ×5, first 2 shown]
	global_load_dwordx4 v[235:238], v[74:75], off
	buffer_store_dword v12, off, s[16:19], 0 offset:88 ; 4-byte Folded Spill
	buffer_store_dword v13, off, s[16:19], 0 offset:92 ; 4-byte Folded Spill
	s_clause 0x1
	global_load_dwordx4 v[241:244], v[12:13], off
	global_load_dwordx4 v[1:4], v[197:198], off
	buffer_store_dword v14, off, s[16:19], 0 offset:96 ; 4-byte Folded Spill
	buffer_store_dword v15, off, s[16:19], 0 offset:100 ; 4-byte Folded Spill
	global_load_dwordx4 v[185:188], v[14:15], off
	buffer_store_dword v18, off, s[16:19], 0 offset:104 ; 4-byte Folded Spill
	buffer_store_dword v19, off, s[16:19], 0 offset:108 ; 4-byte Folded Spill
	;; [unrolled: 3-line block ×17, first 2 shown]
	s_clause 0x2
	global_load_dwordx4 v[121:124], v[48:49], off
	global_load_dwordx4 v[117:120], v[193:194], off
	;; [unrolled: 1-line block ×3, first 2 shown]
	buffer_store_dword v70, off, s[16:19], 0 offset:448 ; 4-byte Folded Spill
	buffer_store_dword v71, off, s[16:19], 0 offset:452 ; 4-byte Folded Spill
	global_load_dwordx4 v[109:112], v[70:71], off
	buffer_store_dword v50, off, s[16:19], 0 offset:232 ; 4-byte Folded Spill
	buffer_store_dword v51, off, s[16:19], 0 offset:236 ; 4-byte Folded Spill
	global_load_dwordx4 v[105:108], v[50:51], off
	;; [unrolled: 3-line block ×12, first 2 shown]
	buffer_store_dword v205, off, s[16:19], 0 offset:320 ; 4-byte Folded Spill
	buffer_store_dword v206, off, s[16:19], 0 offset:324 ; 4-byte Folded Spill
	s_waitcnt vmcnt(33)
	v_mov_b32_e32 v189, v235
	v_mov_b32_e32 v190, v236
	;; [unrolled: 1-line block ×4, first 2 shown]
	global_load_dwordx4 v[61:64], v[205:206], off
	buffer_store_dword v209, off, s[16:19], 0 offset:328 ; 4-byte Folded Spill
	buffer_store_dword v210, off, s[16:19], 0 offset:332 ; 4-byte Folded Spill
	global_load_dwordx4 v[57:60], v[209:210], off
	buffer_store_dword v211, off, s[16:19], 0 offset:336 ; 4-byte Folded Spill
	buffer_store_dword v212, off, s[16:19], 0 offset:340 ; 4-byte Folded Spill
	;; [unrolled: 3-line block ×3, first 2 shown]
	s_waitcnt vmcnt(34)
	v_mov_b32_e32 v212, v4
	v_mov_b32_e32 v211, v3
	;; [unrolled: 1-line block ×4, first 2 shown]
	global_load_dwordx4 v[49:52], v[213:214], off
	buffer_store_dword v215, off, s[16:19], 0 offset:352 ; 4-byte Folded Spill
	buffer_store_dword v216, off, s[16:19], 0 offset:356 ; 4-byte Folded Spill
	global_load_dwordx4 v[45:48], v[215:216], off
	buffer_store_dword v217, off, s[16:19], 0 offset:360 ; 4-byte Folded Spill
	buffer_store_dword v218, off, s[16:19], 0 offset:364 ; 4-byte Folded Spill
	;; [unrolled: 3-line block ×12, first 2 shown]
	global_load_dwordx4 v[1:4], v[233:234], off
	s_and_saveexec_b32 s3, s0
	s_cbranch_execz .LBB109_8
; %bb.2:
	s_clause 0x3
	buffer_load_dword v213, off, s[16:19], 0 offset:48
	buffer_load_dword v214, off, s[16:19], 0 offset:52
	;; [unrolled: 1-line block ×4, first 2 shown]
	s_waitcnt vmcnt(0)
	ds_write2_b64 v255, v[213:214], v[215:216] offset1:1
	s_clause 0x3
	buffer_load_dword v213, off, s[16:19], 0 offset:32
	buffer_load_dword v214, off, s[16:19], 0 offset:36
	;; [unrolled: 1-line block ×4, first 2 shown]
	s_waitcnt vmcnt(0)
	ds_write2_b64 v253, v[213:214], v[215:216] offset0:2 offset1:3
	ds_write2_b64 v253, v[249:250], v[251:252] offset0:4 offset1:5
	s_clause 0x3
	buffer_load_dword v213, off, s[16:19], 0 offset:16
	buffer_load_dword v214, off, s[16:19], 0 offset:20
	;; [unrolled: 1-line block ×4, first 2 shown]
	s_waitcnt vmcnt(0)
	ds_write2_b64 v253, v[213:214], v[215:216] offset0:6 offset1:7
	s_clause 0x3
	buffer_load_dword v213, off, s[16:19], 0
	buffer_load_dword v214, off, s[16:19], 0 offset:4
	buffer_load_dword v215, off, s[16:19], 0 offset:8
	;; [unrolled: 1-line block ×3, first 2 shown]
	s_waitcnt vmcnt(0)
	ds_write2_b64 v253, v[213:214], v[215:216] offset0:8 offset1:9
	ds_write2_b64 v253, v[189:190], v[191:192] offset0:10 offset1:11
	;; [unrolled: 1-line block ×51, first 2 shown]
	ds_read2_b64 v[213:216], v255 offset1:1
	s_waitcnt lgkmcnt(0)
	v_cmp_neq_f64_e32 vcc_lo, 0, v[213:214]
	v_cmp_neq_f64_e64 s2, 0, v[215:216]
	s_or_b32 s2, vcc_lo, s2
	s_and_b32 exec_lo, exec_lo, s2
	s_cbranch_execz .LBB109_8
; %bb.3:
	v_cmp_ngt_f64_e64 s2, |v[213:214]|, |v[215:216]|
                                        ; implicit-def: $vgpr217_vgpr218
	s_and_saveexec_b32 s4, s2
	s_xor_b32 s2, exec_lo, s4
                                        ; implicit-def: $vgpr219_vgpr220
	s_cbranch_execz .LBB109_5
; %bb.4:
	v_div_scale_f64 v[217:218], null, v[215:216], v[215:216], v[213:214]
	v_div_scale_f64 v[223:224], vcc_lo, v[213:214], v[215:216], v[213:214]
	v_rcp_f64_e32 v[219:220], v[217:218]
	v_fma_f64 v[221:222], -v[217:218], v[219:220], 1.0
	v_fma_f64 v[219:220], v[219:220], v[221:222], v[219:220]
	v_fma_f64 v[221:222], -v[217:218], v[219:220], 1.0
	v_fma_f64 v[219:220], v[219:220], v[221:222], v[219:220]
	v_mul_f64 v[221:222], v[223:224], v[219:220]
	v_fma_f64 v[217:218], -v[217:218], v[221:222], v[223:224]
	v_div_fmas_f64 v[217:218], v[217:218], v[219:220], v[221:222]
	v_div_fixup_f64 v[217:218], v[217:218], v[215:216], v[213:214]
	v_fma_f64 v[213:214], v[213:214], v[217:218], v[215:216]
	v_div_scale_f64 v[215:216], null, v[213:214], v[213:214], 1.0
	v_rcp_f64_e32 v[219:220], v[215:216]
	v_fma_f64 v[221:222], -v[215:216], v[219:220], 1.0
	v_fma_f64 v[219:220], v[219:220], v[221:222], v[219:220]
	v_fma_f64 v[221:222], -v[215:216], v[219:220], 1.0
	v_fma_f64 v[219:220], v[219:220], v[221:222], v[219:220]
	v_div_scale_f64 v[221:222], vcc_lo, 1.0, v[213:214], 1.0
	v_mul_f64 v[223:224], v[221:222], v[219:220]
	v_fma_f64 v[215:216], -v[215:216], v[223:224], v[221:222]
	v_div_fmas_f64 v[215:216], v[215:216], v[219:220], v[223:224]
	v_div_fixup_f64 v[219:220], v[215:216], v[213:214], 1.0
                                        ; implicit-def: $vgpr213_vgpr214
	v_mul_f64 v[217:218], v[217:218], v[219:220]
	v_xor_b32_e32 v220, 0x80000000, v220
.LBB109_5:
	s_andn2_saveexec_b32 s2, s2
	s_cbranch_execz .LBB109_7
; %bb.6:
	v_div_scale_f64 v[217:218], null, v[213:214], v[213:214], v[215:216]
	v_div_scale_f64 v[223:224], vcc_lo, v[215:216], v[213:214], v[215:216]
	v_rcp_f64_e32 v[219:220], v[217:218]
	v_fma_f64 v[221:222], -v[217:218], v[219:220], 1.0
	v_fma_f64 v[219:220], v[219:220], v[221:222], v[219:220]
	v_fma_f64 v[221:222], -v[217:218], v[219:220], 1.0
	v_fma_f64 v[219:220], v[219:220], v[221:222], v[219:220]
	v_mul_f64 v[221:222], v[223:224], v[219:220]
	v_fma_f64 v[217:218], -v[217:218], v[221:222], v[223:224]
	v_div_fmas_f64 v[217:218], v[217:218], v[219:220], v[221:222]
	v_div_fixup_f64 v[219:220], v[217:218], v[213:214], v[215:216]
	v_fma_f64 v[213:214], v[215:216], v[219:220], v[213:214]
	v_div_scale_f64 v[215:216], null, v[213:214], v[213:214], 1.0
	v_rcp_f64_e32 v[217:218], v[215:216]
	v_fma_f64 v[221:222], -v[215:216], v[217:218], 1.0
	v_fma_f64 v[217:218], v[217:218], v[221:222], v[217:218]
	v_fma_f64 v[221:222], -v[215:216], v[217:218], 1.0
	v_fma_f64 v[217:218], v[217:218], v[221:222], v[217:218]
	v_div_scale_f64 v[221:222], vcc_lo, 1.0, v[213:214], 1.0
	v_mul_f64 v[223:224], v[221:222], v[217:218]
	v_fma_f64 v[215:216], -v[215:216], v[223:224], v[221:222]
	v_div_fmas_f64 v[215:216], v[215:216], v[217:218], v[223:224]
	v_div_fixup_f64 v[217:218], v[215:216], v[213:214], 1.0
	v_mul_f64 v[219:220], v[219:220], -v[217:218]
.LBB109_7:
	s_or_b32 exec_lo, exec_lo, s2
	ds_write2_b64 v255, v[217:218], v[219:220] offset1:1
.LBB109_8:
	s_or_b32 exec_lo, exec_lo, s3
	s_waitcnt vmcnt(0) lgkmcnt(0)
	s_waitcnt_vscnt null, 0x0
	s_barrier
	buffer_gl0_inv
	ds_read2_b64 v[213:216], v255 offset1:1
	s_waitcnt lgkmcnt(0)
	buffer_store_dword v213, off, s[16:19], 0 offset:456 ; 4-byte Folded Spill
	buffer_store_dword v214, off, s[16:19], 0 offset:460 ; 4-byte Folded Spill
	;; [unrolled: 1-line block ×4, first 2 shown]
	s_and_saveexec_b32 s2, s1
	s_cbranch_execz .LBB109_10
; %bb.9:
	s_clause 0x7
	buffer_load_dword v223, off, s[16:19], 0 offset:48
	buffer_load_dword v224, off, s[16:19], 0 offset:52
	;; [unrolled: 1-line block ×8, first 2 shown]
	s_waitcnt vmcnt(0)
	v_mul_f64 v[213:214], v[217:218], v[225:226]
	v_fma_f64 v[213:214], v[215:216], v[223:224], -v[213:214]
	v_mul_f64 v[215:216], v[215:216], v[225:226]
	v_fma_f64 v[225:226], v[217:218], v[223:224], v[215:216]
	ds_read2_b64 v[215:218], v253 offset0:2 offset1:3
	s_clause 0x3
	buffer_load_dword v221, off, s[16:19], 0 offset:32
	buffer_load_dword v222, off, s[16:19], 0 offset:36
	;; [unrolled: 1-line block ×4, first 2 shown]
	s_waitcnt lgkmcnt(0)
	v_mul_f64 v[219:220], v[217:218], v[225:226]
	v_fma_f64 v[219:220], v[215:216], v[213:214], -v[219:220]
	v_mul_f64 v[215:216], v[215:216], v[225:226]
	v_fma_f64 v[215:216], v[217:218], v[213:214], v[215:216]
	s_waitcnt vmcnt(2)
	v_add_f64 v[221:222], v[221:222], -v[219:220]
	s_waitcnt vmcnt(0)
	v_add_f64 v[223:224], v[223:224], -v[215:216]
	buffer_store_dword v221, off, s[16:19], 0 offset:32 ; 4-byte Folded Spill
	buffer_store_dword v222, off, s[16:19], 0 offset:36 ; 4-byte Folded Spill
	;; [unrolled: 1-line block ×4, first 2 shown]
	ds_read2_b64 v[215:218], v253 offset0:4 offset1:5
	s_waitcnt lgkmcnt(0)
	v_mul_f64 v[219:220], v[217:218], v[225:226]
	v_fma_f64 v[219:220], v[215:216], v[213:214], -v[219:220]
	v_mul_f64 v[215:216], v[215:216], v[225:226]
	v_add_f64 v[249:250], v[249:250], -v[219:220]
	v_fma_f64 v[215:216], v[217:218], v[213:214], v[215:216]
	v_add_f64 v[251:252], v[251:252], -v[215:216]
	ds_read2_b64 v[215:218], v253 offset0:6 offset1:7
	s_clause 0x3
	buffer_load_dword v221, off, s[16:19], 0 offset:16
	buffer_load_dword v222, off, s[16:19], 0 offset:20
	;; [unrolled: 1-line block ×4, first 2 shown]
	s_waitcnt lgkmcnt(0)
	v_mul_f64 v[219:220], v[217:218], v[225:226]
	v_fma_f64 v[219:220], v[215:216], v[213:214], -v[219:220]
	v_mul_f64 v[215:216], v[215:216], v[225:226]
	v_fma_f64 v[215:216], v[217:218], v[213:214], v[215:216]
	s_waitcnt vmcnt(2)
	v_add_f64 v[221:222], v[221:222], -v[219:220]
	s_waitcnt vmcnt(0)
	v_add_f64 v[223:224], v[223:224], -v[215:216]
	buffer_store_dword v221, off, s[16:19], 0 offset:16 ; 4-byte Folded Spill
	buffer_store_dword v222, off, s[16:19], 0 offset:20 ; 4-byte Folded Spill
	;; [unrolled: 1-line block ×4, first 2 shown]
	ds_read2_b64 v[215:218], v253 offset0:8 offset1:9
	s_clause 0x3
	buffer_load_dword v221, off, s[16:19], 0
	buffer_load_dword v222, off, s[16:19], 0 offset:4
	buffer_load_dword v223, off, s[16:19], 0 offset:8
	;; [unrolled: 1-line block ×3, first 2 shown]
	s_waitcnt lgkmcnt(0)
	v_mul_f64 v[219:220], v[217:218], v[225:226]
	v_fma_f64 v[219:220], v[215:216], v[213:214], -v[219:220]
	v_mul_f64 v[215:216], v[215:216], v[225:226]
	v_fma_f64 v[215:216], v[217:218], v[213:214], v[215:216]
	s_waitcnt vmcnt(2)
	v_add_f64 v[221:222], v[221:222], -v[219:220]
	s_waitcnt vmcnt(0)
	v_add_f64 v[223:224], v[223:224], -v[215:216]
	buffer_store_dword v221, off, s[16:19], 0 ; 4-byte Folded Spill
	buffer_store_dword v222, off, s[16:19], 0 offset:4 ; 4-byte Folded Spill
	buffer_store_dword v223, off, s[16:19], 0 offset:8 ; 4-byte Folded Spill
	;; [unrolled: 1-line block ×3, first 2 shown]
	ds_read2_b64 v[215:218], v253 offset0:10 offset1:11
	v_mov_b32_e32 v224, v214
	v_mov_b32_e32 v223, v213
	s_waitcnt lgkmcnt(0)
	v_mul_f64 v[219:220], v[217:218], v[225:226]
	v_fma_f64 v[219:220], v[215:216], v[213:214], -v[219:220]
	v_mul_f64 v[215:216], v[215:216], v[225:226]
	v_add_f64 v[189:190], v[189:190], -v[219:220]
	v_fma_f64 v[215:216], v[217:218], v[213:214], v[215:216]
	v_add_f64 v[191:192], v[191:192], -v[215:216]
	ds_read2_b64 v[215:218], v253 offset0:12 offset1:13
	s_waitcnt lgkmcnt(0)
	v_mul_f64 v[219:220], v[217:218], v[225:226]
	v_fma_f64 v[219:220], v[215:216], v[213:214], -v[219:220]
	v_mul_f64 v[215:216], v[215:216], v[225:226]
	v_add_f64 v[241:242], v[241:242], -v[219:220]
	v_fma_f64 v[215:216], v[217:218], v[213:214], v[215:216]
	v_add_f64 v[243:244], v[243:244], -v[215:216]
	ds_read2_b64 v[215:218], v253 offset0:14 offset1:15
	;; [unrolled: 8-line block ×49, first 2 shown]
	s_waitcnt lgkmcnt(0)
	v_mul_f64 v[219:220], v[217:218], v[225:226]
	v_fma_f64 v[219:220], v[215:216], v[213:214], -v[219:220]
	v_mul_f64 v[215:216], v[215:216], v[225:226]
	buffer_store_dword v223, off, s[16:19], 0 offset:48 ; 4-byte Folded Spill
	buffer_store_dword v224, off, s[16:19], 0 offset:52 ; 4-byte Folded Spill
	;; [unrolled: 1-line block ×4, first 2 shown]
	v_add_f64 v[1:2], v[1:2], -v[219:220]
	v_fma_f64 v[215:216], v[217:218], v[213:214], v[215:216]
	v_add_f64 v[3:4], v[3:4], -v[215:216]
.LBB109_10:
	s_or_b32 exec_lo, exec_lo, s2
	s_mov_b32 s2, exec_lo
	s_waitcnt_vscnt null, 0x0
	s_barrier
	buffer_gl0_inv
	v_cmpx_eq_u32_e32 1, v0
	s_cbranch_execz .LBB109_17
; %bb.11:
	s_clause 0x3
	buffer_load_dword v213, off, s[16:19], 0 offset:32
	buffer_load_dword v214, off, s[16:19], 0 offset:36
	;; [unrolled: 1-line block ×4, first 2 shown]
	s_waitcnt vmcnt(0)
	ds_write2_b64 v255, v[213:214], v[215:216] offset1:1
	ds_write2_b64 v253, v[249:250], v[251:252] offset0:4 offset1:5
	s_clause 0x3
	buffer_load_dword v213, off, s[16:19], 0 offset:16
	buffer_load_dword v214, off, s[16:19], 0 offset:20
	;; [unrolled: 1-line block ×4, first 2 shown]
	s_waitcnt vmcnt(0)
	ds_write2_b64 v253, v[213:214], v[215:216] offset0:6 offset1:7
	s_clause 0x3
	buffer_load_dword v213, off, s[16:19], 0
	buffer_load_dword v214, off, s[16:19], 0 offset:4
	buffer_load_dword v215, off, s[16:19], 0 offset:8
	;; [unrolled: 1-line block ×3, first 2 shown]
	s_waitcnt vmcnt(0)
	ds_write2_b64 v253, v[213:214], v[215:216] offset0:8 offset1:9
	ds_write2_b64 v253, v[189:190], v[191:192] offset0:10 offset1:11
	;; [unrolled: 1-line block ×51, first 2 shown]
	ds_read2_b64 v[213:216], v255 offset1:1
	s_waitcnt lgkmcnt(0)
	v_cmp_neq_f64_e32 vcc_lo, 0, v[213:214]
	v_cmp_neq_f64_e64 s1, 0, v[215:216]
	s_or_b32 s1, vcc_lo, s1
	s_and_b32 exec_lo, exec_lo, s1
	s_cbranch_execz .LBB109_17
; %bb.12:
	v_cmp_ngt_f64_e64 s1, |v[213:214]|, |v[215:216]|
                                        ; implicit-def: $vgpr217_vgpr218
	s_and_saveexec_b32 s3, s1
	s_xor_b32 s1, exec_lo, s3
                                        ; implicit-def: $vgpr219_vgpr220
	s_cbranch_execz .LBB109_14
; %bb.13:
	v_div_scale_f64 v[217:218], null, v[215:216], v[215:216], v[213:214]
	v_div_scale_f64 v[223:224], vcc_lo, v[213:214], v[215:216], v[213:214]
	v_rcp_f64_e32 v[219:220], v[217:218]
	v_fma_f64 v[221:222], -v[217:218], v[219:220], 1.0
	v_fma_f64 v[219:220], v[219:220], v[221:222], v[219:220]
	v_fma_f64 v[221:222], -v[217:218], v[219:220], 1.0
	v_fma_f64 v[219:220], v[219:220], v[221:222], v[219:220]
	v_mul_f64 v[221:222], v[223:224], v[219:220]
	v_fma_f64 v[217:218], -v[217:218], v[221:222], v[223:224]
	v_div_fmas_f64 v[217:218], v[217:218], v[219:220], v[221:222]
	v_div_fixup_f64 v[217:218], v[217:218], v[215:216], v[213:214]
	v_fma_f64 v[213:214], v[213:214], v[217:218], v[215:216]
	v_div_scale_f64 v[215:216], null, v[213:214], v[213:214], 1.0
	v_rcp_f64_e32 v[219:220], v[215:216]
	v_fma_f64 v[221:222], -v[215:216], v[219:220], 1.0
	v_fma_f64 v[219:220], v[219:220], v[221:222], v[219:220]
	v_fma_f64 v[221:222], -v[215:216], v[219:220], 1.0
	v_fma_f64 v[219:220], v[219:220], v[221:222], v[219:220]
	v_div_scale_f64 v[221:222], vcc_lo, 1.0, v[213:214], 1.0
	v_mul_f64 v[223:224], v[221:222], v[219:220]
	v_fma_f64 v[215:216], -v[215:216], v[223:224], v[221:222]
	v_div_fmas_f64 v[215:216], v[215:216], v[219:220], v[223:224]
	v_div_fixup_f64 v[219:220], v[215:216], v[213:214], 1.0
                                        ; implicit-def: $vgpr213_vgpr214
	v_mul_f64 v[217:218], v[217:218], v[219:220]
	v_xor_b32_e32 v220, 0x80000000, v220
.LBB109_14:
	s_andn2_saveexec_b32 s1, s1
	s_cbranch_execz .LBB109_16
; %bb.15:
	v_div_scale_f64 v[217:218], null, v[213:214], v[213:214], v[215:216]
	v_div_scale_f64 v[223:224], vcc_lo, v[215:216], v[213:214], v[215:216]
	v_rcp_f64_e32 v[219:220], v[217:218]
	v_fma_f64 v[221:222], -v[217:218], v[219:220], 1.0
	v_fma_f64 v[219:220], v[219:220], v[221:222], v[219:220]
	v_fma_f64 v[221:222], -v[217:218], v[219:220], 1.0
	v_fma_f64 v[219:220], v[219:220], v[221:222], v[219:220]
	v_mul_f64 v[221:222], v[223:224], v[219:220]
	v_fma_f64 v[217:218], -v[217:218], v[221:222], v[223:224]
	v_div_fmas_f64 v[217:218], v[217:218], v[219:220], v[221:222]
	v_div_fixup_f64 v[219:220], v[217:218], v[213:214], v[215:216]
	v_fma_f64 v[213:214], v[215:216], v[219:220], v[213:214]
	v_div_scale_f64 v[215:216], null, v[213:214], v[213:214], 1.0
	v_rcp_f64_e32 v[217:218], v[215:216]
	v_fma_f64 v[221:222], -v[215:216], v[217:218], 1.0
	v_fma_f64 v[217:218], v[217:218], v[221:222], v[217:218]
	v_fma_f64 v[221:222], -v[215:216], v[217:218], 1.0
	v_fma_f64 v[217:218], v[217:218], v[221:222], v[217:218]
	v_div_scale_f64 v[221:222], vcc_lo, 1.0, v[213:214], 1.0
	v_mul_f64 v[223:224], v[221:222], v[217:218]
	v_fma_f64 v[215:216], -v[215:216], v[223:224], v[221:222]
	v_div_fmas_f64 v[215:216], v[215:216], v[217:218], v[223:224]
	v_div_fixup_f64 v[217:218], v[215:216], v[213:214], 1.0
	v_mul_f64 v[219:220], v[219:220], -v[217:218]
.LBB109_16:
	s_or_b32 exec_lo, exec_lo, s1
	ds_write2_b64 v255, v[217:218], v[219:220] offset1:1
.LBB109_17:
	s_or_b32 exec_lo, exec_lo, s2
	s_waitcnt lgkmcnt(0)
	s_barrier
	buffer_gl0_inv
	ds_read2_b64 v[213:216], v255 offset1:1
	s_mov_b32 s1, exec_lo
	s_waitcnt lgkmcnt(0)
	buffer_store_dword v213, off, s[16:19], 0 offset:472 ; 4-byte Folded Spill
	buffer_store_dword v214, off, s[16:19], 0 offset:476 ; 4-byte Folded Spill
	;; [unrolled: 1-line block ×4, first 2 shown]
	v_cmpx_lt_u32_e32 1, v0
	s_cbranch_execz .LBB109_19
; %bb.18:
	s_clause 0x7
	buffer_load_dword v223, off, s[16:19], 0 offset:32
	buffer_load_dword v224, off, s[16:19], 0 offset:36
	;; [unrolled: 1-line block ×8, first 2 shown]
	s_waitcnt vmcnt(0)
	v_mul_f64 v[213:214], v[217:218], v[225:226]
	v_fma_f64 v[213:214], v[215:216], v[223:224], -v[213:214]
	v_mul_f64 v[215:216], v[215:216], v[225:226]
	v_fma_f64 v[225:226], v[217:218], v[223:224], v[215:216]
	ds_read2_b64 v[215:218], v253 offset0:4 offset1:5
	s_waitcnt lgkmcnt(0)
	v_mul_f64 v[219:220], v[217:218], v[225:226]
	v_fma_f64 v[219:220], v[215:216], v[213:214], -v[219:220]
	v_mul_f64 v[215:216], v[215:216], v[225:226]
	v_add_f64 v[249:250], v[249:250], -v[219:220]
	v_fma_f64 v[215:216], v[217:218], v[213:214], v[215:216]
	v_add_f64 v[251:252], v[251:252], -v[215:216]
	ds_read2_b64 v[215:218], v253 offset0:6 offset1:7
	s_clause 0x3
	buffer_load_dword v221, off, s[16:19], 0 offset:16
	buffer_load_dword v222, off, s[16:19], 0 offset:20
	;; [unrolled: 1-line block ×4, first 2 shown]
	s_waitcnt lgkmcnt(0)
	v_mul_f64 v[219:220], v[217:218], v[225:226]
	v_fma_f64 v[219:220], v[215:216], v[213:214], -v[219:220]
	v_mul_f64 v[215:216], v[215:216], v[225:226]
	v_fma_f64 v[215:216], v[217:218], v[213:214], v[215:216]
	s_waitcnt vmcnt(2)
	v_add_f64 v[221:222], v[221:222], -v[219:220]
	s_waitcnt vmcnt(0)
	v_add_f64 v[223:224], v[223:224], -v[215:216]
	buffer_store_dword v221, off, s[16:19], 0 offset:16 ; 4-byte Folded Spill
	buffer_store_dword v222, off, s[16:19], 0 offset:20 ; 4-byte Folded Spill
	;; [unrolled: 1-line block ×4, first 2 shown]
	ds_read2_b64 v[215:218], v253 offset0:8 offset1:9
	s_clause 0x3
	buffer_load_dword v221, off, s[16:19], 0
	buffer_load_dword v222, off, s[16:19], 0 offset:4
	buffer_load_dword v223, off, s[16:19], 0 offset:8
	;; [unrolled: 1-line block ×3, first 2 shown]
	s_waitcnt lgkmcnt(0)
	v_mul_f64 v[219:220], v[217:218], v[225:226]
	v_fma_f64 v[219:220], v[215:216], v[213:214], -v[219:220]
	v_mul_f64 v[215:216], v[215:216], v[225:226]
	v_fma_f64 v[215:216], v[217:218], v[213:214], v[215:216]
	s_waitcnt vmcnt(2)
	v_add_f64 v[221:222], v[221:222], -v[219:220]
	s_waitcnt vmcnt(0)
	v_add_f64 v[223:224], v[223:224], -v[215:216]
	buffer_store_dword v221, off, s[16:19], 0 ; 4-byte Folded Spill
	buffer_store_dword v222, off, s[16:19], 0 offset:4 ; 4-byte Folded Spill
	buffer_store_dword v223, off, s[16:19], 0 offset:8 ; 4-byte Folded Spill
	buffer_store_dword v224, off, s[16:19], 0 offset:12 ; 4-byte Folded Spill
	ds_read2_b64 v[215:218], v253 offset0:10 offset1:11
	v_mov_b32_e32 v224, v214
	v_mov_b32_e32 v223, v213
	s_waitcnt lgkmcnt(0)
	v_mul_f64 v[219:220], v[217:218], v[225:226]
	v_fma_f64 v[219:220], v[215:216], v[213:214], -v[219:220]
	v_mul_f64 v[215:216], v[215:216], v[225:226]
	v_add_f64 v[189:190], v[189:190], -v[219:220]
	v_fma_f64 v[215:216], v[217:218], v[213:214], v[215:216]
	v_add_f64 v[191:192], v[191:192], -v[215:216]
	ds_read2_b64 v[215:218], v253 offset0:12 offset1:13
	s_waitcnt lgkmcnt(0)
	v_mul_f64 v[219:220], v[217:218], v[225:226]
	v_fma_f64 v[219:220], v[215:216], v[213:214], -v[219:220]
	v_mul_f64 v[215:216], v[215:216], v[225:226]
	v_add_f64 v[241:242], v[241:242], -v[219:220]
	v_fma_f64 v[215:216], v[217:218], v[213:214], v[215:216]
	v_add_f64 v[243:244], v[243:244], -v[215:216]
	ds_read2_b64 v[215:218], v253 offset0:14 offset1:15
	s_waitcnt lgkmcnt(0)
	v_mul_f64 v[219:220], v[217:218], v[225:226]
	v_fma_f64 v[219:220], v[215:216], v[213:214], -v[219:220]
	v_mul_f64 v[215:216], v[215:216], v[225:226]
	v_add_f64 v[209:210], v[209:210], -v[219:220]
	v_fma_f64 v[215:216], v[217:218], v[213:214], v[215:216]
	v_add_f64 v[211:212], v[211:212], -v[215:216]
	ds_read2_b64 v[215:218], v253 offset0:16 offset1:17
	s_waitcnt lgkmcnt(0)
	v_mul_f64 v[219:220], v[217:218], v[225:226]
	v_fma_f64 v[219:220], v[215:216], v[213:214], -v[219:220]
	v_mul_f64 v[215:216], v[215:216], v[225:226]
	v_add_f64 v[185:186], v[185:186], -v[219:220]
	v_fma_f64 v[215:216], v[217:218], v[213:214], v[215:216]
	v_add_f64 v[187:188], v[187:188], -v[215:216]
	ds_read2_b64 v[215:218], v253 offset0:18 offset1:19
	s_waitcnt lgkmcnt(0)
	v_mul_f64 v[219:220], v[217:218], v[225:226]
	v_fma_f64 v[219:220], v[215:216], v[213:214], -v[219:220]
	v_mul_f64 v[215:216], v[215:216], v[225:226]
	v_add_f64 v[181:182], v[181:182], -v[219:220]
	v_fma_f64 v[215:216], v[217:218], v[213:214], v[215:216]
	v_add_f64 v[183:184], v[183:184], -v[215:216]
	ds_read2_b64 v[215:218], v253 offset0:20 offset1:21
	s_waitcnt lgkmcnt(0)
	v_mul_f64 v[219:220], v[217:218], v[225:226]
	v_fma_f64 v[219:220], v[215:216], v[213:214], -v[219:220]
	v_mul_f64 v[215:216], v[215:216], v[225:226]
	v_add_f64 v[177:178], v[177:178], -v[219:220]
	v_fma_f64 v[215:216], v[217:218], v[213:214], v[215:216]
	v_add_f64 v[179:180], v[179:180], -v[215:216]
	ds_read2_b64 v[215:218], v253 offset0:22 offset1:23
	s_waitcnt lgkmcnt(0)
	v_mul_f64 v[219:220], v[217:218], v[225:226]
	v_fma_f64 v[219:220], v[215:216], v[213:214], -v[219:220]
	v_mul_f64 v[215:216], v[215:216], v[225:226]
	v_add_f64 v[173:174], v[173:174], -v[219:220]
	v_fma_f64 v[215:216], v[217:218], v[213:214], v[215:216]
	v_add_f64 v[175:176], v[175:176], -v[215:216]
	ds_read2_b64 v[215:218], v253 offset0:24 offset1:25
	s_waitcnt lgkmcnt(0)
	v_mul_f64 v[219:220], v[217:218], v[225:226]
	v_fma_f64 v[219:220], v[215:216], v[213:214], -v[219:220]
	v_mul_f64 v[215:216], v[215:216], v[225:226]
	v_add_f64 v[169:170], v[169:170], -v[219:220]
	v_fma_f64 v[215:216], v[217:218], v[213:214], v[215:216]
	v_add_f64 v[171:172], v[171:172], -v[215:216]
	ds_read2_b64 v[215:218], v253 offset0:26 offset1:27
	s_waitcnt lgkmcnt(0)
	v_mul_f64 v[219:220], v[217:218], v[225:226]
	v_fma_f64 v[219:220], v[215:216], v[213:214], -v[219:220]
	v_mul_f64 v[215:216], v[215:216], v[225:226]
	v_add_f64 v[165:166], v[165:166], -v[219:220]
	v_fma_f64 v[215:216], v[217:218], v[213:214], v[215:216]
	v_add_f64 v[167:168], v[167:168], -v[215:216]
	ds_read2_b64 v[215:218], v253 offset0:28 offset1:29
	s_waitcnt lgkmcnt(0)
	v_mul_f64 v[219:220], v[217:218], v[225:226]
	v_fma_f64 v[219:220], v[215:216], v[213:214], -v[219:220]
	v_mul_f64 v[215:216], v[215:216], v[225:226]
	v_add_f64 v[161:162], v[161:162], -v[219:220]
	v_fma_f64 v[215:216], v[217:218], v[213:214], v[215:216]
	v_add_f64 v[163:164], v[163:164], -v[215:216]
	ds_read2_b64 v[215:218], v253 offset0:30 offset1:31
	s_waitcnt lgkmcnt(0)
	v_mul_f64 v[219:220], v[217:218], v[225:226]
	v_fma_f64 v[219:220], v[215:216], v[213:214], -v[219:220]
	v_mul_f64 v[215:216], v[215:216], v[225:226]
	v_add_f64 v[157:158], v[157:158], -v[219:220]
	v_fma_f64 v[215:216], v[217:218], v[213:214], v[215:216]
	v_add_f64 v[159:160], v[159:160], -v[215:216]
	ds_read2_b64 v[215:218], v253 offset0:32 offset1:33
	s_waitcnt lgkmcnt(0)
	v_mul_f64 v[219:220], v[217:218], v[225:226]
	v_fma_f64 v[219:220], v[215:216], v[213:214], -v[219:220]
	v_mul_f64 v[215:216], v[215:216], v[225:226]
	v_add_f64 v[153:154], v[153:154], -v[219:220]
	v_fma_f64 v[215:216], v[217:218], v[213:214], v[215:216]
	v_add_f64 v[155:156], v[155:156], -v[215:216]
	ds_read2_b64 v[215:218], v253 offset0:34 offset1:35
	s_waitcnt lgkmcnt(0)
	v_mul_f64 v[219:220], v[217:218], v[225:226]
	v_fma_f64 v[219:220], v[215:216], v[213:214], -v[219:220]
	v_mul_f64 v[215:216], v[215:216], v[225:226]
	v_add_f64 v[149:150], v[149:150], -v[219:220]
	v_fma_f64 v[215:216], v[217:218], v[213:214], v[215:216]
	v_add_f64 v[151:152], v[151:152], -v[215:216]
	ds_read2_b64 v[215:218], v253 offset0:36 offset1:37
	s_waitcnt lgkmcnt(0)
	v_mul_f64 v[219:220], v[217:218], v[225:226]
	v_fma_f64 v[219:220], v[215:216], v[213:214], -v[219:220]
	v_mul_f64 v[215:216], v[215:216], v[225:226]
	v_add_f64 v[145:146], v[145:146], -v[219:220]
	v_fma_f64 v[215:216], v[217:218], v[213:214], v[215:216]
	v_add_f64 v[147:148], v[147:148], -v[215:216]
	ds_read2_b64 v[215:218], v253 offset0:38 offset1:39
	s_waitcnt lgkmcnt(0)
	v_mul_f64 v[219:220], v[217:218], v[225:226]
	v_fma_f64 v[219:220], v[215:216], v[213:214], -v[219:220]
	v_mul_f64 v[215:216], v[215:216], v[225:226]
	v_add_f64 v[141:142], v[141:142], -v[219:220]
	v_fma_f64 v[215:216], v[217:218], v[213:214], v[215:216]
	v_add_f64 v[143:144], v[143:144], -v[215:216]
	ds_read2_b64 v[215:218], v253 offset0:40 offset1:41
	s_waitcnt lgkmcnt(0)
	v_mul_f64 v[219:220], v[217:218], v[225:226]
	v_fma_f64 v[219:220], v[215:216], v[213:214], -v[219:220]
	v_mul_f64 v[215:216], v[215:216], v[225:226]
	v_add_f64 v[137:138], v[137:138], -v[219:220]
	v_fma_f64 v[215:216], v[217:218], v[213:214], v[215:216]
	v_add_f64 v[139:140], v[139:140], -v[215:216]
	ds_read2_b64 v[215:218], v253 offset0:42 offset1:43
	s_waitcnt lgkmcnt(0)
	v_mul_f64 v[219:220], v[217:218], v[225:226]
	v_fma_f64 v[219:220], v[215:216], v[213:214], -v[219:220]
	v_mul_f64 v[215:216], v[215:216], v[225:226]
	v_add_f64 v[133:134], v[133:134], -v[219:220]
	v_fma_f64 v[215:216], v[217:218], v[213:214], v[215:216]
	v_add_f64 v[135:136], v[135:136], -v[215:216]
	ds_read2_b64 v[215:218], v253 offset0:44 offset1:45
	s_waitcnt lgkmcnt(0)
	v_mul_f64 v[219:220], v[217:218], v[225:226]
	v_fma_f64 v[219:220], v[215:216], v[213:214], -v[219:220]
	v_mul_f64 v[215:216], v[215:216], v[225:226]
	v_add_f64 v[129:130], v[129:130], -v[219:220]
	v_fma_f64 v[215:216], v[217:218], v[213:214], v[215:216]
	v_add_f64 v[131:132], v[131:132], -v[215:216]
	ds_read2_b64 v[215:218], v253 offset0:46 offset1:47
	s_waitcnt lgkmcnt(0)
	v_mul_f64 v[219:220], v[217:218], v[225:226]
	v_fma_f64 v[219:220], v[215:216], v[213:214], -v[219:220]
	v_mul_f64 v[215:216], v[215:216], v[225:226]
	v_add_f64 v[125:126], v[125:126], -v[219:220]
	v_fma_f64 v[215:216], v[217:218], v[213:214], v[215:216]
	v_add_f64 v[127:128], v[127:128], -v[215:216]
	ds_read2_b64 v[215:218], v253 offset0:48 offset1:49
	s_waitcnt lgkmcnt(0)
	v_mul_f64 v[219:220], v[217:218], v[225:226]
	v_fma_f64 v[219:220], v[215:216], v[213:214], -v[219:220]
	v_mul_f64 v[215:216], v[215:216], v[225:226]
	v_add_f64 v[121:122], v[121:122], -v[219:220]
	v_fma_f64 v[215:216], v[217:218], v[213:214], v[215:216]
	v_add_f64 v[123:124], v[123:124], -v[215:216]
	ds_read2_b64 v[215:218], v253 offset0:50 offset1:51
	s_waitcnt lgkmcnt(0)
	v_mul_f64 v[219:220], v[217:218], v[225:226]
	v_fma_f64 v[219:220], v[215:216], v[213:214], -v[219:220]
	v_mul_f64 v[215:216], v[215:216], v[225:226]
	v_add_f64 v[117:118], v[117:118], -v[219:220]
	v_fma_f64 v[215:216], v[217:218], v[213:214], v[215:216]
	v_add_f64 v[119:120], v[119:120], -v[215:216]
	ds_read2_b64 v[215:218], v253 offset0:52 offset1:53
	s_waitcnt lgkmcnt(0)
	v_mul_f64 v[219:220], v[217:218], v[225:226]
	v_fma_f64 v[219:220], v[215:216], v[213:214], -v[219:220]
	v_mul_f64 v[215:216], v[215:216], v[225:226]
	v_add_f64 v[113:114], v[113:114], -v[219:220]
	v_fma_f64 v[215:216], v[217:218], v[213:214], v[215:216]
	v_add_f64 v[115:116], v[115:116], -v[215:216]
	ds_read2_b64 v[215:218], v253 offset0:54 offset1:55
	s_waitcnt lgkmcnt(0)
	v_mul_f64 v[219:220], v[217:218], v[225:226]
	v_fma_f64 v[219:220], v[215:216], v[213:214], -v[219:220]
	v_mul_f64 v[215:216], v[215:216], v[225:226]
	v_add_f64 v[109:110], v[109:110], -v[219:220]
	v_fma_f64 v[215:216], v[217:218], v[213:214], v[215:216]
	v_add_f64 v[111:112], v[111:112], -v[215:216]
	ds_read2_b64 v[215:218], v253 offset0:56 offset1:57
	s_waitcnt lgkmcnt(0)
	v_mul_f64 v[219:220], v[217:218], v[225:226]
	v_fma_f64 v[219:220], v[215:216], v[213:214], -v[219:220]
	v_mul_f64 v[215:216], v[215:216], v[225:226]
	v_add_f64 v[105:106], v[105:106], -v[219:220]
	v_fma_f64 v[215:216], v[217:218], v[213:214], v[215:216]
	v_add_f64 v[107:108], v[107:108], -v[215:216]
	ds_read2_b64 v[215:218], v253 offset0:58 offset1:59
	s_waitcnt lgkmcnt(0)
	v_mul_f64 v[219:220], v[217:218], v[225:226]
	v_fma_f64 v[219:220], v[215:216], v[213:214], -v[219:220]
	v_mul_f64 v[215:216], v[215:216], v[225:226]
	v_add_f64 v[101:102], v[101:102], -v[219:220]
	v_fma_f64 v[215:216], v[217:218], v[213:214], v[215:216]
	v_add_f64 v[103:104], v[103:104], -v[215:216]
	ds_read2_b64 v[215:218], v253 offset0:60 offset1:61
	s_waitcnt lgkmcnt(0)
	v_mul_f64 v[219:220], v[217:218], v[225:226]
	v_fma_f64 v[219:220], v[215:216], v[213:214], -v[219:220]
	v_mul_f64 v[215:216], v[215:216], v[225:226]
	v_add_f64 v[97:98], v[97:98], -v[219:220]
	v_fma_f64 v[215:216], v[217:218], v[213:214], v[215:216]
	v_add_f64 v[99:100], v[99:100], -v[215:216]
	ds_read2_b64 v[215:218], v253 offset0:62 offset1:63
	s_waitcnt lgkmcnt(0)
	v_mul_f64 v[219:220], v[217:218], v[225:226]
	v_fma_f64 v[219:220], v[215:216], v[213:214], -v[219:220]
	v_mul_f64 v[215:216], v[215:216], v[225:226]
	v_add_f64 v[93:94], v[93:94], -v[219:220]
	v_fma_f64 v[215:216], v[217:218], v[213:214], v[215:216]
	v_add_f64 v[95:96], v[95:96], -v[215:216]
	ds_read2_b64 v[215:218], v253 offset0:64 offset1:65
	s_waitcnt lgkmcnt(0)
	v_mul_f64 v[219:220], v[217:218], v[225:226]
	v_fma_f64 v[219:220], v[215:216], v[213:214], -v[219:220]
	v_mul_f64 v[215:216], v[215:216], v[225:226]
	v_add_f64 v[89:90], v[89:90], -v[219:220]
	v_fma_f64 v[215:216], v[217:218], v[213:214], v[215:216]
	v_add_f64 v[91:92], v[91:92], -v[215:216]
	ds_read2_b64 v[215:218], v253 offset0:66 offset1:67
	s_waitcnt lgkmcnt(0)
	v_mul_f64 v[219:220], v[217:218], v[225:226]
	v_fma_f64 v[219:220], v[215:216], v[213:214], -v[219:220]
	v_mul_f64 v[215:216], v[215:216], v[225:226]
	v_add_f64 v[85:86], v[85:86], -v[219:220]
	v_fma_f64 v[215:216], v[217:218], v[213:214], v[215:216]
	v_add_f64 v[87:88], v[87:88], -v[215:216]
	ds_read2_b64 v[215:218], v253 offset0:68 offset1:69
	s_waitcnt lgkmcnt(0)
	v_mul_f64 v[219:220], v[217:218], v[225:226]
	v_fma_f64 v[219:220], v[215:216], v[213:214], -v[219:220]
	v_mul_f64 v[215:216], v[215:216], v[225:226]
	v_add_f64 v[81:82], v[81:82], -v[219:220]
	v_fma_f64 v[215:216], v[217:218], v[213:214], v[215:216]
	v_add_f64 v[83:84], v[83:84], -v[215:216]
	ds_read2_b64 v[215:218], v253 offset0:70 offset1:71
	s_waitcnt lgkmcnt(0)
	v_mul_f64 v[219:220], v[217:218], v[225:226]
	v_fma_f64 v[219:220], v[215:216], v[213:214], -v[219:220]
	v_mul_f64 v[215:216], v[215:216], v[225:226]
	v_add_f64 v[77:78], v[77:78], -v[219:220]
	v_fma_f64 v[215:216], v[217:218], v[213:214], v[215:216]
	v_add_f64 v[79:80], v[79:80], -v[215:216]
	ds_read2_b64 v[215:218], v253 offset0:72 offset1:73
	s_waitcnt lgkmcnt(0)
	v_mul_f64 v[219:220], v[217:218], v[225:226]
	v_fma_f64 v[219:220], v[215:216], v[213:214], -v[219:220]
	v_mul_f64 v[215:216], v[215:216], v[225:226]
	v_add_f64 v[73:74], v[73:74], -v[219:220]
	v_fma_f64 v[215:216], v[217:218], v[213:214], v[215:216]
	v_add_f64 v[75:76], v[75:76], -v[215:216]
	ds_read2_b64 v[215:218], v253 offset0:74 offset1:75
	s_waitcnt lgkmcnt(0)
	v_mul_f64 v[219:220], v[217:218], v[225:226]
	v_fma_f64 v[219:220], v[215:216], v[213:214], -v[219:220]
	v_mul_f64 v[215:216], v[215:216], v[225:226]
	v_add_f64 v[69:70], v[69:70], -v[219:220]
	v_fma_f64 v[215:216], v[217:218], v[213:214], v[215:216]
	v_add_f64 v[71:72], v[71:72], -v[215:216]
	ds_read2_b64 v[215:218], v253 offset0:76 offset1:77
	s_waitcnt lgkmcnt(0)
	v_mul_f64 v[219:220], v[217:218], v[225:226]
	v_fma_f64 v[219:220], v[215:216], v[213:214], -v[219:220]
	v_mul_f64 v[215:216], v[215:216], v[225:226]
	v_add_f64 v[65:66], v[65:66], -v[219:220]
	v_fma_f64 v[215:216], v[217:218], v[213:214], v[215:216]
	v_add_f64 v[67:68], v[67:68], -v[215:216]
	ds_read2_b64 v[215:218], v253 offset0:78 offset1:79
	s_waitcnt lgkmcnt(0)
	v_mul_f64 v[219:220], v[217:218], v[225:226]
	v_fma_f64 v[219:220], v[215:216], v[213:214], -v[219:220]
	v_mul_f64 v[215:216], v[215:216], v[225:226]
	v_add_f64 v[61:62], v[61:62], -v[219:220]
	v_fma_f64 v[215:216], v[217:218], v[213:214], v[215:216]
	v_add_f64 v[63:64], v[63:64], -v[215:216]
	ds_read2_b64 v[215:218], v253 offset0:80 offset1:81
	s_waitcnt lgkmcnt(0)
	v_mul_f64 v[219:220], v[217:218], v[225:226]
	v_fma_f64 v[219:220], v[215:216], v[213:214], -v[219:220]
	v_mul_f64 v[215:216], v[215:216], v[225:226]
	v_add_f64 v[57:58], v[57:58], -v[219:220]
	v_fma_f64 v[215:216], v[217:218], v[213:214], v[215:216]
	v_add_f64 v[59:60], v[59:60], -v[215:216]
	ds_read2_b64 v[215:218], v253 offset0:82 offset1:83
	s_waitcnt lgkmcnt(0)
	v_mul_f64 v[219:220], v[217:218], v[225:226]
	v_fma_f64 v[219:220], v[215:216], v[213:214], -v[219:220]
	v_mul_f64 v[215:216], v[215:216], v[225:226]
	v_add_f64 v[53:54], v[53:54], -v[219:220]
	v_fma_f64 v[215:216], v[217:218], v[213:214], v[215:216]
	v_add_f64 v[55:56], v[55:56], -v[215:216]
	ds_read2_b64 v[215:218], v253 offset0:84 offset1:85
	s_waitcnt lgkmcnt(0)
	v_mul_f64 v[219:220], v[217:218], v[225:226]
	v_fma_f64 v[219:220], v[215:216], v[213:214], -v[219:220]
	v_mul_f64 v[215:216], v[215:216], v[225:226]
	v_add_f64 v[49:50], v[49:50], -v[219:220]
	v_fma_f64 v[215:216], v[217:218], v[213:214], v[215:216]
	v_add_f64 v[51:52], v[51:52], -v[215:216]
	ds_read2_b64 v[215:218], v253 offset0:86 offset1:87
	s_waitcnt lgkmcnt(0)
	v_mul_f64 v[219:220], v[217:218], v[225:226]
	v_fma_f64 v[219:220], v[215:216], v[213:214], -v[219:220]
	v_mul_f64 v[215:216], v[215:216], v[225:226]
	v_add_f64 v[45:46], v[45:46], -v[219:220]
	v_fma_f64 v[215:216], v[217:218], v[213:214], v[215:216]
	v_add_f64 v[47:48], v[47:48], -v[215:216]
	ds_read2_b64 v[215:218], v253 offset0:88 offset1:89
	s_waitcnt lgkmcnt(0)
	v_mul_f64 v[219:220], v[217:218], v[225:226]
	v_fma_f64 v[219:220], v[215:216], v[213:214], -v[219:220]
	v_mul_f64 v[215:216], v[215:216], v[225:226]
	v_add_f64 v[41:42], v[41:42], -v[219:220]
	v_fma_f64 v[215:216], v[217:218], v[213:214], v[215:216]
	v_add_f64 v[43:44], v[43:44], -v[215:216]
	ds_read2_b64 v[215:218], v253 offset0:90 offset1:91
	s_waitcnt lgkmcnt(0)
	v_mul_f64 v[219:220], v[217:218], v[225:226]
	v_fma_f64 v[219:220], v[215:216], v[213:214], -v[219:220]
	v_mul_f64 v[215:216], v[215:216], v[225:226]
	v_add_f64 v[37:38], v[37:38], -v[219:220]
	v_fma_f64 v[215:216], v[217:218], v[213:214], v[215:216]
	v_add_f64 v[39:40], v[39:40], -v[215:216]
	ds_read2_b64 v[215:218], v253 offset0:92 offset1:93
	s_waitcnt lgkmcnt(0)
	v_mul_f64 v[219:220], v[217:218], v[225:226]
	v_fma_f64 v[219:220], v[215:216], v[213:214], -v[219:220]
	v_mul_f64 v[215:216], v[215:216], v[225:226]
	v_add_f64 v[33:34], v[33:34], -v[219:220]
	v_fma_f64 v[215:216], v[217:218], v[213:214], v[215:216]
	v_add_f64 v[35:36], v[35:36], -v[215:216]
	ds_read2_b64 v[215:218], v253 offset0:94 offset1:95
	s_waitcnt lgkmcnt(0)
	v_mul_f64 v[219:220], v[217:218], v[225:226]
	v_fma_f64 v[219:220], v[215:216], v[213:214], -v[219:220]
	v_mul_f64 v[215:216], v[215:216], v[225:226]
	v_add_f64 v[29:30], v[29:30], -v[219:220]
	v_fma_f64 v[215:216], v[217:218], v[213:214], v[215:216]
	v_add_f64 v[31:32], v[31:32], -v[215:216]
	ds_read2_b64 v[215:218], v253 offset0:96 offset1:97
	s_waitcnt lgkmcnt(0)
	v_mul_f64 v[219:220], v[217:218], v[225:226]
	v_fma_f64 v[219:220], v[215:216], v[213:214], -v[219:220]
	v_mul_f64 v[215:216], v[215:216], v[225:226]
	v_add_f64 v[25:26], v[25:26], -v[219:220]
	v_fma_f64 v[215:216], v[217:218], v[213:214], v[215:216]
	v_add_f64 v[27:28], v[27:28], -v[215:216]
	ds_read2_b64 v[215:218], v253 offset0:98 offset1:99
	s_waitcnt lgkmcnt(0)
	v_mul_f64 v[219:220], v[217:218], v[225:226]
	v_fma_f64 v[219:220], v[215:216], v[213:214], -v[219:220]
	v_mul_f64 v[215:216], v[215:216], v[225:226]
	v_add_f64 v[21:22], v[21:22], -v[219:220]
	v_fma_f64 v[215:216], v[217:218], v[213:214], v[215:216]
	v_add_f64 v[23:24], v[23:24], -v[215:216]
	ds_read2_b64 v[215:218], v253 offset0:100 offset1:101
	s_waitcnt lgkmcnt(0)
	v_mul_f64 v[219:220], v[217:218], v[225:226]
	v_fma_f64 v[219:220], v[215:216], v[213:214], -v[219:220]
	v_mul_f64 v[215:216], v[215:216], v[225:226]
	v_add_f64 v[17:18], v[17:18], -v[219:220]
	v_fma_f64 v[215:216], v[217:218], v[213:214], v[215:216]
	v_add_f64 v[19:20], v[19:20], -v[215:216]
	ds_read2_b64 v[215:218], v253 offset0:102 offset1:103
	s_waitcnt lgkmcnt(0)
	v_mul_f64 v[219:220], v[217:218], v[225:226]
	v_fma_f64 v[219:220], v[215:216], v[213:214], -v[219:220]
	v_mul_f64 v[215:216], v[215:216], v[225:226]
	v_add_f64 v[13:14], v[13:14], -v[219:220]
	v_fma_f64 v[215:216], v[217:218], v[213:214], v[215:216]
	v_add_f64 v[15:16], v[15:16], -v[215:216]
	ds_read2_b64 v[215:218], v253 offset0:104 offset1:105
	s_waitcnt lgkmcnt(0)
	v_mul_f64 v[219:220], v[217:218], v[225:226]
	v_fma_f64 v[219:220], v[215:216], v[213:214], -v[219:220]
	v_mul_f64 v[215:216], v[215:216], v[225:226]
	v_add_f64 v[9:10], v[9:10], -v[219:220]
	v_fma_f64 v[215:216], v[217:218], v[213:214], v[215:216]
	v_add_f64 v[11:12], v[11:12], -v[215:216]
	ds_read2_b64 v[215:218], v253 offset0:106 offset1:107
	s_waitcnt lgkmcnt(0)
	v_mul_f64 v[219:220], v[217:218], v[225:226]
	v_fma_f64 v[219:220], v[215:216], v[213:214], -v[219:220]
	v_mul_f64 v[215:216], v[215:216], v[225:226]
	v_add_f64 v[5:6], v[5:6], -v[219:220]
	v_fma_f64 v[215:216], v[217:218], v[213:214], v[215:216]
	v_add_f64 v[7:8], v[7:8], -v[215:216]
	ds_read2_b64 v[215:218], v253 offset0:108 offset1:109
	s_waitcnt lgkmcnt(0)
	v_mul_f64 v[219:220], v[217:218], v[225:226]
	v_fma_f64 v[219:220], v[215:216], v[213:214], -v[219:220]
	v_mul_f64 v[215:216], v[215:216], v[225:226]
	buffer_store_dword v223, off, s[16:19], 0 offset:32 ; 4-byte Folded Spill
	buffer_store_dword v224, off, s[16:19], 0 offset:36 ; 4-byte Folded Spill
	;; [unrolled: 1-line block ×4, first 2 shown]
	v_add_f64 v[1:2], v[1:2], -v[219:220]
	v_fma_f64 v[215:216], v[217:218], v[213:214], v[215:216]
	v_add_f64 v[3:4], v[3:4], -v[215:216]
.LBB109_19:
	s_or_b32 exec_lo, exec_lo, s1
	s_mov_b32 s2, exec_lo
	s_waitcnt_vscnt null, 0x0
	s_barrier
	buffer_gl0_inv
	v_cmpx_eq_u32_e32 2, v0
	s_cbranch_execz .LBB109_26
; %bb.20:
	ds_write2_b64 v255, v[249:250], v[251:252] offset1:1
	s_clause 0x3
	buffer_load_dword v213, off, s[16:19], 0 offset:16
	buffer_load_dword v214, off, s[16:19], 0 offset:20
	;; [unrolled: 1-line block ×4, first 2 shown]
	s_waitcnt vmcnt(0)
	ds_write2_b64 v253, v[213:214], v[215:216] offset0:6 offset1:7
	s_clause 0x3
	buffer_load_dword v213, off, s[16:19], 0
	buffer_load_dword v214, off, s[16:19], 0 offset:4
	buffer_load_dword v215, off, s[16:19], 0 offset:8
	;; [unrolled: 1-line block ×3, first 2 shown]
	s_waitcnt vmcnt(0)
	ds_write2_b64 v253, v[213:214], v[215:216] offset0:8 offset1:9
	ds_write2_b64 v253, v[189:190], v[191:192] offset0:10 offset1:11
	;; [unrolled: 1-line block ×51, first 2 shown]
	ds_read2_b64 v[213:216], v255 offset1:1
	s_waitcnt lgkmcnt(0)
	v_cmp_neq_f64_e32 vcc_lo, 0, v[213:214]
	v_cmp_neq_f64_e64 s1, 0, v[215:216]
	s_or_b32 s1, vcc_lo, s1
	s_and_b32 exec_lo, exec_lo, s1
	s_cbranch_execz .LBB109_26
; %bb.21:
	v_cmp_ngt_f64_e64 s1, |v[213:214]|, |v[215:216]|
                                        ; implicit-def: $vgpr217_vgpr218
	s_and_saveexec_b32 s3, s1
	s_xor_b32 s1, exec_lo, s3
                                        ; implicit-def: $vgpr219_vgpr220
	s_cbranch_execz .LBB109_23
; %bb.22:
	v_div_scale_f64 v[217:218], null, v[215:216], v[215:216], v[213:214]
	v_div_scale_f64 v[223:224], vcc_lo, v[213:214], v[215:216], v[213:214]
	v_rcp_f64_e32 v[219:220], v[217:218]
	v_fma_f64 v[221:222], -v[217:218], v[219:220], 1.0
	v_fma_f64 v[219:220], v[219:220], v[221:222], v[219:220]
	v_fma_f64 v[221:222], -v[217:218], v[219:220], 1.0
	v_fma_f64 v[219:220], v[219:220], v[221:222], v[219:220]
	v_mul_f64 v[221:222], v[223:224], v[219:220]
	v_fma_f64 v[217:218], -v[217:218], v[221:222], v[223:224]
	v_div_fmas_f64 v[217:218], v[217:218], v[219:220], v[221:222]
	v_div_fixup_f64 v[217:218], v[217:218], v[215:216], v[213:214]
	v_fma_f64 v[213:214], v[213:214], v[217:218], v[215:216]
	v_div_scale_f64 v[215:216], null, v[213:214], v[213:214], 1.0
	v_rcp_f64_e32 v[219:220], v[215:216]
	v_fma_f64 v[221:222], -v[215:216], v[219:220], 1.0
	v_fma_f64 v[219:220], v[219:220], v[221:222], v[219:220]
	v_fma_f64 v[221:222], -v[215:216], v[219:220], 1.0
	v_fma_f64 v[219:220], v[219:220], v[221:222], v[219:220]
	v_div_scale_f64 v[221:222], vcc_lo, 1.0, v[213:214], 1.0
	v_mul_f64 v[223:224], v[221:222], v[219:220]
	v_fma_f64 v[215:216], -v[215:216], v[223:224], v[221:222]
	v_div_fmas_f64 v[215:216], v[215:216], v[219:220], v[223:224]
	v_div_fixup_f64 v[219:220], v[215:216], v[213:214], 1.0
                                        ; implicit-def: $vgpr213_vgpr214
	v_mul_f64 v[217:218], v[217:218], v[219:220]
	v_xor_b32_e32 v220, 0x80000000, v220
.LBB109_23:
	s_andn2_saveexec_b32 s1, s1
	s_cbranch_execz .LBB109_25
; %bb.24:
	v_div_scale_f64 v[217:218], null, v[213:214], v[213:214], v[215:216]
	v_div_scale_f64 v[223:224], vcc_lo, v[215:216], v[213:214], v[215:216]
	v_rcp_f64_e32 v[219:220], v[217:218]
	v_fma_f64 v[221:222], -v[217:218], v[219:220], 1.0
	v_fma_f64 v[219:220], v[219:220], v[221:222], v[219:220]
	v_fma_f64 v[221:222], -v[217:218], v[219:220], 1.0
	v_fma_f64 v[219:220], v[219:220], v[221:222], v[219:220]
	v_mul_f64 v[221:222], v[223:224], v[219:220]
	v_fma_f64 v[217:218], -v[217:218], v[221:222], v[223:224]
	v_div_fmas_f64 v[217:218], v[217:218], v[219:220], v[221:222]
	v_div_fixup_f64 v[219:220], v[217:218], v[213:214], v[215:216]
	v_fma_f64 v[213:214], v[215:216], v[219:220], v[213:214]
	v_div_scale_f64 v[215:216], null, v[213:214], v[213:214], 1.0
	v_rcp_f64_e32 v[217:218], v[215:216]
	v_fma_f64 v[221:222], -v[215:216], v[217:218], 1.0
	v_fma_f64 v[217:218], v[217:218], v[221:222], v[217:218]
	v_fma_f64 v[221:222], -v[215:216], v[217:218], 1.0
	v_fma_f64 v[217:218], v[217:218], v[221:222], v[217:218]
	v_div_scale_f64 v[221:222], vcc_lo, 1.0, v[213:214], 1.0
	v_mul_f64 v[223:224], v[221:222], v[217:218]
	v_fma_f64 v[215:216], -v[215:216], v[223:224], v[221:222]
	v_div_fmas_f64 v[215:216], v[215:216], v[217:218], v[223:224]
	v_div_fixup_f64 v[217:218], v[215:216], v[213:214], 1.0
	v_mul_f64 v[219:220], v[219:220], -v[217:218]
.LBB109_25:
	s_or_b32 exec_lo, exec_lo, s1
	ds_write2_b64 v255, v[217:218], v[219:220] offset1:1
.LBB109_26:
	s_or_b32 exec_lo, exec_lo, s2
	s_waitcnt lgkmcnt(0)
	s_barrier
	buffer_gl0_inv
	ds_read2_b64 v[213:216], v255 offset1:1
	s_mov_b32 s1, exec_lo
	s_waitcnt lgkmcnt(0)
	buffer_store_dword v213, off, s[16:19], 0 offset:488 ; 4-byte Folded Spill
	buffer_store_dword v214, off, s[16:19], 0 offset:492 ; 4-byte Folded Spill
	;; [unrolled: 1-line block ×4, first 2 shown]
	v_cmpx_lt_u32_e32 2, v0
	s_cbranch_execz .LBB109_28
; %bb.27:
	s_clause 0x3
	buffer_load_dword v215, off, s[16:19], 0 offset:488
	buffer_load_dword v216, off, s[16:19], 0 offset:492
	;; [unrolled: 1-line block ×4, first 2 shown]
	v_mov_b32_e32 v222, v212
	v_mov_b32_e32 v221, v211
	;; [unrolled: 1-line block ×4, first 2 shown]
	s_waitcnt vmcnt(2)
	v_mul_f64 v[211:212], v[215:216], v[251:252]
	s_waitcnt vmcnt(0)
	v_mul_f64 v[213:214], v[217:218], v[251:252]
	v_fma_f64 v[251:252], v[217:218], v[249:250], v[211:212]
	v_fma_f64 v[213:214], v[215:216], v[249:250], -v[213:214]
	ds_read2_b64 v[215:218], v253 offset0:6 offset1:7
	s_clause 0x3
	buffer_load_dword v223, off, s[16:19], 0 offset:16
	buffer_load_dword v224, off, s[16:19], 0 offset:20
	;; [unrolled: 1-line block ×4, first 2 shown]
	s_waitcnt lgkmcnt(0)
	v_mul_f64 v[209:210], v[217:218], v[251:252]
	v_mov_b32_e32 v250, v214
	v_mov_b32_e32 v249, v213
	v_fma_f64 v[209:210], v[215:216], v[213:214], -v[209:210]
	v_mul_f64 v[215:216], v[215:216], v[251:252]
	v_fma_f64 v[215:216], v[217:218], v[213:214], v[215:216]
	s_waitcnt vmcnt(2)
	v_add_f64 v[223:224], v[223:224], -v[209:210]
	s_waitcnt vmcnt(0)
	v_add_f64 v[225:226], v[225:226], -v[215:216]
	buffer_store_dword v223, off, s[16:19], 0 offset:16 ; 4-byte Folded Spill
	buffer_store_dword v224, off, s[16:19], 0 offset:20 ; 4-byte Folded Spill
	;; [unrolled: 1-line block ×4, first 2 shown]
	ds_read2_b64 v[215:218], v253 offset0:8 offset1:9
	s_clause 0x3
	buffer_load_dword v223, off, s[16:19], 0
	buffer_load_dword v224, off, s[16:19], 0 offset:4
	buffer_load_dword v225, off, s[16:19], 0 offset:8
	;; [unrolled: 1-line block ×3, first 2 shown]
	s_waitcnt lgkmcnt(0)
	v_mul_f64 v[209:210], v[217:218], v[251:252]
	v_fma_f64 v[209:210], v[215:216], v[213:214], -v[209:210]
	v_mul_f64 v[215:216], v[215:216], v[251:252]
	v_fma_f64 v[215:216], v[217:218], v[213:214], v[215:216]
	s_waitcnt vmcnt(2)
	v_add_f64 v[223:224], v[223:224], -v[209:210]
	s_waitcnt vmcnt(0)
	v_add_f64 v[225:226], v[225:226], -v[215:216]
	buffer_store_dword v223, off, s[16:19], 0 ; 4-byte Folded Spill
	buffer_store_dword v224, off, s[16:19], 0 offset:4 ; 4-byte Folded Spill
	buffer_store_dword v225, off, s[16:19], 0 offset:8 ; 4-byte Folded Spill
	;; [unrolled: 1-line block ×3, first 2 shown]
	ds_read2_b64 v[215:218], v253 offset0:10 offset1:11
	s_waitcnt lgkmcnt(0)
	v_mul_f64 v[209:210], v[217:218], v[251:252]
	v_fma_f64 v[209:210], v[215:216], v[213:214], -v[209:210]
	v_mul_f64 v[215:216], v[215:216], v[251:252]
	v_add_f64 v[189:190], v[189:190], -v[209:210]
	v_fma_f64 v[215:216], v[217:218], v[213:214], v[215:216]
	v_add_f64 v[191:192], v[191:192], -v[215:216]
	ds_read2_b64 v[215:218], v253 offset0:12 offset1:13
	s_waitcnt lgkmcnt(0)
	v_mul_f64 v[209:210], v[217:218], v[251:252]
	v_fma_f64 v[209:210], v[215:216], v[213:214], -v[209:210]
	v_mul_f64 v[215:216], v[215:216], v[251:252]
	v_add_f64 v[241:242], v[241:242], -v[209:210]
	v_fma_f64 v[215:216], v[217:218], v[213:214], v[215:216]
	v_add_f64 v[243:244], v[243:244], -v[215:216]
	;; [unrolled: 8-line block ×49, first 2 shown]
	ds_read2_b64 v[215:218], v253 offset0:108 offset1:109
	s_waitcnt lgkmcnt(0)
	v_mul_f64 v[209:210], v[217:218], v[251:252]
	v_fma_f64 v[209:210], v[215:216], v[213:214], -v[209:210]
	v_mul_f64 v[215:216], v[215:216], v[251:252]
	v_add_f64 v[1:2], v[1:2], -v[209:210]
	v_fma_f64 v[215:216], v[217:218], v[213:214], v[215:216]
	v_mov_b32_e32 v209, v219
	v_mov_b32_e32 v210, v220
	;; [unrolled: 1-line block ×4, first 2 shown]
	v_add_f64 v[3:4], v[3:4], -v[215:216]
.LBB109_28:
	s_or_b32 exec_lo, exec_lo, s1
	s_mov_b32 s2, exec_lo
	s_waitcnt_vscnt null, 0x0
	s_barrier
	buffer_gl0_inv
	v_cmpx_eq_u32_e32 3, v0
	s_cbranch_execz .LBB109_35
; %bb.29:
	s_clause 0x3
	buffer_load_dword v213, off, s[16:19], 0 offset:16
	buffer_load_dword v214, off, s[16:19], 0 offset:20
	;; [unrolled: 1-line block ×4, first 2 shown]
	s_waitcnt vmcnt(0)
	ds_write2_b64 v255, v[213:214], v[215:216] offset1:1
	s_clause 0x3
	buffer_load_dword v213, off, s[16:19], 0
	buffer_load_dword v214, off, s[16:19], 0 offset:4
	buffer_load_dword v215, off, s[16:19], 0 offset:8
	;; [unrolled: 1-line block ×3, first 2 shown]
	s_waitcnt vmcnt(0)
	ds_write2_b64 v253, v[213:214], v[215:216] offset0:8 offset1:9
	ds_write2_b64 v253, v[189:190], v[191:192] offset0:10 offset1:11
	;; [unrolled: 1-line block ×51, first 2 shown]
	ds_read2_b64 v[213:216], v255 offset1:1
	s_waitcnt lgkmcnt(0)
	v_cmp_neq_f64_e32 vcc_lo, 0, v[213:214]
	v_cmp_neq_f64_e64 s1, 0, v[215:216]
	s_or_b32 s1, vcc_lo, s1
	s_and_b32 exec_lo, exec_lo, s1
	s_cbranch_execz .LBB109_35
; %bb.30:
	v_cmp_ngt_f64_e64 s1, |v[213:214]|, |v[215:216]|
                                        ; implicit-def: $vgpr217_vgpr218
	s_and_saveexec_b32 s3, s1
	s_xor_b32 s1, exec_lo, s3
                                        ; implicit-def: $vgpr219_vgpr220
	s_cbranch_execz .LBB109_32
; %bb.31:
	v_div_scale_f64 v[217:218], null, v[215:216], v[215:216], v[213:214]
	v_div_scale_f64 v[223:224], vcc_lo, v[213:214], v[215:216], v[213:214]
	v_rcp_f64_e32 v[219:220], v[217:218]
	v_fma_f64 v[221:222], -v[217:218], v[219:220], 1.0
	v_fma_f64 v[219:220], v[219:220], v[221:222], v[219:220]
	v_fma_f64 v[221:222], -v[217:218], v[219:220], 1.0
	v_fma_f64 v[219:220], v[219:220], v[221:222], v[219:220]
	v_mul_f64 v[221:222], v[223:224], v[219:220]
	v_fma_f64 v[217:218], -v[217:218], v[221:222], v[223:224]
	v_div_fmas_f64 v[217:218], v[217:218], v[219:220], v[221:222]
	v_div_fixup_f64 v[217:218], v[217:218], v[215:216], v[213:214]
	v_fma_f64 v[213:214], v[213:214], v[217:218], v[215:216]
	v_div_scale_f64 v[215:216], null, v[213:214], v[213:214], 1.0
	v_rcp_f64_e32 v[219:220], v[215:216]
	v_fma_f64 v[221:222], -v[215:216], v[219:220], 1.0
	v_fma_f64 v[219:220], v[219:220], v[221:222], v[219:220]
	v_fma_f64 v[221:222], -v[215:216], v[219:220], 1.0
	v_fma_f64 v[219:220], v[219:220], v[221:222], v[219:220]
	v_div_scale_f64 v[221:222], vcc_lo, 1.0, v[213:214], 1.0
	v_mul_f64 v[223:224], v[221:222], v[219:220]
	v_fma_f64 v[215:216], -v[215:216], v[223:224], v[221:222]
	v_div_fmas_f64 v[215:216], v[215:216], v[219:220], v[223:224]
	v_div_fixup_f64 v[219:220], v[215:216], v[213:214], 1.0
                                        ; implicit-def: $vgpr213_vgpr214
	v_mul_f64 v[217:218], v[217:218], v[219:220]
	v_xor_b32_e32 v220, 0x80000000, v220
.LBB109_32:
	s_andn2_saveexec_b32 s1, s1
	s_cbranch_execz .LBB109_34
; %bb.33:
	v_div_scale_f64 v[217:218], null, v[213:214], v[213:214], v[215:216]
	v_div_scale_f64 v[223:224], vcc_lo, v[215:216], v[213:214], v[215:216]
	v_rcp_f64_e32 v[219:220], v[217:218]
	v_fma_f64 v[221:222], -v[217:218], v[219:220], 1.0
	v_fma_f64 v[219:220], v[219:220], v[221:222], v[219:220]
	v_fma_f64 v[221:222], -v[217:218], v[219:220], 1.0
	v_fma_f64 v[219:220], v[219:220], v[221:222], v[219:220]
	v_mul_f64 v[221:222], v[223:224], v[219:220]
	v_fma_f64 v[217:218], -v[217:218], v[221:222], v[223:224]
	v_div_fmas_f64 v[217:218], v[217:218], v[219:220], v[221:222]
	v_div_fixup_f64 v[219:220], v[217:218], v[213:214], v[215:216]
	v_fma_f64 v[213:214], v[215:216], v[219:220], v[213:214]
	v_div_scale_f64 v[215:216], null, v[213:214], v[213:214], 1.0
	v_rcp_f64_e32 v[217:218], v[215:216]
	v_fma_f64 v[221:222], -v[215:216], v[217:218], 1.0
	v_fma_f64 v[217:218], v[217:218], v[221:222], v[217:218]
	v_fma_f64 v[221:222], -v[215:216], v[217:218], 1.0
	v_fma_f64 v[217:218], v[217:218], v[221:222], v[217:218]
	v_div_scale_f64 v[221:222], vcc_lo, 1.0, v[213:214], 1.0
	v_mul_f64 v[223:224], v[221:222], v[217:218]
	v_fma_f64 v[215:216], -v[215:216], v[223:224], v[221:222]
	v_div_fmas_f64 v[215:216], v[215:216], v[217:218], v[223:224]
	v_div_fixup_f64 v[217:218], v[215:216], v[213:214], 1.0
	v_mul_f64 v[219:220], v[219:220], -v[217:218]
.LBB109_34:
	s_or_b32 exec_lo, exec_lo, s1
	ds_write2_b64 v255, v[217:218], v[219:220] offset1:1
.LBB109_35:
	s_or_b32 exec_lo, exec_lo, s2
	s_waitcnt lgkmcnt(0)
	s_barrier
	buffer_gl0_inv
	ds_read2_b64 v[213:216], v255 offset1:1
	s_mov_b32 s1, exec_lo
	s_waitcnt lgkmcnt(0)
	buffer_store_dword v213, off, s[16:19], 0 offset:504 ; 4-byte Folded Spill
	buffer_store_dword v214, off, s[16:19], 0 offset:508 ; 4-byte Folded Spill
	;; [unrolled: 1-line block ×4, first 2 shown]
	v_cmpx_lt_u32_e32 3, v0
	s_cbranch_execz .LBB109_37
; %bb.36:
	s_clause 0x7
	buffer_load_dword v219, off, s[16:19], 0 offset:16
	buffer_load_dword v220, off, s[16:19], 0 offset:20
	;; [unrolled: 1-line block ×8, first 2 shown]
	v_mov_b32_e32 v205, v207
	v_mov_b32_e32 v206, v208
	s_waitcnt vmcnt(2)
	v_mul_f64 v[207:208], v[215:216], v[221:222]
	s_waitcnt vmcnt(0)
	v_mul_f64 v[213:214], v[217:218], v[221:222]
	v_fma_f64 v[221:222], v[217:218], v[219:220], v[207:208]
	v_mov_b32_e32 v208, v206
	v_fma_f64 v[213:214], v[215:216], v[219:220], -v[213:214]
	ds_read2_b64 v[215:218], v253 offset0:8 offset1:9
	v_mov_b32_e32 v207, v205
	s_waitcnt lgkmcnt(0)
	v_mul_f64 v[205:206], v[217:218], v[221:222]
	v_fma_f64 v[205:206], v[215:216], v[213:214], -v[205:206]
	v_mul_f64 v[215:216], v[215:216], v[221:222]
	v_fma_f64 v[215:216], v[217:218], v[213:214], v[215:216]
	s_clause 0x3
	buffer_load_dword v217, off, s[16:19], 0
	buffer_load_dword v218, off, s[16:19], 0 offset:4
	buffer_load_dword v219, off, s[16:19], 0 offset:8
	;; [unrolled: 1-line block ×3, first 2 shown]
	s_waitcnt vmcnt(2)
	v_add_f64 v[217:218], v[217:218], -v[205:206]
	s_waitcnt vmcnt(0)
	v_add_f64 v[219:220], v[219:220], -v[215:216]
	buffer_store_dword v217, off, s[16:19], 0 ; 4-byte Folded Spill
	buffer_store_dword v218, off, s[16:19], 0 offset:4 ; 4-byte Folded Spill
	buffer_store_dword v219, off, s[16:19], 0 offset:8 ; 4-byte Folded Spill
	;; [unrolled: 1-line block ×3, first 2 shown]
	ds_read2_b64 v[215:218], v253 offset0:10 offset1:11
	v_mov_b32_e32 v220, v214
	v_mov_b32_e32 v219, v213
	s_waitcnt lgkmcnt(0)
	v_mul_f64 v[205:206], v[217:218], v[221:222]
	v_fma_f64 v[205:206], v[215:216], v[213:214], -v[205:206]
	v_mul_f64 v[215:216], v[215:216], v[221:222]
	v_add_f64 v[189:190], v[189:190], -v[205:206]
	v_fma_f64 v[215:216], v[217:218], v[213:214], v[215:216]
	v_add_f64 v[191:192], v[191:192], -v[215:216]
	ds_read2_b64 v[215:218], v253 offset0:12 offset1:13
	s_waitcnt lgkmcnt(0)
	v_mul_f64 v[205:206], v[217:218], v[221:222]
	v_fma_f64 v[205:206], v[215:216], v[213:214], -v[205:206]
	v_mul_f64 v[215:216], v[215:216], v[221:222]
	v_add_f64 v[241:242], v[241:242], -v[205:206]
	v_fma_f64 v[215:216], v[217:218], v[213:214], v[215:216]
	v_add_f64 v[243:244], v[243:244], -v[215:216]
	ds_read2_b64 v[215:218], v253 offset0:14 offset1:15
	;; [unrolled: 8-line block ×49, first 2 shown]
	s_waitcnt lgkmcnt(0)
	v_mul_f64 v[205:206], v[217:218], v[221:222]
	v_fma_f64 v[205:206], v[215:216], v[213:214], -v[205:206]
	v_mul_f64 v[215:216], v[215:216], v[221:222]
	buffer_store_dword v219, off, s[16:19], 0 offset:16 ; 4-byte Folded Spill
	buffer_store_dword v220, off, s[16:19], 0 offset:20 ; 4-byte Folded Spill
	;; [unrolled: 1-line block ×4, first 2 shown]
	v_add_f64 v[1:2], v[1:2], -v[205:206]
	v_fma_f64 v[215:216], v[217:218], v[213:214], v[215:216]
	v_add_f64 v[3:4], v[3:4], -v[215:216]
.LBB109_37:
	s_or_b32 exec_lo, exec_lo, s1
	s_mov_b32 s2, exec_lo
	s_waitcnt_vscnt null, 0x0
	s_barrier
	buffer_gl0_inv
	v_cmpx_eq_u32_e32 4, v0
	s_cbranch_execz .LBB109_44
; %bb.38:
	s_clause 0x3
	buffer_load_dword v213, off, s[16:19], 0
	buffer_load_dword v214, off, s[16:19], 0 offset:4
	buffer_load_dword v215, off, s[16:19], 0 offset:8
	;; [unrolled: 1-line block ×3, first 2 shown]
	s_waitcnt vmcnt(0)
	ds_write2_b64 v255, v[213:214], v[215:216] offset1:1
	ds_write2_b64 v253, v[189:190], v[191:192] offset0:10 offset1:11
	ds_write2_b64 v253, v[241:242], v[243:244] offset0:12 offset1:13
	;; [unrolled: 1-line block ×50, first 2 shown]
	ds_read2_b64 v[213:216], v255 offset1:1
	s_waitcnt lgkmcnt(0)
	v_cmp_neq_f64_e32 vcc_lo, 0, v[213:214]
	v_cmp_neq_f64_e64 s1, 0, v[215:216]
	s_or_b32 s1, vcc_lo, s1
	s_and_b32 exec_lo, exec_lo, s1
	s_cbranch_execz .LBB109_44
; %bb.39:
	v_cmp_ngt_f64_e64 s1, |v[213:214]|, |v[215:216]|
                                        ; implicit-def: $vgpr217_vgpr218
	s_and_saveexec_b32 s3, s1
	s_xor_b32 s1, exec_lo, s3
                                        ; implicit-def: $vgpr219_vgpr220
	s_cbranch_execz .LBB109_41
; %bb.40:
	v_div_scale_f64 v[217:218], null, v[215:216], v[215:216], v[213:214]
	v_div_scale_f64 v[223:224], vcc_lo, v[213:214], v[215:216], v[213:214]
	v_rcp_f64_e32 v[219:220], v[217:218]
	v_fma_f64 v[221:222], -v[217:218], v[219:220], 1.0
	v_fma_f64 v[219:220], v[219:220], v[221:222], v[219:220]
	v_fma_f64 v[221:222], -v[217:218], v[219:220], 1.0
	v_fma_f64 v[219:220], v[219:220], v[221:222], v[219:220]
	v_mul_f64 v[221:222], v[223:224], v[219:220]
	v_fma_f64 v[217:218], -v[217:218], v[221:222], v[223:224]
	v_div_fmas_f64 v[217:218], v[217:218], v[219:220], v[221:222]
	v_div_fixup_f64 v[217:218], v[217:218], v[215:216], v[213:214]
	v_fma_f64 v[213:214], v[213:214], v[217:218], v[215:216]
	v_div_scale_f64 v[215:216], null, v[213:214], v[213:214], 1.0
	v_rcp_f64_e32 v[219:220], v[215:216]
	v_fma_f64 v[221:222], -v[215:216], v[219:220], 1.0
	v_fma_f64 v[219:220], v[219:220], v[221:222], v[219:220]
	v_fma_f64 v[221:222], -v[215:216], v[219:220], 1.0
	v_fma_f64 v[219:220], v[219:220], v[221:222], v[219:220]
	v_div_scale_f64 v[221:222], vcc_lo, 1.0, v[213:214], 1.0
	v_mul_f64 v[223:224], v[221:222], v[219:220]
	v_fma_f64 v[215:216], -v[215:216], v[223:224], v[221:222]
	v_div_fmas_f64 v[215:216], v[215:216], v[219:220], v[223:224]
	v_div_fixup_f64 v[219:220], v[215:216], v[213:214], 1.0
                                        ; implicit-def: $vgpr213_vgpr214
	v_mul_f64 v[217:218], v[217:218], v[219:220]
	v_xor_b32_e32 v220, 0x80000000, v220
.LBB109_41:
	s_andn2_saveexec_b32 s1, s1
	s_cbranch_execz .LBB109_43
; %bb.42:
	v_div_scale_f64 v[217:218], null, v[213:214], v[213:214], v[215:216]
	v_div_scale_f64 v[223:224], vcc_lo, v[215:216], v[213:214], v[215:216]
	v_rcp_f64_e32 v[219:220], v[217:218]
	v_fma_f64 v[221:222], -v[217:218], v[219:220], 1.0
	v_fma_f64 v[219:220], v[219:220], v[221:222], v[219:220]
	v_fma_f64 v[221:222], -v[217:218], v[219:220], 1.0
	v_fma_f64 v[219:220], v[219:220], v[221:222], v[219:220]
	v_mul_f64 v[221:222], v[223:224], v[219:220]
	v_fma_f64 v[217:218], -v[217:218], v[221:222], v[223:224]
	v_div_fmas_f64 v[217:218], v[217:218], v[219:220], v[221:222]
	v_div_fixup_f64 v[219:220], v[217:218], v[213:214], v[215:216]
	v_fma_f64 v[213:214], v[215:216], v[219:220], v[213:214]
	v_div_scale_f64 v[215:216], null, v[213:214], v[213:214], 1.0
	v_rcp_f64_e32 v[217:218], v[215:216]
	v_fma_f64 v[221:222], -v[215:216], v[217:218], 1.0
	v_fma_f64 v[217:218], v[217:218], v[221:222], v[217:218]
	v_fma_f64 v[221:222], -v[215:216], v[217:218], 1.0
	v_fma_f64 v[217:218], v[217:218], v[221:222], v[217:218]
	v_div_scale_f64 v[221:222], vcc_lo, 1.0, v[213:214], 1.0
	v_mul_f64 v[223:224], v[221:222], v[217:218]
	v_fma_f64 v[215:216], -v[215:216], v[223:224], v[221:222]
	v_div_fmas_f64 v[215:216], v[215:216], v[217:218], v[223:224]
	v_div_fixup_f64 v[217:218], v[215:216], v[213:214], 1.0
	v_mul_f64 v[219:220], v[219:220], -v[217:218]
.LBB109_43:
	s_or_b32 exec_lo, exec_lo, s1
	ds_write2_b64 v255, v[217:218], v[219:220] offset1:1
.LBB109_44:
	s_or_b32 exec_lo, exec_lo, s2
	s_waitcnt lgkmcnt(0)
	s_barrier
	buffer_gl0_inv
	ds_read2_b64 v[213:216], v255 offset1:1
	s_mov_b32 s1, exec_lo
	s_waitcnt lgkmcnt(0)
	buffer_store_dword v213, off, s[16:19], 0 offset:520 ; 4-byte Folded Spill
	buffer_store_dword v214, off, s[16:19], 0 offset:524 ; 4-byte Folded Spill
	buffer_store_dword v215, off, s[16:19], 0 offset:528 ; 4-byte Folded Spill
	buffer_store_dword v216, off, s[16:19], 0 offset:532 ; 4-byte Folded Spill
	v_cmpx_lt_u32_e32 4, v0
	s_cbranch_execz .LBB109_46
; %bb.45:
	s_clause 0x7
	buffer_load_dword v217, off, s[16:19], 0
	buffer_load_dword v218, off, s[16:19], 0 offset:4
	buffer_load_dword v219, off, s[16:19], 0 offset:8
	;; [unrolled: 1-line block ×7, first 2 shown]
	s_waitcnt vmcnt(2)
	v_mul_f64 v[203:204], v[221:222], v[219:220]
	s_waitcnt vmcnt(0)
	v_mul_f64 v[213:214], v[223:224], v[219:220]
	v_fma_f64 v[219:220], v[223:224], v[217:218], v[203:204]
	v_fma_f64 v[213:214], v[221:222], v[217:218], -v[213:214]
	ds_read2_b64 v[215:218], v253 offset0:10 offset1:11
	s_waitcnt lgkmcnt(0)
	v_mul_f64 v[201:202], v[217:218], v[219:220]
	v_fma_f64 v[201:202], v[215:216], v[213:214], -v[201:202]
	v_mul_f64 v[215:216], v[215:216], v[219:220]
	v_add_f64 v[189:190], v[189:190], -v[201:202]
	v_fma_f64 v[215:216], v[217:218], v[213:214], v[215:216]
	v_add_f64 v[191:192], v[191:192], -v[215:216]
	ds_read2_b64 v[215:218], v253 offset0:12 offset1:13
	s_waitcnt lgkmcnt(0)
	v_mul_f64 v[201:202], v[217:218], v[219:220]
	v_fma_f64 v[201:202], v[215:216], v[213:214], -v[201:202]
	v_mul_f64 v[215:216], v[215:216], v[219:220]
	v_add_f64 v[241:242], v[241:242], -v[201:202]
	v_fma_f64 v[215:216], v[217:218], v[213:214], v[215:216]
	v_add_f64 v[243:244], v[243:244], -v[215:216]
	;; [unrolled: 8-line block ×49, first 2 shown]
	ds_read2_b64 v[215:218], v253 offset0:108 offset1:109
	s_waitcnt lgkmcnt(0)
	v_mul_f64 v[201:202], v[217:218], v[219:220]
	v_fma_f64 v[201:202], v[215:216], v[213:214], -v[201:202]
	v_mul_f64 v[215:216], v[215:216], v[219:220]
	v_add_f64 v[1:2], v[1:2], -v[201:202]
	v_fma_f64 v[215:216], v[217:218], v[213:214], v[215:216]
	v_mov_b32_e32 v218, v214
	v_mov_b32_e32 v217, v213
	buffer_store_dword v217, off, s[16:19], 0 ; 4-byte Folded Spill
	buffer_store_dword v218, off, s[16:19], 0 offset:4 ; 4-byte Folded Spill
	buffer_store_dword v219, off, s[16:19], 0 offset:8 ; 4-byte Folded Spill
	;; [unrolled: 1-line block ×3, first 2 shown]
	v_add_f64 v[3:4], v[3:4], -v[215:216]
.LBB109_46:
	s_or_b32 exec_lo, exec_lo, s1
	s_mov_b32 s2, exec_lo
	s_waitcnt_vscnt null, 0x0
	s_barrier
	buffer_gl0_inv
	v_cmpx_eq_u32_e32 5, v0
	s_cbranch_execz .LBB109_53
; %bb.47:
	ds_write2_b64 v255, v[189:190], v[191:192] offset1:1
	ds_write2_b64 v253, v[241:242], v[243:244] offset0:12 offset1:13
	ds_write2_b64 v253, v[209:210], v[211:212] offset0:14 offset1:15
	;; [unrolled: 1-line block ×49, first 2 shown]
	ds_read2_b64 v[213:216], v255 offset1:1
	s_waitcnt lgkmcnt(0)
	v_cmp_neq_f64_e32 vcc_lo, 0, v[213:214]
	v_cmp_neq_f64_e64 s1, 0, v[215:216]
	s_or_b32 s1, vcc_lo, s1
	s_and_b32 exec_lo, exec_lo, s1
	s_cbranch_execz .LBB109_53
; %bb.48:
	v_cmp_ngt_f64_e64 s1, |v[213:214]|, |v[215:216]|
                                        ; implicit-def: $vgpr217_vgpr218
	s_and_saveexec_b32 s3, s1
	s_xor_b32 s1, exec_lo, s3
                                        ; implicit-def: $vgpr219_vgpr220
	s_cbranch_execz .LBB109_50
; %bb.49:
	v_div_scale_f64 v[217:218], null, v[215:216], v[215:216], v[213:214]
	v_div_scale_f64 v[223:224], vcc_lo, v[213:214], v[215:216], v[213:214]
	v_rcp_f64_e32 v[219:220], v[217:218]
	v_fma_f64 v[221:222], -v[217:218], v[219:220], 1.0
	v_fma_f64 v[219:220], v[219:220], v[221:222], v[219:220]
	v_fma_f64 v[221:222], -v[217:218], v[219:220], 1.0
	v_fma_f64 v[219:220], v[219:220], v[221:222], v[219:220]
	v_mul_f64 v[221:222], v[223:224], v[219:220]
	v_fma_f64 v[217:218], -v[217:218], v[221:222], v[223:224]
	v_div_fmas_f64 v[217:218], v[217:218], v[219:220], v[221:222]
	v_div_fixup_f64 v[217:218], v[217:218], v[215:216], v[213:214]
	v_fma_f64 v[213:214], v[213:214], v[217:218], v[215:216]
	v_div_scale_f64 v[215:216], null, v[213:214], v[213:214], 1.0
	v_rcp_f64_e32 v[219:220], v[215:216]
	v_fma_f64 v[221:222], -v[215:216], v[219:220], 1.0
	v_fma_f64 v[219:220], v[219:220], v[221:222], v[219:220]
	v_fma_f64 v[221:222], -v[215:216], v[219:220], 1.0
	v_fma_f64 v[219:220], v[219:220], v[221:222], v[219:220]
	v_div_scale_f64 v[221:222], vcc_lo, 1.0, v[213:214], 1.0
	v_mul_f64 v[223:224], v[221:222], v[219:220]
	v_fma_f64 v[215:216], -v[215:216], v[223:224], v[221:222]
	v_div_fmas_f64 v[215:216], v[215:216], v[219:220], v[223:224]
	v_div_fixup_f64 v[219:220], v[215:216], v[213:214], 1.0
                                        ; implicit-def: $vgpr213_vgpr214
	v_mul_f64 v[217:218], v[217:218], v[219:220]
	v_xor_b32_e32 v220, 0x80000000, v220
.LBB109_50:
	s_andn2_saveexec_b32 s1, s1
	s_cbranch_execz .LBB109_52
; %bb.51:
	v_div_scale_f64 v[217:218], null, v[213:214], v[213:214], v[215:216]
	v_div_scale_f64 v[223:224], vcc_lo, v[215:216], v[213:214], v[215:216]
	v_rcp_f64_e32 v[219:220], v[217:218]
	v_fma_f64 v[221:222], -v[217:218], v[219:220], 1.0
	v_fma_f64 v[219:220], v[219:220], v[221:222], v[219:220]
	v_fma_f64 v[221:222], -v[217:218], v[219:220], 1.0
	v_fma_f64 v[219:220], v[219:220], v[221:222], v[219:220]
	v_mul_f64 v[221:222], v[223:224], v[219:220]
	v_fma_f64 v[217:218], -v[217:218], v[221:222], v[223:224]
	v_div_fmas_f64 v[217:218], v[217:218], v[219:220], v[221:222]
	v_div_fixup_f64 v[219:220], v[217:218], v[213:214], v[215:216]
	v_fma_f64 v[213:214], v[215:216], v[219:220], v[213:214]
	v_div_scale_f64 v[215:216], null, v[213:214], v[213:214], 1.0
	v_rcp_f64_e32 v[217:218], v[215:216]
	v_fma_f64 v[221:222], -v[215:216], v[217:218], 1.0
	v_fma_f64 v[217:218], v[217:218], v[221:222], v[217:218]
	v_fma_f64 v[221:222], -v[215:216], v[217:218], 1.0
	v_fma_f64 v[217:218], v[217:218], v[221:222], v[217:218]
	v_div_scale_f64 v[221:222], vcc_lo, 1.0, v[213:214], 1.0
	v_mul_f64 v[223:224], v[221:222], v[217:218]
	v_fma_f64 v[215:216], -v[215:216], v[223:224], v[221:222]
	v_div_fmas_f64 v[215:216], v[215:216], v[217:218], v[223:224]
	v_div_fixup_f64 v[217:218], v[215:216], v[213:214], 1.0
	v_mul_f64 v[219:220], v[219:220], -v[217:218]
.LBB109_52:
	s_or_b32 exec_lo, exec_lo, s1
	ds_write2_b64 v255, v[217:218], v[219:220] offset1:1
.LBB109_53:
	s_or_b32 exec_lo, exec_lo, s2
	s_waitcnt lgkmcnt(0)
	s_barrier
	buffer_gl0_inv
	ds_read2_b64 v[213:216], v255 offset1:1
	s_mov_b32 s1, exec_lo
	s_waitcnt lgkmcnt(0)
	buffer_store_dword v213, off, s[16:19], 0 offset:536 ; 4-byte Folded Spill
	buffer_store_dword v214, off, s[16:19], 0 offset:540 ; 4-byte Folded Spill
	buffer_store_dword v215, off, s[16:19], 0 offset:544 ; 4-byte Folded Spill
	buffer_store_dword v216, off, s[16:19], 0 offset:548 ; 4-byte Folded Spill
	v_cmpx_lt_u32_e32 5, v0
	s_cbranch_execz .LBB109_55
; %bb.54:
	s_clause 0x3
	buffer_load_dword v215, off, s[16:19], 0 offset:536
	buffer_load_dword v216, off, s[16:19], 0 offset:540
	buffer_load_dword v217, off, s[16:19], 0 offset:544
	buffer_load_dword v218, off, s[16:19], 0 offset:548
	v_mov_b32_e32 v206, v198
	v_mov_b32_e32 v205, v197
	;; [unrolled: 1-line block ×4, first 2 shown]
	s_waitcnt vmcnt(2)
	v_mul_f64 v[199:200], v[215:216], v[191:192]
	s_waitcnt vmcnt(0)
	v_mul_f64 v[213:214], v[217:218], v[191:192]
	v_fma_f64 v[191:192], v[217:218], v[189:190], v[199:200]
	v_mov_b32_e32 v200, v198
	v_fma_f64 v[213:214], v[215:216], v[189:190], -v[213:214]
	ds_read2_b64 v[215:218], v253 offset0:12 offset1:13
	v_mov_b32_e32 v199, v197
	s_waitcnt lgkmcnt(0)
	v_mul_f64 v[197:198], v[217:218], v[191:192]
	v_mov_b32_e32 v189, v213
	v_mov_b32_e32 v190, v214
	v_fma_f64 v[197:198], v[215:216], v[213:214], -v[197:198]
	v_mul_f64 v[215:216], v[215:216], v[191:192]
	v_add_f64 v[241:242], v[241:242], -v[197:198]
	v_fma_f64 v[215:216], v[217:218], v[213:214], v[215:216]
	v_add_f64 v[243:244], v[243:244], -v[215:216]
	ds_read2_b64 v[215:218], v253 offset0:14 offset1:15
	s_waitcnt lgkmcnt(0)
	v_mul_f64 v[197:198], v[217:218], v[191:192]
	v_fma_f64 v[197:198], v[215:216], v[213:214], -v[197:198]
	v_mul_f64 v[215:216], v[215:216], v[191:192]
	v_add_f64 v[209:210], v[209:210], -v[197:198]
	v_fma_f64 v[215:216], v[217:218], v[213:214], v[215:216]
	v_add_f64 v[211:212], v[211:212], -v[215:216]
	ds_read2_b64 v[215:218], v253 offset0:16 offset1:17
	s_waitcnt lgkmcnt(0)
	v_mul_f64 v[197:198], v[217:218], v[191:192]
	;; [unrolled: 8-line block ×48, first 2 shown]
	v_fma_f64 v[197:198], v[215:216], v[213:214], -v[197:198]
	v_mul_f64 v[215:216], v[215:216], v[191:192]
	v_add_f64 v[1:2], v[1:2], -v[197:198]
	v_fma_f64 v[215:216], v[217:218], v[213:214], v[215:216]
	v_mov_b32_e32 v197, v205
	v_mov_b32_e32 v198, v206
	v_add_f64 v[3:4], v[3:4], -v[215:216]
.LBB109_55:
	s_or_b32 exec_lo, exec_lo, s1
	s_mov_b32 s2, exec_lo
	s_waitcnt_vscnt null, 0x0
	s_barrier
	buffer_gl0_inv
	v_cmpx_eq_u32_e32 6, v0
	s_cbranch_execz .LBB109_62
; %bb.56:
	ds_write2_b64 v255, v[241:242], v[243:244] offset1:1
	ds_write2_b64 v253, v[209:210], v[211:212] offset0:14 offset1:15
	ds_write2_b64 v253, v[185:186], v[187:188] offset0:16 offset1:17
	;; [unrolled: 1-line block ×48, first 2 shown]
	ds_read2_b64 v[213:216], v255 offset1:1
	s_waitcnt lgkmcnt(0)
	v_cmp_neq_f64_e32 vcc_lo, 0, v[213:214]
	v_cmp_neq_f64_e64 s1, 0, v[215:216]
	s_or_b32 s1, vcc_lo, s1
	s_and_b32 exec_lo, exec_lo, s1
	s_cbranch_execz .LBB109_62
; %bb.57:
	v_cmp_ngt_f64_e64 s1, |v[213:214]|, |v[215:216]|
                                        ; implicit-def: $vgpr217_vgpr218
	s_and_saveexec_b32 s3, s1
	s_xor_b32 s1, exec_lo, s3
                                        ; implicit-def: $vgpr219_vgpr220
	s_cbranch_execz .LBB109_59
; %bb.58:
	v_div_scale_f64 v[217:218], null, v[215:216], v[215:216], v[213:214]
	v_div_scale_f64 v[223:224], vcc_lo, v[213:214], v[215:216], v[213:214]
	v_rcp_f64_e32 v[219:220], v[217:218]
	v_fma_f64 v[221:222], -v[217:218], v[219:220], 1.0
	v_fma_f64 v[219:220], v[219:220], v[221:222], v[219:220]
	v_fma_f64 v[221:222], -v[217:218], v[219:220], 1.0
	v_fma_f64 v[219:220], v[219:220], v[221:222], v[219:220]
	v_mul_f64 v[221:222], v[223:224], v[219:220]
	v_fma_f64 v[217:218], -v[217:218], v[221:222], v[223:224]
	v_div_fmas_f64 v[217:218], v[217:218], v[219:220], v[221:222]
	v_div_fixup_f64 v[217:218], v[217:218], v[215:216], v[213:214]
	v_fma_f64 v[213:214], v[213:214], v[217:218], v[215:216]
	v_div_scale_f64 v[215:216], null, v[213:214], v[213:214], 1.0
	v_rcp_f64_e32 v[219:220], v[215:216]
	v_fma_f64 v[221:222], -v[215:216], v[219:220], 1.0
	v_fma_f64 v[219:220], v[219:220], v[221:222], v[219:220]
	v_fma_f64 v[221:222], -v[215:216], v[219:220], 1.0
	v_fma_f64 v[219:220], v[219:220], v[221:222], v[219:220]
	v_div_scale_f64 v[221:222], vcc_lo, 1.0, v[213:214], 1.0
	v_mul_f64 v[223:224], v[221:222], v[219:220]
	v_fma_f64 v[215:216], -v[215:216], v[223:224], v[221:222]
	v_div_fmas_f64 v[215:216], v[215:216], v[219:220], v[223:224]
	v_div_fixup_f64 v[219:220], v[215:216], v[213:214], 1.0
                                        ; implicit-def: $vgpr213_vgpr214
	v_mul_f64 v[217:218], v[217:218], v[219:220]
	v_xor_b32_e32 v220, 0x80000000, v220
.LBB109_59:
	s_andn2_saveexec_b32 s1, s1
	s_cbranch_execz .LBB109_61
; %bb.60:
	v_div_scale_f64 v[217:218], null, v[213:214], v[213:214], v[215:216]
	v_div_scale_f64 v[223:224], vcc_lo, v[215:216], v[213:214], v[215:216]
	v_rcp_f64_e32 v[219:220], v[217:218]
	v_fma_f64 v[221:222], -v[217:218], v[219:220], 1.0
	v_fma_f64 v[219:220], v[219:220], v[221:222], v[219:220]
	v_fma_f64 v[221:222], -v[217:218], v[219:220], 1.0
	v_fma_f64 v[219:220], v[219:220], v[221:222], v[219:220]
	v_mul_f64 v[221:222], v[223:224], v[219:220]
	v_fma_f64 v[217:218], -v[217:218], v[221:222], v[223:224]
	v_div_fmas_f64 v[217:218], v[217:218], v[219:220], v[221:222]
	v_div_fixup_f64 v[219:220], v[217:218], v[213:214], v[215:216]
	v_fma_f64 v[213:214], v[215:216], v[219:220], v[213:214]
	v_div_scale_f64 v[215:216], null, v[213:214], v[213:214], 1.0
	v_rcp_f64_e32 v[217:218], v[215:216]
	v_fma_f64 v[221:222], -v[215:216], v[217:218], 1.0
	v_fma_f64 v[217:218], v[217:218], v[221:222], v[217:218]
	v_fma_f64 v[221:222], -v[215:216], v[217:218], 1.0
	v_fma_f64 v[217:218], v[217:218], v[221:222], v[217:218]
	v_div_scale_f64 v[221:222], vcc_lo, 1.0, v[213:214], 1.0
	v_mul_f64 v[223:224], v[221:222], v[217:218]
	v_fma_f64 v[215:216], -v[215:216], v[223:224], v[221:222]
	v_div_fmas_f64 v[215:216], v[215:216], v[217:218], v[223:224]
	v_div_fixup_f64 v[217:218], v[215:216], v[213:214], 1.0
	v_mul_f64 v[219:220], v[219:220], -v[217:218]
.LBB109_61:
	s_or_b32 exec_lo, exec_lo, s1
	ds_write2_b64 v255, v[217:218], v[219:220] offset1:1
.LBB109_62:
	s_or_b32 exec_lo, exec_lo, s2
	s_waitcnt lgkmcnt(0)
	s_barrier
	buffer_gl0_inv
	ds_read2_b64 v[213:216], v255 offset1:1
	s_mov_b32 s1, exec_lo
	s_waitcnt lgkmcnt(0)
	buffer_store_dword v213, off, s[16:19], 0 offset:552 ; 4-byte Folded Spill
	buffer_store_dword v214, off, s[16:19], 0 offset:556 ; 4-byte Folded Spill
	;; [unrolled: 1-line block ×4, first 2 shown]
	v_cmpx_lt_u32_e32 6, v0
	s_cbranch_execz .LBB109_64
; %bb.63:
	s_clause 0x3
	buffer_load_dword v215, off, s[16:19], 0 offset:552
	buffer_load_dword v216, off, s[16:19], 0 offset:556
	;; [unrolled: 1-line block ×4, first 2 shown]
	v_mov_b32_e32 v206, v194
	v_mov_b32_e32 v205, v193
	;; [unrolled: 1-line block ×4, first 2 shown]
	s_waitcnt vmcnt(2)
	v_mul_f64 v[195:196], v[215:216], v[243:244]
	s_waitcnt vmcnt(0)
	v_mul_f64 v[213:214], v[217:218], v[243:244]
	v_fma_f64 v[243:244], v[217:218], v[241:242], v[195:196]
	v_mov_b32_e32 v196, v194
	v_fma_f64 v[213:214], v[215:216], v[241:242], -v[213:214]
	ds_read2_b64 v[215:218], v253 offset0:14 offset1:15
	v_mov_b32_e32 v195, v193
	s_waitcnt lgkmcnt(0)
	v_mul_f64 v[193:194], v[217:218], v[243:244]
	v_mov_b32_e32 v242, v214
	v_mov_b32_e32 v241, v213
	v_fma_f64 v[193:194], v[215:216], v[213:214], -v[193:194]
	v_mul_f64 v[215:216], v[215:216], v[243:244]
	v_add_f64 v[209:210], v[209:210], -v[193:194]
	v_fma_f64 v[215:216], v[217:218], v[213:214], v[215:216]
	v_add_f64 v[211:212], v[211:212], -v[215:216]
	ds_read2_b64 v[215:218], v253 offset0:16 offset1:17
	s_waitcnt lgkmcnt(0)
	v_mul_f64 v[193:194], v[217:218], v[243:244]
	v_fma_f64 v[193:194], v[215:216], v[213:214], -v[193:194]
	v_mul_f64 v[215:216], v[215:216], v[243:244]
	v_add_f64 v[185:186], v[185:186], -v[193:194]
	v_fma_f64 v[215:216], v[217:218], v[213:214], v[215:216]
	v_add_f64 v[187:188], v[187:188], -v[215:216]
	ds_read2_b64 v[215:218], v253 offset0:18 offset1:19
	s_waitcnt lgkmcnt(0)
	v_mul_f64 v[193:194], v[217:218], v[243:244]
	v_fma_f64 v[193:194], v[215:216], v[213:214], -v[193:194]
	v_mul_f64 v[215:216], v[215:216], v[243:244]
	v_add_f64 v[181:182], v[181:182], -v[193:194]
	v_fma_f64 v[215:216], v[217:218], v[213:214], v[215:216]
	v_add_f64 v[183:184], v[183:184], -v[215:216]
	ds_read2_b64 v[215:218], v253 offset0:20 offset1:21
	s_waitcnt lgkmcnt(0)
	v_mul_f64 v[193:194], v[217:218], v[243:244]
	v_fma_f64 v[193:194], v[215:216], v[213:214], -v[193:194]
	v_mul_f64 v[215:216], v[215:216], v[243:244]
	v_add_f64 v[177:178], v[177:178], -v[193:194]
	v_fma_f64 v[215:216], v[217:218], v[213:214], v[215:216]
	v_add_f64 v[179:180], v[179:180], -v[215:216]
	ds_read2_b64 v[215:218], v253 offset0:22 offset1:23
	s_waitcnt lgkmcnt(0)
	v_mul_f64 v[193:194], v[217:218], v[243:244]
	v_fma_f64 v[193:194], v[215:216], v[213:214], -v[193:194]
	v_mul_f64 v[215:216], v[215:216], v[243:244]
	v_add_f64 v[173:174], v[173:174], -v[193:194]
	v_fma_f64 v[215:216], v[217:218], v[213:214], v[215:216]
	v_add_f64 v[175:176], v[175:176], -v[215:216]
	ds_read2_b64 v[215:218], v253 offset0:24 offset1:25
	s_waitcnt lgkmcnt(0)
	v_mul_f64 v[193:194], v[217:218], v[243:244]
	v_fma_f64 v[193:194], v[215:216], v[213:214], -v[193:194]
	v_mul_f64 v[215:216], v[215:216], v[243:244]
	v_add_f64 v[169:170], v[169:170], -v[193:194]
	v_fma_f64 v[215:216], v[217:218], v[213:214], v[215:216]
	v_add_f64 v[171:172], v[171:172], -v[215:216]
	ds_read2_b64 v[215:218], v253 offset0:26 offset1:27
	s_waitcnt lgkmcnt(0)
	v_mul_f64 v[193:194], v[217:218], v[243:244]
	v_fma_f64 v[193:194], v[215:216], v[213:214], -v[193:194]
	v_mul_f64 v[215:216], v[215:216], v[243:244]
	v_add_f64 v[165:166], v[165:166], -v[193:194]
	v_fma_f64 v[215:216], v[217:218], v[213:214], v[215:216]
	v_add_f64 v[167:168], v[167:168], -v[215:216]
	ds_read2_b64 v[215:218], v253 offset0:28 offset1:29
	s_waitcnt lgkmcnt(0)
	v_mul_f64 v[193:194], v[217:218], v[243:244]
	v_fma_f64 v[193:194], v[215:216], v[213:214], -v[193:194]
	v_mul_f64 v[215:216], v[215:216], v[243:244]
	v_add_f64 v[161:162], v[161:162], -v[193:194]
	v_fma_f64 v[215:216], v[217:218], v[213:214], v[215:216]
	v_add_f64 v[163:164], v[163:164], -v[215:216]
	ds_read2_b64 v[215:218], v253 offset0:30 offset1:31
	s_waitcnt lgkmcnt(0)
	v_mul_f64 v[193:194], v[217:218], v[243:244]
	v_fma_f64 v[193:194], v[215:216], v[213:214], -v[193:194]
	v_mul_f64 v[215:216], v[215:216], v[243:244]
	v_add_f64 v[157:158], v[157:158], -v[193:194]
	v_fma_f64 v[215:216], v[217:218], v[213:214], v[215:216]
	v_add_f64 v[159:160], v[159:160], -v[215:216]
	ds_read2_b64 v[215:218], v253 offset0:32 offset1:33
	s_waitcnt lgkmcnt(0)
	v_mul_f64 v[193:194], v[217:218], v[243:244]
	v_fma_f64 v[193:194], v[215:216], v[213:214], -v[193:194]
	v_mul_f64 v[215:216], v[215:216], v[243:244]
	v_add_f64 v[153:154], v[153:154], -v[193:194]
	v_fma_f64 v[215:216], v[217:218], v[213:214], v[215:216]
	v_add_f64 v[155:156], v[155:156], -v[215:216]
	ds_read2_b64 v[215:218], v253 offset0:34 offset1:35
	s_waitcnt lgkmcnt(0)
	v_mul_f64 v[193:194], v[217:218], v[243:244]
	v_fma_f64 v[193:194], v[215:216], v[213:214], -v[193:194]
	v_mul_f64 v[215:216], v[215:216], v[243:244]
	v_add_f64 v[149:150], v[149:150], -v[193:194]
	v_fma_f64 v[215:216], v[217:218], v[213:214], v[215:216]
	v_add_f64 v[151:152], v[151:152], -v[215:216]
	ds_read2_b64 v[215:218], v253 offset0:36 offset1:37
	s_waitcnt lgkmcnt(0)
	v_mul_f64 v[193:194], v[217:218], v[243:244]
	v_fma_f64 v[193:194], v[215:216], v[213:214], -v[193:194]
	v_mul_f64 v[215:216], v[215:216], v[243:244]
	v_add_f64 v[145:146], v[145:146], -v[193:194]
	v_fma_f64 v[215:216], v[217:218], v[213:214], v[215:216]
	v_add_f64 v[147:148], v[147:148], -v[215:216]
	ds_read2_b64 v[215:218], v253 offset0:38 offset1:39
	s_waitcnt lgkmcnt(0)
	v_mul_f64 v[193:194], v[217:218], v[243:244]
	v_fma_f64 v[193:194], v[215:216], v[213:214], -v[193:194]
	v_mul_f64 v[215:216], v[215:216], v[243:244]
	v_add_f64 v[141:142], v[141:142], -v[193:194]
	v_fma_f64 v[215:216], v[217:218], v[213:214], v[215:216]
	v_add_f64 v[143:144], v[143:144], -v[215:216]
	ds_read2_b64 v[215:218], v253 offset0:40 offset1:41
	s_waitcnt lgkmcnt(0)
	v_mul_f64 v[193:194], v[217:218], v[243:244]
	v_fma_f64 v[193:194], v[215:216], v[213:214], -v[193:194]
	v_mul_f64 v[215:216], v[215:216], v[243:244]
	v_add_f64 v[137:138], v[137:138], -v[193:194]
	v_fma_f64 v[215:216], v[217:218], v[213:214], v[215:216]
	v_add_f64 v[139:140], v[139:140], -v[215:216]
	ds_read2_b64 v[215:218], v253 offset0:42 offset1:43
	s_waitcnt lgkmcnt(0)
	v_mul_f64 v[193:194], v[217:218], v[243:244]
	v_fma_f64 v[193:194], v[215:216], v[213:214], -v[193:194]
	v_mul_f64 v[215:216], v[215:216], v[243:244]
	v_add_f64 v[133:134], v[133:134], -v[193:194]
	v_fma_f64 v[215:216], v[217:218], v[213:214], v[215:216]
	v_add_f64 v[135:136], v[135:136], -v[215:216]
	ds_read2_b64 v[215:218], v253 offset0:44 offset1:45
	s_waitcnt lgkmcnt(0)
	v_mul_f64 v[193:194], v[217:218], v[243:244]
	v_fma_f64 v[193:194], v[215:216], v[213:214], -v[193:194]
	v_mul_f64 v[215:216], v[215:216], v[243:244]
	v_add_f64 v[129:130], v[129:130], -v[193:194]
	v_fma_f64 v[215:216], v[217:218], v[213:214], v[215:216]
	v_add_f64 v[131:132], v[131:132], -v[215:216]
	ds_read2_b64 v[215:218], v253 offset0:46 offset1:47
	s_waitcnt lgkmcnt(0)
	v_mul_f64 v[193:194], v[217:218], v[243:244]
	v_fma_f64 v[193:194], v[215:216], v[213:214], -v[193:194]
	v_mul_f64 v[215:216], v[215:216], v[243:244]
	v_add_f64 v[125:126], v[125:126], -v[193:194]
	v_fma_f64 v[215:216], v[217:218], v[213:214], v[215:216]
	v_add_f64 v[127:128], v[127:128], -v[215:216]
	ds_read2_b64 v[215:218], v253 offset0:48 offset1:49
	s_waitcnt lgkmcnt(0)
	v_mul_f64 v[193:194], v[217:218], v[243:244]
	v_fma_f64 v[193:194], v[215:216], v[213:214], -v[193:194]
	v_mul_f64 v[215:216], v[215:216], v[243:244]
	v_add_f64 v[121:122], v[121:122], -v[193:194]
	v_fma_f64 v[215:216], v[217:218], v[213:214], v[215:216]
	v_add_f64 v[123:124], v[123:124], -v[215:216]
	ds_read2_b64 v[215:218], v253 offset0:50 offset1:51
	s_waitcnt lgkmcnt(0)
	v_mul_f64 v[193:194], v[217:218], v[243:244]
	v_fma_f64 v[193:194], v[215:216], v[213:214], -v[193:194]
	v_mul_f64 v[215:216], v[215:216], v[243:244]
	v_add_f64 v[117:118], v[117:118], -v[193:194]
	v_fma_f64 v[215:216], v[217:218], v[213:214], v[215:216]
	v_add_f64 v[119:120], v[119:120], -v[215:216]
	ds_read2_b64 v[215:218], v253 offset0:52 offset1:53
	s_waitcnt lgkmcnt(0)
	v_mul_f64 v[193:194], v[217:218], v[243:244]
	v_fma_f64 v[193:194], v[215:216], v[213:214], -v[193:194]
	v_mul_f64 v[215:216], v[215:216], v[243:244]
	v_add_f64 v[113:114], v[113:114], -v[193:194]
	v_fma_f64 v[215:216], v[217:218], v[213:214], v[215:216]
	v_add_f64 v[115:116], v[115:116], -v[215:216]
	ds_read2_b64 v[215:218], v253 offset0:54 offset1:55
	s_waitcnt lgkmcnt(0)
	v_mul_f64 v[193:194], v[217:218], v[243:244]
	v_fma_f64 v[193:194], v[215:216], v[213:214], -v[193:194]
	v_mul_f64 v[215:216], v[215:216], v[243:244]
	v_add_f64 v[109:110], v[109:110], -v[193:194]
	v_fma_f64 v[215:216], v[217:218], v[213:214], v[215:216]
	v_add_f64 v[111:112], v[111:112], -v[215:216]
	ds_read2_b64 v[215:218], v253 offset0:56 offset1:57
	s_waitcnt lgkmcnt(0)
	v_mul_f64 v[193:194], v[217:218], v[243:244]
	v_fma_f64 v[193:194], v[215:216], v[213:214], -v[193:194]
	v_mul_f64 v[215:216], v[215:216], v[243:244]
	v_add_f64 v[105:106], v[105:106], -v[193:194]
	v_fma_f64 v[215:216], v[217:218], v[213:214], v[215:216]
	v_add_f64 v[107:108], v[107:108], -v[215:216]
	ds_read2_b64 v[215:218], v253 offset0:58 offset1:59
	s_waitcnt lgkmcnt(0)
	v_mul_f64 v[193:194], v[217:218], v[243:244]
	v_fma_f64 v[193:194], v[215:216], v[213:214], -v[193:194]
	v_mul_f64 v[215:216], v[215:216], v[243:244]
	v_add_f64 v[101:102], v[101:102], -v[193:194]
	v_fma_f64 v[215:216], v[217:218], v[213:214], v[215:216]
	v_add_f64 v[103:104], v[103:104], -v[215:216]
	ds_read2_b64 v[215:218], v253 offset0:60 offset1:61
	s_waitcnt lgkmcnt(0)
	v_mul_f64 v[193:194], v[217:218], v[243:244]
	v_fma_f64 v[193:194], v[215:216], v[213:214], -v[193:194]
	v_mul_f64 v[215:216], v[215:216], v[243:244]
	v_add_f64 v[97:98], v[97:98], -v[193:194]
	v_fma_f64 v[215:216], v[217:218], v[213:214], v[215:216]
	v_add_f64 v[99:100], v[99:100], -v[215:216]
	ds_read2_b64 v[215:218], v253 offset0:62 offset1:63
	s_waitcnt lgkmcnt(0)
	v_mul_f64 v[193:194], v[217:218], v[243:244]
	v_fma_f64 v[193:194], v[215:216], v[213:214], -v[193:194]
	v_mul_f64 v[215:216], v[215:216], v[243:244]
	v_add_f64 v[93:94], v[93:94], -v[193:194]
	v_fma_f64 v[215:216], v[217:218], v[213:214], v[215:216]
	v_add_f64 v[95:96], v[95:96], -v[215:216]
	ds_read2_b64 v[215:218], v253 offset0:64 offset1:65
	s_waitcnt lgkmcnt(0)
	v_mul_f64 v[193:194], v[217:218], v[243:244]
	v_fma_f64 v[193:194], v[215:216], v[213:214], -v[193:194]
	v_mul_f64 v[215:216], v[215:216], v[243:244]
	v_add_f64 v[89:90], v[89:90], -v[193:194]
	v_fma_f64 v[215:216], v[217:218], v[213:214], v[215:216]
	v_add_f64 v[91:92], v[91:92], -v[215:216]
	ds_read2_b64 v[215:218], v253 offset0:66 offset1:67
	s_waitcnt lgkmcnt(0)
	v_mul_f64 v[193:194], v[217:218], v[243:244]
	v_fma_f64 v[193:194], v[215:216], v[213:214], -v[193:194]
	v_mul_f64 v[215:216], v[215:216], v[243:244]
	v_add_f64 v[85:86], v[85:86], -v[193:194]
	v_fma_f64 v[215:216], v[217:218], v[213:214], v[215:216]
	v_add_f64 v[87:88], v[87:88], -v[215:216]
	ds_read2_b64 v[215:218], v253 offset0:68 offset1:69
	s_waitcnt lgkmcnt(0)
	v_mul_f64 v[193:194], v[217:218], v[243:244]
	v_fma_f64 v[193:194], v[215:216], v[213:214], -v[193:194]
	v_mul_f64 v[215:216], v[215:216], v[243:244]
	v_add_f64 v[81:82], v[81:82], -v[193:194]
	v_fma_f64 v[215:216], v[217:218], v[213:214], v[215:216]
	v_add_f64 v[83:84], v[83:84], -v[215:216]
	ds_read2_b64 v[215:218], v253 offset0:70 offset1:71
	s_waitcnt lgkmcnt(0)
	v_mul_f64 v[193:194], v[217:218], v[243:244]
	v_fma_f64 v[193:194], v[215:216], v[213:214], -v[193:194]
	v_mul_f64 v[215:216], v[215:216], v[243:244]
	v_add_f64 v[77:78], v[77:78], -v[193:194]
	v_fma_f64 v[215:216], v[217:218], v[213:214], v[215:216]
	v_add_f64 v[79:80], v[79:80], -v[215:216]
	ds_read2_b64 v[215:218], v253 offset0:72 offset1:73
	s_waitcnt lgkmcnt(0)
	v_mul_f64 v[193:194], v[217:218], v[243:244]
	v_fma_f64 v[193:194], v[215:216], v[213:214], -v[193:194]
	v_mul_f64 v[215:216], v[215:216], v[243:244]
	v_add_f64 v[73:74], v[73:74], -v[193:194]
	v_fma_f64 v[215:216], v[217:218], v[213:214], v[215:216]
	v_add_f64 v[75:76], v[75:76], -v[215:216]
	ds_read2_b64 v[215:218], v253 offset0:74 offset1:75
	s_waitcnt lgkmcnt(0)
	v_mul_f64 v[193:194], v[217:218], v[243:244]
	v_fma_f64 v[193:194], v[215:216], v[213:214], -v[193:194]
	v_mul_f64 v[215:216], v[215:216], v[243:244]
	v_add_f64 v[69:70], v[69:70], -v[193:194]
	v_fma_f64 v[215:216], v[217:218], v[213:214], v[215:216]
	v_add_f64 v[71:72], v[71:72], -v[215:216]
	ds_read2_b64 v[215:218], v253 offset0:76 offset1:77
	s_waitcnt lgkmcnt(0)
	v_mul_f64 v[193:194], v[217:218], v[243:244]
	v_fma_f64 v[193:194], v[215:216], v[213:214], -v[193:194]
	v_mul_f64 v[215:216], v[215:216], v[243:244]
	v_add_f64 v[65:66], v[65:66], -v[193:194]
	v_fma_f64 v[215:216], v[217:218], v[213:214], v[215:216]
	v_add_f64 v[67:68], v[67:68], -v[215:216]
	ds_read2_b64 v[215:218], v253 offset0:78 offset1:79
	s_waitcnt lgkmcnt(0)
	v_mul_f64 v[193:194], v[217:218], v[243:244]
	v_fma_f64 v[193:194], v[215:216], v[213:214], -v[193:194]
	v_mul_f64 v[215:216], v[215:216], v[243:244]
	v_add_f64 v[61:62], v[61:62], -v[193:194]
	v_fma_f64 v[215:216], v[217:218], v[213:214], v[215:216]
	v_add_f64 v[63:64], v[63:64], -v[215:216]
	ds_read2_b64 v[215:218], v253 offset0:80 offset1:81
	s_waitcnt lgkmcnt(0)
	v_mul_f64 v[193:194], v[217:218], v[243:244]
	v_fma_f64 v[193:194], v[215:216], v[213:214], -v[193:194]
	v_mul_f64 v[215:216], v[215:216], v[243:244]
	v_add_f64 v[57:58], v[57:58], -v[193:194]
	v_fma_f64 v[215:216], v[217:218], v[213:214], v[215:216]
	v_add_f64 v[59:60], v[59:60], -v[215:216]
	ds_read2_b64 v[215:218], v253 offset0:82 offset1:83
	s_waitcnt lgkmcnt(0)
	v_mul_f64 v[193:194], v[217:218], v[243:244]
	v_fma_f64 v[193:194], v[215:216], v[213:214], -v[193:194]
	v_mul_f64 v[215:216], v[215:216], v[243:244]
	v_add_f64 v[53:54], v[53:54], -v[193:194]
	v_fma_f64 v[215:216], v[217:218], v[213:214], v[215:216]
	v_add_f64 v[55:56], v[55:56], -v[215:216]
	ds_read2_b64 v[215:218], v253 offset0:84 offset1:85
	s_waitcnt lgkmcnt(0)
	v_mul_f64 v[193:194], v[217:218], v[243:244]
	v_fma_f64 v[193:194], v[215:216], v[213:214], -v[193:194]
	v_mul_f64 v[215:216], v[215:216], v[243:244]
	v_add_f64 v[49:50], v[49:50], -v[193:194]
	v_fma_f64 v[215:216], v[217:218], v[213:214], v[215:216]
	v_add_f64 v[51:52], v[51:52], -v[215:216]
	ds_read2_b64 v[215:218], v253 offset0:86 offset1:87
	s_waitcnt lgkmcnt(0)
	v_mul_f64 v[193:194], v[217:218], v[243:244]
	v_fma_f64 v[193:194], v[215:216], v[213:214], -v[193:194]
	v_mul_f64 v[215:216], v[215:216], v[243:244]
	v_add_f64 v[45:46], v[45:46], -v[193:194]
	v_fma_f64 v[215:216], v[217:218], v[213:214], v[215:216]
	v_add_f64 v[47:48], v[47:48], -v[215:216]
	ds_read2_b64 v[215:218], v253 offset0:88 offset1:89
	s_waitcnt lgkmcnt(0)
	v_mul_f64 v[193:194], v[217:218], v[243:244]
	v_fma_f64 v[193:194], v[215:216], v[213:214], -v[193:194]
	v_mul_f64 v[215:216], v[215:216], v[243:244]
	v_add_f64 v[41:42], v[41:42], -v[193:194]
	v_fma_f64 v[215:216], v[217:218], v[213:214], v[215:216]
	v_add_f64 v[43:44], v[43:44], -v[215:216]
	ds_read2_b64 v[215:218], v253 offset0:90 offset1:91
	s_waitcnt lgkmcnt(0)
	v_mul_f64 v[193:194], v[217:218], v[243:244]
	v_fma_f64 v[193:194], v[215:216], v[213:214], -v[193:194]
	v_mul_f64 v[215:216], v[215:216], v[243:244]
	v_add_f64 v[37:38], v[37:38], -v[193:194]
	v_fma_f64 v[215:216], v[217:218], v[213:214], v[215:216]
	v_add_f64 v[39:40], v[39:40], -v[215:216]
	ds_read2_b64 v[215:218], v253 offset0:92 offset1:93
	s_waitcnt lgkmcnt(0)
	v_mul_f64 v[193:194], v[217:218], v[243:244]
	v_fma_f64 v[193:194], v[215:216], v[213:214], -v[193:194]
	v_mul_f64 v[215:216], v[215:216], v[243:244]
	v_add_f64 v[33:34], v[33:34], -v[193:194]
	v_fma_f64 v[215:216], v[217:218], v[213:214], v[215:216]
	v_add_f64 v[35:36], v[35:36], -v[215:216]
	ds_read2_b64 v[215:218], v253 offset0:94 offset1:95
	s_waitcnt lgkmcnt(0)
	v_mul_f64 v[193:194], v[217:218], v[243:244]
	v_fma_f64 v[193:194], v[215:216], v[213:214], -v[193:194]
	v_mul_f64 v[215:216], v[215:216], v[243:244]
	v_add_f64 v[29:30], v[29:30], -v[193:194]
	v_fma_f64 v[215:216], v[217:218], v[213:214], v[215:216]
	v_add_f64 v[31:32], v[31:32], -v[215:216]
	ds_read2_b64 v[215:218], v253 offset0:96 offset1:97
	s_waitcnt lgkmcnt(0)
	v_mul_f64 v[193:194], v[217:218], v[243:244]
	v_fma_f64 v[193:194], v[215:216], v[213:214], -v[193:194]
	v_mul_f64 v[215:216], v[215:216], v[243:244]
	v_add_f64 v[25:26], v[25:26], -v[193:194]
	v_fma_f64 v[215:216], v[217:218], v[213:214], v[215:216]
	v_add_f64 v[27:28], v[27:28], -v[215:216]
	ds_read2_b64 v[215:218], v253 offset0:98 offset1:99
	s_waitcnt lgkmcnt(0)
	v_mul_f64 v[193:194], v[217:218], v[243:244]
	v_fma_f64 v[193:194], v[215:216], v[213:214], -v[193:194]
	v_mul_f64 v[215:216], v[215:216], v[243:244]
	v_add_f64 v[21:22], v[21:22], -v[193:194]
	v_fma_f64 v[215:216], v[217:218], v[213:214], v[215:216]
	v_add_f64 v[23:24], v[23:24], -v[215:216]
	ds_read2_b64 v[215:218], v253 offset0:100 offset1:101
	s_waitcnt lgkmcnt(0)
	v_mul_f64 v[193:194], v[217:218], v[243:244]
	v_fma_f64 v[193:194], v[215:216], v[213:214], -v[193:194]
	v_mul_f64 v[215:216], v[215:216], v[243:244]
	v_add_f64 v[17:18], v[17:18], -v[193:194]
	v_fma_f64 v[215:216], v[217:218], v[213:214], v[215:216]
	v_add_f64 v[19:20], v[19:20], -v[215:216]
	ds_read2_b64 v[215:218], v253 offset0:102 offset1:103
	s_waitcnt lgkmcnt(0)
	v_mul_f64 v[193:194], v[217:218], v[243:244]
	v_fma_f64 v[193:194], v[215:216], v[213:214], -v[193:194]
	v_mul_f64 v[215:216], v[215:216], v[243:244]
	v_add_f64 v[13:14], v[13:14], -v[193:194]
	v_fma_f64 v[215:216], v[217:218], v[213:214], v[215:216]
	v_add_f64 v[15:16], v[15:16], -v[215:216]
	ds_read2_b64 v[215:218], v253 offset0:104 offset1:105
	s_waitcnt lgkmcnt(0)
	v_mul_f64 v[193:194], v[217:218], v[243:244]
	v_fma_f64 v[193:194], v[215:216], v[213:214], -v[193:194]
	v_mul_f64 v[215:216], v[215:216], v[243:244]
	v_add_f64 v[9:10], v[9:10], -v[193:194]
	v_fma_f64 v[215:216], v[217:218], v[213:214], v[215:216]
	v_add_f64 v[11:12], v[11:12], -v[215:216]
	ds_read2_b64 v[215:218], v253 offset0:106 offset1:107
	s_waitcnt lgkmcnt(0)
	v_mul_f64 v[193:194], v[217:218], v[243:244]
	v_fma_f64 v[193:194], v[215:216], v[213:214], -v[193:194]
	v_mul_f64 v[215:216], v[215:216], v[243:244]
	v_add_f64 v[5:6], v[5:6], -v[193:194]
	v_fma_f64 v[215:216], v[217:218], v[213:214], v[215:216]
	v_add_f64 v[7:8], v[7:8], -v[215:216]
	ds_read2_b64 v[215:218], v253 offset0:108 offset1:109
	s_waitcnt lgkmcnt(0)
	v_mul_f64 v[193:194], v[217:218], v[243:244]
	v_fma_f64 v[193:194], v[215:216], v[213:214], -v[193:194]
	v_mul_f64 v[215:216], v[215:216], v[243:244]
	v_add_f64 v[1:2], v[1:2], -v[193:194]
	v_fma_f64 v[215:216], v[217:218], v[213:214], v[215:216]
	v_mov_b32_e32 v193, v205
	v_mov_b32_e32 v194, v206
	v_add_f64 v[3:4], v[3:4], -v[215:216]
.LBB109_64:
	s_or_b32 exec_lo, exec_lo, s1
	s_mov_b32 s2, exec_lo
	s_waitcnt_vscnt null, 0x0
	s_barrier
	buffer_gl0_inv
	v_cmpx_eq_u32_e32 7, v0
	s_cbranch_execz .LBB109_71
; %bb.65:
	ds_write2_b64 v255, v[209:210], v[211:212] offset1:1
	ds_write2_b64 v253, v[185:186], v[187:188] offset0:16 offset1:17
	ds_write2_b64 v253, v[181:182], v[183:184] offset0:18 offset1:19
	;; [unrolled: 1-line block ×47, first 2 shown]
	ds_read2_b64 v[213:216], v255 offset1:1
	s_waitcnt lgkmcnt(0)
	v_cmp_neq_f64_e32 vcc_lo, 0, v[213:214]
	v_cmp_neq_f64_e64 s1, 0, v[215:216]
	s_or_b32 s1, vcc_lo, s1
	s_and_b32 exec_lo, exec_lo, s1
	s_cbranch_execz .LBB109_71
; %bb.66:
	v_cmp_ngt_f64_e64 s1, |v[213:214]|, |v[215:216]|
                                        ; implicit-def: $vgpr217_vgpr218
	s_and_saveexec_b32 s3, s1
	s_xor_b32 s1, exec_lo, s3
                                        ; implicit-def: $vgpr219_vgpr220
	s_cbranch_execz .LBB109_68
; %bb.67:
	v_div_scale_f64 v[217:218], null, v[215:216], v[215:216], v[213:214]
	v_div_scale_f64 v[223:224], vcc_lo, v[213:214], v[215:216], v[213:214]
	v_rcp_f64_e32 v[219:220], v[217:218]
	v_fma_f64 v[221:222], -v[217:218], v[219:220], 1.0
	v_fma_f64 v[219:220], v[219:220], v[221:222], v[219:220]
	v_fma_f64 v[221:222], -v[217:218], v[219:220], 1.0
	v_fma_f64 v[219:220], v[219:220], v[221:222], v[219:220]
	v_mul_f64 v[221:222], v[223:224], v[219:220]
	v_fma_f64 v[217:218], -v[217:218], v[221:222], v[223:224]
	v_div_fmas_f64 v[217:218], v[217:218], v[219:220], v[221:222]
	v_div_fixup_f64 v[217:218], v[217:218], v[215:216], v[213:214]
	v_fma_f64 v[213:214], v[213:214], v[217:218], v[215:216]
	v_div_scale_f64 v[215:216], null, v[213:214], v[213:214], 1.0
	v_rcp_f64_e32 v[219:220], v[215:216]
	v_fma_f64 v[221:222], -v[215:216], v[219:220], 1.0
	v_fma_f64 v[219:220], v[219:220], v[221:222], v[219:220]
	v_fma_f64 v[221:222], -v[215:216], v[219:220], 1.0
	v_fma_f64 v[219:220], v[219:220], v[221:222], v[219:220]
	v_div_scale_f64 v[221:222], vcc_lo, 1.0, v[213:214], 1.0
	v_mul_f64 v[223:224], v[221:222], v[219:220]
	v_fma_f64 v[215:216], -v[215:216], v[223:224], v[221:222]
	v_div_fmas_f64 v[215:216], v[215:216], v[219:220], v[223:224]
	v_div_fixup_f64 v[219:220], v[215:216], v[213:214], 1.0
                                        ; implicit-def: $vgpr213_vgpr214
	v_mul_f64 v[217:218], v[217:218], v[219:220]
	v_xor_b32_e32 v220, 0x80000000, v220
.LBB109_68:
	s_andn2_saveexec_b32 s1, s1
	s_cbranch_execz .LBB109_70
; %bb.69:
	v_div_scale_f64 v[217:218], null, v[213:214], v[213:214], v[215:216]
	v_div_scale_f64 v[223:224], vcc_lo, v[215:216], v[213:214], v[215:216]
	v_rcp_f64_e32 v[219:220], v[217:218]
	v_fma_f64 v[221:222], -v[217:218], v[219:220], 1.0
	v_fma_f64 v[219:220], v[219:220], v[221:222], v[219:220]
	v_fma_f64 v[221:222], -v[217:218], v[219:220], 1.0
	v_fma_f64 v[219:220], v[219:220], v[221:222], v[219:220]
	v_mul_f64 v[221:222], v[223:224], v[219:220]
	v_fma_f64 v[217:218], -v[217:218], v[221:222], v[223:224]
	v_div_fmas_f64 v[217:218], v[217:218], v[219:220], v[221:222]
	v_div_fixup_f64 v[219:220], v[217:218], v[213:214], v[215:216]
	v_fma_f64 v[213:214], v[215:216], v[219:220], v[213:214]
	v_div_scale_f64 v[215:216], null, v[213:214], v[213:214], 1.0
	v_rcp_f64_e32 v[217:218], v[215:216]
	v_fma_f64 v[221:222], -v[215:216], v[217:218], 1.0
	v_fma_f64 v[217:218], v[217:218], v[221:222], v[217:218]
	v_fma_f64 v[221:222], -v[215:216], v[217:218], 1.0
	v_fma_f64 v[217:218], v[217:218], v[221:222], v[217:218]
	v_div_scale_f64 v[221:222], vcc_lo, 1.0, v[213:214], 1.0
	v_mul_f64 v[223:224], v[221:222], v[217:218]
	v_fma_f64 v[215:216], -v[215:216], v[223:224], v[221:222]
	v_div_fmas_f64 v[215:216], v[215:216], v[217:218], v[223:224]
	v_div_fixup_f64 v[217:218], v[215:216], v[213:214], 1.0
	v_mul_f64 v[219:220], v[219:220], -v[217:218]
.LBB109_70:
	s_or_b32 exec_lo, exec_lo, s1
	ds_write2_b64 v255, v[217:218], v[219:220] offset1:1
.LBB109_71:
	s_or_b32 exec_lo, exec_lo, s2
	s_waitcnt lgkmcnt(0)
	s_barrier
	buffer_gl0_inv
	ds_read2_b64 v[213:216], v255 offset1:1
	v_cmp_lt_u32_e32 vcc_lo, 7, v0
	s_waitcnt lgkmcnt(0)
	buffer_store_dword v213, off, s[16:19], 0 offset:568 ; 4-byte Folded Spill
	buffer_store_dword v214, off, s[16:19], 0 offset:572 ; 4-byte Folded Spill
	;; [unrolled: 1-line block ×4, first 2 shown]
	s_mov_b32 s1, exec_lo
	s_and_b32 s2, s1, vcc_lo
	buffer_store_dword v189, off, s[16:19], 0 offset:64 ; 4-byte Folded Spill
	buffer_store_dword v190, off, s[16:19], 0 offset:68 ; 4-byte Folded Spill
	;; [unrolled: 1-line block ×4, first 2 shown]
	s_mov_b32 exec_lo, s2
	s_cbranch_execz .LBB109_73
; %bb.72:
	s_clause 0x3
	buffer_load_dword v215, off, s[16:19], 0 offset:568
	buffer_load_dword v216, off, s[16:19], 0 offset:572
	buffer_load_dword v217, off, s[16:19], 0 offset:576
	buffer_load_dword v218, off, s[16:19], 0 offset:580
	s_waitcnt vmcnt(2)
	v_mul_f64 v[191:192], v[215:216], v[211:212]
	s_waitcnt vmcnt(0)
	v_mul_f64 v[213:214], v[217:218], v[211:212]
	v_fma_f64 v[211:212], v[217:218], v[209:210], v[191:192]
	v_fma_f64 v[213:214], v[215:216], v[209:210], -v[213:214]
	ds_read2_b64 v[215:218], v253 offset0:16 offset1:17
	s_waitcnt lgkmcnt(0)
	v_mul_f64 v[189:190], v[217:218], v[211:212]
	v_mov_b32_e32 v209, v213
	v_mov_b32_e32 v210, v214
	v_fma_f64 v[189:190], v[215:216], v[213:214], -v[189:190]
	v_mul_f64 v[215:216], v[215:216], v[211:212]
	v_add_f64 v[185:186], v[185:186], -v[189:190]
	v_fma_f64 v[215:216], v[217:218], v[213:214], v[215:216]
	v_add_f64 v[187:188], v[187:188], -v[215:216]
	ds_read2_b64 v[215:218], v253 offset0:18 offset1:19
	s_waitcnt lgkmcnt(0)
	v_mul_f64 v[189:190], v[217:218], v[211:212]
	v_fma_f64 v[189:190], v[215:216], v[213:214], -v[189:190]
	v_mul_f64 v[215:216], v[215:216], v[211:212]
	v_add_f64 v[181:182], v[181:182], -v[189:190]
	v_fma_f64 v[215:216], v[217:218], v[213:214], v[215:216]
	v_add_f64 v[183:184], v[183:184], -v[215:216]
	ds_read2_b64 v[215:218], v253 offset0:20 offset1:21
	s_waitcnt lgkmcnt(0)
	v_mul_f64 v[189:190], v[217:218], v[211:212]
	;; [unrolled: 8-line block ×46, first 2 shown]
	v_fma_f64 v[189:190], v[215:216], v[213:214], -v[189:190]
	v_mul_f64 v[215:216], v[215:216], v[211:212]
	v_add_f64 v[1:2], v[1:2], -v[189:190]
	s_clause 0x3
	buffer_load_dword v189, off, s[16:19], 0 offset:64
	buffer_load_dword v190, off, s[16:19], 0 offset:68
	;; [unrolled: 1-line block ×4, first 2 shown]
	v_fma_f64 v[215:216], v[217:218], v[213:214], v[215:216]
	v_add_f64 v[3:4], v[3:4], -v[215:216]
.LBB109_73:
	s_or_b32 exec_lo, exec_lo, s1
	s_mov_b32 s2, exec_lo
	s_waitcnt vmcnt(0)
	s_waitcnt_vscnt null, 0x0
	s_barrier
	buffer_gl0_inv
	v_cmpx_eq_u32_e32 8, v0
	s_cbranch_execz .LBB109_80
; %bb.74:
	ds_write2_b64 v255, v[185:186], v[187:188] offset1:1
	ds_write2_b64 v253, v[181:182], v[183:184] offset0:18 offset1:19
	ds_write2_b64 v253, v[177:178], v[179:180] offset0:20 offset1:21
	;; [unrolled: 1-line block ×46, first 2 shown]
	ds_read2_b64 v[213:216], v255 offset1:1
	s_waitcnt lgkmcnt(0)
	v_cmp_neq_f64_e32 vcc_lo, 0, v[213:214]
	v_cmp_neq_f64_e64 s1, 0, v[215:216]
	s_or_b32 s1, vcc_lo, s1
	s_and_b32 exec_lo, exec_lo, s1
	s_cbranch_execz .LBB109_80
; %bb.75:
	v_cmp_ngt_f64_e64 s1, |v[213:214]|, |v[215:216]|
                                        ; implicit-def: $vgpr217_vgpr218
	s_and_saveexec_b32 s3, s1
	s_xor_b32 s1, exec_lo, s3
                                        ; implicit-def: $vgpr219_vgpr220
	s_cbranch_execz .LBB109_77
; %bb.76:
	v_div_scale_f64 v[217:218], null, v[215:216], v[215:216], v[213:214]
	v_div_scale_f64 v[223:224], vcc_lo, v[213:214], v[215:216], v[213:214]
	v_rcp_f64_e32 v[219:220], v[217:218]
	v_fma_f64 v[221:222], -v[217:218], v[219:220], 1.0
	v_fma_f64 v[219:220], v[219:220], v[221:222], v[219:220]
	v_fma_f64 v[221:222], -v[217:218], v[219:220], 1.0
	v_fma_f64 v[219:220], v[219:220], v[221:222], v[219:220]
	v_mul_f64 v[221:222], v[223:224], v[219:220]
	v_fma_f64 v[217:218], -v[217:218], v[221:222], v[223:224]
	v_div_fmas_f64 v[217:218], v[217:218], v[219:220], v[221:222]
	v_div_fixup_f64 v[217:218], v[217:218], v[215:216], v[213:214]
	v_fma_f64 v[213:214], v[213:214], v[217:218], v[215:216]
	v_div_scale_f64 v[215:216], null, v[213:214], v[213:214], 1.0
	v_rcp_f64_e32 v[219:220], v[215:216]
	v_fma_f64 v[221:222], -v[215:216], v[219:220], 1.0
	v_fma_f64 v[219:220], v[219:220], v[221:222], v[219:220]
	v_fma_f64 v[221:222], -v[215:216], v[219:220], 1.0
	v_fma_f64 v[219:220], v[219:220], v[221:222], v[219:220]
	v_div_scale_f64 v[221:222], vcc_lo, 1.0, v[213:214], 1.0
	v_mul_f64 v[223:224], v[221:222], v[219:220]
	v_fma_f64 v[215:216], -v[215:216], v[223:224], v[221:222]
	v_div_fmas_f64 v[215:216], v[215:216], v[219:220], v[223:224]
	v_div_fixup_f64 v[219:220], v[215:216], v[213:214], 1.0
                                        ; implicit-def: $vgpr213_vgpr214
	v_mul_f64 v[217:218], v[217:218], v[219:220]
	v_xor_b32_e32 v220, 0x80000000, v220
.LBB109_77:
	s_andn2_saveexec_b32 s1, s1
	s_cbranch_execz .LBB109_79
; %bb.78:
	v_div_scale_f64 v[217:218], null, v[213:214], v[213:214], v[215:216]
	v_div_scale_f64 v[223:224], vcc_lo, v[215:216], v[213:214], v[215:216]
	v_rcp_f64_e32 v[219:220], v[217:218]
	v_fma_f64 v[221:222], -v[217:218], v[219:220], 1.0
	v_fma_f64 v[219:220], v[219:220], v[221:222], v[219:220]
	v_fma_f64 v[221:222], -v[217:218], v[219:220], 1.0
	v_fma_f64 v[219:220], v[219:220], v[221:222], v[219:220]
	v_mul_f64 v[221:222], v[223:224], v[219:220]
	v_fma_f64 v[217:218], -v[217:218], v[221:222], v[223:224]
	v_div_fmas_f64 v[217:218], v[217:218], v[219:220], v[221:222]
	v_div_fixup_f64 v[219:220], v[217:218], v[213:214], v[215:216]
	v_fma_f64 v[213:214], v[215:216], v[219:220], v[213:214]
	v_div_scale_f64 v[215:216], null, v[213:214], v[213:214], 1.0
	v_rcp_f64_e32 v[217:218], v[215:216]
	v_fma_f64 v[221:222], -v[215:216], v[217:218], 1.0
	v_fma_f64 v[217:218], v[217:218], v[221:222], v[217:218]
	v_fma_f64 v[221:222], -v[215:216], v[217:218], 1.0
	v_fma_f64 v[217:218], v[217:218], v[221:222], v[217:218]
	v_div_scale_f64 v[221:222], vcc_lo, 1.0, v[213:214], 1.0
	v_mul_f64 v[223:224], v[221:222], v[217:218]
	v_fma_f64 v[215:216], -v[215:216], v[223:224], v[221:222]
	v_div_fmas_f64 v[215:216], v[215:216], v[217:218], v[223:224]
	v_div_fixup_f64 v[217:218], v[215:216], v[213:214], 1.0
	v_mul_f64 v[219:220], v[219:220], -v[217:218]
.LBB109_79:
	s_or_b32 exec_lo, exec_lo, s1
	ds_write2_b64 v255, v[217:218], v[219:220] offset1:1
.LBB109_80:
	s_or_b32 exec_lo, exec_lo, s2
	s_waitcnt lgkmcnt(0)
	s_barrier
	buffer_gl0_inv
	ds_read2_b64 v[213:216], v255 offset1:1
	s_mov_b32 s1, exec_lo
	s_waitcnt lgkmcnt(0)
	buffer_store_dword v213, off, s[16:19], 0 offset:584 ; 4-byte Folded Spill
	buffer_store_dword v214, off, s[16:19], 0 offset:588 ; 4-byte Folded Spill
	buffer_store_dword v215, off, s[16:19], 0 offset:592 ; 4-byte Folded Spill
	buffer_store_dword v216, off, s[16:19], 0 offset:596 ; 4-byte Folded Spill
	v_cmpx_lt_u32_e32 8, v0
	s_cbranch_execz .LBB109_82
; %bb.81:
	s_clause 0x3
	buffer_load_dword v215, off, s[16:19], 0 offset:584
	buffer_load_dword v216, off, s[16:19], 0 offset:588
	;; [unrolled: 1-line block ×4, first 2 shown]
	s_waitcnt vmcnt(0)
	v_mul_f64 v[213:214], v[217:218], v[187:188]
	v_mul_f64 v[187:188], v[215:216], v[187:188]
	v_fma_f64 v[213:214], v[215:216], v[185:186], -v[213:214]
	v_fma_f64 v[187:188], v[217:218], v[185:186], v[187:188]
	ds_read2_b64 v[215:218], v253 offset0:18 offset1:19
	s_waitcnt lgkmcnt(0)
	v_mul_f64 v[185:186], v[217:218], v[187:188]
	v_fma_f64 v[185:186], v[215:216], v[213:214], -v[185:186]
	v_mul_f64 v[215:216], v[215:216], v[187:188]
	v_add_f64 v[181:182], v[181:182], -v[185:186]
	v_fma_f64 v[215:216], v[217:218], v[213:214], v[215:216]
	v_add_f64 v[183:184], v[183:184], -v[215:216]
	ds_read2_b64 v[215:218], v253 offset0:20 offset1:21
	s_waitcnt lgkmcnt(0)
	v_mul_f64 v[185:186], v[217:218], v[187:188]
	v_fma_f64 v[185:186], v[215:216], v[213:214], -v[185:186]
	v_mul_f64 v[215:216], v[215:216], v[187:188]
	v_add_f64 v[177:178], v[177:178], -v[185:186]
	v_fma_f64 v[215:216], v[217:218], v[213:214], v[215:216]
	v_add_f64 v[179:180], v[179:180], -v[215:216]
	;; [unrolled: 8-line block ×45, first 2 shown]
	ds_read2_b64 v[215:218], v253 offset0:108 offset1:109
	s_waitcnt lgkmcnt(0)
	v_mul_f64 v[185:186], v[217:218], v[187:188]
	v_fma_f64 v[185:186], v[215:216], v[213:214], -v[185:186]
	v_mul_f64 v[215:216], v[215:216], v[187:188]
	v_add_f64 v[1:2], v[1:2], -v[185:186]
	v_fma_f64 v[215:216], v[217:218], v[213:214], v[215:216]
	v_mov_b32_e32 v185, v213
	v_mov_b32_e32 v186, v214
	v_add_f64 v[3:4], v[3:4], -v[215:216]
.LBB109_82:
	s_or_b32 exec_lo, exec_lo, s1
	s_mov_b32 s2, exec_lo
	s_waitcnt_vscnt null, 0x0
	s_barrier
	buffer_gl0_inv
	v_cmpx_eq_u32_e32 9, v0
	s_cbranch_execz .LBB109_89
; %bb.83:
	ds_write2_b64 v255, v[181:182], v[183:184] offset1:1
	ds_write2_b64 v253, v[177:178], v[179:180] offset0:20 offset1:21
	ds_write2_b64 v253, v[173:174], v[175:176] offset0:22 offset1:23
	;; [unrolled: 1-line block ×45, first 2 shown]
	ds_read2_b64 v[213:216], v255 offset1:1
	s_waitcnt lgkmcnt(0)
	v_cmp_neq_f64_e32 vcc_lo, 0, v[213:214]
	v_cmp_neq_f64_e64 s1, 0, v[215:216]
	s_or_b32 s1, vcc_lo, s1
	s_and_b32 exec_lo, exec_lo, s1
	s_cbranch_execz .LBB109_89
; %bb.84:
	v_cmp_ngt_f64_e64 s1, |v[213:214]|, |v[215:216]|
                                        ; implicit-def: $vgpr217_vgpr218
	s_and_saveexec_b32 s3, s1
	s_xor_b32 s1, exec_lo, s3
                                        ; implicit-def: $vgpr219_vgpr220
	s_cbranch_execz .LBB109_86
; %bb.85:
	v_div_scale_f64 v[217:218], null, v[215:216], v[215:216], v[213:214]
	v_div_scale_f64 v[223:224], vcc_lo, v[213:214], v[215:216], v[213:214]
	v_rcp_f64_e32 v[219:220], v[217:218]
	v_fma_f64 v[221:222], -v[217:218], v[219:220], 1.0
	v_fma_f64 v[219:220], v[219:220], v[221:222], v[219:220]
	v_fma_f64 v[221:222], -v[217:218], v[219:220], 1.0
	v_fma_f64 v[219:220], v[219:220], v[221:222], v[219:220]
	v_mul_f64 v[221:222], v[223:224], v[219:220]
	v_fma_f64 v[217:218], -v[217:218], v[221:222], v[223:224]
	v_div_fmas_f64 v[217:218], v[217:218], v[219:220], v[221:222]
	v_div_fixup_f64 v[217:218], v[217:218], v[215:216], v[213:214]
	v_fma_f64 v[213:214], v[213:214], v[217:218], v[215:216]
	v_div_scale_f64 v[215:216], null, v[213:214], v[213:214], 1.0
	v_rcp_f64_e32 v[219:220], v[215:216]
	v_fma_f64 v[221:222], -v[215:216], v[219:220], 1.0
	v_fma_f64 v[219:220], v[219:220], v[221:222], v[219:220]
	v_fma_f64 v[221:222], -v[215:216], v[219:220], 1.0
	v_fma_f64 v[219:220], v[219:220], v[221:222], v[219:220]
	v_div_scale_f64 v[221:222], vcc_lo, 1.0, v[213:214], 1.0
	v_mul_f64 v[223:224], v[221:222], v[219:220]
	v_fma_f64 v[215:216], -v[215:216], v[223:224], v[221:222]
	v_div_fmas_f64 v[215:216], v[215:216], v[219:220], v[223:224]
	v_div_fixup_f64 v[219:220], v[215:216], v[213:214], 1.0
                                        ; implicit-def: $vgpr213_vgpr214
	v_mul_f64 v[217:218], v[217:218], v[219:220]
	v_xor_b32_e32 v220, 0x80000000, v220
.LBB109_86:
	s_andn2_saveexec_b32 s1, s1
	s_cbranch_execz .LBB109_88
; %bb.87:
	v_div_scale_f64 v[217:218], null, v[213:214], v[213:214], v[215:216]
	v_div_scale_f64 v[223:224], vcc_lo, v[215:216], v[213:214], v[215:216]
	v_rcp_f64_e32 v[219:220], v[217:218]
	v_fma_f64 v[221:222], -v[217:218], v[219:220], 1.0
	v_fma_f64 v[219:220], v[219:220], v[221:222], v[219:220]
	v_fma_f64 v[221:222], -v[217:218], v[219:220], 1.0
	v_fma_f64 v[219:220], v[219:220], v[221:222], v[219:220]
	v_mul_f64 v[221:222], v[223:224], v[219:220]
	v_fma_f64 v[217:218], -v[217:218], v[221:222], v[223:224]
	v_div_fmas_f64 v[217:218], v[217:218], v[219:220], v[221:222]
	v_div_fixup_f64 v[219:220], v[217:218], v[213:214], v[215:216]
	v_fma_f64 v[213:214], v[215:216], v[219:220], v[213:214]
	v_div_scale_f64 v[215:216], null, v[213:214], v[213:214], 1.0
	v_rcp_f64_e32 v[217:218], v[215:216]
	v_fma_f64 v[221:222], -v[215:216], v[217:218], 1.0
	v_fma_f64 v[217:218], v[217:218], v[221:222], v[217:218]
	v_fma_f64 v[221:222], -v[215:216], v[217:218], 1.0
	v_fma_f64 v[217:218], v[217:218], v[221:222], v[217:218]
	v_div_scale_f64 v[221:222], vcc_lo, 1.0, v[213:214], 1.0
	v_mul_f64 v[223:224], v[221:222], v[217:218]
	v_fma_f64 v[215:216], -v[215:216], v[223:224], v[221:222]
	v_div_fmas_f64 v[215:216], v[215:216], v[217:218], v[223:224]
	v_div_fixup_f64 v[217:218], v[215:216], v[213:214], 1.0
	v_mul_f64 v[219:220], v[219:220], -v[217:218]
.LBB109_88:
	s_or_b32 exec_lo, exec_lo, s1
	ds_write2_b64 v255, v[217:218], v[219:220] offset1:1
.LBB109_89:
	s_or_b32 exec_lo, exec_lo, s2
	s_waitcnt lgkmcnt(0)
	s_barrier
	buffer_gl0_inv
	ds_read2_b64 v[213:216], v255 offset1:1
	s_mov_b32 s1, exec_lo
	s_waitcnt lgkmcnt(0)
	buffer_store_dword v213, off, s[16:19], 0 offset:600 ; 4-byte Folded Spill
	buffer_store_dword v214, off, s[16:19], 0 offset:604 ; 4-byte Folded Spill
	;; [unrolled: 1-line block ×4, first 2 shown]
	v_cmpx_lt_u32_e32 9, v0
	s_cbranch_execz .LBB109_91
; %bb.90:
	s_clause 0x3
	buffer_load_dword v215, off, s[16:19], 0 offset:600
	buffer_load_dword v216, off, s[16:19], 0 offset:604
	;; [unrolled: 1-line block ×4, first 2 shown]
	s_waitcnt vmcnt(0)
	v_mul_f64 v[213:214], v[217:218], v[183:184]
	v_mul_f64 v[183:184], v[215:216], v[183:184]
	v_fma_f64 v[213:214], v[215:216], v[181:182], -v[213:214]
	v_fma_f64 v[183:184], v[217:218], v[181:182], v[183:184]
	ds_read2_b64 v[215:218], v253 offset0:20 offset1:21
	s_waitcnt lgkmcnt(0)
	v_mul_f64 v[181:182], v[217:218], v[183:184]
	v_fma_f64 v[181:182], v[215:216], v[213:214], -v[181:182]
	v_mul_f64 v[215:216], v[215:216], v[183:184]
	v_add_f64 v[177:178], v[177:178], -v[181:182]
	v_fma_f64 v[215:216], v[217:218], v[213:214], v[215:216]
	v_add_f64 v[179:180], v[179:180], -v[215:216]
	ds_read2_b64 v[215:218], v253 offset0:22 offset1:23
	s_waitcnt lgkmcnt(0)
	v_mul_f64 v[181:182], v[217:218], v[183:184]
	v_fma_f64 v[181:182], v[215:216], v[213:214], -v[181:182]
	v_mul_f64 v[215:216], v[215:216], v[183:184]
	v_add_f64 v[173:174], v[173:174], -v[181:182]
	v_fma_f64 v[215:216], v[217:218], v[213:214], v[215:216]
	v_add_f64 v[175:176], v[175:176], -v[215:216]
	;; [unrolled: 8-line block ×44, first 2 shown]
	ds_read2_b64 v[215:218], v253 offset0:108 offset1:109
	s_waitcnt lgkmcnt(0)
	v_mul_f64 v[181:182], v[217:218], v[183:184]
	v_fma_f64 v[181:182], v[215:216], v[213:214], -v[181:182]
	v_mul_f64 v[215:216], v[215:216], v[183:184]
	v_add_f64 v[1:2], v[1:2], -v[181:182]
	v_fma_f64 v[215:216], v[217:218], v[213:214], v[215:216]
	v_mov_b32_e32 v181, v213
	v_mov_b32_e32 v182, v214
	v_add_f64 v[3:4], v[3:4], -v[215:216]
.LBB109_91:
	s_or_b32 exec_lo, exec_lo, s1
	s_mov_b32 s2, exec_lo
	s_waitcnt_vscnt null, 0x0
	s_barrier
	buffer_gl0_inv
	v_cmpx_eq_u32_e32 10, v0
	s_cbranch_execz .LBB109_98
; %bb.92:
	ds_write2_b64 v255, v[177:178], v[179:180] offset1:1
	ds_write2_b64 v253, v[173:174], v[175:176] offset0:22 offset1:23
	ds_write2_b64 v253, v[169:170], v[171:172] offset0:24 offset1:25
	;; [unrolled: 1-line block ×44, first 2 shown]
	ds_read2_b64 v[213:216], v255 offset1:1
	s_waitcnt lgkmcnt(0)
	v_cmp_neq_f64_e32 vcc_lo, 0, v[213:214]
	v_cmp_neq_f64_e64 s1, 0, v[215:216]
	s_or_b32 s1, vcc_lo, s1
	s_and_b32 exec_lo, exec_lo, s1
	s_cbranch_execz .LBB109_98
; %bb.93:
	v_cmp_ngt_f64_e64 s1, |v[213:214]|, |v[215:216]|
                                        ; implicit-def: $vgpr217_vgpr218
	s_and_saveexec_b32 s3, s1
	s_xor_b32 s1, exec_lo, s3
                                        ; implicit-def: $vgpr219_vgpr220
	s_cbranch_execz .LBB109_95
; %bb.94:
	v_div_scale_f64 v[217:218], null, v[215:216], v[215:216], v[213:214]
	v_div_scale_f64 v[223:224], vcc_lo, v[213:214], v[215:216], v[213:214]
	v_rcp_f64_e32 v[219:220], v[217:218]
	v_fma_f64 v[221:222], -v[217:218], v[219:220], 1.0
	v_fma_f64 v[219:220], v[219:220], v[221:222], v[219:220]
	v_fma_f64 v[221:222], -v[217:218], v[219:220], 1.0
	v_fma_f64 v[219:220], v[219:220], v[221:222], v[219:220]
	v_mul_f64 v[221:222], v[223:224], v[219:220]
	v_fma_f64 v[217:218], -v[217:218], v[221:222], v[223:224]
	v_div_fmas_f64 v[217:218], v[217:218], v[219:220], v[221:222]
	v_div_fixup_f64 v[217:218], v[217:218], v[215:216], v[213:214]
	v_fma_f64 v[213:214], v[213:214], v[217:218], v[215:216]
	v_div_scale_f64 v[215:216], null, v[213:214], v[213:214], 1.0
	v_rcp_f64_e32 v[219:220], v[215:216]
	v_fma_f64 v[221:222], -v[215:216], v[219:220], 1.0
	v_fma_f64 v[219:220], v[219:220], v[221:222], v[219:220]
	v_fma_f64 v[221:222], -v[215:216], v[219:220], 1.0
	v_fma_f64 v[219:220], v[219:220], v[221:222], v[219:220]
	v_div_scale_f64 v[221:222], vcc_lo, 1.0, v[213:214], 1.0
	v_mul_f64 v[223:224], v[221:222], v[219:220]
	v_fma_f64 v[215:216], -v[215:216], v[223:224], v[221:222]
	v_div_fmas_f64 v[215:216], v[215:216], v[219:220], v[223:224]
	v_div_fixup_f64 v[219:220], v[215:216], v[213:214], 1.0
                                        ; implicit-def: $vgpr213_vgpr214
	v_mul_f64 v[217:218], v[217:218], v[219:220]
	v_xor_b32_e32 v220, 0x80000000, v220
.LBB109_95:
	s_andn2_saveexec_b32 s1, s1
	s_cbranch_execz .LBB109_97
; %bb.96:
	v_div_scale_f64 v[217:218], null, v[213:214], v[213:214], v[215:216]
	v_div_scale_f64 v[223:224], vcc_lo, v[215:216], v[213:214], v[215:216]
	v_rcp_f64_e32 v[219:220], v[217:218]
	v_fma_f64 v[221:222], -v[217:218], v[219:220], 1.0
	v_fma_f64 v[219:220], v[219:220], v[221:222], v[219:220]
	v_fma_f64 v[221:222], -v[217:218], v[219:220], 1.0
	v_fma_f64 v[219:220], v[219:220], v[221:222], v[219:220]
	v_mul_f64 v[221:222], v[223:224], v[219:220]
	v_fma_f64 v[217:218], -v[217:218], v[221:222], v[223:224]
	v_div_fmas_f64 v[217:218], v[217:218], v[219:220], v[221:222]
	v_div_fixup_f64 v[219:220], v[217:218], v[213:214], v[215:216]
	v_fma_f64 v[213:214], v[215:216], v[219:220], v[213:214]
	v_div_scale_f64 v[215:216], null, v[213:214], v[213:214], 1.0
	v_rcp_f64_e32 v[217:218], v[215:216]
	v_fma_f64 v[221:222], -v[215:216], v[217:218], 1.0
	v_fma_f64 v[217:218], v[217:218], v[221:222], v[217:218]
	v_fma_f64 v[221:222], -v[215:216], v[217:218], 1.0
	v_fma_f64 v[217:218], v[217:218], v[221:222], v[217:218]
	v_div_scale_f64 v[221:222], vcc_lo, 1.0, v[213:214], 1.0
	v_mul_f64 v[223:224], v[221:222], v[217:218]
	v_fma_f64 v[215:216], -v[215:216], v[223:224], v[221:222]
	v_div_fmas_f64 v[215:216], v[215:216], v[217:218], v[223:224]
	v_div_fixup_f64 v[217:218], v[215:216], v[213:214], 1.0
	v_mul_f64 v[219:220], v[219:220], -v[217:218]
.LBB109_97:
	s_or_b32 exec_lo, exec_lo, s1
	ds_write2_b64 v255, v[217:218], v[219:220] offset1:1
.LBB109_98:
	s_or_b32 exec_lo, exec_lo, s2
	s_waitcnt lgkmcnt(0)
	s_barrier
	buffer_gl0_inv
	ds_read2_b64 v[213:216], v255 offset1:1
	s_mov_b32 s1, exec_lo
	s_waitcnt lgkmcnt(0)
	buffer_store_dword v213, off, s[16:19], 0 offset:616 ; 4-byte Folded Spill
	buffer_store_dword v214, off, s[16:19], 0 offset:620 ; 4-byte Folded Spill
	;; [unrolled: 1-line block ×4, first 2 shown]
	v_cmpx_lt_u32_e32 10, v0
	s_cbranch_execz .LBB109_100
; %bb.99:
	s_clause 0x3
	buffer_load_dword v215, off, s[16:19], 0 offset:616
	buffer_load_dword v216, off, s[16:19], 0 offset:620
	;; [unrolled: 1-line block ×4, first 2 shown]
	s_waitcnt vmcnt(0)
	v_mul_f64 v[213:214], v[217:218], v[179:180]
	v_mul_f64 v[179:180], v[215:216], v[179:180]
	v_fma_f64 v[213:214], v[215:216], v[177:178], -v[213:214]
	v_fma_f64 v[179:180], v[217:218], v[177:178], v[179:180]
	ds_read2_b64 v[215:218], v253 offset0:22 offset1:23
	s_waitcnt lgkmcnt(0)
	v_mul_f64 v[177:178], v[217:218], v[179:180]
	v_fma_f64 v[177:178], v[215:216], v[213:214], -v[177:178]
	v_mul_f64 v[215:216], v[215:216], v[179:180]
	v_add_f64 v[173:174], v[173:174], -v[177:178]
	v_fma_f64 v[215:216], v[217:218], v[213:214], v[215:216]
	v_add_f64 v[175:176], v[175:176], -v[215:216]
	ds_read2_b64 v[215:218], v253 offset0:24 offset1:25
	s_waitcnt lgkmcnt(0)
	v_mul_f64 v[177:178], v[217:218], v[179:180]
	v_fma_f64 v[177:178], v[215:216], v[213:214], -v[177:178]
	v_mul_f64 v[215:216], v[215:216], v[179:180]
	v_add_f64 v[169:170], v[169:170], -v[177:178]
	v_fma_f64 v[215:216], v[217:218], v[213:214], v[215:216]
	v_add_f64 v[171:172], v[171:172], -v[215:216]
	;; [unrolled: 8-line block ×43, first 2 shown]
	ds_read2_b64 v[215:218], v253 offset0:108 offset1:109
	s_waitcnt lgkmcnt(0)
	v_mul_f64 v[177:178], v[217:218], v[179:180]
	v_fma_f64 v[177:178], v[215:216], v[213:214], -v[177:178]
	v_mul_f64 v[215:216], v[215:216], v[179:180]
	v_add_f64 v[1:2], v[1:2], -v[177:178]
	v_fma_f64 v[215:216], v[217:218], v[213:214], v[215:216]
	v_mov_b32_e32 v177, v213
	v_mov_b32_e32 v178, v214
	v_add_f64 v[3:4], v[3:4], -v[215:216]
.LBB109_100:
	s_or_b32 exec_lo, exec_lo, s1
	s_mov_b32 s2, exec_lo
	s_waitcnt_vscnt null, 0x0
	s_barrier
	buffer_gl0_inv
	v_cmpx_eq_u32_e32 11, v0
	s_cbranch_execz .LBB109_107
; %bb.101:
	ds_write2_b64 v255, v[173:174], v[175:176] offset1:1
	ds_write2_b64 v253, v[169:170], v[171:172] offset0:24 offset1:25
	ds_write2_b64 v253, v[165:166], v[167:168] offset0:26 offset1:27
	;; [unrolled: 1-line block ×43, first 2 shown]
	ds_read2_b64 v[213:216], v255 offset1:1
	s_waitcnt lgkmcnt(0)
	v_cmp_neq_f64_e32 vcc_lo, 0, v[213:214]
	v_cmp_neq_f64_e64 s1, 0, v[215:216]
	s_or_b32 s1, vcc_lo, s1
	s_and_b32 exec_lo, exec_lo, s1
	s_cbranch_execz .LBB109_107
; %bb.102:
	v_cmp_ngt_f64_e64 s1, |v[213:214]|, |v[215:216]|
                                        ; implicit-def: $vgpr217_vgpr218
	s_and_saveexec_b32 s3, s1
	s_xor_b32 s1, exec_lo, s3
                                        ; implicit-def: $vgpr219_vgpr220
	s_cbranch_execz .LBB109_104
; %bb.103:
	v_div_scale_f64 v[217:218], null, v[215:216], v[215:216], v[213:214]
	v_div_scale_f64 v[223:224], vcc_lo, v[213:214], v[215:216], v[213:214]
	v_rcp_f64_e32 v[219:220], v[217:218]
	v_fma_f64 v[221:222], -v[217:218], v[219:220], 1.0
	v_fma_f64 v[219:220], v[219:220], v[221:222], v[219:220]
	v_fma_f64 v[221:222], -v[217:218], v[219:220], 1.0
	v_fma_f64 v[219:220], v[219:220], v[221:222], v[219:220]
	v_mul_f64 v[221:222], v[223:224], v[219:220]
	v_fma_f64 v[217:218], -v[217:218], v[221:222], v[223:224]
	v_div_fmas_f64 v[217:218], v[217:218], v[219:220], v[221:222]
	v_div_fixup_f64 v[217:218], v[217:218], v[215:216], v[213:214]
	v_fma_f64 v[213:214], v[213:214], v[217:218], v[215:216]
	v_div_scale_f64 v[215:216], null, v[213:214], v[213:214], 1.0
	v_rcp_f64_e32 v[219:220], v[215:216]
	v_fma_f64 v[221:222], -v[215:216], v[219:220], 1.0
	v_fma_f64 v[219:220], v[219:220], v[221:222], v[219:220]
	v_fma_f64 v[221:222], -v[215:216], v[219:220], 1.0
	v_fma_f64 v[219:220], v[219:220], v[221:222], v[219:220]
	v_div_scale_f64 v[221:222], vcc_lo, 1.0, v[213:214], 1.0
	v_mul_f64 v[223:224], v[221:222], v[219:220]
	v_fma_f64 v[215:216], -v[215:216], v[223:224], v[221:222]
	v_div_fmas_f64 v[215:216], v[215:216], v[219:220], v[223:224]
	v_div_fixup_f64 v[219:220], v[215:216], v[213:214], 1.0
                                        ; implicit-def: $vgpr213_vgpr214
	v_mul_f64 v[217:218], v[217:218], v[219:220]
	v_xor_b32_e32 v220, 0x80000000, v220
.LBB109_104:
	s_andn2_saveexec_b32 s1, s1
	s_cbranch_execz .LBB109_106
; %bb.105:
	v_div_scale_f64 v[217:218], null, v[213:214], v[213:214], v[215:216]
	v_div_scale_f64 v[223:224], vcc_lo, v[215:216], v[213:214], v[215:216]
	v_rcp_f64_e32 v[219:220], v[217:218]
	v_fma_f64 v[221:222], -v[217:218], v[219:220], 1.0
	v_fma_f64 v[219:220], v[219:220], v[221:222], v[219:220]
	v_fma_f64 v[221:222], -v[217:218], v[219:220], 1.0
	v_fma_f64 v[219:220], v[219:220], v[221:222], v[219:220]
	v_mul_f64 v[221:222], v[223:224], v[219:220]
	v_fma_f64 v[217:218], -v[217:218], v[221:222], v[223:224]
	v_div_fmas_f64 v[217:218], v[217:218], v[219:220], v[221:222]
	v_div_fixup_f64 v[219:220], v[217:218], v[213:214], v[215:216]
	v_fma_f64 v[213:214], v[215:216], v[219:220], v[213:214]
	v_div_scale_f64 v[215:216], null, v[213:214], v[213:214], 1.0
	v_rcp_f64_e32 v[217:218], v[215:216]
	v_fma_f64 v[221:222], -v[215:216], v[217:218], 1.0
	v_fma_f64 v[217:218], v[217:218], v[221:222], v[217:218]
	v_fma_f64 v[221:222], -v[215:216], v[217:218], 1.0
	v_fma_f64 v[217:218], v[217:218], v[221:222], v[217:218]
	v_div_scale_f64 v[221:222], vcc_lo, 1.0, v[213:214], 1.0
	v_mul_f64 v[223:224], v[221:222], v[217:218]
	v_fma_f64 v[215:216], -v[215:216], v[223:224], v[221:222]
	v_div_fmas_f64 v[215:216], v[215:216], v[217:218], v[223:224]
	v_div_fixup_f64 v[217:218], v[215:216], v[213:214], 1.0
	v_mul_f64 v[219:220], v[219:220], -v[217:218]
.LBB109_106:
	s_or_b32 exec_lo, exec_lo, s1
	ds_write2_b64 v255, v[217:218], v[219:220] offset1:1
.LBB109_107:
	s_or_b32 exec_lo, exec_lo, s2
	s_waitcnt lgkmcnt(0)
	s_barrier
	buffer_gl0_inv
	ds_read2_b64 v[213:216], v255 offset1:1
	s_mov_b32 s1, exec_lo
	s_waitcnt lgkmcnt(0)
	buffer_store_dword v213, off, s[16:19], 0 offset:632 ; 4-byte Folded Spill
	buffer_store_dword v214, off, s[16:19], 0 offset:636 ; 4-byte Folded Spill
	;; [unrolled: 1-line block ×4, first 2 shown]
	v_cmpx_lt_u32_e32 11, v0
	s_cbranch_execz .LBB109_109
; %bb.108:
	s_clause 0x3
	buffer_load_dword v215, off, s[16:19], 0 offset:632
	buffer_load_dword v216, off, s[16:19], 0 offset:636
	;; [unrolled: 1-line block ×4, first 2 shown]
	s_waitcnt vmcnt(0)
	v_mul_f64 v[213:214], v[217:218], v[175:176]
	v_mul_f64 v[175:176], v[215:216], v[175:176]
	v_fma_f64 v[213:214], v[215:216], v[173:174], -v[213:214]
	v_fma_f64 v[175:176], v[217:218], v[173:174], v[175:176]
	ds_read2_b64 v[215:218], v253 offset0:24 offset1:25
	s_waitcnt lgkmcnt(0)
	v_mul_f64 v[173:174], v[217:218], v[175:176]
	v_fma_f64 v[173:174], v[215:216], v[213:214], -v[173:174]
	v_mul_f64 v[215:216], v[215:216], v[175:176]
	v_add_f64 v[169:170], v[169:170], -v[173:174]
	v_fma_f64 v[215:216], v[217:218], v[213:214], v[215:216]
	v_add_f64 v[171:172], v[171:172], -v[215:216]
	ds_read2_b64 v[215:218], v253 offset0:26 offset1:27
	s_waitcnt lgkmcnt(0)
	v_mul_f64 v[173:174], v[217:218], v[175:176]
	v_fma_f64 v[173:174], v[215:216], v[213:214], -v[173:174]
	v_mul_f64 v[215:216], v[215:216], v[175:176]
	v_add_f64 v[165:166], v[165:166], -v[173:174]
	v_fma_f64 v[215:216], v[217:218], v[213:214], v[215:216]
	v_add_f64 v[167:168], v[167:168], -v[215:216]
	;; [unrolled: 8-line block ×42, first 2 shown]
	ds_read2_b64 v[215:218], v253 offset0:108 offset1:109
	s_waitcnt lgkmcnt(0)
	v_mul_f64 v[173:174], v[217:218], v[175:176]
	v_fma_f64 v[173:174], v[215:216], v[213:214], -v[173:174]
	v_mul_f64 v[215:216], v[215:216], v[175:176]
	v_add_f64 v[1:2], v[1:2], -v[173:174]
	v_fma_f64 v[215:216], v[217:218], v[213:214], v[215:216]
	v_mov_b32_e32 v173, v213
	v_mov_b32_e32 v174, v214
	v_add_f64 v[3:4], v[3:4], -v[215:216]
.LBB109_109:
	s_or_b32 exec_lo, exec_lo, s1
	s_mov_b32 s2, exec_lo
	s_waitcnt_vscnt null, 0x0
	s_barrier
	buffer_gl0_inv
	v_cmpx_eq_u32_e32 12, v0
	s_cbranch_execz .LBB109_116
; %bb.110:
	ds_write2_b64 v255, v[169:170], v[171:172] offset1:1
	ds_write2_b64 v253, v[165:166], v[167:168] offset0:26 offset1:27
	ds_write2_b64 v253, v[161:162], v[163:164] offset0:28 offset1:29
	;; [unrolled: 1-line block ×42, first 2 shown]
	ds_read2_b64 v[213:216], v255 offset1:1
	s_waitcnt lgkmcnt(0)
	v_cmp_neq_f64_e32 vcc_lo, 0, v[213:214]
	v_cmp_neq_f64_e64 s1, 0, v[215:216]
	s_or_b32 s1, vcc_lo, s1
	s_and_b32 exec_lo, exec_lo, s1
	s_cbranch_execz .LBB109_116
; %bb.111:
	v_cmp_ngt_f64_e64 s1, |v[213:214]|, |v[215:216]|
                                        ; implicit-def: $vgpr217_vgpr218
	s_and_saveexec_b32 s3, s1
	s_xor_b32 s1, exec_lo, s3
                                        ; implicit-def: $vgpr219_vgpr220
	s_cbranch_execz .LBB109_113
; %bb.112:
	v_div_scale_f64 v[217:218], null, v[215:216], v[215:216], v[213:214]
	v_div_scale_f64 v[223:224], vcc_lo, v[213:214], v[215:216], v[213:214]
	v_rcp_f64_e32 v[219:220], v[217:218]
	v_fma_f64 v[221:222], -v[217:218], v[219:220], 1.0
	v_fma_f64 v[219:220], v[219:220], v[221:222], v[219:220]
	v_fma_f64 v[221:222], -v[217:218], v[219:220], 1.0
	v_fma_f64 v[219:220], v[219:220], v[221:222], v[219:220]
	v_mul_f64 v[221:222], v[223:224], v[219:220]
	v_fma_f64 v[217:218], -v[217:218], v[221:222], v[223:224]
	v_div_fmas_f64 v[217:218], v[217:218], v[219:220], v[221:222]
	v_div_fixup_f64 v[217:218], v[217:218], v[215:216], v[213:214]
	v_fma_f64 v[213:214], v[213:214], v[217:218], v[215:216]
	v_div_scale_f64 v[215:216], null, v[213:214], v[213:214], 1.0
	v_rcp_f64_e32 v[219:220], v[215:216]
	v_fma_f64 v[221:222], -v[215:216], v[219:220], 1.0
	v_fma_f64 v[219:220], v[219:220], v[221:222], v[219:220]
	v_fma_f64 v[221:222], -v[215:216], v[219:220], 1.0
	v_fma_f64 v[219:220], v[219:220], v[221:222], v[219:220]
	v_div_scale_f64 v[221:222], vcc_lo, 1.0, v[213:214], 1.0
	v_mul_f64 v[223:224], v[221:222], v[219:220]
	v_fma_f64 v[215:216], -v[215:216], v[223:224], v[221:222]
	v_div_fmas_f64 v[215:216], v[215:216], v[219:220], v[223:224]
	v_div_fixup_f64 v[219:220], v[215:216], v[213:214], 1.0
                                        ; implicit-def: $vgpr213_vgpr214
	v_mul_f64 v[217:218], v[217:218], v[219:220]
	v_xor_b32_e32 v220, 0x80000000, v220
.LBB109_113:
	s_andn2_saveexec_b32 s1, s1
	s_cbranch_execz .LBB109_115
; %bb.114:
	v_div_scale_f64 v[217:218], null, v[213:214], v[213:214], v[215:216]
	v_div_scale_f64 v[223:224], vcc_lo, v[215:216], v[213:214], v[215:216]
	v_rcp_f64_e32 v[219:220], v[217:218]
	v_fma_f64 v[221:222], -v[217:218], v[219:220], 1.0
	v_fma_f64 v[219:220], v[219:220], v[221:222], v[219:220]
	v_fma_f64 v[221:222], -v[217:218], v[219:220], 1.0
	v_fma_f64 v[219:220], v[219:220], v[221:222], v[219:220]
	v_mul_f64 v[221:222], v[223:224], v[219:220]
	v_fma_f64 v[217:218], -v[217:218], v[221:222], v[223:224]
	v_div_fmas_f64 v[217:218], v[217:218], v[219:220], v[221:222]
	v_div_fixup_f64 v[219:220], v[217:218], v[213:214], v[215:216]
	v_fma_f64 v[213:214], v[215:216], v[219:220], v[213:214]
	v_div_scale_f64 v[215:216], null, v[213:214], v[213:214], 1.0
	v_rcp_f64_e32 v[217:218], v[215:216]
	v_fma_f64 v[221:222], -v[215:216], v[217:218], 1.0
	v_fma_f64 v[217:218], v[217:218], v[221:222], v[217:218]
	v_fma_f64 v[221:222], -v[215:216], v[217:218], 1.0
	v_fma_f64 v[217:218], v[217:218], v[221:222], v[217:218]
	v_div_scale_f64 v[221:222], vcc_lo, 1.0, v[213:214], 1.0
	v_mul_f64 v[223:224], v[221:222], v[217:218]
	v_fma_f64 v[215:216], -v[215:216], v[223:224], v[221:222]
	v_div_fmas_f64 v[215:216], v[215:216], v[217:218], v[223:224]
	v_div_fixup_f64 v[217:218], v[215:216], v[213:214], 1.0
	v_mul_f64 v[219:220], v[219:220], -v[217:218]
.LBB109_115:
	s_or_b32 exec_lo, exec_lo, s1
	ds_write2_b64 v255, v[217:218], v[219:220] offset1:1
.LBB109_116:
	s_or_b32 exec_lo, exec_lo, s2
	s_waitcnt lgkmcnt(0)
	s_barrier
	buffer_gl0_inv
	ds_read2_b64 v[213:216], v255 offset1:1
	s_mov_b32 s1, exec_lo
	s_waitcnt lgkmcnt(0)
	buffer_store_dword v213, off, s[16:19], 0 offset:648 ; 4-byte Folded Spill
	buffer_store_dword v214, off, s[16:19], 0 offset:652 ; 4-byte Folded Spill
	;; [unrolled: 1-line block ×4, first 2 shown]
	v_cmpx_lt_u32_e32 12, v0
	s_cbranch_execz .LBB109_118
; %bb.117:
	s_clause 0x3
	buffer_load_dword v215, off, s[16:19], 0 offset:648
	buffer_load_dword v216, off, s[16:19], 0 offset:652
	buffer_load_dword v217, off, s[16:19], 0 offset:656
	buffer_load_dword v218, off, s[16:19], 0 offset:660
	s_waitcnt vmcnt(0)
	v_mul_f64 v[213:214], v[217:218], v[171:172]
	v_mul_f64 v[171:172], v[215:216], v[171:172]
	v_fma_f64 v[213:214], v[215:216], v[169:170], -v[213:214]
	v_fma_f64 v[171:172], v[217:218], v[169:170], v[171:172]
	ds_read2_b64 v[215:218], v253 offset0:26 offset1:27
	s_waitcnt lgkmcnt(0)
	v_mul_f64 v[169:170], v[217:218], v[171:172]
	v_fma_f64 v[169:170], v[215:216], v[213:214], -v[169:170]
	v_mul_f64 v[215:216], v[215:216], v[171:172]
	v_add_f64 v[165:166], v[165:166], -v[169:170]
	v_fma_f64 v[215:216], v[217:218], v[213:214], v[215:216]
	v_add_f64 v[167:168], v[167:168], -v[215:216]
	ds_read2_b64 v[215:218], v253 offset0:28 offset1:29
	s_waitcnt lgkmcnt(0)
	v_mul_f64 v[169:170], v[217:218], v[171:172]
	v_fma_f64 v[169:170], v[215:216], v[213:214], -v[169:170]
	v_mul_f64 v[215:216], v[215:216], v[171:172]
	v_add_f64 v[161:162], v[161:162], -v[169:170]
	v_fma_f64 v[215:216], v[217:218], v[213:214], v[215:216]
	v_add_f64 v[163:164], v[163:164], -v[215:216]
	;; [unrolled: 8-line block ×41, first 2 shown]
	ds_read2_b64 v[215:218], v253 offset0:108 offset1:109
	s_waitcnt lgkmcnt(0)
	v_mul_f64 v[169:170], v[217:218], v[171:172]
	v_fma_f64 v[169:170], v[215:216], v[213:214], -v[169:170]
	v_mul_f64 v[215:216], v[215:216], v[171:172]
	v_add_f64 v[1:2], v[1:2], -v[169:170]
	v_fma_f64 v[215:216], v[217:218], v[213:214], v[215:216]
	v_mov_b32_e32 v169, v213
	v_mov_b32_e32 v170, v214
	v_add_f64 v[3:4], v[3:4], -v[215:216]
.LBB109_118:
	s_or_b32 exec_lo, exec_lo, s1
	s_mov_b32 s2, exec_lo
	s_waitcnt_vscnt null, 0x0
	s_barrier
	buffer_gl0_inv
	v_cmpx_eq_u32_e32 13, v0
	s_cbranch_execz .LBB109_125
; %bb.119:
	ds_write2_b64 v255, v[165:166], v[167:168] offset1:1
	ds_write2_b64 v253, v[161:162], v[163:164] offset0:28 offset1:29
	ds_write2_b64 v253, v[157:158], v[159:160] offset0:30 offset1:31
	;; [unrolled: 1-line block ×41, first 2 shown]
	ds_read2_b64 v[213:216], v255 offset1:1
	s_waitcnt lgkmcnt(0)
	v_cmp_neq_f64_e32 vcc_lo, 0, v[213:214]
	v_cmp_neq_f64_e64 s1, 0, v[215:216]
	s_or_b32 s1, vcc_lo, s1
	s_and_b32 exec_lo, exec_lo, s1
	s_cbranch_execz .LBB109_125
; %bb.120:
	v_cmp_ngt_f64_e64 s1, |v[213:214]|, |v[215:216]|
                                        ; implicit-def: $vgpr217_vgpr218
	s_and_saveexec_b32 s3, s1
	s_xor_b32 s1, exec_lo, s3
                                        ; implicit-def: $vgpr219_vgpr220
	s_cbranch_execz .LBB109_122
; %bb.121:
	v_div_scale_f64 v[217:218], null, v[215:216], v[215:216], v[213:214]
	v_div_scale_f64 v[223:224], vcc_lo, v[213:214], v[215:216], v[213:214]
	v_rcp_f64_e32 v[219:220], v[217:218]
	v_fma_f64 v[221:222], -v[217:218], v[219:220], 1.0
	v_fma_f64 v[219:220], v[219:220], v[221:222], v[219:220]
	v_fma_f64 v[221:222], -v[217:218], v[219:220], 1.0
	v_fma_f64 v[219:220], v[219:220], v[221:222], v[219:220]
	v_mul_f64 v[221:222], v[223:224], v[219:220]
	v_fma_f64 v[217:218], -v[217:218], v[221:222], v[223:224]
	v_div_fmas_f64 v[217:218], v[217:218], v[219:220], v[221:222]
	v_div_fixup_f64 v[217:218], v[217:218], v[215:216], v[213:214]
	v_fma_f64 v[213:214], v[213:214], v[217:218], v[215:216]
	v_div_scale_f64 v[215:216], null, v[213:214], v[213:214], 1.0
	v_rcp_f64_e32 v[219:220], v[215:216]
	v_fma_f64 v[221:222], -v[215:216], v[219:220], 1.0
	v_fma_f64 v[219:220], v[219:220], v[221:222], v[219:220]
	v_fma_f64 v[221:222], -v[215:216], v[219:220], 1.0
	v_fma_f64 v[219:220], v[219:220], v[221:222], v[219:220]
	v_div_scale_f64 v[221:222], vcc_lo, 1.0, v[213:214], 1.0
	v_mul_f64 v[223:224], v[221:222], v[219:220]
	v_fma_f64 v[215:216], -v[215:216], v[223:224], v[221:222]
	v_div_fmas_f64 v[215:216], v[215:216], v[219:220], v[223:224]
	v_div_fixup_f64 v[219:220], v[215:216], v[213:214], 1.0
                                        ; implicit-def: $vgpr213_vgpr214
	v_mul_f64 v[217:218], v[217:218], v[219:220]
	v_xor_b32_e32 v220, 0x80000000, v220
.LBB109_122:
	s_andn2_saveexec_b32 s1, s1
	s_cbranch_execz .LBB109_124
; %bb.123:
	v_div_scale_f64 v[217:218], null, v[213:214], v[213:214], v[215:216]
	v_div_scale_f64 v[223:224], vcc_lo, v[215:216], v[213:214], v[215:216]
	v_rcp_f64_e32 v[219:220], v[217:218]
	v_fma_f64 v[221:222], -v[217:218], v[219:220], 1.0
	v_fma_f64 v[219:220], v[219:220], v[221:222], v[219:220]
	v_fma_f64 v[221:222], -v[217:218], v[219:220], 1.0
	v_fma_f64 v[219:220], v[219:220], v[221:222], v[219:220]
	v_mul_f64 v[221:222], v[223:224], v[219:220]
	v_fma_f64 v[217:218], -v[217:218], v[221:222], v[223:224]
	v_div_fmas_f64 v[217:218], v[217:218], v[219:220], v[221:222]
	v_div_fixup_f64 v[219:220], v[217:218], v[213:214], v[215:216]
	v_fma_f64 v[213:214], v[215:216], v[219:220], v[213:214]
	v_div_scale_f64 v[215:216], null, v[213:214], v[213:214], 1.0
	v_rcp_f64_e32 v[217:218], v[215:216]
	v_fma_f64 v[221:222], -v[215:216], v[217:218], 1.0
	v_fma_f64 v[217:218], v[217:218], v[221:222], v[217:218]
	v_fma_f64 v[221:222], -v[215:216], v[217:218], 1.0
	v_fma_f64 v[217:218], v[217:218], v[221:222], v[217:218]
	v_div_scale_f64 v[221:222], vcc_lo, 1.0, v[213:214], 1.0
	v_mul_f64 v[223:224], v[221:222], v[217:218]
	v_fma_f64 v[215:216], -v[215:216], v[223:224], v[221:222]
	v_div_fmas_f64 v[215:216], v[215:216], v[217:218], v[223:224]
	v_div_fixup_f64 v[217:218], v[215:216], v[213:214], 1.0
	v_mul_f64 v[219:220], v[219:220], -v[217:218]
.LBB109_124:
	s_or_b32 exec_lo, exec_lo, s1
	ds_write2_b64 v255, v[217:218], v[219:220] offset1:1
.LBB109_125:
	s_or_b32 exec_lo, exec_lo, s2
	s_waitcnt lgkmcnt(0)
	s_barrier
	buffer_gl0_inv
	ds_read2_b64 v[213:216], v255 offset1:1
	s_mov_b32 s1, exec_lo
	s_waitcnt lgkmcnt(0)
	buffer_store_dword v213, off, s[16:19], 0 offset:664 ; 4-byte Folded Spill
	buffer_store_dword v214, off, s[16:19], 0 offset:668 ; 4-byte Folded Spill
	;; [unrolled: 1-line block ×4, first 2 shown]
	v_cmpx_lt_u32_e32 13, v0
	s_cbranch_execz .LBB109_127
; %bb.126:
	s_clause 0x3
	buffer_load_dword v215, off, s[16:19], 0 offset:664
	buffer_load_dword v216, off, s[16:19], 0 offset:668
	;; [unrolled: 1-line block ×4, first 2 shown]
	s_waitcnt vmcnt(0)
	v_mul_f64 v[213:214], v[217:218], v[167:168]
	v_mul_f64 v[167:168], v[215:216], v[167:168]
	v_fma_f64 v[213:214], v[215:216], v[165:166], -v[213:214]
	v_fma_f64 v[167:168], v[217:218], v[165:166], v[167:168]
	ds_read2_b64 v[215:218], v253 offset0:28 offset1:29
	s_waitcnt lgkmcnt(0)
	v_mul_f64 v[165:166], v[217:218], v[167:168]
	v_fma_f64 v[165:166], v[215:216], v[213:214], -v[165:166]
	v_mul_f64 v[215:216], v[215:216], v[167:168]
	v_add_f64 v[161:162], v[161:162], -v[165:166]
	v_fma_f64 v[215:216], v[217:218], v[213:214], v[215:216]
	v_add_f64 v[163:164], v[163:164], -v[215:216]
	ds_read2_b64 v[215:218], v253 offset0:30 offset1:31
	s_waitcnt lgkmcnt(0)
	v_mul_f64 v[165:166], v[217:218], v[167:168]
	v_fma_f64 v[165:166], v[215:216], v[213:214], -v[165:166]
	v_mul_f64 v[215:216], v[215:216], v[167:168]
	v_add_f64 v[157:158], v[157:158], -v[165:166]
	v_fma_f64 v[215:216], v[217:218], v[213:214], v[215:216]
	v_add_f64 v[159:160], v[159:160], -v[215:216]
	;; [unrolled: 8-line block ×40, first 2 shown]
	ds_read2_b64 v[215:218], v253 offset0:108 offset1:109
	s_waitcnt lgkmcnt(0)
	v_mul_f64 v[165:166], v[217:218], v[167:168]
	v_fma_f64 v[165:166], v[215:216], v[213:214], -v[165:166]
	v_mul_f64 v[215:216], v[215:216], v[167:168]
	v_add_f64 v[1:2], v[1:2], -v[165:166]
	v_fma_f64 v[215:216], v[217:218], v[213:214], v[215:216]
	v_mov_b32_e32 v165, v213
	v_mov_b32_e32 v166, v214
	v_add_f64 v[3:4], v[3:4], -v[215:216]
.LBB109_127:
	s_or_b32 exec_lo, exec_lo, s1
	s_mov_b32 s2, exec_lo
	s_waitcnt_vscnt null, 0x0
	s_barrier
	buffer_gl0_inv
	v_cmpx_eq_u32_e32 14, v0
	s_cbranch_execz .LBB109_134
; %bb.128:
	ds_write2_b64 v255, v[161:162], v[163:164] offset1:1
	ds_write2_b64 v253, v[157:158], v[159:160] offset0:30 offset1:31
	ds_write2_b64 v253, v[153:154], v[155:156] offset0:32 offset1:33
	;; [unrolled: 1-line block ×40, first 2 shown]
	ds_read2_b64 v[213:216], v255 offset1:1
	s_waitcnt lgkmcnt(0)
	v_cmp_neq_f64_e32 vcc_lo, 0, v[213:214]
	v_cmp_neq_f64_e64 s1, 0, v[215:216]
	s_or_b32 s1, vcc_lo, s1
	s_and_b32 exec_lo, exec_lo, s1
	s_cbranch_execz .LBB109_134
; %bb.129:
	v_cmp_ngt_f64_e64 s1, |v[213:214]|, |v[215:216]|
                                        ; implicit-def: $vgpr217_vgpr218
	s_and_saveexec_b32 s3, s1
	s_xor_b32 s1, exec_lo, s3
                                        ; implicit-def: $vgpr219_vgpr220
	s_cbranch_execz .LBB109_131
; %bb.130:
	v_div_scale_f64 v[217:218], null, v[215:216], v[215:216], v[213:214]
	v_div_scale_f64 v[223:224], vcc_lo, v[213:214], v[215:216], v[213:214]
	v_rcp_f64_e32 v[219:220], v[217:218]
	v_fma_f64 v[221:222], -v[217:218], v[219:220], 1.0
	v_fma_f64 v[219:220], v[219:220], v[221:222], v[219:220]
	v_fma_f64 v[221:222], -v[217:218], v[219:220], 1.0
	v_fma_f64 v[219:220], v[219:220], v[221:222], v[219:220]
	v_mul_f64 v[221:222], v[223:224], v[219:220]
	v_fma_f64 v[217:218], -v[217:218], v[221:222], v[223:224]
	v_div_fmas_f64 v[217:218], v[217:218], v[219:220], v[221:222]
	v_div_fixup_f64 v[217:218], v[217:218], v[215:216], v[213:214]
	v_fma_f64 v[213:214], v[213:214], v[217:218], v[215:216]
	v_div_scale_f64 v[215:216], null, v[213:214], v[213:214], 1.0
	v_rcp_f64_e32 v[219:220], v[215:216]
	v_fma_f64 v[221:222], -v[215:216], v[219:220], 1.0
	v_fma_f64 v[219:220], v[219:220], v[221:222], v[219:220]
	v_fma_f64 v[221:222], -v[215:216], v[219:220], 1.0
	v_fma_f64 v[219:220], v[219:220], v[221:222], v[219:220]
	v_div_scale_f64 v[221:222], vcc_lo, 1.0, v[213:214], 1.0
	v_mul_f64 v[223:224], v[221:222], v[219:220]
	v_fma_f64 v[215:216], -v[215:216], v[223:224], v[221:222]
	v_div_fmas_f64 v[215:216], v[215:216], v[219:220], v[223:224]
	v_div_fixup_f64 v[219:220], v[215:216], v[213:214], 1.0
                                        ; implicit-def: $vgpr213_vgpr214
	v_mul_f64 v[217:218], v[217:218], v[219:220]
	v_xor_b32_e32 v220, 0x80000000, v220
.LBB109_131:
	s_andn2_saveexec_b32 s1, s1
	s_cbranch_execz .LBB109_133
; %bb.132:
	v_div_scale_f64 v[217:218], null, v[213:214], v[213:214], v[215:216]
	v_div_scale_f64 v[223:224], vcc_lo, v[215:216], v[213:214], v[215:216]
	v_rcp_f64_e32 v[219:220], v[217:218]
	v_fma_f64 v[221:222], -v[217:218], v[219:220], 1.0
	v_fma_f64 v[219:220], v[219:220], v[221:222], v[219:220]
	v_fma_f64 v[221:222], -v[217:218], v[219:220], 1.0
	v_fma_f64 v[219:220], v[219:220], v[221:222], v[219:220]
	v_mul_f64 v[221:222], v[223:224], v[219:220]
	v_fma_f64 v[217:218], -v[217:218], v[221:222], v[223:224]
	v_div_fmas_f64 v[217:218], v[217:218], v[219:220], v[221:222]
	v_div_fixup_f64 v[219:220], v[217:218], v[213:214], v[215:216]
	v_fma_f64 v[213:214], v[215:216], v[219:220], v[213:214]
	v_div_scale_f64 v[215:216], null, v[213:214], v[213:214], 1.0
	v_rcp_f64_e32 v[217:218], v[215:216]
	v_fma_f64 v[221:222], -v[215:216], v[217:218], 1.0
	v_fma_f64 v[217:218], v[217:218], v[221:222], v[217:218]
	v_fma_f64 v[221:222], -v[215:216], v[217:218], 1.0
	v_fma_f64 v[217:218], v[217:218], v[221:222], v[217:218]
	v_div_scale_f64 v[221:222], vcc_lo, 1.0, v[213:214], 1.0
	v_mul_f64 v[223:224], v[221:222], v[217:218]
	v_fma_f64 v[215:216], -v[215:216], v[223:224], v[221:222]
	v_div_fmas_f64 v[215:216], v[215:216], v[217:218], v[223:224]
	v_div_fixup_f64 v[217:218], v[215:216], v[213:214], 1.0
	v_mul_f64 v[219:220], v[219:220], -v[217:218]
.LBB109_133:
	s_or_b32 exec_lo, exec_lo, s1
	ds_write2_b64 v255, v[217:218], v[219:220] offset1:1
.LBB109_134:
	s_or_b32 exec_lo, exec_lo, s2
	s_waitcnt lgkmcnt(0)
	s_barrier
	buffer_gl0_inv
	ds_read2_b64 v[213:216], v255 offset1:1
	s_mov_b32 s1, exec_lo
	s_waitcnt lgkmcnt(0)
	buffer_store_dword v213, off, s[16:19], 0 offset:680 ; 4-byte Folded Spill
	buffer_store_dword v214, off, s[16:19], 0 offset:684 ; 4-byte Folded Spill
	;; [unrolled: 1-line block ×4, first 2 shown]
	v_cmpx_lt_u32_e32 14, v0
	s_cbranch_execz .LBB109_136
; %bb.135:
	s_clause 0x3
	buffer_load_dword v215, off, s[16:19], 0 offset:680
	buffer_load_dword v216, off, s[16:19], 0 offset:684
	;; [unrolled: 1-line block ×4, first 2 shown]
	s_waitcnt vmcnt(0)
	v_mul_f64 v[213:214], v[217:218], v[163:164]
	v_mul_f64 v[163:164], v[215:216], v[163:164]
	v_fma_f64 v[213:214], v[215:216], v[161:162], -v[213:214]
	v_fma_f64 v[163:164], v[217:218], v[161:162], v[163:164]
	ds_read2_b64 v[215:218], v253 offset0:30 offset1:31
	s_waitcnt lgkmcnt(0)
	v_mul_f64 v[161:162], v[217:218], v[163:164]
	v_fma_f64 v[161:162], v[215:216], v[213:214], -v[161:162]
	v_mul_f64 v[215:216], v[215:216], v[163:164]
	v_add_f64 v[157:158], v[157:158], -v[161:162]
	v_fma_f64 v[215:216], v[217:218], v[213:214], v[215:216]
	v_add_f64 v[159:160], v[159:160], -v[215:216]
	ds_read2_b64 v[215:218], v253 offset0:32 offset1:33
	s_waitcnt lgkmcnt(0)
	v_mul_f64 v[161:162], v[217:218], v[163:164]
	v_fma_f64 v[161:162], v[215:216], v[213:214], -v[161:162]
	v_mul_f64 v[215:216], v[215:216], v[163:164]
	v_add_f64 v[153:154], v[153:154], -v[161:162]
	v_fma_f64 v[215:216], v[217:218], v[213:214], v[215:216]
	v_add_f64 v[155:156], v[155:156], -v[215:216]
	;; [unrolled: 8-line block ×39, first 2 shown]
	ds_read2_b64 v[215:218], v253 offset0:108 offset1:109
	s_waitcnt lgkmcnt(0)
	v_mul_f64 v[161:162], v[217:218], v[163:164]
	v_fma_f64 v[161:162], v[215:216], v[213:214], -v[161:162]
	v_mul_f64 v[215:216], v[215:216], v[163:164]
	v_add_f64 v[1:2], v[1:2], -v[161:162]
	v_fma_f64 v[215:216], v[217:218], v[213:214], v[215:216]
	v_mov_b32_e32 v161, v213
	v_mov_b32_e32 v162, v214
	v_add_f64 v[3:4], v[3:4], -v[215:216]
.LBB109_136:
	s_or_b32 exec_lo, exec_lo, s1
	s_mov_b32 s2, exec_lo
	s_waitcnt_vscnt null, 0x0
	s_barrier
	buffer_gl0_inv
	v_cmpx_eq_u32_e32 15, v0
	s_cbranch_execz .LBB109_143
; %bb.137:
	ds_write2_b64 v255, v[157:158], v[159:160] offset1:1
	ds_write2_b64 v253, v[153:154], v[155:156] offset0:32 offset1:33
	ds_write2_b64 v253, v[149:150], v[151:152] offset0:34 offset1:35
	;; [unrolled: 1-line block ×39, first 2 shown]
	ds_read2_b64 v[213:216], v255 offset1:1
	s_waitcnt lgkmcnt(0)
	v_cmp_neq_f64_e32 vcc_lo, 0, v[213:214]
	v_cmp_neq_f64_e64 s1, 0, v[215:216]
	s_or_b32 s1, vcc_lo, s1
	s_and_b32 exec_lo, exec_lo, s1
	s_cbranch_execz .LBB109_143
; %bb.138:
	v_cmp_ngt_f64_e64 s1, |v[213:214]|, |v[215:216]|
                                        ; implicit-def: $vgpr217_vgpr218
	s_and_saveexec_b32 s3, s1
	s_xor_b32 s1, exec_lo, s3
                                        ; implicit-def: $vgpr219_vgpr220
	s_cbranch_execz .LBB109_140
; %bb.139:
	v_div_scale_f64 v[217:218], null, v[215:216], v[215:216], v[213:214]
	v_div_scale_f64 v[223:224], vcc_lo, v[213:214], v[215:216], v[213:214]
	v_rcp_f64_e32 v[219:220], v[217:218]
	v_fma_f64 v[221:222], -v[217:218], v[219:220], 1.0
	v_fma_f64 v[219:220], v[219:220], v[221:222], v[219:220]
	v_fma_f64 v[221:222], -v[217:218], v[219:220], 1.0
	v_fma_f64 v[219:220], v[219:220], v[221:222], v[219:220]
	v_mul_f64 v[221:222], v[223:224], v[219:220]
	v_fma_f64 v[217:218], -v[217:218], v[221:222], v[223:224]
	v_div_fmas_f64 v[217:218], v[217:218], v[219:220], v[221:222]
	v_div_fixup_f64 v[217:218], v[217:218], v[215:216], v[213:214]
	v_fma_f64 v[213:214], v[213:214], v[217:218], v[215:216]
	v_div_scale_f64 v[215:216], null, v[213:214], v[213:214], 1.0
	v_rcp_f64_e32 v[219:220], v[215:216]
	v_fma_f64 v[221:222], -v[215:216], v[219:220], 1.0
	v_fma_f64 v[219:220], v[219:220], v[221:222], v[219:220]
	v_fma_f64 v[221:222], -v[215:216], v[219:220], 1.0
	v_fma_f64 v[219:220], v[219:220], v[221:222], v[219:220]
	v_div_scale_f64 v[221:222], vcc_lo, 1.0, v[213:214], 1.0
	v_mul_f64 v[223:224], v[221:222], v[219:220]
	v_fma_f64 v[215:216], -v[215:216], v[223:224], v[221:222]
	v_div_fmas_f64 v[215:216], v[215:216], v[219:220], v[223:224]
	v_div_fixup_f64 v[219:220], v[215:216], v[213:214], 1.0
                                        ; implicit-def: $vgpr213_vgpr214
	v_mul_f64 v[217:218], v[217:218], v[219:220]
	v_xor_b32_e32 v220, 0x80000000, v220
.LBB109_140:
	s_andn2_saveexec_b32 s1, s1
	s_cbranch_execz .LBB109_142
; %bb.141:
	v_div_scale_f64 v[217:218], null, v[213:214], v[213:214], v[215:216]
	v_div_scale_f64 v[223:224], vcc_lo, v[215:216], v[213:214], v[215:216]
	v_rcp_f64_e32 v[219:220], v[217:218]
	v_fma_f64 v[221:222], -v[217:218], v[219:220], 1.0
	v_fma_f64 v[219:220], v[219:220], v[221:222], v[219:220]
	v_fma_f64 v[221:222], -v[217:218], v[219:220], 1.0
	v_fma_f64 v[219:220], v[219:220], v[221:222], v[219:220]
	v_mul_f64 v[221:222], v[223:224], v[219:220]
	v_fma_f64 v[217:218], -v[217:218], v[221:222], v[223:224]
	v_div_fmas_f64 v[217:218], v[217:218], v[219:220], v[221:222]
	v_div_fixup_f64 v[219:220], v[217:218], v[213:214], v[215:216]
	v_fma_f64 v[213:214], v[215:216], v[219:220], v[213:214]
	v_div_scale_f64 v[215:216], null, v[213:214], v[213:214], 1.0
	v_rcp_f64_e32 v[217:218], v[215:216]
	v_fma_f64 v[221:222], -v[215:216], v[217:218], 1.0
	v_fma_f64 v[217:218], v[217:218], v[221:222], v[217:218]
	v_fma_f64 v[221:222], -v[215:216], v[217:218], 1.0
	v_fma_f64 v[217:218], v[217:218], v[221:222], v[217:218]
	v_div_scale_f64 v[221:222], vcc_lo, 1.0, v[213:214], 1.0
	v_mul_f64 v[223:224], v[221:222], v[217:218]
	v_fma_f64 v[215:216], -v[215:216], v[223:224], v[221:222]
	v_div_fmas_f64 v[215:216], v[215:216], v[217:218], v[223:224]
	v_div_fixup_f64 v[217:218], v[215:216], v[213:214], 1.0
	v_mul_f64 v[219:220], v[219:220], -v[217:218]
.LBB109_142:
	s_or_b32 exec_lo, exec_lo, s1
	ds_write2_b64 v255, v[217:218], v[219:220] offset1:1
.LBB109_143:
	s_or_b32 exec_lo, exec_lo, s2
	s_waitcnt lgkmcnt(0)
	s_barrier
	buffer_gl0_inv
	ds_read2_b64 v[213:216], v255 offset1:1
	s_mov_b32 s1, exec_lo
	s_waitcnt lgkmcnt(0)
	buffer_store_dword v213, off, s[16:19], 0 offset:696 ; 4-byte Folded Spill
	buffer_store_dword v214, off, s[16:19], 0 offset:700 ; 4-byte Folded Spill
	;; [unrolled: 1-line block ×4, first 2 shown]
	v_cmpx_lt_u32_e32 15, v0
	s_cbranch_execz .LBB109_145
; %bb.144:
	s_clause 0x3
	buffer_load_dword v215, off, s[16:19], 0 offset:696
	buffer_load_dword v216, off, s[16:19], 0 offset:700
	;; [unrolled: 1-line block ×4, first 2 shown]
	s_waitcnt vmcnt(0)
	v_mul_f64 v[213:214], v[217:218], v[159:160]
	v_mul_f64 v[159:160], v[215:216], v[159:160]
	v_fma_f64 v[213:214], v[215:216], v[157:158], -v[213:214]
	v_fma_f64 v[159:160], v[217:218], v[157:158], v[159:160]
	ds_read2_b64 v[215:218], v253 offset0:32 offset1:33
	s_waitcnt lgkmcnt(0)
	v_mul_f64 v[157:158], v[217:218], v[159:160]
	v_fma_f64 v[157:158], v[215:216], v[213:214], -v[157:158]
	v_mul_f64 v[215:216], v[215:216], v[159:160]
	v_add_f64 v[153:154], v[153:154], -v[157:158]
	v_fma_f64 v[215:216], v[217:218], v[213:214], v[215:216]
	v_add_f64 v[155:156], v[155:156], -v[215:216]
	ds_read2_b64 v[215:218], v253 offset0:34 offset1:35
	s_waitcnt lgkmcnt(0)
	v_mul_f64 v[157:158], v[217:218], v[159:160]
	v_fma_f64 v[157:158], v[215:216], v[213:214], -v[157:158]
	v_mul_f64 v[215:216], v[215:216], v[159:160]
	v_add_f64 v[149:150], v[149:150], -v[157:158]
	v_fma_f64 v[215:216], v[217:218], v[213:214], v[215:216]
	v_add_f64 v[151:152], v[151:152], -v[215:216]
	;; [unrolled: 8-line block ×38, first 2 shown]
	ds_read2_b64 v[215:218], v253 offset0:108 offset1:109
	s_waitcnt lgkmcnt(0)
	v_mul_f64 v[157:158], v[217:218], v[159:160]
	v_fma_f64 v[157:158], v[215:216], v[213:214], -v[157:158]
	v_mul_f64 v[215:216], v[215:216], v[159:160]
	v_add_f64 v[1:2], v[1:2], -v[157:158]
	v_fma_f64 v[215:216], v[217:218], v[213:214], v[215:216]
	v_mov_b32_e32 v157, v213
	v_mov_b32_e32 v158, v214
	v_add_f64 v[3:4], v[3:4], -v[215:216]
.LBB109_145:
	s_or_b32 exec_lo, exec_lo, s1
	s_mov_b32 s2, exec_lo
	s_waitcnt_vscnt null, 0x0
	s_barrier
	buffer_gl0_inv
	v_cmpx_eq_u32_e32 16, v0
	s_cbranch_execz .LBB109_152
; %bb.146:
	ds_write2_b64 v255, v[153:154], v[155:156] offset1:1
	ds_write2_b64 v253, v[149:150], v[151:152] offset0:34 offset1:35
	ds_write2_b64 v253, v[145:146], v[147:148] offset0:36 offset1:37
	;; [unrolled: 1-line block ×38, first 2 shown]
	ds_read2_b64 v[213:216], v255 offset1:1
	s_waitcnt lgkmcnt(0)
	v_cmp_neq_f64_e32 vcc_lo, 0, v[213:214]
	v_cmp_neq_f64_e64 s1, 0, v[215:216]
	s_or_b32 s1, vcc_lo, s1
	s_and_b32 exec_lo, exec_lo, s1
	s_cbranch_execz .LBB109_152
; %bb.147:
	v_cmp_ngt_f64_e64 s1, |v[213:214]|, |v[215:216]|
                                        ; implicit-def: $vgpr217_vgpr218
	s_and_saveexec_b32 s3, s1
	s_xor_b32 s1, exec_lo, s3
                                        ; implicit-def: $vgpr219_vgpr220
	s_cbranch_execz .LBB109_149
; %bb.148:
	v_div_scale_f64 v[217:218], null, v[215:216], v[215:216], v[213:214]
	v_div_scale_f64 v[223:224], vcc_lo, v[213:214], v[215:216], v[213:214]
	v_rcp_f64_e32 v[219:220], v[217:218]
	v_fma_f64 v[221:222], -v[217:218], v[219:220], 1.0
	v_fma_f64 v[219:220], v[219:220], v[221:222], v[219:220]
	v_fma_f64 v[221:222], -v[217:218], v[219:220], 1.0
	v_fma_f64 v[219:220], v[219:220], v[221:222], v[219:220]
	v_mul_f64 v[221:222], v[223:224], v[219:220]
	v_fma_f64 v[217:218], -v[217:218], v[221:222], v[223:224]
	v_div_fmas_f64 v[217:218], v[217:218], v[219:220], v[221:222]
	v_div_fixup_f64 v[217:218], v[217:218], v[215:216], v[213:214]
	v_fma_f64 v[213:214], v[213:214], v[217:218], v[215:216]
	v_div_scale_f64 v[215:216], null, v[213:214], v[213:214], 1.0
	v_rcp_f64_e32 v[219:220], v[215:216]
	v_fma_f64 v[221:222], -v[215:216], v[219:220], 1.0
	v_fma_f64 v[219:220], v[219:220], v[221:222], v[219:220]
	v_fma_f64 v[221:222], -v[215:216], v[219:220], 1.0
	v_fma_f64 v[219:220], v[219:220], v[221:222], v[219:220]
	v_div_scale_f64 v[221:222], vcc_lo, 1.0, v[213:214], 1.0
	v_mul_f64 v[223:224], v[221:222], v[219:220]
	v_fma_f64 v[215:216], -v[215:216], v[223:224], v[221:222]
	v_div_fmas_f64 v[215:216], v[215:216], v[219:220], v[223:224]
	v_div_fixup_f64 v[219:220], v[215:216], v[213:214], 1.0
                                        ; implicit-def: $vgpr213_vgpr214
	v_mul_f64 v[217:218], v[217:218], v[219:220]
	v_xor_b32_e32 v220, 0x80000000, v220
.LBB109_149:
	s_andn2_saveexec_b32 s1, s1
	s_cbranch_execz .LBB109_151
; %bb.150:
	v_div_scale_f64 v[217:218], null, v[213:214], v[213:214], v[215:216]
	v_div_scale_f64 v[223:224], vcc_lo, v[215:216], v[213:214], v[215:216]
	v_rcp_f64_e32 v[219:220], v[217:218]
	v_fma_f64 v[221:222], -v[217:218], v[219:220], 1.0
	v_fma_f64 v[219:220], v[219:220], v[221:222], v[219:220]
	v_fma_f64 v[221:222], -v[217:218], v[219:220], 1.0
	v_fma_f64 v[219:220], v[219:220], v[221:222], v[219:220]
	v_mul_f64 v[221:222], v[223:224], v[219:220]
	v_fma_f64 v[217:218], -v[217:218], v[221:222], v[223:224]
	v_div_fmas_f64 v[217:218], v[217:218], v[219:220], v[221:222]
	v_div_fixup_f64 v[219:220], v[217:218], v[213:214], v[215:216]
	v_fma_f64 v[213:214], v[215:216], v[219:220], v[213:214]
	v_div_scale_f64 v[215:216], null, v[213:214], v[213:214], 1.0
	v_rcp_f64_e32 v[217:218], v[215:216]
	v_fma_f64 v[221:222], -v[215:216], v[217:218], 1.0
	v_fma_f64 v[217:218], v[217:218], v[221:222], v[217:218]
	v_fma_f64 v[221:222], -v[215:216], v[217:218], 1.0
	v_fma_f64 v[217:218], v[217:218], v[221:222], v[217:218]
	v_div_scale_f64 v[221:222], vcc_lo, 1.0, v[213:214], 1.0
	v_mul_f64 v[223:224], v[221:222], v[217:218]
	v_fma_f64 v[215:216], -v[215:216], v[223:224], v[221:222]
	v_div_fmas_f64 v[215:216], v[215:216], v[217:218], v[223:224]
	v_div_fixup_f64 v[217:218], v[215:216], v[213:214], 1.0
	v_mul_f64 v[219:220], v[219:220], -v[217:218]
.LBB109_151:
	s_or_b32 exec_lo, exec_lo, s1
	ds_write2_b64 v255, v[217:218], v[219:220] offset1:1
.LBB109_152:
	s_or_b32 exec_lo, exec_lo, s2
	s_waitcnt lgkmcnt(0)
	s_barrier
	buffer_gl0_inv
	ds_read2_b64 v[213:216], v255 offset1:1
	s_mov_b32 s1, exec_lo
	s_waitcnt lgkmcnt(0)
	buffer_store_dword v213, off, s[16:19], 0 offset:712 ; 4-byte Folded Spill
	buffer_store_dword v214, off, s[16:19], 0 offset:716 ; 4-byte Folded Spill
	;; [unrolled: 1-line block ×4, first 2 shown]
	v_cmpx_lt_u32_e32 16, v0
	s_cbranch_execz .LBB109_154
; %bb.153:
	s_clause 0x3
	buffer_load_dword v215, off, s[16:19], 0 offset:712
	buffer_load_dword v216, off, s[16:19], 0 offset:716
	;; [unrolled: 1-line block ×4, first 2 shown]
	s_waitcnt vmcnt(0)
	v_mul_f64 v[213:214], v[217:218], v[155:156]
	v_mul_f64 v[155:156], v[215:216], v[155:156]
	v_fma_f64 v[213:214], v[215:216], v[153:154], -v[213:214]
	v_fma_f64 v[155:156], v[217:218], v[153:154], v[155:156]
	ds_read2_b64 v[215:218], v253 offset0:34 offset1:35
	s_waitcnt lgkmcnt(0)
	v_mul_f64 v[153:154], v[217:218], v[155:156]
	v_fma_f64 v[153:154], v[215:216], v[213:214], -v[153:154]
	v_mul_f64 v[215:216], v[215:216], v[155:156]
	v_add_f64 v[149:150], v[149:150], -v[153:154]
	v_fma_f64 v[215:216], v[217:218], v[213:214], v[215:216]
	v_add_f64 v[151:152], v[151:152], -v[215:216]
	ds_read2_b64 v[215:218], v253 offset0:36 offset1:37
	s_waitcnt lgkmcnt(0)
	v_mul_f64 v[153:154], v[217:218], v[155:156]
	v_fma_f64 v[153:154], v[215:216], v[213:214], -v[153:154]
	v_mul_f64 v[215:216], v[215:216], v[155:156]
	v_add_f64 v[145:146], v[145:146], -v[153:154]
	v_fma_f64 v[215:216], v[217:218], v[213:214], v[215:216]
	v_add_f64 v[147:148], v[147:148], -v[215:216]
	;; [unrolled: 8-line block ×37, first 2 shown]
	ds_read2_b64 v[215:218], v253 offset0:108 offset1:109
	s_waitcnt lgkmcnt(0)
	v_mul_f64 v[153:154], v[217:218], v[155:156]
	v_fma_f64 v[153:154], v[215:216], v[213:214], -v[153:154]
	v_mul_f64 v[215:216], v[215:216], v[155:156]
	v_add_f64 v[1:2], v[1:2], -v[153:154]
	v_fma_f64 v[215:216], v[217:218], v[213:214], v[215:216]
	v_mov_b32_e32 v153, v213
	v_mov_b32_e32 v154, v214
	v_add_f64 v[3:4], v[3:4], -v[215:216]
.LBB109_154:
	s_or_b32 exec_lo, exec_lo, s1
	s_mov_b32 s2, exec_lo
	s_waitcnt_vscnt null, 0x0
	s_barrier
	buffer_gl0_inv
	v_cmpx_eq_u32_e32 17, v0
	s_cbranch_execz .LBB109_161
; %bb.155:
	ds_write2_b64 v255, v[149:150], v[151:152] offset1:1
	ds_write2_b64 v253, v[145:146], v[147:148] offset0:36 offset1:37
	ds_write2_b64 v253, v[141:142], v[143:144] offset0:38 offset1:39
	;; [unrolled: 1-line block ×37, first 2 shown]
	ds_read2_b64 v[213:216], v255 offset1:1
	s_waitcnt lgkmcnt(0)
	v_cmp_neq_f64_e32 vcc_lo, 0, v[213:214]
	v_cmp_neq_f64_e64 s1, 0, v[215:216]
	s_or_b32 s1, vcc_lo, s1
	s_and_b32 exec_lo, exec_lo, s1
	s_cbranch_execz .LBB109_161
; %bb.156:
	v_cmp_ngt_f64_e64 s1, |v[213:214]|, |v[215:216]|
                                        ; implicit-def: $vgpr217_vgpr218
	s_and_saveexec_b32 s3, s1
	s_xor_b32 s1, exec_lo, s3
                                        ; implicit-def: $vgpr219_vgpr220
	s_cbranch_execz .LBB109_158
; %bb.157:
	v_div_scale_f64 v[217:218], null, v[215:216], v[215:216], v[213:214]
	v_div_scale_f64 v[223:224], vcc_lo, v[213:214], v[215:216], v[213:214]
	v_rcp_f64_e32 v[219:220], v[217:218]
	v_fma_f64 v[221:222], -v[217:218], v[219:220], 1.0
	v_fma_f64 v[219:220], v[219:220], v[221:222], v[219:220]
	v_fma_f64 v[221:222], -v[217:218], v[219:220], 1.0
	v_fma_f64 v[219:220], v[219:220], v[221:222], v[219:220]
	v_mul_f64 v[221:222], v[223:224], v[219:220]
	v_fma_f64 v[217:218], -v[217:218], v[221:222], v[223:224]
	v_div_fmas_f64 v[217:218], v[217:218], v[219:220], v[221:222]
	v_div_fixup_f64 v[217:218], v[217:218], v[215:216], v[213:214]
	v_fma_f64 v[213:214], v[213:214], v[217:218], v[215:216]
	v_div_scale_f64 v[215:216], null, v[213:214], v[213:214], 1.0
	v_rcp_f64_e32 v[219:220], v[215:216]
	v_fma_f64 v[221:222], -v[215:216], v[219:220], 1.0
	v_fma_f64 v[219:220], v[219:220], v[221:222], v[219:220]
	v_fma_f64 v[221:222], -v[215:216], v[219:220], 1.0
	v_fma_f64 v[219:220], v[219:220], v[221:222], v[219:220]
	v_div_scale_f64 v[221:222], vcc_lo, 1.0, v[213:214], 1.0
	v_mul_f64 v[223:224], v[221:222], v[219:220]
	v_fma_f64 v[215:216], -v[215:216], v[223:224], v[221:222]
	v_div_fmas_f64 v[215:216], v[215:216], v[219:220], v[223:224]
	v_div_fixup_f64 v[219:220], v[215:216], v[213:214], 1.0
                                        ; implicit-def: $vgpr213_vgpr214
	v_mul_f64 v[217:218], v[217:218], v[219:220]
	v_xor_b32_e32 v220, 0x80000000, v220
.LBB109_158:
	s_andn2_saveexec_b32 s1, s1
	s_cbranch_execz .LBB109_160
; %bb.159:
	v_div_scale_f64 v[217:218], null, v[213:214], v[213:214], v[215:216]
	v_div_scale_f64 v[223:224], vcc_lo, v[215:216], v[213:214], v[215:216]
	v_rcp_f64_e32 v[219:220], v[217:218]
	v_fma_f64 v[221:222], -v[217:218], v[219:220], 1.0
	v_fma_f64 v[219:220], v[219:220], v[221:222], v[219:220]
	v_fma_f64 v[221:222], -v[217:218], v[219:220], 1.0
	v_fma_f64 v[219:220], v[219:220], v[221:222], v[219:220]
	v_mul_f64 v[221:222], v[223:224], v[219:220]
	v_fma_f64 v[217:218], -v[217:218], v[221:222], v[223:224]
	v_div_fmas_f64 v[217:218], v[217:218], v[219:220], v[221:222]
	v_div_fixup_f64 v[219:220], v[217:218], v[213:214], v[215:216]
	v_fma_f64 v[213:214], v[215:216], v[219:220], v[213:214]
	v_div_scale_f64 v[215:216], null, v[213:214], v[213:214], 1.0
	v_rcp_f64_e32 v[217:218], v[215:216]
	v_fma_f64 v[221:222], -v[215:216], v[217:218], 1.0
	v_fma_f64 v[217:218], v[217:218], v[221:222], v[217:218]
	v_fma_f64 v[221:222], -v[215:216], v[217:218], 1.0
	v_fma_f64 v[217:218], v[217:218], v[221:222], v[217:218]
	v_div_scale_f64 v[221:222], vcc_lo, 1.0, v[213:214], 1.0
	v_mul_f64 v[223:224], v[221:222], v[217:218]
	v_fma_f64 v[215:216], -v[215:216], v[223:224], v[221:222]
	v_div_fmas_f64 v[215:216], v[215:216], v[217:218], v[223:224]
	v_div_fixup_f64 v[217:218], v[215:216], v[213:214], 1.0
	v_mul_f64 v[219:220], v[219:220], -v[217:218]
.LBB109_160:
	s_or_b32 exec_lo, exec_lo, s1
	ds_write2_b64 v255, v[217:218], v[219:220] offset1:1
.LBB109_161:
	s_or_b32 exec_lo, exec_lo, s2
	s_waitcnt lgkmcnt(0)
	s_barrier
	buffer_gl0_inv
	ds_read2_b64 v[213:216], v255 offset1:1
	s_mov_b32 s1, exec_lo
	s_waitcnt lgkmcnt(0)
	buffer_store_dword v213, off, s[16:19], 0 offset:728 ; 4-byte Folded Spill
	buffer_store_dword v214, off, s[16:19], 0 offset:732 ; 4-byte Folded Spill
	;; [unrolled: 1-line block ×4, first 2 shown]
	v_cmpx_lt_u32_e32 17, v0
	s_cbranch_execz .LBB109_163
; %bb.162:
	s_clause 0x3
	buffer_load_dword v215, off, s[16:19], 0 offset:728
	buffer_load_dword v216, off, s[16:19], 0 offset:732
	;; [unrolled: 1-line block ×4, first 2 shown]
	s_waitcnt vmcnt(0)
	v_mul_f64 v[213:214], v[217:218], v[151:152]
	v_mul_f64 v[151:152], v[215:216], v[151:152]
	v_fma_f64 v[213:214], v[215:216], v[149:150], -v[213:214]
	v_fma_f64 v[151:152], v[217:218], v[149:150], v[151:152]
	ds_read2_b64 v[215:218], v253 offset0:36 offset1:37
	s_waitcnt lgkmcnt(0)
	v_mul_f64 v[149:150], v[217:218], v[151:152]
	v_fma_f64 v[149:150], v[215:216], v[213:214], -v[149:150]
	v_mul_f64 v[215:216], v[215:216], v[151:152]
	v_add_f64 v[145:146], v[145:146], -v[149:150]
	v_fma_f64 v[215:216], v[217:218], v[213:214], v[215:216]
	v_add_f64 v[147:148], v[147:148], -v[215:216]
	ds_read2_b64 v[215:218], v253 offset0:38 offset1:39
	s_waitcnt lgkmcnt(0)
	v_mul_f64 v[149:150], v[217:218], v[151:152]
	v_fma_f64 v[149:150], v[215:216], v[213:214], -v[149:150]
	v_mul_f64 v[215:216], v[215:216], v[151:152]
	v_add_f64 v[141:142], v[141:142], -v[149:150]
	v_fma_f64 v[215:216], v[217:218], v[213:214], v[215:216]
	v_add_f64 v[143:144], v[143:144], -v[215:216]
	;; [unrolled: 8-line block ×36, first 2 shown]
	ds_read2_b64 v[215:218], v253 offset0:108 offset1:109
	s_waitcnt lgkmcnt(0)
	v_mul_f64 v[149:150], v[217:218], v[151:152]
	v_fma_f64 v[149:150], v[215:216], v[213:214], -v[149:150]
	v_mul_f64 v[215:216], v[215:216], v[151:152]
	v_add_f64 v[1:2], v[1:2], -v[149:150]
	v_fma_f64 v[215:216], v[217:218], v[213:214], v[215:216]
	v_mov_b32_e32 v149, v213
	v_mov_b32_e32 v150, v214
	v_add_f64 v[3:4], v[3:4], -v[215:216]
.LBB109_163:
	s_or_b32 exec_lo, exec_lo, s1
	s_mov_b32 s2, exec_lo
	s_waitcnt_vscnt null, 0x0
	s_barrier
	buffer_gl0_inv
	v_cmpx_eq_u32_e32 18, v0
	s_cbranch_execz .LBB109_170
; %bb.164:
	ds_write2_b64 v255, v[145:146], v[147:148] offset1:1
	ds_write2_b64 v253, v[141:142], v[143:144] offset0:38 offset1:39
	ds_write2_b64 v253, v[137:138], v[139:140] offset0:40 offset1:41
	;; [unrolled: 1-line block ×36, first 2 shown]
	ds_read2_b64 v[213:216], v255 offset1:1
	s_waitcnt lgkmcnt(0)
	v_cmp_neq_f64_e32 vcc_lo, 0, v[213:214]
	v_cmp_neq_f64_e64 s1, 0, v[215:216]
	s_or_b32 s1, vcc_lo, s1
	s_and_b32 exec_lo, exec_lo, s1
	s_cbranch_execz .LBB109_170
; %bb.165:
	v_cmp_ngt_f64_e64 s1, |v[213:214]|, |v[215:216]|
                                        ; implicit-def: $vgpr217_vgpr218
	s_and_saveexec_b32 s3, s1
	s_xor_b32 s1, exec_lo, s3
                                        ; implicit-def: $vgpr219_vgpr220
	s_cbranch_execz .LBB109_167
; %bb.166:
	v_div_scale_f64 v[217:218], null, v[215:216], v[215:216], v[213:214]
	v_div_scale_f64 v[223:224], vcc_lo, v[213:214], v[215:216], v[213:214]
	v_rcp_f64_e32 v[219:220], v[217:218]
	v_fma_f64 v[221:222], -v[217:218], v[219:220], 1.0
	v_fma_f64 v[219:220], v[219:220], v[221:222], v[219:220]
	v_fma_f64 v[221:222], -v[217:218], v[219:220], 1.0
	v_fma_f64 v[219:220], v[219:220], v[221:222], v[219:220]
	v_mul_f64 v[221:222], v[223:224], v[219:220]
	v_fma_f64 v[217:218], -v[217:218], v[221:222], v[223:224]
	v_div_fmas_f64 v[217:218], v[217:218], v[219:220], v[221:222]
	v_div_fixup_f64 v[217:218], v[217:218], v[215:216], v[213:214]
	v_fma_f64 v[213:214], v[213:214], v[217:218], v[215:216]
	v_div_scale_f64 v[215:216], null, v[213:214], v[213:214], 1.0
	v_rcp_f64_e32 v[219:220], v[215:216]
	v_fma_f64 v[221:222], -v[215:216], v[219:220], 1.0
	v_fma_f64 v[219:220], v[219:220], v[221:222], v[219:220]
	v_fma_f64 v[221:222], -v[215:216], v[219:220], 1.0
	v_fma_f64 v[219:220], v[219:220], v[221:222], v[219:220]
	v_div_scale_f64 v[221:222], vcc_lo, 1.0, v[213:214], 1.0
	v_mul_f64 v[223:224], v[221:222], v[219:220]
	v_fma_f64 v[215:216], -v[215:216], v[223:224], v[221:222]
	v_div_fmas_f64 v[215:216], v[215:216], v[219:220], v[223:224]
	v_div_fixup_f64 v[219:220], v[215:216], v[213:214], 1.0
                                        ; implicit-def: $vgpr213_vgpr214
	v_mul_f64 v[217:218], v[217:218], v[219:220]
	v_xor_b32_e32 v220, 0x80000000, v220
.LBB109_167:
	s_andn2_saveexec_b32 s1, s1
	s_cbranch_execz .LBB109_169
; %bb.168:
	v_div_scale_f64 v[217:218], null, v[213:214], v[213:214], v[215:216]
	v_div_scale_f64 v[223:224], vcc_lo, v[215:216], v[213:214], v[215:216]
	v_rcp_f64_e32 v[219:220], v[217:218]
	v_fma_f64 v[221:222], -v[217:218], v[219:220], 1.0
	v_fma_f64 v[219:220], v[219:220], v[221:222], v[219:220]
	v_fma_f64 v[221:222], -v[217:218], v[219:220], 1.0
	v_fma_f64 v[219:220], v[219:220], v[221:222], v[219:220]
	v_mul_f64 v[221:222], v[223:224], v[219:220]
	v_fma_f64 v[217:218], -v[217:218], v[221:222], v[223:224]
	v_div_fmas_f64 v[217:218], v[217:218], v[219:220], v[221:222]
	v_div_fixup_f64 v[219:220], v[217:218], v[213:214], v[215:216]
	v_fma_f64 v[213:214], v[215:216], v[219:220], v[213:214]
	v_div_scale_f64 v[215:216], null, v[213:214], v[213:214], 1.0
	v_rcp_f64_e32 v[217:218], v[215:216]
	v_fma_f64 v[221:222], -v[215:216], v[217:218], 1.0
	v_fma_f64 v[217:218], v[217:218], v[221:222], v[217:218]
	v_fma_f64 v[221:222], -v[215:216], v[217:218], 1.0
	v_fma_f64 v[217:218], v[217:218], v[221:222], v[217:218]
	v_div_scale_f64 v[221:222], vcc_lo, 1.0, v[213:214], 1.0
	v_mul_f64 v[223:224], v[221:222], v[217:218]
	v_fma_f64 v[215:216], -v[215:216], v[223:224], v[221:222]
	v_div_fmas_f64 v[215:216], v[215:216], v[217:218], v[223:224]
	v_div_fixup_f64 v[217:218], v[215:216], v[213:214], 1.0
	v_mul_f64 v[219:220], v[219:220], -v[217:218]
.LBB109_169:
	s_or_b32 exec_lo, exec_lo, s1
	ds_write2_b64 v255, v[217:218], v[219:220] offset1:1
.LBB109_170:
	s_or_b32 exec_lo, exec_lo, s2
	s_waitcnt lgkmcnt(0)
	s_barrier
	buffer_gl0_inv
	ds_read2_b64 v[213:216], v255 offset1:1
	s_mov_b32 s1, exec_lo
	s_waitcnt lgkmcnt(0)
	buffer_store_dword v213, off, s[16:19], 0 offset:744 ; 4-byte Folded Spill
	buffer_store_dword v214, off, s[16:19], 0 offset:748 ; 4-byte Folded Spill
	;; [unrolled: 1-line block ×4, first 2 shown]
	v_cmpx_lt_u32_e32 18, v0
	s_cbranch_execz .LBB109_172
; %bb.171:
	s_clause 0x3
	buffer_load_dword v215, off, s[16:19], 0 offset:744
	buffer_load_dword v216, off, s[16:19], 0 offset:748
	;; [unrolled: 1-line block ×4, first 2 shown]
	s_waitcnt vmcnt(0)
	v_mul_f64 v[213:214], v[217:218], v[147:148]
	v_mul_f64 v[147:148], v[215:216], v[147:148]
	v_fma_f64 v[213:214], v[215:216], v[145:146], -v[213:214]
	v_fma_f64 v[147:148], v[217:218], v[145:146], v[147:148]
	ds_read2_b64 v[215:218], v253 offset0:38 offset1:39
	s_waitcnt lgkmcnt(0)
	v_mul_f64 v[145:146], v[217:218], v[147:148]
	v_fma_f64 v[145:146], v[215:216], v[213:214], -v[145:146]
	v_mul_f64 v[215:216], v[215:216], v[147:148]
	v_add_f64 v[141:142], v[141:142], -v[145:146]
	v_fma_f64 v[215:216], v[217:218], v[213:214], v[215:216]
	v_add_f64 v[143:144], v[143:144], -v[215:216]
	ds_read2_b64 v[215:218], v253 offset0:40 offset1:41
	s_waitcnt lgkmcnt(0)
	v_mul_f64 v[145:146], v[217:218], v[147:148]
	v_fma_f64 v[145:146], v[215:216], v[213:214], -v[145:146]
	v_mul_f64 v[215:216], v[215:216], v[147:148]
	v_add_f64 v[137:138], v[137:138], -v[145:146]
	v_fma_f64 v[215:216], v[217:218], v[213:214], v[215:216]
	v_add_f64 v[139:140], v[139:140], -v[215:216]
	;; [unrolled: 8-line block ×35, first 2 shown]
	ds_read2_b64 v[215:218], v253 offset0:108 offset1:109
	s_waitcnt lgkmcnt(0)
	v_mul_f64 v[145:146], v[217:218], v[147:148]
	v_fma_f64 v[145:146], v[215:216], v[213:214], -v[145:146]
	v_mul_f64 v[215:216], v[215:216], v[147:148]
	v_add_f64 v[1:2], v[1:2], -v[145:146]
	v_fma_f64 v[215:216], v[217:218], v[213:214], v[215:216]
	v_mov_b32_e32 v145, v213
	v_mov_b32_e32 v146, v214
	v_add_f64 v[3:4], v[3:4], -v[215:216]
.LBB109_172:
	s_or_b32 exec_lo, exec_lo, s1
	s_mov_b32 s2, exec_lo
	s_waitcnt_vscnt null, 0x0
	s_barrier
	buffer_gl0_inv
	v_cmpx_eq_u32_e32 19, v0
	s_cbranch_execz .LBB109_179
; %bb.173:
	ds_write2_b64 v255, v[141:142], v[143:144] offset1:1
	ds_write2_b64 v253, v[137:138], v[139:140] offset0:40 offset1:41
	ds_write2_b64 v253, v[133:134], v[135:136] offset0:42 offset1:43
	;; [unrolled: 1-line block ×35, first 2 shown]
	ds_read2_b64 v[213:216], v255 offset1:1
	s_waitcnt lgkmcnt(0)
	v_cmp_neq_f64_e32 vcc_lo, 0, v[213:214]
	v_cmp_neq_f64_e64 s1, 0, v[215:216]
	s_or_b32 s1, vcc_lo, s1
	s_and_b32 exec_lo, exec_lo, s1
	s_cbranch_execz .LBB109_179
; %bb.174:
	v_cmp_ngt_f64_e64 s1, |v[213:214]|, |v[215:216]|
                                        ; implicit-def: $vgpr217_vgpr218
	s_and_saveexec_b32 s3, s1
	s_xor_b32 s1, exec_lo, s3
                                        ; implicit-def: $vgpr219_vgpr220
	s_cbranch_execz .LBB109_176
; %bb.175:
	v_div_scale_f64 v[217:218], null, v[215:216], v[215:216], v[213:214]
	v_div_scale_f64 v[223:224], vcc_lo, v[213:214], v[215:216], v[213:214]
	v_rcp_f64_e32 v[219:220], v[217:218]
	v_fma_f64 v[221:222], -v[217:218], v[219:220], 1.0
	v_fma_f64 v[219:220], v[219:220], v[221:222], v[219:220]
	v_fma_f64 v[221:222], -v[217:218], v[219:220], 1.0
	v_fma_f64 v[219:220], v[219:220], v[221:222], v[219:220]
	v_mul_f64 v[221:222], v[223:224], v[219:220]
	v_fma_f64 v[217:218], -v[217:218], v[221:222], v[223:224]
	v_div_fmas_f64 v[217:218], v[217:218], v[219:220], v[221:222]
	v_div_fixup_f64 v[217:218], v[217:218], v[215:216], v[213:214]
	v_fma_f64 v[213:214], v[213:214], v[217:218], v[215:216]
	v_div_scale_f64 v[215:216], null, v[213:214], v[213:214], 1.0
	v_rcp_f64_e32 v[219:220], v[215:216]
	v_fma_f64 v[221:222], -v[215:216], v[219:220], 1.0
	v_fma_f64 v[219:220], v[219:220], v[221:222], v[219:220]
	v_fma_f64 v[221:222], -v[215:216], v[219:220], 1.0
	v_fma_f64 v[219:220], v[219:220], v[221:222], v[219:220]
	v_div_scale_f64 v[221:222], vcc_lo, 1.0, v[213:214], 1.0
	v_mul_f64 v[223:224], v[221:222], v[219:220]
	v_fma_f64 v[215:216], -v[215:216], v[223:224], v[221:222]
	v_div_fmas_f64 v[215:216], v[215:216], v[219:220], v[223:224]
	v_div_fixup_f64 v[219:220], v[215:216], v[213:214], 1.0
                                        ; implicit-def: $vgpr213_vgpr214
	v_mul_f64 v[217:218], v[217:218], v[219:220]
	v_xor_b32_e32 v220, 0x80000000, v220
.LBB109_176:
	s_andn2_saveexec_b32 s1, s1
	s_cbranch_execz .LBB109_178
; %bb.177:
	v_div_scale_f64 v[217:218], null, v[213:214], v[213:214], v[215:216]
	v_div_scale_f64 v[223:224], vcc_lo, v[215:216], v[213:214], v[215:216]
	v_rcp_f64_e32 v[219:220], v[217:218]
	v_fma_f64 v[221:222], -v[217:218], v[219:220], 1.0
	v_fma_f64 v[219:220], v[219:220], v[221:222], v[219:220]
	v_fma_f64 v[221:222], -v[217:218], v[219:220], 1.0
	v_fma_f64 v[219:220], v[219:220], v[221:222], v[219:220]
	v_mul_f64 v[221:222], v[223:224], v[219:220]
	v_fma_f64 v[217:218], -v[217:218], v[221:222], v[223:224]
	v_div_fmas_f64 v[217:218], v[217:218], v[219:220], v[221:222]
	v_div_fixup_f64 v[219:220], v[217:218], v[213:214], v[215:216]
	v_fma_f64 v[213:214], v[215:216], v[219:220], v[213:214]
	v_div_scale_f64 v[215:216], null, v[213:214], v[213:214], 1.0
	v_rcp_f64_e32 v[217:218], v[215:216]
	v_fma_f64 v[221:222], -v[215:216], v[217:218], 1.0
	v_fma_f64 v[217:218], v[217:218], v[221:222], v[217:218]
	v_fma_f64 v[221:222], -v[215:216], v[217:218], 1.0
	v_fma_f64 v[217:218], v[217:218], v[221:222], v[217:218]
	v_div_scale_f64 v[221:222], vcc_lo, 1.0, v[213:214], 1.0
	v_mul_f64 v[223:224], v[221:222], v[217:218]
	v_fma_f64 v[215:216], -v[215:216], v[223:224], v[221:222]
	v_div_fmas_f64 v[215:216], v[215:216], v[217:218], v[223:224]
	v_div_fixup_f64 v[217:218], v[215:216], v[213:214], 1.0
	v_mul_f64 v[219:220], v[219:220], -v[217:218]
.LBB109_178:
	s_or_b32 exec_lo, exec_lo, s1
	ds_write2_b64 v255, v[217:218], v[219:220] offset1:1
.LBB109_179:
	s_or_b32 exec_lo, exec_lo, s2
	s_waitcnt lgkmcnt(0)
	s_barrier
	buffer_gl0_inv
	ds_read2_b64 v[213:216], v255 offset1:1
	s_mov_b32 s1, exec_lo
	s_waitcnt lgkmcnt(0)
	buffer_store_dword v213, off, s[16:19], 0 offset:760 ; 4-byte Folded Spill
	buffer_store_dword v214, off, s[16:19], 0 offset:764 ; 4-byte Folded Spill
	;; [unrolled: 1-line block ×4, first 2 shown]
	v_cmpx_lt_u32_e32 19, v0
	s_cbranch_execz .LBB109_181
; %bb.180:
	s_clause 0x3
	buffer_load_dword v215, off, s[16:19], 0 offset:760
	buffer_load_dword v216, off, s[16:19], 0 offset:764
	;; [unrolled: 1-line block ×4, first 2 shown]
	s_waitcnt vmcnt(0)
	v_mul_f64 v[213:214], v[217:218], v[143:144]
	v_mul_f64 v[143:144], v[215:216], v[143:144]
	v_fma_f64 v[213:214], v[215:216], v[141:142], -v[213:214]
	v_fma_f64 v[143:144], v[217:218], v[141:142], v[143:144]
	ds_read2_b64 v[215:218], v253 offset0:40 offset1:41
	s_waitcnt lgkmcnt(0)
	v_mul_f64 v[141:142], v[217:218], v[143:144]
	v_fma_f64 v[141:142], v[215:216], v[213:214], -v[141:142]
	v_mul_f64 v[215:216], v[215:216], v[143:144]
	v_add_f64 v[137:138], v[137:138], -v[141:142]
	v_fma_f64 v[215:216], v[217:218], v[213:214], v[215:216]
	v_add_f64 v[139:140], v[139:140], -v[215:216]
	ds_read2_b64 v[215:218], v253 offset0:42 offset1:43
	s_waitcnt lgkmcnt(0)
	v_mul_f64 v[141:142], v[217:218], v[143:144]
	v_fma_f64 v[141:142], v[215:216], v[213:214], -v[141:142]
	v_mul_f64 v[215:216], v[215:216], v[143:144]
	v_add_f64 v[133:134], v[133:134], -v[141:142]
	v_fma_f64 v[215:216], v[217:218], v[213:214], v[215:216]
	v_add_f64 v[135:136], v[135:136], -v[215:216]
	ds_read2_b64 v[215:218], v253 offset0:44 offset1:45
	s_waitcnt lgkmcnt(0)
	v_mul_f64 v[141:142], v[217:218], v[143:144]
	v_fma_f64 v[141:142], v[215:216], v[213:214], -v[141:142]
	v_mul_f64 v[215:216], v[215:216], v[143:144]
	v_add_f64 v[129:130], v[129:130], -v[141:142]
	v_fma_f64 v[215:216], v[217:218], v[213:214], v[215:216]
	v_add_f64 v[131:132], v[131:132], -v[215:216]
	ds_read2_b64 v[215:218], v253 offset0:46 offset1:47
	s_waitcnt lgkmcnt(0)
	v_mul_f64 v[141:142], v[217:218], v[143:144]
	v_fma_f64 v[141:142], v[215:216], v[213:214], -v[141:142]
	v_mul_f64 v[215:216], v[215:216], v[143:144]
	v_add_f64 v[125:126], v[125:126], -v[141:142]
	v_fma_f64 v[215:216], v[217:218], v[213:214], v[215:216]
	v_add_f64 v[127:128], v[127:128], -v[215:216]
	ds_read2_b64 v[215:218], v253 offset0:48 offset1:49
	s_waitcnt lgkmcnt(0)
	v_mul_f64 v[141:142], v[217:218], v[143:144]
	v_fma_f64 v[141:142], v[215:216], v[213:214], -v[141:142]
	v_mul_f64 v[215:216], v[215:216], v[143:144]
	v_add_f64 v[121:122], v[121:122], -v[141:142]
	v_fma_f64 v[215:216], v[217:218], v[213:214], v[215:216]
	v_add_f64 v[123:124], v[123:124], -v[215:216]
	ds_read2_b64 v[215:218], v253 offset0:50 offset1:51
	s_waitcnt lgkmcnt(0)
	v_mul_f64 v[141:142], v[217:218], v[143:144]
	v_fma_f64 v[141:142], v[215:216], v[213:214], -v[141:142]
	v_mul_f64 v[215:216], v[215:216], v[143:144]
	v_add_f64 v[117:118], v[117:118], -v[141:142]
	v_fma_f64 v[215:216], v[217:218], v[213:214], v[215:216]
	v_add_f64 v[119:120], v[119:120], -v[215:216]
	ds_read2_b64 v[215:218], v253 offset0:52 offset1:53
	s_waitcnt lgkmcnt(0)
	v_mul_f64 v[141:142], v[217:218], v[143:144]
	v_fma_f64 v[141:142], v[215:216], v[213:214], -v[141:142]
	v_mul_f64 v[215:216], v[215:216], v[143:144]
	v_add_f64 v[113:114], v[113:114], -v[141:142]
	v_fma_f64 v[215:216], v[217:218], v[213:214], v[215:216]
	v_add_f64 v[115:116], v[115:116], -v[215:216]
	ds_read2_b64 v[215:218], v253 offset0:54 offset1:55
	s_waitcnt lgkmcnt(0)
	v_mul_f64 v[141:142], v[217:218], v[143:144]
	v_fma_f64 v[141:142], v[215:216], v[213:214], -v[141:142]
	v_mul_f64 v[215:216], v[215:216], v[143:144]
	v_add_f64 v[109:110], v[109:110], -v[141:142]
	v_fma_f64 v[215:216], v[217:218], v[213:214], v[215:216]
	v_add_f64 v[111:112], v[111:112], -v[215:216]
	ds_read2_b64 v[215:218], v253 offset0:56 offset1:57
	s_waitcnt lgkmcnt(0)
	v_mul_f64 v[141:142], v[217:218], v[143:144]
	v_fma_f64 v[141:142], v[215:216], v[213:214], -v[141:142]
	v_mul_f64 v[215:216], v[215:216], v[143:144]
	v_add_f64 v[105:106], v[105:106], -v[141:142]
	v_fma_f64 v[215:216], v[217:218], v[213:214], v[215:216]
	v_add_f64 v[107:108], v[107:108], -v[215:216]
	ds_read2_b64 v[215:218], v253 offset0:58 offset1:59
	s_waitcnt lgkmcnt(0)
	v_mul_f64 v[141:142], v[217:218], v[143:144]
	v_fma_f64 v[141:142], v[215:216], v[213:214], -v[141:142]
	v_mul_f64 v[215:216], v[215:216], v[143:144]
	v_add_f64 v[101:102], v[101:102], -v[141:142]
	v_fma_f64 v[215:216], v[217:218], v[213:214], v[215:216]
	v_add_f64 v[103:104], v[103:104], -v[215:216]
	ds_read2_b64 v[215:218], v253 offset0:60 offset1:61
	s_waitcnt lgkmcnt(0)
	v_mul_f64 v[141:142], v[217:218], v[143:144]
	v_fma_f64 v[141:142], v[215:216], v[213:214], -v[141:142]
	v_mul_f64 v[215:216], v[215:216], v[143:144]
	v_add_f64 v[97:98], v[97:98], -v[141:142]
	v_fma_f64 v[215:216], v[217:218], v[213:214], v[215:216]
	v_add_f64 v[99:100], v[99:100], -v[215:216]
	ds_read2_b64 v[215:218], v253 offset0:62 offset1:63
	s_waitcnt lgkmcnt(0)
	v_mul_f64 v[141:142], v[217:218], v[143:144]
	v_fma_f64 v[141:142], v[215:216], v[213:214], -v[141:142]
	v_mul_f64 v[215:216], v[215:216], v[143:144]
	v_add_f64 v[93:94], v[93:94], -v[141:142]
	v_fma_f64 v[215:216], v[217:218], v[213:214], v[215:216]
	v_add_f64 v[95:96], v[95:96], -v[215:216]
	ds_read2_b64 v[215:218], v253 offset0:64 offset1:65
	s_waitcnt lgkmcnt(0)
	v_mul_f64 v[141:142], v[217:218], v[143:144]
	v_fma_f64 v[141:142], v[215:216], v[213:214], -v[141:142]
	v_mul_f64 v[215:216], v[215:216], v[143:144]
	v_add_f64 v[89:90], v[89:90], -v[141:142]
	v_fma_f64 v[215:216], v[217:218], v[213:214], v[215:216]
	v_add_f64 v[91:92], v[91:92], -v[215:216]
	ds_read2_b64 v[215:218], v253 offset0:66 offset1:67
	s_waitcnt lgkmcnt(0)
	v_mul_f64 v[141:142], v[217:218], v[143:144]
	v_fma_f64 v[141:142], v[215:216], v[213:214], -v[141:142]
	v_mul_f64 v[215:216], v[215:216], v[143:144]
	v_add_f64 v[85:86], v[85:86], -v[141:142]
	v_fma_f64 v[215:216], v[217:218], v[213:214], v[215:216]
	v_add_f64 v[87:88], v[87:88], -v[215:216]
	ds_read2_b64 v[215:218], v253 offset0:68 offset1:69
	s_waitcnt lgkmcnt(0)
	v_mul_f64 v[141:142], v[217:218], v[143:144]
	v_fma_f64 v[141:142], v[215:216], v[213:214], -v[141:142]
	v_mul_f64 v[215:216], v[215:216], v[143:144]
	v_add_f64 v[81:82], v[81:82], -v[141:142]
	v_fma_f64 v[215:216], v[217:218], v[213:214], v[215:216]
	v_add_f64 v[83:84], v[83:84], -v[215:216]
	ds_read2_b64 v[215:218], v253 offset0:70 offset1:71
	s_waitcnt lgkmcnt(0)
	v_mul_f64 v[141:142], v[217:218], v[143:144]
	v_fma_f64 v[141:142], v[215:216], v[213:214], -v[141:142]
	v_mul_f64 v[215:216], v[215:216], v[143:144]
	v_add_f64 v[77:78], v[77:78], -v[141:142]
	v_fma_f64 v[215:216], v[217:218], v[213:214], v[215:216]
	v_add_f64 v[79:80], v[79:80], -v[215:216]
	ds_read2_b64 v[215:218], v253 offset0:72 offset1:73
	s_waitcnt lgkmcnt(0)
	v_mul_f64 v[141:142], v[217:218], v[143:144]
	v_fma_f64 v[141:142], v[215:216], v[213:214], -v[141:142]
	v_mul_f64 v[215:216], v[215:216], v[143:144]
	v_add_f64 v[73:74], v[73:74], -v[141:142]
	v_fma_f64 v[215:216], v[217:218], v[213:214], v[215:216]
	v_add_f64 v[75:76], v[75:76], -v[215:216]
	ds_read2_b64 v[215:218], v253 offset0:74 offset1:75
	s_waitcnt lgkmcnt(0)
	v_mul_f64 v[141:142], v[217:218], v[143:144]
	v_fma_f64 v[141:142], v[215:216], v[213:214], -v[141:142]
	v_mul_f64 v[215:216], v[215:216], v[143:144]
	v_add_f64 v[69:70], v[69:70], -v[141:142]
	v_fma_f64 v[215:216], v[217:218], v[213:214], v[215:216]
	v_add_f64 v[71:72], v[71:72], -v[215:216]
	ds_read2_b64 v[215:218], v253 offset0:76 offset1:77
	s_waitcnt lgkmcnt(0)
	v_mul_f64 v[141:142], v[217:218], v[143:144]
	v_fma_f64 v[141:142], v[215:216], v[213:214], -v[141:142]
	v_mul_f64 v[215:216], v[215:216], v[143:144]
	v_add_f64 v[65:66], v[65:66], -v[141:142]
	v_fma_f64 v[215:216], v[217:218], v[213:214], v[215:216]
	v_add_f64 v[67:68], v[67:68], -v[215:216]
	ds_read2_b64 v[215:218], v253 offset0:78 offset1:79
	s_waitcnt lgkmcnt(0)
	v_mul_f64 v[141:142], v[217:218], v[143:144]
	v_fma_f64 v[141:142], v[215:216], v[213:214], -v[141:142]
	v_mul_f64 v[215:216], v[215:216], v[143:144]
	v_add_f64 v[61:62], v[61:62], -v[141:142]
	v_fma_f64 v[215:216], v[217:218], v[213:214], v[215:216]
	v_add_f64 v[63:64], v[63:64], -v[215:216]
	ds_read2_b64 v[215:218], v253 offset0:80 offset1:81
	s_waitcnt lgkmcnt(0)
	v_mul_f64 v[141:142], v[217:218], v[143:144]
	v_fma_f64 v[141:142], v[215:216], v[213:214], -v[141:142]
	v_mul_f64 v[215:216], v[215:216], v[143:144]
	v_add_f64 v[57:58], v[57:58], -v[141:142]
	v_fma_f64 v[215:216], v[217:218], v[213:214], v[215:216]
	v_add_f64 v[59:60], v[59:60], -v[215:216]
	ds_read2_b64 v[215:218], v253 offset0:82 offset1:83
	s_waitcnt lgkmcnt(0)
	v_mul_f64 v[141:142], v[217:218], v[143:144]
	v_fma_f64 v[141:142], v[215:216], v[213:214], -v[141:142]
	v_mul_f64 v[215:216], v[215:216], v[143:144]
	v_add_f64 v[53:54], v[53:54], -v[141:142]
	v_fma_f64 v[215:216], v[217:218], v[213:214], v[215:216]
	v_add_f64 v[55:56], v[55:56], -v[215:216]
	ds_read2_b64 v[215:218], v253 offset0:84 offset1:85
	s_waitcnt lgkmcnt(0)
	v_mul_f64 v[141:142], v[217:218], v[143:144]
	v_fma_f64 v[141:142], v[215:216], v[213:214], -v[141:142]
	v_mul_f64 v[215:216], v[215:216], v[143:144]
	v_add_f64 v[49:50], v[49:50], -v[141:142]
	v_fma_f64 v[215:216], v[217:218], v[213:214], v[215:216]
	v_add_f64 v[51:52], v[51:52], -v[215:216]
	ds_read2_b64 v[215:218], v253 offset0:86 offset1:87
	s_waitcnt lgkmcnt(0)
	v_mul_f64 v[141:142], v[217:218], v[143:144]
	v_fma_f64 v[141:142], v[215:216], v[213:214], -v[141:142]
	v_mul_f64 v[215:216], v[215:216], v[143:144]
	v_add_f64 v[45:46], v[45:46], -v[141:142]
	v_fma_f64 v[215:216], v[217:218], v[213:214], v[215:216]
	v_add_f64 v[47:48], v[47:48], -v[215:216]
	ds_read2_b64 v[215:218], v253 offset0:88 offset1:89
	s_waitcnt lgkmcnt(0)
	v_mul_f64 v[141:142], v[217:218], v[143:144]
	v_fma_f64 v[141:142], v[215:216], v[213:214], -v[141:142]
	v_mul_f64 v[215:216], v[215:216], v[143:144]
	v_add_f64 v[41:42], v[41:42], -v[141:142]
	v_fma_f64 v[215:216], v[217:218], v[213:214], v[215:216]
	v_add_f64 v[43:44], v[43:44], -v[215:216]
	ds_read2_b64 v[215:218], v253 offset0:90 offset1:91
	s_waitcnt lgkmcnt(0)
	v_mul_f64 v[141:142], v[217:218], v[143:144]
	v_fma_f64 v[141:142], v[215:216], v[213:214], -v[141:142]
	v_mul_f64 v[215:216], v[215:216], v[143:144]
	v_add_f64 v[37:38], v[37:38], -v[141:142]
	v_fma_f64 v[215:216], v[217:218], v[213:214], v[215:216]
	v_add_f64 v[39:40], v[39:40], -v[215:216]
	ds_read2_b64 v[215:218], v253 offset0:92 offset1:93
	s_waitcnt lgkmcnt(0)
	v_mul_f64 v[141:142], v[217:218], v[143:144]
	v_fma_f64 v[141:142], v[215:216], v[213:214], -v[141:142]
	v_mul_f64 v[215:216], v[215:216], v[143:144]
	v_add_f64 v[33:34], v[33:34], -v[141:142]
	v_fma_f64 v[215:216], v[217:218], v[213:214], v[215:216]
	v_add_f64 v[35:36], v[35:36], -v[215:216]
	ds_read2_b64 v[215:218], v253 offset0:94 offset1:95
	s_waitcnt lgkmcnt(0)
	v_mul_f64 v[141:142], v[217:218], v[143:144]
	v_fma_f64 v[141:142], v[215:216], v[213:214], -v[141:142]
	v_mul_f64 v[215:216], v[215:216], v[143:144]
	v_add_f64 v[29:30], v[29:30], -v[141:142]
	v_fma_f64 v[215:216], v[217:218], v[213:214], v[215:216]
	v_add_f64 v[31:32], v[31:32], -v[215:216]
	ds_read2_b64 v[215:218], v253 offset0:96 offset1:97
	s_waitcnt lgkmcnt(0)
	v_mul_f64 v[141:142], v[217:218], v[143:144]
	v_fma_f64 v[141:142], v[215:216], v[213:214], -v[141:142]
	v_mul_f64 v[215:216], v[215:216], v[143:144]
	v_add_f64 v[25:26], v[25:26], -v[141:142]
	v_fma_f64 v[215:216], v[217:218], v[213:214], v[215:216]
	v_add_f64 v[27:28], v[27:28], -v[215:216]
	ds_read2_b64 v[215:218], v253 offset0:98 offset1:99
	s_waitcnt lgkmcnt(0)
	v_mul_f64 v[141:142], v[217:218], v[143:144]
	v_fma_f64 v[141:142], v[215:216], v[213:214], -v[141:142]
	v_mul_f64 v[215:216], v[215:216], v[143:144]
	v_add_f64 v[21:22], v[21:22], -v[141:142]
	v_fma_f64 v[215:216], v[217:218], v[213:214], v[215:216]
	v_add_f64 v[23:24], v[23:24], -v[215:216]
	ds_read2_b64 v[215:218], v253 offset0:100 offset1:101
	s_waitcnt lgkmcnt(0)
	v_mul_f64 v[141:142], v[217:218], v[143:144]
	v_fma_f64 v[141:142], v[215:216], v[213:214], -v[141:142]
	v_mul_f64 v[215:216], v[215:216], v[143:144]
	v_add_f64 v[17:18], v[17:18], -v[141:142]
	v_fma_f64 v[215:216], v[217:218], v[213:214], v[215:216]
	v_add_f64 v[19:20], v[19:20], -v[215:216]
	ds_read2_b64 v[215:218], v253 offset0:102 offset1:103
	s_waitcnt lgkmcnt(0)
	v_mul_f64 v[141:142], v[217:218], v[143:144]
	v_fma_f64 v[141:142], v[215:216], v[213:214], -v[141:142]
	v_mul_f64 v[215:216], v[215:216], v[143:144]
	v_add_f64 v[13:14], v[13:14], -v[141:142]
	v_fma_f64 v[215:216], v[217:218], v[213:214], v[215:216]
	v_add_f64 v[15:16], v[15:16], -v[215:216]
	ds_read2_b64 v[215:218], v253 offset0:104 offset1:105
	s_waitcnt lgkmcnt(0)
	v_mul_f64 v[141:142], v[217:218], v[143:144]
	v_fma_f64 v[141:142], v[215:216], v[213:214], -v[141:142]
	v_mul_f64 v[215:216], v[215:216], v[143:144]
	v_add_f64 v[9:10], v[9:10], -v[141:142]
	v_fma_f64 v[215:216], v[217:218], v[213:214], v[215:216]
	v_add_f64 v[11:12], v[11:12], -v[215:216]
	ds_read2_b64 v[215:218], v253 offset0:106 offset1:107
	s_waitcnt lgkmcnt(0)
	v_mul_f64 v[141:142], v[217:218], v[143:144]
	v_fma_f64 v[141:142], v[215:216], v[213:214], -v[141:142]
	v_mul_f64 v[215:216], v[215:216], v[143:144]
	v_add_f64 v[5:6], v[5:6], -v[141:142]
	v_fma_f64 v[215:216], v[217:218], v[213:214], v[215:216]
	v_add_f64 v[7:8], v[7:8], -v[215:216]
	ds_read2_b64 v[215:218], v253 offset0:108 offset1:109
	s_waitcnt lgkmcnt(0)
	v_mul_f64 v[141:142], v[217:218], v[143:144]
	v_fma_f64 v[141:142], v[215:216], v[213:214], -v[141:142]
	v_mul_f64 v[215:216], v[215:216], v[143:144]
	v_add_f64 v[1:2], v[1:2], -v[141:142]
	v_fma_f64 v[215:216], v[217:218], v[213:214], v[215:216]
	v_mov_b32_e32 v141, v213
	v_mov_b32_e32 v142, v214
	v_add_f64 v[3:4], v[3:4], -v[215:216]
.LBB109_181:
	s_or_b32 exec_lo, exec_lo, s1
	s_mov_b32 s2, exec_lo
	s_waitcnt_vscnt null, 0x0
	s_barrier
	buffer_gl0_inv
	v_cmpx_eq_u32_e32 20, v0
	s_cbranch_execz .LBB109_188
; %bb.182:
	ds_write2_b64 v255, v[137:138], v[139:140] offset1:1
	ds_write2_b64 v253, v[133:134], v[135:136] offset0:42 offset1:43
	ds_write2_b64 v253, v[129:130], v[131:132] offset0:44 offset1:45
	ds_write2_b64 v253, v[125:126], v[127:128] offset0:46 offset1:47
	ds_write2_b64 v253, v[121:122], v[123:124] offset0:48 offset1:49
	ds_write2_b64 v253, v[117:118], v[119:120] offset0:50 offset1:51
	ds_write2_b64 v253, v[113:114], v[115:116] offset0:52 offset1:53
	ds_write2_b64 v253, v[109:110], v[111:112] offset0:54 offset1:55
	ds_write2_b64 v253, v[105:106], v[107:108] offset0:56 offset1:57
	ds_write2_b64 v253, v[101:102], v[103:104] offset0:58 offset1:59
	ds_write2_b64 v253, v[97:98], v[99:100] offset0:60 offset1:61
	ds_write2_b64 v253, v[93:94], v[95:96] offset0:62 offset1:63
	ds_write2_b64 v253, v[89:90], v[91:92] offset0:64 offset1:65
	ds_write2_b64 v253, v[85:86], v[87:88] offset0:66 offset1:67
	ds_write2_b64 v253, v[81:82], v[83:84] offset0:68 offset1:69
	ds_write2_b64 v253, v[77:78], v[79:80] offset0:70 offset1:71
	ds_write2_b64 v253, v[73:74], v[75:76] offset0:72 offset1:73
	ds_write2_b64 v253, v[69:70], v[71:72] offset0:74 offset1:75
	ds_write2_b64 v253, v[65:66], v[67:68] offset0:76 offset1:77
	ds_write2_b64 v253, v[61:62], v[63:64] offset0:78 offset1:79
	ds_write2_b64 v253, v[57:58], v[59:60] offset0:80 offset1:81
	ds_write2_b64 v253, v[53:54], v[55:56] offset0:82 offset1:83
	ds_write2_b64 v253, v[49:50], v[51:52] offset0:84 offset1:85
	ds_write2_b64 v253, v[45:46], v[47:48] offset0:86 offset1:87
	ds_write2_b64 v253, v[41:42], v[43:44] offset0:88 offset1:89
	ds_write2_b64 v253, v[37:38], v[39:40] offset0:90 offset1:91
	ds_write2_b64 v253, v[33:34], v[35:36] offset0:92 offset1:93
	ds_write2_b64 v253, v[29:30], v[31:32] offset0:94 offset1:95
	ds_write2_b64 v253, v[25:26], v[27:28] offset0:96 offset1:97
	ds_write2_b64 v253, v[21:22], v[23:24] offset0:98 offset1:99
	ds_write2_b64 v253, v[17:18], v[19:20] offset0:100 offset1:101
	ds_write2_b64 v253, v[13:14], v[15:16] offset0:102 offset1:103
	ds_write2_b64 v253, v[9:10], v[11:12] offset0:104 offset1:105
	ds_write2_b64 v253, v[5:6], v[7:8] offset0:106 offset1:107
	ds_write2_b64 v253, v[1:2], v[3:4] offset0:108 offset1:109
	ds_read2_b64 v[213:216], v255 offset1:1
	s_waitcnt lgkmcnt(0)
	v_cmp_neq_f64_e32 vcc_lo, 0, v[213:214]
	v_cmp_neq_f64_e64 s1, 0, v[215:216]
	s_or_b32 s1, vcc_lo, s1
	s_and_b32 exec_lo, exec_lo, s1
	s_cbranch_execz .LBB109_188
; %bb.183:
	v_cmp_ngt_f64_e64 s1, |v[213:214]|, |v[215:216]|
                                        ; implicit-def: $vgpr217_vgpr218
	s_and_saveexec_b32 s3, s1
	s_xor_b32 s1, exec_lo, s3
                                        ; implicit-def: $vgpr219_vgpr220
	s_cbranch_execz .LBB109_185
; %bb.184:
	v_div_scale_f64 v[217:218], null, v[215:216], v[215:216], v[213:214]
	v_div_scale_f64 v[223:224], vcc_lo, v[213:214], v[215:216], v[213:214]
	v_rcp_f64_e32 v[219:220], v[217:218]
	v_fma_f64 v[221:222], -v[217:218], v[219:220], 1.0
	v_fma_f64 v[219:220], v[219:220], v[221:222], v[219:220]
	v_fma_f64 v[221:222], -v[217:218], v[219:220], 1.0
	v_fma_f64 v[219:220], v[219:220], v[221:222], v[219:220]
	v_mul_f64 v[221:222], v[223:224], v[219:220]
	v_fma_f64 v[217:218], -v[217:218], v[221:222], v[223:224]
	v_div_fmas_f64 v[217:218], v[217:218], v[219:220], v[221:222]
	v_div_fixup_f64 v[217:218], v[217:218], v[215:216], v[213:214]
	v_fma_f64 v[213:214], v[213:214], v[217:218], v[215:216]
	v_div_scale_f64 v[215:216], null, v[213:214], v[213:214], 1.0
	v_rcp_f64_e32 v[219:220], v[215:216]
	v_fma_f64 v[221:222], -v[215:216], v[219:220], 1.0
	v_fma_f64 v[219:220], v[219:220], v[221:222], v[219:220]
	v_fma_f64 v[221:222], -v[215:216], v[219:220], 1.0
	v_fma_f64 v[219:220], v[219:220], v[221:222], v[219:220]
	v_div_scale_f64 v[221:222], vcc_lo, 1.0, v[213:214], 1.0
	v_mul_f64 v[223:224], v[221:222], v[219:220]
	v_fma_f64 v[215:216], -v[215:216], v[223:224], v[221:222]
	v_div_fmas_f64 v[215:216], v[215:216], v[219:220], v[223:224]
	v_div_fixup_f64 v[219:220], v[215:216], v[213:214], 1.0
                                        ; implicit-def: $vgpr213_vgpr214
	v_mul_f64 v[217:218], v[217:218], v[219:220]
	v_xor_b32_e32 v220, 0x80000000, v220
.LBB109_185:
	s_andn2_saveexec_b32 s1, s1
	s_cbranch_execz .LBB109_187
; %bb.186:
	v_div_scale_f64 v[217:218], null, v[213:214], v[213:214], v[215:216]
	v_div_scale_f64 v[223:224], vcc_lo, v[215:216], v[213:214], v[215:216]
	v_rcp_f64_e32 v[219:220], v[217:218]
	v_fma_f64 v[221:222], -v[217:218], v[219:220], 1.0
	v_fma_f64 v[219:220], v[219:220], v[221:222], v[219:220]
	v_fma_f64 v[221:222], -v[217:218], v[219:220], 1.0
	v_fma_f64 v[219:220], v[219:220], v[221:222], v[219:220]
	v_mul_f64 v[221:222], v[223:224], v[219:220]
	v_fma_f64 v[217:218], -v[217:218], v[221:222], v[223:224]
	v_div_fmas_f64 v[217:218], v[217:218], v[219:220], v[221:222]
	v_div_fixup_f64 v[219:220], v[217:218], v[213:214], v[215:216]
	v_fma_f64 v[213:214], v[215:216], v[219:220], v[213:214]
	v_div_scale_f64 v[215:216], null, v[213:214], v[213:214], 1.0
	v_rcp_f64_e32 v[217:218], v[215:216]
	v_fma_f64 v[221:222], -v[215:216], v[217:218], 1.0
	v_fma_f64 v[217:218], v[217:218], v[221:222], v[217:218]
	v_fma_f64 v[221:222], -v[215:216], v[217:218], 1.0
	v_fma_f64 v[217:218], v[217:218], v[221:222], v[217:218]
	v_div_scale_f64 v[221:222], vcc_lo, 1.0, v[213:214], 1.0
	v_mul_f64 v[223:224], v[221:222], v[217:218]
	v_fma_f64 v[215:216], -v[215:216], v[223:224], v[221:222]
	v_div_fmas_f64 v[215:216], v[215:216], v[217:218], v[223:224]
	v_div_fixup_f64 v[217:218], v[215:216], v[213:214], 1.0
	v_mul_f64 v[219:220], v[219:220], -v[217:218]
.LBB109_187:
	s_or_b32 exec_lo, exec_lo, s1
	ds_write2_b64 v255, v[217:218], v[219:220] offset1:1
.LBB109_188:
	s_or_b32 exec_lo, exec_lo, s2
	s_waitcnt lgkmcnt(0)
	s_barrier
	buffer_gl0_inv
	ds_read2_b64 v[213:216], v255 offset1:1
	s_mov_b32 s1, exec_lo
	s_waitcnt lgkmcnt(0)
	buffer_store_dword v213, off, s[16:19], 0 offset:776 ; 4-byte Folded Spill
	buffer_store_dword v214, off, s[16:19], 0 offset:780 ; 4-byte Folded Spill
	;; [unrolled: 1-line block ×4, first 2 shown]
	v_cmpx_lt_u32_e32 20, v0
	s_cbranch_execz .LBB109_190
; %bb.189:
	s_clause 0x3
	buffer_load_dword v215, off, s[16:19], 0 offset:776
	buffer_load_dword v216, off, s[16:19], 0 offset:780
	;; [unrolled: 1-line block ×4, first 2 shown]
	s_waitcnt vmcnt(0)
	v_mul_f64 v[213:214], v[217:218], v[139:140]
	v_mul_f64 v[139:140], v[215:216], v[139:140]
	v_fma_f64 v[213:214], v[215:216], v[137:138], -v[213:214]
	v_fma_f64 v[139:140], v[217:218], v[137:138], v[139:140]
	ds_read2_b64 v[215:218], v253 offset0:42 offset1:43
	s_waitcnt lgkmcnt(0)
	v_mul_f64 v[137:138], v[217:218], v[139:140]
	v_fma_f64 v[137:138], v[215:216], v[213:214], -v[137:138]
	v_mul_f64 v[215:216], v[215:216], v[139:140]
	v_add_f64 v[133:134], v[133:134], -v[137:138]
	v_fma_f64 v[215:216], v[217:218], v[213:214], v[215:216]
	v_add_f64 v[135:136], v[135:136], -v[215:216]
	ds_read2_b64 v[215:218], v253 offset0:44 offset1:45
	s_waitcnt lgkmcnt(0)
	v_mul_f64 v[137:138], v[217:218], v[139:140]
	v_fma_f64 v[137:138], v[215:216], v[213:214], -v[137:138]
	v_mul_f64 v[215:216], v[215:216], v[139:140]
	v_add_f64 v[129:130], v[129:130], -v[137:138]
	v_fma_f64 v[215:216], v[217:218], v[213:214], v[215:216]
	v_add_f64 v[131:132], v[131:132], -v[215:216]
	;; [unrolled: 8-line block ×33, first 2 shown]
	ds_read2_b64 v[215:218], v253 offset0:108 offset1:109
	s_waitcnt lgkmcnt(0)
	v_mul_f64 v[137:138], v[217:218], v[139:140]
	v_fma_f64 v[137:138], v[215:216], v[213:214], -v[137:138]
	v_mul_f64 v[215:216], v[215:216], v[139:140]
	v_add_f64 v[1:2], v[1:2], -v[137:138]
	v_fma_f64 v[215:216], v[217:218], v[213:214], v[215:216]
	v_mov_b32_e32 v137, v213
	v_mov_b32_e32 v138, v214
	v_add_f64 v[3:4], v[3:4], -v[215:216]
.LBB109_190:
	s_or_b32 exec_lo, exec_lo, s1
	s_mov_b32 s2, exec_lo
	s_waitcnt_vscnt null, 0x0
	s_barrier
	buffer_gl0_inv
	v_cmpx_eq_u32_e32 21, v0
	s_cbranch_execz .LBB109_197
; %bb.191:
	ds_write2_b64 v255, v[133:134], v[135:136] offset1:1
	ds_write2_b64 v253, v[129:130], v[131:132] offset0:44 offset1:45
	ds_write2_b64 v253, v[125:126], v[127:128] offset0:46 offset1:47
	;; [unrolled: 1-line block ×33, first 2 shown]
	ds_read2_b64 v[213:216], v255 offset1:1
	s_waitcnt lgkmcnt(0)
	v_cmp_neq_f64_e32 vcc_lo, 0, v[213:214]
	v_cmp_neq_f64_e64 s1, 0, v[215:216]
	s_or_b32 s1, vcc_lo, s1
	s_and_b32 exec_lo, exec_lo, s1
	s_cbranch_execz .LBB109_197
; %bb.192:
	v_cmp_ngt_f64_e64 s1, |v[213:214]|, |v[215:216]|
                                        ; implicit-def: $vgpr217_vgpr218
	s_and_saveexec_b32 s3, s1
	s_xor_b32 s1, exec_lo, s3
                                        ; implicit-def: $vgpr219_vgpr220
	s_cbranch_execz .LBB109_194
; %bb.193:
	v_div_scale_f64 v[217:218], null, v[215:216], v[215:216], v[213:214]
	v_div_scale_f64 v[223:224], vcc_lo, v[213:214], v[215:216], v[213:214]
	v_rcp_f64_e32 v[219:220], v[217:218]
	v_fma_f64 v[221:222], -v[217:218], v[219:220], 1.0
	v_fma_f64 v[219:220], v[219:220], v[221:222], v[219:220]
	v_fma_f64 v[221:222], -v[217:218], v[219:220], 1.0
	v_fma_f64 v[219:220], v[219:220], v[221:222], v[219:220]
	v_mul_f64 v[221:222], v[223:224], v[219:220]
	v_fma_f64 v[217:218], -v[217:218], v[221:222], v[223:224]
	v_div_fmas_f64 v[217:218], v[217:218], v[219:220], v[221:222]
	v_div_fixup_f64 v[217:218], v[217:218], v[215:216], v[213:214]
	v_fma_f64 v[213:214], v[213:214], v[217:218], v[215:216]
	v_div_scale_f64 v[215:216], null, v[213:214], v[213:214], 1.0
	v_rcp_f64_e32 v[219:220], v[215:216]
	v_fma_f64 v[221:222], -v[215:216], v[219:220], 1.0
	v_fma_f64 v[219:220], v[219:220], v[221:222], v[219:220]
	v_fma_f64 v[221:222], -v[215:216], v[219:220], 1.0
	v_fma_f64 v[219:220], v[219:220], v[221:222], v[219:220]
	v_div_scale_f64 v[221:222], vcc_lo, 1.0, v[213:214], 1.0
	v_mul_f64 v[223:224], v[221:222], v[219:220]
	v_fma_f64 v[215:216], -v[215:216], v[223:224], v[221:222]
	v_div_fmas_f64 v[215:216], v[215:216], v[219:220], v[223:224]
	v_div_fixup_f64 v[219:220], v[215:216], v[213:214], 1.0
                                        ; implicit-def: $vgpr213_vgpr214
	v_mul_f64 v[217:218], v[217:218], v[219:220]
	v_xor_b32_e32 v220, 0x80000000, v220
.LBB109_194:
	s_andn2_saveexec_b32 s1, s1
	s_cbranch_execz .LBB109_196
; %bb.195:
	v_div_scale_f64 v[217:218], null, v[213:214], v[213:214], v[215:216]
	v_div_scale_f64 v[223:224], vcc_lo, v[215:216], v[213:214], v[215:216]
	v_rcp_f64_e32 v[219:220], v[217:218]
	v_fma_f64 v[221:222], -v[217:218], v[219:220], 1.0
	v_fma_f64 v[219:220], v[219:220], v[221:222], v[219:220]
	v_fma_f64 v[221:222], -v[217:218], v[219:220], 1.0
	v_fma_f64 v[219:220], v[219:220], v[221:222], v[219:220]
	v_mul_f64 v[221:222], v[223:224], v[219:220]
	v_fma_f64 v[217:218], -v[217:218], v[221:222], v[223:224]
	v_div_fmas_f64 v[217:218], v[217:218], v[219:220], v[221:222]
	v_div_fixup_f64 v[219:220], v[217:218], v[213:214], v[215:216]
	v_fma_f64 v[213:214], v[215:216], v[219:220], v[213:214]
	v_div_scale_f64 v[215:216], null, v[213:214], v[213:214], 1.0
	v_rcp_f64_e32 v[217:218], v[215:216]
	v_fma_f64 v[221:222], -v[215:216], v[217:218], 1.0
	v_fma_f64 v[217:218], v[217:218], v[221:222], v[217:218]
	v_fma_f64 v[221:222], -v[215:216], v[217:218], 1.0
	v_fma_f64 v[217:218], v[217:218], v[221:222], v[217:218]
	v_div_scale_f64 v[221:222], vcc_lo, 1.0, v[213:214], 1.0
	v_mul_f64 v[223:224], v[221:222], v[217:218]
	v_fma_f64 v[215:216], -v[215:216], v[223:224], v[221:222]
	v_div_fmas_f64 v[215:216], v[215:216], v[217:218], v[223:224]
	v_div_fixup_f64 v[217:218], v[215:216], v[213:214], 1.0
	v_mul_f64 v[219:220], v[219:220], -v[217:218]
.LBB109_196:
	s_or_b32 exec_lo, exec_lo, s1
	ds_write2_b64 v255, v[217:218], v[219:220] offset1:1
.LBB109_197:
	s_or_b32 exec_lo, exec_lo, s2
	s_waitcnt lgkmcnt(0)
	s_barrier
	buffer_gl0_inv
	ds_read2_b64 v[213:216], v255 offset1:1
	s_mov_b32 s1, exec_lo
	s_waitcnt lgkmcnt(0)
	buffer_store_dword v213, off, s[16:19], 0 offset:792 ; 4-byte Folded Spill
	buffer_store_dword v214, off, s[16:19], 0 offset:796 ; 4-byte Folded Spill
	;; [unrolled: 1-line block ×4, first 2 shown]
	v_cmpx_lt_u32_e32 21, v0
	s_cbranch_execz .LBB109_199
; %bb.198:
	s_clause 0x3
	buffer_load_dword v215, off, s[16:19], 0 offset:792
	buffer_load_dword v216, off, s[16:19], 0 offset:796
	;; [unrolled: 1-line block ×4, first 2 shown]
	s_waitcnt vmcnt(0)
	v_mul_f64 v[213:214], v[217:218], v[135:136]
	v_mul_f64 v[135:136], v[215:216], v[135:136]
	v_fma_f64 v[213:214], v[215:216], v[133:134], -v[213:214]
	v_fma_f64 v[135:136], v[217:218], v[133:134], v[135:136]
	ds_read2_b64 v[215:218], v253 offset0:44 offset1:45
	s_waitcnt lgkmcnt(0)
	v_mul_f64 v[133:134], v[217:218], v[135:136]
	v_fma_f64 v[133:134], v[215:216], v[213:214], -v[133:134]
	v_mul_f64 v[215:216], v[215:216], v[135:136]
	v_add_f64 v[129:130], v[129:130], -v[133:134]
	v_fma_f64 v[215:216], v[217:218], v[213:214], v[215:216]
	v_add_f64 v[131:132], v[131:132], -v[215:216]
	ds_read2_b64 v[215:218], v253 offset0:46 offset1:47
	s_waitcnt lgkmcnt(0)
	v_mul_f64 v[133:134], v[217:218], v[135:136]
	v_fma_f64 v[133:134], v[215:216], v[213:214], -v[133:134]
	v_mul_f64 v[215:216], v[215:216], v[135:136]
	v_add_f64 v[125:126], v[125:126], -v[133:134]
	v_fma_f64 v[215:216], v[217:218], v[213:214], v[215:216]
	v_add_f64 v[127:128], v[127:128], -v[215:216]
	ds_read2_b64 v[215:218], v253 offset0:48 offset1:49
	s_waitcnt lgkmcnt(0)
	v_mul_f64 v[133:134], v[217:218], v[135:136]
	v_fma_f64 v[133:134], v[215:216], v[213:214], -v[133:134]
	v_mul_f64 v[215:216], v[215:216], v[135:136]
	v_add_f64 v[121:122], v[121:122], -v[133:134]
	v_fma_f64 v[215:216], v[217:218], v[213:214], v[215:216]
	v_add_f64 v[123:124], v[123:124], -v[215:216]
	ds_read2_b64 v[215:218], v253 offset0:50 offset1:51
	s_waitcnt lgkmcnt(0)
	v_mul_f64 v[133:134], v[217:218], v[135:136]
	v_fma_f64 v[133:134], v[215:216], v[213:214], -v[133:134]
	v_mul_f64 v[215:216], v[215:216], v[135:136]
	v_add_f64 v[117:118], v[117:118], -v[133:134]
	v_fma_f64 v[215:216], v[217:218], v[213:214], v[215:216]
	v_add_f64 v[119:120], v[119:120], -v[215:216]
	ds_read2_b64 v[215:218], v253 offset0:52 offset1:53
	s_waitcnt lgkmcnt(0)
	v_mul_f64 v[133:134], v[217:218], v[135:136]
	v_fma_f64 v[133:134], v[215:216], v[213:214], -v[133:134]
	v_mul_f64 v[215:216], v[215:216], v[135:136]
	v_add_f64 v[113:114], v[113:114], -v[133:134]
	v_fma_f64 v[215:216], v[217:218], v[213:214], v[215:216]
	v_add_f64 v[115:116], v[115:116], -v[215:216]
	ds_read2_b64 v[215:218], v253 offset0:54 offset1:55
	s_waitcnt lgkmcnt(0)
	v_mul_f64 v[133:134], v[217:218], v[135:136]
	v_fma_f64 v[133:134], v[215:216], v[213:214], -v[133:134]
	v_mul_f64 v[215:216], v[215:216], v[135:136]
	v_add_f64 v[109:110], v[109:110], -v[133:134]
	v_fma_f64 v[215:216], v[217:218], v[213:214], v[215:216]
	v_add_f64 v[111:112], v[111:112], -v[215:216]
	ds_read2_b64 v[215:218], v253 offset0:56 offset1:57
	s_waitcnt lgkmcnt(0)
	v_mul_f64 v[133:134], v[217:218], v[135:136]
	v_fma_f64 v[133:134], v[215:216], v[213:214], -v[133:134]
	v_mul_f64 v[215:216], v[215:216], v[135:136]
	v_add_f64 v[105:106], v[105:106], -v[133:134]
	v_fma_f64 v[215:216], v[217:218], v[213:214], v[215:216]
	v_add_f64 v[107:108], v[107:108], -v[215:216]
	ds_read2_b64 v[215:218], v253 offset0:58 offset1:59
	s_waitcnt lgkmcnt(0)
	v_mul_f64 v[133:134], v[217:218], v[135:136]
	v_fma_f64 v[133:134], v[215:216], v[213:214], -v[133:134]
	v_mul_f64 v[215:216], v[215:216], v[135:136]
	v_add_f64 v[101:102], v[101:102], -v[133:134]
	v_fma_f64 v[215:216], v[217:218], v[213:214], v[215:216]
	v_add_f64 v[103:104], v[103:104], -v[215:216]
	ds_read2_b64 v[215:218], v253 offset0:60 offset1:61
	s_waitcnt lgkmcnt(0)
	v_mul_f64 v[133:134], v[217:218], v[135:136]
	v_fma_f64 v[133:134], v[215:216], v[213:214], -v[133:134]
	v_mul_f64 v[215:216], v[215:216], v[135:136]
	v_add_f64 v[97:98], v[97:98], -v[133:134]
	v_fma_f64 v[215:216], v[217:218], v[213:214], v[215:216]
	v_add_f64 v[99:100], v[99:100], -v[215:216]
	ds_read2_b64 v[215:218], v253 offset0:62 offset1:63
	s_waitcnt lgkmcnt(0)
	v_mul_f64 v[133:134], v[217:218], v[135:136]
	v_fma_f64 v[133:134], v[215:216], v[213:214], -v[133:134]
	v_mul_f64 v[215:216], v[215:216], v[135:136]
	v_add_f64 v[93:94], v[93:94], -v[133:134]
	v_fma_f64 v[215:216], v[217:218], v[213:214], v[215:216]
	v_add_f64 v[95:96], v[95:96], -v[215:216]
	ds_read2_b64 v[215:218], v253 offset0:64 offset1:65
	s_waitcnt lgkmcnt(0)
	v_mul_f64 v[133:134], v[217:218], v[135:136]
	v_fma_f64 v[133:134], v[215:216], v[213:214], -v[133:134]
	v_mul_f64 v[215:216], v[215:216], v[135:136]
	v_add_f64 v[89:90], v[89:90], -v[133:134]
	v_fma_f64 v[215:216], v[217:218], v[213:214], v[215:216]
	v_add_f64 v[91:92], v[91:92], -v[215:216]
	ds_read2_b64 v[215:218], v253 offset0:66 offset1:67
	s_waitcnt lgkmcnt(0)
	v_mul_f64 v[133:134], v[217:218], v[135:136]
	v_fma_f64 v[133:134], v[215:216], v[213:214], -v[133:134]
	v_mul_f64 v[215:216], v[215:216], v[135:136]
	v_add_f64 v[85:86], v[85:86], -v[133:134]
	v_fma_f64 v[215:216], v[217:218], v[213:214], v[215:216]
	v_add_f64 v[87:88], v[87:88], -v[215:216]
	ds_read2_b64 v[215:218], v253 offset0:68 offset1:69
	s_waitcnt lgkmcnt(0)
	v_mul_f64 v[133:134], v[217:218], v[135:136]
	v_fma_f64 v[133:134], v[215:216], v[213:214], -v[133:134]
	v_mul_f64 v[215:216], v[215:216], v[135:136]
	v_add_f64 v[81:82], v[81:82], -v[133:134]
	v_fma_f64 v[215:216], v[217:218], v[213:214], v[215:216]
	v_add_f64 v[83:84], v[83:84], -v[215:216]
	ds_read2_b64 v[215:218], v253 offset0:70 offset1:71
	s_waitcnt lgkmcnt(0)
	v_mul_f64 v[133:134], v[217:218], v[135:136]
	v_fma_f64 v[133:134], v[215:216], v[213:214], -v[133:134]
	v_mul_f64 v[215:216], v[215:216], v[135:136]
	v_add_f64 v[77:78], v[77:78], -v[133:134]
	v_fma_f64 v[215:216], v[217:218], v[213:214], v[215:216]
	v_add_f64 v[79:80], v[79:80], -v[215:216]
	ds_read2_b64 v[215:218], v253 offset0:72 offset1:73
	s_waitcnt lgkmcnt(0)
	v_mul_f64 v[133:134], v[217:218], v[135:136]
	v_fma_f64 v[133:134], v[215:216], v[213:214], -v[133:134]
	v_mul_f64 v[215:216], v[215:216], v[135:136]
	v_add_f64 v[73:74], v[73:74], -v[133:134]
	v_fma_f64 v[215:216], v[217:218], v[213:214], v[215:216]
	v_add_f64 v[75:76], v[75:76], -v[215:216]
	ds_read2_b64 v[215:218], v253 offset0:74 offset1:75
	s_waitcnt lgkmcnt(0)
	v_mul_f64 v[133:134], v[217:218], v[135:136]
	v_fma_f64 v[133:134], v[215:216], v[213:214], -v[133:134]
	v_mul_f64 v[215:216], v[215:216], v[135:136]
	v_add_f64 v[69:70], v[69:70], -v[133:134]
	v_fma_f64 v[215:216], v[217:218], v[213:214], v[215:216]
	v_add_f64 v[71:72], v[71:72], -v[215:216]
	ds_read2_b64 v[215:218], v253 offset0:76 offset1:77
	s_waitcnt lgkmcnt(0)
	v_mul_f64 v[133:134], v[217:218], v[135:136]
	v_fma_f64 v[133:134], v[215:216], v[213:214], -v[133:134]
	v_mul_f64 v[215:216], v[215:216], v[135:136]
	v_add_f64 v[65:66], v[65:66], -v[133:134]
	v_fma_f64 v[215:216], v[217:218], v[213:214], v[215:216]
	v_add_f64 v[67:68], v[67:68], -v[215:216]
	ds_read2_b64 v[215:218], v253 offset0:78 offset1:79
	s_waitcnt lgkmcnt(0)
	v_mul_f64 v[133:134], v[217:218], v[135:136]
	v_fma_f64 v[133:134], v[215:216], v[213:214], -v[133:134]
	v_mul_f64 v[215:216], v[215:216], v[135:136]
	v_add_f64 v[61:62], v[61:62], -v[133:134]
	v_fma_f64 v[215:216], v[217:218], v[213:214], v[215:216]
	v_add_f64 v[63:64], v[63:64], -v[215:216]
	ds_read2_b64 v[215:218], v253 offset0:80 offset1:81
	s_waitcnt lgkmcnt(0)
	v_mul_f64 v[133:134], v[217:218], v[135:136]
	v_fma_f64 v[133:134], v[215:216], v[213:214], -v[133:134]
	v_mul_f64 v[215:216], v[215:216], v[135:136]
	v_add_f64 v[57:58], v[57:58], -v[133:134]
	v_fma_f64 v[215:216], v[217:218], v[213:214], v[215:216]
	v_add_f64 v[59:60], v[59:60], -v[215:216]
	ds_read2_b64 v[215:218], v253 offset0:82 offset1:83
	s_waitcnt lgkmcnt(0)
	v_mul_f64 v[133:134], v[217:218], v[135:136]
	v_fma_f64 v[133:134], v[215:216], v[213:214], -v[133:134]
	v_mul_f64 v[215:216], v[215:216], v[135:136]
	v_add_f64 v[53:54], v[53:54], -v[133:134]
	v_fma_f64 v[215:216], v[217:218], v[213:214], v[215:216]
	v_add_f64 v[55:56], v[55:56], -v[215:216]
	ds_read2_b64 v[215:218], v253 offset0:84 offset1:85
	s_waitcnt lgkmcnt(0)
	v_mul_f64 v[133:134], v[217:218], v[135:136]
	v_fma_f64 v[133:134], v[215:216], v[213:214], -v[133:134]
	v_mul_f64 v[215:216], v[215:216], v[135:136]
	v_add_f64 v[49:50], v[49:50], -v[133:134]
	v_fma_f64 v[215:216], v[217:218], v[213:214], v[215:216]
	v_add_f64 v[51:52], v[51:52], -v[215:216]
	ds_read2_b64 v[215:218], v253 offset0:86 offset1:87
	s_waitcnt lgkmcnt(0)
	v_mul_f64 v[133:134], v[217:218], v[135:136]
	v_fma_f64 v[133:134], v[215:216], v[213:214], -v[133:134]
	v_mul_f64 v[215:216], v[215:216], v[135:136]
	v_add_f64 v[45:46], v[45:46], -v[133:134]
	v_fma_f64 v[215:216], v[217:218], v[213:214], v[215:216]
	v_add_f64 v[47:48], v[47:48], -v[215:216]
	ds_read2_b64 v[215:218], v253 offset0:88 offset1:89
	s_waitcnt lgkmcnt(0)
	v_mul_f64 v[133:134], v[217:218], v[135:136]
	v_fma_f64 v[133:134], v[215:216], v[213:214], -v[133:134]
	v_mul_f64 v[215:216], v[215:216], v[135:136]
	v_add_f64 v[41:42], v[41:42], -v[133:134]
	v_fma_f64 v[215:216], v[217:218], v[213:214], v[215:216]
	v_add_f64 v[43:44], v[43:44], -v[215:216]
	ds_read2_b64 v[215:218], v253 offset0:90 offset1:91
	s_waitcnt lgkmcnt(0)
	v_mul_f64 v[133:134], v[217:218], v[135:136]
	v_fma_f64 v[133:134], v[215:216], v[213:214], -v[133:134]
	v_mul_f64 v[215:216], v[215:216], v[135:136]
	v_add_f64 v[37:38], v[37:38], -v[133:134]
	v_fma_f64 v[215:216], v[217:218], v[213:214], v[215:216]
	v_add_f64 v[39:40], v[39:40], -v[215:216]
	ds_read2_b64 v[215:218], v253 offset0:92 offset1:93
	s_waitcnt lgkmcnt(0)
	v_mul_f64 v[133:134], v[217:218], v[135:136]
	v_fma_f64 v[133:134], v[215:216], v[213:214], -v[133:134]
	v_mul_f64 v[215:216], v[215:216], v[135:136]
	v_add_f64 v[33:34], v[33:34], -v[133:134]
	v_fma_f64 v[215:216], v[217:218], v[213:214], v[215:216]
	v_add_f64 v[35:36], v[35:36], -v[215:216]
	ds_read2_b64 v[215:218], v253 offset0:94 offset1:95
	s_waitcnt lgkmcnt(0)
	v_mul_f64 v[133:134], v[217:218], v[135:136]
	v_fma_f64 v[133:134], v[215:216], v[213:214], -v[133:134]
	v_mul_f64 v[215:216], v[215:216], v[135:136]
	v_add_f64 v[29:30], v[29:30], -v[133:134]
	v_fma_f64 v[215:216], v[217:218], v[213:214], v[215:216]
	v_add_f64 v[31:32], v[31:32], -v[215:216]
	ds_read2_b64 v[215:218], v253 offset0:96 offset1:97
	s_waitcnt lgkmcnt(0)
	v_mul_f64 v[133:134], v[217:218], v[135:136]
	v_fma_f64 v[133:134], v[215:216], v[213:214], -v[133:134]
	v_mul_f64 v[215:216], v[215:216], v[135:136]
	v_add_f64 v[25:26], v[25:26], -v[133:134]
	v_fma_f64 v[215:216], v[217:218], v[213:214], v[215:216]
	v_add_f64 v[27:28], v[27:28], -v[215:216]
	ds_read2_b64 v[215:218], v253 offset0:98 offset1:99
	s_waitcnt lgkmcnt(0)
	v_mul_f64 v[133:134], v[217:218], v[135:136]
	v_fma_f64 v[133:134], v[215:216], v[213:214], -v[133:134]
	v_mul_f64 v[215:216], v[215:216], v[135:136]
	v_add_f64 v[21:22], v[21:22], -v[133:134]
	v_fma_f64 v[215:216], v[217:218], v[213:214], v[215:216]
	v_add_f64 v[23:24], v[23:24], -v[215:216]
	ds_read2_b64 v[215:218], v253 offset0:100 offset1:101
	s_waitcnt lgkmcnt(0)
	v_mul_f64 v[133:134], v[217:218], v[135:136]
	v_fma_f64 v[133:134], v[215:216], v[213:214], -v[133:134]
	v_mul_f64 v[215:216], v[215:216], v[135:136]
	v_add_f64 v[17:18], v[17:18], -v[133:134]
	v_fma_f64 v[215:216], v[217:218], v[213:214], v[215:216]
	v_add_f64 v[19:20], v[19:20], -v[215:216]
	ds_read2_b64 v[215:218], v253 offset0:102 offset1:103
	s_waitcnt lgkmcnt(0)
	v_mul_f64 v[133:134], v[217:218], v[135:136]
	v_fma_f64 v[133:134], v[215:216], v[213:214], -v[133:134]
	v_mul_f64 v[215:216], v[215:216], v[135:136]
	v_add_f64 v[13:14], v[13:14], -v[133:134]
	v_fma_f64 v[215:216], v[217:218], v[213:214], v[215:216]
	v_add_f64 v[15:16], v[15:16], -v[215:216]
	ds_read2_b64 v[215:218], v253 offset0:104 offset1:105
	s_waitcnt lgkmcnt(0)
	v_mul_f64 v[133:134], v[217:218], v[135:136]
	v_fma_f64 v[133:134], v[215:216], v[213:214], -v[133:134]
	v_mul_f64 v[215:216], v[215:216], v[135:136]
	v_add_f64 v[9:10], v[9:10], -v[133:134]
	v_fma_f64 v[215:216], v[217:218], v[213:214], v[215:216]
	v_add_f64 v[11:12], v[11:12], -v[215:216]
	ds_read2_b64 v[215:218], v253 offset0:106 offset1:107
	s_waitcnt lgkmcnt(0)
	v_mul_f64 v[133:134], v[217:218], v[135:136]
	v_fma_f64 v[133:134], v[215:216], v[213:214], -v[133:134]
	v_mul_f64 v[215:216], v[215:216], v[135:136]
	v_add_f64 v[5:6], v[5:6], -v[133:134]
	v_fma_f64 v[215:216], v[217:218], v[213:214], v[215:216]
	v_add_f64 v[7:8], v[7:8], -v[215:216]
	ds_read2_b64 v[215:218], v253 offset0:108 offset1:109
	s_waitcnt lgkmcnt(0)
	v_mul_f64 v[133:134], v[217:218], v[135:136]
	v_fma_f64 v[133:134], v[215:216], v[213:214], -v[133:134]
	v_mul_f64 v[215:216], v[215:216], v[135:136]
	v_add_f64 v[1:2], v[1:2], -v[133:134]
	v_fma_f64 v[215:216], v[217:218], v[213:214], v[215:216]
	v_mov_b32_e32 v133, v213
	v_mov_b32_e32 v134, v214
	v_add_f64 v[3:4], v[3:4], -v[215:216]
.LBB109_199:
	s_or_b32 exec_lo, exec_lo, s1
	s_mov_b32 s2, exec_lo
	s_waitcnt_vscnt null, 0x0
	s_barrier
	buffer_gl0_inv
	v_cmpx_eq_u32_e32 22, v0
	s_cbranch_execz .LBB109_206
; %bb.200:
	ds_write2_b64 v255, v[129:130], v[131:132] offset1:1
	ds_write2_b64 v253, v[125:126], v[127:128] offset0:46 offset1:47
	ds_write2_b64 v253, v[121:122], v[123:124] offset0:48 offset1:49
	;; [unrolled: 1-line block ×32, first 2 shown]
	ds_read2_b64 v[213:216], v255 offset1:1
	s_waitcnt lgkmcnt(0)
	v_cmp_neq_f64_e32 vcc_lo, 0, v[213:214]
	v_cmp_neq_f64_e64 s1, 0, v[215:216]
	s_or_b32 s1, vcc_lo, s1
	s_and_b32 exec_lo, exec_lo, s1
	s_cbranch_execz .LBB109_206
; %bb.201:
	v_cmp_ngt_f64_e64 s1, |v[213:214]|, |v[215:216]|
                                        ; implicit-def: $vgpr217_vgpr218
	s_and_saveexec_b32 s3, s1
	s_xor_b32 s1, exec_lo, s3
                                        ; implicit-def: $vgpr219_vgpr220
	s_cbranch_execz .LBB109_203
; %bb.202:
	v_div_scale_f64 v[217:218], null, v[215:216], v[215:216], v[213:214]
	v_div_scale_f64 v[223:224], vcc_lo, v[213:214], v[215:216], v[213:214]
	v_rcp_f64_e32 v[219:220], v[217:218]
	v_fma_f64 v[221:222], -v[217:218], v[219:220], 1.0
	v_fma_f64 v[219:220], v[219:220], v[221:222], v[219:220]
	v_fma_f64 v[221:222], -v[217:218], v[219:220], 1.0
	v_fma_f64 v[219:220], v[219:220], v[221:222], v[219:220]
	v_mul_f64 v[221:222], v[223:224], v[219:220]
	v_fma_f64 v[217:218], -v[217:218], v[221:222], v[223:224]
	v_div_fmas_f64 v[217:218], v[217:218], v[219:220], v[221:222]
	v_div_fixup_f64 v[217:218], v[217:218], v[215:216], v[213:214]
	v_fma_f64 v[213:214], v[213:214], v[217:218], v[215:216]
	v_div_scale_f64 v[215:216], null, v[213:214], v[213:214], 1.0
	v_rcp_f64_e32 v[219:220], v[215:216]
	v_fma_f64 v[221:222], -v[215:216], v[219:220], 1.0
	v_fma_f64 v[219:220], v[219:220], v[221:222], v[219:220]
	v_fma_f64 v[221:222], -v[215:216], v[219:220], 1.0
	v_fma_f64 v[219:220], v[219:220], v[221:222], v[219:220]
	v_div_scale_f64 v[221:222], vcc_lo, 1.0, v[213:214], 1.0
	v_mul_f64 v[223:224], v[221:222], v[219:220]
	v_fma_f64 v[215:216], -v[215:216], v[223:224], v[221:222]
	v_div_fmas_f64 v[215:216], v[215:216], v[219:220], v[223:224]
	v_div_fixup_f64 v[219:220], v[215:216], v[213:214], 1.0
                                        ; implicit-def: $vgpr213_vgpr214
	v_mul_f64 v[217:218], v[217:218], v[219:220]
	v_xor_b32_e32 v220, 0x80000000, v220
.LBB109_203:
	s_andn2_saveexec_b32 s1, s1
	s_cbranch_execz .LBB109_205
; %bb.204:
	v_div_scale_f64 v[217:218], null, v[213:214], v[213:214], v[215:216]
	v_div_scale_f64 v[223:224], vcc_lo, v[215:216], v[213:214], v[215:216]
	v_rcp_f64_e32 v[219:220], v[217:218]
	v_fma_f64 v[221:222], -v[217:218], v[219:220], 1.0
	v_fma_f64 v[219:220], v[219:220], v[221:222], v[219:220]
	v_fma_f64 v[221:222], -v[217:218], v[219:220], 1.0
	v_fma_f64 v[219:220], v[219:220], v[221:222], v[219:220]
	v_mul_f64 v[221:222], v[223:224], v[219:220]
	v_fma_f64 v[217:218], -v[217:218], v[221:222], v[223:224]
	v_div_fmas_f64 v[217:218], v[217:218], v[219:220], v[221:222]
	v_div_fixup_f64 v[219:220], v[217:218], v[213:214], v[215:216]
	v_fma_f64 v[213:214], v[215:216], v[219:220], v[213:214]
	v_div_scale_f64 v[215:216], null, v[213:214], v[213:214], 1.0
	v_rcp_f64_e32 v[217:218], v[215:216]
	v_fma_f64 v[221:222], -v[215:216], v[217:218], 1.0
	v_fma_f64 v[217:218], v[217:218], v[221:222], v[217:218]
	v_fma_f64 v[221:222], -v[215:216], v[217:218], 1.0
	v_fma_f64 v[217:218], v[217:218], v[221:222], v[217:218]
	v_div_scale_f64 v[221:222], vcc_lo, 1.0, v[213:214], 1.0
	v_mul_f64 v[223:224], v[221:222], v[217:218]
	v_fma_f64 v[215:216], -v[215:216], v[223:224], v[221:222]
	v_div_fmas_f64 v[215:216], v[215:216], v[217:218], v[223:224]
	v_div_fixup_f64 v[217:218], v[215:216], v[213:214], 1.0
	v_mul_f64 v[219:220], v[219:220], -v[217:218]
.LBB109_205:
	s_or_b32 exec_lo, exec_lo, s1
	ds_write2_b64 v255, v[217:218], v[219:220] offset1:1
.LBB109_206:
	s_or_b32 exec_lo, exec_lo, s2
	s_waitcnt lgkmcnt(0)
	s_barrier
	buffer_gl0_inv
	ds_read2_b64 v[213:216], v255 offset1:1
	s_mov_b32 s1, exec_lo
	s_waitcnt lgkmcnt(0)
	buffer_store_dword v213, off, s[16:19], 0 offset:808 ; 4-byte Folded Spill
	buffer_store_dword v214, off, s[16:19], 0 offset:812 ; 4-byte Folded Spill
	;; [unrolled: 1-line block ×4, first 2 shown]
	v_cmpx_lt_u32_e32 22, v0
	s_cbranch_execz .LBB109_208
; %bb.207:
	s_clause 0x3
	buffer_load_dword v215, off, s[16:19], 0 offset:808
	buffer_load_dword v216, off, s[16:19], 0 offset:812
	;; [unrolled: 1-line block ×4, first 2 shown]
	s_waitcnt vmcnt(0)
	v_mul_f64 v[213:214], v[217:218], v[131:132]
	v_mul_f64 v[131:132], v[215:216], v[131:132]
	v_fma_f64 v[213:214], v[215:216], v[129:130], -v[213:214]
	v_fma_f64 v[131:132], v[217:218], v[129:130], v[131:132]
	ds_read2_b64 v[215:218], v253 offset0:46 offset1:47
	s_waitcnt lgkmcnt(0)
	v_mul_f64 v[129:130], v[217:218], v[131:132]
	v_fma_f64 v[129:130], v[215:216], v[213:214], -v[129:130]
	v_mul_f64 v[215:216], v[215:216], v[131:132]
	v_add_f64 v[125:126], v[125:126], -v[129:130]
	v_fma_f64 v[215:216], v[217:218], v[213:214], v[215:216]
	v_add_f64 v[127:128], v[127:128], -v[215:216]
	ds_read2_b64 v[215:218], v253 offset0:48 offset1:49
	s_waitcnt lgkmcnt(0)
	v_mul_f64 v[129:130], v[217:218], v[131:132]
	v_fma_f64 v[129:130], v[215:216], v[213:214], -v[129:130]
	v_mul_f64 v[215:216], v[215:216], v[131:132]
	v_add_f64 v[121:122], v[121:122], -v[129:130]
	v_fma_f64 v[215:216], v[217:218], v[213:214], v[215:216]
	v_add_f64 v[123:124], v[123:124], -v[215:216]
	;; [unrolled: 8-line block ×31, first 2 shown]
	ds_read2_b64 v[215:218], v253 offset0:108 offset1:109
	s_waitcnt lgkmcnt(0)
	v_mul_f64 v[129:130], v[217:218], v[131:132]
	v_fma_f64 v[129:130], v[215:216], v[213:214], -v[129:130]
	v_mul_f64 v[215:216], v[215:216], v[131:132]
	v_add_f64 v[1:2], v[1:2], -v[129:130]
	v_fma_f64 v[215:216], v[217:218], v[213:214], v[215:216]
	v_mov_b32_e32 v129, v213
	v_mov_b32_e32 v130, v214
	v_add_f64 v[3:4], v[3:4], -v[215:216]
.LBB109_208:
	s_or_b32 exec_lo, exec_lo, s1
	s_mov_b32 s2, exec_lo
	s_waitcnt_vscnt null, 0x0
	s_barrier
	buffer_gl0_inv
	v_cmpx_eq_u32_e32 23, v0
	s_cbranch_execz .LBB109_215
; %bb.209:
	ds_write2_b64 v255, v[125:126], v[127:128] offset1:1
	ds_write2_b64 v253, v[121:122], v[123:124] offset0:48 offset1:49
	ds_write2_b64 v253, v[117:118], v[119:120] offset0:50 offset1:51
	;; [unrolled: 1-line block ×31, first 2 shown]
	ds_read2_b64 v[213:216], v255 offset1:1
	s_waitcnt lgkmcnt(0)
	v_cmp_neq_f64_e32 vcc_lo, 0, v[213:214]
	v_cmp_neq_f64_e64 s1, 0, v[215:216]
	s_or_b32 s1, vcc_lo, s1
	s_and_b32 exec_lo, exec_lo, s1
	s_cbranch_execz .LBB109_215
; %bb.210:
	v_cmp_ngt_f64_e64 s1, |v[213:214]|, |v[215:216]|
                                        ; implicit-def: $vgpr217_vgpr218
	s_and_saveexec_b32 s3, s1
	s_xor_b32 s1, exec_lo, s3
                                        ; implicit-def: $vgpr219_vgpr220
	s_cbranch_execz .LBB109_212
; %bb.211:
	v_div_scale_f64 v[217:218], null, v[215:216], v[215:216], v[213:214]
	v_div_scale_f64 v[223:224], vcc_lo, v[213:214], v[215:216], v[213:214]
	v_rcp_f64_e32 v[219:220], v[217:218]
	v_fma_f64 v[221:222], -v[217:218], v[219:220], 1.0
	v_fma_f64 v[219:220], v[219:220], v[221:222], v[219:220]
	v_fma_f64 v[221:222], -v[217:218], v[219:220], 1.0
	v_fma_f64 v[219:220], v[219:220], v[221:222], v[219:220]
	v_mul_f64 v[221:222], v[223:224], v[219:220]
	v_fma_f64 v[217:218], -v[217:218], v[221:222], v[223:224]
	v_div_fmas_f64 v[217:218], v[217:218], v[219:220], v[221:222]
	v_div_fixup_f64 v[217:218], v[217:218], v[215:216], v[213:214]
	v_fma_f64 v[213:214], v[213:214], v[217:218], v[215:216]
	v_div_scale_f64 v[215:216], null, v[213:214], v[213:214], 1.0
	v_rcp_f64_e32 v[219:220], v[215:216]
	v_fma_f64 v[221:222], -v[215:216], v[219:220], 1.0
	v_fma_f64 v[219:220], v[219:220], v[221:222], v[219:220]
	v_fma_f64 v[221:222], -v[215:216], v[219:220], 1.0
	v_fma_f64 v[219:220], v[219:220], v[221:222], v[219:220]
	v_div_scale_f64 v[221:222], vcc_lo, 1.0, v[213:214], 1.0
	v_mul_f64 v[223:224], v[221:222], v[219:220]
	v_fma_f64 v[215:216], -v[215:216], v[223:224], v[221:222]
	v_div_fmas_f64 v[215:216], v[215:216], v[219:220], v[223:224]
	v_div_fixup_f64 v[219:220], v[215:216], v[213:214], 1.0
                                        ; implicit-def: $vgpr213_vgpr214
	v_mul_f64 v[217:218], v[217:218], v[219:220]
	v_xor_b32_e32 v220, 0x80000000, v220
.LBB109_212:
	s_andn2_saveexec_b32 s1, s1
	s_cbranch_execz .LBB109_214
; %bb.213:
	v_div_scale_f64 v[217:218], null, v[213:214], v[213:214], v[215:216]
	v_div_scale_f64 v[223:224], vcc_lo, v[215:216], v[213:214], v[215:216]
	v_rcp_f64_e32 v[219:220], v[217:218]
	v_fma_f64 v[221:222], -v[217:218], v[219:220], 1.0
	v_fma_f64 v[219:220], v[219:220], v[221:222], v[219:220]
	v_fma_f64 v[221:222], -v[217:218], v[219:220], 1.0
	v_fma_f64 v[219:220], v[219:220], v[221:222], v[219:220]
	v_mul_f64 v[221:222], v[223:224], v[219:220]
	v_fma_f64 v[217:218], -v[217:218], v[221:222], v[223:224]
	v_div_fmas_f64 v[217:218], v[217:218], v[219:220], v[221:222]
	v_div_fixup_f64 v[219:220], v[217:218], v[213:214], v[215:216]
	v_fma_f64 v[213:214], v[215:216], v[219:220], v[213:214]
	v_div_scale_f64 v[215:216], null, v[213:214], v[213:214], 1.0
	v_rcp_f64_e32 v[217:218], v[215:216]
	v_fma_f64 v[221:222], -v[215:216], v[217:218], 1.0
	v_fma_f64 v[217:218], v[217:218], v[221:222], v[217:218]
	v_fma_f64 v[221:222], -v[215:216], v[217:218], 1.0
	v_fma_f64 v[217:218], v[217:218], v[221:222], v[217:218]
	v_div_scale_f64 v[221:222], vcc_lo, 1.0, v[213:214], 1.0
	v_mul_f64 v[223:224], v[221:222], v[217:218]
	v_fma_f64 v[215:216], -v[215:216], v[223:224], v[221:222]
	v_div_fmas_f64 v[215:216], v[215:216], v[217:218], v[223:224]
	v_div_fixup_f64 v[217:218], v[215:216], v[213:214], 1.0
	v_mul_f64 v[219:220], v[219:220], -v[217:218]
.LBB109_214:
	s_or_b32 exec_lo, exec_lo, s1
	ds_write2_b64 v255, v[217:218], v[219:220] offset1:1
.LBB109_215:
	s_or_b32 exec_lo, exec_lo, s2
	s_waitcnt lgkmcnt(0)
	s_barrier
	buffer_gl0_inv
	ds_read2_b64 v[213:216], v255 offset1:1
	s_mov_b32 s1, exec_lo
	s_waitcnt lgkmcnt(0)
	buffer_store_dword v213, off, s[16:19], 0 offset:824 ; 4-byte Folded Spill
	buffer_store_dword v214, off, s[16:19], 0 offset:828 ; 4-byte Folded Spill
	;; [unrolled: 1-line block ×4, first 2 shown]
	v_cmpx_lt_u32_e32 23, v0
	s_cbranch_execz .LBB109_217
; %bb.216:
	s_clause 0x3
	buffer_load_dword v215, off, s[16:19], 0 offset:824
	buffer_load_dword v216, off, s[16:19], 0 offset:828
	;; [unrolled: 1-line block ×4, first 2 shown]
	s_waitcnt vmcnt(0)
	v_mul_f64 v[213:214], v[217:218], v[127:128]
	v_mul_f64 v[127:128], v[215:216], v[127:128]
	v_fma_f64 v[213:214], v[215:216], v[125:126], -v[213:214]
	v_fma_f64 v[127:128], v[217:218], v[125:126], v[127:128]
	ds_read2_b64 v[215:218], v253 offset0:48 offset1:49
	s_waitcnt lgkmcnt(0)
	v_mul_f64 v[125:126], v[217:218], v[127:128]
	v_fma_f64 v[125:126], v[215:216], v[213:214], -v[125:126]
	v_mul_f64 v[215:216], v[215:216], v[127:128]
	v_add_f64 v[121:122], v[121:122], -v[125:126]
	v_fma_f64 v[215:216], v[217:218], v[213:214], v[215:216]
	v_add_f64 v[123:124], v[123:124], -v[215:216]
	ds_read2_b64 v[215:218], v253 offset0:50 offset1:51
	s_waitcnt lgkmcnt(0)
	v_mul_f64 v[125:126], v[217:218], v[127:128]
	v_fma_f64 v[125:126], v[215:216], v[213:214], -v[125:126]
	v_mul_f64 v[215:216], v[215:216], v[127:128]
	v_add_f64 v[117:118], v[117:118], -v[125:126]
	v_fma_f64 v[215:216], v[217:218], v[213:214], v[215:216]
	v_add_f64 v[119:120], v[119:120], -v[215:216]
	;; [unrolled: 8-line block ×30, first 2 shown]
	ds_read2_b64 v[215:218], v253 offset0:108 offset1:109
	s_waitcnt lgkmcnt(0)
	v_mul_f64 v[125:126], v[217:218], v[127:128]
	v_fma_f64 v[125:126], v[215:216], v[213:214], -v[125:126]
	v_mul_f64 v[215:216], v[215:216], v[127:128]
	v_add_f64 v[1:2], v[1:2], -v[125:126]
	v_fma_f64 v[215:216], v[217:218], v[213:214], v[215:216]
	v_mov_b32_e32 v125, v213
	v_mov_b32_e32 v126, v214
	v_add_f64 v[3:4], v[3:4], -v[215:216]
.LBB109_217:
	s_or_b32 exec_lo, exec_lo, s1
	s_mov_b32 s2, exec_lo
	s_waitcnt_vscnt null, 0x0
	s_barrier
	buffer_gl0_inv
	v_cmpx_eq_u32_e32 24, v0
	s_cbranch_execz .LBB109_224
; %bb.218:
	ds_write2_b64 v255, v[121:122], v[123:124] offset1:1
	ds_write2_b64 v253, v[117:118], v[119:120] offset0:50 offset1:51
	ds_write2_b64 v253, v[113:114], v[115:116] offset0:52 offset1:53
	;; [unrolled: 1-line block ×30, first 2 shown]
	ds_read2_b64 v[213:216], v255 offset1:1
	s_waitcnt lgkmcnt(0)
	v_cmp_neq_f64_e32 vcc_lo, 0, v[213:214]
	v_cmp_neq_f64_e64 s1, 0, v[215:216]
	s_or_b32 s1, vcc_lo, s1
	s_and_b32 exec_lo, exec_lo, s1
	s_cbranch_execz .LBB109_224
; %bb.219:
	v_cmp_ngt_f64_e64 s1, |v[213:214]|, |v[215:216]|
                                        ; implicit-def: $vgpr217_vgpr218
	s_and_saveexec_b32 s3, s1
	s_xor_b32 s1, exec_lo, s3
                                        ; implicit-def: $vgpr219_vgpr220
	s_cbranch_execz .LBB109_221
; %bb.220:
	v_div_scale_f64 v[217:218], null, v[215:216], v[215:216], v[213:214]
	v_div_scale_f64 v[223:224], vcc_lo, v[213:214], v[215:216], v[213:214]
	v_rcp_f64_e32 v[219:220], v[217:218]
	v_fma_f64 v[221:222], -v[217:218], v[219:220], 1.0
	v_fma_f64 v[219:220], v[219:220], v[221:222], v[219:220]
	v_fma_f64 v[221:222], -v[217:218], v[219:220], 1.0
	v_fma_f64 v[219:220], v[219:220], v[221:222], v[219:220]
	v_mul_f64 v[221:222], v[223:224], v[219:220]
	v_fma_f64 v[217:218], -v[217:218], v[221:222], v[223:224]
	v_div_fmas_f64 v[217:218], v[217:218], v[219:220], v[221:222]
	v_div_fixup_f64 v[217:218], v[217:218], v[215:216], v[213:214]
	v_fma_f64 v[213:214], v[213:214], v[217:218], v[215:216]
	v_div_scale_f64 v[215:216], null, v[213:214], v[213:214], 1.0
	v_rcp_f64_e32 v[219:220], v[215:216]
	v_fma_f64 v[221:222], -v[215:216], v[219:220], 1.0
	v_fma_f64 v[219:220], v[219:220], v[221:222], v[219:220]
	v_fma_f64 v[221:222], -v[215:216], v[219:220], 1.0
	v_fma_f64 v[219:220], v[219:220], v[221:222], v[219:220]
	v_div_scale_f64 v[221:222], vcc_lo, 1.0, v[213:214], 1.0
	v_mul_f64 v[223:224], v[221:222], v[219:220]
	v_fma_f64 v[215:216], -v[215:216], v[223:224], v[221:222]
	v_div_fmas_f64 v[215:216], v[215:216], v[219:220], v[223:224]
	v_div_fixup_f64 v[219:220], v[215:216], v[213:214], 1.0
                                        ; implicit-def: $vgpr213_vgpr214
	v_mul_f64 v[217:218], v[217:218], v[219:220]
	v_xor_b32_e32 v220, 0x80000000, v220
.LBB109_221:
	s_andn2_saveexec_b32 s1, s1
	s_cbranch_execz .LBB109_223
; %bb.222:
	v_div_scale_f64 v[217:218], null, v[213:214], v[213:214], v[215:216]
	v_div_scale_f64 v[223:224], vcc_lo, v[215:216], v[213:214], v[215:216]
	v_rcp_f64_e32 v[219:220], v[217:218]
	v_fma_f64 v[221:222], -v[217:218], v[219:220], 1.0
	v_fma_f64 v[219:220], v[219:220], v[221:222], v[219:220]
	v_fma_f64 v[221:222], -v[217:218], v[219:220], 1.0
	v_fma_f64 v[219:220], v[219:220], v[221:222], v[219:220]
	v_mul_f64 v[221:222], v[223:224], v[219:220]
	v_fma_f64 v[217:218], -v[217:218], v[221:222], v[223:224]
	v_div_fmas_f64 v[217:218], v[217:218], v[219:220], v[221:222]
	v_div_fixup_f64 v[219:220], v[217:218], v[213:214], v[215:216]
	v_fma_f64 v[213:214], v[215:216], v[219:220], v[213:214]
	v_div_scale_f64 v[215:216], null, v[213:214], v[213:214], 1.0
	v_rcp_f64_e32 v[217:218], v[215:216]
	v_fma_f64 v[221:222], -v[215:216], v[217:218], 1.0
	v_fma_f64 v[217:218], v[217:218], v[221:222], v[217:218]
	v_fma_f64 v[221:222], -v[215:216], v[217:218], 1.0
	v_fma_f64 v[217:218], v[217:218], v[221:222], v[217:218]
	v_div_scale_f64 v[221:222], vcc_lo, 1.0, v[213:214], 1.0
	v_mul_f64 v[223:224], v[221:222], v[217:218]
	v_fma_f64 v[215:216], -v[215:216], v[223:224], v[221:222]
	v_div_fmas_f64 v[215:216], v[215:216], v[217:218], v[223:224]
	v_div_fixup_f64 v[217:218], v[215:216], v[213:214], 1.0
	v_mul_f64 v[219:220], v[219:220], -v[217:218]
.LBB109_223:
	s_or_b32 exec_lo, exec_lo, s1
	ds_write2_b64 v255, v[217:218], v[219:220] offset1:1
.LBB109_224:
	s_or_b32 exec_lo, exec_lo, s2
	s_waitcnt lgkmcnt(0)
	s_barrier
	buffer_gl0_inv
	ds_read2_b64 v[213:216], v255 offset1:1
	s_mov_b32 s1, exec_lo
	s_waitcnt lgkmcnt(0)
	buffer_store_dword v213, off, s[16:19], 0 offset:840 ; 4-byte Folded Spill
	buffer_store_dword v214, off, s[16:19], 0 offset:844 ; 4-byte Folded Spill
	;; [unrolled: 1-line block ×4, first 2 shown]
	v_cmpx_lt_u32_e32 24, v0
	s_cbranch_execz .LBB109_226
; %bb.225:
	s_clause 0x3
	buffer_load_dword v215, off, s[16:19], 0 offset:840
	buffer_load_dword v216, off, s[16:19], 0 offset:844
	;; [unrolled: 1-line block ×4, first 2 shown]
	s_waitcnt vmcnt(0)
	v_mul_f64 v[213:214], v[217:218], v[123:124]
	v_mul_f64 v[123:124], v[215:216], v[123:124]
	v_fma_f64 v[213:214], v[215:216], v[121:122], -v[213:214]
	v_fma_f64 v[123:124], v[217:218], v[121:122], v[123:124]
	ds_read2_b64 v[215:218], v253 offset0:50 offset1:51
	s_waitcnt lgkmcnt(0)
	v_mul_f64 v[121:122], v[217:218], v[123:124]
	v_fma_f64 v[121:122], v[215:216], v[213:214], -v[121:122]
	v_mul_f64 v[215:216], v[215:216], v[123:124]
	v_add_f64 v[117:118], v[117:118], -v[121:122]
	v_fma_f64 v[215:216], v[217:218], v[213:214], v[215:216]
	v_add_f64 v[119:120], v[119:120], -v[215:216]
	ds_read2_b64 v[215:218], v253 offset0:52 offset1:53
	s_waitcnt lgkmcnt(0)
	v_mul_f64 v[121:122], v[217:218], v[123:124]
	v_fma_f64 v[121:122], v[215:216], v[213:214], -v[121:122]
	v_mul_f64 v[215:216], v[215:216], v[123:124]
	v_add_f64 v[113:114], v[113:114], -v[121:122]
	v_fma_f64 v[215:216], v[217:218], v[213:214], v[215:216]
	v_add_f64 v[115:116], v[115:116], -v[215:216]
	;; [unrolled: 8-line block ×29, first 2 shown]
	ds_read2_b64 v[215:218], v253 offset0:108 offset1:109
	s_waitcnt lgkmcnt(0)
	v_mul_f64 v[121:122], v[217:218], v[123:124]
	v_fma_f64 v[121:122], v[215:216], v[213:214], -v[121:122]
	v_mul_f64 v[215:216], v[215:216], v[123:124]
	v_add_f64 v[1:2], v[1:2], -v[121:122]
	v_fma_f64 v[215:216], v[217:218], v[213:214], v[215:216]
	v_mov_b32_e32 v121, v213
	v_mov_b32_e32 v122, v214
	v_add_f64 v[3:4], v[3:4], -v[215:216]
.LBB109_226:
	s_or_b32 exec_lo, exec_lo, s1
	s_mov_b32 s2, exec_lo
	s_waitcnt_vscnt null, 0x0
	s_barrier
	buffer_gl0_inv
	v_cmpx_eq_u32_e32 25, v0
	s_cbranch_execz .LBB109_233
; %bb.227:
	ds_write2_b64 v255, v[117:118], v[119:120] offset1:1
	ds_write2_b64 v253, v[113:114], v[115:116] offset0:52 offset1:53
	ds_write2_b64 v253, v[109:110], v[111:112] offset0:54 offset1:55
	;; [unrolled: 1-line block ×29, first 2 shown]
	ds_read2_b64 v[213:216], v255 offset1:1
	s_waitcnt lgkmcnt(0)
	v_cmp_neq_f64_e32 vcc_lo, 0, v[213:214]
	v_cmp_neq_f64_e64 s1, 0, v[215:216]
	s_or_b32 s1, vcc_lo, s1
	s_and_b32 exec_lo, exec_lo, s1
	s_cbranch_execz .LBB109_233
; %bb.228:
	v_cmp_ngt_f64_e64 s1, |v[213:214]|, |v[215:216]|
                                        ; implicit-def: $vgpr217_vgpr218
	s_and_saveexec_b32 s3, s1
	s_xor_b32 s1, exec_lo, s3
                                        ; implicit-def: $vgpr219_vgpr220
	s_cbranch_execz .LBB109_230
; %bb.229:
	v_div_scale_f64 v[217:218], null, v[215:216], v[215:216], v[213:214]
	v_div_scale_f64 v[223:224], vcc_lo, v[213:214], v[215:216], v[213:214]
	v_rcp_f64_e32 v[219:220], v[217:218]
	v_fma_f64 v[221:222], -v[217:218], v[219:220], 1.0
	v_fma_f64 v[219:220], v[219:220], v[221:222], v[219:220]
	v_fma_f64 v[221:222], -v[217:218], v[219:220], 1.0
	v_fma_f64 v[219:220], v[219:220], v[221:222], v[219:220]
	v_mul_f64 v[221:222], v[223:224], v[219:220]
	v_fma_f64 v[217:218], -v[217:218], v[221:222], v[223:224]
	v_div_fmas_f64 v[217:218], v[217:218], v[219:220], v[221:222]
	v_div_fixup_f64 v[217:218], v[217:218], v[215:216], v[213:214]
	v_fma_f64 v[213:214], v[213:214], v[217:218], v[215:216]
	v_div_scale_f64 v[215:216], null, v[213:214], v[213:214], 1.0
	v_rcp_f64_e32 v[219:220], v[215:216]
	v_fma_f64 v[221:222], -v[215:216], v[219:220], 1.0
	v_fma_f64 v[219:220], v[219:220], v[221:222], v[219:220]
	v_fma_f64 v[221:222], -v[215:216], v[219:220], 1.0
	v_fma_f64 v[219:220], v[219:220], v[221:222], v[219:220]
	v_div_scale_f64 v[221:222], vcc_lo, 1.0, v[213:214], 1.0
	v_mul_f64 v[223:224], v[221:222], v[219:220]
	v_fma_f64 v[215:216], -v[215:216], v[223:224], v[221:222]
	v_div_fmas_f64 v[215:216], v[215:216], v[219:220], v[223:224]
	v_div_fixup_f64 v[219:220], v[215:216], v[213:214], 1.0
                                        ; implicit-def: $vgpr213_vgpr214
	v_mul_f64 v[217:218], v[217:218], v[219:220]
	v_xor_b32_e32 v220, 0x80000000, v220
.LBB109_230:
	s_andn2_saveexec_b32 s1, s1
	s_cbranch_execz .LBB109_232
; %bb.231:
	v_div_scale_f64 v[217:218], null, v[213:214], v[213:214], v[215:216]
	v_div_scale_f64 v[223:224], vcc_lo, v[215:216], v[213:214], v[215:216]
	v_rcp_f64_e32 v[219:220], v[217:218]
	v_fma_f64 v[221:222], -v[217:218], v[219:220], 1.0
	v_fma_f64 v[219:220], v[219:220], v[221:222], v[219:220]
	v_fma_f64 v[221:222], -v[217:218], v[219:220], 1.0
	v_fma_f64 v[219:220], v[219:220], v[221:222], v[219:220]
	v_mul_f64 v[221:222], v[223:224], v[219:220]
	v_fma_f64 v[217:218], -v[217:218], v[221:222], v[223:224]
	v_div_fmas_f64 v[217:218], v[217:218], v[219:220], v[221:222]
	v_div_fixup_f64 v[219:220], v[217:218], v[213:214], v[215:216]
	v_fma_f64 v[213:214], v[215:216], v[219:220], v[213:214]
	v_div_scale_f64 v[215:216], null, v[213:214], v[213:214], 1.0
	v_rcp_f64_e32 v[217:218], v[215:216]
	v_fma_f64 v[221:222], -v[215:216], v[217:218], 1.0
	v_fma_f64 v[217:218], v[217:218], v[221:222], v[217:218]
	v_fma_f64 v[221:222], -v[215:216], v[217:218], 1.0
	v_fma_f64 v[217:218], v[217:218], v[221:222], v[217:218]
	v_div_scale_f64 v[221:222], vcc_lo, 1.0, v[213:214], 1.0
	v_mul_f64 v[223:224], v[221:222], v[217:218]
	v_fma_f64 v[215:216], -v[215:216], v[223:224], v[221:222]
	v_div_fmas_f64 v[215:216], v[215:216], v[217:218], v[223:224]
	v_div_fixup_f64 v[217:218], v[215:216], v[213:214], 1.0
	v_mul_f64 v[219:220], v[219:220], -v[217:218]
.LBB109_232:
	s_or_b32 exec_lo, exec_lo, s1
	ds_write2_b64 v255, v[217:218], v[219:220] offset1:1
.LBB109_233:
	s_or_b32 exec_lo, exec_lo, s2
	s_waitcnt lgkmcnt(0)
	s_barrier
	buffer_gl0_inv
	ds_read2_b64 v[213:216], v255 offset1:1
	s_mov_b32 s1, exec_lo
	s_waitcnt lgkmcnt(0)
	buffer_store_dword v213, off, s[16:19], 0 offset:856 ; 4-byte Folded Spill
	buffer_store_dword v214, off, s[16:19], 0 offset:860 ; 4-byte Folded Spill
	;; [unrolled: 1-line block ×4, first 2 shown]
	v_cmpx_lt_u32_e32 25, v0
	s_cbranch_execz .LBB109_235
; %bb.234:
	s_clause 0x3
	buffer_load_dword v215, off, s[16:19], 0 offset:856
	buffer_load_dword v216, off, s[16:19], 0 offset:860
	;; [unrolled: 1-line block ×4, first 2 shown]
	s_waitcnt vmcnt(0)
	v_mul_f64 v[213:214], v[217:218], v[119:120]
	v_mul_f64 v[119:120], v[215:216], v[119:120]
	v_fma_f64 v[213:214], v[215:216], v[117:118], -v[213:214]
	v_fma_f64 v[119:120], v[217:218], v[117:118], v[119:120]
	ds_read2_b64 v[215:218], v253 offset0:52 offset1:53
	s_waitcnt lgkmcnt(0)
	v_mul_f64 v[117:118], v[217:218], v[119:120]
	v_fma_f64 v[117:118], v[215:216], v[213:214], -v[117:118]
	v_mul_f64 v[215:216], v[215:216], v[119:120]
	v_add_f64 v[113:114], v[113:114], -v[117:118]
	v_fma_f64 v[215:216], v[217:218], v[213:214], v[215:216]
	v_add_f64 v[115:116], v[115:116], -v[215:216]
	ds_read2_b64 v[215:218], v253 offset0:54 offset1:55
	s_waitcnt lgkmcnt(0)
	v_mul_f64 v[117:118], v[217:218], v[119:120]
	v_fma_f64 v[117:118], v[215:216], v[213:214], -v[117:118]
	v_mul_f64 v[215:216], v[215:216], v[119:120]
	v_add_f64 v[109:110], v[109:110], -v[117:118]
	v_fma_f64 v[215:216], v[217:218], v[213:214], v[215:216]
	v_add_f64 v[111:112], v[111:112], -v[215:216]
	;; [unrolled: 8-line block ×28, first 2 shown]
	ds_read2_b64 v[215:218], v253 offset0:108 offset1:109
	s_waitcnt lgkmcnt(0)
	v_mul_f64 v[117:118], v[217:218], v[119:120]
	v_fma_f64 v[117:118], v[215:216], v[213:214], -v[117:118]
	v_mul_f64 v[215:216], v[215:216], v[119:120]
	v_add_f64 v[1:2], v[1:2], -v[117:118]
	v_fma_f64 v[215:216], v[217:218], v[213:214], v[215:216]
	v_mov_b32_e32 v117, v213
	v_mov_b32_e32 v118, v214
	v_add_f64 v[3:4], v[3:4], -v[215:216]
.LBB109_235:
	s_or_b32 exec_lo, exec_lo, s1
	s_mov_b32 s2, exec_lo
	s_waitcnt_vscnt null, 0x0
	s_barrier
	buffer_gl0_inv
	v_cmpx_eq_u32_e32 26, v0
	s_cbranch_execz .LBB109_242
; %bb.236:
	ds_write2_b64 v255, v[113:114], v[115:116] offset1:1
	ds_write2_b64 v253, v[109:110], v[111:112] offset0:54 offset1:55
	ds_write2_b64 v253, v[105:106], v[107:108] offset0:56 offset1:57
	;; [unrolled: 1-line block ×28, first 2 shown]
	ds_read2_b64 v[213:216], v255 offset1:1
	s_waitcnt lgkmcnt(0)
	v_cmp_neq_f64_e32 vcc_lo, 0, v[213:214]
	v_cmp_neq_f64_e64 s1, 0, v[215:216]
	s_or_b32 s1, vcc_lo, s1
	s_and_b32 exec_lo, exec_lo, s1
	s_cbranch_execz .LBB109_242
; %bb.237:
	v_cmp_ngt_f64_e64 s1, |v[213:214]|, |v[215:216]|
                                        ; implicit-def: $vgpr217_vgpr218
	s_and_saveexec_b32 s3, s1
	s_xor_b32 s1, exec_lo, s3
                                        ; implicit-def: $vgpr219_vgpr220
	s_cbranch_execz .LBB109_239
; %bb.238:
	v_div_scale_f64 v[217:218], null, v[215:216], v[215:216], v[213:214]
	v_div_scale_f64 v[223:224], vcc_lo, v[213:214], v[215:216], v[213:214]
	v_rcp_f64_e32 v[219:220], v[217:218]
	v_fma_f64 v[221:222], -v[217:218], v[219:220], 1.0
	v_fma_f64 v[219:220], v[219:220], v[221:222], v[219:220]
	v_fma_f64 v[221:222], -v[217:218], v[219:220], 1.0
	v_fma_f64 v[219:220], v[219:220], v[221:222], v[219:220]
	v_mul_f64 v[221:222], v[223:224], v[219:220]
	v_fma_f64 v[217:218], -v[217:218], v[221:222], v[223:224]
	v_div_fmas_f64 v[217:218], v[217:218], v[219:220], v[221:222]
	v_div_fixup_f64 v[217:218], v[217:218], v[215:216], v[213:214]
	v_fma_f64 v[213:214], v[213:214], v[217:218], v[215:216]
	v_div_scale_f64 v[215:216], null, v[213:214], v[213:214], 1.0
	v_rcp_f64_e32 v[219:220], v[215:216]
	v_fma_f64 v[221:222], -v[215:216], v[219:220], 1.0
	v_fma_f64 v[219:220], v[219:220], v[221:222], v[219:220]
	v_fma_f64 v[221:222], -v[215:216], v[219:220], 1.0
	v_fma_f64 v[219:220], v[219:220], v[221:222], v[219:220]
	v_div_scale_f64 v[221:222], vcc_lo, 1.0, v[213:214], 1.0
	v_mul_f64 v[223:224], v[221:222], v[219:220]
	v_fma_f64 v[215:216], -v[215:216], v[223:224], v[221:222]
	v_div_fmas_f64 v[215:216], v[215:216], v[219:220], v[223:224]
	v_div_fixup_f64 v[219:220], v[215:216], v[213:214], 1.0
                                        ; implicit-def: $vgpr213_vgpr214
	v_mul_f64 v[217:218], v[217:218], v[219:220]
	v_xor_b32_e32 v220, 0x80000000, v220
.LBB109_239:
	s_andn2_saveexec_b32 s1, s1
	s_cbranch_execz .LBB109_241
; %bb.240:
	v_div_scale_f64 v[217:218], null, v[213:214], v[213:214], v[215:216]
	v_div_scale_f64 v[223:224], vcc_lo, v[215:216], v[213:214], v[215:216]
	v_rcp_f64_e32 v[219:220], v[217:218]
	v_fma_f64 v[221:222], -v[217:218], v[219:220], 1.0
	v_fma_f64 v[219:220], v[219:220], v[221:222], v[219:220]
	v_fma_f64 v[221:222], -v[217:218], v[219:220], 1.0
	v_fma_f64 v[219:220], v[219:220], v[221:222], v[219:220]
	v_mul_f64 v[221:222], v[223:224], v[219:220]
	v_fma_f64 v[217:218], -v[217:218], v[221:222], v[223:224]
	v_div_fmas_f64 v[217:218], v[217:218], v[219:220], v[221:222]
	v_div_fixup_f64 v[219:220], v[217:218], v[213:214], v[215:216]
	v_fma_f64 v[213:214], v[215:216], v[219:220], v[213:214]
	v_div_scale_f64 v[215:216], null, v[213:214], v[213:214], 1.0
	v_rcp_f64_e32 v[217:218], v[215:216]
	v_fma_f64 v[221:222], -v[215:216], v[217:218], 1.0
	v_fma_f64 v[217:218], v[217:218], v[221:222], v[217:218]
	v_fma_f64 v[221:222], -v[215:216], v[217:218], 1.0
	v_fma_f64 v[217:218], v[217:218], v[221:222], v[217:218]
	v_div_scale_f64 v[221:222], vcc_lo, 1.0, v[213:214], 1.0
	v_mul_f64 v[223:224], v[221:222], v[217:218]
	v_fma_f64 v[215:216], -v[215:216], v[223:224], v[221:222]
	v_div_fmas_f64 v[215:216], v[215:216], v[217:218], v[223:224]
	v_div_fixup_f64 v[217:218], v[215:216], v[213:214], 1.0
	v_mul_f64 v[219:220], v[219:220], -v[217:218]
.LBB109_241:
	s_or_b32 exec_lo, exec_lo, s1
	ds_write2_b64 v255, v[217:218], v[219:220] offset1:1
.LBB109_242:
	s_or_b32 exec_lo, exec_lo, s2
	s_waitcnt lgkmcnt(0)
	s_barrier
	buffer_gl0_inv
	ds_read2_b64 v[213:216], v255 offset1:1
	s_mov_b32 s1, exec_lo
	s_waitcnt lgkmcnt(0)
	buffer_store_dword v213, off, s[16:19], 0 offset:872 ; 4-byte Folded Spill
	buffer_store_dword v214, off, s[16:19], 0 offset:876 ; 4-byte Folded Spill
	;; [unrolled: 1-line block ×4, first 2 shown]
	v_cmpx_lt_u32_e32 26, v0
	s_cbranch_execz .LBB109_244
; %bb.243:
	s_clause 0x3
	buffer_load_dword v215, off, s[16:19], 0 offset:872
	buffer_load_dword v216, off, s[16:19], 0 offset:876
	;; [unrolled: 1-line block ×4, first 2 shown]
	s_waitcnt vmcnt(0)
	v_mul_f64 v[213:214], v[217:218], v[115:116]
	v_mul_f64 v[115:116], v[215:216], v[115:116]
	v_fma_f64 v[213:214], v[215:216], v[113:114], -v[213:214]
	v_fma_f64 v[115:116], v[217:218], v[113:114], v[115:116]
	ds_read2_b64 v[215:218], v253 offset0:54 offset1:55
	s_waitcnt lgkmcnt(0)
	v_mul_f64 v[113:114], v[217:218], v[115:116]
	v_fma_f64 v[113:114], v[215:216], v[213:214], -v[113:114]
	v_mul_f64 v[215:216], v[215:216], v[115:116]
	v_add_f64 v[109:110], v[109:110], -v[113:114]
	v_fma_f64 v[215:216], v[217:218], v[213:214], v[215:216]
	v_add_f64 v[111:112], v[111:112], -v[215:216]
	ds_read2_b64 v[215:218], v253 offset0:56 offset1:57
	s_waitcnt lgkmcnt(0)
	v_mul_f64 v[113:114], v[217:218], v[115:116]
	v_fma_f64 v[113:114], v[215:216], v[213:214], -v[113:114]
	v_mul_f64 v[215:216], v[215:216], v[115:116]
	v_add_f64 v[105:106], v[105:106], -v[113:114]
	v_fma_f64 v[215:216], v[217:218], v[213:214], v[215:216]
	v_add_f64 v[107:108], v[107:108], -v[215:216]
	ds_read2_b64 v[215:218], v253 offset0:58 offset1:59
	s_waitcnt lgkmcnt(0)
	v_mul_f64 v[113:114], v[217:218], v[115:116]
	v_fma_f64 v[113:114], v[215:216], v[213:214], -v[113:114]
	v_mul_f64 v[215:216], v[215:216], v[115:116]
	v_add_f64 v[101:102], v[101:102], -v[113:114]
	v_fma_f64 v[215:216], v[217:218], v[213:214], v[215:216]
	v_add_f64 v[103:104], v[103:104], -v[215:216]
	ds_read2_b64 v[215:218], v253 offset0:60 offset1:61
	s_waitcnt lgkmcnt(0)
	v_mul_f64 v[113:114], v[217:218], v[115:116]
	v_fma_f64 v[113:114], v[215:216], v[213:214], -v[113:114]
	v_mul_f64 v[215:216], v[215:216], v[115:116]
	v_add_f64 v[97:98], v[97:98], -v[113:114]
	v_fma_f64 v[215:216], v[217:218], v[213:214], v[215:216]
	v_add_f64 v[99:100], v[99:100], -v[215:216]
	ds_read2_b64 v[215:218], v253 offset0:62 offset1:63
	s_waitcnt lgkmcnt(0)
	v_mul_f64 v[113:114], v[217:218], v[115:116]
	v_fma_f64 v[113:114], v[215:216], v[213:214], -v[113:114]
	v_mul_f64 v[215:216], v[215:216], v[115:116]
	v_add_f64 v[93:94], v[93:94], -v[113:114]
	v_fma_f64 v[215:216], v[217:218], v[213:214], v[215:216]
	v_add_f64 v[95:96], v[95:96], -v[215:216]
	ds_read2_b64 v[215:218], v253 offset0:64 offset1:65
	s_waitcnt lgkmcnt(0)
	v_mul_f64 v[113:114], v[217:218], v[115:116]
	v_fma_f64 v[113:114], v[215:216], v[213:214], -v[113:114]
	v_mul_f64 v[215:216], v[215:216], v[115:116]
	v_add_f64 v[89:90], v[89:90], -v[113:114]
	v_fma_f64 v[215:216], v[217:218], v[213:214], v[215:216]
	v_add_f64 v[91:92], v[91:92], -v[215:216]
	ds_read2_b64 v[215:218], v253 offset0:66 offset1:67
	s_waitcnt lgkmcnt(0)
	v_mul_f64 v[113:114], v[217:218], v[115:116]
	v_fma_f64 v[113:114], v[215:216], v[213:214], -v[113:114]
	v_mul_f64 v[215:216], v[215:216], v[115:116]
	v_add_f64 v[85:86], v[85:86], -v[113:114]
	v_fma_f64 v[215:216], v[217:218], v[213:214], v[215:216]
	v_add_f64 v[87:88], v[87:88], -v[215:216]
	ds_read2_b64 v[215:218], v253 offset0:68 offset1:69
	s_waitcnt lgkmcnt(0)
	v_mul_f64 v[113:114], v[217:218], v[115:116]
	v_fma_f64 v[113:114], v[215:216], v[213:214], -v[113:114]
	v_mul_f64 v[215:216], v[215:216], v[115:116]
	v_add_f64 v[81:82], v[81:82], -v[113:114]
	v_fma_f64 v[215:216], v[217:218], v[213:214], v[215:216]
	v_add_f64 v[83:84], v[83:84], -v[215:216]
	ds_read2_b64 v[215:218], v253 offset0:70 offset1:71
	s_waitcnt lgkmcnt(0)
	v_mul_f64 v[113:114], v[217:218], v[115:116]
	v_fma_f64 v[113:114], v[215:216], v[213:214], -v[113:114]
	v_mul_f64 v[215:216], v[215:216], v[115:116]
	v_add_f64 v[77:78], v[77:78], -v[113:114]
	v_fma_f64 v[215:216], v[217:218], v[213:214], v[215:216]
	v_add_f64 v[79:80], v[79:80], -v[215:216]
	ds_read2_b64 v[215:218], v253 offset0:72 offset1:73
	s_waitcnt lgkmcnt(0)
	v_mul_f64 v[113:114], v[217:218], v[115:116]
	v_fma_f64 v[113:114], v[215:216], v[213:214], -v[113:114]
	v_mul_f64 v[215:216], v[215:216], v[115:116]
	v_add_f64 v[73:74], v[73:74], -v[113:114]
	v_fma_f64 v[215:216], v[217:218], v[213:214], v[215:216]
	v_add_f64 v[75:76], v[75:76], -v[215:216]
	ds_read2_b64 v[215:218], v253 offset0:74 offset1:75
	s_waitcnt lgkmcnt(0)
	v_mul_f64 v[113:114], v[217:218], v[115:116]
	v_fma_f64 v[113:114], v[215:216], v[213:214], -v[113:114]
	v_mul_f64 v[215:216], v[215:216], v[115:116]
	v_add_f64 v[69:70], v[69:70], -v[113:114]
	v_fma_f64 v[215:216], v[217:218], v[213:214], v[215:216]
	v_add_f64 v[71:72], v[71:72], -v[215:216]
	ds_read2_b64 v[215:218], v253 offset0:76 offset1:77
	s_waitcnt lgkmcnt(0)
	v_mul_f64 v[113:114], v[217:218], v[115:116]
	v_fma_f64 v[113:114], v[215:216], v[213:214], -v[113:114]
	v_mul_f64 v[215:216], v[215:216], v[115:116]
	v_add_f64 v[65:66], v[65:66], -v[113:114]
	v_fma_f64 v[215:216], v[217:218], v[213:214], v[215:216]
	v_add_f64 v[67:68], v[67:68], -v[215:216]
	ds_read2_b64 v[215:218], v253 offset0:78 offset1:79
	s_waitcnt lgkmcnt(0)
	v_mul_f64 v[113:114], v[217:218], v[115:116]
	v_fma_f64 v[113:114], v[215:216], v[213:214], -v[113:114]
	v_mul_f64 v[215:216], v[215:216], v[115:116]
	v_add_f64 v[61:62], v[61:62], -v[113:114]
	v_fma_f64 v[215:216], v[217:218], v[213:214], v[215:216]
	v_add_f64 v[63:64], v[63:64], -v[215:216]
	ds_read2_b64 v[215:218], v253 offset0:80 offset1:81
	s_waitcnt lgkmcnt(0)
	v_mul_f64 v[113:114], v[217:218], v[115:116]
	v_fma_f64 v[113:114], v[215:216], v[213:214], -v[113:114]
	v_mul_f64 v[215:216], v[215:216], v[115:116]
	v_add_f64 v[57:58], v[57:58], -v[113:114]
	v_fma_f64 v[215:216], v[217:218], v[213:214], v[215:216]
	v_add_f64 v[59:60], v[59:60], -v[215:216]
	ds_read2_b64 v[215:218], v253 offset0:82 offset1:83
	s_waitcnt lgkmcnt(0)
	v_mul_f64 v[113:114], v[217:218], v[115:116]
	v_fma_f64 v[113:114], v[215:216], v[213:214], -v[113:114]
	v_mul_f64 v[215:216], v[215:216], v[115:116]
	v_add_f64 v[53:54], v[53:54], -v[113:114]
	v_fma_f64 v[215:216], v[217:218], v[213:214], v[215:216]
	v_add_f64 v[55:56], v[55:56], -v[215:216]
	ds_read2_b64 v[215:218], v253 offset0:84 offset1:85
	s_waitcnt lgkmcnt(0)
	v_mul_f64 v[113:114], v[217:218], v[115:116]
	v_fma_f64 v[113:114], v[215:216], v[213:214], -v[113:114]
	v_mul_f64 v[215:216], v[215:216], v[115:116]
	v_add_f64 v[49:50], v[49:50], -v[113:114]
	v_fma_f64 v[215:216], v[217:218], v[213:214], v[215:216]
	v_add_f64 v[51:52], v[51:52], -v[215:216]
	ds_read2_b64 v[215:218], v253 offset0:86 offset1:87
	s_waitcnt lgkmcnt(0)
	v_mul_f64 v[113:114], v[217:218], v[115:116]
	v_fma_f64 v[113:114], v[215:216], v[213:214], -v[113:114]
	v_mul_f64 v[215:216], v[215:216], v[115:116]
	v_add_f64 v[45:46], v[45:46], -v[113:114]
	v_fma_f64 v[215:216], v[217:218], v[213:214], v[215:216]
	v_add_f64 v[47:48], v[47:48], -v[215:216]
	ds_read2_b64 v[215:218], v253 offset0:88 offset1:89
	s_waitcnt lgkmcnt(0)
	v_mul_f64 v[113:114], v[217:218], v[115:116]
	v_fma_f64 v[113:114], v[215:216], v[213:214], -v[113:114]
	v_mul_f64 v[215:216], v[215:216], v[115:116]
	v_add_f64 v[41:42], v[41:42], -v[113:114]
	v_fma_f64 v[215:216], v[217:218], v[213:214], v[215:216]
	v_add_f64 v[43:44], v[43:44], -v[215:216]
	ds_read2_b64 v[215:218], v253 offset0:90 offset1:91
	s_waitcnt lgkmcnt(0)
	v_mul_f64 v[113:114], v[217:218], v[115:116]
	v_fma_f64 v[113:114], v[215:216], v[213:214], -v[113:114]
	v_mul_f64 v[215:216], v[215:216], v[115:116]
	v_add_f64 v[37:38], v[37:38], -v[113:114]
	v_fma_f64 v[215:216], v[217:218], v[213:214], v[215:216]
	v_add_f64 v[39:40], v[39:40], -v[215:216]
	ds_read2_b64 v[215:218], v253 offset0:92 offset1:93
	s_waitcnt lgkmcnt(0)
	v_mul_f64 v[113:114], v[217:218], v[115:116]
	v_fma_f64 v[113:114], v[215:216], v[213:214], -v[113:114]
	v_mul_f64 v[215:216], v[215:216], v[115:116]
	v_add_f64 v[33:34], v[33:34], -v[113:114]
	v_fma_f64 v[215:216], v[217:218], v[213:214], v[215:216]
	v_add_f64 v[35:36], v[35:36], -v[215:216]
	ds_read2_b64 v[215:218], v253 offset0:94 offset1:95
	s_waitcnt lgkmcnt(0)
	v_mul_f64 v[113:114], v[217:218], v[115:116]
	v_fma_f64 v[113:114], v[215:216], v[213:214], -v[113:114]
	v_mul_f64 v[215:216], v[215:216], v[115:116]
	v_add_f64 v[29:30], v[29:30], -v[113:114]
	v_fma_f64 v[215:216], v[217:218], v[213:214], v[215:216]
	v_add_f64 v[31:32], v[31:32], -v[215:216]
	ds_read2_b64 v[215:218], v253 offset0:96 offset1:97
	s_waitcnt lgkmcnt(0)
	v_mul_f64 v[113:114], v[217:218], v[115:116]
	v_fma_f64 v[113:114], v[215:216], v[213:214], -v[113:114]
	v_mul_f64 v[215:216], v[215:216], v[115:116]
	v_add_f64 v[25:26], v[25:26], -v[113:114]
	v_fma_f64 v[215:216], v[217:218], v[213:214], v[215:216]
	v_add_f64 v[27:28], v[27:28], -v[215:216]
	ds_read2_b64 v[215:218], v253 offset0:98 offset1:99
	s_waitcnt lgkmcnt(0)
	v_mul_f64 v[113:114], v[217:218], v[115:116]
	v_fma_f64 v[113:114], v[215:216], v[213:214], -v[113:114]
	v_mul_f64 v[215:216], v[215:216], v[115:116]
	v_add_f64 v[21:22], v[21:22], -v[113:114]
	v_fma_f64 v[215:216], v[217:218], v[213:214], v[215:216]
	v_add_f64 v[23:24], v[23:24], -v[215:216]
	ds_read2_b64 v[215:218], v253 offset0:100 offset1:101
	s_waitcnt lgkmcnt(0)
	v_mul_f64 v[113:114], v[217:218], v[115:116]
	v_fma_f64 v[113:114], v[215:216], v[213:214], -v[113:114]
	v_mul_f64 v[215:216], v[215:216], v[115:116]
	v_add_f64 v[17:18], v[17:18], -v[113:114]
	v_fma_f64 v[215:216], v[217:218], v[213:214], v[215:216]
	v_add_f64 v[19:20], v[19:20], -v[215:216]
	ds_read2_b64 v[215:218], v253 offset0:102 offset1:103
	s_waitcnt lgkmcnt(0)
	v_mul_f64 v[113:114], v[217:218], v[115:116]
	v_fma_f64 v[113:114], v[215:216], v[213:214], -v[113:114]
	v_mul_f64 v[215:216], v[215:216], v[115:116]
	v_add_f64 v[13:14], v[13:14], -v[113:114]
	v_fma_f64 v[215:216], v[217:218], v[213:214], v[215:216]
	v_add_f64 v[15:16], v[15:16], -v[215:216]
	ds_read2_b64 v[215:218], v253 offset0:104 offset1:105
	s_waitcnt lgkmcnt(0)
	v_mul_f64 v[113:114], v[217:218], v[115:116]
	v_fma_f64 v[113:114], v[215:216], v[213:214], -v[113:114]
	v_mul_f64 v[215:216], v[215:216], v[115:116]
	v_add_f64 v[9:10], v[9:10], -v[113:114]
	v_fma_f64 v[215:216], v[217:218], v[213:214], v[215:216]
	v_add_f64 v[11:12], v[11:12], -v[215:216]
	ds_read2_b64 v[215:218], v253 offset0:106 offset1:107
	s_waitcnt lgkmcnt(0)
	v_mul_f64 v[113:114], v[217:218], v[115:116]
	v_fma_f64 v[113:114], v[215:216], v[213:214], -v[113:114]
	v_mul_f64 v[215:216], v[215:216], v[115:116]
	v_add_f64 v[5:6], v[5:6], -v[113:114]
	v_fma_f64 v[215:216], v[217:218], v[213:214], v[215:216]
	v_add_f64 v[7:8], v[7:8], -v[215:216]
	ds_read2_b64 v[215:218], v253 offset0:108 offset1:109
	s_waitcnt lgkmcnt(0)
	v_mul_f64 v[113:114], v[217:218], v[115:116]
	v_fma_f64 v[113:114], v[215:216], v[213:214], -v[113:114]
	v_mul_f64 v[215:216], v[215:216], v[115:116]
	v_add_f64 v[1:2], v[1:2], -v[113:114]
	v_fma_f64 v[215:216], v[217:218], v[213:214], v[215:216]
	v_mov_b32_e32 v113, v213
	v_mov_b32_e32 v114, v214
	v_add_f64 v[3:4], v[3:4], -v[215:216]
.LBB109_244:
	s_or_b32 exec_lo, exec_lo, s1
	s_mov_b32 s2, exec_lo
	s_waitcnt_vscnt null, 0x0
	s_barrier
	buffer_gl0_inv
	v_cmpx_eq_u32_e32 27, v0
	s_cbranch_execz .LBB109_251
; %bb.245:
	ds_write2_b64 v255, v[109:110], v[111:112] offset1:1
	ds_write2_b64 v253, v[105:106], v[107:108] offset0:56 offset1:57
	ds_write2_b64 v253, v[101:102], v[103:104] offset0:58 offset1:59
	;; [unrolled: 1-line block ×27, first 2 shown]
	ds_read2_b64 v[213:216], v255 offset1:1
	s_waitcnt lgkmcnt(0)
	v_cmp_neq_f64_e32 vcc_lo, 0, v[213:214]
	v_cmp_neq_f64_e64 s1, 0, v[215:216]
	s_or_b32 s1, vcc_lo, s1
	s_and_b32 exec_lo, exec_lo, s1
	s_cbranch_execz .LBB109_251
; %bb.246:
	v_cmp_ngt_f64_e64 s1, |v[213:214]|, |v[215:216]|
                                        ; implicit-def: $vgpr217_vgpr218
	s_and_saveexec_b32 s3, s1
	s_xor_b32 s1, exec_lo, s3
                                        ; implicit-def: $vgpr219_vgpr220
	s_cbranch_execz .LBB109_248
; %bb.247:
	v_div_scale_f64 v[217:218], null, v[215:216], v[215:216], v[213:214]
	v_div_scale_f64 v[223:224], vcc_lo, v[213:214], v[215:216], v[213:214]
	v_rcp_f64_e32 v[219:220], v[217:218]
	v_fma_f64 v[221:222], -v[217:218], v[219:220], 1.0
	v_fma_f64 v[219:220], v[219:220], v[221:222], v[219:220]
	v_fma_f64 v[221:222], -v[217:218], v[219:220], 1.0
	v_fma_f64 v[219:220], v[219:220], v[221:222], v[219:220]
	v_mul_f64 v[221:222], v[223:224], v[219:220]
	v_fma_f64 v[217:218], -v[217:218], v[221:222], v[223:224]
	v_div_fmas_f64 v[217:218], v[217:218], v[219:220], v[221:222]
	v_div_fixup_f64 v[217:218], v[217:218], v[215:216], v[213:214]
	v_fma_f64 v[213:214], v[213:214], v[217:218], v[215:216]
	v_div_scale_f64 v[215:216], null, v[213:214], v[213:214], 1.0
	v_rcp_f64_e32 v[219:220], v[215:216]
	v_fma_f64 v[221:222], -v[215:216], v[219:220], 1.0
	v_fma_f64 v[219:220], v[219:220], v[221:222], v[219:220]
	v_fma_f64 v[221:222], -v[215:216], v[219:220], 1.0
	v_fma_f64 v[219:220], v[219:220], v[221:222], v[219:220]
	v_div_scale_f64 v[221:222], vcc_lo, 1.0, v[213:214], 1.0
	v_mul_f64 v[223:224], v[221:222], v[219:220]
	v_fma_f64 v[215:216], -v[215:216], v[223:224], v[221:222]
	v_div_fmas_f64 v[215:216], v[215:216], v[219:220], v[223:224]
	v_div_fixup_f64 v[219:220], v[215:216], v[213:214], 1.0
                                        ; implicit-def: $vgpr213_vgpr214
	v_mul_f64 v[217:218], v[217:218], v[219:220]
	v_xor_b32_e32 v220, 0x80000000, v220
.LBB109_248:
	s_andn2_saveexec_b32 s1, s1
	s_cbranch_execz .LBB109_250
; %bb.249:
	v_div_scale_f64 v[217:218], null, v[213:214], v[213:214], v[215:216]
	v_div_scale_f64 v[223:224], vcc_lo, v[215:216], v[213:214], v[215:216]
	v_rcp_f64_e32 v[219:220], v[217:218]
	v_fma_f64 v[221:222], -v[217:218], v[219:220], 1.0
	v_fma_f64 v[219:220], v[219:220], v[221:222], v[219:220]
	v_fma_f64 v[221:222], -v[217:218], v[219:220], 1.0
	v_fma_f64 v[219:220], v[219:220], v[221:222], v[219:220]
	v_mul_f64 v[221:222], v[223:224], v[219:220]
	v_fma_f64 v[217:218], -v[217:218], v[221:222], v[223:224]
	v_div_fmas_f64 v[217:218], v[217:218], v[219:220], v[221:222]
	v_div_fixup_f64 v[219:220], v[217:218], v[213:214], v[215:216]
	v_fma_f64 v[213:214], v[215:216], v[219:220], v[213:214]
	v_div_scale_f64 v[215:216], null, v[213:214], v[213:214], 1.0
	v_rcp_f64_e32 v[217:218], v[215:216]
	v_fma_f64 v[221:222], -v[215:216], v[217:218], 1.0
	v_fma_f64 v[217:218], v[217:218], v[221:222], v[217:218]
	v_fma_f64 v[221:222], -v[215:216], v[217:218], 1.0
	v_fma_f64 v[217:218], v[217:218], v[221:222], v[217:218]
	v_div_scale_f64 v[221:222], vcc_lo, 1.0, v[213:214], 1.0
	v_mul_f64 v[223:224], v[221:222], v[217:218]
	v_fma_f64 v[215:216], -v[215:216], v[223:224], v[221:222]
	v_div_fmas_f64 v[215:216], v[215:216], v[217:218], v[223:224]
	v_div_fixup_f64 v[217:218], v[215:216], v[213:214], 1.0
	v_mul_f64 v[219:220], v[219:220], -v[217:218]
.LBB109_250:
	s_or_b32 exec_lo, exec_lo, s1
	ds_write2_b64 v255, v[217:218], v[219:220] offset1:1
.LBB109_251:
	s_or_b32 exec_lo, exec_lo, s2
	s_waitcnt lgkmcnt(0)
	s_barrier
	buffer_gl0_inv
	ds_read2_b64 v[213:216], v255 offset1:1
	s_mov_b32 s1, exec_lo
	s_waitcnt lgkmcnt(0)
	buffer_store_dword v213, off, s[16:19], 0 offset:888 ; 4-byte Folded Spill
	buffer_store_dword v214, off, s[16:19], 0 offset:892 ; 4-byte Folded Spill
	;; [unrolled: 1-line block ×4, first 2 shown]
	v_cmpx_lt_u32_e32 27, v0
	s_cbranch_execz .LBB109_253
; %bb.252:
	s_clause 0x3
	buffer_load_dword v215, off, s[16:19], 0 offset:888
	buffer_load_dword v216, off, s[16:19], 0 offset:892
	buffer_load_dword v217, off, s[16:19], 0 offset:896
	buffer_load_dword v218, off, s[16:19], 0 offset:900
	s_waitcnt vmcnt(0)
	v_mul_f64 v[213:214], v[217:218], v[111:112]
	v_mul_f64 v[111:112], v[215:216], v[111:112]
	v_fma_f64 v[213:214], v[215:216], v[109:110], -v[213:214]
	v_fma_f64 v[111:112], v[217:218], v[109:110], v[111:112]
	ds_read2_b64 v[215:218], v253 offset0:56 offset1:57
	s_waitcnt lgkmcnt(0)
	v_mul_f64 v[109:110], v[217:218], v[111:112]
	v_fma_f64 v[109:110], v[215:216], v[213:214], -v[109:110]
	v_mul_f64 v[215:216], v[215:216], v[111:112]
	v_add_f64 v[105:106], v[105:106], -v[109:110]
	v_fma_f64 v[215:216], v[217:218], v[213:214], v[215:216]
	v_add_f64 v[107:108], v[107:108], -v[215:216]
	ds_read2_b64 v[215:218], v253 offset0:58 offset1:59
	s_waitcnt lgkmcnt(0)
	v_mul_f64 v[109:110], v[217:218], v[111:112]
	v_fma_f64 v[109:110], v[215:216], v[213:214], -v[109:110]
	v_mul_f64 v[215:216], v[215:216], v[111:112]
	v_add_f64 v[101:102], v[101:102], -v[109:110]
	v_fma_f64 v[215:216], v[217:218], v[213:214], v[215:216]
	v_add_f64 v[103:104], v[103:104], -v[215:216]
	ds_read2_b64 v[215:218], v253 offset0:60 offset1:61
	s_waitcnt lgkmcnt(0)
	v_mul_f64 v[109:110], v[217:218], v[111:112]
	v_fma_f64 v[109:110], v[215:216], v[213:214], -v[109:110]
	v_mul_f64 v[215:216], v[215:216], v[111:112]
	v_add_f64 v[97:98], v[97:98], -v[109:110]
	v_fma_f64 v[215:216], v[217:218], v[213:214], v[215:216]
	v_add_f64 v[99:100], v[99:100], -v[215:216]
	ds_read2_b64 v[215:218], v253 offset0:62 offset1:63
	s_waitcnt lgkmcnt(0)
	v_mul_f64 v[109:110], v[217:218], v[111:112]
	v_fma_f64 v[109:110], v[215:216], v[213:214], -v[109:110]
	v_mul_f64 v[215:216], v[215:216], v[111:112]
	v_add_f64 v[93:94], v[93:94], -v[109:110]
	v_fma_f64 v[215:216], v[217:218], v[213:214], v[215:216]
	v_add_f64 v[95:96], v[95:96], -v[215:216]
	ds_read2_b64 v[215:218], v253 offset0:64 offset1:65
	s_waitcnt lgkmcnt(0)
	v_mul_f64 v[109:110], v[217:218], v[111:112]
	v_fma_f64 v[109:110], v[215:216], v[213:214], -v[109:110]
	v_mul_f64 v[215:216], v[215:216], v[111:112]
	v_add_f64 v[89:90], v[89:90], -v[109:110]
	v_fma_f64 v[215:216], v[217:218], v[213:214], v[215:216]
	v_add_f64 v[91:92], v[91:92], -v[215:216]
	ds_read2_b64 v[215:218], v253 offset0:66 offset1:67
	s_waitcnt lgkmcnt(0)
	v_mul_f64 v[109:110], v[217:218], v[111:112]
	v_fma_f64 v[109:110], v[215:216], v[213:214], -v[109:110]
	v_mul_f64 v[215:216], v[215:216], v[111:112]
	v_add_f64 v[85:86], v[85:86], -v[109:110]
	v_fma_f64 v[215:216], v[217:218], v[213:214], v[215:216]
	v_add_f64 v[87:88], v[87:88], -v[215:216]
	ds_read2_b64 v[215:218], v253 offset0:68 offset1:69
	s_waitcnt lgkmcnt(0)
	v_mul_f64 v[109:110], v[217:218], v[111:112]
	v_fma_f64 v[109:110], v[215:216], v[213:214], -v[109:110]
	v_mul_f64 v[215:216], v[215:216], v[111:112]
	v_add_f64 v[81:82], v[81:82], -v[109:110]
	v_fma_f64 v[215:216], v[217:218], v[213:214], v[215:216]
	v_add_f64 v[83:84], v[83:84], -v[215:216]
	ds_read2_b64 v[215:218], v253 offset0:70 offset1:71
	s_waitcnt lgkmcnt(0)
	v_mul_f64 v[109:110], v[217:218], v[111:112]
	v_fma_f64 v[109:110], v[215:216], v[213:214], -v[109:110]
	v_mul_f64 v[215:216], v[215:216], v[111:112]
	v_add_f64 v[77:78], v[77:78], -v[109:110]
	v_fma_f64 v[215:216], v[217:218], v[213:214], v[215:216]
	v_add_f64 v[79:80], v[79:80], -v[215:216]
	ds_read2_b64 v[215:218], v253 offset0:72 offset1:73
	s_waitcnt lgkmcnt(0)
	v_mul_f64 v[109:110], v[217:218], v[111:112]
	v_fma_f64 v[109:110], v[215:216], v[213:214], -v[109:110]
	v_mul_f64 v[215:216], v[215:216], v[111:112]
	v_add_f64 v[73:74], v[73:74], -v[109:110]
	v_fma_f64 v[215:216], v[217:218], v[213:214], v[215:216]
	v_add_f64 v[75:76], v[75:76], -v[215:216]
	ds_read2_b64 v[215:218], v253 offset0:74 offset1:75
	s_waitcnt lgkmcnt(0)
	v_mul_f64 v[109:110], v[217:218], v[111:112]
	v_fma_f64 v[109:110], v[215:216], v[213:214], -v[109:110]
	v_mul_f64 v[215:216], v[215:216], v[111:112]
	v_add_f64 v[69:70], v[69:70], -v[109:110]
	v_fma_f64 v[215:216], v[217:218], v[213:214], v[215:216]
	v_add_f64 v[71:72], v[71:72], -v[215:216]
	ds_read2_b64 v[215:218], v253 offset0:76 offset1:77
	s_waitcnt lgkmcnt(0)
	v_mul_f64 v[109:110], v[217:218], v[111:112]
	v_fma_f64 v[109:110], v[215:216], v[213:214], -v[109:110]
	v_mul_f64 v[215:216], v[215:216], v[111:112]
	v_add_f64 v[65:66], v[65:66], -v[109:110]
	v_fma_f64 v[215:216], v[217:218], v[213:214], v[215:216]
	v_add_f64 v[67:68], v[67:68], -v[215:216]
	ds_read2_b64 v[215:218], v253 offset0:78 offset1:79
	s_waitcnt lgkmcnt(0)
	v_mul_f64 v[109:110], v[217:218], v[111:112]
	v_fma_f64 v[109:110], v[215:216], v[213:214], -v[109:110]
	v_mul_f64 v[215:216], v[215:216], v[111:112]
	v_add_f64 v[61:62], v[61:62], -v[109:110]
	v_fma_f64 v[215:216], v[217:218], v[213:214], v[215:216]
	v_add_f64 v[63:64], v[63:64], -v[215:216]
	ds_read2_b64 v[215:218], v253 offset0:80 offset1:81
	s_waitcnt lgkmcnt(0)
	v_mul_f64 v[109:110], v[217:218], v[111:112]
	v_fma_f64 v[109:110], v[215:216], v[213:214], -v[109:110]
	v_mul_f64 v[215:216], v[215:216], v[111:112]
	v_add_f64 v[57:58], v[57:58], -v[109:110]
	v_fma_f64 v[215:216], v[217:218], v[213:214], v[215:216]
	v_add_f64 v[59:60], v[59:60], -v[215:216]
	ds_read2_b64 v[215:218], v253 offset0:82 offset1:83
	s_waitcnt lgkmcnt(0)
	v_mul_f64 v[109:110], v[217:218], v[111:112]
	v_fma_f64 v[109:110], v[215:216], v[213:214], -v[109:110]
	v_mul_f64 v[215:216], v[215:216], v[111:112]
	v_add_f64 v[53:54], v[53:54], -v[109:110]
	v_fma_f64 v[215:216], v[217:218], v[213:214], v[215:216]
	v_add_f64 v[55:56], v[55:56], -v[215:216]
	ds_read2_b64 v[215:218], v253 offset0:84 offset1:85
	s_waitcnt lgkmcnt(0)
	v_mul_f64 v[109:110], v[217:218], v[111:112]
	v_fma_f64 v[109:110], v[215:216], v[213:214], -v[109:110]
	v_mul_f64 v[215:216], v[215:216], v[111:112]
	v_add_f64 v[49:50], v[49:50], -v[109:110]
	v_fma_f64 v[215:216], v[217:218], v[213:214], v[215:216]
	v_add_f64 v[51:52], v[51:52], -v[215:216]
	ds_read2_b64 v[215:218], v253 offset0:86 offset1:87
	s_waitcnt lgkmcnt(0)
	v_mul_f64 v[109:110], v[217:218], v[111:112]
	v_fma_f64 v[109:110], v[215:216], v[213:214], -v[109:110]
	v_mul_f64 v[215:216], v[215:216], v[111:112]
	v_add_f64 v[45:46], v[45:46], -v[109:110]
	v_fma_f64 v[215:216], v[217:218], v[213:214], v[215:216]
	v_add_f64 v[47:48], v[47:48], -v[215:216]
	ds_read2_b64 v[215:218], v253 offset0:88 offset1:89
	s_waitcnt lgkmcnt(0)
	v_mul_f64 v[109:110], v[217:218], v[111:112]
	v_fma_f64 v[109:110], v[215:216], v[213:214], -v[109:110]
	v_mul_f64 v[215:216], v[215:216], v[111:112]
	v_add_f64 v[41:42], v[41:42], -v[109:110]
	v_fma_f64 v[215:216], v[217:218], v[213:214], v[215:216]
	v_add_f64 v[43:44], v[43:44], -v[215:216]
	ds_read2_b64 v[215:218], v253 offset0:90 offset1:91
	s_waitcnt lgkmcnt(0)
	v_mul_f64 v[109:110], v[217:218], v[111:112]
	v_fma_f64 v[109:110], v[215:216], v[213:214], -v[109:110]
	v_mul_f64 v[215:216], v[215:216], v[111:112]
	v_add_f64 v[37:38], v[37:38], -v[109:110]
	v_fma_f64 v[215:216], v[217:218], v[213:214], v[215:216]
	v_add_f64 v[39:40], v[39:40], -v[215:216]
	ds_read2_b64 v[215:218], v253 offset0:92 offset1:93
	s_waitcnt lgkmcnt(0)
	v_mul_f64 v[109:110], v[217:218], v[111:112]
	v_fma_f64 v[109:110], v[215:216], v[213:214], -v[109:110]
	v_mul_f64 v[215:216], v[215:216], v[111:112]
	v_add_f64 v[33:34], v[33:34], -v[109:110]
	v_fma_f64 v[215:216], v[217:218], v[213:214], v[215:216]
	v_add_f64 v[35:36], v[35:36], -v[215:216]
	ds_read2_b64 v[215:218], v253 offset0:94 offset1:95
	s_waitcnt lgkmcnt(0)
	v_mul_f64 v[109:110], v[217:218], v[111:112]
	v_fma_f64 v[109:110], v[215:216], v[213:214], -v[109:110]
	v_mul_f64 v[215:216], v[215:216], v[111:112]
	v_add_f64 v[29:30], v[29:30], -v[109:110]
	v_fma_f64 v[215:216], v[217:218], v[213:214], v[215:216]
	v_add_f64 v[31:32], v[31:32], -v[215:216]
	ds_read2_b64 v[215:218], v253 offset0:96 offset1:97
	s_waitcnt lgkmcnt(0)
	v_mul_f64 v[109:110], v[217:218], v[111:112]
	v_fma_f64 v[109:110], v[215:216], v[213:214], -v[109:110]
	v_mul_f64 v[215:216], v[215:216], v[111:112]
	v_add_f64 v[25:26], v[25:26], -v[109:110]
	v_fma_f64 v[215:216], v[217:218], v[213:214], v[215:216]
	v_add_f64 v[27:28], v[27:28], -v[215:216]
	ds_read2_b64 v[215:218], v253 offset0:98 offset1:99
	s_waitcnt lgkmcnt(0)
	v_mul_f64 v[109:110], v[217:218], v[111:112]
	v_fma_f64 v[109:110], v[215:216], v[213:214], -v[109:110]
	v_mul_f64 v[215:216], v[215:216], v[111:112]
	v_add_f64 v[21:22], v[21:22], -v[109:110]
	v_fma_f64 v[215:216], v[217:218], v[213:214], v[215:216]
	v_add_f64 v[23:24], v[23:24], -v[215:216]
	ds_read2_b64 v[215:218], v253 offset0:100 offset1:101
	s_waitcnt lgkmcnt(0)
	v_mul_f64 v[109:110], v[217:218], v[111:112]
	v_fma_f64 v[109:110], v[215:216], v[213:214], -v[109:110]
	v_mul_f64 v[215:216], v[215:216], v[111:112]
	v_add_f64 v[17:18], v[17:18], -v[109:110]
	v_fma_f64 v[215:216], v[217:218], v[213:214], v[215:216]
	v_add_f64 v[19:20], v[19:20], -v[215:216]
	ds_read2_b64 v[215:218], v253 offset0:102 offset1:103
	s_waitcnt lgkmcnt(0)
	v_mul_f64 v[109:110], v[217:218], v[111:112]
	v_fma_f64 v[109:110], v[215:216], v[213:214], -v[109:110]
	v_mul_f64 v[215:216], v[215:216], v[111:112]
	v_add_f64 v[13:14], v[13:14], -v[109:110]
	v_fma_f64 v[215:216], v[217:218], v[213:214], v[215:216]
	v_add_f64 v[15:16], v[15:16], -v[215:216]
	ds_read2_b64 v[215:218], v253 offset0:104 offset1:105
	s_waitcnt lgkmcnt(0)
	v_mul_f64 v[109:110], v[217:218], v[111:112]
	v_fma_f64 v[109:110], v[215:216], v[213:214], -v[109:110]
	v_mul_f64 v[215:216], v[215:216], v[111:112]
	v_add_f64 v[9:10], v[9:10], -v[109:110]
	v_fma_f64 v[215:216], v[217:218], v[213:214], v[215:216]
	v_add_f64 v[11:12], v[11:12], -v[215:216]
	ds_read2_b64 v[215:218], v253 offset0:106 offset1:107
	s_waitcnt lgkmcnt(0)
	v_mul_f64 v[109:110], v[217:218], v[111:112]
	v_fma_f64 v[109:110], v[215:216], v[213:214], -v[109:110]
	v_mul_f64 v[215:216], v[215:216], v[111:112]
	v_add_f64 v[5:6], v[5:6], -v[109:110]
	v_fma_f64 v[215:216], v[217:218], v[213:214], v[215:216]
	v_add_f64 v[7:8], v[7:8], -v[215:216]
	ds_read2_b64 v[215:218], v253 offset0:108 offset1:109
	s_waitcnt lgkmcnt(0)
	v_mul_f64 v[109:110], v[217:218], v[111:112]
	v_fma_f64 v[109:110], v[215:216], v[213:214], -v[109:110]
	v_mul_f64 v[215:216], v[215:216], v[111:112]
	v_add_f64 v[1:2], v[1:2], -v[109:110]
	v_fma_f64 v[215:216], v[217:218], v[213:214], v[215:216]
	v_mov_b32_e32 v109, v213
	v_mov_b32_e32 v110, v214
	v_add_f64 v[3:4], v[3:4], -v[215:216]
.LBB109_253:
	s_or_b32 exec_lo, exec_lo, s1
	s_mov_b32 s2, exec_lo
	s_waitcnt_vscnt null, 0x0
	s_barrier
	buffer_gl0_inv
	v_cmpx_eq_u32_e32 28, v0
	s_cbranch_execz .LBB109_260
; %bb.254:
	ds_write2_b64 v255, v[105:106], v[107:108] offset1:1
	ds_write2_b64 v253, v[101:102], v[103:104] offset0:58 offset1:59
	ds_write2_b64 v253, v[97:98], v[99:100] offset0:60 offset1:61
	;; [unrolled: 1-line block ×26, first 2 shown]
	ds_read2_b64 v[213:216], v255 offset1:1
	s_waitcnt lgkmcnt(0)
	v_cmp_neq_f64_e32 vcc_lo, 0, v[213:214]
	v_cmp_neq_f64_e64 s1, 0, v[215:216]
	s_or_b32 s1, vcc_lo, s1
	s_and_b32 exec_lo, exec_lo, s1
	s_cbranch_execz .LBB109_260
; %bb.255:
	v_cmp_ngt_f64_e64 s1, |v[213:214]|, |v[215:216]|
                                        ; implicit-def: $vgpr217_vgpr218
	s_and_saveexec_b32 s3, s1
	s_xor_b32 s1, exec_lo, s3
                                        ; implicit-def: $vgpr219_vgpr220
	s_cbranch_execz .LBB109_257
; %bb.256:
	v_div_scale_f64 v[217:218], null, v[215:216], v[215:216], v[213:214]
	v_div_scale_f64 v[223:224], vcc_lo, v[213:214], v[215:216], v[213:214]
	v_rcp_f64_e32 v[219:220], v[217:218]
	v_fma_f64 v[221:222], -v[217:218], v[219:220], 1.0
	v_fma_f64 v[219:220], v[219:220], v[221:222], v[219:220]
	v_fma_f64 v[221:222], -v[217:218], v[219:220], 1.0
	v_fma_f64 v[219:220], v[219:220], v[221:222], v[219:220]
	v_mul_f64 v[221:222], v[223:224], v[219:220]
	v_fma_f64 v[217:218], -v[217:218], v[221:222], v[223:224]
	v_div_fmas_f64 v[217:218], v[217:218], v[219:220], v[221:222]
	v_div_fixup_f64 v[217:218], v[217:218], v[215:216], v[213:214]
	v_fma_f64 v[213:214], v[213:214], v[217:218], v[215:216]
	v_div_scale_f64 v[215:216], null, v[213:214], v[213:214], 1.0
	v_rcp_f64_e32 v[219:220], v[215:216]
	v_fma_f64 v[221:222], -v[215:216], v[219:220], 1.0
	v_fma_f64 v[219:220], v[219:220], v[221:222], v[219:220]
	v_fma_f64 v[221:222], -v[215:216], v[219:220], 1.0
	v_fma_f64 v[219:220], v[219:220], v[221:222], v[219:220]
	v_div_scale_f64 v[221:222], vcc_lo, 1.0, v[213:214], 1.0
	v_mul_f64 v[223:224], v[221:222], v[219:220]
	v_fma_f64 v[215:216], -v[215:216], v[223:224], v[221:222]
	v_div_fmas_f64 v[215:216], v[215:216], v[219:220], v[223:224]
	v_div_fixup_f64 v[219:220], v[215:216], v[213:214], 1.0
                                        ; implicit-def: $vgpr213_vgpr214
	v_mul_f64 v[217:218], v[217:218], v[219:220]
	v_xor_b32_e32 v220, 0x80000000, v220
.LBB109_257:
	s_andn2_saveexec_b32 s1, s1
	s_cbranch_execz .LBB109_259
; %bb.258:
	v_div_scale_f64 v[217:218], null, v[213:214], v[213:214], v[215:216]
	v_div_scale_f64 v[223:224], vcc_lo, v[215:216], v[213:214], v[215:216]
	v_rcp_f64_e32 v[219:220], v[217:218]
	v_fma_f64 v[221:222], -v[217:218], v[219:220], 1.0
	v_fma_f64 v[219:220], v[219:220], v[221:222], v[219:220]
	v_fma_f64 v[221:222], -v[217:218], v[219:220], 1.0
	v_fma_f64 v[219:220], v[219:220], v[221:222], v[219:220]
	v_mul_f64 v[221:222], v[223:224], v[219:220]
	v_fma_f64 v[217:218], -v[217:218], v[221:222], v[223:224]
	v_div_fmas_f64 v[217:218], v[217:218], v[219:220], v[221:222]
	v_div_fixup_f64 v[219:220], v[217:218], v[213:214], v[215:216]
	v_fma_f64 v[213:214], v[215:216], v[219:220], v[213:214]
	v_div_scale_f64 v[215:216], null, v[213:214], v[213:214], 1.0
	v_rcp_f64_e32 v[217:218], v[215:216]
	v_fma_f64 v[221:222], -v[215:216], v[217:218], 1.0
	v_fma_f64 v[217:218], v[217:218], v[221:222], v[217:218]
	v_fma_f64 v[221:222], -v[215:216], v[217:218], 1.0
	v_fma_f64 v[217:218], v[217:218], v[221:222], v[217:218]
	v_div_scale_f64 v[221:222], vcc_lo, 1.0, v[213:214], 1.0
	v_mul_f64 v[223:224], v[221:222], v[217:218]
	v_fma_f64 v[215:216], -v[215:216], v[223:224], v[221:222]
	v_div_fmas_f64 v[215:216], v[215:216], v[217:218], v[223:224]
	v_div_fixup_f64 v[217:218], v[215:216], v[213:214], 1.0
	v_mul_f64 v[219:220], v[219:220], -v[217:218]
.LBB109_259:
	s_or_b32 exec_lo, exec_lo, s1
	ds_write2_b64 v255, v[217:218], v[219:220] offset1:1
.LBB109_260:
	s_or_b32 exec_lo, exec_lo, s2
	s_waitcnt lgkmcnt(0)
	s_barrier
	buffer_gl0_inv
	ds_read2_b64 v[213:216], v255 offset1:1
	s_mov_b32 s1, exec_lo
	s_waitcnt lgkmcnt(0)
	buffer_store_dword v213, off, s[16:19], 0 offset:904 ; 4-byte Folded Spill
	buffer_store_dword v214, off, s[16:19], 0 offset:908 ; 4-byte Folded Spill
	;; [unrolled: 1-line block ×4, first 2 shown]
	v_cmpx_lt_u32_e32 28, v0
	s_cbranch_execz .LBB109_262
; %bb.261:
	s_clause 0x3
	buffer_load_dword v215, off, s[16:19], 0 offset:904
	buffer_load_dword v216, off, s[16:19], 0 offset:908
	;; [unrolled: 1-line block ×4, first 2 shown]
	s_waitcnt vmcnt(0)
	v_mul_f64 v[213:214], v[217:218], v[107:108]
	v_mul_f64 v[107:108], v[215:216], v[107:108]
	v_fma_f64 v[213:214], v[215:216], v[105:106], -v[213:214]
	v_fma_f64 v[107:108], v[217:218], v[105:106], v[107:108]
	ds_read2_b64 v[215:218], v253 offset0:58 offset1:59
	s_waitcnt lgkmcnt(0)
	v_mul_f64 v[105:106], v[217:218], v[107:108]
	v_fma_f64 v[105:106], v[215:216], v[213:214], -v[105:106]
	v_mul_f64 v[215:216], v[215:216], v[107:108]
	v_add_f64 v[101:102], v[101:102], -v[105:106]
	v_fma_f64 v[215:216], v[217:218], v[213:214], v[215:216]
	v_add_f64 v[103:104], v[103:104], -v[215:216]
	ds_read2_b64 v[215:218], v253 offset0:60 offset1:61
	s_waitcnt lgkmcnt(0)
	v_mul_f64 v[105:106], v[217:218], v[107:108]
	v_fma_f64 v[105:106], v[215:216], v[213:214], -v[105:106]
	v_mul_f64 v[215:216], v[215:216], v[107:108]
	v_add_f64 v[97:98], v[97:98], -v[105:106]
	v_fma_f64 v[215:216], v[217:218], v[213:214], v[215:216]
	v_add_f64 v[99:100], v[99:100], -v[215:216]
	ds_read2_b64 v[215:218], v253 offset0:62 offset1:63
	s_waitcnt lgkmcnt(0)
	v_mul_f64 v[105:106], v[217:218], v[107:108]
	v_fma_f64 v[105:106], v[215:216], v[213:214], -v[105:106]
	v_mul_f64 v[215:216], v[215:216], v[107:108]
	v_add_f64 v[93:94], v[93:94], -v[105:106]
	v_fma_f64 v[215:216], v[217:218], v[213:214], v[215:216]
	v_add_f64 v[95:96], v[95:96], -v[215:216]
	ds_read2_b64 v[215:218], v253 offset0:64 offset1:65
	s_waitcnt lgkmcnt(0)
	v_mul_f64 v[105:106], v[217:218], v[107:108]
	v_fma_f64 v[105:106], v[215:216], v[213:214], -v[105:106]
	v_mul_f64 v[215:216], v[215:216], v[107:108]
	v_add_f64 v[89:90], v[89:90], -v[105:106]
	v_fma_f64 v[215:216], v[217:218], v[213:214], v[215:216]
	v_add_f64 v[91:92], v[91:92], -v[215:216]
	ds_read2_b64 v[215:218], v253 offset0:66 offset1:67
	s_waitcnt lgkmcnt(0)
	v_mul_f64 v[105:106], v[217:218], v[107:108]
	v_fma_f64 v[105:106], v[215:216], v[213:214], -v[105:106]
	v_mul_f64 v[215:216], v[215:216], v[107:108]
	v_add_f64 v[85:86], v[85:86], -v[105:106]
	v_fma_f64 v[215:216], v[217:218], v[213:214], v[215:216]
	v_add_f64 v[87:88], v[87:88], -v[215:216]
	ds_read2_b64 v[215:218], v253 offset0:68 offset1:69
	s_waitcnt lgkmcnt(0)
	v_mul_f64 v[105:106], v[217:218], v[107:108]
	v_fma_f64 v[105:106], v[215:216], v[213:214], -v[105:106]
	v_mul_f64 v[215:216], v[215:216], v[107:108]
	v_add_f64 v[81:82], v[81:82], -v[105:106]
	v_fma_f64 v[215:216], v[217:218], v[213:214], v[215:216]
	v_add_f64 v[83:84], v[83:84], -v[215:216]
	ds_read2_b64 v[215:218], v253 offset0:70 offset1:71
	s_waitcnt lgkmcnt(0)
	v_mul_f64 v[105:106], v[217:218], v[107:108]
	v_fma_f64 v[105:106], v[215:216], v[213:214], -v[105:106]
	v_mul_f64 v[215:216], v[215:216], v[107:108]
	v_add_f64 v[77:78], v[77:78], -v[105:106]
	v_fma_f64 v[215:216], v[217:218], v[213:214], v[215:216]
	v_add_f64 v[79:80], v[79:80], -v[215:216]
	ds_read2_b64 v[215:218], v253 offset0:72 offset1:73
	s_waitcnt lgkmcnt(0)
	v_mul_f64 v[105:106], v[217:218], v[107:108]
	v_fma_f64 v[105:106], v[215:216], v[213:214], -v[105:106]
	v_mul_f64 v[215:216], v[215:216], v[107:108]
	v_add_f64 v[73:74], v[73:74], -v[105:106]
	v_fma_f64 v[215:216], v[217:218], v[213:214], v[215:216]
	v_add_f64 v[75:76], v[75:76], -v[215:216]
	ds_read2_b64 v[215:218], v253 offset0:74 offset1:75
	s_waitcnt lgkmcnt(0)
	v_mul_f64 v[105:106], v[217:218], v[107:108]
	v_fma_f64 v[105:106], v[215:216], v[213:214], -v[105:106]
	v_mul_f64 v[215:216], v[215:216], v[107:108]
	v_add_f64 v[69:70], v[69:70], -v[105:106]
	v_fma_f64 v[215:216], v[217:218], v[213:214], v[215:216]
	v_add_f64 v[71:72], v[71:72], -v[215:216]
	ds_read2_b64 v[215:218], v253 offset0:76 offset1:77
	s_waitcnt lgkmcnt(0)
	v_mul_f64 v[105:106], v[217:218], v[107:108]
	v_fma_f64 v[105:106], v[215:216], v[213:214], -v[105:106]
	v_mul_f64 v[215:216], v[215:216], v[107:108]
	v_add_f64 v[65:66], v[65:66], -v[105:106]
	v_fma_f64 v[215:216], v[217:218], v[213:214], v[215:216]
	v_add_f64 v[67:68], v[67:68], -v[215:216]
	ds_read2_b64 v[215:218], v253 offset0:78 offset1:79
	s_waitcnt lgkmcnt(0)
	v_mul_f64 v[105:106], v[217:218], v[107:108]
	v_fma_f64 v[105:106], v[215:216], v[213:214], -v[105:106]
	v_mul_f64 v[215:216], v[215:216], v[107:108]
	v_add_f64 v[61:62], v[61:62], -v[105:106]
	v_fma_f64 v[215:216], v[217:218], v[213:214], v[215:216]
	v_add_f64 v[63:64], v[63:64], -v[215:216]
	ds_read2_b64 v[215:218], v253 offset0:80 offset1:81
	s_waitcnt lgkmcnt(0)
	v_mul_f64 v[105:106], v[217:218], v[107:108]
	v_fma_f64 v[105:106], v[215:216], v[213:214], -v[105:106]
	v_mul_f64 v[215:216], v[215:216], v[107:108]
	v_add_f64 v[57:58], v[57:58], -v[105:106]
	v_fma_f64 v[215:216], v[217:218], v[213:214], v[215:216]
	v_add_f64 v[59:60], v[59:60], -v[215:216]
	ds_read2_b64 v[215:218], v253 offset0:82 offset1:83
	s_waitcnt lgkmcnt(0)
	v_mul_f64 v[105:106], v[217:218], v[107:108]
	v_fma_f64 v[105:106], v[215:216], v[213:214], -v[105:106]
	v_mul_f64 v[215:216], v[215:216], v[107:108]
	v_add_f64 v[53:54], v[53:54], -v[105:106]
	v_fma_f64 v[215:216], v[217:218], v[213:214], v[215:216]
	v_add_f64 v[55:56], v[55:56], -v[215:216]
	ds_read2_b64 v[215:218], v253 offset0:84 offset1:85
	s_waitcnt lgkmcnt(0)
	v_mul_f64 v[105:106], v[217:218], v[107:108]
	v_fma_f64 v[105:106], v[215:216], v[213:214], -v[105:106]
	v_mul_f64 v[215:216], v[215:216], v[107:108]
	v_add_f64 v[49:50], v[49:50], -v[105:106]
	v_fma_f64 v[215:216], v[217:218], v[213:214], v[215:216]
	v_add_f64 v[51:52], v[51:52], -v[215:216]
	ds_read2_b64 v[215:218], v253 offset0:86 offset1:87
	s_waitcnt lgkmcnt(0)
	v_mul_f64 v[105:106], v[217:218], v[107:108]
	v_fma_f64 v[105:106], v[215:216], v[213:214], -v[105:106]
	v_mul_f64 v[215:216], v[215:216], v[107:108]
	v_add_f64 v[45:46], v[45:46], -v[105:106]
	v_fma_f64 v[215:216], v[217:218], v[213:214], v[215:216]
	v_add_f64 v[47:48], v[47:48], -v[215:216]
	ds_read2_b64 v[215:218], v253 offset0:88 offset1:89
	s_waitcnt lgkmcnt(0)
	v_mul_f64 v[105:106], v[217:218], v[107:108]
	v_fma_f64 v[105:106], v[215:216], v[213:214], -v[105:106]
	v_mul_f64 v[215:216], v[215:216], v[107:108]
	v_add_f64 v[41:42], v[41:42], -v[105:106]
	v_fma_f64 v[215:216], v[217:218], v[213:214], v[215:216]
	v_add_f64 v[43:44], v[43:44], -v[215:216]
	ds_read2_b64 v[215:218], v253 offset0:90 offset1:91
	s_waitcnt lgkmcnt(0)
	v_mul_f64 v[105:106], v[217:218], v[107:108]
	v_fma_f64 v[105:106], v[215:216], v[213:214], -v[105:106]
	v_mul_f64 v[215:216], v[215:216], v[107:108]
	v_add_f64 v[37:38], v[37:38], -v[105:106]
	v_fma_f64 v[215:216], v[217:218], v[213:214], v[215:216]
	v_add_f64 v[39:40], v[39:40], -v[215:216]
	ds_read2_b64 v[215:218], v253 offset0:92 offset1:93
	s_waitcnt lgkmcnt(0)
	v_mul_f64 v[105:106], v[217:218], v[107:108]
	v_fma_f64 v[105:106], v[215:216], v[213:214], -v[105:106]
	v_mul_f64 v[215:216], v[215:216], v[107:108]
	v_add_f64 v[33:34], v[33:34], -v[105:106]
	v_fma_f64 v[215:216], v[217:218], v[213:214], v[215:216]
	v_add_f64 v[35:36], v[35:36], -v[215:216]
	ds_read2_b64 v[215:218], v253 offset0:94 offset1:95
	s_waitcnt lgkmcnt(0)
	v_mul_f64 v[105:106], v[217:218], v[107:108]
	v_fma_f64 v[105:106], v[215:216], v[213:214], -v[105:106]
	v_mul_f64 v[215:216], v[215:216], v[107:108]
	v_add_f64 v[29:30], v[29:30], -v[105:106]
	v_fma_f64 v[215:216], v[217:218], v[213:214], v[215:216]
	v_add_f64 v[31:32], v[31:32], -v[215:216]
	ds_read2_b64 v[215:218], v253 offset0:96 offset1:97
	s_waitcnt lgkmcnt(0)
	v_mul_f64 v[105:106], v[217:218], v[107:108]
	v_fma_f64 v[105:106], v[215:216], v[213:214], -v[105:106]
	v_mul_f64 v[215:216], v[215:216], v[107:108]
	v_add_f64 v[25:26], v[25:26], -v[105:106]
	v_fma_f64 v[215:216], v[217:218], v[213:214], v[215:216]
	v_add_f64 v[27:28], v[27:28], -v[215:216]
	ds_read2_b64 v[215:218], v253 offset0:98 offset1:99
	s_waitcnt lgkmcnt(0)
	v_mul_f64 v[105:106], v[217:218], v[107:108]
	v_fma_f64 v[105:106], v[215:216], v[213:214], -v[105:106]
	v_mul_f64 v[215:216], v[215:216], v[107:108]
	v_add_f64 v[21:22], v[21:22], -v[105:106]
	v_fma_f64 v[215:216], v[217:218], v[213:214], v[215:216]
	v_add_f64 v[23:24], v[23:24], -v[215:216]
	ds_read2_b64 v[215:218], v253 offset0:100 offset1:101
	s_waitcnt lgkmcnt(0)
	v_mul_f64 v[105:106], v[217:218], v[107:108]
	v_fma_f64 v[105:106], v[215:216], v[213:214], -v[105:106]
	v_mul_f64 v[215:216], v[215:216], v[107:108]
	v_add_f64 v[17:18], v[17:18], -v[105:106]
	v_fma_f64 v[215:216], v[217:218], v[213:214], v[215:216]
	v_add_f64 v[19:20], v[19:20], -v[215:216]
	ds_read2_b64 v[215:218], v253 offset0:102 offset1:103
	s_waitcnt lgkmcnt(0)
	v_mul_f64 v[105:106], v[217:218], v[107:108]
	v_fma_f64 v[105:106], v[215:216], v[213:214], -v[105:106]
	v_mul_f64 v[215:216], v[215:216], v[107:108]
	v_add_f64 v[13:14], v[13:14], -v[105:106]
	v_fma_f64 v[215:216], v[217:218], v[213:214], v[215:216]
	v_add_f64 v[15:16], v[15:16], -v[215:216]
	ds_read2_b64 v[215:218], v253 offset0:104 offset1:105
	s_waitcnt lgkmcnt(0)
	v_mul_f64 v[105:106], v[217:218], v[107:108]
	v_fma_f64 v[105:106], v[215:216], v[213:214], -v[105:106]
	v_mul_f64 v[215:216], v[215:216], v[107:108]
	v_add_f64 v[9:10], v[9:10], -v[105:106]
	v_fma_f64 v[215:216], v[217:218], v[213:214], v[215:216]
	v_add_f64 v[11:12], v[11:12], -v[215:216]
	ds_read2_b64 v[215:218], v253 offset0:106 offset1:107
	s_waitcnt lgkmcnt(0)
	v_mul_f64 v[105:106], v[217:218], v[107:108]
	v_fma_f64 v[105:106], v[215:216], v[213:214], -v[105:106]
	v_mul_f64 v[215:216], v[215:216], v[107:108]
	v_add_f64 v[5:6], v[5:6], -v[105:106]
	v_fma_f64 v[215:216], v[217:218], v[213:214], v[215:216]
	v_add_f64 v[7:8], v[7:8], -v[215:216]
	ds_read2_b64 v[215:218], v253 offset0:108 offset1:109
	s_waitcnt lgkmcnt(0)
	v_mul_f64 v[105:106], v[217:218], v[107:108]
	v_fma_f64 v[105:106], v[215:216], v[213:214], -v[105:106]
	v_mul_f64 v[215:216], v[215:216], v[107:108]
	v_add_f64 v[1:2], v[1:2], -v[105:106]
	v_fma_f64 v[215:216], v[217:218], v[213:214], v[215:216]
	v_mov_b32_e32 v105, v213
	v_mov_b32_e32 v106, v214
	v_add_f64 v[3:4], v[3:4], -v[215:216]
.LBB109_262:
	s_or_b32 exec_lo, exec_lo, s1
	s_mov_b32 s2, exec_lo
	s_waitcnt_vscnt null, 0x0
	s_barrier
	buffer_gl0_inv
	v_cmpx_eq_u32_e32 29, v0
	s_cbranch_execz .LBB109_269
; %bb.263:
	ds_write2_b64 v255, v[101:102], v[103:104] offset1:1
	ds_write2_b64 v253, v[97:98], v[99:100] offset0:60 offset1:61
	ds_write2_b64 v253, v[93:94], v[95:96] offset0:62 offset1:63
	;; [unrolled: 1-line block ×25, first 2 shown]
	ds_read2_b64 v[213:216], v255 offset1:1
	s_waitcnt lgkmcnt(0)
	v_cmp_neq_f64_e32 vcc_lo, 0, v[213:214]
	v_cmp_neq_f64_e64 s1, 0, v[215:216]
	s_or_b32 s1, vcc_lo, s1
	s_and_b32 exec_lo, exec_lo, s1
	s_cbranch_execz .LBB109_269
; %bb.264:
	v_cmp_ngt_f64_e64 s1, |v[213:214]|, |v[215:216]|
                                        ; implicit-def: $vgpr217_vgpr218
	s_and_saveexec_b32 s3, s1
	s_xor_b32 s1, exec_lo, s3
                                        ; implicit-def: $vgpr219_vgpr220
	s_cbranch_execz .LBB109_266
; %bb.265:
	v_div_scale_f64 v[217:218], null, v[215:216], v[215:216], v[213:214]
	v_div_scale_f64 v[223:224], vcc_lo, v[213:214], v[215:216], v[213:214]
	v_rcp_f64_e32 v[219:220], v[217:218]
	v_fma_f64 v[221:222], -v[217:218], v[219:220], 1.0
	v_fma_f64 v[219:220], v[219:220], v[221:222], v[219:220]
	v_fma_f64 v[221:222], -v[217:218], v[219:220], 1.0
	v_fma_f64 v[219:220], v[219:220], v[221:222], v[219:220]
	v_mul_f64 v[221:222], v[223:224], v[219:220]
	v_fma_f64 v[217:218], -v[217:218], v[221:222], v[223:224]
	v_div_fmas_f64 v[217:218], v[217:218], v[219:220], v[221:222]
	v_div_fixup_f64 v[217:218], v[217:218], v[215:216], v[213:214]
	v_fma_f64 v[213:214], v[213:214], v[217:218], v[215:216]
	v_div_scale_f64 v[215:216], null, v[213:214], v[213:214], 1.0
	v_rcp_f64_e32 v[219:220], v[215:216]
	v_fma_f64 v[221:222], -v[215:216], v[219:220], 1.0
	v_fma_f64 v[219:220], v[219:220], v[221:222], v[219:220]
	v_fma_f64 v[221:222], -v[215:216], v[219:220], 1.0
	v_fma_f64 v[219:220], v[219:220], v[221:222], v[219:220]
	v_div_scale_f64 v[221:222], vcc_lo, 1.0, v[213:214], 1.0
	v_mul_f64 v[223:224], v[221:222], v[219:220]
	v_fma_f64 v[215:216], -v[215:216], v[223:224], v[221:222]
	v_div_fmas_f64 v[215:216], v[215:216], v[219:220], v[223:224]
	v_div_fixup_f64 v[219:220], v[215:216], v[213:214], 1.0
                                        ; implicit-def: $vgpr213_vgpr214
	v_mul_f64 v[217:218], v[217:218], v[219:220]
	v_xor_b32_e32 v220, 0x80000000, v220
.LBB109_266:
	s_andn2_saveexec_b32 s1, s1
	s_cbranch_execz .LBB109_268
; %bb.267:
	v_div_scale_f64 v[217:218], null, v[213:214], v[213:214], v[215:216]
	v_div_scale_f64 v[223:224], vcc_lo, v[215:216], v[213:214], v[215:216]
	v_rcp_f64_e32 v[219:220], v[217:218]
	v_fma_f64 v[221:222], -v[217:218], v[219:220], 1.0
	v_fma_f64 v[219:220], v[219:220], v[221:222], v[219:220]
	v_fma_f64 v[221:222], -v[217:218], v[219:220], 1.0
	v_fma_f64 v[219:220], v[219:220], v[221:222], v[219:220]
	v_mul_f64 v[221:222], v[223:224], v[219:220]
	v_fma_f64 v[217:218], -v[217:218], v[221:222], v[223:224]
	v_div_fmas_f64 v[217:218], v[217:218], v[219:220], v[221:222]
	v_div_fixup_f64 v[219:220], v[217:218], v[213:214], v[215:216]
	v_fma_f64 v[213:214], v[215:216], v[219:220], v[213:214]
	v_div_scale_f64 v[215:216], null, v[213:214], v[213:214], 1.0
	v_rcp_f64_e32 v[217:218], v[215:216]
	v_fma_f64 v[221:222], -v[215:216], v[217:218], 1.0
	v_fma_f64 v[217:218], v[217:218], v[221:222], v[217:218]
	v_fma_f64 v[221:222], -v[215:216], v[217:218], 1.0
	v_fma_f64 v[217:218], v[217:218], v[221:222], v[217:218]
	v_div_scale_f64 v[221:222], vcc_lo, 1.0, v[213:214], 1.0
	v_mul_f64 v[223:224], v[221:222], v[217:218]
	v_fma_f64 v[215:216], -v[215:216], v[223:224], v[221:222]
	v_div_fmas_f64 v[215:216], v[215:216], v[217:218], v[223:224]
	v_div_fixup_f64 v[217:218], v[215:216], v[213:214], 1.0
	v_mul_f64 v[219:220], v[219:220], -v[217:218]
.LBB109_268:
	s_or_b32 exec_lo, exec_lo, s1
	ds_write2_b64 v255, v[217:218], v[219:220] offset1:1
.LBB109_269:
	s_or_b32 exec_lo, exec_lo, s2
	s_waitcnt lgkmcnt(0)
	s_barrier
	buffer_gl0_inv
	ds_read2_b64 v[213:216], v255 offset1:1
	s_mov_b32 s1, exec_lo
	s_waitcnt lgkmcnt(0)
	buffer_store_dword v213, off, s[16:19], 0 offset:920 ; 4-byte Folded Spill
	buffer_store_dword v214, off, s[16:19], 0 offset:924 ; 4-byte Folded Spill
	buffer_store_dword v215, off, s[16:19], 0 offset:928 ; 4-byte Folded Spill
	buffer_store_dword v216, off, s[16:19], 0 offset:932 ; 4-byte Folded Spill
	v_cmpx_lt_u32_e32 29, v0
	s_cbranch_execz .LBB109_271
; %bb.270:
	s_clause 0x3
	buffer_load_dword v215, off, s[16:19], 0 offset:920
	buffer_load_dword v216, off, s[16:19], 0 offset:924
	;; [unrolled: 1-line block ×4, first 2 shown]
	s_waitcnt vmcnt(0)
	v_mul_f64 v[213:214], v[217:218], v[103:104]
	v_mul_f64 v[103:104], v[215:216], v[103:104]
	v_fma_f64 v[213:214], v[215:216], v[101:102], -v[213:214]
	v_fma_f64 v[103:104], v[217:218], v[101:102], v[103:104]
	ds_read2_b64 v[215:218], v253 offset0:60 offset1:61
	s_waitcnt lgkmcnt(0)
	v_mul_f64 v[101:102], v[217:218], v[103:104]
	v_fma_f64 v[101:102], v[215:216], v[213:214], -v[101:102]
	v_mul_f64 v[215:216], v[215:216], v[103:104]
	v_add_f64 v[97:98], v[97:98], -v[101:102]
	v_fma_f64 v[215:216], v[217:218], v[213:214], v[215:216]
	v_add_f64 v[99:100], v[99:100], -v[215:216]
	ds_read2_b64 v[215:218], v253 offset0:62 offset1:63
	s_waitcnt lgkmcnt(0)
	v_mul_f64 v[101:102], v[217:218], v[103:104]
	v_fma_f64 v[101:102], v[215:216], v[213:214], -v[101:102]
	v_mul_f64 v[215:216], v[215:216], v[103:104]
	v_add_f64 v[93:94], v[93:94], -v[101:102]
	v_fma_f64 v[215:216], v[217:218], v[213:214], v[215:216]
	v_add_f64 v[95:96], v[95:96], -v[215:216]
	;; [unrolled: 8-line block ×24, first 2 shown]
	ds_read2_b64 v[215:218], v253 offset0:108 offset1:109
	s_waitcnt lgkmcnt(0)
	v_mul_f64 v[101:102], v[217:218], v[103:104]
	v_fma_f64 v[101:102], v[215:216], v[213:214], -v[101:102]
	v_mul_f64 v[215:216], v[215:216], v[103:104]
	v_add_f64 v[1:2], v[1:2], -v[101:102]
	v_fma_f64 v[215:216], v[217:218], v[213:214], v[215:216]
	v_mov_b32_e32 v101, v213
	v_mov_b32_e32 v102, v214
	v_add_f64 v[3:4], v[3:4], -v[215:216]
.LBB109_271:
	s_or_b32 exec_lo, exec_lo, s1
	s_mov_b32 s2, exec_lo
	s_waitcnt_vscnt null, 0x0
	s_barrier
	buffer_gl0_inv
	v_cmpx_eq_u32_e32 30, v0
	s_cbranch_execz .LBB109_278
; %bb.272:
	ds_write2_b64 v255, v[97:98], v[99:100] offset1:1
	ds_write2_b64 v253, v[93:94], v[95:96] offset0:62 offset1:63
	ds_write2_b64 v253, v[89:90], v[91:92] offset0:64 offset1:65
	ds_write2_b64 v253, v[85:86], v[87:88] offset0:66 offset1:67
	ds_write2_b64 v253, v[81:82], v[83:84] offset0:68 offset1:69
	ds_write2_b64 v253, v[77:78], v[79:80] offset0:70 offset1:71
	ds_write2_b64 v253, v[73:74], v[75:76] offset0:72 offset1:73
	ds_write2_b64 v253, v[69:70], v[71:72] offset0:74 offset1:75
	ds_write2_b64 v253, v[65:66], v[67:68] offset0:76 offset1:77
	ds_write2_b64 v253, v[61:62], v[63:64] offset0:78 offset1:79
	ds_write2_b64 v253, v[57:58], v[59:60] offset0:80 offset1:81
	ds_write2_b64 v253, v[53:54], v[55:56] offset0:82 offset1:83
	ds_write2_b64 v253, v[49:50], v[51:52] offset0:84 offset1:85
	ds_write2_b64 v253, v[45:46], v[47:48] offset0:86 offset1:87
	ds_write2_b64 v253, v[41:42], v[43:44] offset0:88 offset1:89
	ds_write2_b64 v253, v[37:38], v[39:40] offset0:90 offset1:91
	ds_write2_b64 v253, v[33:34], v[35:36] offset0:92 offset1:93
	ds_write2_b64 v253, v[29:30], v[31:32] offset0:94 offset1:95
	ds_write2_b64 v253, v[25:26], v[27:28] offset0:96 offset1:97
	ds_write2_b64 v253, v[21:22], v[23:24] offset0:98 offset1:99
	ds_write2_b64 v253, v[17:18], v[19:20] offset0:100 offset1:101
	ds_write2_b64 v253, v[13:14], v[15:16] offset0:102 offset1:103
	ds_write2_b64 v253, v[9:10], v[11:12] offset0:104 offset1:105
	ds_write2_b64 v253, v[5:6], v[7:8] offset0:106 offset1:107
	ds_write2_b64 v253, v[1:2], v[3:4] offset0:108 offset1:109
	ds_read2_b64 v[213:216], v255 offset1:1
	s_waitcnt lgkmcnt(0)
	v_cmp_neq_f64_e32 vcc_lo, 0, v[213:214]
	v_cmp_neq_f64_e64 s1, 0, v[215:216]
	s_or_b32 s1, vcc_lo, s1
	s_and_b32 exec_lo, exec_lo, s1
	s_cbranch_execz .LBB109_278
; %bb.273:
	v_cmp_ngt_f64_e64 s1, |v[213:214]|, |v[215:216]|
                                        ; implicit-def: $vgpr217_vgpr218
	s_and_saveexec_b32 s3, s1
	s_xor_b32 s1, exec_lo, s3
                                        ; implicit-def: $vgpr219_vgpr220
	s_cbranch_execz .LBB109_275
; %bb.274:
	v_div_scale_f64 v[217:218], null, v[215:216], v[215:216], v[213:214]
	v_div_scale_f64 v[223:224], vcc_lo, v[213:214], v[215:216], v[213:214]
	v_rcp_f64_e32 v[219:220], v[217:218]
	v_fma_f64 v[221:222], -v[217:218], v[219:220], 1.0
	v_fma_f64 v[219:220], v[219:220], v[221:222], v[219:220]
	v_fma_f64 v[221:222], -v[217:218], v[219:220], 1.0
	v_fma_f64 v[219:220], v[219:220], v[221:222], v[219:220]
	v_mul_f64 v[221:222], v[223:224], v[219:220]
	v_fma_f64 v[217:218], -v[217:218], v[221:222], v[223:224]
	v_div_fmas_f64 v[217:218], v[217:218], v[219:220], v[221:222]
	v_div_fixup_f64 v[217:218], v[217:218], v[215:216], v[213:214]
	v_fma_f64 v[213:214], v[213:214], v[217:218], v[215:216]
	v_div_scale_f64 v[215:216], null, v[213:214], v[213:214], 1.0
	v_rcp_f64_e32 v[219:220], v[215:216]
	v_fma_f64 v[221:222], -v[215:216], v[219:220], 1.0
	v_fma_f64 v[219:220], v[219:220], v[221:222], v[219:220]
	v_fma_f64 v[221:222], -v[215:216], v[219:220], 1.0
	v_fma_f64 v[219:220], v[219:220], v[221:222], v[219:220]
	v_div_scale_f64 v[221:222], vcc_lo, 1.0, v[213:214], 1.0
	v_mul_f64 v[223:224], v[221:222], v[219:220]
	v_fma_f64 v[215:216], -v[215:216], v[223:224], v[221:222]
	v_div_fmas_f64 v[215:216], v[215:216], v[219:220], v[223:224]
	v_div_fixup_f64 v[219:220], v[215:216], v[213:214], 1.0
                                        ; implicit-def: $vgpr213_vgpr214
	v_mul_f64 v[217:218], v[217:218], v[219:220]
	v_xor_b32_e32 v220, 0x80000000, v220
.LBB109_275:
	s_andn2_saveexec_b32 s1, s1
	s_cbranch_execz .LBB109_277
; %bb.276:
	v_div_scale_f64 v[217:218], null, v[213:214], v[213:214], v[215:216]
	v_div_scale_f64 v[223:224], vcc_lo, v[215:216], v[213:214], v[215:216]
	v_rcp_f64_e32 v[219:220], v[217:218]
	v_fma_f64 v[221:222], -v[217:218], v[219:220], 1.0
	v_fma_f64 v[219:220], v[219:220], v[221:222], v[219:220]
	v_fma_f64 v[221:222], -v[217:218], v[219:220], 1.0
	v_fma_f64 v[219:220], v[219:220], v[221:222], v[219:220]
	v_mul_f64 v[221:222], v[223:224], v[219:220]
	v_fma_f64 v[217:218], -v[217:218], v[221:222], v[223:224]
	v_div_fmas_f64 v[217:218], v[217:218], v[219:220], v[221:222]
	v_div_fixup_f64 v[219:220], v[217:218], v[213:214], v[215:216]
	v_fma_f64 v[213:214], v[215:216], v[219:220], v[213:214]
	v_div_scale_f64 v[215:216], null, v[213:214], v[213:214], 1.0
	v_rcp_f64_e32 v[217:218], v[215:216]
	v_fma_f64 v[221:222], -v[215:216], v[217:218], 1.0
	v_fma_f64 v[217:218], v[217:218], v[221:222], v[217:218]
	v_fma_f64 v[221:222], -v[215:216], v[217:218], 1.0
	v_fma_f64 v[217:218], v[217:218], v[221:222], v[217:218]
	v_div_scale_f64 v[221:222], vcc_lo, 1.0, v[213:214], 1.0
	v_mul_f64 v[223:224], v[221:222], v[217:218]
	v_fma_f64 v[215:216], -v[215:216], v[223:224], v[221:222]
	v_div_fmas_f64 v[215:216], v[215:216], v[217:218], v[223:224]
	v_div_fixup_f64 v[217:218], v[215:216], v[213:214], 1.0
	v_mul_f64 v[219:220], v[219:220], -v[217:218]
.LBB109_277:
	s_or_b32 exec_lo, exec_lo, s1
	ds_write2_b64 v255, v[217:218], v[219:220] offset1:1
.LBB109_278:
	s_or_b32 exec_lo, exec_lo, s2
	s_waitcnt lgkmcnt(0)
	s_barrier
	buffer_gl0_inv
	ds_read2_b64 v[213:216], v255 offset1:1
	s_mov_b32 s1, exec_lo
	s_waitcnt lgkmcnt(0)
	buffer_store_dword v213, off, s[16:19], 0 offset:936 ; 4-byte Folded Spill
	buffer_store_dword v214, off, s[16:19], 0 offset:940 ; 4-byte Folded Spill
	;; [unrolled: 1-line block ×4, first 2 shown]
	v_cmpx_lt_u32_e32 30, v0
	s_cbranch_execz .LBB109_280
; %bb.279:
	s_clause 0x3
	buffer_load_dword v215, off, s[16:19], 0 offset:936
	buffer_load_dword v216, off, s[16:19], 0 offset:940
	;; [unrolled: 1-line block ×4, first 2 shown]
	s_waitcnt vmcnt(0)
	v_mul_f64 v[213:214], v[217:218], v[99:100]
	v_mul_f64 v[99:100], v[215:216], v[99:100]
	v_fma_f64 v[213:214], v[215:216], v[97:98], -v[213:214]
	v_fma_f64 v[99:100], v[217:218], v[97:98], v[99:100]
	ds_read2_b64 v[215:218], v253 offset0:62 offset1:63
	s_waitcnt lgkmcnt(0)
	v_mul_f64 v[97:98], v[217:218], v[99:100]
	v_fma_f64 v[97:98], v[215:216], v[213:214], -v[97:98]
	v_mul_f64 v[215:216], v[215:216], v[99:100]
	v_add_f64 v[93:94], v[93:94], -v[97:98]
	v_fma_f64 v[215:216], v[217:218], v[213:214], v[215:216]
	v_add_f64 v[95:96], v[95:96], -v[215:216]
	ds_read2_b64 v[215:218], v253 offset0:64 offset1:65
	s_waitcnt lgkmcnt(0)
	v_mul_f64 v[97:98], v[217:218], v[99:100]
	v_fma_f64 v[97:98], v[215:216], v[213:214], -v[97:98]
	v_mul_f64 v[215:216], v[215:216], v[99:100]
	v_add_f64 v[89:90], v[89:90], -v[97:98]
	v_fma_f64 v[215:216], v[217:218], v[213:214], v[215:216]
	v_add_f64 v[91:92], v[91:92], -v[215:216]
	;; [unrolled: 8-line block ×23, first 2 shown]
	ds_read2_b64 v[215:218], v253 offset0:108 offset1:109
	s_waitcnt lgkmcnt(0)
	v_mul_f64 v[97:98], v[217:218], v[99:100]
	v_fma_f64 v[97:98], v[215:216], v[213:214], -v[97:98]
	v_mul_f64 v[215:216], v[215:216], v[99:100]
	v_add_f64 v[1:2], v[1:2], -v[97:98]
	v_fma_f64 v[215:216], v[217:218], v[213:214], v[215:216]
	v_mov_b32_e32 v97, v213
	v_mov_b32_e32 v98, v214
	v_add_f64 v[3:4], v[3:4], -v[215:216]
.LBB109_280:
	s_or_b32 exec_lo, exec_lo, s1
	s_mov_b32 s2, exec_lo
	s_waitcnt_vscnt null, 0x0
	s_barrier
	buffer_gl0_inv
	v_cmpx_eq_u32_e32 31, v0
	s_cbranch_execz .LBB109_287
; %bb.281:
	ds_write2_b64 v255, v[93:94], v[95:96] offset1:1
	ds_write2_b64 v253, v[89:90], v[91:92] offset0:64 offset1:65
	ds_write2_b64 v253, v[85:86], v[87:88] offset0:66 offset1:67
	;; [unrolled: 1-line block ×23, first 2 shown]
	ds_read2_b64 v[213:216], v255 offset1:1
	s_waitcnt lgkmcnt(0)
	v_cmp_neq_f64_e32 vcc_lo, 0, v[213:214]
	v_cmp_neq_f64_e64 s1, 0, v[215:216]
	s_or_b32 s1, vcc_lo, s1
	s_and_b32 exec_lo, exec_lo, s1
	s_cbranch_execz .LBB109_287
; %bb.282:
	v_cmp_ngt_f64_e64 s1, |v[213:214]|, |v[215:216]|
                                        ; implicit-def: $vgpr217_vgpr218
	s_and_saveexec_b32 s3, s1
	s_xor_b32 s1, exec_lo, s3
                                        ; implicit-def: $vgpr219_vgpr220
	s_cbranch_execz .LBB109_284
; %bb.283:
	v_div_scale_f64 v[217:218], null, v[215:216], v[215:216], v[213:214]
	v_div_scale_f64 v[223:224], vcc_lo, v[213:214], v[215:216], v[213:214]
	v_rcp_f64_e32 v[219:220], v[217:218]
	v_fma_f64 v[221:222], -v[217:218], v[219:220], 1.0
	v_fma_f64 v[219:220], v[219:220], v[221:222], v[219:220]
	v_fma_f64 v[221:222], -v[217:218], v[219:220], 1.0
	v_fma_f64 v[219:220], v[219:220], v[221:222], v[219:220]
	v_mul_f64 v[221:222], v[223:224], v[219:220]
	v_fma_f64 v[217:218], -v[217:218], v[221:222], v[223:224]
	v_div_fmas_f64 v[217:218], v[217:218], v[219:220], v[221:222]
	v_div_fixup_f64 v[217:218], v[217:218], v[215:216], v[213:214]
	v_fma_f64 v[213:214], v[213:214], v[217:218], v[215:216]
	v_div_scale_f64 v[215:216], null, v[213:214], v[213:214], 1.0
	v_rcp_f64_e32 v[219:220], v[215:216]
	v_fma_f64 v[221:222], -v[215:216], v[219:220], 1.0
	v_fma_f64 v[219:220], v[219:220], v[221:222], v[219:220]
	v_fma_f64 v[221:222], -v[215:216], v[219:220], 1.0
	v_fma_f64 v[219:220], v[219:220], v[221:222], v[219:220]
	v_div_scale_f64 v[221:222], vcc_lo, 1.0, v[213:214], 1.0
	v_mul_f64 v[223:224], v[221:222], v[219:220]
	v_fma_f64 v[215:216], -v[215:216], v[223:224], v[221:222]
	v_div_fmas_f64 v[215:216], v[215:216], v[219:220], v[223:224]
	v_div_fixup_f64 v[219:220], v[215:216], v[213:214], 1.0
                                        ; implicit-def: $vgpr213_vgpr214
	v_mul_f64 v[217:218], v[217:218], v[219:220]
	v_xor_b32_e32 v220, 0x80000000, v220
.LBB109_284:
	s_andn2_saveexec_b32 s1, s1
	s_cbranch_execz .LBB109_286
; %bb.285:
	v_div_scale_f64 v[217:218], null, v[213:214], v[213:214], v[215:216]
	v_div_scale_f64 v[223:224], vcc_lo, v[215:216], v[213:214], v[215:216]
	v_rcp_f64_e32 v[219:220], v[217:218]
	v_fma_f64 v[221:222], -v[217:218], v[219:220], 1.0
	v_fma_f64 v[219:220], v[219:220], v[221:222], v[219:220]
	v_fma_f64 v[221:222], -v[217:218], v[219:220], 1.0
	v_fma_f64 v[219:220], v[219:220], v[221:222], v[219:220]
	v_mul_f64 v[221:222], v[223:224], v[219:220]
	v_fma_f64 v[217:218], -v[217:218], v[221:222], v[223:224]
	v_div_fmas_f64 v[217:218], v[217:218], v[219:220], v[221:222]
	v_div_fixup_f64 v[219:220], v[217:218], v[213:214], v[215:216]
	v_fma_f64 v[213:214], v[215:216], v[219:220], v[213:214]
	v_div_scale_f64 v[215:216], null, v[213:214], v[213:214], 1.0
	v_rcp_f64_e32 v[217:218], v[215:216]
	v_fma_f64 v[221:222], -v[215:216], v[217:218], 1.0
	v_fma_f64 v[217:218], v[217:218], v[221:222], v[217:218]
	v_fma_f64 v[221:222], -v[215:216], v[217:218], 1.0
	v_fma_f64 v[217:218], v[217:218], v[221:222], v[217:218]
	v_div_scale_f64 v[221:222], vcc_lo, 1.0, v[213:214], 1.0
	v_mul_f64 v[223:224], v[221:222], v[217:218]
	v_fma_f64 v[215:216], -v[215:216], v[223:224], v[221:222]
	v_div_fmas_f64 v[215:216], v[215:216], v[217:218], v[223:224]
	v_div_fixup_f64 v[217:218], v[215:216], v[213:214], 1.0
	v_mul_f64 v[219:220], v[219:220], -v[217:218]
.LBB109_286:
	s_or_b32 exec_lo, exec_lo, s1
	ds_write2_b64 v255, v[217:218], v[219:220] offset1:1
.LBB109_287:
	s_or_b32 exec_lo, exec_lo, s2
	s_waitcnt lgkmcnt(0)
	s_barrier
	buffer_gl0_inv
	ds_read2_b64 v[213:216], v255 offset1:1
	s_mov_b32 s1, exec_lo
	s_waitcnt lgkmcnt(0)
	buffer_store_dword v213, off, s[16:19], 0 offset:952 ; 4-byte Folded Spill
	buffer_store_dword v214, off, s[16:19], 0 offset:956 ; 4-byte Folded Spill
	;; [unrolled: 1-line block ×4, first 2 shown]
	v_cmpx_lt_u32_e32 31, v0
	s_cbranch_execz .LBB109_289
; %bb.288:
	s_clause 0x3
	buffer_load_dword v215, off, s[16:19], 0 offset:952
	buffer_load_dword v216, off, s[16:19], 0 offset:956
	;; [unrolled: 1-line block ×4, first 2 shown]
	s_waitcnt vmcnt(0)
	v_mul_f64 v[213:214], v[217:218], v[95:96]
	v_mul_f64 v[95:96], v[215:216], v[95:96]
	v_fma_f64 v[213:214], v[215:216], v[93:94], -v[213:214]
	v_fma_f64 v[95:96], v[217:218], v[93:94], v[95:96]
	ds_read2_b64 v[215:218], v253 offset0:64 offset1:65
	s_waitcnt lgkmcnt(0)
	v_mul_f64 v[93:94], v[217:218], v[95:96]
	v_fma_f64 v[93:94], v[215:216], v[213:214], -v[93:94]
	v_mul_f64 v[215:216], v[215:216], v[95:96]
	v_add_f64 v[89:90], v[89:90], -v[93:94]
	v_fma_f64 v[215:216], v[217:218], v[213:214], v[215:216]
	v_add_f64 v[91:92], v[91:92], -v[215:216]
	ds_read2_b64 v[215:218], v253 offset0:66 offset1:67
	s_waitcnt lgkmcnt(0)
	v_mul_f64 v[93:94], v[217:218], v[95:96]
	v_fma_f64 v[93:94], v[215:216], v[213:214], -v[93:94]
	v_mul_f64 v[215:216], v[215:216], v[95:96]
	v_add_f64 v[85:86], v[85:86], -v[93:94]
	v_fma_f64 v[215:216], v[217:218], v[213:214], v[215:216]
	v_add_f64 v[87:88], v[87:88], -v[215:216]
	;; [unrolled: 8-line block ×22, first 2 shown]
	ds_read2_b64 v[215:218], v253 offset0:108 offset1:109
	s_waitcnt lgkmcnt(0)
	v_mul_f64 v[93:94], v[217:218], v[95:96]
	v_fma_f64 v[93:94], v[215:216], v[213:214], -v[93:94]
	v_mul_f64 v[215:216], v[215:216], v[95:96]
	v_add_f64 v[1:2], v[1:2], -v[93:94]
	v_fma_f64 v[215:216], v[217:218], v[213:214], v[215:216]
	v_mov_b32_e32 v93, v213
	v_mov_b32_e32 v94, v214
	v_add_f64 v[3:4], v[3:4], -v[215:216]
.LBB109_289:
	s_or_b32 exec_lo, exec_lo, s1
	s_mov_b32 s2, exec_lo
	s_waitcnt_vscnt null, 0x0
	s_barrier
	buffer_gl0_inv
	v_cmpx_eq_u32_e32 32, v0
	s_cbranch_execz .LBB109_296
; %bb.290:
	ds_write2_b64 v255, v[89:90], v[91:92] offset1:1
	ds_write2_b64 v253, v[85:86], v[87:88] offset0:66 offset1:67
	ds_write2_b64 v253, v[81:82], v[83:84] offset0:68 offset1:69
	;; [unrolled: 1-line block ×22, first 2 shown]
	ds_read2_b64 v[213:216], v255 offset1:1
	s_waitcnt lgkmcnt(0)
	v_cmp_neq_f64_e32 vcc_lo, 0, v[213:214]
	v_cmp_neq_f64_e64 s1, 0, v[215:216]
	s_or_b32 s1, vcc_lo, s1
	s_and_b32 exec_lo, exec_lo, s1
	s_cbranch_execz .LBB109_296
; %bb.291:
	v_cmp_ngt_f64_e64 s1, |v[213:214]|, |v[215:216]|
                                        ; implicit-def: $vgpr217_vgpr218
	s_and_saveexec_b32 s3, s1
	s_xor_b32 s1, exec_lo, s3
                                        ; implicit-def: $vgpr219_vgpr220
	s_cbranch_execz .LBB109_293
; %bb.292:
	v_div_scale_f64 v[217:218], null, v[215:216], v[215:216], v[213:214]
	v_div_scale_f64 v[223:224], vcc_lo, v[213:214], v[215:216], v[213:214]
	v_rcp_f64_e32 v[219:220], v[217:218]
	v_fma_f64 v[221:222], -v[217:218], v[219:220], 1.0
	v_fma_f64 v[219:220], v[219:220], v[221:222], v[219:220]
	v_fma_f64 v[221:222], -v[217:218], v[219:220], 1.0
	v_fma_f64 v[219:220], v[219:220], v[221:222], v[219:220]
	v_mul_f64 v[221:222], v[223:224], v[219:220]
	v_fma_f64 v[217:218], -v[217:218], v[221:222], v[223:224]
	v_div_fmas_f64 v[217:218], v[217:218], v[219:220], v[221:222]
	v_div_fixup_f64 v[217:218], v[217:218], v[215:216], v[213:214]
	v_fma_f64 v[213:214], v[213:214], v[217:218], v[215:216]
	v_div_scale_f64 v[215:216], null, v[213:214], v[213:214], 1.0
	v_rcp_f64_e32 v[219:220], v[215:216]
	v_fma_f64 v[221:222], -v[215:216], v[219:220], 1.0
	v_fma_f64 v[219:220], v[219:220], v[221:222], v[219:220]
	v_fma_f64 v[221:222], -v[215:216], v[219:220], 1.0
	v_fma_f64 v[219:220], v[219:220], v[221:222], v[219:220]
	v_div_scale_f64 v[221:222], vcc_lo, 1.0, v[213:214], 1.0
	v_mul_f64 v[223:224], v[221:222], v[219:220]
	v_fma_f64 v[215:216], -v[215:216], v[223:224], v[221:222]
	v_div_fmas_f64 v[215:216], v[215:216], v[219:220], v[223:224]
	v_div_fixup_f64 v[219:220], v[215:216], v[213:214], 1.0
                                        ; implicit-def: $vgpr213_vgpr214
	v_mul_f64 v[217:218], v[217:218], v[219:220]
	v_xor_b32_e32 v220, 0x80000000, v220
.LBB109_293:
	s_andn2_saveexec_b32 s1, s1
	s_cbranch_execz .LBB109_295
; %bb.294:
	v_div_scale_f64 v[217:218], null, v[213:214], v[213:214], v[215:216]
	v_div_scale_f64 v[223:224], vcc_lo, v[215:216], v[213:214], v[215:216]
	v_rcp_f64_e32 v[219:220], v[217:218]
	v_fma_f64 v[221:222], -v[217:218], v[219:220], 1.0
	v_fma_f64 v[219:220], v[219:220], v[221:222], v[219:220]
	v_fma_f64 v[221:222], -v[217:218], v[219:220], 1.0
	v_fma_f64 v[219:220], v[219:220], v[221:222], v[219:220]
	v_mul_f64 v[221:222], v[223:224], v[219:220]
	v_fma_f64 v[217:218], -v[217:218], v[221:222], v[223:224]
	v_div_fmas_f64 v[217:218], v[217:218], v[219:220], v[221:222]
	v_div_fixup_f64 v[219:220], v[217:218], v[213:214], v[215:216]
	v_fma_f64 v[213:214], v[215:216], v[219:220], v[213:214]
	v_div_scale_f64 v[215:216], null, v[213:214], v[213:214], 1.0
	v_rcp_f64_e32 v[217:218], v[215:216]
	v_fma_f64 v[221:222], -v[215:216], v[217:218], 1.0
	v_fma_f64 v[217:218], v[217:218], v[221:222], v[217:218]
	v_fma_f64 v[221:222], -v[215:216], v[217:218], 1.0
	v_fma_f64 v[217:218], v[217:218], v[221:222], v[217:218]
	v_div_scale_f64 v[221:222], vcc_lo, 1.0, v[213:214], 1.0
	v_mul_f64 v[223:224], v[221:222], v[217:218]
	v_fma_f64 v[215:216], -v[215:216], v[223:224], v[221:222]
	v_div_fmas_f64 v[215:216], v[215:216], v[217:218], v[223:224]
	v_div_fixup_f64 v[217:218], v[215:216], v[213:214], 1.0
	v_mul_f64 v[219:220], v[219:220], -v[217:218]
.LBB109_295:
	s_or_b32 exec_lo, exec_lo, s1
	ds_write2_b64 v255, v[217:218], v[219:220] offset1:1
.LBB109_296:
	s_or_b32 exec_lo, exec_lo, s2
	s_waitcnt lgkmcnt(0)
	s_barrier
	buffer_gl0_inv
	ds_read2_b64 v[213:216], v255 offset1:1
	s_mov_b32 s1, exec_lo
	s_waitcnt lgkmcnt(0)
	buffer_store_dword v213, off, s[16:19], 0 offset:968 ; 4-byte Folded Spill
	buffer_store_dword v214, off, s[16:19], 0 offset:972 ; 4-byte Folded Spill
	;; [unrolled: 1-line block ×4, first 2 shown]
	v_cmpx_lt_u32_e32 32, v0
	s_cbranch_execz .LBB109_298
; %bb.297:
	s_clause 0x3
	buffer_load_dword v215, off, s[16:19], 0 offset:968
	buffer_load_dword v216, off, s[16:19], 0 offset:972
	;; [unrolled: 1-line block ×4, first 2 shown]
	s_waitcnt vmcnt(0)
	v_mul_f64 v[213:214], v[217:218], v[91:92]
	v_mul_f64 v[91:92], v[215:216], v[91:92]
	v_fma_f64 v[213:214], v[215:216], v[89:90], -v[213:214]
	v_fma_f64 v[91:92], v[217:218], v[89:90], v[91:92]
	ds_read2_b64 v[215:218], v253 offset0:66 offset1:67
	s_waitcnt lgkmcnt(0)
	v_mul_f64 v[89:90], v[217:218], v[91:92]
	v_fma_f64 v[89:90], v[215:216], v[213:214], -v[89:90]
	v_mul_f64 v[215:216], v[215:216], v[91:92]
	v_add_f64 v[85:86], v[85:86], -v[89:90]
	v_fma_f64 v[215:216], v[217:218], v[213:214], v[215:216]
	v_add_f64 v[87:88], v[87:88], -v[215:216]
	ds_read2_b64 v[215:218], v253 offset0:68 offset1:69
	s_waitcnt lgkmcnt(0)
	v_mul_f64 v[89:90], v[217:218], v[91:92]
	v_fma_f64 v[89:90], v[215:216], v[213:214], -v[89:90]
	v_mul_f64 v[215:216], v[215:216], v[91:92]
	v_add_f64 v[81:82], v[81:82], -v[89:90]
	v_fma_f64 v[215:216], v[217:218], v[213:214], v[215:216]
	v_add_f64 v[83:84], v[83:84], -v[215:216]
	;; [unrolled: 8-line block ×21, first 2 shown]
	ds_read2_b64 v[215:218], v253 offset0:108 offset1:109
	s_waitcnt lgkmcnt(0)
	v_mul_f64 v[89:90], v[217:218], v[91:92]
	v_fma_f64 v[89:90], v[215:216], v[213:214], -v[89:90]
	v_mul_f64 v[215:216], v[215:216], v[91:92]
	v_add_f64 v[1:2], v[1:2], -v[89:90]
	v_fma_f64 v[215:216], v[217:218], v[213:214], v[215:216]
	v_mov_b32_e32 v89, v213
	v_mov_b32_e32 v90, v214
	v_add_f64 v[3:4], v[3:4], -v[215:216]
.LBB109_298:
	s_or_b32 exec_lo, exec_lo, s1
	s_mov_b32 s2, exec_lo
	s_waitcnt_vscnt null, 0x0
	s_barrier
	buffer_gl0_inv
	v_cmpx_eq_u32_e32 33, v0
	s_cbranch_execz .LBB109_305
; %bb.299:
	ds_write2_b64 v255, v[85:86], v[87:88] offset1:1
	ds_write2_b64 v253, v[81:82], v[83:84] offset0:68 offset1:69
	ds_write2_b64 v253, v[77:78], v[79:80] offset0:70 offset1:71
	;; [unrolled: 1-line block ×21, first 2 shown]
	ds_read2_b64 v[213:216], v255 offset1:1
	s_waitcnt lgkmcnt(0)
	v_cmp_neq_f64_e32 vcc_lo, 0, v[213:214]
	v_cmp_neq_f64_e64 s1, 0, v[215:216]
	s_or_b32 s1, vcc_lo, s1
	s_and_b32 exec_lo, exec_lo, s1
	s_cbranch_execz .LBB109_305
; %bb.300:
	v_cmp_ngt_f64_e64 s1, |v[213:214]|, |v[215:216]|
                                        ; implicit-def: $vgpr217_vgpr218
	s_and_saveexec_b32 s3, s1
	s_xor_b32 s1, exec_lo, s3
                                        ; implicit-def: $vgpr219_vgpr220
	s_cbranch_execz .LBB109_302
; %bb.301:
	v_div_scale_f64 v[217:218], null, v[215:216], v[215:216], v[213:214]
	v_div_scale_f64 v[223:224], vcc_lo, v[213:214], v[215:216], v[213:214]
	v_rcp_f64_e32 v[219:220], v[217:218]
	v_fma_f64 v[221:222], -v[217:218], v[219:220], 1.0
	v_fma_f64 v[219:220], v[219:220], v[221:222], v[219:220]
	v_fma_f64 v[221:222], -v[217:218], v[219:220], 1.0
	v_fma_f64 v[219:220], v[219:220], v[221:222], v[219:220]
	v_mul_f64 v[221:222], v[223:224], v[219:220]
	v_fma_f64 v[217:218], -v[217:218], v[221:222], v[223:224]
	v_div_fmas_f64 v[217:218], v[217:218], v[219:220], v[221:222]
	v_div_fixup_f64 v[217:218], v[217:218], v[215:216], v[213:214]
	v_fma_f64 v[213:214], v[213:214], v[217:218], v[215:216]
	v_div_scale_f64 v[215:216], null, v[213:214], v[213:214], 1.0
	v_rcp_f64_e32 v[219:220], v[215:216]
	v_fma_f64 v[221:222], -v[215:216], v[219:220], 1.0
	v_fma_f64 v[219:220], v[219:220], v[221:222], v[219:220]
	v_fma_f64 v[221:222], -v[215:216], v[219:220], 1.0
	v_fma_f64 v[219:220], v[219:220], v[221:222], v[219:220]
	v_div_scale_f64 v[221:222], vcc_lo, 1.0, v[213:214], 1.0
	v_mul_f64 v[223:224], v[221:222], v[219:220]
	v_fma_f64 v[215:216], -v[215:216], v[223:224], v[221:222]
	v_div_fmas_f64 v[215:216], v[215:216], v[219:220], v[223:224]
	v_div_fixup_f64 v[219:220], v[215:216], v[213:214], 1.0
                                        ; implicit-def: $vgpr213_vgpr214
	v_mul_f64 v[217:218], v[217:218], v[219:220]
	v_xor_b32_e32 v220, 0x80000000, v220
.LBB109_302:
	s_andn2_saveexec_b32 s1, s1
	s_cbranch_execz .LBB109_304
; %bb.303:
	v_div_scale_f64 v[217:218], null, v[213:214], v[213:214], v[215:216]
	v_div_scale_f64 v[223:224], vcc_lo, v[215:216], v[213:214], v[215:216]
	v_rcp_f64_e32 v[219:220], v[217:218]
	v_fma_f64 v[221:222], -v[217:218], v[219:220], 1.0
	v_fma_f64 v[219:220], v[219:220], v[221:222], v[219:220]
	v_fma_f64 v[221:222], -v[217:218], v[219:220], 1.0
	v_fma_f64 v[219:220], v[219:220], v[221:222], v[219:220]
	v_mul_f64 v[221:222], v[223:224], v[219:220]
	v_fma_f64 v[217:218], -v[217:218], v[221:222], v[223:224]
	v_div_fmas_f64 v[217:218], v[217:218], v[219:220], v[221:222]
	v_div_fixup_f64 v[219:220], v[217:218], v[213:214], v[215:216]
	v_fma_f64 v[213:214], v[215:216], v[219:220], v[213:214]
	v_div_scale_f64 v[215:216], null, v[213:214], v[213:214], 1.0
	v_rcp_f64_e32 v[217:218], v[215:216]
	v_fma_f64 v[221:222], -v[215:216], v[217:218], 1.0
	v_fma_f64 v[217:218], v[217:218], v[221:222], v[217:218]
	v_fma_f64 v[221:222], -v[215:216], v[217:218], 1.0
	v_fma_f64 v[217:218], v[217:218], v[221:222], v[217:218]
	v_div_scale_f64 v[221:222], vcc_lo, 1.0, v[213:214], 1.0
	v_mul_f64 v[223:224], v[221:222], v[217:218]
	v_fma_f64 v[215:216], -v[215:216], v[223:224], v[221:222]
	v_div_fmas_f64 v[215:216], v[215:216], v[217:218], v[223:224]
	v_div_fixup_f64 v[217:218], v[215:216], v[213:214], 1.0
	v_mul_f64 v[219:220], v[219:220], -v[217:218]
.LBB109_304:
	s_or_b32 exec_lo, exec_lo, s1
	ds_write2_b64 v255, v[217:218], v[219:220] offset1:1
.LBB109_305:
	s_or_b32 exec_lo, exec_lo, s2
	s_waitcnt lgkmcnt(0)
	s_barrier
	buffer_gl0_inv
	ds_read2_b64 v[213:216], v255 offset1:1
	s_mov_b32 s1, exec_lo
	s_waitcnt lgkmcnt(0)
	buffer_store_dword v213, off, s[16:19], 0 offset:984 ; 4-byte Folded Spill
	buffer_store_dword v214, off, s[16:19], 0 offset:988 ; 4-byte Folded Spill
	;; [unrolled: 1-line block ×4, first 2 shown]
	v_cmpx_lt_u32_e32 33, v0
	s_cbranch_execz .LBB109_307
; %bb.306:
	s_clause 0x3
	buffer_load_dword v215, off, s[16:19], 0 offset:984
	buffer_load_dword v216, off, s[16:19], 0 offset:988
	;; [unrolled: 1-line block ×4, first 2 shown]
	s_waitcnt vmcnt(0)
	v_mul_f64 v[213:214], v[217:218], v[87:88]
	v_mul_f64 v[87:88], v[215:216], v[87:88]
	v_fma_f64 v[213:214], v[215:216], v[85:86], -v[213:214]
	v_fma_f64 v[87:88], v[217:218], v[85:86], v[87:88]
	ds_read2_b64 v[215:218], v253 offset0:68 offset1:69
	s_waitcnt lgkmcnt(0)
	v_mul_f64 v[85:86], v[217:218], v[87:88]
	v_fma_f64 v[85:86], v[215:216], v[213:214], -v[85:86]
	v_mul_f64 v[215:216], v[215:216], v[87:88]
	v_add_f64 v[81:82], v[81:82], -v[85:86]
	v_fma_f64 v[215:216], v[217:218], v[213:214], v[215:216]
	v_add_f64 v[83:84], v[83:84], -v[215:216]
	ds_read2_b64 v[215:218], v253 offset0:70 offset1:71
	s_waitcnt lgkmcnt(0)
	v_mul_f64 v[85:86], v[217:218], v[87:88]
	v_fma_f64 v[85:86], v[215:216], v[213:214], -v[85:86]
	v_mul_f64 v[215:216], v[215:216], v[87:88]
	v_add_f64 v[77:78], v[77:78], -v[85:86]
	v_fma_f64 v[215:216], v[217:218], v[213:214], v[215:216]
	v_add_f64 v[79:80], v[79:80], -v[215:216]
	;; [unrolled: 8-line block ×20, first 2 shown]
	ds_read2_b64 v[215:218], v253 offset0:108 offset1:109
	s_waitcnt lgkmcnt(0)
	v_mul_f64 v[85:86], v[217:218], v[87:88]
	v_fma_f64 v[85:86], v[215:216], v[213:214], -v[85:86]
	v_mul_f64 v[215:216], v[215:216], v[87:88]
	v_add_f64 v[1:2], v[1:2], -v[85:86]
	v_fma_f64 v[215:216], v[217:218], v[213:214], v[215:216]
	v_mov_b32_e32 v85, v213
	v_mov_b32_e32 v86, v214
	v_add_f64 v[3:4], v[3:4], -v[215:216]
.LBB109_307:
	s_or_b32 exec_lo, exec_lo, s1
	s_mov_b32 s2, exec_lo
	s_waitcnt_vscnt null, 0x0
	s_barrier
	buffer_gl0_inv
	v_cmpx_eq_u32_e32 34, v0
	s_cbranch_execz .LBB109_314
; %bb.308:
	ds_write2_b64 v255, v[81:82], v[83:84] offset1:1
	ds_write2_b64 v253, v[77:78], v[79:80] offset0:70 offset1:71
	ds_write2_b64 v253, v[73:74], v[75:76] offset0:72 offset1:73
	;; [unrolled: 1-line block ×20, first 2 shown]
	ds_read2_b64 v[213:216], v255 offset1:1
	s_waitcnt lgkmcnt(0)
	v_cmp_neq_f64_e32 vcc_lo, 0, v[213:214]
	v_cmp_neq_f64_e64 s1, 0, v[215:216]
	s_or_b32 s1, vcc_lo, s1
	s_and_b32 exec_lo, exec_lo, s1
	s_cbranch_execz .LBB109_314
; %bb.309:
	v_cmp_ngt_f64_e64 s1, |v[213:214]|, |v[215:216]|
                                        ; implicit-def: $vgpr217_vgpr218
	s_and_saveexec_b32 s3, s1
	s_xor_b32 s1, exec_lo, s3
                                        ; implicit-def: $vgpr219_vgpr220
	s_cbranch_execz .LBB109_311
; %bb.310:
	v_div_scale_f64 v[217:218], null, v[215:216], v[215:216], v[213:214]
	v_div_scale_f64 v[223:224], vcc_lo, v[213:214], v[215:216], v[213:214]
	v_rcp_f64_e32 v[219:220], v[217:218]
	v_fma_f64 v[221:222], -v[217:218], v[219:220], 1.0
	v_fma_f64 v[219:220], v[219:220], v[221:222], v[219:220]
	v_fma_f64 v[221:222], -v[217:218], v[219:220], 1.0
	v_fma_f64 v[219:220], v[219:220], v[221:222], v[219:220]
	v_mul_f64 v[221:222], v[223:224], v[219:220]
	v_fma_f64 v[217:218], -v[217:218], v[221:222], v[223:224]
	v_div_fmas_f64 v[217:218], v[217:218], v[219:220], v[221:222]
	v_div_fixup_f64 v[217:218], v[217:218], v[215:216], v[213:214]
	v_fma_f64 v[213:214], v[213:214], v[217:218], v[215:216]
	v_div_scale_f64 v[215:216], null, v[213:214], v[213:214], 1.0
	v_rcp_f64_e32 v[219:220], v[215:216]
	v_fma_f64 v[221:222], -v[215:216], v[219:220], 1.0
	v_fma_f64 v[219:220], v[219:220], v[221:222], v[219:220]
	v_fma_f64 v[221:222], -v[215:216], v[219:220], 1.0
	v_fma_f64 v[219:220], v[219:220], v[221:222], v[219:220]
	v_div_scale_f64 v[221:222], vcc_lo, 1.0, v[213:214], 1.0
	v_mul_f64 v[223:224], v[221:222], v[219:220]
	v_fma_f64 v[215:216], -v[215:216], v[223:224], v[221:222]
	v_div_fmas_f64 v[215:216], v[215:216], v[219:220], v[223:224]
	v_div_fixup_f64 v[219:220], v[215:216], v[213:214], 1.0
                                        ; implicit-def: $vgpr213_vgpr214
	v_mul_f64 v[217:218], v[217:218], v[219:220]
	v_xor_b32_e32 v220, 0x80000000, v220
.LBB109_311:
	s_andn2_saveexec_b32 s1, s1
	s_cbranch_execz .LBB109_313
; %bb.312:
	v_div_scale_f64 v[217:218], null, v[213:214], v[213:214], v[215:216]
	v_div_scale_f64 v[223:224], vcc_lo, v[215:216], v[213:214], v[215:216]
	v_rcp_f64_e32 v[219:220], v[217:218]
	v_fma_f64 v[221:222], -v[217:218], v[219:220], 1.0
	v_fma_f64 v[219:220], v[219:220], v[221:222], v[219:220]
	v_fma_f64 v[221:222], -v[217:218], v[219:220], 1.0
	v_fma_f64 v[219:220], v[219:220], v[221:222], v[219:220]
	v_mul_f64 v[221:222], v[223:224], v[219:220]
	v_fma_f64 v[217:218], -v[217:218], v[221:222], v[223:224]
	v_div_fmas_f64 v[217:218], v[217:218], v[219:220], v[221:222]
	v_div_fixup_f64 v[219:220], v[217:218], v[213:214], v[215:216]
	v_fma_f64 v[213:214], v[215:216], v[219:220], v[213:214]
	v_div_scale_f64 v[215:216], null, v[213:214], v[213:214], 1.0
	v_rcp_f64_e32 v[217:218], v[215:216]
	v_fma_f64 v[221:222], -v[215:216], v[217:218], 1.0
	v_fma_f64 v[217:218], v[217:218], v[221:222], v[217:218]
	v_fma_f64 v[221:222], -v[215:216], v[217:218], 1.0
	v_fma_f64 v[217:218], v[217:218], v[221:222], v[217:218]
	v_div_scale_f64 v[221:222], vcc_lo, 1.0, v[213:214], 1.0
	v_mul_f64 v[223:224], v[221:222], v[217:218]
	v_fma_f64 v[215:216], -v[215:216], v[223:224], v[221:222]
	v_div_fmas_f64 v[215:216], v[215:216], v[217:218], v[223:224]
	v_div_fixup_f64 v[217:218], v[215:216], v[213:214], 1.0
	v_mul_f64 v[219:220], v[219:220], -v[217:218]
.LBB109_313:
	s_or_b32 exec_lo, exec_lo, s1
	ds_write2_b64 v255, v[217:218], v[219:220] offset1:1
.LBB109_314:
	s_or_b32 exec_lo, exec_lo, s2
	s_waitcnt lgkmcnt(0)
	s_barrier
	buffer_gl0_inv
	ds_read2_b64 v[213:216], v255 offset1:1
	s_mov_b32 s1, exec_lo
	s_waitcnt lgkmcnt(0)
	buffer_store_dword v213, off, s[16:19], 0 offset:1000 ; 4-byte Folded Spill
	buffer_store_dword v214, off, s[16:19], 0 offset:1004 ; 4-byte Folded Spill
	;; [unrolled: 1-line block ×4, first 2 shown]
	v_cmpx_lt_u32_e32 34, v0
	s_cbranch_execz .LBB109_316
; %bb.315:
	s_clause 0x3
	buffer_load_dword v215, off, s[16:19], 0 offset:1000
	buffer_load_dword v216, off, s[16:19], 0 offset:1004
	;; [unrolled: 1-line block ×4, first 2 shown]
	s_waitcnt vmcnt(0)
	v_mul_f64 v[213:214], v[217:218], v[83:84]
	v_mul_f64 v[83:84], v[215:216], v[83:84]
	v_fma_f64 v[213:214], v[215:216], v[81:82], -v[213:214]
	v_fma_f64 v[83:84], v[217:218], v[81:82], v[83:84]
	ds_read2_b64 v[215:218], v253 offset0:70 offset1:71
	s_waitcnt lgkmcnt(0)
	v_mul_f64 v[81:82], v[217:218], v[83:84]
	v_fma_f64 v[81:82], v[215:216], v[213:214], -v[81:82]
	v_mul_f64 v[215:216], v[215:216], v[83:84]
	v_add_f64 v[77:78], v[77:78], -v[81:82]
	v_fma_f64 v[215:216], v[217:218], v[213:214], v[215:216]
	v_add_f64 v[79:80], v[79:80], -v[215:216]
	ds_read2_b64 v[215:218], v253 offset0:72 offset1:73
	s_waitcnt lgkmcnt(0)
	v_mul_f64 v[81:82], v[217:218], v[83:84]
	v_fma_f64 v[81:82], v[215:216], v[213:214], -v[81:82]
	v_mul_f64 v[215:216], v[215:216], v[83:84]
	v_add_f64 v[73:74], v[73:74], -v[81:82]
	v_fma_f64 v[215:216], v[217:218], v[213:214], v[215:216]
	v_add_f64 v[75:76], v[75:76], -v[215:216]
	;; [unrolled: 8-line block ×19, first 2 shown]
	ds_read2_b64 v[215:218], v253 offset0:108 offset1:109
	s_waitcnt lgkmcnt(0)
	v_mul_f64 v[81:82], v[217:218], v[83:84]
	v_fma_f64 v[81:82], v[215:216], v[213:214], -v[81:82]
	v_mul_f64 v[215:216], v[215:216], v[83:84]
	v_add_f64 v[1:2], v[1:2], -v[81:82]
	v_fma_f64 v[215:216], v[217:218], v[213:214], v[215:216]
	v_mov_b32_e32 v81, v213
	v_mov_b32_e32 v82, v214
	v_add_f64 v[3:4], v[3:4], -v[215:216]
.LBB109_316:
	s_or_b32 exec_lo, exec_lo, s1
	s_mov_b32 s2, exec_lo
	s_waitcnt_vscnt null, 0x0
	s_barrier
	buffer_gl0_inv
	v_cmpx_eq_u32_e32 35, v0
	s_cbranch_execz .LBB109_323
; %bb.317:
	ds_write2_b64 v255, v[77:78], v[79:80] offset1:1
	ds_write2_b64 v253, v[73:74], v[75:76] offset0:72 offset1:73
	ds_write2_b64 v253, v[69:70], v[71:72] offset0:74 offset1:75
	;; [unrolled: 1-line block ×19, first 2 shown]
	ds_read2_b64 v[213:216], v255 offset1:1
	s_waitcnt lgkmcnt(0)
	v_cmp_neq_f64_e32 vcc_lo, 0, v[213:214]
	v_cmp_neq_f64_e64 s1, 0, v[215:216]
	s_or_b32 s1, vcc_lo, s1
	s_and_b32 exec_lo, exec_lo, s1
	s_cbranch_execz .LBB109_323
; %bb.318:
	v_cmp_ngt_f64_e64 s1, |v[213:214]|, |v[215:216]|
                                        ; implicit-def: $vgpr217_vgpr218
	s_and_saveexec_b32 s3, s1
	s_xor_b32 s1, exec_lo, s3
                                        ; implicit-def: $vgpr219_vgpr220
	s_cbranch_execz .LBB109_320
; %bb.319:
	v_div_scale_f64 v[217:218], null, v[215:216], v[215:216], v[213:214]
	v_div_scale_f64 v[223:224], vcc_lo, v[213:214], v[215:216], v[213:214]
	v_rcp_f64_e32 v[219:220], v[217:218]
	v_fma_f64 v[221:222], -v[217:218], v[219:220], 1.0
	v_fma_f64 v[219:220], v[219:220], v[221:222], v[219:220]
	v_fma_f64 v[221:222], -v[217:218], v[219:220], 1.0
	v_fma_f64 v[219:220], v[219:220], v[221:222], v[219:220]
	v_mul_f64 v[221:222], v[223:224], v[219:220]
	v_fma_f64 v[217:218], -v[217:218], v[221:222], v[223:224]
	v_div_fmas_f64 v[217:218], v[217:218], v[219:220], v[221:222]
	v_div_fixup_f64 v[217:218], v[217:218], v[215:216], v[213:214]
	v_fma_f64 v[213:214], v[213:214], v[217:218], v[215:216]
	v_div_scale_f64 v[215:216], null, v[213:214], v[213:214], 1.0
	v_rcp_f64_e32 v[219:220], v[215:216]
	v_fma_f64 v[221:222], -v[215:216], v[219:220], 1.0
	v_fma_f64 v[219:220], v[219:220], v[221:222], v[219:220]
	v_fma_f64 v[221:222], -v[215:216], v[219:220], 1.0
	v_fma_f64 v[219:220], v[219:220], v[221:222], v[219:220]
	v_div_scale_f64 v[221:222], vcc_lo, 1.0, v[213:214], 1.0
	v_mul_f64 v[223:224], v[221:222], v[219:220]
	v_fma_f64 v[215:216], -v[215:216], v[223:224], v[221:222]
	v_div_fmas_f64 v[215:216], v[215:216], v[219:220], v[223:224]
	v_div_fixup_f64 v[219:220], v[215:216], v[213:214], 1.0
                                        ; implicit-def: $vgpr213_vgpr214
	v_mul_f64 v[217:218], v[217:218], v[219:220]
	v_xor_b32_e32 v220, 0x80000000, v220
.LBB109_320:
	s_andn2_saveexec_b32 s1, s1
	s_cbranch_execz .LBB109_322
; %bb.321:
	v_div_scale_f64 v[217:218], null, v[213:214], v[213:214], v[215:216]
	v_div_scale_f64 v[223:224], vcc_lo, v[215:216], v[213:214], v[215:216]
	v_rcp_f64_e32 v[219:220], v[217:218]
	v_fma_f64 v[221:222], -v[217:218], v[219:220], 1.0
	v_fma_f64 v[219:220], v[219:220], v[221:222], v[219:220]
	v_fma_f64 v[221:222], -v[217:218], v[219:220], 1.0
	v_fma_f64 v[219:220], v[219:220], v[221:222], v[219:220]
	v_mul_f64 v[221:222], v[223:224], v[219:220]
	v_fma_f64 v[217:218], -v[217:218], v[221:222], v[223:224]
	v_div_fmas_f64 v[217:218], v[217:218], v[219:220], v[221:222]
	v_div_fixup_f64 v[219:220], v[217:218], v[213:214], v[215:216]
	v_fma_f64 v[213:214], v[215:216], v[219:220], v[213:214]
	v_div_scale_f64 v[215:216], null, v[213:214], v[213:214], 1.0
	v_rcp_f64_e32 v[217:218], v[215:216]
	v_fma_f64 v[221:222], -v[215:216], v[217:218], 1.0
	v_fma_f64 v[217:218], v[217:218], v[221:222], v[217:218]
	v_fma_f64 v[221:222], -v[215:216], v[217:218], 1.0
	v_fma_f64 v[217:218], v[217:218], v[221:222], v[217:218]
	v_div_scale_f64 v[221:222], vcc_lo, 1.0, v[213:214], 1.0
	v_mul_f64 v[223:224], v[221:222], v[217:218]
	v_fma_f64 v[215:216], -v[215:216], v[223:224], v[221:222]
	v_div_fmas_f64 v[215:216], v[215:216], v[217:218], v[223:224]
	v_div_fixup_f64 v[217:218], v[215:216], v[213:214], 1.0
	v_mul_f64 v[219:220], v[219:220], -v[217:218]
.LBB109_322:
	s_or_b32 exec_lo, exec_lo, s1
	ds_write2_b64 v255, v[217:218], v[219:220] offset1:1
.LBB109_323:
	s_or_b32 exec_lo, exec_lo, s2
	s_waitcnt lgkmcnt(0)
	s_barrier
	buffer_gl0_inv
	ds_read2_b64 v[213:216], v255 offset1:1
	s_mov_b32 s1, exec_lo
	s_waitcnt lgkmcnt(0)
	buffer_store_dword v213, off, s[16:19], 0 offset:1016 ; 4-byte Folded Spill
	buffer_store_dword v214, off, s[16:19], 0 offset:1020 ; 4-byte Folded Spill
	buffer_store_dword v215, off, s[16:19], 0 offset:1024 ; 4-byte Folded Spill
	buffer_store_dword v216, off, s[16:19], 0 offset:1028 ; 4-byte Folded Spill
	v_cmpx_lt_u32_e32 35, v0
	s_cbranch_execz .LBB109_325
; %bb.324:
	s_clause 0x3
	buffer_load_dword v215, off, s[16:19], 0 offset:1016
	buffer_load_dword v216, off, s[16:19], 0 offset:1020
	;; [unrolled: 1-line block ×4, first 2 shown]
	s_waitcnt vmcnt(0)
	v_mul_f64 v[213:214], v[217:218], v[79:80]
	v_mul_f64 v[79:80], v[215:216], v[79:80]
	v_fma_f64 v[213:214], v[215:216], v[77:78], -v[213:214]
	v_fma_f64 v[79:80], v[217:218], v[77:78], v[79:80]
	ds_read2_b64 v[215:218], v253 offset0:72 offset1:73
	s_waitcnt lgkmcnt(0)
	v_mul_f64 v[77:78], v[217:218], v[79:80]
	v_fma_f64 v[77:78], v[215:216], v[213:214], -v[77:78]
	v_mul_f64 v[215:216], v[215:216], v[79:80]
	v_add_f64 v[73:74], v[73:74], -v[77:78]
	v_fma_f64 v[215:216], v[217:218], v[213:214], v[215:216]
	v_add_f64 v[75:76], v[75:76], -v[215:216]
	ds_read2_b64 v[215:218], v253 offset0:74 offset1:75
	s_waitcnt lgkmcnt(0)
	v_mul_f64 v[77:78], v[217:218], v[79:80]
	v_fma_f64 v[77:78], v[215:216], v[213:214], -v[77:78]
	v_mul_f64 v[215:216], v[215:216], v[79:80]
	v_add_f64 v[69:70], v[69:70], -v[77:78]
	v_fma_f64 v[215:216], v[217:218], v[213:214], v[215:216]
	v_add_f64 v[71:72], v[71:72], -v[215:216]
	;; [unrolled: 8-line block ×18, first 2 shown]
	ds_read2_b64 v[215:218], v253 offset0:108 offset1:109
	s_waitcnt lgkmcnt(0)
	v_mul_f64 v[77:78], v[217:218], v[79:80]
	v_fma_f64 v[77:78], v[215:216], v[213:214], -v[77:78]
	v_mul_f64 v[215:216], v[215:216], v[79:80]
	v_add_f64 v[1:2], v[1:2], -v[77:78]
	v_fma_f64 v[215:216], v[217:218], v[213:214], v[215:216]
	v_mov_b32_e32 v77, v213
	v_mov_b32_e32 v78, v214
	v_add_f64 v[3:4], v[3:4], -v[215:216]
.LBB109_325:
	s_or_b32 exec_lo, exec_lo, s1
	s_mov_b32 s2, exec_lo
	s_waitcnt_vscnt null, 0x0
	s_barrier
	buffer_gl0_inv
	v_cmpx_eq_u32_e32 36, v0
	s_cbranch_execz .LBB109_332
; %bb.326:
	ds_write2_b64 v255, v[73:74], v[75:76] offset1:1
	ds_write2_b64 v253, v[69:70], v[71:72] offset0:74 offset1:75
	ds_write2_b64 v253, v[65:66], v[67:68] offset0:76 offset1:77
	;; [unrolled: 1-line block ×18, first 2 shown]
	ds_read2_b64 v[213:216], v255 offset1:1
	s_waitcnt lgkmcnt(0)
	v_cmp_neq_f64_e32 vcc_lo, 0, v[213:214]
	v_cmp_neq_f64_e64 s1, 0, v[215:216]
	s_or_b32 s1, vcc_lo, s1
	s_and_b32 exec_lo, exec_lo, s1
	s_cbranch_execz .LBB109_332
; %bb.327:
	v_cmp_ngt_f64_e64 s1, |v[213:214]|, |v[215:216]|
                                        ; implicit-def: $vgpr217_vgpr218
	s_and_saveexec_b32 s3, s1
	s_xor_b32 s1, exec_lo, s3
                                        ; implicit-def: $vgpr219_vgpr220
	s_cbranch_execz .LBB109_329
; %bb.328:
	v_div_scale_f64 v[217:218], null, v[215:216], v[215:216], v[213:214]
	v_div_scale_f64 v[223:224], vcc_lo, v[213:214], v[215:216], v[213:214]
	v_rcp_f64_e32 v[219:220], v[217:218]
	v_fma_f64 v[221:222], -v[217:218], v[219:220], 1.0
	v_fma_f64 v[219:220], v[219:220], v[221:222], v[219:220]
	v_fma_f64 v[221:222], -v[217:218], v[219:220], 1.0
	v_fma_f64 v[219:220], v[219:220], v[221:222], v[219:220]
	v_mul_f64 v[221:222], v[223:224], v[219:220]
	v_fma_f64 v[217:218], -v[217:218], v[221:222], v[223:224]
	v_div_fmas_f64 v[217:218], v[217:218], v[219:220], v[221:222]
	v_div_fixup_f64 v[217:218], v[217:218], v[215:216], v[213:214]
	v_fma_f64 v[213:214], v[213:214], v[217:218], v[215:216]
	v_div_scale_f64 v[215:216], null, v[213:214], v[213:214], 1.0
	v_rcp_f64_e32 v[219:220], v[215:216]
	v_fma_f64 v[221:222], -v[215:216], v[219:220], 1.0
	v_fma_f64 v[219:220], v[219:220], v[221:222], v[219:220]
	v_fma_f64 v[221:222], -v[215:216], v[219:220], 1.0
	v_fma_f64 v[219:220], v[219:220], v[221:222], v[219:220]
	v_div_scale_f64 v[221:222], vcc_lo, 1.0, v[213:214], 1.0
	v_mul_f64 v[223:224], v[221:222], v[219:220]
	v_fma_f64 v[215:216], -v[215:216], v[223:224], v[221:222]
	v_div_fmas_f64 v[215:216], v[215:216], v[219:220], v[223:224]
	v_div_fixup_f64 v[219:220], v[215:216], v[213:214], 1.0
                                        ; implicit-def: $vgpr213_vgpr214
	v_mul_f64 v[217:218], v[217:218], v[219:220]
	v_xor_b32_e32 v220, 0x80000000, v220
.LBB109_329:
	s_andn2_saveexec_b32 s1, s1
	s_cbranch_execz .LBB109_331
; %bb.330:
	v_div_scale_f64 v[217:218], null, v[213:214], v[213:214], v[215:216]
	v_div_scale_f64 v[223:224], vcc_lo, v[215:216], v[213:214], v[215:216]
	v_rcp_f64_e32 v[219:220], v[217:218]
	v_fma_f64 v[221:222], -v[217:218], v[219:220], 1.0
	v_fma_f64 v[219:220], v[219:220], v[221:222], v[219:220]
	v_fma_f64 v[221:222], -v[217:218], v[219:220], 1.0
	v_fma_f64 v[219:220], v[219:220], v[221:222], v[219:220]
	v_mul_f64 v[221:222], v[223:224], v[219:220]
	v_fma_f64 v[217:218], -v[217:218], v[221:222], v[223:224]
	v_div_fmas_f64 v[217:218], v[217:218], v[219:220], v[221:222]
	v_div_fixup_f64 v[219:220], v[217:218], v[213:214], v[215:216]
	v_fma_f64 v[213:214], v[215:216], v[219:220], v[213:214]
	v_div_scale_f64 v[215:216], null, v[213:214], v[213:214], 1.0
	v_rcp_f64_e32 v[217:218], v[215:216]
	v_fma_f64 v[221:222], -v[215:216], v[217:218], 1.0
	v_fma_f64 v[217:218], v[217:218], v[221:222], v[217:218]
	v_fma_f64 v[221:222], -v[215:216], v[217:218], 1.0
	v_fma_f64 v[217:218], v[217:218], v[221:222], v[217:218]
	v_div_scale_f64 v[221:222], vcc_lo, 1.0, v[213:214], 1.0
	v_mul_f64 v[223:224], v[221:222], v[217:218]
	v_fma_f64 v[215:216], -v[215:216], v[223:224], v[221:222]
	v_div_fmas_f64 v[215:216], v[215:216], v[217:218], v[223:224]
	v_div_fixup_f64 v[217:218], v[215:216], v[213:214], 1.0
	v_mul_f64 v[219:220], v[219:220], -v[217:218]
.LBB109_331:
	s_or_b32 exec_lo, exec_lo, s1
	ds_write2_b64 v255, v[217:218], v[219:220] offset1:1
.LBB109_332:
	s_or_b32 exec_lo, exec_lo, s2
	s_waitcnt lgkmcnt(0)
	s_barrier
	buffer_gl0_inv
	ds_read2_b64 v[213:216], v255 offset1:1
	s_mov_b32 s1, exec_lo
	s_waitcnt lgkmcnt(0)
	buffer_store_dword v213, off, s[16:19], 0 offset:1032 ; 4-byte Folded Spill
	buffer_store_dword v214, off, s[16:19], 0 offset:1036 ; 4-byte Folded Spill
	;; [unrolled: 1-line block ×4, first 2 shown]
	v_cmpx_lt_u32_e32 36, v0
	s_cbranch_execz .LBB109_334
; %bb.333:
	s_clause 0x3
	buffer_load_dword v215, off, s[16:19], 0 offset:1032
	buffer_load_dword v216, off, s[16:19], 0 offset:1036
	;; [unrolled: 1-line block ×4, first 2 shown]
	s_waitcnt vmcnt(0)
	v_mul_f64 v[213:214], v[217:218], v[75:76]
	v_mul_f64 v[75:76], v[215:216], v[75:76]
	v_fma_f64 v[213:214], v[215:216], v[73:74], -v[213:214]
	v_fma_f64 v[75:76], v[217:218], v[73:74], v[75:76]
	ds_read2_b64 v[215:218], v253 offset0:74 offset1:75
	s_waitcnt lgkmcnt(0)
	v_mul_f64 v[73:74], v[217:218], v[75:76]
	v_fma_f64 v[73:74], v[215:216], v[213:214], -v[73:74]
	v_mul_f64 v[215:216], v[215:216], v[75:76]
	v_add_f64 v[69:70], v[69:70], -v[73:74]
	v_fma_f64 v[215:216], v[217:218], v[213:214], v[215:216]
	v_add_f64 v[71:72], v[71:72], -v[215:216]
	ds_read2_b64 v[215:218], v253 offset0:76 offset1:77
	s_waitcnt lgkmcnt(0)
	v_mul_f64 v[73:74], v[217:218], v[75:76]
	v_fma_f64 v[73:74], v[215:216], v[213:214], -v[73:74]
	v_mul_f64 v[215:216], v[215:216], v[75:76]
	v_add_f64 v[65:66], v[65:66], -v[73:74]
	v_fma_f64 v[215:216], v[217:218], v[213:214], v[215:216]
	v_add_f64 v[67:68], v[67:68], -v[215:216]
	;; [unrolled: 8-line block ×17, first 2 shown]
	ds_read2_b64 v[215:218], v253 offset0:108 offset1:109
	s_waitcnt lgkmcnt(0)
	v_mul_f64 v[73:74], v[217:218], v[75:76]
	v_fma_f64 v[73:74], v[215:216], v[213:214], -v[73:74]
	v_mul_f64 v[215:216], v[215:216], v[75:76]
	v_add_f64 v[1:2], v[1:2], -v[73:74]
	v_fma_f64 v[215:216], v[217:218], v[213:214], v[215:216]
	v_mov_b32_e32 v73, v213
	v_mov_b32_e32 v74, v214
	v_add_f64 v[3:4], v[3:4], -v[215:216]
.LBB109_334:
	s_or_b32 exec_lo, exec_lo, s1
	s_mov_b32 s2, exec_lo
	s_waitcnt_vscnt null, 0x0
	s_barrier
	buffer_gl0_inv
	v_cmpx_eq_u32_e32 37, v0
	s_cbranch_execz .LBB109_341
; %bb.335:
	ds_write2_b64 v255, v[69:70], v[71:72] offset1:1
	ds_write2_b64 v253, v[65:66], v[67:68] offset0:76 offset1:77
	ds_write2_b64 v253, v[61:62], v[63:64] offset0:78 offset1:79
	ds_write2_b64 v253, v[57:58], v[59:60] offset0:80 offset1:81
	ds_write2_b64 v253, v[53:54], v[55:56] offset0:82 offset1:83
	ds_write2_b64 v253, v[49:50], v[51:52] offset0:84 offset1:85
	ds_write2_b64 v253, v[45:46], v[47:48] offset0:86 offset1:87
	ds_write2_b64 v253, v[41:42], v[43:44] offset0:88 offset1:89
	ds_write2_b64 v253, v[37:38], v[39:40] offset0:90 offset1:91
	ds_write2_b64 v253, v[33:34], v[35:36] offset0:92 offset1:93
	ds_write2_b64 v253, v[29:30], v[31:32] offset0:94 offset1:95
	ds_write2_b64 v253, v[25:26], v[27:28] offset0:96 offset1:97
	ds_write2_b64 v253, v[21:22], v[23:24] offset0:98 offset1:99
	ds_write2_b64 v253, v[17:18], v[19:20] offset0:100 offset1:101
	ds_write2_b64 v253, v[13:14], v[15:16] offset0:102 offset1:103
	ds_write2_b64 v253, v[9:10], v[11:12] offset0:104 offset1:105
	ds_write2_b64 v253, v[5:6], v[7:8] offset0:106 offset1:107
	ds_write2_b64 v253, v[1:2], v[3:4] offset0:108 offset1:109
	ds_read2_b64 v[213:216], v255 offset1:1
	s_waitcnt lgkmcnt(0)
	v_cmp_neq_f64_e32 vcc_lo, 0, v[213:214]
	v_cmp_neq_f64_e64 s1, 0, v[215:216]
	s_or_b32 s1, vcc_lo, s1
	s_and_b32 exec_lo, exec_lo, s1
	s_cbranch_execz .LBB109_341
; %bb.336:
	v_cmp_ngt_f64_e64 s1, |v[213:214]|, |v[215:216]|
                                        ; implicit-def: $vgpr217_vgpr218
	s_and_saveexec_b32 s3, s1
	s_xor_b32 s1, exec_lo, s3
                                        ; implicit-def: $vgpr219_vgpr220
	s_cbranch_execz .LBB109_338
; %bb.337:
	v_div_scale_f64 v[217:218], null, v[215:216], v[215:216], v[213:214]
	v_div_scale_f64 v[223:224], vcc_lo, v[213:214], v[215:216], v[213:214]
	v_rcp_f64_e32 v[219:220], v[217:218]
	v_fma_f64 v[221:222], -v[217:218], v[219:220], 1.0
	v_fma_f64 v[219:220], v[219:220], v[221:222], v[219:220]
	v_fma_f64 v[221:222], -v[217:218], v[219:220], 1.0
	v_fma_f64 v[219:220], v[219:220], v[221:222], v[219:220]
	v_mul_f64 v[221:222], v[223:224], v[219:220]
	v_fma_f64 v[217:218], -v[217:218], v[221:222], v[223:224]
	v_div_fmas_f64 v[217:218], v[217:218], v[219:220], v[221:222]
	v_div_fixup_f64 v[217:218], v[217:218], v[215:216], v[213:214]
	v_fma_f64 v[213:214], v[213:214], v[217:218], v[215:216]
	v_div_scale_f64 v[215:216], null, v[213:214], v[213:214], 1.0
	v_rcp_f64_e32 v[219:220], v[215:216]
	v_fma_f64 v[221:222], -v[215:216], v[219:220], 1.0
	v_fma_f64 v[219:220], v[219:220], v[221:222], v[219:220]
	v_fma_f64 v[221:222], -v[215:216], v[219:220], 1.0
	v_fma_f64 v[219:220], v[219:220], v[221:222], v[219:220]
	v_div_scale_f64 v[221:222], vcc_lo, 1.0, v[213:214], 1.0
	v_mul_f64 v[223:224], v[221:222], v[219:220]
	v_fma_f64 v[215:216], -v[215:216], v[223:224], v[221:222]
	v_div_fmas_f64 v[215:216], v[215:216], v[219:220], v[223:224]
	v_div_fixup_f64 v[219:220], v[215:216], v[213:214], 1.0
                                        ; implicit-def: $vgpr213_vgpr214
	v_mul_f64 v[217:218], v[217:218], v[219:220]
	v_xor_b32_e32 v220, 0x80000000, v220
.LBB109_338:
	s_andn2_saveexec_b32 s1, s1
	s_cbranch_execz .LBB109_340
; %bb.339:
	v_div_scale_f64 v[217:218], null, v[213:214], v[213:214], v[215:216]
	v_div_scale_f64 v[223:224], vcc_lo, v[215:216], v[213:214], v[215:216]
	v_rcp_f64_e32 v[219:220], v[217:218]
	v_fma_f64 v[221:222], -v[217:218], v[219:220], 1.0
	v_fma_f64 v[219:220], v[219:220], v[221:222], v[219:220]
	v_fma_f64 v[221:222], -v[217:218], v[219:220], 1.0
	v_fma_f64 v[219:220], v[219:220], v[221:222], v[219:220]
	v_mul_f64 v[221:222], v[223:224], v[219:220]
	v_fma_f64 v[217:218], -v[217:218], v[221:222], v[223:224]
	v_div_fmas_f64 v[217:218], v[217:218], v[219:220], v[221:222]
	v_div_fixup_f64 v[219:220], v[217:218], v[213:214], v[215:216]
	v_fma_f64 v[213:214], v[215:216], v[219:220], v[213:214]
	v_div_scale_f64 v[215:216], null, v[213:214], v[213:214], 1.0
	v_rcp_f64_e32 v[217:218], v[215:216]
	v_fma_f64 v[221:222], -v[215:216], v[217:218], 1.0
	v_fma_f64 v[217:218], v[217:218], v[221:222], v[217:218]
	v_fma_f64 v[221:222], -v[215:216], v[217:218], 1.0
	v_fma_f64 v[217:218], v[217:218], v[221:222], v[217:218]
	v_div_scale_f64 v[221:222], vcc_lo, 1.0, v[213:214], 1.0
	v_mul_f64 v[223:224], v[221:222], v[217:218]
	v_fma_f64 v[215:216], -v[215:216], v[223:224], v[221:222]
	v_div_fmas_f64 v[215:216], v[215:216], v[217:218], v[223:224]
	v_div_fixup_f64 v[217:218], v[215:216], v[213:214], 1.0
	v_mul_f64 v[219:220], v[219:220], -v[217:218]
.LBB109_340:
	s_or_b32 exec_lo, exec_lo, s1
	ds_write2_b64 v255, v[217:218], v[219:220] offset1:1
.LBB109_341:
	s_or_b32 exec_lo, exec_lo, s2
	s_waitcnt lgkmcnt(0)
	s_barrier
	buffer_gl0_inv
	ds_read2_b64 v[213:216], v255 offset1:1
	s_mov_b32 s1, exec_lo
	s_waitcnt lgkmcnt(0)
	buffer_store_dword v213, off, s[16:19], 0 offset:1048 ; 4-byte Folded Spill
	buffer_store_dword v214, off, s[16:19], 0 offset:1052 ; 4-byte Folded Spill
	;; [unrolled: 1-line block ×4, first 2 shown]
	v_cmpx_lt_u32_e32 37, v0
	s_cbranch_execz .LBB109_343
; %bb.342:
	s_clause 0x3
	buffer_load_dword v215, off, s[16:19], 0 offset:1048
	buffer_load_dword v216, off, s[16:19], 0 offset:1052
	;; [unrolled: 1-line block ×4, first 2 shown]
	s_waitcnt vmcnt(0)
	v_mul_f64 v[213:214], v[217:218], v[71:72]
	v_mul_f64 v[71:72], v[215:216], v[71:72]
	v_fma_f64 v[213:214], v[215:216], v[69:70], -v[213:214]
	v_fma_f64 v[71:72], v[217:218], v[69:70], v[71:72]
	ds_read2_b64 v[215:218], v253 offset0:76 offset1:77
	s_waitcnt lgkmcnt(0)
	v_mul_f64 v[69:70], v[217:218], v[71:72]
	v_fma_f64 v[69:70], v[215:216], v[213:214], -v[69:70]
	v_mul_f64 v[215:216], v[215:216], v[71:72]
	v_add_f64 v[65:66], v[65:66], -v[69:70]
	v_fma_f64 v[215:216], v[217:218], v[213:214], v[215:216]
	v_add_f64 v[67:68], v[67:68], -v[215:216]
	ds_read2_b64 v[215:218], v253 offset0:78 offset1:79
	s_waitcnt lgkmcnt(0)
	v_mul_f64 v[69:70], v[217:218], v[71:72]
	v_fma_f64 v[69:70], v[215:216], v[213:214], -v[69:70]
	v_mul_f64 v[215:216], v[215:216], v[71:72]
	v_add_f64 v[61:62], v[61:62], -v[69:70]
	v_fma_f64 v[215:216], v[217:218], v[213:214], v[215:216]
	v_add_f64 v[63:64], v[63:64], -v[215:216]
	;; [unrolled: 8-line block ×16, first 2 shown]
	ds_read2_b64 v[215:218], v253 offset0:108 offset1:109
	s_waitcnt lgkmcnt(0)
	v_mul_f64 v[69:70], v[217:218], v[71:72]
	v_fma_f64 v[69:70], v[215:216], v[213:214], -v[69:70]
	v_mul_f64 v[215:216], v[215:216], v[71:72]
	v_add_f64 v[1:2], v[1:2], -v[69:70]
	v_fma_f64 v[215:216], v[217:218], v[213:214], v[215:216]
	v_mov_b32_e32 v69, v213
	v_mov_b32_e32 v70, v214
	v_add_f64 v[3:4], v[3:4], -v[215:216]
.LBB109_343:
	s_or_b32 exec_lo, exec_lo, s1
	s_mov_b32 s2, exec_lo
	s_waitcnt_vscnt null, 0x0
	s_barrier
	buffer_gl0_inv
	v_cmpx_eq_u32_e32 38, v0
	s_cbranch_execz .LBB109_350
; %bb.344:
	ds_write2_b64 v255, v[65:66], v[67:68] offset1:1
	ds_write2_b64 v253, v[61:62], v[63:64] offset0:78 offset1:79
	ds_write2_b64 v253, v[57:58], v[59:60] offset0:80 offset1:81
	;; [unrolled: 1-line block ×16, first 2 shown]
	ds_read2_b64 v[213:216], v255 offset1:1
	s_waitcnt lgkmcnt(0)
	v_cmp_neq_f64_e32 vcc_lo, 0, v[213:214]
	v_cmp_neq_f64_e64 s1, 0, v[215:216]
	s_or_b32 s1, vcc_lo, s1
	s_and_b32 exec_lo, exec_lo, s1
	s_cbranch_execz .LBB109_350
; %bb.345:
	v_cmp_ngt_f64_e64 s1, |v[213:214]|, |v[215:216]|
                                        ; implicit-def: $vgpr217_vgpr218
	s_and_saveexec_b32 s3, s1
	s_xor_b32 s1, exec_lo, s3
                                        ; implicit-def: $vgpr219_vgpr220
	s_cbranch_execz .LBB109_347
; %bb.346:
	v_div_scale_f64 v[217:218], null, v[215:216], v[215:216], v[213:214]
	v_div_scale_f64 v[223:224], vcc_lo, v[213:214], v[215:216], v[213:214]
	v_rcp_f64_e32 v[219:220], v[217:218]
	v_fma_f64 v[221:222], -v[217:218], v[219:220], 1.0
	v_fma_f64 v[219:220], v[219:220], v[221:222], v[219:220]
	v_fma_f64 v[221:222], -v[217:218], v[219:220], 1.0
	v_fma_f64 v[219:220], v[219:220], v[221:222], v[219:220]
	v_mul_f64 v[221:222], v[223:224], v[219:220]
	v_fma_f64 v[217:218], -v[217:218], v[221:222], v[223:224]
	v_div_fmas_f64 v[217:218], v[217:218], v[219:220], v[221:222]
	v_div_fixup_f64 v[217:218], v[217:218], v[215:216], v[213:214]
	v_fma_f64 v[213:214], v[213:214], v[217:218], v[215:216]
	v_div_scale_f64 v[215:216], null, v[213:214], v[213:214], 1.0
	v_rcp_f64_e32 v[219:220], v[215:216]
	v_fma_f64 v[221:222], -v[215:216], v[219:220], 1.0
	v_fma_f64 v[219:220], v[219:220], v[221:222], v[219:220]
	v_fma_f64 v[221:222], -v[215:216], v[219:220], 1.0
	v_fma_f64 v[219:220], v[219:220], v[221:222], v[219:220]
	v_div_scale_f64 v[221:222], vcc_lo, 1.0, v[213:214], 1.0
	v_mul_f64 v[223:224], v[221:222], v[219:220]
	v_fma_f64 v[215:216], -v[215:216], v[223:224], v[221:222]
	v_div_fmas_f64 v[215:216], v[215:216], v[219:220], v[223:224]
	v_div_fixup_f64 v[219:220], v[215:216], v[213:214], 1.0
                                        ; implicit-def: $vgpr213_vgpr214
	v_mul_f64 v[217:218], v[217:218], v[219:220]
	v_xor_b32_e32 v220, 0x80000000, v220
.LBB109_347:
	s_andn2_saveexec_b32 s1, s1
	s_cbranch_execz .LBB109_349
; %bb.348:
	v_div_scale_f64 v[217:218], null, v[213:214], v[213:214], v[215:216]
	v_div_scale_f64 v[223:224], vcc_lo, v[215:216], v[213:214], v[215:216]
	v_rcp_f64_e32 v[219:220], v[217:218]
	v_fma_f64 v[221:222], -v[217:218], v[219:220], 1.0
	v_fma_f64 v[219:220], v[219:220], v[221:222], v[219:220]
	v_fma_f64 v[221:222], -v[217:218], v[219:220], 1.0
	v_fma_f64 v[219:220], v[219:220], v[221:222], v[219:220]
	v_mul_f64 v[221:222], v[223:224], v[219:220]
	v_fma_f64 v[217:218], -v[217:218], v[221:222], v[223:224]
	v_div_fmas_f64 v[217:218], v[217:218], v[219:220], v[221:222]
	v_div_fixup_f64 v[219:220], v[217:218], v[213:214], v[215:216]
	v_fma_f64 v[213:214], v[215:216], v[219:220], v[213:214]
	v_div_scale_f64 v[215:216], null, v[213:214], v[213:214], 1.0
	v_rcp_f64_e32 v[217:218], v[215:216]
	v_fma_f64 v[221:222], -v[215:216], v[217:218], 1.0
	v_fma_f64 v[217:218], v[217:218], v[221:222], v[217:218]
	v_fma_f64 v[221:222], -v[215:216], v[217:218], 1.0
	v_fma_f64 v[217:218], v[217:218], v[221:222], v[217:218]
	v_div_scale_f64 v[221:222], vcc_lo, 1.0, v[213:214], 1.0
	v_mul_f64 v[223:224], v[221:222], v[217:218]
	v_fma_f64 v[215:216], -v[215:216], v[223:224], v[221:222]
	v_div_fmas_f64 v[215:216], v[215:216], v[217:218], v[223:224]
	v_div_fixup_f64 v[217:218], v[215:216], v[213:214], 1.0
	v_mul_f64 v[219:220], v[219:220], -v[217:218]
.LBB109_349:
	s_or_b32 exec_lo, exec_lo, s1
	ds_write2_b64 v255, v[217:218], v[219:220] offset1:1
.LBB109_350:
	s_or_b32 exec_lo, exec_lo, s2
	s_waitcnt lgkmcnt(0)
	s_barrier
	buffer_gl0_inv
	ds_read2_b64 v[213:216], v255 offset1:1
	s_mov_b32 s1, exec_lo
	s_waitcnt lgkmcnt(0)
	buffer_store_dword v213, off, s[16:19], 0 offset:1064 ; 4-byte Folded Spill
	buffer_store_dword v214, off, s[16:19], 0 offset:1068 ; 4-byte Folded Spill
	;; [unrolled: 1-line block ×4, first 2 shown]
	v_cmpx_lt_u32_e32 38, v0
	s_cbranch_execz .LBB109_352
; %bb.351:
	s_clause 0x3
	buffer_load_dword v215, off, s[16:19], 0 offset:1064
	buffer_load_dword v216, off, s[16:19], 0 offset:1068
	;; [unrolled: 1-line block ×4, first 2 shown]
	s_waitcnt vmcnt(2)
	v_mul_f64 v[213:214], v[215:216], v[67:68]
	s_waitcnt vmcnt(0)
	v_mul_f64 v[67:68], v[217:218], v[67:68]
	v_fma_f64 v[213:214], v[217:218], v[65:66], v[213:214]
	v_fma_f64 v[65:66], v[215:216], v[65:66], -v[67:68]
	ds_read2_b64 v[215:218], v253 offset0:78 offset1:79
	s_waitcnt lgkmcnt(0)
	v_mul_f64 v[67:68], v[217:218], v[213:214]
	v_fma_f64 v[67:68], v[215:216], v[65:66], -v[67:68]
	v_mul_f64 v[215:216], v[215:216], v[213:214]
	v_add_f64 v[61:62], v[61:62], -v[67:68]
	v_fma_f64 v[215:216], v[217:218], v[65:66], v[215:216]
	v_add_f64 v[63:64], v[63:64], -v[215:216]
	ds_read2_b64 v[215:218], v253 offset0:80 offset1:81
	s_waitcnt lgkmcnt(0)
	v_mul_f64 v[67:68], v[217:218], v[213:214]
	v_fma_f64 v[67:68], v[215:216], v[65:66], -v[67:68]
	v_mul_f64 v[215:216], v[215:216], v[213:214]
	v_add_f64 v[57:58], v[57:58], -v[67:68]
	v_fma_f64 v[215:216], v[217:218], v[65:66], v[215:216]
	v_add_f64 v[59:60], v[59:60], -v[215:216]
	;; [unrolled: 8-line block ×15, first 2 shown]
	ds_read2_b64 v[215:218], v253 offset0:108 offset1:109
	s_waitcnt lgkmcnt(0)
	v_mul_f64 v[67:68], v[217:218], v[213:214]
	v_fma_f64 v[67:68], v[215:216], v[65:66], -v[67:68]
	v_mul_f64 v[215:216], v[215:216], v[213:214]
	v_add_f64 v[1:2], v[1:2], -v[67:68]
	v_fma_f64 v[215:216], v[217:218], v[65:66], v[215:216]
	v_mov_b32_e32 v67, v213
	v_mov_b32_e32 v68, v214
	v_add_f64 v[3:4], v[3:4], -v[215:216]
.LBB109_352:
	s_or_b32 exec_lo, exec_lo, s1
	s_mov_b32 s2, exec_lo
	s_waitcnt_vscnt null, 0x0
	s_barrier
	buffer_gl0_inv
	v_cmpx_eq_u32_e32 39, v0
	s_cbranch_execz .LBB109_359
; %bb.353:
	ds_write2_b64 v255, v[61:62], v[63:64] offset1:1
	ds_write2_b64 v253, v[57:58], v[59:60] offset0:80 offset1:81
	ds_write2_b64 v253, v[53:54], v[55:56] offset0:82 offset1:83
	;; [unrolled: 1-line block ×15, first 2 shown]
	ds_read2_b64 v[213:216], v255 offset1:1
	s_waitcnt lgkmcnt(0)
	v_cmp_neq_f64_e32 vcc_lo, 0, v[213:214]
	v_cmp_neq_f64_e64 s1, 0, v[215:216]
	s_or_b32 s1, vcc_lo, s1
	s_and_b32 exec_lo, exec_lo, s1
	s_cbranch_execz .LBB109_359
; %bb.354:
	v_cmp_ngt_f64_e64 s1, |v[213:214]|, |v[215:216]|
                                        ; implicit-def: $vgpr217_vgpr218
	s_and_saveexec_b32 s3, s1
	s_xor_b32 s1, exec_lo, s3
                                        ; implicit-def: $vgpr219_vgpr220
	s_cbranch_execz .LBB109_356
; %bb.355:
	v_div_scale_f64 v[217:218], null, v[215:216], v[215:216], v[213:214]
	v_div_scale_f64 v[223:224], vcc_lo, v[213:214], v[215:216], v[213:214]
	v_rcp_f64_e32 v[219:220], v[217:218]
	v_fma_f64 v[221:222], -v[217:218], v[219:220], 1.0
	v_fma_f64 v[219:220], v[219:220], v[221:222], v[219:220]
	v_fma_f64 v[221:222], -v[217:218], v[219:220], 1.0
	v_fma_f64 v[219:220], v[219:220], v[221:222], v[219:220]
	v_mul_f64 v[221:222], v[223:224], v[219:220]
	v_fma_f64 v[217:218], -v[217:218], v[221:222], v[223:224]
	v_div_fmas_f64 v[217:218], v[217:218], v[219:220], v[221:222]
	v_div_fixup_f64 v[217:218], v[217:218], v[215:216], v[213:214]
	v_fma_f64 v[213:214], v[213:214], v[217:218], v[215:216]
	v_div_scale_f64 v[215:216], null, v[213:214], v[213:214], 1.0
	v_rcp_f64_e32 v[219:220], v[215:216]
	v_fma_f64 v[221:222], -v[215:216], v[219:220], 1.0
	v_fma_f64 v[219:220], v[219:220], v[221:222], v[219:220]
	v_fma_f64 v[221:222], -v[215:216], v[219:220], 1.0
	v_fma_f64 v[219:220], v[219:220], v[221:222], v[219:220]
	v_div_scale_f64 v[221:222], vcc_lo, 1.0, v[213:214], 1.0
	v_mul_f64 v[223:224], v[221:222], v[219:220]
	v_fma_f64 v[215:216], -v[215:216], v[223:224], v[221:222]
	v_div_fmas_f64 v[215:216], v[215:216], v[219:220], v[223:224]
	v_div_fixup_f64 v[219:220], v[215:216], v[213:214], 1.0
                                        ; implicit-def: $vgpr213_vgpr214
	v_mul_f64 v[217:218], v[217:218], v[219:220]
	v_xor_b32_e32 v220, 0x80000000, v220
.LBB109_356:
	s_andn2_saveexec_b32 s1, s1
	s_cbranch_execz .LBB109_358
; %bb.357:
	v_div_scale_f64 v[217:218], null, v[213:214], v[213:214], v[215:216]
	v_div_scale_f64 v[223:224], vcc_lo, v[215:216], v[213:214], v[215:216]
	v_rcp_f64_e32 v[219:220], v[217:218]
	v_fma_f64 v[221:222], -v[217:218], v[219:220], 1.0
	v_fma_f64 v[219:220], v[219:220], v[221:222], v[219:220]
	v_fma_f64 v[221:222], -v[217:218], v[219:220], 1.0
	v_fma_f64 v[219:220], v[219:220], v[221:222], v[219:220]
	v_mul_f64 v[221:222], v[223:224], v[219:220]
	v_fma_f64 v[217:218], -v[217:218], v[221:222], v[223:224]
	v_div_fmas_f64 v[217:218], v[217:218], v[219:220], v[221:222]
	v_div_fixup_f64 v[219:220], v[217:218], v[213:214], v[215:216]
	v_fma_f64 v[213:214], v[215:216], v[219:220], v[213:214]
	v_div_scale_f64 v[215:216], null, v[213:214], v[213:214], 1.0
	v_rcp_f64_e32 v[217:218], v[215:216]
	v_fma_f64 v[221:222], -v[215:216], v[217:218], 1.0
	v_fma_f64 v[217:218], v[217:218], v[221:222], v[217:218]
	v_fma_f64 v[221:222], -v[215:216], v[217:218], 1.0
	v_fma_f64 v[217:218], v[217:218], v[221:222], v[217:218]
	v_div_scale_f64 v[221:222], vcc_lo, 1.0, v[213:214], 1.0
	v_mul_f64 v[223:224], v[221:222], v[217:218]
	v_fma_f64 v[215:216], -v[215:216], v[223:224], v[221:222]
	v_div_fmas_f64 v[215:216], v[215:216], v[217:218], v[223:224]
	v_div_fixup_f64 v[217:218], v[215:216], v[213:214], 1.0
	v_mul_f64 v[219:220], v[219:220], -v[217:218]
.LBB109_358:
	s_or_b32 exec_lo, exec_lo, s1
	ds_write2_b64 v255, v[217:218], v[219:220] offset1:1
.LBB109_359:
	s_or_b32 exec_lo, exec_lo, s2
	s_waitcnt lgkmcnt(0)
	s_barrier
	buffer_gl0_inv
	ds_read2_b64 v[213:216], v255 offset1:1
	s_mov_b32 s1, exec_lo
	s_waitcnt lgkmcnt(0)
	buffer_store_dword v213, off, s[16:19], 0 offset:1080 ; 4-byte Folded Spill
	buffer_store_dword v214, off, s[16:19], 0 offset:1084 ; 4-byte Folded Spill
	;; [unrolled: 1-line block ×4, first 2 shown]
	v_cmpx_lt_u32_e32 39, v0
	s_cbranch_execz .LBB109_361
; %bb.360:
	s_clause 0x3
	buffer_load_dword v215, off, s[16:19], 0 offset:1080
	buffer_load_dword v216, off, s[16:19], 0 offset:1084
	;; [unrolled: 1-line block ×4, first 2 shown]
	s_waitcnt vmcnt(2)
	v_mul_f64 v[213:214], v[215:216], v[63:64]
	s_waitcnt vmcnt(0)
	v_mul_f64 v[63:64], v[217:218], v[63:64]
	v_fma_f64 v[213:214], v[217:218], v[61:62], v[213:214]
	v_fma_f64 v[61:62], v[215:216], v[61:62], -v[63:64]
	ds_read2_b64 v[215:218], v253 offset0:80 offset1:81
	s_waitcnt lgkmcnt(0)
	v_mul_f64 v[63:64], v[217:218], v[213:214]
	v_fma_f64 v[63:64], v[215:216], v[61:62], -v[63:64]
	v_mul_f64 v[215:216], v[215:216], v[213:214]
	v_add_f64 v[57:58], v[57:58], -v[63:64]
	v_fma_f64 v[215:216], v[217:218], v[61:62], v[215:216]
	v_add_f64 v[59:60], v[59:60], -v[215:216]
	ds_read2_b64 v[215:218], v253 offset0:82 offset1:83
	s_waitcnt lgkmcnt(0)
	v_mul_f64 v[63:64], v[217:218], v[213:214]
	v_fma_f64 v[63:64], v[215:216], v[61:62], -v[63:64]
	v_mul_f64 v[215:216], v[215:216], v[213:214]
	v_add_f64 v[53:54], v[53:54], -v[63:64]
	v_fma_f64 v[215:216], v[217:218], v[61:62], v[215:216]
	v_add_f64 v[55:56], v[55:56], -v[215:216]
	;; [unrolled: 8-line block ×14, first 2 shown]
	ds_read2_b64 v[215:218], v253 offset0:108 offset1:109
	s_waitcnt lgkmcnt(0)
	v_mul_f64 v[63:64], v[217:218], v[213:214]
	v_fma_f64 v[63:64], v[215:216], v[61:62], -v[63:64]
	v_mul_f64 v[215:216], v[215:216], v[213:214]
	v_add_f64 v[1:2], v[1:2], -v[63:64]
	v_fma_f64 v[215:216], v[217:218], v[61:62], v[215:216]
	v_mov_b32_e32 v63, v213
	v_mov_b32_e32 v64, v214
	v_add_f64 v[3:4], v[3:4], -v[215:216]
.LBB109_361:
	s_or_b32 exec_lo, exec_lo, s1
	s_mov_b32 s2, exec_lo
	s_waitcnt_vscnt null, 0x0
	s_barrier
	buffer_gl0_inv
	v_cmpx_eq_u32_e32 40, v0
	s_cbranch_execz .LBB109_368
; %bb.362:
	ds_write2_b64 v255, v[57:58], v[59:60] offset1:1
	ds_write2_b64 v253, v[53:54], v[55:56] offset0:82 offset1:83
	ds_write2_b64 v253, v[49:50], v[51:52] offset0:84 offset1:85
	;; [unrolled: 1-line block ×14, first 2 shown]
	ds_read2_b64 v[213:216], v255 offset1:1
	s_waitcnt lgkmcnt(0)
	v_cmp_neq_f64_e32 vcc_lo, 0, v[213:214]
	v_cmp_neq_f64_e64 s1, 0, v[215:216]
	s_or_b32 s1, vcc_lo, s1
	s_and_b32 exec_lo, exec_lo, s1
	s_cbranch_execz .LBB109_368
; %bb.363:
	v_cmp_ngt_f64_e64 s1, |v[213:214]|, |v[215:216]|
                                        ; implicit-def: $vgpr217_vgpr218
	s_and_saveexec_b32 s3, s1
	s_xor_b32 s1, exec_lo, s3
                                        ; implicit-def: $vgpr219_vgpr220
	s_cbranch_execz .LBB109_365
; %bb.364:
	v_div_scale_f64 v[217:218], null, v[215:216], v[215:216], v[213:214]
	v_div_scale_f64 v[223:224], vcc_lo, v[213:214], v[215:216], v[213:214]
	v_rcp_f64_e32 v[219:220], v[217:218]
	v_fma_f64 v[221:222], -v[217:218], v[219:220], 1.0
	v_fma_f64 v[219:220], v[219:220], v[221:222], v[219:220]
	v_fma_f64 v[221:222], -v[217:218], v[219:220], 1.0
	v_fma_f64 v[219:220], v[219:220], v[221:222], v[219:220]
	v_mul_f64 v[221:222], v[223:224], v[219:220]
	v_fma_f64 v[217:218], -v[217:218], v[221:222], v[223:224]
	v_div_fmas_f64 v[217:218], v[217:218], v[219:220], v[221:222]
	v_div_fixup_f64 v[217:218], v[217:218], v[215:216], v[213:214]
	v_fma_f64 v[213:214], v[213:214], v[217:218], v[215:216]
	v_div_scale_f64 v[215:216], null, v[213:214], v[213:214], 1.0
	v_rcp_f64_e32 v[219:220], v[215:216]
	v_fma_f64 v[221:222], -v[215:216], v[219:220], 1.0
	v_fma_f64 v[219:220], v[219:220], v[221:222], v[219:220]
	v_fma_f64 v[221:222], -v[215:216], v[219:220], 1.0
	v_fma_f64 v[219:220], v[219:220], v[221:222], v[219:220]
	v_div_scale_f64 v[221:222], vcc_lo, 1.0, v[213:214], 1.0
	v_mul_f64 v[223:224], v[221:222], v[219:220]
	v_fma_f64 v[215:216], -v[215:216], v[223:224], v[221:222]
	v_div_fmas_f64 v[215:216], v[215:216], v[219:220], v[223:224]
	v_div_fixup_f64 v[219:220], v[215:216], v[213:214], 1.0
                                        ; implicit-def: $vgpr213_vgpr214
	v_mul_f64 v[217:218], v[217:218], v[219:220]
	v_xor_b32_e32 v220, 0x80000000, v220
.LBB109_365:
	s_andn2_saveexec_b32 s1, s1
	s_cbranch_execz .LBB109_367
; %bb.366:
	v_div_scale_f64 v[217:218], null, v[213:214], v[213:214], v[215:216]
	v_div_scale_f64 v[223:224], vcc_lo, v[215:216], v[213:214], v[215:216]
	v_rcp_f64_e32 v[219:220], v[217:218]
	v_fma_f64 v[221:222], -v[217:218], v[219:220], 1.0
	v_fma_f64 v[219:220], v[219:220], v[221:222], v[219:220]
	v_fma_f64 v[221:222], -v[217:218], v[219:220], 1.0
	v_fma_f64 v[219:220], v[219:220], v[221:222], v[219:220]
	v_mul_f64 v[221:222], v[223:224], v[219:220]
	v_fma_f64 v[217:218], -v[217:218], v[221:222], v[223:224]
	v_div_fmas_f64 v[217:218], v[217:218], v[219:220], v[221:222]
	v_div_fixup_f64 v[219:220], v[217:218], v[213:214], v[215:216]
	v_fma_f64 v[213:214], v[215:216], v[219:220], v[213:214]
	v_div_scale_f64 v[215:216], null, v[213:214], v[213:214], 1.0
	v_rcp_f64_e32 v[217:218], v[215:216]
	v_fma_f64 v[221:222], -v[215:216], v[217:218], 1.0
	v_fma_f64 v[217:218], v[217:218], v[221:222], v[217:218]
	v_fma_f64 v[221:222], -v[215:216], v[217:218], 1.0
	v_fma_f64 v[217:218], v[217:218], v[221:222], v[217:218]
	v_div_scale_f64 v[221:222], vcc_lo, 1.0, v[213:214], 1.0
	v_mul_f64 v[223:224], v[221:222], v[217:218]
	v_fma_f64 v[215:216], -v[215:216], v[223:224], v[221:222]
	v_div_fmas_f64 v[215:216], v[215:216], v[217:218], v[223:224]
	v_div_fixup_f64 v[217:218], v[215:216], v[213:214], 1.0
	v_mul_f64 v[219:220], v[219:220], -v[217:218]
.LBB109_367:
	s_or_b32 exec_lo, exec_lo, s1
	ds_write2_b64 v255, v[217:218], v[219:220] offset1:1
.LBB109_368:
	s_or_b32 exec_lo, exec_lo, s2
	s_waitcnt lgkmcnt(0)
	s_barrier
	buffer_gl0_inv
	ds_read2_b64 v[213:216], v255 offset1:1
	s_mov_b32 s1, exec_lo
	s_waitcnt lgkmcnt(0)
	buffer_store_dword v213, off, s[16:19], 0 offset:1096 ; 4-byte Folded Spill
	buffer_store_dword v214, off, s[16:19], 0 offset:1100 ; 4-byte Folded Spill
	buffer_store_dword v215, off, s[16:19], 0 offset:1104 ; 4-byte Folded Spill
	buffer_store_dword v216, off, s[16:19], 0 offset:1108 ; 4-byte Folded Spill
	v_cmpx_lt_u32_e32 40, v0
	s_cbranch_execz .LBB109_370
; %bb.369:
	s_clause 0x3
	buffer_load_dword v215, off, s[16:19], 0 offset:1096
	buffer_load_dword v216, off, s[16:19], 0 offset:1100
	;; [unrolled: 1-line block ×4, first 2 shown]
	s_waitcnt vmcnt(2)
	v_mul_f64 v[213:214], v[215:216], v[59:60]
	s_waitcnt vmcnt(0)
	v_mul_f64 v[59:60], v[217:218], v[59:60]
	v_fma_f64 v[213:214], v[217:218], v[57:58], v[213:214]
	v_fma_f64 v[57:58], v[215:216], v[57:58], -v[59:60]
	ds_read2_b64 v[215:218], v253 offset0:82 offset1:83
	s_waitcnt lgkmcnt(0)
	v_mul_f64 v[59:60], v[217:218], v[213:214]
	v_fma_f64 v[59:60], v[215:216], v[57:58], -v[59:60]
	v_mul_f64 v[215:216], v[215:216], v[213:214]
	v_add_f64 v[53:54], v[53:54], -v[59:60]
	v_fma_f64 v[215:216], v[217:218], v[57:58], v[215:216]
	v_add_f64 v[55:56], v[55:56], -v[215:216]
	ds_read2_b64 v[215:218], v253 offset0:84 offset1:85
	s_waitcnt lgkmcnt(0)
	v_mul_f64 v[59:60], v[217:218], v[213:214]
	v_fma_f64 v[59:60], v[215:216], v[57:58], -v[59:60]
	v_mul_f64 v[215:216], v[215:216], v[213:214]
	v_add_f64 v[49:50], v[49:50], -v[59:60]
	v_fma_f64 v[215:216], v[217:218], v[57:58], v[215:216]
	v_add_f64 v[51:52], v[51:52], -v[215:216]
	;; [unrolled: 8-line block ×13, first 2 shown]
	ds_read2_b64 v[215:218], v253 offset0:108 offset1:109
	s_waitcnt lgkmcnt(0)
	v_mul_f64 v[59:60], v[217:218], v[213:214]
	v_fma_f64 v[59:60], v[215:216], v[57:58], -v[59:60]
	v_mul_f64 v[215:216], v[215:216], v[213:214]
	v_add_f64 v[1:2], v[1:2], -v[59:60]
	v_fma_f64 v[215:216], v[217:218], v[57:58], v[215:216]
	v_mov_b32_e32 v59, v213
	v_mov_b32_e32 v60, v214
	v_add_f64 v[3:4], v[3:4], -v[215:216]
.LBB109_370:
	s_or_b32 exec_lo, exec_lo, s1
	s_mov_b32 s2, exec_lo
	s_waitcnt_vscnt null, 0x0
	s_barrier
	buffer_gl0_inv
	v_cmpx_eq_u32_e32 41, v0
	s_cbranch_execz .LBB109_377
; %bb.371:
	ds_write2_b64 v255, v[53:54], v[55:56] offset1:1
	ds_write2_b64 v253, v[49:50], v[51:52] offset0:84 offset1:85
	ds_write2_b64 v253, v[45:46], v[47:48] offset0:86 offset1:87
	;; [unrolled: 1-line block ×13, first 2 shown]
	ds_read2_b64 v[213:216], v255 offset1:1
	s_waitcnt lgkmcnt(0)
	v_cmp_neq_f64_e32 vcc_lo, 0, v[213:214]
	v_cmp_neq_f64_e64 s1, 0, v[215:216]
	s_or_b32 s1, vcc_lo, s1
	s_and_b32 exec_lo, exec_lo, s1
	s_cbranch_execz .LBB109_377
; %bb.372:
	v_cmp_ngt_f64_e64 s1, |v[213:214]|, |v[215:216]|
                                        ; implicit-def: $vgpr217_vgpr218
	s_and_saveexec_b32 s3, s1
	s_xor_b32 s1, exec_lo, s3
                                        ; implicit-def: $vgpr219_vgpr220
	s_cbranch_execz .LBB109_374
; %bb.373:
	v_div_scale_f64 v[217:218], null, v[215:216], v[215:216], v[213:214]
	v_div_scale_f64 v[223:224], vcc_lo, v[213:214], v[215:216], v[213:214]
	v_rcp_f64_e32 v[219:220], v[217:218]
	v_fma_f64 v[221:222], -v[217:218], v[219:220], 1.0
	v_fma_f64 v[219:220], v[219:220], v[221:222], v[219:220]
	v_fma_f64 v[221:222], -v[217:218], v[219:220], 1.0
	v_fma_f64 v[219:220], v[219:220], v[221:222], v[219:220]
	v_mul_f64 v[221:222], v[223:224], v[219:220]
	v_fma_f64 v[217:218], -v[217:218], v[221:222], v[223:224]
	v_div_fmas_f64 v[217:218], v[217:218], v[219:220], v[221:222]
	v_div_fixup_f64 v[217:218], v[217:218], v[215:216], v[213:214]
	v_fma_f64 v[213:214], v[213:214], v[217:218], v[215:216]
	v_div_scale_f64 v[215:216], null, v[213:214], v[213:214], 1.0
	v_rcp_f64_e32 v[219:220], v[215:216]
	v_fma_f64 v[221:222], -v[215:216], v[219:220], 1.0
	v_fma_f64 v[219:220], v[219:220], v[221:222], v[219:220]
	v_fma_f64 v[221:222], -v[215:216], v[219:220], 1.0
	v_fma_f64 v[219:220], v[219:220], v[221:222], v[219:220]
	v_div_scale_f64 v[221:222], vcc_lo, 1.0, v[213:214], 1.0
	v_mul_f64 v[223:224], v[221:222], v[219:220]
	v_fma_f64 v[215:216], -v[215:216], v[223:224], v[221:222]
	v_div_fmas_f64 v[215:216], v[215:216], v[219:220], v[223:224]
	v_div_fixup_f64 v[219:220], v[215:216], v[213:214], 1.0
                                        ; implicit-def: $vgpr213_vgpr214
	v_mul_f64 v[217:218], v[217:218], v[219:220]
	v_xor_b32_e32 v220, 0x80000000, v220
.LBB109_374:
	s_andn2_saveexec_b32 s1, s1
	s_cbranch_execz .LBB109_376
; %bb.375:
	v_div_scale_f64 v[217:218], null, v[213:214], v[213:214], v[215:216]
	v_div_scale_f64 v[223:224], vcc_lo, v[215:216], v[213:214], v[215:216]
	v_rcp_f64_e32 v[219:220], v[217:218]
	v_fma_f64 v[221:222], -v[217:218], v[219:220], 1.0
	v_fma_f64 v[219:220], v[219:220], v[221:222], v[219:220]
	v_fma_f64 v[221:222], -v[217:218], v[219:220], 1.0
	v_fma_f64 v[219:220], v[219:220], v[221:222], v[219:220]
	v_mul_f64 v[221:222], v[223:224], v[219:220]
	v_fma_f64 v[217:218], -v[217:218], v[221:222], v[223:224]
	v_div_fmas_f64 v[217:218], v[217:218], v[219:220], v[221:222]
	v_div_fixup_f64 v[219:220], v[217:218], v[213:214], v[215:216]
	v_fma_f64 v[213:214], v[215:216], v[219:220], v[213:214]
	v_div_scale_f64 v[215:216], null, v[213:214], v[213:214], 1.0
	v_rcp_f64_e32 v[217:218], v[215:216]
	v_fma_f64 v[221:222], -v[215:216], v[217:218], 1.0
	v_fma_f64 v[217:218], v[217:218], v[221:222], v[217:218]
	v_fma_f64 v[221:222], -v[215:216], v[217:218], 1.0
	v_fma_f64 v[217:218], v[217:218], v[221:222], v[217:218]
	v_div_scale_f64 v[221:222], vcc_lo, 1.0, v[213:214], 1.0
	v_mul_f64 v[223:224], v[221:222], v[217:218]
	v_fma_f64 v[215:216], -v[215:216], v[223:224], v[221:222]
	v_div_fmas_f64 v[215:216], v[215:216], v[217:218], v[223:224]
	v_div_fixup_f64 v[217:218], v[215:216], v[213:214], 1.0
	v_mul_f64 v[219:220], v[219:220], -v[217:218]
.LBB109_376:
	s_or_b32 exec_lo, exec_lo, s1
	ds_write2_b64 v255, v[217:218], v[219:220] offset1:1
.LBB109_377:
	s_or_b32 exec_lo, exec_lo, s2
	s_waitcnt lgkmcnt(0)
	s_barrier
	buffer_gl0_inv
	ds_read2_b64 v[213:216], v255 offset1:1
	s_mov_b32 s1, exec_lo
	s_waitcnt lgkmcnt(0)
	buffer_store_dword v213, off, s[16:19], 0 offset:1112 ; 4-byte Folded Spill
	buffer_store_dword v214, off, s[16:19], 0 offset:1116 ; 4-byte Folded Spill
	;; [unrolled: 1-line block ×4, first 2 shown]
	v_cmpx_lt_u32_e32 41, v0
	s_cbranch_execz .LBB109_379
; %bb.378:
	s_clause 0x3
	buffer_load_dword v215, off, s[16:19], 0 offset:1112
	buffer_load_dword v216, off, s[16:19], 0 offset:1116
	;; [unrolled: 1-line block ×4, first 2 shown]
	s_waitcnt vmcnt(2)
	v_mul_f64 v[213:214], v[215:216], v[55:56]
	s_waitcnt vmcnt(0)
	v_mul_f64 v[55:56], v[217:218], v[55:56]
	v_fma_f64 v[213:214], v[217:218], v[53:54], v[213:214]
	v_fma_f64 v[53:54], v[215:216], v[53:54], -v[55:56]
	ds_read2_b64 v[215:218], v253 offset0:84 offset1:85
	s_waitcnt lgkmcnt(0)
	v_mul_f64 v[55:56], v[217:218], v[213:214]
	v_fma_f64 v[55:56], v[215:216], v[53:54], -v[55:56]
	v_mul_f64 v[215:216], v[215:216], v[213:214]
	v_add_f64 v[49:50], v[49:50], -v[55:56]
	v_fma_f64 v[215:216], v[217:218], v[53:54], v[215:216]
	v_add_f64 v[51:52], v[51:52], -v[215:216]
	ds_read2_b64 v[215:218], v253 offset0:86 offset1:87
	s_waitcnt lgkmcnt(0)
	v_mul_f64 v[55:56], v[217:218], v[213:214]
	v_fma_f64 v[55:56], v[215:216], v[53:54], -v[55:56]
	v_mul_f64 v[215:216], v[215:216], v[213:214]
	v_add_f64 v[45:46], v[45:46], -v[55:56]
	v_fma_f64 v[215:216], v[217:218], v[53:54], v[215:216]
	v_add_f64 v[47:48], v[47:48], -v[215:216]
	;; [unrolled: 8-line block ×12, first 2 shown]
	ds_read2_b64 v[215:218], v253 offset0:108 offset1:109
	s_waitcnt lgkmcnt(0)
	v_mul_f64 v[55:56], v[217:218], v[213:214]
	v_fma_f64 v[55:56], v[215:216], v[53:54], -v[55:56]
	v_mul_f64 v[215:216], v[215:216], v[213:214]
	v_add_f64 v[1:2], v[1:2], -v[55:56]
	v_fma_f64 v[215:216], v[217:218], v[53:54], v[215:216]
	v_mov_b32_e32 v55, v213
	v_mov_b32_e32 v56, v214
	v_add_f64 v[3:4], v[3:4], -v[215:216]
.LBB109_379:
	s_or_b32 exec_lo, exec_lo, s1
	s_mov_b32 s2, exec_lo
	s_waitcnt_vscnt null, 0x0
	s_barrier
	buffer_gl0_inv
	v_cmpx_eq_u32_e32 42, v0
	s_cbranch_execz .LBB109_386
; %bb.380:
	ds_write2_b64 v255, v[49:50], v[51:52] offset1:1
	ds_write2_b64 v253, v[45:46], v[47:48] offset0:86 offset1:87
	ds_write2_b64 v253, v[41:42], v[43:44] offset0:88 offset1:89
	;; [unrolled: 1-line block ×12, first 2 shown]
	ds_read2_b64 v[213:216], v255 offset1:1
	s_waitcnt lgkmcnt(0)
	v_cmp_neq_f64_e32 vcc_lo, 0, v[213:214]
	v_cmp_neq_f64_e64 s1, 0, v[215:216]
	s_or_b32 s1, vcc_lo, s1
	s_and_b32 exec_lo, exec_lo, s1
	s_cbranch_execz .LBB109_386
; %bb.381:
	v_cmp_ngt_f64_e64 s1, |v[213:214]|, |v[215:216]|
                                        ; implicit-def: $vgpr217_vgpr218
	s_and_saveexec_b32 s3, s1
	s_xor_b32 s1, exec_lo, s3
                                        ; implicit-def: $vgpr219_vgpr220
	s_cbranch_execz .LBB109_383
; %bb.382:
	v_div_scale_f64 v[217:218], null, v[215:216], v[215:216], v[213:214]
	v_div_scale_f64 v[223:224], vcc_lo, v[213:214], v[215:216], v[213:214]
	v_rcp_f64_e32 v[219:220], v[217:218]
	v_fma_f64 v[221:222], -v[217:218], v[219:220], 1.0
	v_fma_f64 v[219:220], v[219:220], v[221:222], v[219:220]
	v_fma_f64 v[221:222], -v[217:218], v[219:220], 1.0
	v_fma_f64 v[219:220], v[219:220], v[221:222], v[219:220]
	v_mul_f64 v[221:222], v[223:224], v[219:220]
	v_fma_f64 v[217:218], -v[217:218], v[221:222], v[223:224]
	v_div_fmas_f64 v[217:218], v[217:218], v[219:220], v[221:222]
	v_div_fixup_f64 v[217:218], v[217:218], v[215:216], v[213:214]
	v_fma_f64 v[213:214], v[213:214], v[217:218], v[215:216]
	v_div_scale_f64 v[215:216], null, v[213:214], v[213:214], 1.0
	v_rcp_f64_e32 v[219:220], v[215:216]
	v_fma_f64 v[221:222], -v[215:216], v[219:220], 1.0
	v_fma_f64 v[219:220], v[219:220], v[221:222], v[219:220]
	v_fma_f64 v[221:222], -v[215:216], v[219:220], 1.0
	v_fma_f64 v[219:220], v[219:220], v[221:222], v[219:220]
	v_div_scale_f64 v[221:222], vcc_lo, 1.0, v[213:214], 1.0
	v_mul_f64 v[223:224], v[221:222], v[219:220]
	v_fma_f64 v[215:216], -v[215:216], v[223:224], v[221:222]
	v_div_fmas_f64 v[215:216], v[215:216], v[219:220], v[223:224]
	v_div_fixup_f64 v[219:220], v[215:216], v[213:214], 1.0
                                        ; implicit-def: $vgpr213_vgpr214
	v_mul_f64 v[217:218], v[217:218], v[219:220]
	v_xor_b32_e32 v220, 0x80000000, v220
.LBB109_383:
	s_andn2_saveexec_b32 s1, s1
	s_cbranch_execz .LBB109_385
; %bb.384:
	v_div_scale_f64 v[217:218], null, v[213:214], v[213:214], v[215:216]
	v_div_scale_f64 v[223:224], vcc_lo, v[215:216], v[213:214], v[215:216]
	v_rcp_f64_e32 v[219:220], v[217:218]
	v_fma_f64 v[221:222], -v[217:218], v[219:220], 1.0
	v_fma_f64 v[219:220], v[219:220], v[221:222], v[219:220]
	v_fma_f64 v[221:222], -v[217:218], v[219:220], 1.0
	v_fma_f64 v[219:220], v[219:220], v[221:222], v[219:220]
	v_mul_f64 v[221:222], v[223:224], v[219:220]
	v_fma_f64 v[217:218], -v[217:218], v[221:222], v[223:224]
	v_div_fmas_f64 v[217:218], v[217:218], v[219:220], v[221:222]
	v_div_fixup_f64 v[219:220], v[217:218], v[213:214], v[215:216]
	v_fma_f64 v[213:214], v[215:216], v[219:220], v[213:214]
	v_div_scale_f64 v[215:216], null, v[213:214], v[213:214], 1.0
	v_rcp_f64_e32 v[217:218], v[215:216]
	v_fma_f64 v[221:222], -v[215:216], v[217:218], 1.0
	v_fma_f64 v[217:218], v[217:218], v[221:222], v[217:218]
	v_fma_f64 v[221:222], -v[215:216], v[217:218], 1.0
	v_fma_f64 v[217:218], v[217:218], v[221:222], v[217:218]
	v_div_scale_f64 v[221:222], vcc_lo, 1.0, v[213:214], 1.0
	v_mul_f64 v[223:224], v[221:222], v[217:218]
	v_fma_f64 v[215:216], -v[215:216], v[223:224], v[221:222]
	v_div_fmas_f64 v[215:216], v[215:216], v[217:218], v[223:224]
	v_div_fixup_f64 v[217:218], v[215:216], v[213:214], 1.0
	v_mul_f64 v[219:220], v[219:220], -v[217:218]
.LBB109_385:
	s_or_b32 exec_lo, exec_lo, s1
	ds_write2_b64 v255, v[217:218], v[219:220] offset1:1
.LBB109_386:
	s_or_b32 exec_lo, exec_lo, s2
	s_waitcnt lgkmcnt(0)
	s_barrier
	buffer_gl0_inv
	ds_read2_b64 v[213:216], v255 offset1:1
	s_mov_b32 s1, exec_lo
	s_waitcnt lgkmcnt(0)
	buffer_store_dword v213, off, s[16:19], 0 offset:1128 ; 4-byte Folded Spill
	buffer_store_dword v214, off, s[16:19], 0 offset:1132 ; 4-byte Folded Spill
	;; [unrolled: 1-line block ×4, first 2 shown]
	v_cmpx_lt_u32_e32 42, v0
	s_cbranch_execz .LBB109_388
; %bb.387:
	s_clause 0x3
	buffer_load_dword v215, off, s[16:19], 0 offset:1128
	buffer_load_dword v216, off, s[16:19], 0 offset:1132
	;; [unrolled: 1-line block ×4, first 2 shown]
	s_waitcnt vmcnt(2)
	v_mul_f64 v[213:214], v[215:216], v[51:52]
	s_waitcnt vmcnt(0)
	v_mul_f64 v[51:52], v[217:218], v[51:52]
	v_fma_f64 v[213:214], v[217:218], v[49:50], v[213:214]
	v_fma_f64 v[49:50], v[215:216], v[49:50], -v[51:52]
	ds_read2_b64 v[215:218], v253 offset0:86 offset1:87
	s_waitcnt lgkmcnt(0)
	v_mul_f64 v[51:52], v[217:218], v[213:214]
	v_fma_f64 v[51:52], v[215:216], v[49:50], -v[51:52]
	v_mul_f64 v[215:216], v[215:216], v[213:214]
	v_add_f64 v[45:46], v[45:46], -v[51:52]
	v_fma_f64 v[215:216], v[217:218], v[49:50], v[215:216]
	v_add_f64 v[47:48], v[47:48], -v[215:216]
	ds_read2_b64 v[215:218], v253 offset0:88 offset1:89
	s_waitcnt lgkmcnt(0)
	v_mul_f64 v[51:52], v[217:218], v[213:214]
	v_fma_f64 v[51:52], v[215:216], v[49:50], -v[51:52]
	v_mul_f64 v[215:216], v[215:216], v[213:214]
	v_add_f64 v[41:42], v[41:42], -v[51:52]
	v_fma_f64 v[215:216], v[217:218], v[49:50], v[215:216]
	v_add_f64 v[43:44], v[43:44], -v[215:216]
	;; [unrolled: 8-line block ×11, first 2 shown]
	ds_read2_b64 v[215:218], v253 offset0:108 offset1:109
	s_waitcnt lgkmcnt(0)
	v_mul_f64 v[51:52], v[217:218], v[213:214]
	v_fma_f64 v[51:52], v[215:216], v[49:50], -v[51:52]
	v_mul_f64 v[215:216], v[215:216], v[213:214]
	v_add_f64 v[1:2], v[1:2], -v[51:52]
	v_fma_f64 v[215:216], v[217:218], v[49:50], v[215:216]
	v_mov_b32_e32 v51, v213
	v_mov_b32_e32 v52, v214
	v_add_f64 v[3:4], v[3:4], -v[215:216]
.LBB109_388:
	s_or_b32 exec_lo, exec_lo, s1
	s_mov_b32 s2, exec_lo
	s_waitcnt_vscnt null, 0x0
	s_barrier
	buffer_gl0_inv
	v_cmpx_eq_u32_e32 43, v0
	s_cbranch_execz .LBB109_395
; %bb.389:
	ds_write2_b64 v255, v[45:46], v[47:48] offset1:1
	ds_write2_b64 v253, v[41:42], v[43:44] offset0:88 offset1:89
	ds_write2_b64 v253, v[37:38], v[39:40] offset0:90 offset1:91
	;; [unrolled: 1-line block ×11, first 2 shown]
	ds_read2_b64 v[213:216], v255 offset1:1
	s_waitcnt lgkmcnt(0)
	v_cmp_neq_f64_e32 vcc_lo, 0, v[213:214]
	v_cmp_neq_f64_e64 s1, 0, v[215:216]
	s_or_b32 s1, vcc_lo, s1
	s_and_b32 exec_lo, exec_lo, s1
	s_cbranch_execz .LBB109_395
; %bb.390:
	v_cmp_ngt_f64_e64 s1, |v[213:214]|, |v[215:216]|
                                        ; implicit-def: $vgpr217_vgpr218
	s_and_saveexec_b32 s3, s1
	s_xor_b32 s1, exec_lo, s3
                                        ; implicit-def: $vgpr219_vgpr220
	s_cbranch_execz .LBB109_392
; %bb.391:
	v_div_scale_f64 v[217:218], null, v[215:216], v[215:216], v[213:214]
	v_div_scale_f64 v[223:224], vcc_lo, v[213:214], v[215:216], v[213:214]
	v_rcp_f64_e32 v[219:220], v[217:218]
	v_fma_f64 v[221:222], -v[217:218], v[219:220], 1.0
	v_fma_f64 v[219:220], v[219:220], v[221:222], v[219:220]
	v_fma_f64 v[221:222], -v[217:218], v[219:220], 1.0
	v_fma_f64 v[219:220], v[219:220], v[221:222], v[219:220]
	v_mul_f64 v[221:222], v[223:224], v[219:220]
	v_fma_f64 v[217:218], -v[217:218], v[221:222], v[223:224]
	v_div_fmas_f64 v[217:218], v[217:218], v[219:220], v[221:222]
	v_div_fixup_f64 v[217:218], v[217:218], v[215:216], v[213:214]
	v_fma_f64 v[213:214], v[213:214], v[217:218], v[215:216]
	v_div_scale_f64 v[215:216], null, v[213:214], v[213:214], 1.0
	v_rcp_f64_e32 v[219:220], v[215:216]
	v_fma_f64 v[221:222], -v[215:216], v[219:220], 1.0
	v_fma_f64 v[219:220], v[219:220], v[221:222], v[219:220]
	v_fma_f64 v[221:222], -v[215:216], v[219:220], 1.0
	v_fma_f64 v[219:220], v[219:220], v[221:222], v[219:220]
	v_div_scale_f64 v[221:222], vcc_lo, 1.0, v[213:214], 1.0
	v_mul_f64 v[223:224], v[221:222], v[219:220]
	v_fma_f64 v[215:216], -v[215:216], v[223:224], v[221:222]
	v_div_fmas_f64 v[215:216], v[215:216], v[219:220], v[223:224]
	v_div_fixup_f64 v[219:220], v[215:216], v[213:214], 1.0
                                        ; implicit-def: $vgpr213_vgpr214
	v_mul_f64 v[217:218], v[217:218], v[219:220]
	v_xor_b32_e32 v220, 0x80000000, v220
.LBB109_392:
	s_andn2_saveexec_b32 s1, s1
	s_cbranch_execz .LBB109_394
; %bb.393:
	v_div_scale_f64 v[217:218], null, v[213:214], v[213:214], v[215:216]
	v_div_scale_f64 v[223:224], vcc_lo, v[215:216], v[213:214], v[215:216]
	v_rcp_f64_e32 v[219:220], v[217:218]
	v_fma_f64 v[221:222], -v[217:218], v[219:220], 1.0
	v_fma_f64 v[219:220], v[219:220], v[221:222], v[219:220]
	v_fma_f64 v[221:222], -v[217:218], v[219:220], 1.0
	v_fma_f64 v[219:220], v[219:220], v[221:222], v[219:220]
	v_mul_f64 v[221:222], v[223:224], v[219:220]
	v_fma_f64 v[217:218], -v[217:218], v[221:222], v[223:224]
	v_div_fmas_f64 v[217:218], v[217:218], v[219:220], v[221:222]
	v_div_fixup_f64 v[219:220], v[217:218], v[213:214], v[215:216]
	v_fma_f64 v[213:214], v[215:216], v[219:220], v[213:214]
	v_div_scale_f64 v[215:216], null, v[213:214], v[213:214], 1.0
	v_rcp_f64_e32 v[217:218], v[215:216]
	v_fma_f64 v[221:222], -v[215:216], v[217:218], 1.0
	v_fma_f64 v[217:218], v[217:218], v[221:222], v[217:218]
	v_fma_f64 v[221:222], -v[215:216], v[217:218], 1.0
	v_fma_f64 v[217:218], v[217:218], v[221:222], v[217:218]
	v_div_scale_f64 v[221:222], vcc_lo, 1.0, v[213:214], 1.0
	v_mul_f64 v[223:224], v[221:222], v[217:218]
	v_fma_f64 v[215:216], -v[215:216], v[223:224], v[221:222]
	v_div_fmas_f64 v[215:216], v[215:216], v[217:218], v[223:224]
	v_div_fixup_f64 v[217:218], v[215:216], v[213:214], 1.0
	v_mul_f64 v[219:220], v[219:220], -v[217:218]
.LBB109_394:
	s_or_b32 exec_lo, exec_lo, s1
	ds_write2_b64 v255, v[217:218], v[219:220] offset1:1
.LBB109_395:
	s_or_b32 exec_lo, exec_lo, s2
	s_waitcnt lgkmcnt(0)
	s_barrier
	buffer_gl0_inv
	ds_read2_b64 v[213:216], v255 offset1:1
	s_mov_b32 s1, exec_lo
	s_waitcnt lgkmcnt(0)
	buffer_store_dword v213, off, s[16:19], 0 offset:1144 ; 4-byte Folded Spill
	buffer_store_dword v214, off, s[16:19], 0 offset:1148 ; 4-byte Folded Spill
	;; [unrolled: 1-line block ×4, first 2 shown]
	v_cmpx_lt_u32_e32 43, v0
	s_cbranch_execz .LBB109_397
; %bb.396:
	s_clause 0x3
	buffer_load_dword v215, off, s[16:19], 0 offset:1144
	buffer_load_dword v216, off, s[16:19], 0 offset:1148
	;; [unrolled: 1-line block ×4, first 2 shown]
	s_waitcnt vmcnt(2)
	v_mul_f64 v[213:214], v[215:216], v[47:48]
	s_waitcnt vmcnt(0)
	v_mul_f64 v[47:48], v[217:218], v[47:48]
	v_fma_f64 v[213:214], v[217:218], v[45:46], v[213:214]
	v_fma_f64 v[45:46], v[215:216], v[45:46], -v[47:48]
	ds_read2_b64 v[215:218], v253 offset0:88 offset1:89
	s_waitcnt lgkmcnt(0)
	v_mul_f64 v[47:48], v[217:218], v[213:214]
	v_fma_f64 v[47:48], v[215:216], v[45:46], -v[47:48]
	v_mul_f64 v[215:216], v[215:216], v[213:214]
	v_add_f64 v[41:42], v[41:42], -v[47:48]
	v_fma_f64 v[215:216], v[217:218], v[45:46], v[215:216]
	v_add_f64 v[43:44], v[43:44], -v[215:216]
	ds_read2_b64 v[215:218], v253 offset0:90 offset1:91
	s_waitcnt lgkmcnt(0)
	v_mul_f64 v[47:48], v[217:218], v[213:214]
	v_fma_f64 v[47:48], v[215:216], v[45:46], -v[47:48]
	v_mul_f64 v[215:216], v[215:216], v[213:214]
	v_add_f64 v[37:38], v[37:38], -v[47:48]
	v_fma_f64 v[215:216], v[217:218], v[45:46], v[215:216]
	v_add_f64 v[39:40], v[39:40], -v[215:216]
	ds_read2_b64 v[215:218], v253 offset0:92 offset1:93
	s_waitcnt lgkmcnt(0)
	v_mul_f64 v[47:48], v[217:218], v[213:214]
	v_fma_f64 v[47:48], v[215:216], v[45:46], -v[47:48]
	v_mul_f64 v[215:216], v[215:216], v[213:214]
	v_add_f64 v[33:34], v[33:34], -v[47:48]
	v_fma_f64 v[215:216], v[217:218], v[45:46], v[215:216]
	v_add_f64 v[35:36], v[35:36], -v[215:216]
	ds_read2_b64 v[215:218], v253 offset0:94 offset1:95
	s_waitcnt lgkmcnt(0)
	v_mul_f64 v[47:48], v[217:218], v[213:214]
	v_fma_f64 v[47:48], v[215:216], v[45:46], -v[47:48]
	v_mul_f64 v[215:216], v[215:216], v[213:214]
	v_add_f64 v[29:30], v[29:30], -v[47:48]
	v_fma_f64 v[215:216], v[217:218], v[45:46], v[215:216]
	v_add_f64 v[31:32], v[31:32], -v[215:216]
	ds_read2_b64 v[215:218], v253 offset0:96 offset1:97
	s_waitcnt lgkmcnt(0)
	v_mul_f64 v[47:48], v[217:218], v[213:214]
	v_fma_f64 v[47:48], v[215:216], v[45:46], -v[47:48]
	v_mul_f64 v[215:216], v[215:216], v[213:214]
	v_add_f64 v[25:26], v[25:26], -v[47:48]
	v_fma_f64 v[215:216], v[217:218], v[45:46], v[215:216]
	v_add_f64 v[27:28], v[27:28], -v[215:216]
	ds_read2_b64 v[215:218], v253 offset0:98 offset1:99
	s_waitcnt lgkmcnt(0)
	v_mul_f64 v[47:48], v[217:218], v[213:214]
	v_fma_f64 v[47:48], v[215:216], v[45:46], -v[47:48]
	v_mul_f64 v[215:216], v[215:216], v[213:214]
	v_add_f64 v[21:22], v[21:22], -v[47:48]
	v_fma_f64 v[215:216], v[217:218], v[45:46], v[215:216]
	v_add_f64 v[23:24], v[23:24], -v[215:216]
	ds_read2_b64 v[215:218], v253 offset0:100 offset1:101
	s_waitcnt lgkmcnt(0)
	v_mul_f64 v[47:48], v[217:218], v[213:214]
	v_fma_f64 v[47:48], v[215:216], v[45:46], -v[47:48]
	v_mul_f64 v[215:216], v[215:216], v[213:214]
	v_add_f64 v[17:18], v[17:18], -v[47:48]
	v_fma_f64 v[215:216], v[217:218], v[45:46], v[215:216]
	v_add_f64 v[19:20], v[19:20], -v[215:216]
	ds_read2_b64 v[215:218], v253 offset0:102 offset1:103
	s_waitcnt lgkmcnt(0)
	v_mul_f64 v[47:48], v[217:218], v[213:214]
	v_fma_f64 v[47:48], v[215:216], v[45:46], -v[47:48]
	v_mul_f64 v[215:216], v[215:216], v[213:214]
	v_add_f64 v[13:14], v[13:14], -v[47:48]
	v_fma_f64 v[215:216], v[217:218], v[45:46], v[215:216]
	v_add_f64 v[15:16], v[15:16], -v[215:216]
	ds_read2_b64 v[215:218], v253 offset0:104 offset1:105
	s_waitcnt lgkmcnt(0)
	v_mul_f64 v[47:48], v[217:218], v[213:214]
	v_fma_f64 v[47:48], v[215:216], v[45:46], -v[47:48]
	v_mul_f64 v[215:216], v[215:216], v[213:214]
	v_add_f64 v[9:10], v[9:10], -v[47:48]
	v_fma_f64 v[215:216], v[217:218], v[45:46], v[215:216]
	v_add_f64 v[11:12], v[11:12], -v[215:216]
	ds_read2_b64 v[215:218], v253 offset0:106 offset1:107
	s_waitcnt lgkmcnt(0)
	v_mul_f64 v[47:48], v[217:218], v[213:214]
	v_fma_f64 v[47:48], v[215:216], v[45:46], -v[47:48]
	v_mul_f64 v[215:216], v[215:216], v[213:214]
	v_add_f64 v[5:6], v[5:6], -v[47:48]
	v_fma_f64 v[215:216], v[217:218], v[45:46], v[215:216]
	v_add_f64 v[7:8], v[7:8], -v[215:216]
	ds_read2_b64 v[215:218], v253 offset0:108 offset1:109
	s_waitcnt lgkmcnt(0)
	v_mul_f64 v[47:48], v[217:218], v[213:214]
	v_fma_f64 v[47:48], v[215:216], v[45:46], -v[47:48]
	v_mul_f64 v[215:216], v[215:216], v[213:214]
	v_add_f64 v[1:2], v[1:2], -v[47:48]
	v_fma_f64 v[215:216], v[217:218], v[45:46], v[215:216]
	v_mov_b32_e32 v47, v213
	v_mov_b32_e32 v48, v214
	v_add_f64 v[3:4], v[3:4], -v[215:216]
.LBB109_397:
	s_or_b32 exec_lo, exec_lo, s1
	s_mov_b32 s2, exec_lo
	s_waitcnt_vscnt null, 0x0
	s_barrier
	buffer_gl0_inv
	v_cmpx_eq_u32_e32 44, v0
	s_cbranch_execz .LBB109_404
; %bb.398:
	ds_write2_b64 v255, v[41:42], v[43:44] offset1:1
	ds_write2_b64 v253, v[37:38], v[39:40] offset0:90 offset1:91
	ds_write2_b64 v253, v[33:34], v[35:36] offset0:92 offset1:93
	;; [unrolled: 1-line block ×10, first 2 shown]
	ds_read2_b64 v[213:216], v255 offset1:1
	s_waitcnt lgkmcnt(0)
	v_cmp_neq_f64_e32 vcc_lo, 0, v[213:214]
	v_cmp_neq_f64_e64 s1, 0, v[215:216]
	s_or_b32 s1, vcc_lo, s1
	s_and_b32 exec_lo, exec_lo, s1
	s_cbranch_execz .LBB109_404
; %bb.399:
	v_cmp_ngt_f64_e64 s1, |v[213:214]|, |v[215:216]|
                                        ; implicit-def: $vgpr217_vgpr218
	s_and_saveexec_b32 s3, s1
	s_xor_b32 s1, exec_lo, s3
                                        ; implicit-def: $vgpr219_vgpr220
	s_cbranch_execz .LBB109_401
; %bb.400:
	v_div_scale_f64 v[217:218], null, v[215:216], v[215:216], v[213:214]
	v_div_scale_f64 v[223:224], vcc_lo, v[213:214], v[215:216], v[213:214]
	v_rcp_f64_e32 v[219:220], v[217:218]
	v_fma_f64 v[221:222], -v[217:218], v[219:220], 1.0
	v_fma_f64 v[219:220], v[219:220], v[221:222], v[219:220]
	v_fma_f64 v[221:222], -v[217:218], v[219:220], 1.0
	v_fma_f64 v[219:220], v[219:220], v[221:222], v[219:220]
	v_mul_f64 v[221:222], v[223:224], v[219:220]
	v_fma_f64 v[217:218], -v[217:218], v[221:222], v[223:224]
	v_div_fmas_f64 v[217:218], v[217:218], v[219:220], v[221:222]
	v_div_fixup_f64 v[217:218], v[217:218], v[215:216], v[213:214]
	v_fma_f64 v[213:214], v[213:214], v[217:218], v[215:216]
	v_div_scale_f64 v[215:216], null, v[213:214], v[213:214], 1.0
	v_rcp_f64_e32 v[219:220], v[215:216]
	v_fma_f64 v[221:222], -v[215:216], v[219:220], 1.0
	v_fma_f64 v[219:220], v[219:220], v[221:222], v[219:220]
	v_fma_f64 v[221:222], -v[215:216], v[219:220], 1.0
	v_fma_f64 v[219:220], v[219:220], v[221:222], v[219:220]
	v_div_scale_f64 v[221:222], vcc_lo, 1.0, v[213:214], 1.0
	v_mul_f64 v[223:224], v[221:222], v[219:220]
	v_fma_f64 v[215:216], -v[215:216], v[223:224], v[221:222]
	v_div_fmas_f64 v[215:216], v[215:216], v[219:220], v[223:224]
	v_div_fixup_f64 v[219:220], v[215:216], v[213:214], 1.0
                                        ; implicit-def: $vgpr213_vgpr214
	v_mul_f64 v[217:218], v[217:218], v[219:220]
	v_xor_b32_e32 v220, 0x80000000, v220
.LBB109_401:
	s_andn2_saveexec_b32 s1, s1
	s_cbranch_execz .LBB109_403
; %bb.402:
	v_div_scale_f64 v[217:218], null, v[213:214], v[213:214], v[215:216]
	v_div_scale_f64 v[223:224], vcc_lo, v[215:216], v[213:214], v[215:216]
	v_rcp_f64_e32 v[219:220], v[217:218]
	v_fma_f64 v[221:222], -v[217:218], v[219:220], 1.0
	v_fma_f64 v[219:220], v[219:220], v[221:222], v[219:220]
	v_fma_f64 v[221:222], -v[217:218], v[219:220], 1.0
	v_fma_f64 v[219:220], v[219:220], v[221:222], v[219:220]
	v_mul_f64 v[221:222], v[223:224], v[219:220]
	v_fma_f64 v[217:218], -v[217:218], v[221:222], v[223:224]
	v_div_fmas_f64 v[217:218], v[217:218], v[219:220], v[221:222]
	v_div_fixup_f64 v[219:220], v[217:218], v[213:214], v[215:216]
	v_fma_f64 v[213:214], v[215:216], v[219:220], v[213:214]
	v_div_scale_f64 v[215:216], null, v[213:214], v[213:214], 1.0
	v_rcp_f64_e32 v[217:218], v[215:216]
	v_fma_f64 v[221:222], -v[215:216], v[217:218], 1.0
	v_fma_f64 v[217:218], v[217:218], v[221:222], v[217:218]
	v_fma_f64 v[221:222], -v[215:216], v[217:218], 1.0
	v_fma_f64 v[217:218], v[217:218], v[221:222], v[217:218]
	v_div_scale_f64 v[221:222], vcc_lo, 1.0, v[213:214], 1.0
	v_mul_f64 v[223:224], v[221:222], v[217:218]
	v_fma_f64 v[215:216], -v[215:216], v[223:224], v[221:222]
	v_div_fmas_f64 v[215:216], v[215:216], v[217:218], v[223:224]
	v_div_fixup_f64 v[217:218], v[215:216], v[213:214], 1.0
	v_mul_f64 v[219:220], v[219:220], -v[217:218]
.LBB109_403:
	s_or_b32 exec_lo, exec_lo, s1
	ds_write2_b64 v255, v[217:218], v[219:220] offset1:1
.LBB109_404:
	s_or_b32 exec_lo, exec_lo, s2
	s_waitcnt lgkmcnt(0)
	s_barrier
	buffer_gl0_inv
	ds_read2_b64 v[213:216], v255 offset1:1
	s_mov_b32 s1, exec_lo
	s_waitcnt lgkmcnt(0)
	buffer_store_dword v213, off, s[16:19], 0 offset:1160 ; 4-byte Folded Spill
	buffer_store_dword v214, off, s[16:19], 0 offset:1164 ; 4-byte Folded Spill
	;; [unrolled: 1-line block ×4, first 2 shown]
	v_cmpx_lt_u32_e32 44, v0
	s_cbranch_execz .LBB109_406
; %bb.405:
	s_clause 0x3
	buffer_load_dword v219, off, s[16:19], 0 offset:1160
	buffer_load_dword v220, off, s[16:19], 0 offset:1164
	;; [unrolled: 1-line block ×4, first 2 shown]
	s_waitcnt vmcnt(2)
	v_mul_f64 v[213:214], v[219:220], v[43:44]
	s_waitcnt vmcnt(0)
	v_mul_f64 v[43:44], v[221:222], v[43:44]
	v_fma_f64 v[217:218], v[221:222], v[41:42], v[213:214]
	ds_read2_b64 v[213:216], v253 offset0:90 offset1:91
	v_fma_f64 v[41:42], v[219:220], v[41:42], -v[43:44]
	s_waitcnt lgkmcnt(0)
	v_mul_f64 v[43:44], v[215:216], v[217:218]
	v_fma_f64 v[43:44], v[213:214], v[41:42], -v[43:44]
	v_mul_f64 v[213:214], v[213:214], v[217:218]
	v_add_f64 v[37:38], v[37:38], -v[43:44]
	v_fma_f64 v[213:214], v[215:216], v[41:42], v[213:214]
	v_add_f64 v[39:40], v[39:40], -v[213:214]
	ds_read2_b64 v[213:216], v253 offset0:92 offset1:93
	s_waitcnt lgkmcnt(0)
	v_mul_f64 v[43:44], v[215:216], v[217:218]
	v_fma_f64 v[43:44], v[213:214], v[41:42], -v[43:44]
	v_mul_f64 v[213:214], v[213:214], v[217:218]
	v_add_f64 v[33:34], v[33:34], -v[43:44]
	v_fma_f64 v[213:214], v[215:216], v[41:42], v[213:214]
	v_add_f64 v[35:36], v[35:36], -v[213:214]
	ds_read2_b64 v[213:216], v253 offset0:94 offset1:95
	;; [unrolled: 8-line block ×9, first 2 shown]
	s_waitcnt lgkmcnt(0)
	v_mul_f64 v[43:44], v[215:216], v[217:218]
	v_fma_f64 v[43:44], v[213:214], v[41:42], -v[43:44]
	v_mul_f64 v[213:214], v[213:214], v[217:218]
	v_add_f64 v[1:2], v[1:2], -v[43:44]
	v_fma_f64 v[213:214], v[215:216], v[41:42], v[213:214]
	v_mov_b32_e32 v43, v217
	v_mov_b32_e32 v44, v218
	v_add_f64 v[3:4], v[3:4], -v[213:214]
.LBB109_406:
	s_or_b32 exec_lo, exec_lo, s1
	s_mov_b32 s2, exec_lo
	s_waitcnt_vscnt null, 0x0
	s_barrier
	buffer_gl0_inv
	v_cmpx_eq_u32_e32 45, v0
	s_cbranch_execz .LBB109_413
; %bb.407:
	ds_write2_b64 v255, v[37:38], v[39:40] offset1:1
	ds_write2_b64 v253, v[33:34], v[35:36] offset0:92 offset1:93
	ds_write2_b64 v253, v[29:30], v[31:32] offset0:94 offset1:95
	;; [unrolled: 1-line block ×9, first 2 shown]
	ds_read2_b64 v[213:216], v255 offset1:1
	s_waitcnt lgkmcnt(0)
	v_cmp_neq_f64_e32 vcc_lo, 0, v[213:214]
	v_cmp_neq_f64_e64 s1, 0, v[215:216]
	s_or_b32 s1, vcc_lo, s1
	s_and_b32 exec_lo, exec_lo, s1
	s_cbranch_execz .LBB109_413
; %bb.408:
	v_cmp_ngt_f64_e64 s1, |v[213:214]|, |v[215:216]|
                                        ; implicit-def: $vgpr217_vgpr218
	s_and_saveexec_b32 s3, s1
	s_xor_b32 s1, exec_lo, s3
                                        ; implicit-def: $vgpr219_vgpr220
	s_cbranch_execz .LBB109_410
; %bb.409:
	v_div_scale_f64 v[217:218], null, v[215:216], v[215:216], v[213:214]
	v_div_scale_f64 v[223:224], vcc_lo, v[213:214], v[215:216], v[213:214]
	v_rcp_f64_e32 v[219:220], v[217:218]
	v_fma_f64 v[221:222], -v[217:218], v[219:220], 1.0
	v_fma_f64 v[219:220], v[219:220], v[221:222], v[219:220]
	v_fma_f64 v[221:222], -v[217:218], v[219:220], 1.0
	v_fma_f64 v[219:220], v[219:220], v[221:222], v[219:220]
	v_mul_f64 v[221:222], v[223:224], v[219:220]
	v_fma_f64 v[217:218], -v[217:218], v[221:222], v[223:224]
	v_div_fmas_f64 v[217:218], v[217:218], v[219:220], v[221:222]
	v_div_fixup_f64 v[217:218], v[217:218], v[215:216], v[213:214]
	v_fma_f64 v[213:214], v[213:214], v[217:218], v[215:216]
	v_div_scale_f64 v[215:216], null, v[213:214], v[213:214], 1.0
	v_rcp_f64_e32 v[219:220], v[215:216]
	v_fma_f64 v[221:222], -v[215:216], v[219:220], 1.0
	v_fma_f64 v[219:220], v[219:220], v[221:222], v[219:220]
	v_fma_f64 v[221:222], -v[215:216], v[219:220], 1.0
	v_fma_f64 v[219:220], v[219:220], v[221:222], v[219:220]
	v_div_scale_f64 v[221:222], vcc_lo, 1.0, v[213:214], 1.0
	v_mul_f64 v[223:224], v[221:222], v[219:220]
	v_fma_f64 v[215:216], -v[215:216], v[223:224], v[221:222]
	v_div_fmas_f64 v[215:216], v[215:216], v[219:220], v[223:224]
	v_div_fixup_f64 v[219:220], v[215:216], v[213:214], 1.0
                                        ; implicit-def: $vgpr213_vgpr214
	v_mul_f64 v[217:218], v[217:218], v[219:220]
	v_xor_b32_e32 v220, 0x80000000, v220
.LBB109_410:
	s_andn2_saveexec_b32 s1, s1
	s_cbranch_execz .LBB109_412
; %bb.411:
	v_div_scale_f64 v[217:218], null, v[213:214], v[213:214], v[215:216]
	v_div_scale_f64 v[223:224], vcc_lo, v[215:216], v[213:214], v[215:216]
	v_rcp_f64_e32 v[219:220], v[217:218]
	v_fma_f64 v[221:222], -v[217:218], v[219:220], 1.0
	v_fma_f64 v[219:220], v[219:220], v[221:222], v[219:220]
	v_fma_f64 v[221:222], -v[217:218], v[219:220], 1.0
	v_fma_f64 v[219:220], v[219:220], v[221:222], v[219:220]
	v_mul_f64 v[221:222], v[223:224], v[219:220]
	v_fma_f64 v[217:218], -v[217:218], v[221:222], v[223:224]
	v_div_fmas_f64 v[217:218], v[217:218], v[219:220], v[221:222]
	v_div_fixup_f64 v[219:220], v[217:218], v[213:214], v[215:216]
	v_fma_f64 v[213:214], v[215:216], v[219:220], v[213:214]
	v_div_scale_f64 v[215:216], null, v[213:214], v[213:214], 1.0
	v_rcp_f64_e32 v[217:218], v[215:216]
	v_fma_f64 v[221:222], -v[215:216], v[217:218], 1.0
	v_fma_f64 v[217:218], v[217:218], v[221:222], v[217:218]
	v_fma_f64 v[221:222], -v[215:216], v[217:218], 1.0
	v_fma_f64 v[217:218], v[217:218], v[221:222], v[217:218]
	v_div_scale_f64 v[221:222], vcc_lo, 1.0, v[213:214], 1.0
	v_mul_f64 v[223:224], v[221:222], v[217:218]
	v_fma_f64 v[215:216], -v[215:216], v[223:224], v[221:222]
	v_div_fmas_f64 v[215:216], v[215:216], v[217:218], v[223:224]
	v_div_fixup_f64 v[217:218], v[215:216], v[213:214], 1.0
	v_mul_f64 v[219:220], v[219:220], -v[217:218]
.LBB109_412:
	s_or_b32 exec_lo, exec_lo, s1
	ds_write2_b64 v255, v[217:218], v[219:220] offset1:1
.LBB109_413:
	s_or_b32 exec_lo, exec_lo, s2
	s_waitcnt lgkmcnt(0)
	s_barrier
	buffer_gl0_inv
	ds_read2_b64 v[213:216], v255 offset1:1
	s_mov_b32 s1, exec_lo
	s_waitcnt lgkmcnt(0)
	buffer_store_dword v213, off, s[16:19], 0 offset:1176 ; 4-byte Folded Spill
	buffer_store_dword v214, off, s[16:19], 0 offset:1180 ; 4-byte Folded Spill
	;; [unrolled: 1-line block ×4, first 2 shown]
	v_cmpx_lt_u32_e32 45, v0
	s_cbranch_execz .LBB109_415
; %bb.414:
	s_clause 0x3
	buffer_load_dword v219, off, s[16:19], 0 offset:1176
	buffer_load_dword v220, off, s[16:19], 0 offset:1180
	;; [unrolled: 1-line block ×4, first 2 shown]
	s_waitcnt vmcnt(2)
	v_mul_f64 v[213:214], v[219:220], v[39:40]
	s_waitcnt vmcnt(0)
	v_mul_f64 v[39:40], v[221:222], v[39:40]
	v_fma_f64 v[217:218], v[221:222], v[37:38], v[213:214]
	ds_read2_b64 v[213:216], v253 offset0:92 offset1:93
	v_fma_f64 v[37:38], v[219:220], v[37:38], -v[39:40]
	s_waitcnt lgkmcnt(0)
	v_mul_f64 v[39:40], v[215:216], v[217:218]
	v_fma_f64 v[39:40], v[213:214], v[37:38], -v[39:40]
	v_mul_f64 v[213:214], v[213:214], v[217:218]
	v_add_f64 v[33:34], v[33:34], -v[39:40]
	v_fma_f64 v[213:214], v[215:216], v[37:38], v[213:214]
	v_add_f64 v[35:36], v[35:36], -v[213:214]
	ds_read2_b64 v[213:216], v253 offset0:94 offset1:95
	s_waitcnt lgkmcnt(0)
	v_mul_f64 v[39:40], v[215:216], v[217:218]
	v_fma_f64 v[39:40], v[213:214], v[37:38], -v[39:40]
	v_mul_f64 v[213:214], v[213:214], v[217:218]
	v_add_f64 v[29:30], v[29:30], -v[39:40]
	v_fma_f64 v[213:214], v[215:216], v[37:38], v[213:214]
	v_add_f64 v[31:32], v[31:32], -v[213:214]
	ds_read2_b64 v[213:216], v253 offset0:96 offset1:97
	;; [unrolled: 8-line block ×8, first 2 shown]
	s_waitcnt lgkmcnt(0)
	v_mul_f64 v[39:40], v[215:216], v[217:218]
	v_fma_f64 v[39:40], v[213:214], v[37:38], -v[39:40]
	v_mul_f64 v[213:214], v[213:214], v[217:218]
	v_add_f64 v[1:2], v[1:2], -v[39:40]
	v_fma_f64 v[213:214], v[215:216], v[37:38], v[213:214]
	v_mov_b32_e32 v39, v217
	v_mov_b32_e32 v40, v218
	v_add_f64 v[3:4], v[3:4], -v[213:214]
.LBB109_415:
	s_or_b32 exec_lo, exec_lo, s1
	s_mov_b32 s2, exec_lo
	s_waitcnt_vscnt null, 0x0
	s_barrier
	buffer_gl0_inv
	v_cmpx_eq_u32_e32 46, v0
	s_cbranch_execz .LBB109_422
; %bb.416:
	ds_write2_b64 v255, v[33:34], v[35:36] offset1:1
	ds_write2_b64 v253, v[29:30], v[31:32] offset0:94 offset1:95
	ds_write2_b64 v253, v[25:26], v[27:28] offset0:96 offset1:97
	;; [unrolled: 1-line block ×8, first 2 shown]
	ds_read2_b64 v[213:216], v255 offset1:1
	s_waitcnt lgkmcnt(0)
	v_cmp_neq_f64_e32 vcc_lo, 0, v[213:214]
	v_cmp_neq_f64_e64 s1, 0, v[215:216]
	s_or_b32 s1, vcc_lo, s1
	s_and_b32 exec_lo, exec_lo, s1
	s_cbranch_execz .LBB109_422
; %bb.417:
	v_cmp_ngt_f64_e64 s1, |v[213:214]|, |v[215:216]|
                                        ; implicit-def: $vgpr217_vgpr218
	s_and_saveexec_b32 s3, s1
	s_xor_b32 s1, exec_lo, s3
                                        ; implicit-def: $vgpr219_vgpr220
	s_cbranch_execz .LBB109_419
; %bb.418:
	v_div_scale_f64 v[217:218], null, v[215:216], v[215:216], v[213:214]
	v_div_scale_f64 v[223:224], vcc_lo, v[213:214], v[215:216], v[213:214]
	v_rcp_f64_e32 v[219:220], v[217:218]
	v_fma_f64 v[221:222], -v[217:218], v[219:220], 1.0
	v_fma_f64 v[219:220], v[219:220], v[221:222], v[219:220]
	v_fma_f64 v[221:222], -v[217:218], v[219:220], 1.0
	v_fma_f64 v[219:220], v[219:220], v[221:222], v[219:220]
	v_mul_f64 v[221:222], v[223:224], v[219:220]
	v_fma_f64 v[217:218], -v[217:218], v[221:222], v[223:224]
	v_div_fmas_f64 v[217:218], v[217:218], v[219:220], v[221:222]
	v_div_fixup_f64 v[217:218], v[217:218], v[215:216], v[213:214]
	v_fma_f64 v[213:214], v[213:214], v[217:218], v[215:216]
	v_div_scale_f64 v[215:216], null, v[213:214], v[213:214], 1.0
	v_rcp_f64_e32 v[219:220], v[215:216]
	v_fma_f64 v[221:222], -v[215:216], v[219:220], 1.0
	v_fma_f64 v[219:220], v[219:220], v[221:222], v[219:220]
	v_fma_f64 v[221:222], -v[215:216], v[219:220], 1.0
	v_fma_f64 v[219:220], v[219:220], v[221:222], v[219:220]
	v_div_scale_f64 v[221:222], vcc_lo, 1.0, v[213:214], 1.0
	v_mul_f64 v[223:224], v[221:222], v[219:220]
	v_fma_f64 v[215:216], -v[215:216], v[223:224], v[221:222]
	v_div_fmas_f64 v[215:216], v[215:216], v[219:220], v[223:224]
	v_div_fixup_f64 v[219:220], v[215:216], v[213:214], 1.0
                                        ; implicit-def: $vgpr213_vgpr214
	v_mul_f64 v[217:218], v[217:218], v[219:220]
	v_xor_b32_e32 v220, 0x80000000, v220
.LBB109_419:
	s_andn2_saveexec_b32 s1, s1
	s_cbranch_execz .LBB109_421
; %bb.420:
	v_div_scale_f64 v[217:218], null, v[213:214], v[213:214], v[215:216]
	v_div_scale_f64 v[223:224], vcc_lo, v[215:216], v[213:214], v[215:216]
	v_rcp_f64_e32 v[219:220], v[217:218]
	v_fma_f64 v[221:222], -v[217:218], v[219:220], 1.0
	v_fma_f64 v[219:220], v[219:220], v[221:222], v[219:220]
	v_fma_f64 v[221:222], -v[217:218], v[219:220], 1.0
	v_fma_f64 v[219:220], v[219:220], v[221:222], v[219:220]
	v_mul_f64 v[221:222], v[223:224], v[219:220]
	v_fma_f64 v[217:218], -v[217:218], v[221:222], v[223:224]
	v_div_fmas_f64 v[217:218], v[217:218], v[219:220], v[221:222]
	v_div_fixup_f64 v[219:220], v[217:218], v[213:214], v[215:216]
	v_fma_f64 v[213:214], v[215:216], v[219:220], v[213:214]
	v_div_scale_f64 v[215:216], null, v[213:214], v[213:214], 1.0
	v_rcp_f64_e32 v[217:218], v[215:216]
	v_fma_f64 v[221:222], -v[215:216], v[217:218], 1.0
	v_fma_f64 v[217:218], v[217:218], v[221:222], v[217:218]
	v_fma_f64 v[221:222], -v[215:216], v[217:218], 1.0
	v_fma_f64 v[217:218], v[217:218], v[221:222], v[217:218]
	v_div_scale_f64 v[221:222], vcc_lo, 1.0, v[213:214], 1.0
	v_mul_f64 v[223:224], v[221:222], v[217:218]
	v_fma_f64 v[215:216], -v[215:216], v[223:224], v[221:222]
	v_div_fmas_f64 v[215:216], v[215:216], v[217:218], v[223:224]
	v_div_fixup_f64 v[217:218], v[215:216], v[213:214], 1.0
	v_mul_f64 v[219:220], v[219:220], -v[217:218]
.LBB109_421:
	s_or_b32 exec_lo, exec_lo, s1
	ds_write2_b64 v255, v[217:218], v[219:220] offset1:1
.LBB109_422:
	s_or_b32 exec_lo, exec_lo, s2
	s_waitcnt lgkmcnt(0)
	s_barrier
	buffer_gl0_inv
	ds_read2_b64 v[213:216], v255 offset1:1
	s_mov_b32 s1, exec_lo
	s_waitcnt lgkmcnt(0)
	buffer_store_dword v213, off, s[16:19], 0 offset:1192 ; 4-byte Folded Spill
	buffer_store_dword v214, off, s[16:19], 0 offset:1196 ; 4-byte Folded Spill
	;; [unrolled: 1-line block ×4, first 2 shown]
	v_cmpx_lt_u32_e32 46, v0
	s_cbranch_execz .LBB109_424
; %bb.423:
	s_clause 0x3
	buffer_load_dword v219, off, s[16:19], 0 offset:1192
	buffer_load_dword v220, off, s[16:19], 0 offset:1196
	;; [unrolled: 1-line block ×4, first 2 shown]
	s_waitcnt vmcnt(2)
	v_mul_f64 v[213:214], v[219:220], v[35:36]
	s_waitcnt vmcnt(0)
	v_mul_f64 v[35:36], v[221:222], v[35:36]
	v_fma_f64 v[217:218], v[221:222], v[33:34], v[213:214]
	ds_read2_b64 v[213:216], v253 offset0:94 offset1:95
	v_fma_f64 v[33:34], v[219:220], v[33:34], -v[35:36]
	s_waitcnt lgkmcnt(0)
	v_mul_f64 v[35:36], v[215:216], v[217:218]
	v_fma_f64 v[35:36], v[213:214], v[33:34], -v[35:36]
	v_mul_f64 v[213:214], v[213:214], v[217:218]
	v_add_f64 v[29:30], v[29:30], -v[35:36]
	v_fma_f64 v[213:214], v[215:216], v[33:34], v[213:214]
	v_add_f64 v[31:32], v[31:32], -v[213:214]
	ds_read2_b64 v[213:216], v253 offset0:96 offset1:97
	s_waitcnt lgkmcnt(0)
	v_mul_f64 v[35:36], v[215:216], v[217:218]
	v_fma_f64 v[35:36], v[213:214], v[33:34], -v[35:36]
	v_mul_f64 v[213:214], v[213:214], v[217:218]
	v_add_f64 v[25:26], v[25:26], -v[35:36]
	v_fma_f64 v[213:214], v[215:216], v[33:34], v[213:214]
	v_add_f64 v[27:28], v[27:28], -v[213:214]
	ds_read2_b64 v[213:216], v253 offset0:98 offset1:99
	;; [unrolled: 8-line block ×7, first 2 shown]
	s_waitcnt lgkmcnt(0)
	v_mul_f64 v[35:36], v[215:216], v[217:218]
	v_fma_f64 v[35:36], v[213:214], v[33:34], -v[35:36]
	v_mul_f64 v[213:214], v[213:214], v[217:218]
	v_add_f64 v[1:2], v[1:2], -v[35:36]
	v_fma_f64 v[213:214], v[215:216], v[33:34], v[213:214]
	v_mov_b32_e32 v35, v217
	v_mov_b32_e32 v36, v218
	v_add_f64 v[3:4], v[3:4], -v[213:214]
.LBB109_424:
	s_or_b32 exec_lo, exec_lo, s1
	s_mov_b32 s2, exec_lo
	s_waitcnt_vscnt null, 0x0
	s_barrier
	buffer_gl0_inv
	v_cmpx_eq_u32_e32 47, v0
	s_cbranch_execz .LBB109_431
; %bb.425:
	ds_write2_b64 v255, v[29:30], v[31:32] offset1:1
	ds_write2_b64 v253, v[25:26], v[27:28] offset0:96 offset1:97
	ds_write2_b64 v253, v[21:22], v[23:24] offset0:98 offset1:99
	ds_write2_b64 v253, v[17:18], v[19:20] offset0:100 offset1:101
	ds_write2_b64 v253, v[13:14], v[15:16] offset0:102 offset1:103
	ds_write2_b64 v253, v[9:10], v[11:12] offset0:104 offset1:105
	ds_write2_b64 v253, v[5:6], v[7:8] offset0:106 offset1:107
	ds_write2_b64 v253, v[1:2], v[3:4] offset0:108 offset1:109
	ds_read2_b64 v[213:216], v255 offset1:1
	s_waitcnt lgkmcnt(0)
	v_cmp_neq_f64_e32 vcc_lo, 0, v[213:214]
	v_cmp_neq_f64_e64 s1, 0, v[215:216]
	s_or_b32 s1, vcc_lo, s1
	s_and_b32 exec_lo, exec_lo, s1
	s_cbranch_execz .LBB109_431
; %bb.426:
	v_cmp_ngt_f64_e64 s1, |v[213:214]|, |v[215:216]|
                                        ; implicit-def: $vgpr217_vgpr218
	s_and_saveexec_b32 s3, s1
	s_xor_b32 s1, exec_lo, s3
                                        ; implicit-def: $vgpr219_vgpr220
	s_cbranch_execz .LBB109_428
; %bb.427:
	v_div_scale_f64 v[217:218], null, v[215:216], v[215:216], v[213:214]
	v_div_scale_f64 v[223:224], vcc_lo, v[213:214], v[215:216], v[213:214]
	v_rcp_f64_e32 v[219:220], v[217:218]
	v_fma_f64 v[221:222], -v[217:218], v[219:220], 1.0
	v_fma_f64 v[219:220], v[219:220], v[221:222], v[219:220]
	v_fma_f64 v[221:222], -v[217:218], v[219:220], 1.0
	v_fma_f64 v[219:220], v[219:220], v[221:222], v[219:220]
	v_mul_f64 v[221:222], v[223:224], v[219:220]
	v_fma_f64 v[217:218], -v[217:218], v[221:222], v[223:224]
	v_div_fmas_f64 v[217:218], v[217:218], v[219:220], v[221:222]
	v_div_fixup_f64 v[217:218], v[217:218], v[215:216], v[213:214]
	v_fma_f64 v[213:214], v[213:214], v[217:218], v[215:216]
	v_div_scale_f64 v[215:216], null, v[213:214], v[213:214], 1.0
	v_rcp_f64_e32 v[219:220], v[215:216]
	v_fma_f64 v[221:222], -v[215:216], v[219:220], 1.0
	v_fma_f64 v[219:220], v[219:220], v[221:222], v[219:220]
	v_fma_f64 v[221:222], -v[215:216], v[219:220], 1.0
	v_fma_f64 v[219:220], v[219:220], v[221:222], v[219:220]
	v_div_scale_f64 v[221:222], vcc_lo, 1.0, v[213:214], 1.0
	v_mul_f64 v[223:224], v[221:222], v[219:220]
	v_fma_f64 v[215:216], -v[215:216], v[223:224], v[221:222]
	v_div_fmas_f64 v[215:216], v[215:216], v[219:220], v[223:224]
	v_div_fixup_f64 v[219:220], v[215:216], v[213:214], 1.0
                                        ; implicit-def: $vgpr213_vgpr214
	v_mul_f64 v[217:218], v[217:218], v[219:220]
	v_xor_b32_e32 v220, 0x80000000, v220
.LBB109_428:
	s_andn2_saveexec_b32 s1, s1
	s_cbranch_execz .LBB109_430
; %bb.429:
	v_div_scale_f64 v[217:218], null, v[213:214], v[213:214], v[215:216]
	v_div_scale_f64 v[223:224], vcc_lo, v[215:216], v[213:214], v[215:216]
	v_rcp_f64_e32 v[219:220], v[217:218]
	v_fma_f64 v[221:222], -v[217:218], v[219:220], 1.0
	v_fma_f64 v[219:220], v[219:220], v[221:222], v[219:220]
	v_fma_f64 v[221:222], -v[217:218], v[219:220], 1.0
	v_fma_f64 v[219:220], v[219:220], v[221:222], v[219:220]
	v_mul_f64 v[221:222], v[223:224], v[219:220]
	v_fma_f64 v[217:218], -v[217:218], v[221:222], v[223:224]
	v_div_fmas_f64 v[217:218], v[217:218], v[219:220], v[221:222]
	v_div_fixup_f64 v[219:220], v[217:218], v[213:214], v[215:216]
	v_fma_f64 v[213:214], v[215:216], v[219:220], v[213:214]
	v_div_scale_f64 v[215:216], null, v[213:214], v[213:214], 1.0
	v_rcp_f64_e32 v[217:218], v[215:216]
	v_fma_f64 v[221:222], -v[215:216], v[217:218], 1.0
	v_fma_f64 v[217:218], v[217:218], v[221:222], v[217:218]
	v_fma_f64 v[221:222], -v[215:216], v[217:218], 1.0
	v_fma_f64 v[217:218], v[217:218], v[221:222], v[217:218]
	v_div_scale_f64 v[221:222], vcc_lo, 1.0, v[213:214], 1.0
	v_mul_f64 v[223:224], v[221:222], v[217:218]
	v_fma_f64 v[215:216], -v[215:216], v[223:224], v[221:222]
	v_div_fmas_f64 v[215:216], v[215:216], v[217:218], v[223:224]
	v_div_fixup_f64 v[217:218], v[215:216], v[213:214], 1.0
	v_mul_f64 v[219:220], v[219:220], -v[217:218]
.LBB109_430:
	s_or_b32 exec_lo, exec_lo, s1
	ds_write2_b64 v255, v[217:218], v[219:220] offset1:1
.LBB109_431:
	s_or_b32 exec_lo, exec_lo, s2
	s_waitcnt lgkmcnt(0)
	s_barrier
	buffer_gl0_inv
	ds_read2_b64 v[201:204], v255 offset1:1
	s_mov_b32 s1, exec_lo
	v_cmpx_lt_u32_e32 47, v0
	s_cbranch_execz .LBB109_433
; %bb.432:
	s_waitcnt lgkmcnt(0)
	v_mul_f64 v[213:214], v[201:202], v[31:32]
	v_mul_f64 v[31:32], v[203:204], v[31:32]
	v_fma_f64 v[217:218], v[203:204], v[29:30], v[213:214]
	ds_read2_b64 v[213:216], v253 offset0:96 offset1:97
	v_fma_f64 v[29:30], v[201:202], v[29:30], -v[31:32]
	s_waitcnt lgkmcnt(0)
	v_mul_f64 v[31:32], v[215:216], v[217:218]
	v_fma_f64 v[31:32], v[213:214], v[29:30], -v[31:32]
	v_mul_f64 v[213:214], v[213:214], v[217:218]
	v_add_f64 v[25:26], v[25:26], -v[31:32]
	v_fma_f64 v[213:214], v[215:216], v[29:30], v[213:214]
	v_add_f64 v[27:28], v[27:28], -v[213:214]
	ds_read2_b64 v[213:216], v253 offset0:98 offset1:99
	s_waitcnt lgkmcnt(0)
	v_mul_f64 v[31:32], v[215:216], v[217:218]
	v_fma_f64 v[31:32], v[213:214], v[29:30], -v[31:32]
	v_mul_f64 v[213:214], v[213:214], v[217:218]
	v_add_f64 v[21:22], v[21:22], -v[31:32]
	v_fma_f64 v[213:214], v[215:216], v[29:30], v[213:214]
	v_add_f64 v[23:24], v[23:24], -v[213:214]
	ds_read2_b64 v[213:216], v253 offset0:100 offset1:101
	;; [unrolled: 8-line block ×6, first 2 shown]
	s_waitcnt lgkmcnt(0)
	v_mul_f64 v[31:32], v[215:216], v[217:218]
	v_fma_f64 v[31:32], v[213:214], v[29:30], -v[31:32]
	v_mul_f64 v[213:214], v[213:214], v[217:218]
	v_add_f64 v[1:2], v[1:2], -v[31:32]
	v_fma_f64 v[213:214], v[215:216], v[29:30], v[213:214]
	v_mov_b32_e32 v31, v217
	v_mov_b32_e32 v32, v218
	v_add_f64 v[3:4], v[3:4], -v[213:214]
.LBB109_433:
	s_or_b32 exec_lo, exec_lo, s1
	v_cmp_eq_u32_e32 vcc_lo, 48, v0
	s_waitcnt lgkmcnt(0)
	s_barrier
	buffer_gl0_inv
	s_mov_b32 s2, exec_lo
	s_and_b32 s1, s2, vcc_lo
	buffer_store_dword v61, off, s[16:19], 0 offset:1224 ; 4-byte Folded Spill
	buffer_store_dword v62, off, s[16:19], 0 offset:1228 ; 4-byte Folded Spill
	buffer_store_dword v63, off, s[16:19], 0 offset:1232 ; 4-byte Folded Spill
	buffer_store_dword v64, off, s[16:19], 0 offset:1236 ; 4-byte Folded Spill
	s_mov_b32 exec_lo, s1
	s_cbranch_execz .LBB109_440
; %bb.434:
	ds_write2_b64 v255, v[25:26], v[27:28] offset1:1
	ds_write2_b64 v253, v[21:22], v[23:24] offset0:98 offset1:99
	ds_write2_b64 v253, v[17:18], v[19:20] offset0:100 offset1:101
	;; [unrolled: 1-line block ×6, first 2 shown]
	ds_read2_b64 v[213:216], v255 offset1:1
	s_waitcnt lgkmcnt(0)
	v_cmp_neq_f64_e32 vcc_lo, 0, v[213:214]
	v_cmp_neq_f64_e64 s1, 0, v[215:216]
	s_or_b32 s1, vcc_lo, s1
	s_and_b32 exec_lo, exec_lo, s1
	s_cbranch_execz .LBB109_440
; %bb.435:
	v_cmp_ngt_f64_e64 s1, |v[213:214]|, |v[215:216]|
                                        ; implicit-def: $vgpr217_vgpr218
	s_and_saveexec_b32 s3, s1
	s_xor_b32 s1, exec_lo, s3
                                        ; implicit-def: $vgpr219_vgpr220
	s_cbranch_execz .LBB109_437
; %bb.436:
	v_div_scale_f64 v[217:218], null, v[215:216], v[215:216], v[213:214]
	v_div_scale_f64 v[223:224], vcc_lo, v[213:214], v[215:216], v[213:214]
	v_rcp_f64_e32 v[219:220], v[217:218]
	v_fma_f64 v[221:222], -v[217:218], v[219:220], 1.0
	v_fma_f64 v[219:220], v[219:220], v[221:222], v[219:220]
	v_fma_f64 v[221:222], -v[217:218], v[219:220], 1.0
	v_fma_f64 v[219:220], v[219:220], v[221:222], v[219:220]
	v_mul_f64 v[221:222], v[223:224], v[219:220]
	v_fma_f64 v[217:218], -v[217:218], v[221:222], v[223:224]
	v_div_fmas_f64 v[217:218], v[217:218], v[219:220], v[221:222]
	v_div_fixup_f64 v[217:218], v[217:218], v[215:216], v[213:214]
	v_fma_f64 v[213:214], v[213:214], v[217:218], v[215:216]
	v_div_scale_f64 v[215:216], null, v[213:214], v[213:214], 1.0
	v_rcp_f64_e32 v[219:220], v[215:216]
	v_fma_f64 v[221:222], -v[215:216], v[219:220], 1.0
	v_fma_f64 v[219:220], v[219:220], v[221:222], v[219:220]
	v_fma_f64 v[221:222], -v[215:216], v[219:220], 1.0
	v_fma_f64 v[219:220], v[219:220], v[221:222], v[219:220]
	v_div_scale_f64 v[221:222], vcc_lo, 1.0, v[213:214], 1.0
	v_mul_f64 v[223:224], v[221:222], v[219:220]
	v_fma_f64 v[215:216], -v[215:216], v[223:224], v[221:222]
	v_div_fmas_f64 v[215:216], v[215:216], v[219:220], v[223:224]
	v_div_fixup_f64 v[219:220], v[215:216], v[213:214], 1.0
                                        ; implicit-def: $vgpr213_vgpr214
	v_mul_f64 v[217:218], v[217:218], v[219:220]
	v_xor_b32_e32 v220, 0x80000000, v220
.LBB109_437:
	s_andn2_saveexec_b32 s1, s1
	s_cbranch_execz .LBB109_439
; %bb.438:
	v_div_scale_f64 v[217:218], null, v[213:214], v[213:214], v[215:216]
	v_div_scale_f64 v[223:224], vcc_lo, v[215:216], v[213:214], v[215:216]
	v_rcp_f64_e32 v[219:220], v[217:218]
	v_fma_f64 v[221:222], -v[217:218], v[219:220], 1.0
	v_fma_f64 v[219:220], v[219:220], v[221:222], v[219:220]
	v_fma_f64 v[221:222], -v[217:218], v[219:220], 1.0
	v_fma_f64 v[219:220], v[219:220], v[221:222], v[219:220]
	v_mul_f64 v[221:222], v[223:224], v[219:220]
	v_fma_f64 v[217:218], -v[217:218], v[221:222], v[223:224]
	v_div_fmas_f64 v[217:218], v[217:218], v[219:220], v[221:222]
	v_div_fixup_f64 v[219:220], v[217:218], v[213:214], v[215:216]
	v_fma_f64 v[213:214], v[215:216], v[219:220], v[213:214]
	v_div_scale_f64 v[215:216], null, v[213:214], v[213:214], 1.0
	v_rcp_f64_e32 v[217:218], v[215:216]
	v_fma_f64 v[221:222], -v[215:216], v[217:218], 1.0
	v_fma_f64 v[217:218], v[217:218], v[221:222], v[217:218]
	v_fma_f64 v[221:222], -v[215:216], v[217:218], 1.0
	v_fma_f64 v[217:218], v[217:218], v[221:222], v[217:218]
	v_div_scale_f64 v[221:222], vcc_lo, 1.0, v[213:214], 1.0
	v_mul_f64 v[223:224], v[221:222], v[217:218]
	v_fma_f64 v[215:216], -v[215:216], v[223:224], v[221:222]
	v_div_fmas_f64 v[215:216], v[215:216], v[217:218], v[223:224]
	v_div_fixup_f64 v[217:218], v[215:216], v[213:214], 1.0
	v_mul_f64 v[219:220], v[219:220], -v[217:218]
.LBB109_439:
	s_or_b32 exec_lo, exec_lo, s1
	ds_write2_b64 v255, v[217:218], v[219:220] offset1:1
.LBB109_440:
	s_or_b32 exec_lo, exec_lo, s2
	s_waitcnt lgkmcnt(0)
	s_waitcnt_vscnt null, 0x0
	s_barrier
	buffer_gl0_inv
	ds_read2_b64 v[61:64], v255 offset1:1
	s_mov_b32 s1, exec_lo
	v_cmpx_lt_u32_e32 48, v0
	s_cbranch_execz .LBB109_442
; %bb.441:
	s_waitcnt lgkmcnt(0)
	v_mul_f64 v[213:214], v[61:62], v[27:28]
	v_mul_f64 v[27:28], v[63:64], v[27:28]
	v_fma_f64 v[217:218], v[63:64], v[25:26], v[213:214]
	ds_read2_b64 v[213:216], v253 offset0:98 offset1:99
	v_fma_f64 v[25:26], v[61:62], v[25:26], -v[27:28]
	s_waitcnt lgkmcnt(0)
	v_mul_f64 v[27:28], v[215:216], v[217:218]
	v_fma_f64 v[27:28], v[213:214], v[25:26], -v[27:28]
	v_mul_f64 v[213:214], v[213:214], v[217:218]
	v_add_f64 v[21:22], v[21:22], -v[27:28]
	v_fma_f64 v[213:214], v[215:216], v[25:26], v[213:214]
	v_add_f64 v[23:24], v[23:24], -v[213:214]
	ds_read2_b64 v[213:216], v253 offset0:100 offset1:101
	s_waitcnt lgkmcnt(0)
	v_mul_f64 v[27:28], v[215:216], v[217:218]
	v_fma_f64 v[27:28], v[213:214], v[25:26], -v[27:28]
	v_mul_f64 v[213:214], v[213:214], v[217:218]
	v_add_f64 v[17:18], v[17:18], -v[27:28]
	v_fma_f64 v[213:214], v[215:216], v[25:26], v[213:214]
	v_add_f64 v[19:20], v[19:20], -v[213:214]
	ds_read2_b64 v[213:216], v253 offset0:102 offset1:103
	;; [unrolled: 8-line block ×5, first 2 shown]
	s_waitcnt lgkmcnt(0)
	v_mul_f64 v[27:28], v[215:216], v[217:218]
	v_fma_f64 v[27:28], v[213:214], v[25:26], -v[27:28]
	v_mul_f64 v[213:214], v[213:214], v[217:218]
	v_add_f64 v[1:2], v[1:2], -v[27:28]
	v_fma_f64 v[213:214], v[215:216], v[25:26], v[213:214]
	v_mov_b32_e32 v27, v217
	v_mov_b32_e32 v28, v218
	v_add_f64 v[3:4], v[3:4], -v[213:214]
.LBB109_442:
	s_or_b32 exec_lo, exec_lo, s1
	s_mov_b32 s2, exec_lo
	s_waitcnt lgkmcnt(0)
	s_barrier
	buffer_gl0_inv
	v_cmpx_eq_u32_e32 49, v0
	s_cbranch_execz .LBB109_449
; %bb.443:
	ds_write2_b64 v255, v[21:22], v[23:24] offset1:1
	ds_write2_b64 v253, v[17:18], v[19:20] offset0:100 offset1:101
	ds_write2_b64 v253, v[13:14], v[15:16] offset0:102 offset1:103
	;; [unrolled: 1-line block ×5, first 2 shown]
	ds_read2_b64 v[213:216], v255 offset1:1
	s_waitcnt lgkmcnt(0)
	v_cmp_neq_f64_e32 vcc_lo, 0, v[213:214]
	v_cmp_neq_f64_e64 s1, 0, v[215:216]
	s_or_b32 s1, vcc_lo, s1
	s_and_b32 exec_lo, exec_lo, s1
	s_cbranch_execz .LBB109_449
; %bb.444:
	v_cmp_ngt_f64_e64 s1, |v[213:214]|, |v[215:216]|
                                        ; implicit-def: $vgpr217_vgpr218
	s_and_saveexec_b32 s3, s1
	s_xor_b32 s1, exec_lo, s3
                                        ; implicit-def: $vgpr219_vgpr220
	s_cbranch_execz .LBB109_446
; %bb.445:
	v_div_scale_f64 v[217:218], null, v[215:216], v[215:216], v[213:214]
	v_div_scale_f64 v[227:228], vcc_lo, v[213:214], v[215:216], v[213:214]
	v_rcp_f64_e32 v[219:220], v[217:218]
	v_fma_f64 v[225:226], -v[217:218], v[219:220], 1.0
	v_fma_f64 v[219:220], v[219:220], v[225:226], v[219:220]
	v_fma_f64 v[225:226], -v[217:218], v[219:220], 1.0
	v_fma_f64 v[219:220], v[219:220], v[225:226], v[219:220]
	v_mul_f64 v[225:226], v[227:228], v[219:220]
	v_fma_f64 v[217:218], -v[217:218], v[225:226], v[227:228]
	v_div_fmas_f64 v[217:218], v[217:218], v[219:220], v[225:226]
	v_div_fixup_f64 v[217:218], v[217:218], v[215:216], v[213:214]
	v_fma_f64 v[213:214], v[213:214], v[217:218], v[215:216]
	v_div_scale_f64 v[215:216], null, v[213:214], v[213:214], 1.0
	v_rcp_f64_e32 v[219:220], v[215:216]
	v_fma_f64 v[225:226], -v[215:216], v[219:220], 1.0
	v_fma_f64 v[219:220], v[219:220], v[225:226], v[219:220]
	v_fma_f64 v[225:226], -v[215:216], v[219:220], 1.0
	v_fma_f64 v[219:220], v[219:220], v[225:226], v[219:220]
	v_div_scale_f64 v[225:226], vcc_lo, 1.0, v[213:214], 1.0
	v_mul_f64 v[227:228], v[225:226], v[219:220]
	v_fma_f64 v[215:216], -v[215:216], v[227:228], v[225:226]
	v_div_fmas_f64 v[215:216], v[215:216], v[219:220], v[227:228]
	v_div_fixup_f64 v[219:220], v[215:216], v[213:214], 1.0
                                        ; implicit-def: $vgpr213_vgpr214
	v_mul_f64 v[217:218], v[217:218], v[219:220]
	v_xor_b32_e32 v220, 0x80000000, v220
.LBB109_446:
	s_andn2_saveexec_b32 s1, s1
	s_cbranch_execz .LBB109_448
; %bb.447:
	v_div_scale_f64 v[217:218], null, v[213:214], v[213:214], v[215:216]
	v_div_scale_f64 v[227:228], vcc_lo, v[215:216], v[213:214], v[215:216]
	v_rcp_f64_e32 v[219:220], v[217:218]
	v_fma_f64 v[225:226], -v[217:218], v[219:220], 1.0
	v_fma_f64 v[219:220], v[219:220], v[225:226], v[219:220]
	v_fma_f64 v[225:226], -v[217:218], v[219:220], 1.0
	v_fma_f64 v[219:220], v[219:220], v[225:226], v[219:220]
	v_mul_f64 v[225:226], v[227:228], v[219:220]
	v_fma_f64 v[217:218], -v[217:218], v[225:226], v[227:228]
	v_div_fmas_f64 v[217:218], v[217:218], v[219:220], v[225:226]
	v_div_fixup_f64 v[219:220], v[217:218], v[213:214], v[215:216]
	v_fma_f64 v[213:214], v[215:216], v[219:220], v[213:214]
	v_div_scale_f64 v[215:216], null, v[213:214], v[213:214], 1.0
	v_rcp_f64_e32 v[217:218], v[215:216]
	v_fma_f64 v[225:226], -v[215:216], v[217:218], 1.0
	v_fma_f64 v[217:218], v[217:218], v[225:226], v[217:218]
	v_fma_f64 v[225:226], -v[215:216], v[217:218], 1.0
	v_fma_f64 v[217:218], v[217:218], v[225:226], v[217:218]
	v_div_scale_f64 v[225:226], vcc_lo, 1.0, v[213:214], 1.0
	v_mul_f64 v[227:228], v[225:226], v[217:218]
	v_fma_f64 v[215:216], -v[215:216], v[227:228], v[225:226]
	v_div_fmas_f64 v[215:216], v[215:216], v[217:218], v[227:228]
	v_div_fixup_f64 v[217:218], v[215:216], v[213:214], 1.0
	v_mul_f64 v[219:220], v[219:220], -v[217:218]
.LBB109_448:
	s_or_b32 exec_lo, exec_lo, s1
	ds_write2_b64 v255, v[217:218], v[219:220] offset1:1
.LBB109_449:
	s_or_b32 exec_lo, exec_lo, s2
	s_waitcnt lgkmcnt(0)
	s_barrier
	buffer_gl0_inv
	ds_read2_b64 v[225:228], v255 offset1:1
	s_mov_b32 s1, exec_lo
	v_cmpx_lt_u32_e32 49, v0
	s_cbranch_execz .LBB109_451
; %bb.450:
	s_waitcnt lgkmcnt(0)
	v_mul_f64 v[213:214], v[225:226], v[23:24]
	v_mul_f64 v[23:24], v[227:228], v[23:24]
	v_fma_f64 v[217:218], v[227:228], v[21:22], v[213:214]
	ds_read2_b64 v[213:216], v253 offset0:100 offset1:101
	v_fma_f64 v[21:22], v[225:226], v[21:22], -v[23:24]
	s_waitcnt lgkmcnt(0)
	v_mul_f64 v[23:24], v[215:216], v[217:218]
	v_fma_f64 v[23:24], v[213:214], v[21:22], -v[23:24]
	v_mul_f64 v[213:214], v[213:214], v[217:218]
	v_add_f64 v[17:18], v[17:18], -v[23:24]
	v_fma_f64 v[213:214], v[215:216], v[21:22], v[213:214]
	v_add_f64 v[19:20], v[19:20], -v[213:214]
	ds_read2_b64 v[213:216], v253 offset0:102 offset1:103
	s_waitcnt lgkmcnt(0)
	v_mul_f64 v[23:24], v[215:216], v[217:218]
	v_fma_f64 v[23:24], v[213:214], v[21:22], -v[23:24]
	v_mul_f64 v[213:214], v[213:214], v[217:218]
	v_add_f64 v[13:14], v[13:14], -v[23:24]
	v_fma_f64 v[213:214], v[215:216], v[21:22], v[213:214]
	v_add_f64 v[15:16], v[15:16], -v[213:214]
	ds_read2_b64 v[213:216], v253 offset0:104 offset1:105
	;; [unrolled: 8-line block ×4, first 2 shown]
	s_waitcnt lgkmcnt(0)
	v_mul_f64 v[23:24], v[215:216], v[217:218]
	v_fma_f64 v[23:24], v[213:214], v[21:22], -v[23:24]
	v_mul_f64 v[213:214], v[213:214], v[217:218]
	v_add_f64 v[1:2], v[1:2], -v[23:24]
	v_fma_f64 v[213:214], v[215:216], v[21:22], v[213:214]
	v_mov_b32_e32 v23, v217
	v_mov_b32_e32 v24, v218
	v_add_f64 v[3:4], v[3:4], -v[213:214]
.LBB109_451:
	s_or_b32 exec_lo, exec_lo, s1
	s_mov_b32 s2, exec_lo
	s_waitcnt lgkmcnt(0)
	s_barrier
	buffer_gl0_inv
	v_cmpx_eq_u32_e32 50, v0
	s_cbranch_execz .LBB109_458
; %bb.452:
	ds_write2_b64 v255, v[17:18], v[19:20] offset1:1
	ds_write2_b64 v253, v[13:14], v[15:16] offset0:102 offset1:103
	ds_write2_b64 v253, v[9:10], v[11:12] offset0:104 offset1:105
	;; [unrolled: 1-line block ×4, first 2 shown]
	ds_read2_b64 v[213:216], v255 offset1:1
	s_waitcnt lgkmcnt(0)
	v_cmp_neq_f64_e32 vcc_lo, 0, v[213:214]
	v_cmp_neq_f64_e64 s1, 0, v[215:216]
	s_or_b32 s1, vcc_lo, s1
	s_and_b32 exec_lo, exec_lo, s1
	s_cbranch_execz .LBB109_458
; %bb.453:
	v_cmp_ngt_f64_e64 s1, |v[213:214]|, |v[215:216]|
                                        ; implicit-def: $vgpr217_vgpr218
	s_and_saveexec_b32 s3, s1
	s_xor_b32 s1, exec_lo, s3
                                        ; implicit-def: $vgpr219_vgpr220
	s_cbranch_execz .LBB109_455
; %bb.454:
	v_div_scale_f64 v[217:218], null, v[215:216], v[215:216], v[213:214]
	v_div_scale_f64 v[231:232], vcc_lo, v[213:214], v[215:216], v[213:214]
	v_rcp_f64_e32 v[219:220], v[217:218]
	v_fma_f64 v[229:230], -v[217:218], v[219:220], 1.0
	v_fma_f64 v[219:220], v[219:220], v[229:230], v[219:220]
	v_fma_f64 v[229:230], -v[217:218], v[219:220], 1.0
	v_fma_f64 v[219:220], v[219:220], v[229:230], v[219:220]
	v_mul_f64 v[229:230], v[231:232], v[219:220]
	v_fma_f64 v[217:218], -v[217:218], v[229:230], v[231:232]
	v_div_fmas_f64 v[217:218], v[217:218], v[219:220], v[229:230]
	v_div_fixup_f64 v[217:218], v[217:218], v[215:216], v[213:214]
	v_fma_f64 v[213:214], v[213:214], v[217:218], v[215:216]
	v_div_scale_f64 v[215:216], null, v[213:214], v[213:214], 1.0
	v_rcp_f64_e32 v[219:220], v[215:216]
	v_fma_f64 v[229:230], -v[215:216], v[219:220], 1.0
	v_fma_f64 v[219:220], v[219:220], v[229:230], v[219:220]
	v_fma_f64 v[229:230], -v[215:216], v[219:220], 1.0
	v_fma_f64 v[219:220], v[219:220], v[229:230], v[219:220]
	v_div_scale_f64 v[229:230], vcc_lo, 1.0, v[213:214], 1.0
	v_mul_f64 v[231:232], v[229:230], v[219:220]
	v_fma_f64 v[215:216], -v[215:216], v[231:232], v[229:230]
	v_div_fmas_f64 v[215:216], v[215:216], v[219:220], v[231:232]
	v_div_fixup_f64 v[219:220], v[215:216], v[213:214], 1.0
                                        ; implicit-def: $vgpr213_vgpr214
	v_mul_f64 v[217:218], v[217:218], v[219:220]
	v_xor_b32_e32 v220, 0x80000000, v220
.LBB109_455:
	s_andn2_saveexec_b32 s1, s1
	s_cbranch_execz .LBB109_457
; %bb.456:
	v_div_scale_f64 v[217:218], null, v[213:214], v[213:214], v[215:216]
	v_div_scale_f64 v[231:232], vcc_lo, v[215:216], v[213:214], v[215:216]
	v_rcp_f64_e32 v[219:220], v[217:218]
	v_fma_f64 v[229:230], -v[217:218], v[219:220], 1.0
	v_fma_f64 v[219:220], v[219:220], v[229:230], v[219:220]
	v_fma_f64 v[229:230], -v[217:218], v[219:220], 1.0
	v_fma_f64 v[219:220], v[219:220], v[229:230], v[219:220]
	v_mul_f64 v[229:230], v[231:232], v[219:220]
	v_fma_f64 v[217:218], -v[217:218], v[229:230], v[231:232]
	v_div_fmas_f64 v[217:218], v[217:218], v[219:220], v[229:230]
	v_div_fixup_f64 v[219:220], v[217:218], v[213:214], v[215:216]
	v_fma_f64 v[213:214], v[215:216], v[219:220], v[213:214]
	v_div_scale_f64 v[215:216], null, v[213:214], v[213:214], 1.0
	v_rcp_f64_e32 v[217:218], v[215:216]
	v_fma_f64 v[229:230], -v[215:216], v[217:218], 1.0
	v_fma_f64 v[217:218], v[217:218], v[229:230], v[217:218]
	v_fma_f64 v[229:230], -v[215:216], v[217:218], 1.0
	v_fma_f64 v[217:218], v[217:218], v[229:230], v[217:218]
	v_div_scale_f64 v[229:230], vcc_lo, 1.0, v[213:214], 1.0
	v_mul_f64 v[231:232], v[229:230], v[217:218]
	v_fma_f64 v[215:216], -v[215:216], v[231:232], v[229:230]
	v_div_fmas_f64 v[215:216], v[215:216], v[217:218], v[231:232]
	v_div_fixup_f64 v[217:218], v[215:216], v[213:214], 1.0
	v_mul_f64 v[219:220], v[219:220], -v[217:218]
.LBB109_457:
	s_or_b32 exec_lo, exec_lo, s1
	ds_write2_b64 v255, v[217:218], v[219:220] offset1:1
.LBB109_458:
	s_or_b32 exec_lo, exec_lo, s2
	s_waitcnt lgkmcnt(0)
	s_barrier
	buffer_gl0_inv
	ds_read2_b64 v[229:232], v255 offset1:1
	s_mov_b32 s1, exec_lo
	v_cmpx_lt_u32_e32 50, v0
	s_cbranch_execz .LBB109_460
; %bb.459:
	s_waitcnt lgkmcnt(0)
	v_mul_f64 v[213:214], v[229:230], v[19:20]
	v_mul_f64 v[19:20], v[231:232], v[19:20]
	v_fma_f64 v[217:218], v[231:232], v[17:18], v[213:214]
	ds_read2_b64 v[213:216], v253 offset0:102 offset1:103
	v_fma_f64 v[17:18], v[229:230], v[17:18], -v[19:20]
	s_waitcnt lgkmcnt(0)
	v_mul_f64 v[19:20], v[215:216], v[217:218]
	v_fma_f64 v[19:20], v[213:214], v[17:18], -v[19:20]
	v_mul_f64 v[213:214], v[213:214], v[217:218]
	v_add_f64 v[13:14], v[13:14], -v[19:20]
	v_fma_f64 v[213:214], v[215:216], v[17:18], v[213:214]
	v_add_f64 v[15:16], v[15:16], -v[213:214]
	ds_read2_b64 v[213:216], v253 offset0:104 offset1:105
	s_waitcnt lgkmcnt(0)
	v_mul_f64 v[19:20], v[215:216], v[217:218]
	v_fma_f64 v[19:20], v[213:214], v[17:18], -v[19:20]
	v_mul_f64 v[213:214], v[213:214], v[217:218]
	v_add_f64 v[9:10], v[9:10], -v[19:20]
	v_fma_f64 v[213:214], v[215:216], v[17:18], v[213:214]
	v_add_f64 v[11:12], v[11:12], -v[213:214]
	ds_read2_b64 v[213:216], v253 offset0:106 offset1:107
	;; [unrolled: 8-line block ×3, first 2 shown]
	s_waitcnt lgkmcnt(0)
	v_mul_f64 v[19:20], v[215:216], v[217:218]
	v_fma_f64 v[19:20], v[213:214], v[17:18], -v[19:20]
	v_mul_f64 v[213:214], v[213:214], v[217:218]
	v_add_f64 v[1:2], v[1:2], -v[19:20]
	v_fma_f64 v[213:214], v[215:216], v[17:18], v[213:214]
	v_mov_b32_e32 v19, v217
	v_mov_b32_e32 v20, v218
	v_add_f64 v[3:4], v[3:4], -v[213:214]
.LBB109_460:
	s_or_b32 exec_lo, exec_lo, s1
	s_mov_b32 s2, exec_lo
	s_waitcnt lgkmcnt(0)
	s_barrier
	buffer_gl0_inv
	v_cmpx_eq_u32_e32 51, v0
	s_cbranch_execz .LBB109_467
; %bb.461:
	ds_write2_b64 v255, v[13:14], v[15:16] offset1:1
	ds_write2_b64 v253, v[9:10], v[11:12] offset0:104 offset1:105
	ds_write2_b64 v253, v[5:6], v[7:8] offset0:106 offset1:107
	;; [unrolled: 1-line block ×3, first 2 shown]
	ds_read2_b64 v[213:216], v255 offset1:1
	s_waitcnt lgkmcnt(0)
	v_cmp_neq_f64_e32 vcc_lo, 0, v[213:214]
	v_cmp_neq_f64_e64 s1, 0, v[215:216]
	s_or_b32 s1, vcc_lo, s1
	s_and_b32 exec_lo, exec_lo, s1
	s_cbranch_execz .LBB109_467
; %bb.462:
	v_cmp_ngt_f64_e64 s1, |v[213:214]|, |v[215:216]|
                                        ; implicit-def: $vgpr217_vgpr218
	s_and_saveexec_b32 s3, s1
	s_xor_b32 s1, exec_lo, s3
                                        ; implicit-def: $vgpr219_vgpr220
	s_cbranch_execz .LBB109_464
; %bb.463:
	v_div_scale_f64 v[217:218], null, v[215:216], v[215:216], v[213:214]
	v_div_scale_f64 v[235:236], vcc_lo, v[213:214], v[215:216], v[213:214]
	v_rcp_f64_e32 v[219:220], v[217:218]
	v_fma_f64 v[233:234], -v[217:218], v[219:220], 1.0
	v_fma_f64 v[219:220], v[219:220], v[233:234], v[219:220]
	v_fma_f64 v[233:234], -v[217:218], v[219:220], 1.0
	v_fma_f64 v[219:220], v[219:220], v[233:234], v[219:220]
	v_mul_f64 v[233:234], v[235:236], v[219:220]
	v_fma_f64 v[217:218], -v[217:218], v[233:234], v[235:236]
	v_div_fmas_f64 v[217:218], v[217:218], v[219:220], v[233:234]
	v_div_fixup_f64 v[217:218], v[217:218], v[215:216], v[213:214]
	v_fma_f64 v[213:214], v[213:214], v[217:218], v[215:216]
	v_div_scale_f64 v[215:216], null, v[213:214], v[213:214], 1.0
	v_rcp_f64_e32 v[219:220], v[215:216]
	v_fma_f64 v[233:234], -v[215:216], v[219:220], 1.0
	v_fma_f64 v[219:220], v[219:220], v[233:234], v[219:220]
	v_fma_f64 v[233:234], -v[215:216], v[219:220], 1.0
	v_fma_f64 v[219:220], v[219:220], v[233:234], v[219:220]
	v_div_scale_f64 v[233:234], vcc_lo, 1.0, v[213:214], 1.0
	v_mul_f64 v[235:236], v[233:234], v[219:220]
	v_fma_f64 v[215:216], -v[215:216], v[235:236], v[233:234]
	v_div_fmas_f64 v[215:216], v[215:216], v[219:220], v[235:236]
	v_div_fixup_f64 v[219:220], v[215:216], v[213:214], 1.0
                                        ; implicit-def: $vgpr213_vgpr214
	v_mul_f64 v[217:218], v[217:218], v[219:220]
	v_xor_b32_e32 v220, 0x80000000, v220
.LBB109_464:
	s_andn2_saveexec_b32 s1, s1
	s_cbranch_execz .LBB109_466
; %bb.465:
	v_div_scale_f64 v[217:218], null, v[213:214], v[213:214], v[215:216]
	v_div_scale_f64 v[235:236], vcc_lo, v[215:216], v[213:214], v[215:216]
	v_rcp_f64_e32 v[219:220], v[217:218]
	v_fma_f64 v[233:234], -v[217:218], v[219:220], 1.0
	v_fma_f64 v[219:220], v[219:220], v[233:234], v[219:220]
	v_fma_f64 v[233:234], -v[217:218], v[219:220], 1.0
	v_fma_f64 v[219:220], v[219:220], v[233:234], v[219:220]
	v_mul_f64 v[233:234], v[235:236], v[219:220]
	v_fma_f64 v[217:218], -v[217:218], v[233:234], v[235:236]
	v_div_fmas_f64 v[217:218], v[217:218], v[219:220], v[233:234]
	v_div_fixup_f64 v[219:220], v[217:218], v[213:214], v[215:216]
	v_fma_f64 v[213:214], v[215:216], v[219:220], v[213:214]
	v_div_scale_f64 v[215:216], null, v[213:214], v[213:214], 1.0
	v_rcp_f64_e32 v[217:218], v[215:216]
	v_fma_f64 v[233:234], -v[215:216], v[217:218], 1.0
	v_fma_f64 v[217:218], v[217:218], v[233:234], v[217:218]
	v_fma_f64 v[233:234], -v[215:216], v[217:218], 1.0
	v_fma_f64 v[217:218], v[217:218], v[233:234], v[217:218]
	v_div_scale_f64 v[233:234], vcc_lo, 1.0, v[213:214], 1.0
	v_mul_f64 v[235:236], v[233:234], v[217:218]
	v_fma_f64 v[215:216], -v[215:216], v[235:236], v[233:234]
	v_div_fmas_f64 v[215:216], v[215:216], v[217:218], v[235:236]
	v_div_fixup_f64 v[217:218], v[215:216], v[213:214], 1.0
	v_mul_f64 v[219:220], v[219:220], -v[217:218]
.LBB109_466:
	s_or_b32 exec_lo, exec_lo, s1
	ds_write2_b64 v255, v[217:218], v[219:220] offset1:1
.LBB109_467:
	s_or_b32 exec_lo, exec_lo, s2
	s_waitcnt lgkmcnt(0)
	s_barrier
	buffer_gl0_inv
	ds_read2_b64 v[233:236], v255 offset1:1
	s_mov_b32 s1, exec_lo
	v_cmpx_lt_u32_e32 51, v0
	s_cbranch_execz .LBB109_469
; %bb.468:
	s_waitcnt lgkmcnt(0)
	v_mul_f64 v[213:214], v[233:234], v[15:16]
	v_mul_f64 v[15:16], v[235:236], v[15:16]
	v_fma_f64 v[217:218], v[235:236], v[13:14], v[213:214]
	ds_read2_b64 v[213:216], v253 offset0:104 offset1:105
	v_fma_f64 v[13:14], v[233:234], v[13:14], -v[15:16]
	s_waitcnt lgkmcnt(0)
	v_mul_f64 v[15:16], v[215:216], v[217:218]
	v_fma_f64 v[15:16], v[213:214], v[13:14], -v[15:16]
	v_mul_f64 v[213:214], v[213:214], v[217:218]
	v_add_f64 v[9:10], v[9:10], -v[15:16]
	v_fma_f64 v[213:214], v[215:216], v[13:14], v[213:214]
	v_add_f64 v[11:12], v[11:12], -v[213:214]
	ds_read2_b64 v[213:216], v253 offset0:106 offset1:107
	s_waitcnt lgkmcnt(0)
	v_mul_f64 v[15:16], v[215:216], v[217:218]
	v_fma_f64 v[15:16], v[213:214], v[13:14], -v[15:16]
	v_mul_f64 v[213:214], v[213:214], v[217:218]
	v_add_f64 v[5:6], v[5:6], -v[15:16]
	v_fma_f64 v[213:214], v[215:216], v[13:14], v[213:214]
	v_add_f64 v[7:8], v[7:8], -v[213:214]
	ds_read2_b64 v[213:216], v253 offset0:108 offset1:109
	s_waitcnt lgkmcnt(0)
	v_mul_f64 v[15:16], v[215:216], v[217:218]
	v_fma_f64 v[15:16], v[213:214], v[13:14], -v[15:16]
	v_mul_f64 v[213:214], v[213:214], v[217:218]
	v_add_f64 v[1:2], v[1:2], -v[15:16]
	v_fma_f64 v[213:214], v[215:216], v[13:14], v[213:214]
	v_mov_b32_e32 v15, v217
	v_mov_b32_e32 v16, v218
	v_add_f64 v[3:4], v[3:4], -v[213:214]
.LBB109_469:
	s_or_b32 exec_lo, exec_lo, s1
	s_mov_b32 s2, exec_lo
	s_waitcnt lgkmcnt(0)
	s_barrier
	buffer_gl0_inv
	v_cmpx_eq_u32_e32 52, v0
	s_cbranch_execz .LBB109_476
; %bb.470:
	ds_write2_b64 v255, v[9:10], v[11:12] offset1:1
	ds_write2_b64 v253, v[5:6], v[7:8] offset0:106 offset1:107
	ds_write2_b64 v253, v[1:2], v[3:4] offset0:108 offset1:109
	ds_read2_b64 v[213:216], v255 offset1:1
	s_waitcnt lgkmcnt(0)
	v_cmp_neq_f64_e32 vcc_lo, 0, v[213:214]
	v_cmp_neq_f64_e64 s1, 0, v[215:216]
	s_or_b32 s1, vcc_lo, s1
	s_and_b32 exec_lo, exec_lo, s1
	s_cbranch_execz .LBB109_476
; %bb.471:
	v_cmp_ngt_f64_e64 s1, |v[213:214]|, |v[215:216]|
                                        ; implicit-def: $vgpr217_vgpr218
	s_and_saveexec_b32 s3, s1
	s_xor_b32 s1, exec_lo, s3
                                        ; implicit-def: $vgpr219_vgpr220
	s_cbranch_execz .LBB109_473
; %bb.472:
	v_div_scale_f64 v[217:218], null, v[215:216], v[215:216], v[213:214]
	v_div_scale_f64 v[239:240], vcc_lo, v[213:214], v[215:216], v[213:214]
	v_rcp_f64_e32 v[219:220], v[217:218]
	v_fma_f64 v[237:238], -v[217:218], v[219:220], 1.0
	v_fma_f64 v[219:220], v[219:220], v[237:238], v[219:220]
	v_fma_f64 v[237:238], -v[217:218], v[219:220], 1.0
	v_fma_f64 v[219:220], v[219:220], v[237:238], v[219:220]
	v_mul_f64 v[237:238], v[239:240], v[219:220]
	v_fma_f64 v[217:218], -v[217:218], v[237:238], v[239:240]
	v_div_fmas_f64 v[217:218], v[217:218], v[219:220], v[237:238]
	v_div_fixup_f64 v[217:218], v[217:218], v[215:216], v[213:214]
	v_fma_f64 v[213:214], v[213:214], v[217:218], v[215:216]
	v_div_scale_f64 v[215:216], null, v[213:214], v[213:214], 1.0
	v_rcp_f64_e32 v[219:220], v[215:216]
	v_fma_f64 v[237:238], -v[215:216], v[219:220], 1.0
	v_fma_f64 v[219:220], v[219:220], v[237:238], v[219:220]
	v_fma_f64 v[237:238], -v[215:216], v[219:220], 1.0
	v_fma_f64 v[219:220], v[219:220], v[237:238], v[219:220]
	v_div_scale_f64 v[237:238], vcc_lo, 1.0, v[213:214], 1.0
	v_mul_f64 v[239:240], v[237:238], v[219:220]
	v_fma_f64 v[215:216], -v[215:216], v[239:240], v[237:238]
	v_div_fmas_f64 v[215:216], v[215:216], v[219:220], v[239:240]
	v_div_fixup_f64 v[219:220], v[215:216], v[213:214], 1.0
                                        ; implicit-def: $vgpr213_vgpr214
	v_mul_f64 v[217:218], v[217:218], v[219:220]
	v_xor_b32_e32 v220, 0x80000000, v220
.LBB109_473:
	s_andn2_saveexec_b32 s1, s1
	s_cbranch_execz .LBB109_475
; %bb.474:
	v_div_scale_f64 v[217:218], null, v[213:214], v[213:214], v[215:216]
	v_div_scale_f64 v[239:240], vcc_lo, v[215:216], v[213:214], v[215:216]
	v_rcp_f64_e32 v[219:220], v[217:218]
	v_fma_f64 v[237:238], -v[217:218], v[219:220], 1.0
	v_fma_f64 v[219:220], v[219:220], v[237:238], v[219:220]
	v_fma_f64 v[237:238], -v[217:218], v[219:220], 1.0
	v_fma_f64 v[219:220], v[219:220], v[237:238], v[219:220]
	v_mul_f64 v[237:238], v[239:240], v[219:220]
	v_fma_f64 v[217:218], -v[217:218], v[237:238], v[239:240]
	v_div_fmas_f64 v[217:218], v[217:218], v[219:220], v[237:238]
	v_div_fixup_f64 v[219:220], v[217:218], v[213:214], v[215:216]
	v_fma_f64 v[213:214], v[215:216], v[219:220], v[213:214]
	v_div_scale_f64 v[215:216], null, v[213:214], v[213:214], 1.0
	v_rcp_f64_e32 v[217:218], v[215:216]
	v_fma_f64 v[237:238], -v[215:216], v[217:218], 1.0
	v_fma_f64 v[217:218], v[217:218], v[237:238], v[217:218]
	v_fma_f64 v[237:238], -v[215:216], v[217:218], 1.0
	v_fma_f64 v[217:218], v[217:218], v[237:238], v[217:218]
	v_div_scale_f64 v[237:238], vcc_lo, 1.0, v[213:214], 1.0
	v_mul_f64 v[239:240], v[237:238], v[217:218]
	v_fma_f64 v[215:216], -v[215:216], v[239:240], v[237:238]
	v_div_fmas_f64 v[215:216], v[215:216], v[217:218], v[239:240]
	v_div_fixup_f64 v[217:218], v[215:216], v[213:214], 1.0
	v_mul_f64 v[219:220], v[219:220], -v[217:218]
.LBB109_475:
	s_or_b32 exec_lo, exec_lo, s1
	ds_write2_b64 v255, v[217:218], v[219:220] offset1:1
.LBB109_476:
	s_or_b32 exec_lo, exec_lo, s2
	s_waitcnt lgkmcnt(0)
	s_barrier
	buffer_gl0_inv
	ds_read2_b64 v[217:220], v255 offset1:1
	s_mov_b32 s1, exec_lo
	v_cmpx_lt_u32_e32 52, v0
	s_cbranch_execz .LBB109_478
; %bb.477:
	s_waitcnt lgkmcnt(0)
	v_mul_f64 v[213:214], v[217:218], v[11:12]
	v_mul_f64 v[11:12], v[219:220], v[11:12]
	v_fma_f64 v[237:238], v[219:220], v[9:10], v[213:214]
	ds_read2_b64 v[213:216], v253 offset0:106 offset1:107
	v_fma_f64 v[9:10], v[217:218], v[9:10], -v[11:12]
	s_waitcnt lgkmcnt(0)
	v_mul_f64 v[11:12], v[215:216], v[237:238]
	v_fma_f64 v[11:12], v[213:214], v[9:10], -v[11:12]
	v_mul_f64 v[213:214], v[213:214], v[237:238]
	v_add_f64 v[5:6], v[5:6], -v[11:12]
	v_fma_f64 v[213:214], v[215:216], v[9:10], v[213:214]
	v_add_f64 v[7:8], v[7:8], -v[213:214]
	ds_read2_b64 v[213:216], v253 offset0:108 offset1:109
	s_waitcnt lgkmcnt(0)
	v_mul_f64 v[11:12], v[215:216], v[237:238]
	v_fma_f64 v[11:12], v[213:214], v[9:10], -v[11:12]
	v_mul_f64 v[213:214], v[213:214], v[237:238]
	v_add_f64 v[1:2], v[1:2], -v[11:12]
	v_fma_f64 v[213:214], v[215:216], v[9:10], v[213:214]
	v_mov_b32_e32 v11, v237
	v_mov_b32_e32 v12, v238
	v_add_f64 v[3:4], v[3:4], -v[213:214]
.LBB109_478:
	s_or_b32 exec_lo, exec_lo, s1
	s_mov_b32 s2, exec_lo
	s_waitcnt lgkmcnt(0)
	s_barrier
	buffer_gl0_inv
	v_cmpx_eq_u32_e32 53, v0
	s_cbranch_execz .LBB109_485
; %bb.479:
	ds_write2_b64 v255, v[5:6], v[7:8] offset1:1
	ds_write2_b64 v253, v[1:2], v[3:4] offset0:108 offset1:109
	ds_read2_b64 v[213:216], v255 offset1:1
	s_waitcnt lgkmcnt(0)
	v_cmp_neq_f64_e32 vcc_lo, 0, v[213:214]
	v_cmp_neq_f64_e64 s1, 0, v[215:216]
	s_or_b32 s1, vcc_lo, s1
	s_and_b32 exec_lo, exec_lo, s1
	s_cbranch_execz .LBB109_485
; %bb.480:
	v_cmp_ngt_f64_e64 s1, |v[213:214]|, |v[215:216]|
                                        ; implicit-def: $vgpr237_vgpr238
	s_and_saveexec_b32 s3, s1
	s_xor_b32 s1, exec_lo, s3
                                        ; implicit-def: $vgpr239_vgpr240
	s_cbranch_execz .LBB109_482
; %bb.481:
	v_div_scale_f64 v[237:238], null, v[215:216], v[215:216], v[213:214]
	v_mov_b32_e32 v189, v209
	v_mov_b32_e32 v190, v210
	v_mov_b32_e32 v191, v211
	v_mov_b32_e32 v192, v212
	v_rcp_f64_e32 v[239:240], v[237:238]
	v_fma_f64 v[209:210], -v[237:238], v[239:240], 1.0
	v_fma_f64 v[209:210], v[239:240], v[209:210], v[239:240]
	v_div_scale_f64 v[239:240], vcc_lo, v[213:214], v[215:216], v[213:214]
	v_fma_f64 v[211:212], -v[237:238], v[209:210], 1.0
	v_fma_f64 v[209:210], v[209:210], v[211:212], v[209:210]
	v_mul_f64 v[211:212], v[239:240], v[209:210]
	v_fma_f64 v[237:238], -v[237:238], v[211:212], v[239:240]
	v_div_fmas_f64 v[209:210], v[237:238], v[209:210], v[211:212]
	v_div_fixup_f64 v[209:210], v[209:210], v[215:216], v[213:214]
	v_fma_f64 v[211:212], v[213:214], v[209:210], v[215:216]
	v_div_scale_f64 v[213:214], null, v[211:212], v[211:212], 1.0
	v_rcp_f64_e32 v[215:216], v[213:214]
	v_fma_f64 v[237:238], -v[213:214], v[215:216], 1.0
	v_fma_f64 v[215:216], v[215:216], v[237:238], v[215:216]
	v_fma_f64 v[237:238], -v[213:214], v[215:216], 1.0
	v_fma_f64 v[215:216], v[215:216], v[237:238], v[215:216]
	v_div_scale_f64 v[237:238], vcc_lo, 1.0, v[211:212], 1.0
	v_mul_f64 v[239:240], v[237:238], v[215:216]
	v_fma_f64 v[213:214], -v[213:214], v[239:240], v[237:238]
	v_div_fmas_f64 v[213:214], v[213:214], v[215:216], v[239:240]
	v_div_fixup_f64 v[239:240], v[213:214], v[211:212], 1.0
                                        ; implicit-def: $vgpr213_vgpr214
	v_mul_f64 v[237:238], v[209:210], v[239:240]
	v_mov_b32_e32 v212, v192
	v_mov_b32_e32 v211, v191
	;; [unrolled: 1-line block ×4, first 2 shown]
	s_clause 0x3
	buffer_load_dword v189, off, s[16:19], 0 offset:64
	buffer_load_dword v190, off, s[16:19], 0 offset:68
	;; [unrolled: 1-line block ×4, first 2 shown]
	v_xor_b32_e32 v240, 0x80000000, v240
.LBB109_482:
	s_andn2_saveexec_b32 s1, s1
	s_cbranch_execz .LBB109_484
; %bb.483:
	s_waitcnt vmcnt(0)
	v_mov_b32_e32 v189, v209
	v_mov_b32_e32 v190, v210
	;; [unrolled: 1-line block ×4, first 2 shown]
	v_div_scale_f64 v[209:210], null, v[213:214], v[213:214], v[215:216]
	v_div_scale_f64 v[239:240], vcc_lo, v[215:216], v[213:214], v[215:216]
	v_rcp_f64_e32 v[211:212], v[209:210]
	v_fma_f64 v[237:238], -v[209:210], v[211:212], 1.0
	v_fma_f64 v[211:212], v[211:212], v[237:238], v[211:212]
	v_fma_f64 v[237:238], -v[209:210], v[211:212], 1.0
	v_fma_f64 v[211:212], v[211:212], v[237:238], v[211:212]
	v_mul_f64 v[237:238], v[239:240], v[211:212]
	v_fma_f64 v[209:210], -v[209:210], v[237:238], v[239:240]
	v_div_fmas_f64 v[209:210], v[209:210], v[211:212], v[237:238]
	v_div_fixup_f64 v[209:210], v[209:210], v[213:214], v[215:216]
	v_fma_f64 v[211:212], v[215:216], v[209:210], v[213:214]
	v_div_scale_f64 v[213:214], null, v[211:212], v[211:212], 1.0
	v_rcp_f64_e32 v[215:216], v[213:214]
	v_fma_f64 v[237:238], -v[213:214], v[215:216], 1.0
	v_fma_f64 v[215:216], v[215:216], v[237:238], v[215:216]
	v_fma_f64 v[237:238], -v[213:214], v[215:216], 1.0
	v_fma_f64 v[215:216], v[215:216], v[237:238], v[215:216]
	v_div_scale_f64 v[237:238], vcc_lo, 1.0, v[211:212], 1.0
	v_mul_f64 v[239:240], v[237:238], v[215:216]
	v_fma_f64 v[213:214], -v[213:214], v[239:240], v[237:238]
	v_div_fmas_f64 v[213:214], v[213:214], v[215:216], v[239:240]
	v_div_fixup_f64 v[237:238], v[213:214], v[211:212], 1.0
	v_mul_f64 v[239:240], v[209:210], -v[237:238]
	v_mov_b32_e32 v212, v192
	v_mov_b32_e32 v211, v191
	;; [unrolled: 1-line block ×4, first 2 shown]
	s_clause 0x3
	buffer_load_dword v189, off, s[16:19], 0 offset:64
	buffer_load_dword v190, off, s[16:19], 0 offset:68
	;; [unrolled: 1-line block ×4, first 2 shown]
.LBB109_484:
	s_or_b32 exec_lo, exec_lo, s1
	ds_write2_b64 v255, v[237:238], v[239:240] offset1:1
.LBB109_485:
	s_or_b32 exec_lo, exec_lo, s2
	s_waitcnt vmcnt(0) lgkmcnt(0)
	s_barrier
	buffer_gl0_inv
	ds_read2_b64 v[213:216], v255 offset1:1
	s_mov_b32 s1, exec_lo
	v_cmpx_lt_u32_e32 53, v0
	s_cbranch_execz .LBB109_487
; %bb.486:
	v_mov_b32_e32 v189, v209
	v_mov_b32_e32 v190, v210
	;; [unrolled: 1-line block ×4, first 2 shown]
	s_waitcnt lgkmcnt(0)
	v_mul_f64 v[209:210], v[213:214], v[7:8]
	v_mul_f64 v[7:8], v[215:216], v[7:8]
	ds_read2_b64 v[237:240], v253 offset0:108 offset1:109
	v_fma_f64 v[209:210], v[215:216], v[5:6], v[209:210]
	v_fma_f64 v[5:6], v[213:214], v[5:6], -v[7:8]
	s_waitcnt lgkmcnt(0)
	v_mul_f64 v[7:8], v[239:240], v[209:210]
	v_mul_f64 v[211:212], v[237:238], v[209:210]
	v_fma_f64 v[7:8], v[237:238], v[5:6], -v[7:8]
	v_fma_f64 v[211:212], v[239:240], v[5:6], v[211:212]
	v_add_f64 v[1:2], v[1:2], -v[7:8]
	v_mov_b32_e32 v7, v209
	v_add_f64 v[3:4], v[3:4], -v[211:212]
	v_mov_b32_e32 v8, v210
	v_mov_b32_e32 v212, v192
	;; [unrolled: 1-line block ×5, first 2 shown]
	s_clause 0x3
	buffer_load_dword v189, off, s[16:19], 0 offset:64
	buffer_load_dword v190, off, s[16:19], 0 offset:68
	;; [unrolled: 1-line block ×4, first 2 shown]
.LBB109_487:
	s_or_b32 exec_lo, exec_lo, s1
	s_mov_b32 s2, exec_lo
	s_waitcnt vmcnt(0) lgkmcnt(0)
	s_barrier
	buffer_gl0_inv
	v_cmpx_eq_u32_e32 54, v0
	s_cbranch_execz .LBB109_494
; %bb.488:
	v_cmp_neq_f64_e32 vcc_lo, 0, v[1:2]
	v_cmp_neq_f64_e64 s1, 0, v[3:4]
	ds_write2_b64 v255, v[1:2], v[3:4] offset1:1
	s_or_b32 s1, vcc_lo, s1
	s_and_b32 exec_lo, exec_lo, s1
	s_cbranch_execz .LBB109_494
; %bb.489:
	v_cmp_ngt_f64_e64 s1, |v[1:2]|, |v[3:4]|
                                        ; implicit-def: $vgpr237_vgpr238
	s_and_saveexec_b32 s3, s1
	s_xor_b32 s1, exec_lo, s3
                                        ; implicit-def: $vgpr239_vgpr240
	s_cbranch_execz .LBB109_491
; %bb.490:
	buffer_store_dword v153, off, s[16:19], 0 offset:1240 ; 4-byte Folded Spill
	buffer_store_dword v154, off, s[16:19], 0 offset:1244 ; 4-byte Folded Spill
	;; [unrolled: 1-line block ×4, first 2 shown]
	v_mov_b32_e32 v153, v157
	v_mov_b32_e32 v154, v158
	;; [unrolled: 1-line block ×40, first 2 shown]
	v_div_scale_f64 v[209:210], null, v[3:4], v[3:4], v[1:2]
	v_div_scale_f64 v[239:240], vcc_lo, v[1:2], v[3:4], v[1:2]
	v_mov_b32_e32 v224, v204
	v_mov_b32_e32 v223, v203
	;; [unrolled: 1-line block ×14, first 2 shown]
	v_rcp_f64_e32 v[211:212], v[209:210]
	v_fma_f64 v[237:238], -v[209:210], v[211:212], 1.0
	v_fma_f64 v[211:212], v[211:212], v[237:238], v[211:212]
	v_fma_f64 v[237:238], -v[209:210], v[211:212], 1.0
	v_fma_f64 v[211:212], v[211:212], v[237:238], v[211:212]
	v_mul_f64 v[237:238], v[239:240], v[211:212]
	v_fma_f64 v[209:210], -v[209:210], v[237:238], v[239:240]
	v_div_fmas_f64 v[209:210], v[209:210], v[211:212], v[237:238]
	v_div_fixup_f64 v[209:210], v[209:210], v[3:4], v[1:2]
	v_fma_f64 v[211:212], v[1:2], v[209:210], v[3:4]
	v_div_scale_f64 v[237:238], null, v[211:212], v[211:212], 1.0
	v_rcp_f64_e32 v[239:240], v[237:238]
	v_fma_f64 v[253:254], -v[237:238], v[239:240], 1.0
	v_fma_f64 v[239:240], v[239:240], v[253:254], v[239:240]
	v_fma_f64 v[253:254], -v[237:238], v[239:240], 1.0
	v_fma_f64 v[239:240], v[239:240], v[253:254], v[239:240]
	v_div_scale_f64 v[253:254], vcc_lo, 1.0, v[211:212], 1.0
	v_mul_f64 v[205:206], v[253:254], v[239:240]
	v_fma_f64 v[207:208], -v[237:238], v[205:206], v[253:254]
	v_div_fmas_f64 v[205:206], v[207:208], v[239:240], v[205:206]
	v_mov_b32_e32 v208, v202
	v_mov_b32_e32 v207, v201
	;; [unrolled: 1-line block ×6, first 2 shown]
	v_div_fixup_f64 v[239:240], v[205:206], v[211:212], 1.0
	v_mul_f64 v[237:238], v[209:210], v[239:240]
	v_mov_b32_e32 v209, v241
	v_mov_b32_e32 v210, v242
	;; [unrolled: 1-line block ×40, first 2 shown]
	s_clause 0x7
	buffer_load_dword v153, off, s[16:19], 0 offset:1240
	buffer_load_dword v154, off, s[16:19], 0 offset:1244
	buffer_load_dword v155, off, s[16:19], 0 offset:1248
	buffer_load_dword v156, off, s[16:19], 0 offset:1252
	buffer_load_dword v189, off, s[16:19], 0 offset:64
	buffer_load_dword v190, off, s[16:19], 0 offset:68
	buffer_load_dword v191, off, s[16:19], 0 offset:72
	buffer_load_dword v192, off, s[16:19], 0 offset:76
	v_xor_b32_e32 v240, 0x80000000, v240
.LBB109_491:
	s_andn2_saveexec_b32 s1, s1
	s_cbranch_execz .LBB109_493
; %bb.492:
	v_div_scale_f64 v[205:206], null, v[1:2], v[1:2], v[3:4]
	v_mov_b32_e32 v254, v208
	v_mov_b32_e32 v253, v207
	s_waitcnt vmcnt(0)
	v_mov_b32_e32 v189, v209
	v_mov_b32_e32 v190, v210
	v_mov_b32_e32 v191, v211
	v_mov_b32_e32 v192, v212
	v_div_scale_f64 v[211:212], vcc_lo, v[3:4], v[1:2], v[3:4]
	v_rcp_f64_e32 v[207:208], v[205:206]
	v_fma_f64 v[209:210], -v[205:206], v[207:208], 1.0
	v_fma_f64 v[207:208], v[207:208], v[209:210], v[207:208]
	v_fma_f64 v[209:210], -v[205:206], v[207:208], 1.0
	v_fma_f64 v[207:208], v[207:208], v[209:210], v[207:208]
	v_mul_f64 v[209:210], v[211:212], v[207:208]
	v_fma_f64 v[205:206], -v[205:206], v[209:210], v[211:212]
	v_div_fmas_f64 v[205:206], v[205:206], v[207:208], v[209:210]
	v_div_fixup_f64 v[205:206], v[205:206], v[1:2], v[3:4]
	v_fma_f64 v[207:208], v[3:4], v[205:206], v[1:2]
	v_div_scale_f64 v[209:210], null, v[207:208], v[207:208], 1.0
	v_rcp_f64_e32 v[211:212], v[209:210]
	v_fma_f64 v[237:238], -v[209:210], v[211:212], 1.0
	v_fma_f64 v[211:212], v[211:212], v[237:238], v[211:212]
	v_fma_f64 v[237:238], -v[209:210], v[211:212], 1.0
	v_fma_f64 v[211:212], v[211:212], v[237:238], v[211:212]
	v_div_scale_f64 v[237:238], vcc_lo, 1.0, v[207:208], 1.0
	v_mul_f64 v[239:240], v[237:238], v[211:212]
	v_fma_f64 v[209:210], -v[209:210], v[239:240], v[237:238]
	v_div_fmas_f64 v[209:210], v[209:210], v[211:212], v[239:240]
	v_div_fixup_f64 v[237:238], v[209:210], v[207:208], 1.0
	v_mov_b32_e32 v212, v192
	v_mov_b32_e32 v211, v191
	;; [unrolled: 1-line block ×4, first 2 shown]
	s_clause 0x3
	buffer_load_dword v189, off, s[16:19], 0 offset:64
	buffer_load_dword v190, off, s[16:19], 0 offset:68
	;; [unrolled: 1-line block ×4, first 2 shown]
	v_mov_b32_e32 v207, v253
	v_mov_b32_e32 v208, v254
	v_mul_f64 v[239:240], v[205:206], -v[237:238]
.LBB109_493:
	s_or_b32 exec_lo, exec_lo, s1
	ds_write2_b64 v255, v[237:238], v[239:240] offset1:1
.LBB109_494:
	s_or_b32 exec_lo, exec_lo, s2
	s_waitcnt vmcnt(0) lgkmcnt(0)
	s_waitcnt_vscnt null, 0x0
	s_barrier
	buffer_gl0_inv
	ds_read2_b64 v[237:240], v255 offset1:1
	s_mov_b32 s1, exec_lo
	v_cmpx_lt_u32_e32 54, v0
	s_cbranch_execz .LBB109_496
; %bb.495:
	s_waitcnt lgkmcnt(0)
	v_mul_f64 v[205:206], v[239:240], v[3:4]
	v_mul_f64 v[3:4], v[237:238], v[3:4]
	v_fma_f64 v[205:206], v[237:238], v[1:2], -v[205:206]
	v_fma_f64 v[3:4], v[239:240], v[1:2], v[3:4]
	v_mov_b32_e32 v1, v205
	v_mov_b32_e32 v2, v206
.LBB109_496:
	s_or_b32 exec_lo, exec_lo, s1
	s_waitcnt lgkmcnt(0)
	s_barrier
	buffer_gl0_inv
	s_and_saveexec_b32 s8, s0
	s_cbranch_execz .LBB109_499
; %bb.497:
	s_clause 0x3
	buffer_load_dword v221, off, s[16:19], 0 offset:456
	buffer_load_dword v222, off, s[16:19], 0 offset:460
	;; [unrolled: 1-line block ×4, first 2 shown]
	v_lshlrev_b64 v[205:206], 2, v[199:200]
	s_waitcnt vmcnt(2)
	v_cmp_eq_f64_e32 vcc_lo, 0, v[221:222]
	s_waitcnt vmcnt(0)
	v_cmp_eq_f64_e64 s0, 0, v[223:224]
	s_clause 0x3
	buffer_load_dword v221, off, s[16:19], 0 offset:472
	buffer_load_dword v222, off, s[16:19], 0 offset:476
	;; [unrolled: 1-line block ×4, first 2 shown]
	s_and_b32 s0, vcc_lo, s0
	v_cndmask_b32_e64 v0, 0, 1, s0
	s_waitcnt vmcnt(2)
	v_cmp_neq_f64_e64 s1, 0, v[221:222]
	s_waitcnt vmcnt(0)
	v_cmp_neq_f64_e64 s2, 0, v[223:224]
	s_clause 0x3
	buffer_load_dword v221, off, s[16:19], 0 offset:488
	buffer_load_dword v222, off, s[16:19], 0 offset:492
	;; [unrolled: 1-line block ×4, first 2 shown]
	s_or_b32 s1, s1, s2
	s_or_b32 s0, s1, s0
	v_cndmask_b32_e64 v0, 2, v0, s0
	v_cmp_eq_u32_e64 s0, 0, v0
	s_waitcnt vmcnt(2)
	v_cmp_eq_f64_e64 s3, 0, v[221:222]
	s_waitcnt vmcnt(0)
	v_cmp_eq_f64_e64 s4, 0, v[223:224]
	s_clause 0x3
	buffer_load_dword v221, off, s[16:19], 0 offset:504
	buffer_load_dword v222, off, s[16:19], 0 offset:508
	;; [unrolled: 1-line block ×4, first 2 shown]
	s_and_b32 s3, s3, s4
	s_and_b32 s0, s3, s0
	v_cndmask_b32_e64 v0, v0, 3, s0
	v_cmp_eq_u32_e64 s0, 0, v0
	s_waitcnt vmcnt(2)
	v_cmp_eq_f64_e64 s5, 0, v[221:222]
	s_waitcnt vmcnt(0)
	v_cmp_eq_f64_e32 vcc_lo, 0, v[223:224]
	s_clause 0x3
	buffer_load_dword v221, off, s[16:19], 0 offset:520
	buffer_load_dword v222, off, s[16:19], 0 offset:524
	;; [unrolled: 1-line block ×4, first 2 shown]
	s_and_b32 s5, s5, vcc_lo
	s_and_b32 s0, s5, s0
	v_cndmask_b32_e64 v0, v0, 4, s0
	v_cmp_eq_u32_e32 vcc_lo, 0, v0
	s_waitcnt vmcnt(2)
	v_cmp_eq_f64_e64 s1, 0, v[221:222]
	s_waitcnt vmcnt(0)
	v_cmp_eq_f64_e64 s2, 0, v[223:224]
	s_clause 0x3
	buffer_load_dword v221, off, s[16:19], 0 offset:536
	buffer_load_dword v222, off, s[16:19], 0 offset:540
	buffer_load_dword v223, off, s[16:19], 0 offset:544
	buffer_load_dword v224, off, s[16:19], 0 offset:548
	s_and_b32 s1, s1, s2
	s_and_b32 s1, s1, vcc_lo
	v_cndmask_b32_e64 v0, v0, 5, s1
	v_cmp_eq_u32_e32 vcc_lo, 0, v0
	s_waitcnt vmcnt(2)
	v_cmp_eq_f64_e64 s3, 0, v[221:222]
	s_waitcnt vmcnt(0)
	v_cmp_eq_f64_e64 s4, 0, v[223:224]
	s_clause 0x3
	buffer_load_dword v221, off, s[16:19], 0 offset:552
	buffer_load_dword v222, off, s[16:19], 0 offset:556
	buffer_load_dword v223, off, s[16:19], 0 offset:560
	buffer_load_dword v224, off, s[16:19], 0 offset:564
	s_and_b32 s3, s3, s4
	s_and_b32 s3, s3, vcc_lo
	;; [unrolled: 13-line block ×19, first 2 shown]
	v_cndmask_b32_e64 v0, v0, 23, s1
	v_cmp_eq_u32_e32 vcc_lo, 0, v0
	s_waitcnt vmcnt(2)
	v_cmp_eq_f64_e64 s3, 0, v[221:222]
	s_waitcnt vmcnt(0)
	v_cmp_eq_f64_e64 s4, 0, v[223:224]
	s_clause 0x3
	buffer_load_dword v221, off, s[16:19], 0 offset:840
	buffer_load_dword v222, off, s[16:19], 0 offset:844
	;; [unrolled: 1-line block ×4, first 2 shown]
	s_and_b32 s1, s3, s4
	v_add_co_u32 v253, s4, s10, v205
	s_and_b32 s1, s1, vcc_lo
	v_add_co_ci_u32_e64 v254, null, s11, v206, s4
	v_cndmask_b32_e64 v0, v0, 24, s1
	v_cmp_eq_u32_e32 vcc_lo, 0, v0
	s_waitcnt vmcnt(2)
	v_cmp_eq_f64_e64 s0, 0, v[221:222]
	s_waitcnt vmcnt(0)
	v_cmp_eq_f64_e64 s5, 0, v[223:224]
	s_clause 0x3
	buffer_load_dword v221, off, s[16:19], 0 offset:856
	buffer_load_dword v222, off, s[16:19], 0 offset:860
	;; [unrolled: 1-line block ×4, first 2 shown]
	s_and_b32 s0, s0, s5
	s_and_b32 s0, s0, vcc_lo
	v_cndmask_b32_e64 v0, v0, 25, s0
	v_cmp_eq_u32_e64 s3, 0, v0
	s_waitcnt vmcnt(2)
	v_cmp_eq_f64_e64 s6, 0, v[221:222]
	s_waitcnt vmcnt(0)
	v_cmp_eq_f64_e64 s7, 0, v[223:224]
	s_clause 0x3
	buffer_load_dword v221, off, s[16:19], 0 offset:872
	buffer_load_dword v222, off, s[16:19], 0 offset:876
	;; [unrolled: 1-line block ×4, first 2 shown]
	s_and_b32 s5, s6, s7
	s_and_b32 s3, s5, s3
	v_cndmask_b32_e64 v0, v0, 26, s3
	v_cmp_eq_u32_e64 s3, 0, v0
	s_waitcnt vmcnt(2)
	v_cmp_eq_f64_e64 s1, 0, v[221:222]
	s_waitcnt vmcnt(0)
	v_cmp_eq_f64_e64 s2, 0, v[223:224]
	s_clause 0x3
	buffer_load_dword v221, off, s[16:19], 0 offset:888
	buffer_load_dword v222, off, s[16:19], 0 offset:892
	;; [unrolled: 1-line block ×4, first 2 shown]
	global_load_dword v205, v[253:254], off
	s_and_b32 s1, s1, s2
	s_and_b32 s1, s1, s3
	v_cndmask_b32_e64 v0, v0, 27, s1
	v_cmp_eq_u32_e64 s1, 0, v0
	s_waitcnt vmcnt(3)
	v_cmp_eq_f64_e32 vcc_lo, 0, v[221:222]
	s_waitcnt vmcnt(1)
	v_cmp_eq_f64_e64 s0, 0, v[223:224]
	s_clause 0x3
	buffer_load_dword v221, off, s[16:19], 0 offset:904
	buffer_load_dword v222, off, s[16:19], 0 offset:908
	;; [unrolled: 1-line block ×4, first 2 shown]
	s_and_b32 s0, vcc_lo, s0
	s_and_b32 s0, s0, s1
	v_cndmask_b32_e64 v0, v0, 28, s0
	v_cmp_eq_u32_e32 vcc_lo, 0, v0
	s_waitcnt vmcnt(2)
	v_cmp_eq_f64_e64 s4, 0, v[221:222]
	s_waitcnt vmcnt(0)
	v_cmp_eq_f64_e64 s5, 0, v[223:224]
	s_clause 0x3
	buffer_load_dword v221, off, s[16:19], 0 offset:920
	buffer_load_dword v222, off, s[16:19], 0 offset:924
	buffer_load_dword v223, off, s[16:19], 0 offset:928
	buffer_load_dword v224, off, s[16:19], 0 offset:932
	s_and_b32 s4, s4, s5
	s_and_b32 s4, s4, vcc_lo
	v_cndmask_b32_e64 v0, v0, 29, s4
	v_cmp_eq_u32_e32 vcc_lo, 0, v0
	s_waitcnt vmcnt(2)
	v_cmp_eq_f64_e64 s2, 0, v[221:222]
	s_waitcnt vmcnt(0)
	v_cmp_eq_f64_e64 s3, 0, v[223:224]
	s_clause 0x3
	buffer_load_dword v221, off, s[16:19], 0 offset:936
	buffer_load_dword v222, off, s[16:19], 0 offset:940
	buffer_load_dword v223, off, s[16:19], 0 offset:944
	buffer_load_dword v224, off, s[16:19], 0 offset:948
	s_and_b32 s2, s2, s3
	s_and_b32 s2, s2, vcc_lo
	;; [unrolled: 13-line block ×16, first 2 shown]
	v_cndmask_b32_e64 v0, v0, 44, s4
	v_cmp_eq_u32_e32 vcc_lo, 0, v0
	s_waitcnt vmcnt(2)
	v_cmp_eq_f64_e64 s2, 0, v[221:222]
	s_waitcnt vmcnt(0)
	v_cmp_eq_f64_e64 s3, 0, v[223:224]
	s_clause 0x3
	buffer_load_dword v221, off, s[16:19], 0 offset:1176
	buffer_load_dword v222, off, s[16:19], 0 offset:1180
	;; [unrolled: 1-line block ×4, first 2 shown]
	s_and_b32 s2, s2, s3
	v_cmp_eq_f64_e64 s3, 0, v[203:204]
	s_and_b32 s2, s2, vcc_lo
	v_cndmask_b32_e64 v0, v0, 45, s2
	v_cmp_eq_f64_e64 s2, 0, v[201:202]
	v_cmp_eq_u32_e32 vcc_lo, 0, v0
	s_and_b32 s2, s2, s3
	v_cmp_eq_f64_e64 s3, 0, v[231:232]
	s_waitcnt vmcnt(2)
	v_cmp_eq_f64_e64 s0, 0, v[221:222]
	s_waitcnt vmcnt(0)
	v_cmp_eq_f64_e64 s1, 0, v[223:224]
	s_clause 0x3
	buffer_load_dword v221, off, s[16:19], 0 offset:1192
	buffer_load_dword v222, off, s[16:19], 0 offset:1196
	;; [unrolled: 1-line block ×4, first 2 shown]
	s_and_b32 s0, s0, s1
	v_cmp_eq_f64_e64 s1, 0, v[63:64]
	s_and_b32 s0, s0, vcc_lo
	v_cndmask_b32_e64 v0, v0, 46, s0
	v_cmp_eq_f64_e64 s0, 0, v[61:62]
	v_cmp_eq_u32_e32 vcc_lo, 0, v0
	s_and_b32 s0, s0, s1
	v_cmp_eq_f64_e64 s1, 0, v[235:236]
	s_waitcnt vmcnt(2)
	v_cmp_eq_f64_e64 s4, 0, v[221:222]
	s_waitcnt vmcnt(0)
	v_cmp_eq_f64_e64 s5, 0, v[223:224]
	s_and_b32 s4, s4, s5
	v_cmp_eq_f64_e64 s5, 0, v[227:228]
	s_and_b32 s4, s4, vcc_lo
	v_cndmask_b32_e64 v0, v0, 47, s4
	v_cmp_eq_f64_e64 s4, 0, v[225:226]
	v_cmp_eq_u32_e32 vcc_lo, 0, v0
	s_and_b32 s2, s2, vcc_lo
	v_cndmask_b32_e64 v0, v0, 48, s2
	v_cmp_eq_f64_e64 s2, 0, v[229:230]
	v_cmp_eq_u32_e32 vcc_lo, 0, v0
	s_and_b32 s0, s0, vcc_lo
	s_and_b32 s4, s4, s5
	v_cndmask_b32_e64 v0, v0, 49, s0
	v_cmp_eq_f64_e64 s0, 0, v[233:234]
	v_cmp_eq_f64_e64 s5, 0, v[219:220]
	v_cmp_eq_u32_e32 vcc_lo, 0, v0
	s_and_b32 s4, s4, vcc_lo
	s_and_b32 s2, s2, s3
	v_cndmask_b32_e64 v0, v0, 50, s4
	v_cmp_eq_f64_e64 s4, 0, v[217:218]
	;; [unrolled: 6-line block ×4, first 2 shown]
	v_cmp_eq_u32_e32 vcc_lo, 0, v0
	s_and_b32 s4, s4, vcc_lo
	s_and_b32 s2, s2, s3
	v_cndmask_b32_e64 v0, v0, 53, s4
	v_cmp_eq_u32_e32 vcc_lo, 0, v0
	s_and_b32 s2, s2, vcc_lo
	s_and_b32 s0, s0, s1
	v_cndmask_b32_e64 v0, v0, 54, s2
	v_cmp_eq_u32_e32 vcc_lo, 0, v0
	s_and_b32 s0, s0, vcc_lo
	v_cmp_eq_u32_e32 vcc_lo, 0, v205
	v_cndmask_b32_e64 v0, v0, 55, s0
	v_cmp_ne_u32_e64 s0, 0, v0
	s_and_b32 s0, vcc_lo, s0
	s_and_b32 exec_lo, exec_lo, s0
	s_cbranch_execz .LBB109_499
; %bb.498:
	v_add_nc_u32_e32 v0, s13, v0
	global_store_dword v[253:254], v0, off
.LBB109_499:
	s_or_b32 exec_lo, exec_lo, s8
	s_clause 0x3
	buffer_load_dword v213, off, s[16:19], 0 offset:48
	buffer_load_dword v214, off, s[16:19], 0 offset:52
	;; [unrolled: 1-line block ×4, first 2 shown]
	s_waitcnt vmcnt(0)
	global_store_dwordx4 v[245:246], v[213:216], off
	s_clause 0x3
	buffer_load_dword v213, off, s[16:19], 0 offset:32
	buffer_load_dword v214, off, s[16:19], 0 offset:36
	;; [unrolled: 1-line block ×4, first 2 shown]
	s_waitcnt vmcnt(0)
	global_store_dwordx4 v[247:248], v[213:216], off
	s_clause 0x1
	buffer_load_dword v61, off, s[16:19], 0 offset:1216
	buffer_load_dword v62, off, s[16:19], 0 offset:1220
	s_waitcnt vmcnt(0)
	global_store_dwordx4 v[61:62], v[249:252], off
	s_clause 0x5
	buffer_load_dword v201, off, s[16:19], 0 offset:80
	buffer_load_dword v202, off, s[16:19], 0 offset:84
	;; [unrolled: 1-line block ×6, first 2 shown]
	s_waitcnt vmcnt(0)
	global_store_dwordx4 v[201:202], v[213:216], off
	s_clause 0x3
	buffer_load_dword v199, off, s[16:19], 0
	buffer_load_dword v200, off, s[16:19], 0 offset:4
	buffer_load_dword v201, off, s[16:19], 0 offset:8
	;; [unrolled: 1-line block ×3, first 2 shown]
	s_waitcnt vmcnt(0)
	global_store_dwordx4 v[207:208], v[199:202], off
	s_clause 0x1
	buffer_load_dword v61, off, s[16:19], 0 offset:1208
	buffer_load_dword v62, off, s[16:19], 0 offset:1212
	s_waitcnt vmcnt(0)
	global_store_dwordx4 v[61:62], v[189:192], off
	s_clause 0x1
	buffer_load_dword v199, off, s[16:19], 0 offset:88
	buffer_load_dword v200, off, s[16:19], 0 offset:92
	s_waitcnt vmcnt(0)
	global_store_dwordx4 v[199:200], v[241:244], off
	global_store_dwordx4 v[197:198], v[209:212], off
	s_clause 0x1
	buffer_load_dword v189, off, s[16:19], 0 offset:96
	buffer_load_dword v190, off, s[16:19], 0 offset:100
	s_waitcnt vmcnt(0)
	global_store_dwordx4 v[189:190], v[185:188], off
	s_clause 0x1
	buffer_load_dword v185, off, s[16:19], 0 offset:104
	buffer_load_dword v186, off, s[16:19], 0 offset:108
	s_waitcnt vmcnt(0)
	;; [unrolled: 5-line block ×17, first 2 shown]
	global_store_dwordx4 v[125:126], v[121:124], off
	global_store_dwordx4 v[193:194], v[117:120], off
	;; [unrolled: 1-line block ×3, first 2 shown]
	s_clause 0x1
	buffer_load_dword v113, off, s[16:19], 0 offset:448
	buffer_load_dword v114, off, s[16:19], 0 offset:452
	s_waitcnt vmcnt(0)
	global_store_dwordx4 v[113:114], v[109:112], off
	s_clause 0x1
	buffer_load_dword v109, off, s[16:19], 0 offset:232
	buffer_load_dword v110, off, s[16:19], 0 offset:236
	s_waitcnt vmcnt(0)
	global_store_dwordx4 v[109:110], v[105:108], off
	;; [unrolled: 5-line block ×12, first 2 shown]
	s_clause 0x5
	buffer_load_dword v65, off, s[16:19], 0 offset:320
	buffer_load_dword v66, off, s[16:19], 0 offset:324
	buffer_load_dword v61, off, s[16:19], 0 offset:1224
	buffer_load_dword v62, off, s[16:19], 0 offset:1228
	buffer_load_dword v63, off, s[16:19], 0 offset:1232
	buffer_load_dword v64, off, s[16:19], 0 offset:1236
	s_waitcnt vmcnt(0)
	global_store_dwordx4 v[65:66], v[61:64], off
	s_clause 0x1
	buffer_load_dword v61, off, s[16:19], 0 offset:328
	buffer_load_dword v62, off, s[16:19], 0 offset:332
	s_waitcnt vmcnt(0)
	global_store_dwordx4 v[61:62], v[57:60], off
	s_clause 0x1
	buffer_load_dword v57, off, s[16:19], 0 offset:336
	buffer_load_dword v58, off, s[16:19], 0 offset:340
	;; [unrolled: 5-line block ×15, first 2 shown]
	s_waitcnt vmcnt(0)
	global_store_dwordx4 v[5:6], v[1:4], off
.LBB109_500:
	s_endpgm
	.section	.rodata,"a",@progbits
	.p2align	6, 0x0
	.amdhsa_kernel _ZN9rocsolver6v33100L23getf2_npvt_small_kernelILi55E19rocblas_complex_numIdEiiPS3_EEvT1_T3_lS5_lPT2_S5_S5_
		.amdhsa_group_segment_fixed_size 0
		.amdhsa_private_segment_fixed_size 1260
		.amdhsa_kernarg_size 312
		.amdhsa_user_sgpr_count 6
		.amdhsa_user_sgpr_private_segment_buffer 1
		.amdhsa_user_sgpr_dispatch_ptr 0
		.amdhsa_user_sgpr_queue_ptr 0
		.amdhsa_user_sgpr_kernarg_segment_ptr 1
		.amdhsa_user_sgpr_dispatch_id 0
		.amdhsa_user_sgpr_flat_scratch_init 0
		.amdhsa_user_sgpr_private_segment_size 0
		.amdhsa_wavefront_size32 1
		.amdhsa_uses_dynamic_stack 0
		.amdhsa_system_sgpr_private_segment_wavefront_offset 1
		.amdhsa_system_sgpr_workgroup_id_x 1
		.amdhsa_system_sgpr_workgroup_id_y 1
		.amdhsa_system_sgpr_workgroup_id_z 0
		.amdhsa_system_sgpr_workgroup_info 0
		.amdhsa_system_vgpr_workitem_id 1
		.amdhsa_next_free_vgpr 256
		.amdhsa_next_free_sgpr 22
		.amdhsa_reserve_vcc 1
		.amdhsa_reserve_flat_scratch 0
		.amdhsa_float_round_mode_32 0
		.amdhsa_float_round_mode_16_64 0
		.amdhsa_float_denorm_mode_32 3
		.amdhsa_float_denorm_mode_16_64 3
		.amdhsa_dx10_clamp 1
		.amdhsa_ieee_mode 1
		.amdhsa_fp16_overflow 0
		.amdhsa_workgroup_processor_mode 1
		.amdhsa_memory_ordered 1
		.amdhsa_forward_progress 1
		.amdhsa_shared_vgpr_count 0
		.amdhsa_exception_fp_ieee_invalid_op 0
		.amdhsa_exception_fp_denorm_src 0
		.amdhsa_exception_fp_ieee_div_zero 0
		.amdhsa_exception_fp_ieee_overflow 0
		.amdhsa_exception_fp_ieee_underflow 0
		.amdhsa_exception_fp_ieee_inexact 0
		.amdhsa_exception_int_div_zero 0
	.end_amdhsa_kernel
	.section	.text._ZN9rocsolver6v33100L23getf2_npvt_small_kernelILi55E19rocblas_complex_numIdEiiPS3_EEvT1_T3_lS5_lPT2_S5_S5_,"axG",@progbits,_ZN9rocsolver6v33100L23getf2_npvt_small_kernelILi55E19rocblas_complex_numIdEiiPS3_EEvT1_T3_lS5_lPT2_S5_S5_,comdat
.Lfunc_end109:
	.size	_ZN9rocsolver6v33100L23getf2_npvt_small_kernelILi55E19rocblas_complex_numIdEiiPS3_EEvT1_T3_lS5_lPT2_S5_S5_, .Lfunc_end109-_ZN9rocsolver6v33100L23getf2_npvt_small_kernelILi55E19rocblas_complex_numIdEiiPS3_EEvT1_T3_lS5_lPT2_S5_S5_
                                        ; -- End function
	.set _ZN9rocsolver6v33100L23getf2_npvt_small_kernelILi55E19rocblas_complex_numIdEiiPS3_EEvT1_T3_lS5_lPT2_S5_S5_.num_vgpr, 256
	.set _ZN9rocsolver6v33100L23getf2_npvt_small_kernelILi55E19rocblas_complex_numIdEiiPS3_EEvT1_T3_lS5_lPT2_S5_S5_.num_agpr, 0
	.set _ZN9rocsolver6v33100L23getf2_npvt_small_kernelILi55E19rocblas_complex_numIdEiiPS3_EEvT1_T3_lS5_lPT2_S5_S5_.numbered_sgpr, 22
	.set _ZN9rocsolver6v33100L23getf2_npvt_small_kernelILi55E19rocblas_complex_numIdEiiPS3_EEvT1_T3_lS5_lPT2_S5_S5_.num_named_barrier, 0
	.set _ZN9rocsolver6v33100L23getf2_npvt_small_kernelILi55E19rocblas_complex_numIdEiiPS3_EEvT1_T3_lS5_lPT2_S5_S5_.private_seg_size, 1260
	.set _ZN9rocsolver6v33100L23getf2_npvt_small_kernelILi55E19rocblas_complex_numIdEiiPS3_EEvT1_T3_lS5_lPT2_S5_S5_.uses_vcc, 1
	.set _ZN9rocsolver6v33100L23getf2_npvt_small_kernelILi55E19rocblas_complex_numIdEiiPS3_EEvT1_T3_lS5_lPT2_S5_S5_.uses_flat_scratch, 0
	.set _ZN9rocsolver6v33100L23getf2_npvt_small_kernelILi55E19rocblas_complex_numIdEiiPS3_EEvT1_T3_lS5_lPT2_S5_S5_.has_dyn_sized_stack, 0
	.set _ZN9rocsolver6v33100L23getf2_npvt_small_kernelILi55E19rocblas_complex_numIdEiiPS3_EEvT1_T3_lS5_lPT2_S5_S5_.has_recursion, 0
	.set _ZN9rocsolver6v33100L23getf2_npvt_small_kernelILi55E19rocblas_complex_numIdEiiPS3_EEvT1_T3_lS5_lPT2_S5_S5_.has_indirect_call, 0
	.section	.AMDGPU.csdata,"",@progbits
; Kernel info:
; codeLenInByte = 147804
; TotalNumSgprs: 24
; NumVgprs: 256
; ScratchSize: 1260
; MemoryBound: 1
; FloatMode: 240
; IeeeMode: 1
; LDSByteSize: 0 bytes/workgroup (compile time only)
; SGPRBlocks: 0
; VGPRBlocks: 31
; NumSGPRsForWavesPerEU: 24
; NumVGPRsForWavesPerEU: 256
; Occupancy: 4
; WaveLimiterHint : 0
; COMPUTE_PGM_RSRC2:SCRATCH_EN: 1
; COMPUTE_PGM_RSRC2:USER_SGPR: 6
; COMPUTE_PGM_RSRC2:TRAP_HANDLER: 0
; COMPUTE_PGM_RSRC2:TGID_X_EN: 1
; COMPUTE_PGM_RSRC2:TGID_Y_EN: 1
; COMPUTE_PGM_RSRC2:TGID_Z_EN: 0
; COMPUTE_PGM_RSRC2:TIDIG_COMP_CNT: 1
	.section	.text._ZN9rocsolver6v33100L18getf2_small_kernelILi56E19rocblas_complex_numIdEiiPS3_EEvT1_T3_lS5_lPS5_llPT2_S5_S5_S7_l,"axG",@progbits,_ZN9rocsolver6v33100L18getf2_small_kernelILi56E19rocblas_complex_numIdEiiPS3_EEvT1_T3_lS5_lPS5_llPT2_S5_S5_S7_l,comdat
	.globl	_ZN9rocsolver6v33100L18getf2_small_kernelILi56E19rocblas_complex_numIdEiiPS3_EEvT1_T3_lS5_lPS5_llPT2_S5_S5_S7_l ; -- Begin function _ZN9rocsolver6v33100L18getf2_small_kernelILi56E19rocblas_complex_numIdEiiPS3_EEvT1_T3_lS5_lPS5_llPT2_S5_S5_S7_l
	.p2align	8
	.type	_ZN9rocsolver6v33100L18getf2_small_kernelILi56E19rocblas_complex_numIdEiiPS3_EEvT1_T3_lS5_lPS5_llPT2_S5_S5_S7_l,@function
_ZN9rocsolver6v33100L18getf2_small_kernelILi56E19rocblas_complex_numIdEiiPS3_EEvT1_T3_lS5_lPS5_llPT2_S5_S5_S7_l: ; @_ZN9rocsolver6v33100L18getf2_small_kernelILi56E19rocblas_complex_numIdEiiPS3_EEvT1_T3_lS5_lPS5_llPT2_S5_S5_S7_l
; %bb.0:
	s_mov_b64 s[22:23], s[2:3]
	s_mov_b64 s[20:21], s[0:1]
	s_clause 0x1
	s_load_dword s0, s[4:5], 0x6c
	s_load_dwordx2 s[16:17], s[4:5], 0x48
	s_add_u32 s20, s20, s8
	s_addc_u32 s21, s21, 0
	s_waitcnt lgkmcnt(0)
	s_lshr_b32 s0, s0, 16
	v_mad_u64_u32 v[8:9], null, s7, s0, v[1:2]
	s_mov_b32 s0, exec_lo
	v_cmpx_gt_i32_e64 s16, v8
	s_cbranch_execnz .LBB110_1
; %bb.1181:
	s_getpc_b64 s[18:19]
.Lpost_getpc12:
	s_add_u32 s18, s18, (.LBB110_1180-.Lpost_getpc12)&4294967295
	s_addc_u32 s19, s19, (.LBB110_1180-.Lpost_getpc12)>>32
	s_setpc_b64 s[18:19]
.LBB110_1:
	s_load_dwordx4 s[0:3], s[4:5], 0x50
	v_mov_b32_e32 v2, 0
	v_ashrrev_i32_e32 v9, 31, v8
	v_mov_b32_e32 v3, 0
	s_waitcnt lgkmcnt(0)
	s_cmp_eq_u64 s[0:1], 0
	s_cselect_b32 s16, -1, 0
	s_and_b32 vcc_lo, exec_lo, s16
	s_cbranch_vccnz .LBB110_3
; %bb.2:
	v_mul_lo_u32 v4, s3, v8
	v_mul_lo_u32 v5, s2, v9
	v_mad_u64_u32 v[2:3], null, s2, v8, 0
	v_add3_u32 v3, v3, v5, v4
	v_lshlrev_b64 v[2:3], 2, v[2:3]
	v_add_co_u32 v2, vcc_lo, s0, v2
	v_add_co_ci_u32_e64 v3, null, s1, v3, vcc_lo
.LBB110_3:
	buffer_store_dword v2, off, s[20:23], 0 offset:32 ; 4-byte Folded Spill
	buffer_store_dword v3, off, s[20:23], 0 offset:36 ; 4-byte Folded Spill
	s_clause 0x2
	s_load_dwordx8 s[8:15], s[4:5], 0x20
	s_load_dword s6, s[4:5], 0x18
	s_load_dwordx4 s[0:3], s[4:5], 0x8
	v_mov_b32_e32 v237, v9
	v_mov_b32_e32 v236, v8
	v_lshlrev_b32_e32 v220, 4, v0
	s_waitcnt lgkmcnt(0)
	v_mul_lo_u32 v5, s9, v8
	v_mul_lo_u32 v7, s8, v9
	v_mad_u64_u32 v[2:3], null, s8, v8, 0
	v_add3_u32 v4, s6, s6, v0
	s_lshl_b64 s[2:3], s[2:3], 4
	s_ashr_i32 s7, s6, 31
	s_clause 0x1
	s_load_dword s8, s[4:5], 0x0
	s_load_dwordx2 s[4:5], s[4:5], 0x40
	v_add_nc_u32_e32 v6, s6, v4
	v_add3_u32 v3, v3, v7, v5
	v_ashrrev_i32_e32 v5, 31, v4
	v_add_nc_u32_e32 v8, s6, v6
	v_lshlrev_b64 v[2:3], 4, v[2:3]
	v_ashrrev_i32_e32 v7, 31, v6
	v_lshlrev_b64 v[4:5], 4, v[4:5]
	v_ashrrev_i32_e32 v9, 31, v8
	v_add_nc_u32_e32 v10, s6, v8
	v_add_co_u32 v12, vcc_lo, s0, v2
	v_add_co_ci_u32_e64 v13, null, s1, v3, vcc_lo
	v_lshlrev_b64 v[2:3], 4, v[8:9]
	v_add_nc_u32_e32 v8, s6, v10
	v_add_co_u32 v255, vcc_lo, v12, s2
	v_ashrrev_i32_e32 v11, 31, v10
	v_lshlrev_b64 v[6:7], 4, v[6:7]
	v_add_nc_u32_e32 v12, s6, v8
	v_add_co_ci_u32_e64 v238, null, s3, v13, vcc_lo
	v_ashrrev_i32_e32 v9, 31, v8
	v_lshlrev_b64 v[10:11], 4, v[10:11]
	v_add_nc_u32_e32 v14, s6, v12
	v_ashrrev_i32_e32 v13, 31, v12
	v_add_co_u32 v4, vcc_lo, v255, v4
	v_add_co_ci_u32_e64 v5, null, v238, v5, vcc_lo
	v_add_nc_u32_e32 v16, s6, v14
	v_ashrrev_i32_e32 v15, 31, v14
	v_add_co_u32 v6, vcc_lo, v255, v6
	v_lshlrev_b64 v[8:9], 4, v[8:9]
	v_add_nc_u32_e32 v18, s6, v16
	v_ashrrev_i32_e32 v17, 31, v16
	v_add_co_ci_u32_e64 v7, null, v238, v7, vcc_lo
	v_add_co_u32 v2, vcc_lo, v255, v2
	v_add_nc_u32_e32 v20, s6, v18
	v_lshlrev_b64 v[12:13], 4, v[12:13]
	v_add_co_ci_u32_e64 v3, null, v238, v3, vcc_lo
	v_add_co_u32 v10, vcc_lo, v255, v10
	v_add_nc_u32_e32 v22, s6, v20
	v_lshlrev_b64 v[14:15], 4, v[14:15]
	v_ashrrev_i32_e32 v19, 31, v18
	v_add_co_ci_u32_e64 v11, null, v238, v11, vcc_lo
	v_add_nc_u32_e32 v24, s6, v22
	v_add_co_u32 v8, vcc_lo, v255, v8
	v_lshlrev_b64 v[16:17], 4, v[16:17]
	v_ashrrev_i32_e32 v21, 31, v20
	v_add_nc_u32_e32 v28, s6, v24
	v_add_co_ci_u32_e64 v9, null, v238, v9, vcc_lo
	v_add_co_u32 v12, vcc_lo, v255, v12
	v_add_nc_u32_e32 v30, s6, v28
	v_ashrrev_i32_e32 v23, 31, v22
	v_add_co_ci_u32_e64 v13, null, v238, v13, vcc_lo
	v_add_co_u32 v14, vcc_lo, v255, v14
	v_add_nc_u32_e32 v32, s6, v30
	v_lshlrev_b64 v[18:19], 4, v[18:19]
	v_ashrrev_i32_e32 v25, 31, v24
	v_add_co_ci_u32_e64 v15, null, v238, v15, vcc_lo
	v_add_nc_u32_e32 v34, s6, v32
	v_add_co_u32 v16, vcc_lo, v255, v16
	v_lshlrev_b64 v[20:21], 4, v[20:21]
	v_ashrrev_i32_e32 v29, 31, v28
	v_add_nc_u32_e32 v36, s6, v34
	v_add_co_ci_u32_e64 v17, null, v238, v17, vcc_lo
	v_add_co_u32 v26, vcc_lo, v255, v220
	v_add_nc_u32_e32 v38, s6, v36
	v_lshlrev_b64 v[22:23], 4, v[22:23]
	v_ashrrev_i32_e32 v31, 31, v30
	v_add_co_ci_u32_e64 v27, null, 0, v238, vcc_lo
	v_add_nc_u32_e32 v40, s6, v38
	v_add_co_u32 v18, vcc_lo, v255, v18
	v_lshlrev_b64 v[24:25], 4, v[24:25]
	v_ashrrev_i32_e32 v33, 31, v32
	v_add_nc_u32_e32 v42, s6, v40
	;; [unrolled: 11-line block ×6, first 2 shown]
	v_add_co_ci_u32_e64 v37, null, v238, v37, vcc_lo
	v_add_co_u32 v38, vcc_lo, v255, v38
	v_lshlrev_b64 v[44:45], 4, v[44:45]
	v_add_nc_u32_e32 v68, s6, v66
	v_ashrrev_i32_e32 v51, 31, v50
	v_add_co_ci_u32_e64 v39, null, v238, v39, vcc_lo
	v_add_co_u32 v40, vcc_lo, v255, v40
	v_lshlrev_b64 v[46:47], 4, v[46:47]
	v_ashrrev_i32_e32 v53, 31, v52
	v_add_co_ci_u32_e64 v41, null, v238, v41, vcc_lo
	v_add_co_u32 v42, vcc_lo, v255, v42
	v_lshlrev_b64 v[48:49], 4, v[48:49]
	v_ashrrev_i32_e32 v55, 31, v54
	v_add_nc_u32_e32 v70, s6, v68
	v_add_co_ci_u32_e64 v43, null, v238, v43, vcc_lo
	v_add_co_u32 v44, vcc_lo, v255, v44
	v_lshlrev_b64 v[50:51], 4, v[50:51]
	v_ashrrev_i32_e32 v57, 31, v56
	v_add_co_ci_u32_e64 v45, null, v238, v45, vcc_lo
	v_add_co_u32 v46, vcc_lo, v255, v46
	v_lshlrev_b64 v[52:53], 4, v[52:53]
	v_ashrrev_i32_e32 v59, 31, v58
	v_add_co_ci_u32_e64 v47, null, v238, v47, vcc_lo
	v_add_co_u32 v48, vcc_lo, v255, v48
	v_lshlrev_b64 v[54:55], 4, v[54:55]
	v_add_nc_u32_e32 v72, s6, v70
	v_ashrrev_i32_e32 v61, 31, v60
	v_add_co_ci_u32_e64 v49, null, v238, v49, vcc_lo
	v_add_co_u32 v50, vcc_lo, v255, v50
	v_lshlrev_b64 v[56:57], 4, v[56:57]
	v_ashrrev_i32_e32 v63, 31, v62
	v_add_co_ci_u32_e64 v51, null, v238, v51, vcc_lo
	v_add_co_u32 v52, vcc_lo, v255, v52
	v_lshlrev_b64 v[58:59], 4, v[58:59]
	v_ashrrev_i32_e32 v65, 31, v64
	v_add_nc_u32_e32 v74, s6, v72
	v_add_co_ci_u32_e64 v53, null, v238, v53, vcc_lo
	v_add_co_u32 v54, vcc_lo, v255, v54
	v_lshlrev_b64 v[60:61], 4, v[60:61]
	v_ashrrev_i32_e32 v67, 31, v66
	v_add_co_ci_u32_e64 v55, null, v238, v55, vcc_lo
	v_add_co_u32 v56, vcc_lo, v255, v56
	v_lshlrev_b64 v[62:63], 4, v[62:63]
	v_ashrrev_i32_e32 v69, 31, v68
	v_add_co_ci_u32_e64 v57, null, v238, v57, vcc_lo
	v_add_co_u32 v58, vcc_lo, v255, v58
	v_lshlrev_b64 v[64:65], 4, v[64:65]
	v_add_nc_u32_e32 v76, s6, v74
	v_ashrrev_i32_e32 v71, 31, v70
	v_add_co_ci_u32_e64 v59, null, v238, v59, vcc_lo
	v_add_co_u32 v60, vcc_lo, v255, v60
	v_lshlrev_b64 v[66:67], 4, v[66:67]
	v_ashrrev_i32_e32 v73, 31, v72
	v_add_co_ci_u32_e64 v61, null, v238, v61, vcc_lo
	v_add_co_u32 v62, vcc_lo, v255, v62
	v_lshlrev_b64 v[68:69], 4, v[68:69]
	v_ashrrev_i32_e32 v75, 31, v74
	v_add_nc_u32_e32 v78, s6, v76
	v_add_co_ci_u32_e64 v63, null, v238, v63, vcc_lo
	v_add_co_u32 v64, vcc_lo, v255, v64
	v_lshlrev_b64 v[70:71], 4, v[70:71]
	v_ashrrev_i32_e32 v77, 31, v76
	v_add_co_ci_u32_e64 v65, null, v238, v65, vcc_lo
	v_add_co_u32 v66, vcc_lo, v255, v66
	v_lshlrev_b64 v[72:73], 4, v[72:73]
	v_add_co_ci_u32_e64 v67, null, v238, v67, vcc_lo
	v_add_co_u32 v68, vcc_lo, v255, v68
	v_lshlrev_b64 v[74:75], 4, v[74:75]
	v_add_nc_u32_e32 v80, s6, v78
	v_add_co_ci_u32_e64 v69, null, v238, v69, vcc_lo
	v_add_co_u32 v70, vcc_lo, v255, v70
	v_lshlrev_b64 v[76:77], 4, v[76:77]
	v_ashrrev_i32_e32 v79, 31, v78
	v_add_co_ci_u32_e64 v71, null, v238, v71, vcc_lo
	v_add_co_u32 v72, vcc_lo, v255, v72
	v_ashrrev_i32_e32 v81, 31, v80
	v_add_nc_u32_e32 v82, s6, v80
	v_add_co_ci_u32_e64 v73, null, v238, v73, vcc_lo
	v_add_co_u32 v74, vcc_lo, v255, v74
	v_lshlrev_b64 v[78:79], 4, v[78:79]
	v_add_co_ci_u32_e64 v75, null, v238, v75, vcc_lo
	v_add_co_u32 v226, vcc_lo, v255, v76
	v_add_co_ci_u32_e64 v227, null, v238, v77, vcc_lo
	v_lshlrev_b64 v[76:77], 4, v[80:81]
	v_ashrrev_i32_e32 v83, 31, v82
	v_add_nc_u32_e32 v80, s6, v82
	v_add_co_u32 v228, vcc_lo, v255, v78
	v_add_co_ci_u32_e64 v229, null, v238, v79, vcc_lo
	v_lshlrev_b64 v[78:79], 4, v[82:83]
	v_ashrrev_i32_e32 v81, 31, v80
	v_add_nc_u32_e32 v82, s6, v80
	;; [unrolled: 5-line block ×11, first 2 shown]
	v_add_co_u32 v230, vcc_lo, v255, v78
	v_add_co_ci_u32_e64 v231, null, v238, v79, vcc_lo
	v_lshlrev_b64 v[78:79], 4, v[82:83]
	v_add_nc_u32_e32 v82, s6, v80
	v_ashrrev_i32_e32 v81, 31, v80
	v_add_co_u32 v232, vcc_lo, v255, v76
	v_add_co_ci_u32_e64 v233, null, v238, v77, vcc_lo
	v_lshlrev_b64 v[76:77], 4, v[80:81]
	v_add_nc_u32_e32 v80, s6, v82
	v_ashrrev_i32_e32 v83, 31, v82
	v_add_co_u32 v222, vcc_lo, v255, v78
	v_add_co_ci_u32_e64 v223, null, v238, v79, vcc_lo
	v_ashrrev_i32_e32 v81, 31, v80
	v_add_co_u32 v224, vcc_lo, v255, v76
	v_add_nc_u32_e32 v76, s6, v80
	v_lshlrev_b64 v[78:79], 4, v[82:83]
	v_lshlrev_b64 v[80:81], 4, v[80:81]
	v_add_co_ci_u32_e64 v225, null, v238, v77, vcc_lo
	v_ashrrev_i32_e32 v77, 31, v76
	s_lshl_b64 s[2:3], s[6:7], 4
	v_add_co_u32 v210, vcc_lo, v255, v78
	v_add_co_ci_u32_e64 v211, null, v238, v79, vcc_lo
	v_add_co_u32 v212, vcc_lo, v255, v80
	v_lshlrev_b64 v[76:77], 4, v[76:77]
	v_add_co_ci_u32_e64 v213, null, v238, v81, vcc_lo
	v_add_co_u32 v78, vcc_lo, v26, s2
	v_add_co_ci_u32_e64 v79, null, s3, v27, vcc_lo
	v_add_co_u32 v218, vcc_lo, v255, v76
	v_add_co_ci_u32_e64 v219, null, v238, v77, vcc_lo
	s_clause 0x5
	global_load_dwordx4 v[202:205], v[26:27], off
	global_load_dwordx4 v[206:209], v[78:79], off
	global_load_dwordx4 v[214:217], v[4:5], off
	global_load_dwordx4 v[4:7], v[6:7], off
	global_load_dwordx4 v[198:201], v[2:3], off
	global_load_dwordx4 v[76:79], v[10:11], off
	s_waitcnt lgkmcnt(0)
	s_max_i32 s0, s8, 56
	s_cmp_lt_i32 s8, 2
	s_waitcnt vmcnt(0)
	buffer_store_dword v76, off, s[20:23], 0 offset:40 ; 4-byte Folded Spill
	buffer_store_dword v77, off, s[20:23], 0 offset:44 ; 4-byte Folded Spill
	;; [unrolled: 1-line block ×4, first 2 shown]
	s_clause 0x31
	global_load_dwordx4 v[8:11], v[8:9], off
	global_load_dwordx4 v[194:197], v[12:13], off
	global_load_dwordx4 v[190:193], v[14:15], off
	global_load_dwordx4 v[186:189], v[16:17], off
	global_load_dwordx4 v[182:185], v[18:19], off
	global_load_dwordx4 v[178:181], v[20:21], off
	global_load_dwordx4 v[174:177], v[22:23], off
	global_load_dwordx4 v[170:173], v[24:25], off
	global_load_dwordx4 v[166:169], v[28:29], off
	global_load_dwordx4 v[162:165], v[30:31], off
	global_load_dwordx4 v[158:161], v[32:33], off
	global_load_dwordx4 v[154:157], v[34:35], off
	global_load_dwordx4 v[150:153], v[36:37], off
	global_load_dwordx4 v[146:149], v[38:39], off
	global_load_dwordx4 v[142:145], v[40:41], off
	global_load_dwordx4 v[138:141], v[42:43], off
	global_load_dwordx4 v[134:137], v[44:45], off
	global_load_dwordx4 v[130:133], v[46:47], off
	global_load_dwordx4 v[126:129], v[48:49], off
	global_load_dwordx4 v[122:125], v[50:51], off
	global_load_dwordx4 v[118:121], v[52:53], off
	global_load_dwordx4 v[114:117], v[54:55], off
	global_load_dwordx4 v[110:113], v[56:57], off
	global_load_dwordx4 v[106:109], v[58:59], off
	global_load_dwordx4 v[102:105], v[60:61], off
	global_load_dwordx4 v[98:101], v[62:63], off
	global_load_dwordx4 v[94:97], v[64:65], off
	global_load_dwordx4 v[90:93], v[66:67], off
	global_load_dwordx4 v[86:89], v[68:69], off
	global_load_dwordx4 v[82:85], v[70:71], off
	global_load_dwordx4 v[78:81], v[72:73], off
	global_load_dwordx4 v[74:77], v[74:75], off
	global_load_dwordx4 v[70:73], v[226:227], off
	global_load_dwordx4 v[66:69], v[228:229], off
	global_load_dwordx4 v[62:65], v[234:235], off
	global_load_dwordx4 v[58:61], v[239:240], off
	global_load_dwordx4 v[54:57], v[241:242], off
	global_load_dwordx4 v[50:53], v[243:244], off
	global_load_dwordx4 v[46:49], v[245:246], off
	global_load_dwordx4 v[42:45], v[247:248], off
	global_load_dwordx4 v[38:41], v[249:250], off
	global_load_dwordx4 v[34:37], v[251:252], off
	global_load_dwordx4 v[30:33], v[253:254], off
	global_load_dwordx4 v[26:29], v[230:231], off
	global_load_dwordx4 v[22:25], v[232:233], off
	global_load_dwordx4 v[18:21], v[222:223], off
	global_load_dwordx4 v[14:17], v[224:225], off
	global_load_dwordx4 v[221:224], v[210:211], off
	global_load_dwordx4 v[249:252], v[212:213], off
	global_load_dwordx4 v[230:233], v[218:219], off
	buffer_store_dword v202, off, s[20:23], 0 offset:16 ; 4-byte Folded Spill
	buffer_store_dword v203, off, s[20:23], 0 offset:20 ; 4-byte Folded Spill
	;; [unrolled: 1-line block ×4, first 2 shown]
	v_mul_lo_u32 v210, s0, v1
	v_mov_b32_e32 v234, 0
	v_lshl_add_u32 v1, v210, 4, 0
	v_lshlrev_b32_e32 v253, 4, v210
	v_add_nc_u32_e32 v211, v1, v220
	ds_write2_b64 v211, v[202:203], v[204:205] offset1:1
	s_waitcnt vmcnt(0) lgkmcnt(0)
	s_waitcnt_vscnt null, 0x0
	s_barrier
	buffer_gl0_inv
	ds_read2_b64 v[226:229], v1 offset1:1
	buffer_store_dword v206, off, s[20:23], 0 ; 4-byte Folded Spill
	buffer_store_dword v207, off, s[20:23], 0 offset:4 ; 4-byte Folded Spill
	buffer_store_dword v208, off, s[20:23], 0 offset:8 ; 4-byte Folded Spill
	;; [unrolled: 1-line block ×3, first 2 shown]
	s_cbranch_scc1 .LBB110_6
; %bb.4:
	v_add3_u32 v235, v253, 0, 16
	v_mov_b32_e32 v234, 0
	s_mov_b32 s1, 1
	s_inst_prefetch 0x1
	.p2align	6
.LBB110_5:                              ; =>This Inner Loop Header: Depth=1
	s_waitcnt lgkmcnt(0)
	v_cmp_gt_f64_e32 vcc_lo, 0, v[228:229]
	v_cmp_gt_f64_e64 s0, 0, v[226:227]
	ds_read2_b64 v[239:242], v235 offset1:1
	v_xor_b32_e32 v211, 0x80000000, v227
	v_xor_b32_e32 v213, 0x80000000, v229
	v_mov_b32_e32 v210, v226
	v_mov_b32_e32 v212, v228
	v_add_nc_u32_e32 v235, 16, v235
	s_waitcnt lgkmcnt(0)
	v_xor_b32_e32 v219, 0x80000000, v242
	v_cndmask_b32_e64 v211, v227, v211, s0
	v_cndmask_b32_e32 v213, v229, v213, vcc_lo
	v_cmp_gt_f64_e32 vcc_lo, 0, v[241:242]
	v_cmp_gt_f64_e64 s0, 0, v[239:240]
	v_mov_b32_e32 v218, v241
	v_add_f64 v[210:211], v[210:211], v[212:213]
	v_xor_b32_e32 v213, 0x80000000, v240
	v_mov_b32_e32 v212, v239
	v_cndmask_b32_e32 v219, v242, v219, vcc_lo
	v_cndmask_b32_e64 v213, v240, v213, s0
	v_add_f64 v[212:213], v[212:213], v[218:219]
	v_cmp_lt_f64_e32 vcc_lo, v[210:211], v[212:213]
	v_cndmask_b32_e32 v227, v227, v240, vcc_lo
	v_cndmask_b32_e32 v226, v226, v239, vcc_lo
	;; [unrolled: 1-line block ×4, first 2 shown]
	v_cndmask_b32_e64 v234, v234, s1, vcc_lo
	s_add_i32 s1, s1, 1
	s_cmp_eq_u32 s8, s1
	s_cbranch_scc0 .LBB110_5
.LBB110_6:
	s_inst_prefetch 0x2
	s_waitcnt lgkmcnt(0)
	v_cmp_neq_f64_e32 vcc_lo, 0, v[226:227]
	v_cmp_neq_f64_e64 s0, 0, v[228:229]
	v_mov_b32_e32 v248, v7
	v_mov_b32_e32 v2, v236
	v_mov_b32_e32 v247, v6
	v_mov_b32_e32 v246, v5
	v_mov_b32_e32 v245, v4
	v_mov_b32_e32 v209, v201
	v_mov_b32_e32 v4, v214
	v_mov_b32_e32 v3, v237
	v_mov_b32_e32 v208, v200
	v_mov_b32_e32 v207, v199
	v_mov_b32_e32 v206, v198
	v_mov_b32_e32 v5, v215
	v_mov_b32_e32 v6, v216
	v_mov_b32_e32 v7, v217
	v_mov_b32_e32 v239, 1
	v_mov_b32_e32 v241, 1
	s_or_b32 s1, vcc_lo, s0
	s_mov_b32 s0, exec_lo
	s_clause 0x5
	buffer_load_dword v202, off, s[20:23], 0 offset:40
	buffer_load_dword v203, off, s[20:23], 0 offset:44
	;; [unrolled: 1-line block ×6, first 2 shown]
	v_mov_b32_e32 v201, v11
	v_mov_b32_e32 v200, v10
	;; [unrolled: 1-line block ×8, first 2 shown]
	s_and_b32 s1, s0, s1
	s_mov_b32 exec_lo, s1
	s_cbranch_execz .LBB110_12
; %bb.7:
	v_cmp_ngt_f64_e64 s1, |v[226:227]|, |v[228:229]|
	s_and_saveexec_b32 s7, s1
	s_xor_b32 s1, exec_lo, s7
	s_cbranch_execz .LBB110_9
; %bb.8:
	v_div_scale_f64 v[210:211], null, v[228:229], v[228:229], v[226:227]
	v_div_scale_f64 v[220:221], vcc_lo, v[226:227], v[228:229], v[226:227]
	v_rcp_f64_e32 v[212:213], v[210:211]
	v_fma_f64 v[218:219], -v[210:211], v[212:213], 1.0
	v_fma_f64 v[212:213], v[212:213], v[218:219], v[212:213]
	v_fma_f64 v[218:219], -v[210:211], v[212:213], 1.0
	v_fma_f64 v[212:213], v[212:213], v[218:219], v[212:213]
	v_mul_f64 v[218:219], v[220:221], v[212:213]
	v_fma_f64 v[210:211], -v[210:211], v[218:219], v[220:221]
	v_div_fmas_f64 v[210:211], v[210:211], v[212:213], v[218:219]
	v_div_fixup_f64 v[210:211], v[210:211], v[228:229], v[226:227]
	v_fma_f64 v[212:213], v[226:227], v[210:211], v[228:229]
	v_div_scale_f64 v[218:219], null, v[212:213], v[212:213], 1.0
	v_rcp_f64_e32 v[220:221], v[218:219]
	v_fma_f64 v[222:223], -v[218:219], v[220:221], 1.0
	v_fma_f64 v[220:221], v[220:221], v[222:223], v[220:221]
	v_fma_f64 v[222:223], -v[218:219], v[220:221], 1.0
	v_fma_f64 v[220:221], v[220:221], v[222:223], v[220:221]
	v_div_scale_f64 v[222:223], vcc_lo, 1.0, v[212:213], 1.0
	v_mul_f64 v[224:225], v[222:223], v[220:221]
	v_fma_f64 v[218:219], -v[218:219], v[224:225], v[222:223]
	v_div_fmas_f64 v[218:219], v[218:219], v[220:221], v[224:225]
	v_div_fixup_f64 v[228:229], v[218:219], v[212:213], 1.0
	v_mul_f64 v[226:227], v[210:211], v[228:229]
	v_xor_b32_e32 v229, 0x80000000, v229
.LBB110_9:
	s_andn2_saveexec_b32 s1, s1
	s_cbranch_execz .LBB110_11
; %bb.10:
	v_div_scale_f64 v[210:211], null, v[226:227], v[226:227], v[228:229]
	v_div_scale_f64 v[220:221], vcc_lo, v[228:229], v[226:227], v[228:229]
	v_rcp_f64_e32 v[212:213], v[210:211]
	v_fma_f64 v[218:219], -v[210:211], v[212:213], 1.0
	v_fma_f64 v[212:213], v[212:213], v[218:219], v[212:213]
	v_fma_f64 v[218:219], -v[210:211], v[212:213], 1.0
	v_fma_f64 v[212:213], v[212:213], v[218:219], v[212:213]
	v_mul_f64 v[218:219], v[220:221], v[212:213]
	v_fma_f64 v[210:211], -v[210:211], v[218:219], v[220:221]
	v_div_fmas_f64 v[210:211], v[210:211], v[212:213], v[218:219]
	v_div_fixup_f64 v[210:211], v[210:211], v[226:227], v[228:229]
	v_fma_f64 v[212:213], v[228:229], v[210:211], v[226:227]
	v_div_scale_f64 v[218:219], null, v[212:213], v[212:213], 1.0
	v_rcp_f64_e32 v[220:221], v[218:219]
	v_fma_f64 v[222:223], -v[218:219], v[220:221], 1.0
	v_fma_f64 v[220:221], v[220:221], v[222:223], v[220:221]
	v_fma_f64 v[222:223], -v[218:219], v[220:221], 1.0
	v_fma_f64 v[220:221], v[220:221], v[222:223], v[220:221]
	v_div_scale_f64 v[222:223], vcc_lo, 1.0, v[212:213], 1.0
	v_mul_f64 v[224:225], v[222:223], v[220:221]
	v_fma_f64 v[218:219], -v[218:219], v[224:225], v[222:223]
	v_div_fmas_f64 v[218:219], v[218:219], v[220:221], v[224:225]
	v_div_fixup_f64 v[226:227], v[218:219], v[212:213], 1.0
	v_mul_f64 v[228:229], v[210:211], -v[226:227]
.LBB110_11:
	s_or_b32 exec_lo, exec_lo, s1
	v_mov_b32_e32 v241, 0
	v_mov_b32_e32 v239, 2
.LBB110_12:
	s_or_b32 exec_lo, exec_lo, s0
	s_mov_b32 s0, exec_lo
	v_cmpx_ne_u32_e64 v0, v234
	s_xor_b32 s0, exec_lo, s0
	s_cbranch_execz .LBB110_18
; %bb.13:
	s_mov_b32 s1, exec_lo
	v_cmpx_eq_u32_e32 0, v0
	s_cbranch_execz .LBB110_17
; %bb.14:
	v_cmp_ne_u32_e32 vcc_lo, 0, v234
	s_xor_b32 s7, s16, -1
	s_and_b32 s9, s7, vcc_lo
	s_and_saveexec_b32 s7, s9
	s_cbranch_execz .LBB110_16
; %bb.15:
	v_ashrrev_i32_e32 v235, 31, v234
	v_lshlrev_b64 v[210:211], 2, v[234:235]
	s_waitcnt vmcnt(1)
	v_add_co_u32 v210, vcc_lo, v214, v210
	s_waitcnt vmcnt(0)
	v_add_co_ci_u32_e64 v211, null, v215, v211, vcc_lo
	s_clause 0x1
	global_load_dword v0, v[210:211], off
	global_load_dword v212, v[214:215], off
	s_waitcnt vmcnt(1)
	global_store_dword v[214:215], v0, off
	s_waitcnt vmcnt(0)
	global_store_dword v[210:211], v212, off
.LBB110_16:
	s_or_b32 exec_lo, exec_lo, s7
	v_mov_b32_e32 v0, v234
.LBB110_17:
	s_or_b32 exec_lo, exec_lo, s1
.LBB110_18:
	s_or_saveexec_b32 s0, s0
	v_mov_b32_e32 v240, v0
	s_xor_b32 exec_lo, exec_lo, s0
	s_cbranch_execz .LBB110_20
; %bb.19:
	s_clause 0x3
	buffer_load_dword v210, off, s[20:23], 0
	buffer_load_dword v211, off, s[20:23], 0 offset:4
	buffer_load_dword v212, off, s[20:23], 0 offset:8
	;; [unrolled: 1-line block ×3, first 2 shown]
	v_mov_b32_e32 v240, 0
	s_waitcnt vmcnt(0)
	ds_write2_b64 v1, v[210:211], v[212:213] offset0:2 offset1:3
	ds_write2_b64 v1, v[4:5], v[6:7] offset0:4 offset1:5
	;; [unrolled: 1-line block ×55, first 2 shown]
.LBB110_20:
	s_or_b32 exec_lo, exec_lo, s0
	s_mov_b32 s0, exec_lo
	s_waitcnt vmcnt(0) lgkmcnt(0)
	s_waitcnt_vscnt null, 0x0
	s_barrier
	buffer_gl0_inv
	v_cmpx_lt_i32_e32 0, v240
	s_cbranch_execz .LBB110_22
; %bb.21:
	s_clause 0x3
	buffer_load_dword v216, off, s[20:23], 0 offset:16
	buffer_load_dword v217, off, s[20:23], 0 offset:20
	;; [unrolled: 1-line block ×4, first 2 shown]
	s_waitcnt vmcnt(0)
	v_mul_f64 v[210:211], v[228:229], v[218:219]
	v_fma_f64 v[234:235], v[226:227], v[216:217], -v[210:211]
	v_mul_f64 v[210:211], v[226:227], v[218:219]
	v_fma_f64 v[218:219], v[228:229], v[216:217], v[210:211]
	ds_read2_b64 v[226:229], v1 offset0:2 offset1:3
	s_clause 0x3
	buffer_load_dword v220, off, s[20:23], 0
	buffer_load_dword v221, off, s[20:23], 0 offset:4
	buffer_load_dword v222, off, s[20:23], 0 offset:8
	;; [unrolled: 1-line block ×3, first 2 shown]
	v_mov_b32_e32 v216, v234
	v_mov_b32_e32 v217, v235
	s_waitcnt lgkmcnt(0)
	v_mul_f64 v[210:211], v[228:229], v[218:219]
	v_mul_f64 v[212:213], v[226:227], v[218:219]
	v_fma_f64 v[210:211], v[226:227], v[234:235], -v[210:211]
	v_fma_f64 v[212:213], v[228:229], v[234:235], v[212:213]
	s_waitcnt vmcnt(2)
	v_add_f64 v[220:221], v[220:221], -v[210:211]
	s_waitcnt vmcnt(0)
	v_add_f64 v[222:223], v[222:223], -v[212:213]
	buffer_store_dword v220, off, s[20:23], 0 ; 4-byte Folded Spill
	buffer_store_dword v221, off, s[20:23], 0 offset:4 ; 4-byte Folded Spill
	buffer_store_dword v222, off, s[20:23], 0 offset:8 ; 4-byte Folded Spill
	;; [unrolled: 1-line block ×3, first 2 shown]
	ds_read2_b64 v[226:229], v1 offset0:4 offset1:5
	s_waitcnt lgkmcnt(0)
	v_mul_f64 v[210:211], v[228:229], v[218:219]
	v_mul_f64 v[212:213], v[226:227], v[218:219]
	v_fma_f64 v[210:211], v[226:227], v[234:235], -v[210:211]
	v_fma_f64 v[212:213], v[228:229], v[234:235], v[212:213]
	ds_read2_b64 v[226:229], v1 offset0:6 offset1:7
	v_add_f64 v[4:5], v[4:5], -v[210:211]
	v_add_f64 v[6:7], v[6:7], -v[212:213]
	s_waitcnt lgkmcnt(0)
	v_mul_f64 v[210:211], v[228:229], v[218:219]
	v_mul_f64 v[212:213], v[226:227], v[218:219]
	v_fma_f64 v[210:211], v[226:227], v[234:235], -v[210:211]
	v_fma_f64 v[212:213], v[228:229], v[234:235], v[212:213]
	ds_read2_b64 v[226:229], v1 offset0:8 offset1:9
	v_add_f64 v[245:246], v[245:246], -v[210:211]
	v_add_f64 v[247:248], v[247:248], -v[212:213]
	;; [unrolled: 8-line block ×53, first 2 shown]
	s_waitcnt lgkmcnt(0)
	v_mul_f64 v[210:211], v[228:229], v[218:219]
	v_mul_f64 v[212:213], v[226:227], v[218:219]
	buffer_store_dword v216, off, s[20:23], 0 offset:16 ; 4-byte Folded Spill
	buffer_store_dword v217, off, s[20:23], 0 offset:20 ; 4-byte Folded Spill
	;; [unrolled: 1-line block ×4, first 2 shown]
	v_fma_f64 v[210:211], v[226:227], v[234:235], -v[210:211]
	v_fma_f64 v[212:213], v[228:229], v[234:235], v[212:213]
	v_add_f64 v[230:231], v[230:231], -v[210:211]
	v_add_f64 v[232:233], v[232:233], -v[212:213]
.LBB110_22:
	s_or_b32 exec_lo, exec_lo, s0
	s_waitcnt_vscnt null, 0x0
	s_barrier
	buffer_gl0_inv
	s_clause 0x3
	buffer_load_dword v216, off, s[20:23], 0
	buffer_load_dword v217, off, s[20:23], 0 offset:4
	buffer_load_dword v218, off, s[20:23], 0 offset:8
	;; [unrolled: 1-line block ×3, first 2 shown]
	v_lshl_add_u32 v210, v240, 4, v1
	v_mov_b32_e32 v234, 1
	s_cmp_lt_i32 s8, 3
	s_waitcnt vmcnt(0)
	ds_write2_b64 v210, v[216:217], v[218:219] offset1:1
	s_waitcnt lgkmcnt(0)
	s_barrier
	buffer_gl0_inv
	ds_read2_b64 v[226:229], v1 offset0:2 offset1:3
	s_cbranch_scc1 .LBB110_26
; %bb.23:
	v_mov_b32_e32 v223, v7
	v_mov_b32_e32 v222, v6
	;; [unrolled: 1-line block ×8, first 2 shown]
	v_add3_u32 v235, v253, 0, 32
	v_mov_b32_e32 v234, 1
	s_mov_b32 s1, 2
	s_inst_prefetch 0x1
	.p2align	6
.LBB110_24:                             ; =>This Inner Loop Header: Depth=1
	s_waitcnt lgkmcnt(0)
	v_cmp_gt_f64_e32 vcc_lo, 0, v[228:229]
	v_cmp_gt_f64_e64 s0, 0, v[226:227]
	ds_read2_b64 v[242:245], v235 offset1:1
	v_xor_b32_e32 v211, 0x80000000, v227
	v_xor_b32_e32 v213, 0x80000000, v229
	v_mov_b32_e32 v210, v226
	v_mov_b32_e32 v212, v228
	v_add_nc_u32_e32 v235, 16, v235
	s_waitcnt lgkmcnt(0)
	v_xor_b32_e32 v219, 0x80000000, v245
	v_cndmask_b32_e64 v211, v227, v211, s0
	v_cndmask_b32_e32 v213, v229, v213, vcc_lo
	v_cmp_gt_f64_e32 vcc_lo, 0, v[244:245]
	v_cmp_gt_f64_e64 s0, 0, v[242:243]
	v_mov_b32_e32 v218, v244
	v_add_f64 v[210:211], v[210:211], v[212:213]
	v_xor_b32_e32 v213, 0x80000000, v243
	v_mov_b32_e32 v212, v242
	v_cndmask_b32_e32 v219, v245, v219, vcc_lo
	v_cndmask_b32_e64 v213, v243, v213, s0
	v_add_f64 v[212:213], v[212:213], v[218:219]
	v_cmp_lt_f64_e32 vcc_lo, v[210:211], v[212:213]
	v_cndmask_b32_e32 v227, v227, v243, vcc_lo
	v_cndmask_b32_e32 v226, v226, v242, vcc_lo
	;; [unrolled: 1-line block ×4, first 2 shown]
	v_cndmask_b32_e64 v234, v234, s1, vcc_lo
	s_add_i32 s1, s1, 1
	s_cmp_lg_u32 s8, s1
	s_cbranch_scc1 .LBB110_24
; %bb.25:
	s_inst_prefetch 0x2
	v_mov_b32_e32 v248, v7
	v_mov_b32_e32 v247, v6
	;; [unrolled: 1-line block ×8, first 2 shown]
.LBB110_26:
	s_waitcnt lgkmcnt(0)
	v_cmp_neq_f64_e32 vcc_lo, 0, v[226:227]
	v_cmp_neq_f64_e64 s0, 0, v[228:229]
	s_or_b32 s1, vcc_lo, s0
	s_and_saveexec_b32 s0, s1
	s_cbranch_execz .LBB110_32
; %bb.27:
	v_cmp_ngt_f64_e64 s1, |v[226:227]|, |v[228:229]|
	s_and_saveexec_b32 s7, s1
	s_xor_b32 s1, exec_lo, s7
	s_cbranch_execz .LBB110_29
; %bb.28:
	v_div_scale_f64 v[210:211], null, v[228:229], v[228:229], v[226:227]
	v_div_scale_f64 v[220:221], vcc_lo, v[226:227], v[228:229], v[226:227]
	v_rcp_f64_e32 v[212:213], v[210:211]
	v_fma_f64 v[218:219], -v[210:211], v[212:213], 1.0
	v_fma_f64 v[212:213], v[212:213], v[218:219], v[212:213]
	v_fma_f64 v[218:219], -v[210:211], v[212:213], 1.0
	v_fma_f64 v[212:213], v[212:213], v[218:219], v[212:213]
	v_mul_f64 v[218:219], v[220:221], v[212:213]
	v_fma_f64 v[210:211], -v[210:211], v[218:219], v[220:221]
	v_div_fmas_f64 v[210:211], v[210:211], v[212:213], v[218:219]
	v_div_fixup_f64 v[210:211], v[210:211], v[228:229], v[226:227]
	v_fma_f64 v[212:213], v[226:227], v[210:211], v[228:229]
	v_div_scale_f64 v[218:219], null, v[212:213], v[212:213], 1.0
	v_rcp_f64_e32 v[220:221], v[218:219]
	v_fma_f64 v[222:223], -v[218:219], v[220:221], 1.0
	v_fma_f64 v[220:221], v[220:221], v[222:223], v[220:221]
	v_fma_f64 v[222:223], -v[218:219], v[220:221], 1.0
	v_fma_f64 v[220:221], v[220:221], v[222:223], v[220:221]
	v_div_scale_f64 v[222:223], vcc_lo, 1.0, v[212:213], 1.0
	v_mul_f64 v[224:225], v[222:223], v[220:221]
	v_fma_f64 v[218:219], -v[218:219], v[224:225], v[222:223]
	v_div_fmas_f64 v[218:219], v[218:219], v[220:221], v[224:225]
	v_div_fixup_f64 v[228:229], v[218:219], v[212:213], 1.0
	v_mul_f64 v[226:227], v[210:211], v[228:229]
	v_xor_b32_e32 v229, 0x80000000, v229
.LBB110_29:
	s_andn2_saveexec_b32 s1, s1
	s_cbranch_execz .LBB110_31
; %bb.30:
	v_div_scale_f64 v[210:211], null, v[226:227], v[226:227], v[228:229]
	v_div_scale_f64 v[220:221], vcc_lo, v[228:229], v[226:227], v[228:229]
	v_rcp_f64_e32 v[212:213], v[210:211]
	v_fma_f64 v[218:219], -v[210:211], v[212:213], 1.0
	v_fma_f64 v[212:213], v[212:213], v[218:219], v[212:213]
	v_fma_f64 v[218:219], -v[210:211], v[212:213], 1.0
	v_fma_f64 v[212:213], v[212:213], v[218:219], v[212:213]
	v_mul_f64 v[218:219], v[220:221], v[212:213]
	v_fma_f64 v[210:211], -v[210:211], v[218:219], v[220:221]
	v_div_fmas_f64 v[210:211], v[210:211], v[212:213], v[218:219]
	v_div_fixup_f64 v[210:211], v[210:211], v[226:227], v[228:229]
	v_fma_f64 v[212:213], v[228:229], v[210:211], v[226:227]
	v_div_scale_f64 v[218:219], null, v[212:213], v[212:213], 1.0
	v_rcp_f64_e32 v[220:221], v[218:219]
	v_fma_f64 v[222:223], -v[218:219], v[220:221], 1.0
	v_fma_f64 v[220:221], v[220:221], v[222:223], v[220:221]
	v_fma_f64 v[222:223], -v[218:219], v[220:221], 1.0
	v_fma_f64 v[220:221], v[220:221], v[222:223], v[220:221]
	v_div_scale_f64 v[222:223], vcc_lo, 1.0, v[212:213], 1.0
	v_mul_f64 v[224:225], v[222:223], v[220:221]
	v_fma_f64 v[218:219], -v[218:219], v[224:225], v[222:223]
	v_div_fmas_f64 v[218:219], v[218:219], v[220:221], v[224:225]
	v_div_fixup_f64 v[226:227], v[218:219], v[212:213], 1.0
	v_mul_f64 v[228:229], v[210:211], -v[226:227]
.LBB110_31:
	s_or_b32 exec_lo, exec_lo, s1
	v_mov_b32_e32 v239, v241
.LBB110_32:
	s_or_b32 exec_lo, exec_lo, s0
	s_mov_b32 s0, exec_lo
	v_cmpx_ne_u32_e64 v240, v234
	s_xor_b32 s0, exec_lo, s0
	s_cbranch_execz .LBB110_38
; %bb.33:
	s_mov_b32 s1, exec_lo
	v_cmpx_eq_u32_e32 1, v240
	s_cbranch_execz .LBB110_37
; %bb.34:
	v_cmp_ne_u32_e32 vcc_lo, 1, v234
	s_xor_b32 s7, s16, -1
	s_and_b32 s9, s7, vcc_lo
	s_and_saveexec_b32 s7, s9
	s_cbranch_execz .LBB110_36
; %bb.35:
	v_ashrrev_i32_e32 v235, 31, v234
	v_lshlrev_b64 v[210:211], 2, v[234:235]
	v_add_co_u32 v210, vcc_lo, v214, v210
	v_add_co_ci_u32_e64 v211, null, v215, v211, vcc_lo
	s_clause 0x1
	global_load_dword v0, v[210:211], off
	global_load_dword v212, v[214:215], off offset:4
	s_waitcnt vmcnt(1)
	global_store_dword v[214:215], v0, off offset:4
	s_waitcnt vmcnt(0)
	global_store_dword v[210:211], v212, off
.LBB110_36:
	s_or_b32 exec_lo, exec_lo, s7
	v_mov_b32_e32 v240, v234
	v_mov_b32_e32 v0, v234
.LBB110_37:
	s_or_b32 exec_lo, exec_lo, s1
.LBB110_38:
	s_andn2_saveexec_b32 s0, s0
	s_cbranch_execz .LBB110_40
; %bb.39:
	v_mov_b32_e32 v240, 1
	ds_write2_b64 v1, v[4:5], v[6:7] offset0:4 offset1:5
	ds_write2_b64 v1, v[245:246], v[247:248] offset0:6 offset1:7
	;; [unrolled: 1-line block ×54, first 2 shown]
.LBB110_40:
	s_or_b32 exec_lo, exec_lo, s0
	s_mov_b32 s0, exec_lo
	s_waitcnt lgkmcnt(0)
	s_waitcnt_vscnt null, 0x0
	s_barrier
	buffer_gl0_inv
	v_cmpx_lt_i32_e32 1, v240
	s_cbranch_execz .LBB110_42
; %bb.41:
	s_clause 0x3
	buffer_load_dword v216, off, s[20:23], 0
	buffer_load_dword v217, off, s[20:23], 0 offset:4
	buffer_load_dword v218, off, s[20:23], 0 offset:8
	;; [unrolled: 1-line block ×3, first 2 shown]
	s_waitcnt vmcnt(0)
	v_mul_f64 v[210:211], v[228:229], v[218:219]
	v_fma_f64 v[234:235], v[226:227], v[216:217], -v[210:211]
	v_mul_f64 v[210:211], v[226:227], v[218:219]
	v_fma_f64 v[218:219], v[228:229], v[216:217], v[210:211]
	ds_read2_b64 v[226:229], v1 offset0:4 offset1:5
	v_mov_b32_e32 v216, v234
	v_mov_b32_e32 v217, v235
	s_waitcnt lgkmcnt(0)
	v_mul_f64 v[210:211], v[228:229], v[218:219]
	v_mul_f64 v[212:213], v[226:227], v[218:219]
	v_fma_f64 v[210:211], v[226:227], v[234:235], -v[210:211]
	v_fma_f64 v[212:213], v[228:229], v[234:235], v[212:213]
	ds_read2_b64 v[226:229], v1 offset0:6 offset1:7
	v_add_f64 v[4:5], v[4:5], -v[210:211]
	v_add_f64 v[6:7], v[6:7], -v[212:213]
	s_waitcnt lgkmcnt(0)
	v_mul_f64 v[210:211], v[228:229], v[218:219]
	v_mul_f64 v[212:213], v[226:227], v[218:219]
	v_fma_f64 v[210:211], v[226:227], v[234:235], -v[210:211]
	v_fma_f64 v[212:213], v[228:229], v[234:235], v[212:213]
	ds_read2_b64 v[226:229], v1 offset0:8 offset1:9
	v_add_f64 v[245:246], v[245:246], -v[210:211]
	v_add_f64 v[247:248], v[247:248], -v[212:213]
	;; [unrolled: 8-line block ×53, first 2 shown]
	s_waitcnt lgkmcnt(0)
	v_mul_f64 v[210:211], v[228:229], v[218:219]
	v_mul_f64 v[212:213], v[226:227], v[218:219]
	buffer_store_dword v216, off, s[20:23], 0 ; 4-byte Folded Spill
	buffer_store_dword v217, off, s[20:23], 0 offset:4 ; 4-byte Folded Spill
	buffer_store_dword v218, off, s[20:23], 0 offset:8 ; 4-byte Folded Spill
	buffer_store_dword v219, off, s[20:23], 0 offset:12 ; 4-byte Folded Spill
	v_fma_f64 v[210:211], v[226:227], v[234:235], -v[210:211]
	v_fma_f64 v[212:213], v[228:229], v[234:235], v[212:213]
	v_add_f64 v[230:231], v[230:231], -v[210:211]
	v_add_f64 v[232:233], v[232:233], -v[212:213]
.LBB110_42:
	s_or_b32 exec_lo, exec_lo, s0
	v_lshl_add_u32 v210, v240, 4, v1
	s_waitcnt_vscnt null, 0x0
	s_barrier
	buffer_gl0_inv
	v_mov_b32_e32 v234, 2
	ds_write2_b64 v210, v[4:5], v[6:7] offset1:1
	s_waitcnt lgkmcnt(0)
	s_barrier
	buffer_gl0_inv
	ds_read2_b64 v[226:229], v1 offset0:4 offset1:5
	s_cmp_lt_i32 s8, 4
	s_cbranch_scc1 .LBB110_45
; %bb.43:
	v_add3_u32 v235, v253, 0, 48
	v_mov_b32_e32 v234, 2
	s_mov_b32 s1, 3
	s_inst_prefetch 0x1
	.p2align	6
.LBB110_44:                             ; =>This Inner Loop Header: Depth=1
	s_waitcnt lgkmcnt(0)
	v_cmp_gt_f64_e32 vcc_lo, 0, v[228:229]
	v_cmp_gt_f64_e64 s0, 0, v[226:227]
	ds_read2_b64 v[241:244], v235 offset1:1
	v_xor_b32_e32 v211, 0x80000000, v227
	v_xor_b32_e32 v213, 0x80000000, v229
	v_mov_b32_e32 v210, v226
	v_mov_b32_e32 v212, v228
	v_add_nc_u32_e32 v235, 16, v235
	s_waitcnt lgkmcnt(0)
	v_xor_b32_e32 v219, 0x80000000, v244
	v_cndmask_b32_e64 v211, v227, v211, s0
	v_cndmask_b32_e32 v213, v229, v213, vcc_lo
	v_cmp_gt_f64_e32 vcc_lo, 0, v[243:244]
	v_cmp_gt_f64_e64 s0, 0, v[241:242]
	v_mov_b32_e32 v218, v243
	v_add_f64 v[210:211], v[210:211], v[212:213]
	v_xor_b32_e32 v213, 0x80000000, v242
	v_mov_b32_e32 v212, v241
	v_cndmask_b32_e32 v219, v244, v219, vcc_lo
	v_cndmask_b32_e64 v213, v242, v213, s0
	v_add_f64 v[212:213], v[212:213], v[218:219]
	v_cmp_lt_f64_e32 vcc_lo, v[210:211], v[212:213]
	v_cndmask_b32_e32 v227, v227, v242, vcc_lo
	v_cndmask_b32_e32 v226, v226, v241, vcc_lo
	;; [unrolled: 1-line block ×4, first 2 shown]
	v_cndmask_b32_e64 v234, v234, s1, vcc_lo
	s_add_i32 s1, s1, 1
	s_cmp_lg_u32 s8, s1
	s_cbranch_scc1 .LBB110_44
.LBB110_45:
	s_inst_prefetch 0x2
	s_waitcnt lgkmcnt(0)
	v_cmp_eq_f64_e32 vcc_lo, 0, v[226:227]
	v_cmp_eq_f64_e64 s0, 0, v[228:229]
	s_and_b32 s0, vcc_lo, s0
	s_and_saveexec_b32 s1, s0
	s_xor_b32 s0, exec_lo, s1
; %bb.46:
	v_cmp_ne_u32_e32 vcc_lo, 0, v239
	v_cndmask_b32_e32 v239, 3, v239, vcc_lo
; %bb.47:
	s_andn2_saveexec_b32 s0, s0
	s_cbranch_execz .LBB110_53
; %bb.48:
	v_cmp_ngt_f64_e64 s1, |v[226:227]|, |v[228:229]|
	s_and_saveexec_b32 s7, s1
	s_xor_b32 s1, exec_lo, s7
	s_cbranch_execz .LBB110_50
; %bb.49:
	v_div_scale_f64 v[210:211], null, v[228:229], v[228:229], v[226:227]
	v_div_scale_f64 v[220:221], vcc_lo, v[226:227], v[228:229], v[226:227]
	v_rcp_f64_e32 v[212:213], v[210:211]
	v_fma_f64 v[218:219], -v[210:211], v[212:213], 1.0
	v_fma_f64 v[212:213], v[212:213], v[218:219], v[212:213]
	v_fma_f64 v[218:219], -v[210:211], v[212:213], 1.0
	v_fma_f64 v[212:213], v[212:213], v[218:219], v[212:213]
	v_mul_f64 v[218:219], v[220:221], v[212:213]
	v_fma_f64 v[210:211], -v[210:211], v[218:219], v[220:221]
	v_div_fmas_f64 v[210:211], v[210:211], v[212:213], v[218:219]
	v_div_fixup_f64 v[210:211], v[210:211], v[228:229], v[226:227]
	v_fma_f64 v[212:213], v[226:227], v[210:211], v[228:229]
	v_div_scale_f64 v[218:219], null, v[212:213], v[212:213], 1.0
	v_rcp_f64_e32 v[220:221], v[218:219]
	v_fma_f64 v[222:223], -v[218:219], v[220:221], 1.0
	v_fma_f64 v[220:221], v[220:221], v[222:223], v[220:221]
	v_fma_f64 v[222:223], -v[218:219], v[220:221], 1.0
	v_fma_f64 v[220:221], v[220:221], v[222:223], v[220:221]
	v_div_scale_f64 v[222:223], vcc_lo, 1.0, v[212:213], 1.0
	v_mul_f64 v[224:225], v[222:223], v[220:221]
	v_fma_f64 v[218:219], -v[218:219], v[224:225], v[222:223]
	v_div_fmas_f64 v[218:219], v[218:219], v[220:221], v[224:225]
	v_div_fixup_f64 v[228:229], v[218:219], v[212:213], 1.0
	v_mul_f64 v[226:227], v[210:211], v[228:229]
	v_xor_b32_e32 v229, 0x80000000, v229
.LBB110_50:
	s_andn2_saveexec_b32 s1, s1
	s_cbranch_execz .LBB110_52
; %bb.51:
	v_div_scale_f64 v[210:211], null, v[226:227], v[226:227], v[228:229]
	v_div_scale_f64 v[220:221], vcc_lo, v[228:229], v[226:227], v[228:229]
	v_rcp_f64_e32 v[212:213], v[210:211]
	v_fma_f64 v[218:219], -v[210:211], v[212:213], 1.0
	v_fma_f64 v[212:213], v[212:213], v[218:219], v[212:213]
	v_fma_f64 v[218:219], -v[210:211], v[212:213], 1.0
	v_fma_f64 v[212:213], v[212:213], v[218:219], v[212:213]
	v_mul_f64 v[218:219], v[220:221], v[212:213]
	v_fma_f64 v[210:211], -v[210:211], v[218:219], v[220:221]
	v_div_fmas_f64 v[210:211], v[210:211], v[212:213], v[218:219]
	v_div_fixup_f64 v[210:211], v[210:211], v[226:227], v[228:229]
	v_fma_f64 v[212:213], v[228:229], v[210:211], v[226:227]
	v_div_scale_f64 v[218:219], null, v[212:213], v[212:213], 1.0
	v_rcp_f64_e32 v[220:221], v[218:219]
	v_fma_f64 v[222:223], -v[218:219], v[220:221], 1.0
	v_fma_f64 v[220:221], v[220:221], v[222:223], v[220:221]
	v_fma_f64 v[222:223], -v[218:219], v[220:221], 1.0
	v_fma_f64 v[220:221], v[220:221], v[222:223], v[220:221]
	v_div_scale_f64 v[222:223], vcc_lo, 1.0, v[212:213], 1.0
	v_mul_f64 v[224:225], v[222:223], v[220:221]
	v_fma_f64 v[218:219], -v[218:219], v[224:225], v[222:223]
	v_div_fmas_f64 v[218:219], v[218:219], v[220:221], v[224:225]
	v_div_fixup_f64 v[226:227], v[218:219], v[212:213], 1.0
	v_mul_f64 v[228:229], v[210:211], -v[226:227]
.LBB110_52:
	s_or_b32 exec_lo, exec_lo, s1
.LBB110_53:
	s_or_b32 exec_lo, exec_lo, s0
	s_mov_b32 s0, exec_lo
	v_cmpx_ne_u32_e64 v240, v234
	s_xor_b32 s0, exec_lo, s0
	s_cbranch_execz .LBB110_59
; %bb.54:
	s_mov_b32 s1, exec_lo
	v_cmpx_eq_u32_e32 2, v240
	s_cbranch_execz .LBB110_58
; %bb.55:
	v_cmp_ne_u32_e32 vcc_lo, 2, v234
	s_xor_b32 s7, s16, -1
	s_and_b32 s9, s7, vcc_lo
	s_and_saveexec_b32 s7, s9
	s_cbranch_execz .LBB110_57
; %bb.56:
	v_ashrrev_i32_e32 v235, 31, v234
	v_lshlrev_b64 v[210:211], 2, v[234:235]
	v_add_co_u32 v210, vcc_lo, v214, v210
	v_add_co_ci_u32_e64 v211, null, v215, v211, vcc_lo
	s_clause 0x1
	global_load_dword v0, v[210:211], off
	global_load_dword v212, v[214:215], off offset:8
	s_waitcnt vmcnt(1)
	global_store_dword v[214:215], v0, off offset:8
	s_waitcnt vmcnt(0)
	global_store_dword v[210:211], v212, off
.LBB110_57:
	s_or_b32 exec_lo, exec_lo, s7
	v_mov_b32_e32 v240, v234
	v_mov_b32_e32 v0, v234
.LBB110_58:
	s_or_b32 exec_lo, exec_lo, s1
.LBB110_59:
	s_andn2_saveexec_b32 s0, s0
	s_cbranch_execz .LBB110_61
; %bb.60:
	v_mov_b32_e32 v240, 2
	ds_write2_b64 v1, v[245:246], v[247:248] offset0:6 offset1:7
	ds_write2_b64 v1, v[206:207], v[208:209] offset0:8 offset1:9
	;; [unrolled: 1-line block ×53, first 2 shown]
.LBB110_61:
	s_or_b32 exec_lo, exec_lo, s0
	s_mov_b32 s0, exec_lo
	s_waitcnt lgkmcnt(0)
	s_waitcnt_vscnt null, 0x0
	s_barrier
	buffer_gl0_inv
	v_cmpx_lt_i32_e32 2, v240
	s_cbranch_execz .LBB110_63
; %bb.62:
	v_mul_f64 v[210:211], v[228:229], v[6:7]
	v_fma_f64 v[234:235], v[226:227], v[4:5], -v[210:211]
	v_mul_f64 v[210:211], v[226:227], v[6:7]
	v_fma_f64 v[6:7], v[228:229], v[4:5], v[210:211]
	ds_read2_b64 v[226:229], v1 offset0:6 offset1:7
	v_mov_b32_e32 v4, v234
	v_mov_b32_e32 v5, v235
	s_waitcnt lgkmcnt(0)
	v_mul_f64 v[210:211], v[228:229], v[6:7]
	v_mul_f64 v[212:213], v[226:227], v[6:7]
	v_fma_f64 v[210:211], v[226:227], v[234:235], -v[210:211]
	v_fma_f64 v[212:213], v[228:229], v[234:235], v[212:213]
	ds_read2_b64 v[226:229], v1 offset0:8 offset1:9
	v_add_f64 v[245:246], v[245:246], -v[210:211]
	v_add_f64 v[247:248], v[247:248], -v[212:213]
	s_waitcnt lgkmcnt(0)
	v_mul_f64 v[210:211], v[228:229], v[6:7]
	v_mul_f64 v[212:213], v[226:227], v[6:7]
	v_fma_f64 v[210:211], v[226:227], v[234:235], -v[210:211]
	v_fma_f64 v[212:213], v[228:229], v[234:235], v[212:213]
	ds_read2_b64 v[226:229], v1 offset0:10 offset1:11
	v_add_f64 v[206:207], v[206:207], -v[210:211]
	v_add_f64 v[208:209], v[208:209], -v[212:213]
	;; [unrolled: 8-line block ×52, first 2 shown]
	s_waitcnt lgkmcnt(0)
	v_mul_f64 v[210:211], v[228:229], v[6:7]
	v_mul_f64 v[212:213], v[226:227], v[6:7]
	v_fma_f64 v[210:211], v[226:227], v[234:235], -v[210:211]
	v_fma_f64 v[212:213], v[228:229], v[234:235], v[212:213]
	v_add_f64 v[230:231], v[230:231], -v[210:211]
	v_add_f64 v[232:233], v[232:233], -v[212:213]
.LBB110_63:
	s_or_b32 exec_lo, exec_lo, s0
	v_lshl_add_u32 v210, v240, 4, v1
	s_barrier
	buffer_gl0_inv
	v_mov_b32_e32 v234, 3
	ds_write2_b64 v210, v[245:246], v[247:248] offset1:1
	s_waitcnt lgkmcnt(0)
	s_barrier
	buffer_gl0_inv
	ds_read2_b64 v[226:229], v1 offset0:6 offset1:7
	s_cmp_lt_i32 s8, 5
	s_mov_b32 s1, 4
	s_cbranch_scc1 .LBB110_66
; %bb.64:
	v_add3_u32 v235, v253, 0, 64
	v_mov_b32_e32 v234, 3
	s_inst_prefetch 0x1
	.p2align	6
.LBB110_65:                             ; =>This Inner Loop Header: Depth=1
	s_waitcnt lgkmcnt(0)
	v_cmp_gt_f64_e32 vcc_lo, 0, v[228:229]
	v_cmp_gt_f64_e64 s0, 0, v[226:227]
	ds_read2_b64 v[241:244], v235 offset1:1
	v_xor_b32_e32 v211, 0x80000000, v227
	v_xor_b32_e32 v213, 0x80000000, v229
	v_mov_b32_e32 v210, v226
	v_mov_b32_e32 v212, v228
	v_add_nc_u32_e32 v235, 16, v235
	s_waitcnt lgkmcnt(0)
	v_xor_b32_e32 v219, 0x80000000, v244
	v_cndmask_b32_e64 v211, v227, v211, s0
	v_cndmask_b32_e32 v213, v229, v213, vcc_lo
	v_cmp_gt_f64_e32 vcc_lo, 0, v[243:244]
	v_cmp_gt_f64_e64 s0, 0, v[241:242]
	v_mov_b32_e32 v218, v243
	v_add_f64 v[210:211], v[210:211], v[212:213]
	v_xor_b32_e32 v213, 0x80000000, v242
	v_mov_b32_e32 v212, v241
	v_cndmask_b32_e32 v219, v244, v219, vcc_lo
	v_cndmask_b32_e64 v213, v242, v213, s0
	v_add_f64 v[212:213], v[212:213], v[218:219]
	v_cmp_lt_f64_e32 vcc_lo, v[210:211], v[212:213]
	v_cndmask_b32_e32 v227, v227, v242, vcc_lo
	v_cndmask_b32_e32 v226, v226, v241, vcc_lo
	;; [unrolled: 1-line block ×4, first 2 shown]
	v_cndmask_b32_e64 v234, v234, s1, vcc_lo
	s_add_i32 s1, s1, 1
	s_cmp_lg_u32 s8, s1
	s_cbranch_scc1 .LBB110_65
.LBB110_66:
	s_inst_prefetch 0x2
	s_waitcnt lgkmcnt(0)
	v_cmp_eq_f64_e32 vcc_lo, 0, v[226:227]
	v_cmp_eq_f64_e64 s0, 0, v[228:229]
	s_and_b32 s0, vcc_lo, s0
	s_and_saveexec_b32 s1, s0
	s_xor_b32 s0, exec_lo, s1
; %bb.67:
	v_cmp_ne_u32_e32 vcc_lo, 0, v239
	v_cndmask_b32_e32 v239, 4, v239, vcc_lo
; %bb.68:
	s_andn2_saveexec_b32 s0, s0
	s_cbranch_execz .LBB110_74
; %bb.69:
	v_cmp_ngt_f64_e64 s1, |v[226:227]|, |v[228:229]|
	s_and_saveexec_b32 s7, s1
	s_xor_b32 s1, exec_lo, s7
	s_cbranch_execz .LBB110_71
; %bb.70:
	v_div_scale_f64 v[210:211], null, v[228:229], v[228:229], v[226:227]
	v_div_scale_f64 v[220:221], vcc_lo, v[226:227], v[228:229], v[226:227]
	v_rcp_f64_e32 v[212:213], v[210:211]
	v_fma_f64 v[218:219], -v[210:211], v[212:213], 1.0
	v_fma_f64 v[212:213], v[212:213], v[218:219], v[212:213]
	v_fma_f64 v[218:219], -v[210:211], v[212:213], 1.0
	v_fma_f64 v[212:213], v[212:213], v[218:219], v[212:213]
	v_mul_f64 v[218:219], v[220:221], v[212:213]
	v_fma_f64 v[210:211], -v[210:211], v[218:219], v[220:221]
	v_div_fmas_f64 v[210:211], v[210:211], v[212:213], v[218:219]
	v_div_fixup_f64 v[210:211], v[210:211], v[228:229], v[226:227]
	v_fma_f64 v[212:213], v[226:227], v[210:211], v[228:229]
	v_div_scale_f64 v[218:219], null, v[212:213], v[212:213], 1.0
	v_rcp_f64_e32 v[220:221], v[218:219]
	v_fma_f64 v[222:223], -v[218:219], v[220:221], 1.0
	v_fma_f64 v[220:221], v[220:221], v[222:223], v[220:221]
	v_fma_f64 v[222:223], -v[218:219], v[220:221], 1.0
	v_fma_f64 v[220:221], v[220:221], v[222:223], v[220:221]
	v_div_scale_f64 v[222:223], vcc_lo, 1.0, v[212:213], 1.0
	v_mul_f64 v[224:225], v[222:223], v[220:221]
	v_fma_f64 v[218:219], -v[218:219], v[224:225], v[222:223]
	v_div_fmas_f64 v[218:219], v[218:219], v[220:221], v[224:225]
	v_div_fixup_f64 v[228:229], v[218:219], v[212:213], 1.0
	v_mul_f64 v[226:227], v[210:211], v[228:229]
	v_xor_b32_e32 v229, 0x80000000, v229
.LBB110_71:
	s_andn2_saveexec_b32 s1, s1
	s_cbranch_execz .LBB110_73
; %bb.72:
	v_div_scale_f64 v[210:211], null, v[226:227], v[226:227], v[228:229]
	v_div_scale_f64 v[220:221], vcc_lo, v[228:229], v[226:227], v[228:229]
	v_rcp_f64_e32 v[212:213], v[210:211]
	v_fma_f64 v[218:219], -v[210:211], v[212:213], 1.0
	v_fma_f64 v[212:213], v[212:213], v[218:219], v[212:213]
	v_fma_f64 v[218:219], -v[210:211], v[212:213], 1.0
	v_fma_f64 v[212:213], v[212:213], v[218:219], v[212:213]
	v_mul_f64 v[218:219], v[220:221], v[212:213]
	v_fma_f64 v[210:211], -v[210:211], v[218:219], v[220:221]
	v_div_fmas_f64 v[210:211], v[210:211], v[212:213], v[218:219]
	v_div_fixup_f64 v[210:211], v[210:211], v[226:227], v[228:229]
	v_fma_f64 v[212:213], v[228:229], v[210:211], v[226:227]
	v_div_scale_f64 v[218:219], null, v[212:213], v[212:213], 1.0
	v_rcp_f64_e32 v[220:221], v[218:219]
	v_fma_f64 v[222:223], -v[218:219], v[220:221], 1.0
	v_fma_f64 v[220:221], v[220:221], v[222:223], v[220:221]
	v_fma_f64 v[222:223], -v[218:219], v[220:221], 1.0
	v_fma_f64 v[220:221], v[220:221], v[222:223], v[220:221]
	v_div_scale_f64 v[222:223], vcc_lo, 1.0, v[212:213], 1.0
	v_mul_f64 v[224:225], v[222:223], v[220:221]
	v_fma_f64 v[218:219], -v[218:219], v[224:225], v[222:223]
	v_div_fmas_f64 v[218:219], v[218:219], v[220:221], v[224:225]
	v_div_fixup_f64 v[226:227], v[218:219], v[212:213], 1.0
	v_mul_f64 v[228:229], v[210:211], -v[226:227]
.LBB110_73:
	s_or_b32 exec_lo, exec_lo, s1
.LBB110_74:
	s_or_b32 exec_lo, exec_lo, s0
	s_mov_b32 s0, exec_lo
	v_cmpx_ne_u32_e64 v240, v234
	s_xor_b32 s0, exec_lo, s0
	s_cbranch_execz .LBB110_80
; %bb.75:
	s_mov_b32 s1, exec_lo
	v_cmpx_eq_u32_e32 3, v240
	s_cbranch_execz .LBB110_79
; %bb.76:
	v_cmp_ne_u32_e32 vcc_lo, 3, v234
	s_xor_b32 s7, s16, -1
	s_and_b32 s9, s7, vcc_lo
	s_and_saveexec_b32 s7, s9
	s_cbranch_execz .LBB110_78
; %bb.77:
	v_ashrrev_i32_e32 v235, 31, v234
	v_lshlrev_b64 v[210:211], 2, v[234:235]
	v_add_co_u32 v210, vcc_lo, v214, v210
	v_add_co_ci_u32_e64 v211, null, v215, v211, vcc_lo
	s_clause 0x1
	global_load_dword v0, v[210:211], off
	global_load_dword v212, v[214:215], off offset:12
	s_waitcnt vmcnt(1)
	global_store_dword v[214:215], v0, off offset:12
	s_waitcnt vmcnt(0)
	global_store_dword v[210:211], v212, off
.LBB110_78:
	s_or_b32 exec_lo, exec_lo, s7
	v_mov_b32_e32 v240, v234
	v_mov_b32_e32 v0, v234
.LBB110_79:
	s_or_b32 exec_lo, exec_lo, s1
.LBB110_80:
	s_andn2_saveexec_b32 s0, s0
	s_cbranch_execz .LBB110_82
; %bb.81:
	v_mov_b32_e32 v240, 3
	ds_write2_b64 v1, v[206:207], v[208:209] offset0:8 offset1:9
	ds_write2_b64 v1, v[202:203], v[204:205] offset0:10 offset1:11
	;; [unrolled: 1-line block ×52, first 2 shown]
.LBB110_82:
	s_or_b32 exec_lo, exec_lo, s0
	s_mov_b32 s0, exec_lo
	s_waitcnt lgkmcnt(0)
	s_waitcnt_vscnt null, 0x0
	s_barrier
	buffer_gl0_inv
	v_cmpx_lt_i32_e32 3, v240
	s_cbranch_execz .LBB110_84
; %bb.83:
	v_mul_f64 v[210:211], v[228:229], v[247:248]
	v_fma_f64 v[234:235], v[226:227], v[245:246], -v[210:211]
	v_mul_f64 v[210:211], v[226:227], v[247:248]
	v_fma_f64 v[247:248], v[228:229], v[245:246], v[210:211]
	ds_read2_b64 v[226:229], v1 offset0:8 offset1:9
	v_mov_b32_e32 v246, v235
	v_mov_b32_e32 v245, v234
	s_waitcnt lgkmcnt(0)
	v_mul_f64 v[210:211], v[228:229], v[247:248]
	v_mul_f64 v[212:213], v[226:227], v[247:248]
	v_fma_f64 v[210:211], v[226:227], v[234:235], -v[210:211]
	v_fma_f64 v[212:213], v[228:229], v[234:235], v[212:213]
	ds_read2_b64 v[226:229], v1 offset0:10 offset1:11
	v_add_f64 v[206:207], v[206:207], -v[210:211]
	v_add_f64 v[208:209], v[208:209], -v[212:213]
	s_waitcnt lgkmcnt(0)
	v_mul_f64 v[210:211], v[228:229], v[247:248]
	v_mul_f64 v[212:213], v[226:227], v[247:248]
	v_fma_f64 v[210:211], v[226:227], v[234:235], -v[210:211]
	v_fma_f64 v[212:213], v[228:229], v[234:235], v[212:213]
	ds_read2_b64 v[226:229], v1 offset0:12 offset1:13
	v_add_f64 v[202:203], v[202:203], -v[210:211]
	v_add_f64 v[204:205], v[204:205], -v[212:213]
	;; [unrolled: 8-line block ×51, first 2 shown]
	s_waitcnt lgkmcnt(0)
	v_mul_f64 v[210:211], v[228:229], v[247:248]
	v_mul_f64 v[212:213], v[226:227], v[247:248]
	v_fma_f64 v[210:211], v[226:227], v[234:235], -v[210:211]
	v_fma_f64 v[212:213], v[228:229], v[234:235], v[212:213]
	v_add_f64 v[230:231], v[230:231], -v[210:211]
	v_add_f64 v[232:233], v[232:233], -v[212:213]
.LBB110_84:
	s_or_b32 exec_lo, exec_lo, s0
	v_lshl_add_u32 v210, v240, 4, v1
	s_barrier
	buffer_gl0_inv
	v_mov_b32_e32 v234, 4
	ds_write2_b64 v210, v[206:207], v[208:209] offset1:1
	s_waitcnt lgkmcnt(0)
	s_barrier
	buffer_gl0_inv
	ds_read2_b64 v[226:229], v1 offset0:8 offset1:9
	s_cmp_lt_i32 s8, 6
	s_cbranch_scc1 .LBB110_87
; %bb.85:
	v_mov_b32_e32 v234, 4
	v_add3_u32 v235, v253, 0, 0x50
	s_mov_b32 s1, 5
	s_inst_prefetch 0x1
	.p2align	6
.LBB110_86:                             ; =>This Inner Loop Header: Depth=1
	s_waitcnt lgkmcnt(0)
	v_cmp_gt_f64_e32 vcc_lo, 0, v[228:229]
	v_cmp_gt_f64_e64 s0, 0, v[226:227]
	ds_read2_b64 v[241:244], v235 offset1:1
	v_xor_b32_e32 v211, 0x80000000, v227
	v_xor_b32_e32 v213, 0x80000000, v229
	v_mov_b32_e32 v210, v226
	v_mov_b32_e32 v212, v228
	v_add_nc_u32_e32 v235, 16, v235
	s_waitcnt lgkmcnt(0)
	v_xor_b32_e32 v219, 0x80000000, v244
	v_cndmask_b32_e64 v211, v227, v211, s0
	v_cndmask_b32_e32 v213, v229, v213, vcc_lo
	v_cmp_gt_f64_e32 vcc_lo, 0, v[243:244]
	v_cmp_gt_f64_e64 s0, 0, v[241:242]
	v_mov_b32_e32 v218, v243
	v_add_f64 v[210:211], v[210:211], v[212:213]
	v_xor_b32_e32 v213, 0x80000000, v242
	v_mov_b32_e32 v212, v241
	v_cndmask_b32_e32 v219, v244, v219, vcc_lo
	v_cndmask_b32_e64 v213, v242, v213, s0
	v_add_f64 v[212:213], v[212:213], v[218:219]
	v_cmp_lt_f64_e32 vcc_lo, v[210:211], v[212:213]
	v_cndmask_b32_e32 v227, v227, v242, vcc_lo
	v_cndmask_b32_e32 v226, v226, v241, vcc_lo
	;; [unrolled: 1-line block ×4, first 2 shown]
	v_cndmask_b32_e64 v234, v234, s1, vcc_lo
	s_add_i32 s1, s1, 1
	s_cmp_lg_u32 s8, s1
	s_cbranch_scc1 .LBB110_86
.LBB110_87:
	s_inst_prefetch 0x2
	s_waitcnt lgkmcnt(0)
	v_cmp_eq_f64_e32 vcc_lo, 0, v[226:227]
	v_cmp_eq_f64_e64 s0, 0, v[228:229]
	s_and_b32 s0, vcc_lo, s0
	s_and_saveexec_b32 s1, s0
	s_xor_b32 s0, exec_lo, s1
; %bb.88:
	v_cmp_ne_u32_e32 vcc_lo, 0, v239
	v_cndmask_b32_e32 v239, 5, v239, vcc_lo
; %bb.89:
	s_andn2_saveexec_b32 s0, s0
	s_cbranch_execz .LBB110_95
; %bb.90:
	v_cmp_ngt_f64_e64 s1, |v[226:227]|, |v[228:229]|
	s_and_saveexec_b32 s7, s1
	s_xor_b32 s1, exec_lo, s7
	s_cbranch_execz .LBB110_92
; %bb.91:
	v_div_scale_f64 v[210:211], null, v[228:229], v[228:229], v[226:227]
	v_div_scale_f64 v[220:221], vcc_lo, v[226:227], v[228:229], v[226:227]
	v_rcp_f64_e32 v[212:213], v[210:211]
	v_fma_f64 v[218:219], -v[210:211], v[212:213], 1.0
	v_fma_f64 v[212:213], v[212:213], v[218:219], v[212:213]
	v_fma_f64 v[218:219], -v[210:211], v[212:213], 1.0
	v_fma_f64 v[212:213], v[212:213], v[218:219], v[212:213]
	v_mul_f64 v[218:219], v[220:221], v[212:213]
	v_fma_f64 v[210:211], -v[210:211], v[218:219], v[220:221]
	v_div_fmas_f64 v[210:211], v[210:211], v[212:213], v[218:219]
	v_div_fixup_f64 v[210:211], v[210:211], v[228:229], v[226:227]
	v_fma_f64 v[212:213], v[226:227], v[210:211], v[228:229]
	v_div_scale_f64 v[218:219], null, v[212:213], v[212:213], 1.0
	v_rcp_f64_e32 v[220:221], v[218:219]
	v_fma_f64 v[222:223], -v[218:219], v[220:221], 1.0
	v_fma_f64 v[220:221], v[220:221], v[222:223], v[220:221]
	v_fma_f64 v[222:223], -v[218:219], v[220:221], 1.0
	v_fma_f64 v[220:221], v[220:221], v[222:223], v[220:221]
	v_div_scale_f64 v[222:223], vcc_lo, 1.0, v[212:213], 1.0
	v_mul_f64 v[224:225], v[222:223], v[220:221]
	v_fma_f64 v[218:219], -v[218:219], v[224:225], v[222:223]
	v_div_fmas_f64 v[218:219], v[218:219], v[220:221], v[224:225]
	v_div_fixup_f64 v[228:229], v[218:219], v[212:213], 1.0
	v_mul_f64 v[226:227], v[210:211], v[228:229]
	v_xor_b32_e32 v229, 0x80000000, v229
.LBB110_92:
	s_andn2_saveexec_b32 s1, s1
	s_cbranch_execz .LBB110_94
; %bb.93:
	v_div_scale_f64 v[210:211], null, v[226:227], v[226:227], v[228:229]
	v_div_scale_f64 v[220:221], vcc_lo, v[228:229], v[226:227], v[228:229]
	v_rcp_f64_e32 v[212:213], v[210:211]
	v_fma_f64 v[218:219], -v[210:211], v[212:213], 1.0
	v_fma_f64 v[212:213], v[212:213], v[218:219], v[212:213]
	v_fma_f64 v[218:219], -v[210:211], v[212:213], 1.0
	v_fma_f64 v[212:213], v[212:213], v[218:219], v[212:213]
	v_mul_f64 v[218:219], v[220:221], v[212:213]
	v_fma_f64 v[210:211], -v[210:211], v[218:219], v[220:221]
	v_div_fmas_f64 v[210:211], v[210:211], v[212:213], v[218:219]
	v_div_fixup_f64 v[210:211], v[210:211], v[226:227], v[228:229]
	v_fma_f64 v[212:213], v[228:229], v[210:211], v[226:227]
	v_div_scale_f64 v[218:219], null, v[212:213], v[212:213], 1.0
	v_rcp_f64_e32 v[220:221], v[218:219]
	v_fma_f64 v[222:223], -v[218:219], v[220:221], 1.0
	v_fma_f64 v[220:221], v[220:221], v[222:223], v[220:221]
	v_fma_f64 v[222:223], -v[218:219], v[220:221], 1.0
	v_fma_f64 v[220:221], v[220:221], v[222:223], v[220:221]
	v_div_scale_f64 v[222:223], vcc_lo, 1.0, v[212:213], 1.0
	v_mul_f64 v[224:225], v[222:223], v[220:221]
	v_fma_f64 v[218:219], -v[218:219], v[224:225], v[222:223]
	v_div_fmas_f64 v[218:219], v[218:219], v[220:221], v[224:225]
	v_div_fixup_f64 v[226:227], v[218:219], v[212:213], 1.0
	v_mul_f64 v[228:229], v[210:211], -v[226:227]
.LBB110_94:
	s_or_b32 exec_lo, exec_lo, s1
.LBB110_95:
	s_or_b32 exec_lo, exec_lo, s0
	s_mov_b32 s0, exec_lo
	v_cmpx_ne_u32_e64 v240, v234
	s_xor_b32 s0, exec_lo, s0
	s_cbranch_execz .LBB110_101
; %bb.96:
	s_mov_b32 s1, exec_lo
	v_cmpx_eq_u32_e32 4, v240
	s_cbranch_execz .LBB110_100
; %bb.97:
	v_cmp_ne_u32_e32 vcc_lo, 4, v234
	s_xor_b32 s7, s16, -1
	s_and_b32 s9, s7, vcc_lo
	s_and_saveexec_b32 s7, s9
	s_cbranch_execz .LBB110_99
; %bb.98:
	v_ashrrev_i32_e32 v235, 31, v234
	v_lshlrev_b64 v[210:211], 2, v[234:235]
	v_add_co_u32 v210, vcc_lo, v214, v210
	v_add_co_ci_u32_e64 v211, null, v215, v211, vcc_lo
	s_clause 0x1
	global_load_dword v0, v[210:211], off
	global_load_dword v212, v[214:215], off offset:16
	s_waitcnt vmcnt(1)
	global_store_dword v[214:215], v0, off offset:16
	s_waitcnt vmcnt(0)
	global_store_dword v[210:211], v212, off
.LBB110_99:
	s_or_b32 exec_lo, exec_lo, s7
	v_mov_b32_e32 v240, v234
	v_mov_b32_e32 v0, v234
.LBB110_100:
	s_or_b32 exec_lo, exec_lo, s1
.LBB110_101:
	s_andn2_saveexec_b32 s0, s0
	s_cbranch_execz .LBB110_103
; %bb.102:
	v_mov_b32_e32 v240, 4
	ds_write2_b64 v1, v[202:203], v[204:205] offset0:10 offset1:11
	ds_write2_b64 v1, v[198:199], v[200:201] offset0:12 offset1:13
	;; [unrolled: 1-line block ×51, first 2 shown]
.LBB110_103:
	s_or_b32 exec_lo, exec_lo, s0
	s_mov_b32 s0, exec_lo
	s_waitcnt lgkmcnt(0)
	s_waitcnt_vscnt null, 0x0
	s_barrier
	buffer_gl0_inv
	v_cmpx_lt_i32_e32 4, v240
	s_cbranch_execz .LBB110_105
; %bb.104:
	v_mul_f64 v[210:211], v[228:229], v[208:209]
	v_mul_f64 v[208:209], v[226:227], v[208:209]
	v_fma_f64 v[234:235], v[226:227], v[206:207], -v[210:211]
	v_fma_f64 v[208:209], v[228:229], v[206:207], v[208:209]
	ds_read2_b64 v[226:229], v1 offset0:10 offset1:11
	s_waitcnt lgkmcnt(0)
	v_mul_f64 v[206:207], v[228:229], v[208:209]
	v_mul_f64 v[210:211], v[226:227], v[208:209]
	v_fma_f64 v[206:207], v[226:227], v[234:235], -v[206:207]
	v_fma_f64 v[210:211], v[228:229], v[234:235], v[210:211]
	ds_read2_b64 v[226:229], v1 offset0:12 offset1:13
	v_add_f64 v[202:203], v[202:203], -v[206:207]
	v_add_f64 v[204:205], v[204:205], -v[210:211]
	s_waitcnt lgkmcnt(0)
	v_mul_f64 v[206:207], v[228:229], v[208:209]
	v_mul_f64 v[210:211], v[226:227], v[208:209]
	v_fma_f64 v[206:207], v[226:227], v[234:235], -v[206:207]
	v_fma_f64 v[210:211], v[228:229], v[234:235], v[210:211]
	ds_read2_b64 v[226:229], v1 offset0:14 offset1:15
	v_add_f64 v[198:199], v[198:199], -v[206:207]
	v_add_f64 v[200:201], v[200:201], -v[210:211]
	;; [unrolled: 8-line block ×50, first 2 shown]
	s_waitcnt lgkmcnt(0)
	v_mul_f64 v[206:207], v[228:229], v[208:209]
	v_mul_f64 v[210:211], v[226:227], v[208:209]
	v_fma_f64 v[206:207], v[226:227], v[234:235], -v[206:207]
	v_fma_f64 v[210:211], v[228:229], v[234:235], v[210:211]
	v_add_f64 v[230:231], v[230:231], -v[206:207]
	v_add_f64 v[232:233], v[232:233], -v[210:211]
	v_mov_b32_e32 v206, v234
	v_mov_b32_e32 v207, v235
.LBB110_105:
	s_or_b32 exec_lo, exec_lo, s0
	v_lshl_add_u32 v210, v240, 4, v1
	s_barrier
	buffer_gl0_inv
	v_mov_b32_e32 v234, 5
	ds_write2_b64 v210, v[202:203], v[204:205] offset1:1
	s_waitcnt lgkmcnt(0)
	s_barrier
	buffer_gl0_inv
	ds_read2_b64 v[226:229], v1 offset0:10 offset1:11
	s_cmp_lt_i32 s8, 7
	s_cbranch_scc1 .LBB110_108
; %bb.106:
	v_add3_u32 v235, v253, 0, 0x60
	v_mov_b32_e32 v234, 5
	s_mov_b32 s1, 6
	s_inst_prefetch 0x1
	.p2align	6
.LBB110_107:                            ; =>This Inner Loop Header: Depth=1
	s_waitcnt lgkmcnt(0)
	v_cmp_gt_f64_e32 vcc_lo, 0, v[228:229]
	v_cmp_gt_f64_e64 s0, 0, v[226:227]
	ds_read2_b64 v[241:244], v235 offset1:1
	v_xor_b32_e32 v211, 0x80000000, v227
	v_xor_b32_e32 v213, 0x80000000, v229
	v_mov_b32_e32 v210, v226
	v_mov_b32_e32 v212, v228
	v_add_nc_u32_e32 v235, 16, v235
	s_waitcnt lgkmcnt(0)
	v_xor_b32_e32 v219, 0x80000000, v244
	v_cndmask_b32_e64 v211, v227, v211, s0
	v_cndmask_b32_e32 v213, v229, v213, vcc_lo
	v_cmp_gt_f64_e32 vcc_lo, 0, v[243:244]
	v_cmp_gt_f64_e64 s0, 0, v[241:242]
	v_mov_b32_e32 v218, v243
	v_add_f64 v[210:211], v[210:211], v[212:213]
	v_xor_b32_e32 v213, 0x80000000, v242
	v_mov_b32_e32 v212, v241
	v_cndmask_b32_e32 v219, v244, v219, vcc_lo
	v_cndmask_b32_e64 v213, v242, v213, s0
	v_add_f64 v[212:213], v[212:213], v[218:219]
	v_cmp_lt_f64_e32 vcc_lo, v[210:211], v[212:213]
	v_cndmask_b32_e32 v227, v227, v242, vcc_lo
	v_cndmask_b32_e32 v226, v226, v241, vcc_lo
	;; [unrolled: 1-line block ×4, first 2 shown]
	v_cndmask_b32_e64 v234, v234, s1, vcc_lo
	s_add_i32 s1, s1, 1
	s_cmp_lg_u32 s8, s1
	s_cbranch_scc1 .LBB110_107
.LBB110_108:
	s_inst_prefetch 0x2
	s_waitcnt lgkmcnt(0)
	v_cmp_eq_f64_e32 vcc_lo, 0, v[226:227]
	v_cmp_eq_f64_e64 s0, 0, v[228:229]
	s_and_b32 s0, vcc_lo, s0
	s_and_saveexec_b32 s1, s0
	s_xor_b32 s0, exec_lo, s1
; %bb.109:
	v_cmp_ne_u32_e32 vcc_lo, 0, v239
	v_cndmask_b32_e32 v239, 6, v239, vcc_lo
; %bb.110:
	s_andn2_saveexec_b32 s0, s0
	s_cbranch_execz .LBB110_116
; %bb.111:
	v_cmp_ngt_f64_e64 s1, |v[226:227]|, |v[228:229]|
	s_and_saveexec_b32 s7, s1
	s_xor_b32 s1, exec_lo, s7
	s_cbranch_execz .LBB110_113
; %bb.112:
	v_div_scale_f64 v[210:211], null, v[228:229], v[228:229], v[226:227]
	v_div_scale_f64 v[220:221], vcc_lo, v[226:227], v[228:229], v[226:227]
	v_rcp_f64_e32 v[212:213], v[210:211]
	v_fma_f64 v[218:219], -v[210:211], v[212:213], 1.0
	v_fma_f64 v[212:213], v[212:213], v[218:219], v[212:213]
	v_fma_f64 v[218:219], -v[210:211], v[212:213], 1.0
	v_fma_f64 v[212:213], v[212:213], v[218:219], v[212:213]
	v_mul_f64 v[218:219], v[220:221], v[212:213]
	v_fma_f64 v[210:211], -v[210:211], v[218:219], v[220:221]
	v_div_fmas_f64 v[210:211], v[210:211], v[212:213], v[218:219]
	v_div_fixup_f64 v[210:211], v[210:211], v[228:229], v[226:227]
	v_fma_f64 v[212:213], v[226:227], v[210:211], v[228:229]
	v_div_scale_f64 v[218:219], null, v[212:213], v[212:213], 1.0
	v_rcp_f64_e32 v[220:221], v[218:219]
	v_fma_f64 v[222:223], -v[218:219], v[220:221], 1.0
	v_fma_f64 v[220:221], v[220:221], v[222:223], v[220:221]
	v_fma_f64 v[222:223], -v[218:219], v[220:221], 1.0
	v_fma_f64 v[220:221], v[220:221], v[222:223], v[220:221]
	v_div_scale_f64 v[222:223], vcc_lo, 1.0, v[212:213], 1.0
	v_mul_f64 v[224:225], v[222:223], v[220:221]
	v_fma_f64 v[218:219], -v[218:219], v[224:225], v[222:223]
	v_div_fmas_f64 v[218:219], v[218:219], v[220:221], v[224:225]
	v_div_fixup_f64 v[228:229], v[218:219], v[212:213], 1.0
	v_mul_f64 v[226:227], v[210:211], v[228:229]
	v_xor_b32_e32 v229, 0x80000000, v229
.LBB110_113:
	s_andn2_saveexec_b32 s1, s1
	s_cbranch_execz .LBB110_115
; %bb.114:
	v_div_scale_f64 v[210:211], null, v[226:227], v[226:227], v[228:229]
	v_div_scale_f64 v[220:221], vcc_lo, v[228:229], v[226:227], v[228:229]
	v_rcp_f64_e32 v[212:213], v[210:211]
	v_fma_f64 v[218:219], -v[210:211], v[212:213], 1.0
	v_fma_f64 v[212:213], v[212:213], v[218:219], v[212:213]
	v_fma_f64 v[218:219], -v[210:211], v[212:213], 1.0
	v_fma_f64 v[212:213], v[212:213], v[218:219], v[212:213]
	v_mul_f64 v[218:219], v[220:221], v[212:213]
	v_fma_f64 v[210:211], -v[210:211], v[218:219], v[220:221]
	v_div_fmas_f64 v[210:211], v[210:211], v[212:213], v[218:219]
	v_div_fixup_f64 v[210:211], v[210:211], v[226:227], v[228:229]
	v_fma_f64 v[212:213], v[228:229], v[210:211], v[226:227]
	v_div_scale_f64 v[218:219], null, v[212:213], v[212:213], 1.0
	v_rcp_f64_e32 v[220:221], v[218:219]
	v_fma_f64 v[222:223], -v[218:219], v[220:221], 1.0
	v_fma_f64 v[220:221], v[220:221], v[222:223], v[220:221]
	v_fma_f64 v[222:223], -v[218:219], v[220:221], 1.0
	v_fma_f64 v[220:221], v[220:221], v[222:223], v[220:221]
	v_div_scale_f64 v[222:223], vcc_lo, 1.0, v[212:213], 1.0
	v_mul_f64 v[224:225], v[222:223], v[220:221]
	v_fma_f64 v[218:219], -v[218:219], v[224:225], v[222:223]
	v_div_fmas_f64 v[218:219], v[218:219], v[220:221], v[224:225]
	v_div_fixup_f64 v[226:227], v[218:219], v[212:213], 1.0
	v_mul_f64 v[228:229], v[210:211], -v[226:227]
.LBB110_115:
	s_or_b32 exec_lo, exec_lo, s1
.LBB110_116:
	s_or_b32 exec_lo, exec_lo, s0
	s_mov_b32 s0, exec_lo
	v_cmpx_ne_u32_e64 v240, v234
	s_xor_b32 s0, exec_lo, s0
	s_cbranch_execz .LBB110_122
; %bb.117:
	s_mov_b32 s1, exec_lo
	v_cmpx_eq_u32_e32 5, v240
	s_cbranch_execz .LBB110_121
; %bb.118:
	v_cmp_ne_u32_e32 vcc_lo, 5, v234
	s_xor_b32 s7, s16, -1
	s_and_b32 s9, s7, vcc_lo
	s_and_saveexec_b32 s7, s9
	s_cbranch_execz .LBB110_120
; %bb.119:
	v_ashrrev_i32_e32 v235, 31, v234
	v_lshlrev_b64 v[210:211], 2, v[234:235]
	v_add_co_u32 v210, vcc_lo, v214, v210
	v_add_co_ci_u32_e64 v211, null, v215, v211, vcc_lo
	s_clause 0x1
	global_load_dword v0, v[210:211], off
	global_load_dword v212, v[214:215], off offset:20
	s_waitcnt vmcnt(1)
	global_store_dword v[214:215], v0, off offset:20
	s_waitcnt vmcnt(0)
	global_store_dword v[210:211], v212, off
.LBB110_120:
	s_or_b32 exec_lo, exec_lo, s7
	v_mov_b32_e32 v240, v234
	v_mov_b32_e32 v0, v234
.LBB110_121:
	s_or_b32 exec_lo, exec_lo, s1
.LBB110_122:
	s_andn2_saveexec_b32 s0, s0
	s_cbranch_execz .LBB110_124
; %bb.123:
	v_mov_b32_e32 v240, 5
	ds_write2_b64 v1, v[198:199], v[200:201] offset0:12 offset1:13
	ds_write2_b64 v1, v[194:195], v[196:197] offset0:14 offset1:15
	;; [unrolled: 1-line block ×50, first 2 shown]
.LBB110_124:
	s_or_b32 exec_lo, exec_lo, s0
	s_mov_b32 s0, exec_lo
	s_waitcnt lgkmcnt(0)
	s_waitcnt_vscnt null, 0x0
	s_barrier
	buffer_gl0_inv
	v_cmpx_lt_i32_e32 5, v240
	s_cbranch_execz .LBB110_126
; %bb.125:
	v_mul_f64 v[210:211], v[228:229], v[204:205]
	v_mul_f64 v[204:205], v[226:227], v[204:205]
	v_fma_f64 v[234:235], v[226:227], v[202:203], -v[210:211]
	v_fma_f64 v[204:205], v[228:229], v[202:203], v[204:205]
	ds_read2_b64 v[226:229], v1 offset0:12 offset1:13
	s_waitcnt lgkmcnt(0)
	v_mul_f64 v[202:203], v[228:229], v[204:205]
	v_mul_f64 v[210:211], v[226:227], v[204:205]
	v_fma_f64 v[202:203], v[226:227], v[234:235], -v[202:203]
	v_fma_f64 v[210:211], v[228:229], v[234:235], v[210:211]
	ds_read2_b64 v[226:229], v1 offset0:14 offset1:15
	v_add_f64 v[198:199], v[198:199], -v[202:203]
	v_add_f64 v[200:201], v[200:201], -v[210:211]
	s_waitcnt lgkmcnt(0)
	v_mul_f64 v[202:203], v[228:229], v[204:205]
	v_mul_f64 v[210:211], v[226:227], v[204:205]
	v_fma_f64 v[202:203], v[226:227], v[234:235], -v[202:203]
	v_fma_f64 v[210:211], v[228:229], v[234:235], v[210:211]
	ds_read2_b64 v[226:229], v1 offset0:16 offset1:17
	v_add_f64 v[194:195], v[194:195], -v[202:203]
	v_add_f64 v[196:197], v[196:197], -v[210:211]
	;; [unrolled: 8-line block ×49, first 2 shown]
	s_waitcnt lgkmcnt(0)
	v_mul_f64 v[202:203], v[228:229], v[204:205]
	v_mul_f64 v[210:211], v[226:227], v[204:205]
	v_fma_f64 v[202:203], v[226:227], v[234:235], -v[202:203]
	v_fma_f64 v[210:211], v[228:229], v[234:235], v[210:211]
	v_add_f64 v[230:231], v[230:231], -v[202:203]
	v_add_f64 v[232:233], v[232:233], -v[210:211]
	v_mov_b32_e32 v202, v234
	v_mov_b32_e32 v203, v235
.LBB110_126:
	s_or_b32 exec_lo, exec_lo, s0
	v_lshl_add_u32 v210, v240, 4, v1
	s_barrier
	buffer_gl0_inv
	v_mov_b32_e32 v234, 6
	ds_write2_b64 v210, v[198:199], v[200:201] offset1:1
	s_waitcnt lgkmcnt(0)
	s_barrier
	buffer_gl0_inv
	ds_read2_b64 v[226:229], v1 offset0:12 offset1:13
	s_cmp_lt_i32 s8, 8
	s_cbranch_scc1 .LBB110_129
; %bb.127:
	v_add3_u32 v235, v253, 0, 0x70
	v_mov_b32_e32 v234, 6
	s_mov_b32 s1, 7
	s_inst_prefetch 0x1
	.p2align	6
.LBB110_128:                            ; =>This Inner Loop Header: Depth=1
	s_waitcnt lgkmcnt(0)
	v_cmp_gt_f64_e32 vcc_lo, 0, v[228:229]
	v_cmp_gt_f64_e64 s0, 0, v[226:227]
	ds_read2_b64 v[241:244], v235 offset1:1
	v_xor_b32_e32 v211, 0x80000000, v227
	v_xor_b32_e32 v213, 0x80000000, v229
	v_mov_b32_e32 v210, v226
	v_mov_b32_e32 v212, v228
	v_add_nc_u32_e32 v235, 16, v235
	s_waitcnt lgkmcnt(0)
	v_xor_b32_e32 v219, 0x80000000, v244
	v_cndmask_b32_e64 v211, v227, v211, s0
	v_cndmask_b32_e32 v213, v229, v213, vcc_lo
	v_cmp_gt_f64_e32 vcc_lo, 0, v[243:244]
	v_cmp_gt_f64_e64 s0, 0, v[241:242]
	v_mov_b32_e32 v218, v243
	v_add_f64 v[210:211], v[210:211], v[212:213]
	v_xor_b32_e32 v213, 0x80000000, v242
	v_mov_b32_e32 v212, v241
	v_cndmask_b32_e32 v219, v244, v219, vcc_lo
	v_cndmask_b32_e64 v213, v242, v213, s0
	v_add_f64 v[212:213], v[212:213], v[218:219]
	v_cmp_lt_f64_e32 vcc_lo, v[210:211], v[212:213]
	v_cndmask_b32_e32 v227, v227, v242, vcc_lo
	v_cndmask_b32_e32 v226, v226, v241, vcc_lo
	;; [unrolled: 1-line block ×4, first 2 shown]
	v_cndmask_b32_e64 v234, v234, s1, vcc_lo
	s_add_i32 s1, s1, 1
	s_cmp_lg_u32 s8, s1
	s_cbranch_scc1 .LBB110_128
.LBB110_129:
	s_inst_prefetch 0x2
	s_waitcnt lgkmcnt(0)
	v_cmp_eq_f64_e32 vcc_lo, 0, v[226:227]
	v_cmp_eq_f64_e64 s0, 0, v[228:229]
	s_and_b32 s0, vcc_lo, s0
	s_and_saveexec_b32 s1, s0
	s_xor_b32 s0, exec_lo, s1
; %bb.130:
	v_cmp_ne_u32_e32 vcc_lo, 0, v239
	v_cndmask_b32_e32 v239, 7, v239, vcc_lo
; %bb.131:
	s_andn2_saveexec_b32 s0, s0
	s_cbranch_execz .LBB110_137
; %bb.132:
	v_cmp_ngt_f64_e64 s1, |v[226:227]|, |v[228:229]|
	s_and_saveexec_b32 s7, s1
	s_xor_b32 s1, exec_lo, s7
	s_cbranch_execz .LBB110_134
; %bb.133:
	v_div_scale_f64 v[210:211], null, v[228:229], v[228:229], v[226:227]
	v_div_scale_f64 v[220:221], vcc_lo, v[226:227], v[228:229], v[226:227]
	v_rcp_f64_e32 v[212:213], v[210:211]
	v_fma_f64 v[218:219], -v[210:211], v[212:213], 1.0
	v_fma_f64 v[212:213], v[212:213], v[218:219], v[212:213]
	v_fma_f64 v[218:219], -v[210:211], v[212:213], 1.0
	v_fma_f64 v[212:213], v[212:213], v[218:219], v[212:213]
	v_mul_f64 v[218:219], v[220:221], v[212:213]
	v_fma_f64 v[210:211], -v[210:211], v[218:219], v[220:221]
	v_div_fmas_f64 v[210:211], v[210:211], v[212:213], v[218:219]
	v_div_fixup_f64 v[210:211], v[210:211], v[228:229], v[226:227]
	v_fma_f64 v[212:213], v[226:227], v[210:211], v[228:229]
	v_div_scale_f64 v[218:219], null, v[212:213], v[212:213], 1.0
	v_rcp_f64_e32 v[220:221], v[218:219]
	v_fma_f64 v[222:223], -v[218:219], v[220:221], 1.0
	v_fma_f64 v[220:221], v[220:221], v[222:223], v[220:221]
	v_fma_f64 v[222:223], -v[218:219], v[220:221], 1.0
	v_fma_f64 v[220:221], v[220:221], v[222:223], v[220:221]
	v_div_scale_f64 v[222:223], vcc_lo, 1.0, v[212:213], 1.0
	v_mul_f64 v[224:225], v[222:223], v[220:221]
	v_fma_f64 v[218:219], -v[218:219], v[224:225], v[222:223]
	v_div_fmas_f64 v[218:219], v[218:219], v[220:221], v[224:225]
	v_div_fixup_f64 v[228:229], v[218:219], v[212:213], 1.0
	v_mul_f64 v[226:227], v[210:211], v[228:229]
	v_xor_b32_e32 v229, 0x80000000, v229
.LBB110_134:
	s_andn2_saveexec_b32 s1, s1
	s_cbranch_execz .LBB110_136
; %bb.135:
	v_div_scale_f64 v[210:211], null, v[226:227], v[226:227], v[228:229]
	v_div_scale_f64 v[220:221], vcc_lo, v[228:229], v[226:227], v[228:229]
	v_rcp_f64_e32 v[212:213], v[210:211]
	v_fma_f64 v[218:219], -v[210:211], v[212:213], 1.0
	v_fma_f64 v[212:213], v[212:213], v[218:219], v[212:213]
	v_fma_f64 v[218:219], -v[210:211], v[212:213], 1.0
	v_fma_f64 v[212:213], v[212:213], v[218:219], v[212:213]
	v_mul_f64 v[218:219], v[220:221], v[212:213]
	v_fma_f64 v[210:211], -v[210:211], v[218:219], v[220:221]
	v_div_fmas_f64 v[210:211], v[210:211], v[212:213], v[218:219]
	v_div_fixup_f64 v[210:211], v[210:211], v[226:227], v[228:229]
	v_fma_f64 v[212:213], v[228:229], v[210:211], v[226:227]
	v_div_scale_f64 v[218:219], null, v[212:213], v[212:213], 1.0
	v_rcp_f64_e32 v[220:221], v[218:219]
	v_fma_f64 v[222:223], -v[218:219], v[220:221], 1.0
	v_fma_f64 v[220:221], v[220:221], v[222:223], v[220:221]
	v_fma_f64 v[222:223], -v[218:219], v[220:221], 1.0
	v_fma_f64 v[220:221], v[220:221], v[222:223], v[220:221]
	v_div_scale_f64 v[222:223], vcc_lo, 1.0, v[212:213], 1.0
	v_mul_f64 v[224:225], v[222:223], v[220:221]
	v_fma_f64 v[218:219], -v[218:219], v[224:225], v[222:223]
	v_div_fmas_f64 v[218:219], v[218:219], v[220:221], v[224:225]
	v_div_fixup_f64 v[226:227], v[218:219], v[212:213], 1.0
	v_mul_f64 v[228:229], v[210:211], -v[226:227]
.LBB110_136:
	s_or_b32 exec_lo, exec_lo, s1
.LBB110_137:
	s_or_b32 exec_lo, exec_lo, s0
	s_mov_b32 s0, exec_lo
	v_cmpx_ne_u32_e64 v240, v234
	s_xor_b32 s0, exec_lo, s0
	s_cbranch_execz .LBB110_143
; %bb.138:
	s_mov_b32 s1, exec_lo
	v_cmpx_eq_u32_e32 6, v240
	s_cbranch_execz .LBB110_142
; %bb.139:
	v_cmp_ne_u32_e32 vcc_lo, 6, v234
	s_xor_b32 s7, s16, -1
	s_and_b32 s9, s7, vcc_lo
	s_and_saveexec_b32 s7, s9
	s_cbranch_execz .LBB110_141
; %bb.140:
	v_ashrrev_i32_e32 v235, 31, v234
	v_lshlrev_b64 v[210:211], 2, v[234:235]
	v_add_co_u32 v210, vcc_lo, v214, v210
	v_add_co_ci_u32_e64 v211, null, v215, v211, vcc_lo
	s_clause 0x1
	global_load_dword v0, v[210:211], off
	global_load_dword v212, v[214:215], off offset:24
	s_waitcnt vmcnt(1)
	global_store_dword v[214:215], v0, off offset:24
	s_waitcnt vmcnt(0)
	global_store_dword v[210:211], v212, off
.LBB110_141:
	s_or_b32 exec_lo, exec_lo, s7
	v_mov_b32_e32 v240, v234
	v_mov_b32_e32 v0, v234
.LBB110_142:
	s_or_b32 exec_lo, exec_lo, s1
.LBB110_143:
	s_andn2_saveexec_b32 s0, s0
	s_cbranch_execz .LBB110_145
; %bb.144:
	v_mov_b32_e32 v240, 6
	ds_write2_b64 v1, v[194:195], v[196:197] offset0:14 offset1:15
	ds_write2_b64 v1, v[190:191], v[192:193] offset0:16 offset1:17
	;; [unrolled: 1-line block ×49, first 2 shown]
.LBB110_145:
	s_or_b32 exec_lo, exec_lo, s0
	s_mov_b32 s0, exec_lo
	s_waitcnt lgkmcnt(0)
	s_waitcnt_vscnt null, 0x0
	s_barrier
	buffer_gl0_inv
	v_cmpx_lt_i32_e32 6, v240
	s_cbranch_execz .LBB110_147
; %bb.146:
	v_mul_f64 v[210:211], v[228:229], v[200:201]
	v_mul_f64 v[200:201], v[226:227], v[200:201]
	v_fma_f64 v[234:235], v[226:227], v[198:199], -v[210:211]
	v_fma_f64 v[200:201], v[228:229], v[198:199], v[200:201]
	ds_read2_b64 v[226:229], v1 offset0:14 offset1:15
	s_waitcnt lgkmcnt(0)
	v_mul_f64 v[198:199], v[228:229], v[200:201]
	v_mul_f64 v[210:211], v[226:227], v[200:201]
	v_fma_f64 v[198:199], v[226:227], v[234:235], -v[198:199]
	v_fma_f64 v[210:211], v[228:229], v[234:235], v[210:211]
	ds_read2_b64 v[226:229], v1 offset0:16 offset1:17
	v_add_f64 v[194:195], v[194:195], -v[198:199]
	v_add_f64 v[196:197], v[196:197], -v[210:211]
	s_waitcnt lgkmcnt(0)
	v_mul_f64 v[198:199], v[228:229], v[200:201]
	v_mul_f64 v[210:211], v[226:227], v[200:201]
	v_fma_f64 v[198:199], v[226:227], v[234:235], -v[198:199]
	v_fma_f64 v[210:211], v[228:229], v[234:235], v[210:211]
	ds_read2_b64 v[226:229], v1 offset0:18 offset1:19
	v_add_f64 v[190:191], v[190:191], -v[198:199]
	v_add_f64 v[192:193], v[192:193], -v[210:211]
	;; [unrolled: 8-line block ×48, first 2 shown]
	s_waitcnt lgkmcnt(0)
	v_mul_f64 v[198:199], v[228:229], v[200:201]
	v_mul_f64 v[210:211], v[226:227], v[200:201]
	v_fma_f64 v[198:199], v[226:227], v[234:235], -v[198:199]
	v_fma_f64 v[210:211], v[228:229], v[234:235], v[210:211]
	v_add_f64 v[230:231], v[230:231], -v[198:199]
	v_add_f64 v[232:233], v[232:233], -v[210:211]
	v_mov_b32_e32 v198, v234
	v_mov_b32_e32 v199, v235
.LBB110_147:
	s_or_b32 exec_lo, exec_lo, s0
	v_lshl_add_u32 v210, v240, 4, v1
	s_barrier
	buffer_gl0_inv
	v_mov_b32_e32 v234, 7
	ds_write2_b64 v210, v[194:195], v[196:197] offset1:1
	s_waitcnt lgkmcnt(0)
	s_barrier
	buffer_gl0_inv
	ds_read2_b64 v[226:229], v1 offset0:14 offset1:15
	s_cmp_lt_i32 s8, 9
	s_cbranch_scc1 .LBB110_150
; %bb.148:
	v_add3_u32 v235, v253, 0, 0x80
	v_mov_b32_e32 v234, 7
	s_mov_b32 s1, 8
	s_inst_prefetch 0x1
	.p2align	6
.LBB110_149:                            ; =>This Inner Loop Header: Depth=1
	s_waitcnt lgkmcnt(0)
	v_cmp_gt_f64_e32 vcc_lo, 0, v[228:229]
	v_cmp_gt_f64_e64 s0, 0, v[226:227]
	ds_read2_b64 v[241:244], v235 offset1:1
	v_xor_b32_e32 v211, 0x80000000, v227
	v_xor_b32_e32 v213, 0x80000000, v229
	v_mov_b32_e32 v210, v226
	v_mov_b32_e32 v212, v228
	v_add_nc_u32_e32 v235, 16, v235
	s_waitcnt lgkmcnt(0)
	v_xor_b32_e32 v219, 0x80000000, v244
	v_cndmask_b32_e64 v211, v227, v211, s0
	v_cndmask_b32_e32 v213, v229, v213, vcc_lo
	v_cmp_gt_f64_e32 vcc_lo, 0, v[243:244]
	v_cmp_gt_f64_e64 s0, 0, v[241:242]
	v_mov_b32_e32 v218, v243
	v_add_f64 v[210:211], v[210:211], v[212:213]
	v_xor_b32_e32 v213, 0x80000000, v242
	v_mov_b32_e32 v212, v241
	v_cndmask_b32_e32 v219, v244, v219, vcc_lo
	v_cndmask_b32_e64 v213, v242, v213, s0
	v_add_f64 v[212:213], v[212:213], v[218:219]
	v_cmp_lt_f64_e32 vcc_lo, v[210:211], v[212:213]
	v_cndmask_b32_e32 v227, v227, v242, vcc_lo
	v_cndmask_b32_e32 v226, v226, v241, vcc_lo
	;; [unrolled: 1-line block ×4, first 2 shown]
	v_cndmask_b32_e64 v234, v234, s1, vcc_lo
	s_add_i32 s1, s1, 1
	s_cmp_lg_u32 s8, s1
	s_cbranch_scc1 .LBB110_149
.LBB110_150:
	s_inst_prefetch 0x2
	s_waitcnt lgkmcnt(0)
	v_cmp_eq_f64_e32 vcc_lo, 0, v[226:227]
	v_cmp_eq_f64_e64 s0, 0, v[228:229]
	s_and_b32 s0, vcc_lo, s0
	s_and_saveexec_b32 s1, s0
	s_xor_b32 s0, exec_lo, s1
; %bb.151:
	v_cmp_ne_u32_e32 vcc_lo, 0, v239
	v_cndmask_b32_e32 v239, 8, v239, vcc_lo
; %bb.152:
	s_andn2_saveexec_b32 s0, s0
	s_cbranch_execz .LBB110_158
; %bb.153:
	v_cmp_ngt_f64_e64 s1, |v[226:227]|, |v[228:229]|
	s_and_saveexec_b32 s7, s1
	s_xor_b32 s1, exec_lo, s7
	s_cbranch_execz .LBB110_155
; %bb.154:
	v_div_scale_f64 v[210:211], null, v[228:229], v[228:229], v[226:227]
	v_div_scale_f64 v[220:221], vcc_lo, v[226:227], v[228:229], v[226:227]
	v_rcp_f64_e32 v[212:213], v[210:211]
	v_fma_f64 v[218:219], -v[210:211], v[212:213], 1.0
	v_fma_f64 v[212:213], v[212:213], v[218:219], v[212:213]
	v_fma_f64 v[218:219], -v[210:211], v[212:213], 1.0
	v_fma_f64 v[212:213], v[212:213], v[218:219], v[212:213]
	v_mul_f64 v[218:219], v[220:221], v[212:213]
	v_fma_f64 v[210:211], -v[210:211], v[218:219], v[220:221]
	v_div_fmas_f64 v[210:211], v[210:211], v[212:213], v[218:219]
	v_div_fixup_f64 v[210:211], v[210:211], v[228:229], v[226:227]
	v_fma_f64 v[212:213], v[226:227], v[210:211], v[228:229]
	v_div_scale_f64 v[218:219], null, v[212:213], v[212:213], 1.0
	v_rcp_f64_e32 v[220:221], v[218:219]
	v_fma_f64 v[222:223], -v[218:219], v[220:221], 1.0
	v_fma_f64 v[220:221], v[220:221], v[222:223], v[220:221]
	v_fma_f64 v[222:223], -v[218:219], v[220:221], 1.0
	v_fma_f64 v[220:221], v[220:221], v[222:223], v[220:221]
	v_div_scale_f64 v[222:223], vcc_lo, 1.0, v[212:213], 1.0
	v_mul_f64 v[224:225], v[222:223], v[220:221]
	v_fma_f64 v[218:219], -v[218:219], v[224:225], v[222:223]
	v_div_fmas_f64 v[218:219], v[218:219], v[220:221], v[224:225]
	v_div_fixup_f64 v[228:229], v[218:219], v[212:213], 1.0
	v_mul_f64 v[226:227], v[210:211], v[228:229]
	v_xor_b32_e32 v229, 0x80000000, v229
.LBB110_155:
	s_andn2_saveexec_b32 s1, s1
	s_cbranch_execz .LBB110_157
; %bb.156:
	v_div_scale_f64 v[210:211], null, v[226:227], v[226:227], v[228:229]
	v_div_scale_f64 v[220:221], vcc_lo, v[228:229], v[226:227], v[228:229]
	v_rcp_f64_e32 v[212:213], v[210:211]
	v_fma_f64 v[218:219], -v[210:211], v[212:213], 1.0
	v_fma_f64 v[212:213], v[212:213], v[218:219], v[212:213]
	v_fma_f64 v[218:219], -v[210:211], v[212:213], 1.0
	v_fma_f64 v[212:213], v[212:213], v[218:219], v[212:213]
	v_mul_f64 v[218:219], v[220:221], v[212:213]
	v_fma_f64 v[210:211], -v[210:211], v[218:219], v[220:221]
	v_div_fmas_f64 v[210:211], v[210:211], v[212:213], v[218:219]
	v_div_fixup_f64 v[210:211], v[210:211], v[226:227], v[228:229]
	v_fma_f64 v[212:213], v[228:229], v[210:211], v[226:227]
	v_div_scale_f64 v[218:219], null, v[212:213], v[212:213], 1.0
	v_rcp_f64_e32 v[220:221], v[218:219]
	v_fma_f64 v[222:223], -v[218:219], v[220:221], 1.0
	v_fma_f64 v[220:221], v[220:221], v[222:223], v[220:221]
	v_fma_f64 v[222:223], -v[218:219], v[220:221], 1.0
	v_fma_f64 v[220:221], v[220:221], v[222:223], v[220:221]
	v_div_scale_f64 v[222:223], vcc_lo, 1.0, v[212:213], 1.0
	v_mul_f64 v[224:225], v[222:223], v[220:221]
	v_fma_f64 v[218:219], -v[218:219], v[224:225], v[222:223]
	v_div_fmas_f64 v[218:219], v[218:219], v[220:221], v[224:225]
	v_div_fixup_f64 v[226:227], v[218:219], v[212:213], 1.0
	v_mul_f64 v[228:229], v[210:211], -v[226:227]
.LBB110_157:
	s_or_b32 exec_lo, exec_lo, s1
.LBB110_158:
	s_or_b32 exec_lo, exec_lo, s0
	s_mov_b32 s0, exec_lo
	v_cmpx_ne_u32_e64 v240, v234
	s_xor_b32 s0, exec_lo, s0
	s_cbranch_execz .LBB110_164
; %bb.159:
	s_mov_b32 s1, exec_lo
	v_cmpx_eq_u32_e32 7, v240
	s_cbranch_execz .LBB110_163
; %bb.160:
	v_cmp_ne_u32_e32 vcc_lo, 7, v234
	s_xor_b32 s7, s16, -1
	s_and_b32 s9, s7, vcc_lo
	s_and_saveexec_b32 s7, s9
	s_cbranch_execz .LBB110_162
; %bb.161:
	v_ashrrev_i32_e32 v235, 31, v234
	v_lshlrev_b64 v[210:211], 2, v[234:235]
	v_add_co_u32 v210, vcc_lo, v214, v210
	v_add_co_ci_u32_e64 v211, null, v215, v211, vcc_lo
	s_clause 0x1
	global_load_dword v0, v[210:211], off
	global_load_dword v212, v[214:215], off offset:28
	s_waitcnt vmcnt(1)
	global_store_dword v[214:215], v0, off offset:28
	s_waitcnt vmcnt(0)
	global_store_dword v[210:211], v212, off
.LBB110_162:
	s_or_b32 exec_lo, exec_lo, s7
	v_mov_b32_e32 v240, v234
	v_mov_b32_e32 v0, v234
.LBB110_163:
	s_or_b32 exec_lo, exec_lo, s1
.LBB110_164:
	s_andn2_saveexec_b32 s0, s0
	s_cbranch_execz .LBB110_166
; %bb.165:
	v_mov_b32_e32 v240, 7
	ds_write2_b64 v1, v[190:191], v[192:193] offset0:16 offset1:17
	ds_write2_b64 v1, v[186:187], v[188:189] offset0:18 offset1:19
	;; [unrolled: 1-line block ×48, first 2 shown]
.LBB110_166:
	s_or_b32 exec_lo, exec_lo, s0
	s_mov_b32 s0, exec_lo
	s_waitcnt lgkmcnt(0)
	s_waitcnt_vscnt null, 0x0
	s_barrier
	buffer_gl0_inv
	v_cmpx_lt_i32_e32 7, v240
	s_cbranch_execz .LBB110_168
; %bb.167:
	v_mul_f64 v[210:211], v[228:229], v[196:197]
	v_mul_f64 v[196:197], v[226:227], v[196:197]
	v_fma_f64 v[234:235], v[226:227], v[194:195], -v[210:211]
	v_fma_f64 v[196:197], v[228:229], v[194:195], v[196:197]
	ds_read2_b64 v[226:229], v1 offset0:16 offset1:17
	s_waitcnt lgkmcnt(0)
	v_mul_f64 v[194:195], v[228:229], v[196:197]
	v_mul_f64 v[210:211], v[226:227], v[196:197]
	v_fma_f64 v[194:195], v[226:227], v[234:235], -v[194:195]
	v_fma_f64 v[210:211], v[228:229], v[234:235], v[210:211]
	ds_read2_b64 v[226:229], v1 offset0:18 offset1:19
	v_add_f64 v[190:191], v[190:191], -v[194:195]
	v_add_f64 v[192:193], v[192:193], -v[210:211]
	s_waitcnt lgkmcnt(0)
	v_mul_f64 v[194:195], v[228:229], v[196:197]
	v_mul_f64 v[210:211], v[226:227], v[196:197]
	v_fma_f64 v[194:195], v[226:227], v[234:235], -v[194:195]
	v_fma_f64 v[210:211], v[228:229], v[234:235], v[210:211]
	ds_read2_b64 v[226:229], v1 offset0:20 offset1:21
	v_add_f64 v[186:187], v[186:187], -v[194:195]
	v_add_f64 v[188:189], v[188:189], -v[210:211]
	;; [unrolled: 8-line block ×47, first 2 shown]
	s_waitcnt lgkmcnt(0)
	v_mul_f64 v[194:195], v[228:229], v[196:197]
	v_mul_f64 v[210:211], v[226:227], v[196:197]
	v_fma_f64 v[194:195], v[226:227], v[234:235], -v[194:195]
	v_fma_f64 v[210:211], v[228:229], v[234:235], v[210:211]
	v_add_f64 v[230:231], v[230:231], -v[194:195]
	v_add_f64 v[232:233], v[232:233], -v[210:211]
	v_mov_b32_e32 v194, v234
	v_mov_b32_e32 v195, v235
.LBB110_168:
	s_or_b32 exec_lo, exec_lo, s0
	v_lshl_add_u32 v210, v240, 4, v1
	s_barrier
	buffer_gl0_inv
	v_mov_b32_e32 v234, 8
	ds_write2_b64 v210, v[190:191], v[192:193] offset1:1
	s_waitcnt lgkmcnt(0)
	s_barrier
	buffer_gl0_inv
	ds_read2_b64 v[226:229], v1 offset0:16 offset1:17
	s_cmp_lt_i32 s8, 10
	s_cbranch_scc1 .LBB110_171
; %bb.169:
	v_add3_u32 v235, v253, 0, 0x90
	v_mov_b32_e32 v234, 8
	s_mov_b32 s1, 9
	s_inst_prefetch 0x1
	.p2align	6
.LBB110_170:                            ; =>This Inner Loop Header: Depth=1
	s_waitcnt lgkmcnt(0)
	v_cmp_gt_f64_e32 vcc_lo, 0, v[228:229]
	v_cmp_gt_f64_e64 s0, 0, v[226:227]
	ds_read2_b64 v[241:244], v235 offset1:1
	v_xor_b32_e32 v211, 0x80000000, v227
	v_xor_b32_e32 v213, 0x80000000, v229
	v_mov_b32_e32 v210, v226
	v_mov_b32_e32 v212, v228
	v_add_nc_u32_e32 v235, 16, v235
	s_waitcnt lgkmcnt(0)
	v_xor_b32_e32 v219, 0x80000000, v244
	v_cndmask_b32_e64 v211, v227, v211, s0
	v_cndmask_b32_e32 v213, v229, v213, vcc_lo
	v_cmp_gt_f64_e32 vcc_lo, 0, v[243:244]
	v_cmp_gt_f64_e64 s0, 0, v[241:242]
	v_mov_b32_e32 v218, v243
	v_add_f64 v[210:211], v[210:211], v[212:213]
	v_xor_b32_e32 v213, 0x80000000, v242
	v_mov_b32_e32 v212, v241
	v_cndmask_b32_e32 v219, v244, v219, vcc_lo
	v_cndmask_b32_e64 v213, v242, v213, s0
	v_add_f64 v[212:213], v[212:213], v[218:219]
	v_cmp_lt_f64_e32 vcc_lo, v[210:211], v[212:213]
	v_cndmask_b32_e32 v227, v227, v242, vcc_lo
	v_cndmask_b32_e32 v226, v226, v241, vcc_lo
	;; [unrolled: 1-line block ×4, first 2 shown]
	v_cndmask_b32_e64 v234, v234, s1, vcc_lo
	s_add_i32 s1, s1, 1
	s_cmp_lg_u32 s8, s1
	s_cbranch_scc1 .LBB110_170
.LBB110_171:
	s_inst_prefetch 0x2
	s_waitcnt lgkmcnt(0)
	v_cmp_eq_f64_e32 vcc_lo, 0, v[226:227]
	v_cmp_eq_f64_e64 s0, 0, v[228:229]
	s_and_b32 s0, vcc_lo, s0
	s_and_saveexec_b32 s1, s0
	s_xor_b32 s0, exec_lo, s1
; %bb.172:
	v_cmp_ne_u32_e32 vcc_lo, 0, v239
	v_cndmask_b32_e32 v239, 9, v239, vcc_lo
; %bb.173:
	s_andn2_saveexec_b32 s0, s0
	s_cbranch_execz .LBB110_179
; %bb.174:
	v_cmp_ngt_f64_e64 s1, |v[226:227]|, |v[228:229]|
	s_and_saveexec_b32 s7, s1
	s_xor_b32 s1, exec_lo, s7
	s_cbranch_execz .LBB110_176
; %bb.175:
	v_div_scale_f64 v[210:211], null, v[228:229], v[228:229], v[226:227]
	v_div_scale_f64 v[220:221], vcc_lo, v[226:227], v[228:229], v[226:227]
	v_rcp_f64_e32 v[212:213], v[210:211]
	v_fma_f64 v[218:219], -v[210:211], v[212:213], 1.0
	v_fma_f64 v[212:213], v[212:213], v[218:219], v[212:213]
	v_fma_f64 v[218:219], -v[210:211], v[212:213], 1.0
	v_fma_f64 v[212:213], v[212:213], v[218:219], v[212:213]
	v_mul_f64 v[218:219], v[220:221], v[212:213]
	v_fma_f64 v[210:211], -v[210:211], v[218:219], v[220:221]
	v_div_fmas_f64 v[210:211], v[210:211], v[212:213], v[218:219]
	v_div_fixup_f64 v[210:211], v[210:211], v[228:229], v[226:227]
	v_fma_f64 v[212:213], v[226:227], v[210:211], v[228:229]
	v_div_scale_f64 v[218:219], null, v[212:213], v[212:213], 1.0
	v_rcp_f64_e32 v[220:221], v[218:219]
	v_fma_f64 v[222:223], -v[218:219], v[220:221], 1.0
	v_fma_f64 v[220:221], v[220:221], v[222:223], v[220:221]
	v_fma_f64 v[222:223], -v[218:219], v[220:221], 1.0
	v_fma_f64 v[220:221], v[220:221], v[222:223], v[220:221]
	v_div_scale_f64 v[222:223], vcc_lo, 1.0, v[212:213], 1.0
	v_mul_f64 v[224:225], v[222:223], v[220:221]
	v_fma_f64 v[218:219], -v[218:219], v[224:225], v[222:223]
	v_div_fmas_f64 v[218:219], v[218:219], v[220:221], v[224:225]
	v_div_fixup_f64 v[228:229], v[218:219], v[212:213], 1.0
	v_mul_f64 v[226:227], v[210:211], v[228:229]
	v_xor_b32_e32 v229, 0x80000000, v229
.LBB110_176:
	s_andn2_saveexec_b32 s1, s1
	s_cbranch_execz .LBB110_178
; %bb.177:
	v_div_scale_f64 v[210:211], null, v[226:227], v[226:227], v[228:229]
	v_div_scale_f64 v[220:221], vcc_lo, v[228:229], v[226:227], v[228:229]
	v_rcp_f64_e32 v[212:213], v[210:211]
	v_fma_f64 v[218:219], -v[210:211], v[212:213], 1.0
	v_fma_f64 v[212:213], v[212:213], v[218:219], v[212:213]
	v_fma_f64 v[218:219], -v[210:211], v[212:213], 1.0
	v_fma_f64 v[212:213], v[212:213], v[218:219], v[212:213]
	v_mul_f64 v[218:219], v[220:221], v[212:213]
	v_fma_f64 v[210:211], -v[210:211], v[218:219], v[220:221]
	v_div_fmas_f64 v[210:211], v[210:211], v[212:213], v[218:219]
	v_div_fixup_f64 v[210:211], v[210:211], v[226:227], v[228:229]
	v_fma_f64 v[212:213], v[228:229], v[210:211], v[226:227]
	v_div_scale_f64 v[218:219], null, v[212:213], v[212:213], 1.0
	v_rcp_f64_e32 v[220:221], v[218:219]
	v_fma_f64 v[222:223], -v[218:219], v[220:221], 1.0
	v_fma_f64 v[220:221], v[220:221], v[222:223], v[220:221]
	v_fma_f64 v[222:223], -v[218:219], v[220:221], 1.0
	v_fma_f64 v[220:221], v[220:221], v[222:223], v[220:221]
	v_div_scale_f64 v[222:223], vcc_lo, 1.0, v[212:213], 1.0
	v_mul_f64 v[224:225], v[222:223], v[220:221]
	v_fma_f64 v[218:219], -v[218:219], v[224:225], v[222:223]
	v_div_fmas_f64 v[218:219], v[218:219], v[220:221], v[224:225]
	v_div_fixup_f64 v[226:227], v[218:219], v[212:213], 1.0
	v_mul_f64 v[228:229], v[210:211], -v[226:227]
.LBB110_178:
	s_or_b32 exec_lo, exec_lo, s1
.LBB110_179:
	s_or_b32 exec_lo, exec_lo, s0
	s_mov_b32 s0, exec_lo
	v_cmpx_ne_u32_e64 v240, v234
	s_xor_b32 s0, exec_lo, s0
	s_cbranch_execz .LBB110_185
; %bb.180:
	s_mov_b32 s1, exec_lo
	v_cmpx_eq_u32_e32 8, v240
	s_cbranch_execz .LBB110_184
; %bb.181:
	v_cmp_ne_u32_e32 vcc_lo, 8, v234
	s_xor_b32 s7, s16, -1
	s_and_b32 s9, s7, vcc_lo
	s_and_saveexec_b32 s7, s9
	s_cbranch_execz .LBB110_183
; %bb.182:
	v_ashrrev_i32_e32 v235, 31, v234
	v_lshlrev_b64 v[210:211], 2, v[234:235]
	v_add_co_u32 v210, vcc_lo, v214, v210
	v_add_co_ci_u32_e64 v211, null, v215, v211, vcc_lo
	s_clause 0x1
	global_load_dword v0, v[210:211], off
	global_load_dword v212, v[214:215], off offset:32
	s_waitcnt vmcnt(1)
	global_store_dword v[214:215], v0, off offset:32
	s_waitcnt vmcnt(0)
	global_store_dword v[210:211], v212, off
.LBB110_183:
	s_or_b32 exec_lo, exec_lo, s7
	v_mov_b32_e32 v240, v234
	v_mov_b32_e32 v0, v234
.LBB110_184:
	s_or_b32 exec_lo, exec_lo, s1
.LBB110_185:
	s_andn2_saveexec_b32 s0, s0
	s_cbranch_execz .LBB110_187
; %bb.186:
	v_mov_b32_e32 v240, 8
	ds_write2_b64 v1, v[186:187], v[188:189] offset0:18 offset1:19
	ds_write2_b64 v1, v[182:183], v[184:185] offset0:20 offset1:21
	;; [unrolled: 1-line block ×47, first 2 shown]
.LBB110_187:
	s_or_b32 exec_lo, exec_lo, s0
	s_mov_b32 s0, exec_lo
	s_waitcnt lgkmcnt(0)
	s_waitcnt_vscnt null, 0x0
	s_barrier
	buffer_gl0_inv
	v_cmpx_lt_i32_e32 8, v240
	s_cbranch_execz .LBB110_189
; %bb.188:
	v_mul_f64 v[210:211], v[228:229], v[192:193]
	v_mul_f64 v[192:193], v[226:227], v[192:193]
	v_fma_f64 v[234:235], v[226:227], v[190:191], -v[210:211]
	v_fma_f64 v[192:193], v[228:229], v[190:191], v[192:193]
	ds_read2_b64 v[226:229], v1 offset0:18 offset1:19
	s_waitcnt lgkmcnt(0)
	v_mul_f64 v[190:191], v[228:229], v[192:193]
	v_mul_f64 v[210:211], v[226:227], v[192:193]
	v_fma_f64 v[190:191], v[226:227], v[234:235], -v[190:191]
	v_fma_f64 v[210:211], v[228:229], v[234:235], v[210:211]
	ds_read2_b64 v[226:229], v1 offset0:20 offset1:21
	v_add_f64 v[186:187], v[186:187], -v[190:191]
	v_add_f64 v[188:189], v[188:189], -v[210:211]
	s_waitcnt lgkmcnt(0)
	v_mul_f64 v[190:191], v[228:229], v[192:193]
	v_mul_f64 v[210:211], v[226:227], v[192:193]
	v_fma_f64 v[190:191], v[226:227], v[234:235], -v[190:191]
	v_fma_f64 v[210:211], v[228:229], v[234:235], v[210:211]
	ds_read2_b64 v[226:229], v1 offset0:22 offset1:23
	v_add_f64 v[182:183], v[182:183], -v[190:191]
	v_add_f64 v[184:185], v[184:185], -v[210:211]
	;; [unrolled: 8-line block ×46, first 2 shown]
	s_waitcnt lgkmcnt(0)
	v_mul_f64 v[190:191], v[228:229], v[192:193]
	v_mul_f64 v[210:211], v[226:227], v[192:193]
	v_fma_f64 v[190:191], v[226:227], v[234:235], -v[190:191]
	v_fma_f64 v[210:211], v[228:229], v[234:235], v[210:211]
	v_add_f64 v[230:231], v[230:231], -v[190:191]
	v_add_f64 v[232:233], v[232:233], -v[210:211]
	v_mov_b32_e32 v190, v234
	v_mov_b32_e32 v191, v235
.LBB110_189:
	s_or_b32 exec_lo, exec_lo, s0
	v_lshl_add_u32 v210, v240, 4, v1
	s_barrier
	buffer_gl0_inv
	v_mov_b32_e32 v234, 9
	ds_write2_b64 v210, v[186:187], v[188:189] offset1:1
	s_waitcnt lgkmcnt(0)
	s_barrier
	buffer_gl0_inv
	ds_read2_b64 v[226:229], v1 offset0:18 offset1:19
	s_cmp_lt_i32 s8, 11
	s_cbranch_scc1 .LBB110_192
; %bb.190:
	v_add3_u32 v235, v253, 0, 0xa0
	v_mov_b32_e32 v234, 9
	s_mov_b32 s1, 10
	s_inst_prefetch 0x1
	.p2align	6
.LBB110_191:                            ; =>This Inner Loop Header: Depth=1
	s_waitcnt lgkmcnt(0)
	v_cmp_gt_f64_e32 vcc_lo, 0, v[228:229]
	v_cmp_gt_f64_e64 s0, 0, v[226:227]
	ds_read2_b64 v[241:244], v235 offset1:1
	v_xor_b32_e32 v211, 0x80000000, v227
	v_xor_b32_e32 v213, 0x80000000, v229
	v_mov_b32_e32 v210, v226
	v_mov_b32_e32 v212, v228
	v_add_nc_u32_e32 v235, 16, v235
	s_waitcnt lgkmcnt(0)
	v_xor_b32_e32 v219, 0x80000000, v244
	v_cndmask_b32_e64 v211, v227, v211, s0
	v_cndmask_b32_e32 v213, v229, v213, vcc_lo
	v_cmp_gt_f64_e32 vcc_lo, 0, v[243:244]
	v_cmp_gt_f64_e64 s0, 0, v[241:242]
	v_mov_b32_e32 v218, v243
	v_add_f64 v[210:211], v[210:211], v[212:213]
	v_xor_b32_e32 v213, 0x80000000, v242
	v_mov_b32_e32 v212, v241
	v_cndmask_b32_e32 v219, v244, v219, vcc_lo
	v_cndmask_b32_e64 v213, v242, v213, s0
	v_add_f64 v[212:213], v[212:213], v[218:219]
	v_cmp_lt_f64_e32 vcc_lo, v[210:211], v[212:213]
	v_cndmask_b32_e32 v227, v227, v242, vcc_lo
	v_cndmask_b32_e32 v226, v226, v241, vcc_lo
	;; [unrolled: 1-line block ×4, first 2 shown]
	v_cndmask_b32_e64 v234, v234, s1, vcc_lo
	s_add_i32 s1, s1, 1
	s_cmp_lg_u32 s8, s1
	s_cbranch_scc1 .LBB110_191
.LBB110_192:
	s_inst_prefetch 0x2
	s_waitcnt lgkmcnt(0)
	v_cmp_eq_f64_e32 vcc_lo, 0, v[226:227]
	v_cmp_eq_f64_e64 s0, 0, v[228:229]
	s_and_b32 s0, vcc_lo, s0
	s_and_saveexec_b32 s1, s0
	s_xor_b32 s0, exec_lo, s1
; %bb.193:
	v_cmp_ne_u32_e32 vcc_lo, 0, v239
	v_cndmask_b32_e32 v239, 10, v239, vcc_lo
; %bb.194:
	s_andn2_saveexec_b32 s0, s0
	s_cbranch_execz .LBB110_200
; %bb.195:
	v_cmp_ngt_f64_e64 s1, |v[226:227]|, |v[228:229]|
	s_and_saveexec_b32 s7, s1
	s_xor_b32 s1, exec_lo, s7
	s_cbranch_execz .LBB110_197
; %bb.196:
	v_div_scale_f64 v[210:211], null, v[228:229], v[228:229], v[226:227]
	v_div_scale_f64 v[220:221], vcc_lo, v[226:227], v[228:229], v[226:227]
	v_rcp_f64_e32 v[212:213], v[210:211]
	v_fma_f64 v[218:219], -v[210:211], v[212:213], 1.0
	v_fma_f64 v[212:213], v[212:213], v[218:219], v[212:213]
	v_fma_f64 v[218:219], -v[210:211], v[212:213], 1.0
	v_fma_f64 v[212:213], v[212:213], v[218:219], v[212:213]
	v_mul_f64 v[218:219], v[220:221], v[212:213]
	v_fma_f64 v[210:211], -v[210:211], v[218:219], v[220:221]
	v_div_fmas_f64 v[210:211], v[210:211], v[212:213], v[218:219]
	v_div_fixup_f64 v[210:211], v[210:211], v[228:229], v[226:227]
	v_fma_f64 v[212:213], v[226:227], v[210:211], v[228:229]
	v_div_scale_f64 v[218:219], null, v[212:213], v[212:213], 1.0
	v_rcp_f64_e32 v[220:221], v[218:219]
	v_fma_f64 v[222:223], -v[218:219], v[220:221], 1.0
	v_fma_f64 v[220:221], v[220:221], v[222:223], v[220:221]
	v_fma_f64 v[222:223], -v[218:219], v[220:221], 1.0
	v_fma_f64 v[220:221], v[220:221], v[222:223], v[220:221]
	v_div_scale_f64 v[222:223], vcc_lo, 1.0, v[212:213], 1.0
	v_mul_f64 v[224:225], v[222:223], v[220:221]
	v_fma_f64 v[218:219], -v[218:219], v[224:225], v[222:223]
	v_div_fmas_f64 v[218:219], v[218:219], v[220:221], v[224:225]
	v_div_fixup_f64 v[228:229], v[218:219], v[212:213], 1.0
	v_mul_f64 v[226:227], v[210:211], v[228:229]
	v_xor_b32_e32 v229, 0x80000000, v229
.LBB110_197:
	s_andn2_saveexec_b32 s1, s1
	s_cbranch_execz .LBB110_199
; %bb.198:
	v_div_scale_f64 v[210:211], null, v[226:227], v[226:227], v[228:229]
	v_div_scale_f64 v[220:221], vcc_lo, v[228:229], v[226:227], v[228:229]
	v_rcp_f64_e32 v[212:213], v[210:211]
	v_fma_f64 v[218:219], -v[210:211], v[212:213], 1.0
	v_fma_f64 v[212:213], v[212:213], v[218:219], v[212:213]
	v_fma_f64 v[218:219], -v[210:211], v[212:213], 1.0
	v_fma_f64 v[212:213], v[212:213], v[218:219], v[212:213]
	v_mul_f64 v[218:219], v[220:221], v[212:213]
	v_fma_f64 v[210:211], -v[210:211], v[218:219], v[220:221]
	v_div_fmas_f64 v[210:211], v[210:211], v[212:213], v[218:219]
	v_div_fixup_f64 v[210:211], v[210:211], v[226:227], v[228:229]
	v_fma_f64 v[212:213], v[228:229], v[210:211], v[226:227]
	v_div_scale_f64 v[218:219], null, v[212:213], v[212:213], 1.0
	v_rcp_f64_e32 v[220:221], v[218:219]
	v_fma_f64 v[222:223], -v[218:219], v[220:221], 1.0
	v_fma_f64 v[220:221], v[220:221], v[222:223], v[220:221]
	v_fma_f64 v[222:223], -v[218:219], v[220:221], 1.0
	v_fma_f64 v[220:221], v[220:221], v[222:223], v[220:221]
	v_div_scale_f64 v[222:223], vcc_lo, 1.0, v[212:213], 1.0
	v_mul_f64 v[224:225], v[222:223], v[220:221]
	v_fma_f64 v[218:219], -v[218:219], v[224:225], v[222:223]
	v_div_fmas_f64 v[218:219], v[218:219], v[220:221], v[224:225]
	v_div_fixup_f64 v[226:227], v[218:219], v[212:213], 1.0
	v_mul_f64 v[228:229], v[210:211], -v[226:227]
.LBB110_199:
	s_or_b32 exec_lo, exec_lo, s1
.LBB110_200:
	s_or_b32 exec_lo, exec_lo, s0
	s_mov_b32 s0, exec_lo
	v_cmpx_ne_u32_e64 v240, v234
	s_xor_b32 s0, exec_lo, s0
	s_cbranch_execz .LBB110_206
; %bb.201:
	s_mov_b32 s1, exec_lo
	v_cmpx_eq_u32_e32 9, v240
	s_cbranch_execz .LBB110_205
; %bb.202:
	v_cmp_ne_u32_e32 vcc_lo, 9, v234
	s_xor_b32 s7, s16, -1
	s_and_b32 s9, s7, vcc_lo
	s_and_saveexec_b32 s7, s9
	s_cbranch_execz .LBB110_204
; %bb.203:
	v_ashrrev_i32_e32 v235, 31, v234
	v_lshlrev_b64 v[210:211], 2, v[234:235]
	v_add_co_u32 v210, vcc_lo, v214, v210
	v_add_co_ci_u32_e64 v211, null, v215, v211, vcc_lo
	s_clause 0x1
	global_load_dword v0, v[210:211], off
	global_load_dword v212, v[214:215], off offset:36
	s_waitcnt vmcnt(1)
	global_store_dword v[214:215], v0, off offset:36
	s_waitcnt vmcnt(0)
	global_store_dword v[210:211], v212, off
.LBB110_204:
	s_or_b32 exec_lo, exec_lo, s7
	v_mov_b32_e32 v240, v234
	v_mov_b32_e32 v0, v234
.LBB110_205:
	s_or_b32 exec_lo, exec_lo, s1
.LBB110_206:
	s_andn2_saveexec_b32 s0, s0
	s_cbranch_execz .LBB110_208
; %bb.207:
	v_mov_b32_e32 v240, 9
	ds_write2_b64 v1, v[182:183], v[184:185] offset0:20 offset1:21
	ds_write2_b64 v1, v[178:179], v[180:181] offset0:22 offset1:23
	;; [unrolled: 1-line block ×46, first 2 shown]
.LBB110_208:
	s_or_b32 exec_lo, exec_lo, s0
	s_mov_b32 s0, exec_lo
	s_waitcnt lgkmcnt(0)
	s_waitcnt_vscnt null, 0x0
	s_barrier
	buffer_gl0_inv
	v_cmpx_lt_i32_e32 9, v240
	s_cbranch_execz .LBB110_210
; %bb.209:
	v_mul_f64 v[210:211], v[228:229], v[188:189]
	v_mul_f64 v[188:189], v[226:227], v[188:189]
	v_fma_f64 v[234:235], v[226:227], v[186:187], -v[210:211]
	v_fma_f64 v[188:189], v[228:229], v[186:187], v[188:189]
	ds_read2_b64 v[226:229], v1 offset0:20 offset1:21
	s_waitcnt lgkmcnt(0)
	v_mul_f64 v[186:187], v[228:229], v[188:189]
	v_mul_f64 v[210:211], v[226:227], v[188:189]
	v_fma_f64 v[186:187], v[226:227], v[234:235], -v[186:187]
	v_fma_f64 v[210:211], v[228:229], v[234:235], v[210:211]
	ds_read2_b64 v[226:229], v1 offset0:22 offset1:23
	v_add_f64 v[182:183], v[182:183], -v[186:187]
	v_add_f64 v[184:185], v[184:185], -v[210:211]
	s_waitcnt lgkmcnt(0)
	v_mul_f64 v[186:187], v[228:229], v[188:189]
	v_mul_f64 v[210:211], v[226:227], v[188:189]
	v_fma_f64 v[186:187], v[226:227], v[234:235], -v[186:187]
	v_fma_f64 v[210:211], v[228:229], v[234:235], v[210:211]
	ds_read2_b64 v[226:229], v1 offset0:24 offset1:25
	v_add_f64 v[178:179], v[178:179], -v[186:187]
	v_add_f64 v[180:181], v[180:181], -v[210:211]
	;; [unrolled: 8-line block ×45, first 2 shown]
	s_waitcnt lgkmcnt(0)
	v_mul_f64 v[186:187], v[228:229], v[188:189]
	v_mul_f64 v[210:211], v[226:227], v[188:189]
	v_fma_f64 v[186:187], v[226:227], v[234:235], -v[186:187]
	v_fma_f64 v[210:211], v[228:229], v[234:235], v[210:211]
	v_add_f64 v[230:231], v[230:231], -v[186:187]
	v_add_f64 v[232:233], v[232:233], -v[210:211]
	v_mov_b32_e32 v186, v234
	v_mov_b32_e32 v187, v235
.LBB110_210:
	s_or_b32 exec_lo, exec_lo, s0
	v_lshl_add_u32 v210, v240, 4, v1
	s_barrier
	buffer_gl0_inv
	v_mov_b32_e32 v234, 10
	ds_write2_b64 v210, v[182:183], v[184:185] offset1:1
	s_waitcnt lgkmcnt(0)
	s_barrier
	buffer_gl0_inv
	ds_read2_b64 v[226:229], v1 offset0:20 offset1:21
	s_cmp_lt_i32 s8, 12
	s_cbranch_scc1 .LBB110_213
; %bb.211:
	v_add3_u32 v235, v253, 0, 0xb0
	v_mov_b32_e32 v234, 10
	s_mov_b32 s1, 11
	s_inst_prefetch 0x1
	.p2align	6
.LBB110_212:                            ; =>This Inner Loop Header: Depth=1
	s_waitcnt lgkmcnt(0)
	v_cmp_gt_f64_e32 vcc_lo, 0, v[228:229]
	v_cmp_gt_f64_e64 s0, 0, v[226:227]
	ds_read2_b64 v[241:244], v235 offset1:1
	v_xor_b32_e32 v211, 0x80000000, v227
	v_xor_b32_e32 v213, 0x80000000, v229
	v_mov_b32_e32 v210, v226
	v_mov_b32_e32 v212, v228
	v_add_nc_u32_e32 v235, 16, v235
	s_waitcnt lgkmcnt(0)
	v_xor_b32_e32 v219, 0x80000000, v244
	v_cndmask_b32_e64 v211, v227, v211, s0
	v_cndmask_b32_e32 v213, v229, v213, vcc_lo
	v_cmp_gt_f64_e32 vcc_lo, 0, v[243:244]
	v_cmp_gt_f64_e64 s0, 0, v[241:242]
	v_mov_b32_e32 v218, v243
	v_add_f64 v[210:211], v[210:211], v[212:213]
	v_xor_b32_e32 v213, 0x80000000, v242
	v_mov_b32_e32 v212, v241
	v_cndmask_b32_e32 v219, v244, v219, vcc_lo
	v_cndmask_b32_e64 v213, v242, v213, s0
	v_add_f64 v[212:213], v[212:213], v[218:219]
	v_cmp_lt_f64_e32 vcc_lo, v[210:211], v[212:213]
	v_cndmask_b32_e32 v227, v227, v242, vcc_lo
	v_cndmask_b32_e32 v226, v226, v241, vcc_lo
	;; [unrolled: 1-line block ×4, first 2 shown]
	v_cndmask_b32_e64 v234, v234, s1, vcc_lo
	s_add_i32 s1, s1, 1
	s_cmp_lg_u32 s8, s1
	s_cbranch_scc1 .LBB110_212
.LBB110_213:
	s_inst_prefetch 0x2
	s_waitcnt lgkmcnt(0)
	v_cmp_eq_f64_e32 vcc_lo, 0, v[226:227]
	v_cmp_eq_f64_e64 s0, 0, v[228:229]
	s_and_b32 s0, vcc_lo, s0
	s_and_saveexec_b32 s1, s0
	s_xor_b32 s0, exec_lo, s1
; %bb.214:
	v_cmp_ne_u32_e32 vcc_lo, 0, v239
	v_cndmask_b32_e32 v239, 11, v239, vcc_lo
; %bb.215:
	s_andn2_saveexec_b32 s0, s0
	s_cbranch_execz .LBB110_221
; %bb.216:
	v_cmp_ngt_f64_e64 s1, |v[226:227]|, |v[228:229]|
	s_and_saveexec_b32 s7, s1
	s_xor_b32 s1, exec_lo, s7
	s_cbranch_execz .LBB110_218
; %bb.217:
	v_div_scale_f64 v[210:211], null, v[228:229], v[228:229], v[226:227]
	v_div_scale_f64 v[220:221], vcc_lo, v[226:227], v[228:229], v[226:227]
	v_rcp_f64_e32 v[212:213], v[210:211]
	v_fma_f64 v[218:219], -v[210:211], v[212:213], 1.0
	v_fma_f64 v[212:213], v[212:213], v[218:219], v[212:213]
	v_fma_f64 v[218:219], -v[210:211], v[212:213], 1.0
	v_fma_f64 v[212:213], v[212:213], v[218:219], v[212:213]
	v_mul_f64 v[218:219], v[220:221], v[212:213]
	v_fma_f64 v[210:211], -v[210:211], v[218:219], v[220:221]
	v_div_fmas_f64 v[210:211], v[210:211], v[212:213], v[218:219]
	v_div_fixup_f64 v[210:211], v[210:211], v[228:229], v[226:227]
	v_fma_f64 v[212:213], v[226:227], v[210:211], v[228:229]
	v_div_scale_f64 v[218:219], null, v[212:213], v[212:213], 1.0
	v_rcp_f64_e32 v[220:221], v[218:219]
	v_fma_f64 v[222:223], -v[218:219], v[220:221], 1.0
	v_fma_f64 v[220:221], v[220:221], v[222:223], v[220:221]
	v_fma_f64 v[222:223], -v[218:219], v[220:221], 1.0
	v_fma_f64 v[220:221], v[220:221], v[222:223], v[220:221]
	v_div_scale_f64 v[222:223], vcc_lo, 1.0, v[212:213], 1.0
	v_mul_f64 v[224:225], v[222:223], v[220:221]
	v_fma_f64 v[218:219], -v[218:219], v[224:225], v[222:223]
	v_div_fmas_f64 v[218:219], v[218:219], v[220:221], v[224:225]
	v_div_fixup_f64 v[228:229], v[218:219], v[212:213], 1.0
	v_mul_f64 v[226:227], v[210:211], v[228:229]
	v_xor_b32_e32 v229, 0x80000000, v229
.LBB110_218:
	s_andn2_saveexec_b32 s1, s1
	s_cbranch_execz .LBB110_220
; %bb.219:
	v_div_scale_f64 v[210:211], null, v[226:227], v[226:227], v[228:229]
	v_div_scale_f64 v[220:221], vcc_lo, v[228:229], v[226:227], v[228:229]
	v_rcp_f64_e32 v[212:213], v[210:211]
	v_fma_f64 v[218:219], -v[210:211], v[212:213], 1.0
	v_fma_f64 v[212:213], v[212:213], v[218:219], v[212:213]
	v_fma_f64 v[218:219], -v[210:211], v[212:213], 1.0
	v_fma_f64 v[212:213], v[212:213], v[218:219], v[212:213]
	v_mul_f64 v[218:219], v[220:221], v[212:213]
	v_fma_f64 v[210:211], -v[210:211], v[218:219], v[220:221]
	v_div_fmas_f64 v[210:211], v[210:211], v[212:213], v[218:219]
	v_div_fixup_f64 v[210:211], v[210:211], v[226:227], v[228:229]
	v_fma_f64 v[212:213], v[228:229], v[210:211], v[226:227]
	v_div_scale_f64 v[218:219], null, v[212:213], v[212:213], 1.0
	v_rcp_f64_e32 v[220:221], v[218:219]
	v_fma_f64 v[222:223], -v[218:219], v[220:221], 1.0
	v_fma_f64 v[220:221], v[220:221], v[222:223], v[220:221]
	v_fma_f64 v[222:223], -v[218:219], v[220:221], 1.0
	v_fma_f64 v[220:221], v[220:221], v[222:223], v[220:221]
	v_div_scale_f64 v[222:223], vcc_lo, 1.0, v[212:213], 1.0
	v_mul_f64 v[224:225], v[222:223], v[220:221]
	v_fma_f64 v[218:219], -v[218:219], v[224:225], v[222:223]
	v_div_fmas_f64 v[218:219], v[218:219], v[220:221], v[224:225]
	v_div_fixup_f64 v[226:227], v[218:219], v[212:213], 1.0
	v_mul_f64 v[228:229], v[210:211], -v[226:227]
.LBB110_220:
	s_or_b32 exec_lo, exec_lo, s1
.LBB110_221:
	s_or_b32 exec_lo, exec_lo, s0
	s_mov_b32 s0, exec_lo
	v_cmpx_ne_u32_e64 v240, v234
	s_xor_b32 s0, exec_lo, s0
	s_cbranch_execz .LBB110_227
; %bb.222:
	s_mov_b32 s1, exec_lo
	v_cmpx_eq_u32_e32 10, v240
	s_cbranch_execz .LBB110_226
; %bb.223:
	v_cmp_ne_u32_e32 vcc_lo, 10, v234
	s_xor_b32 s7, s16, -1
	s_and_b32 s9, s7, vcc_lo
	s_and_saveexec_b32 s7, s9
	s_cbranch_execz .LBB110_225
; %bb.224:
	v_ashrrev_i32_e32 v235, 31, v234
	v_lshlrev_b64 v[210:211], 2, v[234:235]
	v_add_co_u32 v210, vcc_lo, v214, v210
	v_add_co_ci_u32_e64 v211, null, v215, v211, vcc_lo
	s_clause 0x1
	global_load_dword v0, v[210:211], off
	global_load_dword v212, v[214:215], off offset:40
	s_waitcnt vmcnt(1)
	global_store_dword v[214:215], v0, off offset:40
	s_waitcnt vmcnt(0)
	global_store_dword v[210:211], v212, off
.LBB110_225:
	s_or_b32 exec_lo, exec_lo, s7
	v_mov_b32_e32 v240, v234
	v_mov_b32_e32 v0, v234
.LBB110_226:
	s_or_b32 exec_lo, exec_lo, s1
.LBB110_227:
	s_andn2_saveexec_b32 s0, s0
	s_cbranch_execz .LBB110_229
; %bb.228:
	v_mov_b32_e32 v240, 10
	ds_write2_b64 v1, v[178:179], v[180:181] offset0:22 offset1:23
	ds_write2_b64 v1, v[174:175], v[176:177] offset0:24 offset1:25
	ds_write2_b64 v1, v[170:171], v[172:173] offset0:26 offset1:27
	ds_write2_b64 v1, v[166:167], v[168:169] offset0:28 offset1:29
	ds_write2_b64 v1, v[162:163], v[164:165] offset0:30 offset1:31
	ds_write2_b64 v1, v[158:159], v[160:161] offset0:32 offset1:33
	ds_write2_b64 v1, v[154:155], v[156:157] offset0:34 offset1:35
	ds_write2_b64 v1, v[150:151], v[152:153] offset0:36 offset1:37
	ds_write2_b64 v1, v[146:147], v[148:149] offset0:38 offset1:39
	ds_write2_b64 v1, v[142:143], v[144:145] offset0:40 offset1:41
	ds_write2_b64 v1, v[138:139], v[140:141] offset0:42 offset1:43
	ds_write2_b64 v1, v[134:135], v[136:137] offset0:44 offset1:45
	ds_write2_b64 v1, v[130:131], v[132:133] offset0:46 offset1:47
	ds_write2_b64 v1, v[126:127], v[128:129] offset0:48 offset1:49
	ds_write2_b64 v1, v[122:123], v[124:125] offset0:50 offset1:51
	ds_write2_b64 v1, v[118:119], v[120:121] offset0:52 offset1:53
	ds_write2_b64 v1, v[114:115], v[116:117] offset0:54 offset1:55
	ds_write2_b64 v1, v[110:111], v[112:113] offset0:56 offset1:57
	ds_write2_b64 v1, v[106:107], v[108:109] offset0:58 offset1:59
	ds_write2_b64 v1, v[102:103], v[104:105] offset0:60 offset1:61
	ds_write2_b64 v1, v[98:99], v[100:101] offset0:62 offset1:63
	ds_write2_b64 v1, v[94:95], v[96:97] offset0:64 offset1:65
	ds_write2_b64 v1, v[90:91], v[92:93] offset0:66 offset1:67
	ds_write2_b64 v1, v[86:87], v[88:89] offset0:68 offset1:69
	ds_write2_b64 v1, v[82:83], v[84:85] offset0:70 offset1:71
	ds_write2_b64 v1, v[78:79], v[80:81] offset0:72 offset1:73
	ds_write2_b64 v1, v[74:75], v[76:77] offset0:74 offset1:75
	ds_write2_b64 v1, v[70:71], v[72:73] offset0:76 offset1:77
	ds_write2_b64 v1, v[66:67], v[68:69] offset0:78 offset1:79
	ds_write2_b64 v1, v[62:63], v[64:65] offset0:80 offset1:81
	ds_write2_b64 v1, v[58:59], v[60:61] offset0:82 offset1:83
	ds_write2_b64 v1, v[54:55], v[56:57] offset0:84 offset1:85
	ds_write2_b64 v1, v[50:51], v[52:53] offset0:86 offset1:87
	ds_write2_b64 v1, v[46:47], v[48:49] offset0:88 offset1:89
	ds_write2_b64 v1, v[42:43], v[44:45] offset0:90 offset1:91
	ds_write2_b64 v1, v[38:39], v[40:41] offset0:92 offset1:93
	ds_write2_b64 v1, v[34:35], v[36:37] offset0:94 offset1:95
	ds_write2_b64 v1, v[30:31], v[32:33] offset0:96 offset1:97
	ds_write2_b64 v1, v[26:27], v[28:29] offset0:98 offset1:99
	ds_write2_b64 v1, v[22:23], v[24:25] offset0:100 offset1:101
	ds_write2_b64 v1, v[18:19], v[20:21] offset0:102 offset1:103
	ds_write2_b64 v1, v[14:15], v[16:17] offset0:104 offset1:105
	ds_write2_b64 v1, v[10:11], v[12:13] offset0:106 offset1:107
	ds_write2_b64 v1, v[249:250], v[251:252] offset0:108 offset1:109
	ds_write2_b64 v1, v[230:231], v[232:233] offset0:110 offset1:111
.LBB110_229:
	s_or_b32 exec_lo, exec_lo, s0
	s_mov_b32 s0, exec_lo
	s_waitcnt lgkmcnt(0)
	s_waitcnt_vscnt null, 0x0
	s_barrier
	buffer_gl0_inv
	v_cmpx_lt_i32_e32 10, v240
	s_cbranch_execz .LBB110_231
; %bb.230:
	v_mul_f64 v[210:211], v[228:229], v[184:185]
	v_mul_f64 v[184:185], v[226:227], v[184:185]
	v_fma_f64 v[234:235], v[226:227], v[182:183], -v[210:211]
	v_fma_f64 v[184:185], v[228:229], v[182:183], v[184:185]
	ds_read2_b64 v[226:229], v1 offset0:22 offset1:23
	s_waitcnt lgkmcnt(0)
	v_mul_f64 v[182:183], v[228:229], v[184:185]
	v_mul_f64 v[210:211], v[226:227], v[184:185]
	v_fma_f64 v[182:183], v[226:227], v[234:235], -v[182:183]
	v_fma_f64 v[210:211], v[228:229], v[234:235], v[210:211]
	ds_read2_b64 v[226:229], v1 offset0:24 offset1:25
	v_add_f64 v[178:179], v[178:179], -v[182:183]
	v_add_f64 v[180:181], v[180:181], -v[210:211]
	s_waitcnt lgkmcnt(0)
	v_mul_f64 v[182:183], v[228:229], v[184:185]
	v_mul_f64 v[210:211], v[226:227], v[184:185]
	v_fma_f64 v[182:183], v[226:227], v[234:235], -v[182:183]
	v_fma_f64 v[210:211], v[228:229], v[234:235], v[210:211]
	ds_read2_b64 v[226:229], v1 offset0:26 offset1:27
	v_add_f64 v[174:175], v[174:175], -v[182:183]
	v_add_f64 v[176:177], v[176:177], -v[210:211]
	;; [unrolled: 8-line block ×44, first 2 shown]
	s_waitcnt lgkmcnt(0)
	v_mul_f64 v[182:183], v[228:229], v[184:185]
	v_mul_f64 v[210:211], v[226:227], v[184:185]
	v_fma_f64 v[182:183], v[226:227], v[234:235], -v[182:183]
	v_fma_f64 v[210:211], v[228:229], v[234:235], v[210:211]
	v_add_f64 v[230:231], v[230:231], -v[182:183]
	v_add_f64 v[232:233], v[232:233], -v[210:211]
	v_mov_b32_e32 v182, v234
	v_mov_b32_e32 v183, v235
.LBB110_231:
	s_or_b32 exec_lo, exec_lo, s0
	v_lshl_add_u32 v210, v240, 4, v1
	s_barrier
	buffer_gl0_inv
	v_mov_b32_e32 v234, 11
	ds_write2_b64 v210, v[178:179], v[180:181] offset1:1
	s_waitcnt lgkmcnt(0)
	s_barrier
	buffer_gl0_inv
	ds_read2_b64 v[226:229], v1 offset0:22 offset1:23
	s_cmp_lt_i32 s8, 13
	s_cbranch_scc1 .LBB110_234
; %bb.232:
	v_add3_u32 v235, v253, 0, 0xc0
	v_mov_b32_e32 v234, 11
	s_mov_b32 s1, 12
	s_inst_prefetch 0x1
	.p2align	6
.LBB110_233:                            ; =>This Inner Loop Header: Depth=1
	s_waitcnt lgkmcnt(0)
	v_cmp_gt_f64_e32 vcc_lo, 0, v[228:229]
	v_cmp_gt_f64_e64 s0, 0, v[226:227]
	ds_read2_b64 v[241:244], v235 offset1:1
	v_xor_b32_e32 v211, 0x80000000, v227
	v_xor_b32_e32 v213, 0x80000000, v229
	v_mov_b32_e32 v210, v226
	v_mov_b32_e32 v212, v228
	v_add_nc_u32_e32 v235, 16, v235
	s_waitcnt lgkmcnt(0)
	v_xor_b32_e32 v219, 0x80000000, v244
	v_cndmask_b32_e64 v211, v227, v211, s0
	v_cndmask_b32_e32 v213, v229, v213, vcc_lo
	v_cmp_gt_f64_e32 vcc_lo, 0, v[243:244]
	v_cmp_gt_f64_e64 s0, 0, v[241:242]
	v_mov_b32_e32 v218, v243
	v_add_f64 v[210:211], v[210:211], v[212:213]
	v_xor_b32_e32 v213, 0x80000000, v242
	v_mov_b32_e32 v212, v241
	v_cndmask_b32_e32 v219, v244, v219, vcc_lo
	v_cndmask_b32_e64 v213, v242, v213, s0
	v_add_f64 v[212:213], v[212:213], v[218:219]
	v_cmp_lt_f64_e32 vcc_lo, v[210:211], v[212:213]
	v_cndmask_b32_e32 v227, v227, v242, vcc_lo
	v_cndmask_b32_e32 v226, v226, v241, vcc_lo
	;; [unrolled: 1-line block ×4, first 2 shown]
	v_cndmask_b32_e64 v234, v234, s1, vcc_lo
	s_add_i32 s1, s1, 1
	s_cmp_lg_u32 s8, s1
	s_cbranch_scc1 .LBB110_233
.LBB110_234:
	s_inst_prefetch 0x2
	s_waitcnt lgkmcnt(0)
	v_cmp_eq_f64_e32 vcc_lo, 0, v[226:227]
	v_cmp_eq_f64_e64 s0, 0, v[228:229]
	s_and_b32 s0, vcc_lo, s0
	s_and_saveexec_b32 s1, s0
	s_xor_b32 s0, exec_lo, s1
; %bb.235:
	v_cmp_ne_u32_e32 vcc_lo, 0, v239
	v_cndmask_b32_e32 v239, 12, v239, vcc_lo
; %bb.236:
	s_andn2_saveexec_b32 s0, s0
	s_cbranch_execz .LBB110_242
; %bb.237:
	v_cmp_ngt_f64_e64 s1, |v[226:227]|, |v[228:229]|
	s_and_saveexec_b32 s7, s1
	s_xor_b32 s1, exec_lo, s7
	s_cbranch_execz .LBB110_239
; %bb.238:
	v_div_scale_f64 v[210:211], null, v[228:229], v[228:229], v[226:227]
	v_div_scale_f64 v[220:221], vcc_lo, v[226:227], v[228:229], v[226:227]
	v_rcp_f64_e32 v[212:213], v[210:211]
	v_fma_f64 v[218:219], -v[210:211], v[212:213], 1.0
	v_fma_f64 v[212:213], v[212:213], v[218:219], v[212:213]
	v_fma_f64 v[218:219], -v[210:211], v[212:213], 1.0
	v_fma_f64 v[212:213], v[212:213], v[218:219], v[212:213]
	v_mul_f64 v[218:219], v[220:221], v[212:213]
	v_fma_f64 v[210:211], -v[210:211], v[218:219], v[220:221]
	v_div_fmas_f64 v[210:211], v[210:211], v[212:213], v[218:219]
	v_div_fixup_f64 v[210:211], v[210:211], v[228:229], v[226:227]
	v_fma_f64 v[212:213], v[226:227], v[210:211], v[228:229]
	v_div_scale_f64 v[218:219], null, v[212:213], v[212:213], 1.0
	v_rcp_f64_e32 v[220:221], v[218:219]
	v_fma_f64 v[222:223], -v[218:219], v[220:221], 1.0
	v_fma_f64 v[220:221], v[220:221], v[222:223], v[220:221]
	v_fma_f64 v[222:223], -v[218:219], v[220:221], 1.0
	v_fma_f64 v[220:221], v[220:221], v[222:223], v[220:221]
	v_div_scale_f64 v[222:223], vcc_lo, 1.0, v[212:213], 1.0
	v_mul_f64 v[224:225], v[222:223], v[220:221]
	v_fma_f64 v[218:219], -v[218:219], v[224:225], v[222:223]
	v_div_fmas_f64 v[218:219], v[218:219], v[220:221], v[224:225]
	v_div_fixup_f64 v[228:229], v[218:219], v[212:213], 1.0
	v_mul_f64 v[226:227], v[210:211], v[228:229]
	v_xor_b32_e32 v229, 0x80000000, v229
.LBB110_239:
	s_andn2_saveexec_b32 s1, s1
	s_cbranch_execz .LBB110_241
; %bb.240:
	v_div_scale_f64 v[210:211], null, v[226:227], v[226:227], v[228:229]
	v_div_scale_f64 v[220:221], vcc_lo, v[228:229], v[226:227], v[228:229]
	v_rcp_f64_e32 v[212:213], v[210:211]
	v_fma_f64 v[218:219], -v[210:211], v[212:213], 1.0
	v_fma_f64 v[212:213], v[212:213], v[218:219], v[212:213]
	v_fma_f64 v[218:219], -v[210:211], v[212:213], 1.0
	v_fma_f64 v[212:213], v[212:213], v[218:219], v[212:213]
	v_mul_f64 v[218:219], v[220:221], v[212:213]
	v_fma_f64 v[210:211], -v[210:211], v[218:219], v[220:221]
	v_div_fmas_f64 v[210:211], v[210:211], v[212:213], v[218:219]
	v_div_fixup_f64 v[210:211], v[210:211], v[226:227], v[228:229]
	v_fma_f64 v[212:213], v[228:229], v[210:211], v[226:227]
	v_div_scale_f64 v[218:219], null, v[212:213], v[212:213], 1.0
	v_rcp_f64_e32 v[220:221], v[218:219]
	v_fma_f64 v[222:223], -v[218:219], v[220:221], 1.0
	v_fma_f64 v[220:221], v[220:221], v[222:223], v[220:221]
	v_fma_f64 v[222:223], -v[218:219], v[220:221], 1.0
	v_fma_f64 v[220:221], v[220:221], v[222:223], v[220:221]
	v_div_scale_f64 v[222:223], vcc_lo, 1.0, v[212:213], 1.0
	v_mul_f64 v[224:225], v[222:223], v[220:221]
	v_fma_f64 v[218:219], -v[218:219], v[224:225], v[222:223]
	v_div_fmas_f64 v[218:219], v[218:219], v[220:221], v[224:225]
	v_div_fixup_f64 v[226:227], v[218:219], v[212:213], 1.0
	v_mul_f64 v[228:229], v[210:211], -v[226:227]
.LBB110_241:
	s_or_b32 exec_lo, exec_lo, s1
.LBB110_242:
	s_or_b32 exec_lo, exec_lo, s0
	s_mov_b32 s0, exec_lo
	v_cmpx_ne_u32_e64 v240, v234
	s_xor_b32 s0, exec_lo, s0
	s_cbranch_execz .LBB110_248
; %bb.243:
	s_mov_b32 s1, exec_lo
	v_cmpx_eq_u32_e32 11, v240
	s_cbranch_execz .LBB110_247
; %bb.244:
	v_cmp_ne_u32_e32 vcc_lo, 11, v234
	s_xor_b32 s7, s16, -1
	s_and_b32 s9, s7, vcc_lo
	s_and_saveexec_b32 s7, s9
	s_cbranch_execz .LBB110_246
; %bb.245:
	v_ashrrev_i32_e32 v235, 31, v234
	v_lshlrev_b64 v[210:211], 2, v[234:235]
	v_add_co_u32 v210, vcc_lo, v214, v210
	v_add_co_ci_u32_e64 v211, null, v215, v211, vcc_lo
	s_clause 0x1
	global_load_dword v0, v[210:211], off
	global_load_dword v212, v[214:215], off offset:44
	s_waitcnt vmcnt(1)
	global_store_dword v[214:215], v0, off offset:44
	s_waitcnt vmcnt(0)
	global_store_dword v[210:211], v212, off
.LBB110_246:
	s_or_b32 exec_lo, exec_lo, s7
	v_mov_b32_e32 v240, v234
	v_mov_b32_e32 v0, v234
.LBB110_247:
	s_or_b32 exec_lo, exec_lo, s1
.LBB110_248:
	s_andn2_saveexec_b32 s0, s0
	s_cbranch_execz .LBB110_250
; %bb.249:
	v_mov_b32_e32 v240, 11
	ds_write2_b64 v1, v[174:175], v[176:177] offset0:24 offset1:25
	ds_write2_b64 v1, v[170:171], v[172:173] offset0:26 offset1:27
	ds_write2_b64 v1, v[166:167], v[168:169] offset0:28 offset1:29
	ds_write2_b64 v1, v[162:163], v[164:165] offset0:30 offset1:31
	ds_write2_b64 v1, v[158:159], v[160:161] offset0:32 offset1:33
	ds_write2_b64 v1, v[154:155], v[156:157] offset0:34 offset1:35
	ds_write2_b64 v1, v[150:151], v[152:153] offset0:36 offset1:37
	ds_write2_b64 v1, v[146:147], v[148:149] offset0:38 offset1:39
	ds_write2_b64 v1, v[142:143], v[144:145] offset0:40 offset1:41
	ds_write2_b64 v1, v[138:139], v[140:141] offset0:42 offset1:43
	ds_write2_b64 v1, v[134:135], v[136:137] offset0:44 offset1:45
	ds_write2_b64 v1, v[130:131], v[132:133] offset0:46 offset1:47
	ds_write2_b64 v1, v[126:127], v[128:129] offset0:48 offset1:49
	ds_write2_b64 v1, v[122:123], v[124:125] offset0:50 offset1:51
	ds_write2_b64 v1, v[118:119], v[120:121] offset0:52 offset1:53
	ds_write2_b64 v1, v[114:115], v[116:117] offset0:54 offset1:55
	ds_write2_b64 v1, v[110:111], v[112:113] offset0:56 offset1:57
	ds_write2_b64 v1, v[106:107], v[108:109] offset0:58 offset1:59
	ds_write2_b64 v1, v[102:103], v[104:105] offset0:60 offset1:61
	ds_write2_b64 v1, v[98:99], v[100:101] offset0:62 offset1:63
	ds_write2_b64 v1, v[94:95], v[96:97] offset0:64 offset1:65
	ds_write2_b64 v1, v[90:91], v[92:93] offset0:66 offset1:67
	ds_write2_b64 v1, v[86:87], v[88:89] offset0:68 offset1:69
	ds_write2_b64 v1, v[82:83], v[84:85] offset0:70 offset1:71
	ds_write2_b64 v1, v[78:79], v[80:81] offset0:72 offset1:73
	ds_write2_b64 v1, v[74:75], v[76:77] offset0:74 offset1:75
	ds_write2_b64 v1, v[70:71], v[72:73] offset0:76 offset1:77
	ds_write2_b64 v1, v[66:67], v[68:69] offset0:78 offset1:79
	ds_write2_b64 v1, v[62:63], v[64:65] offset0:80 offset1:81
	ds_write2_b64 v1, v[58:59], v[60:61] offset0:82 offset1:83
	ds_write2_b64 v1, v[54:55], v[56:57] offset0:84 offset1:85
	ds_write2_b64 v1, v[50:51], v[52:53] offset0:86 offset1:87
	ds_write2_b64 v1, v[46:47], v[48:49] offset0:88 offset1:89
	ds_write2_b64 v1, v[42:43], v[44:45] offset0:90 offset1:91
	ds_write2_b64 v1, v[38:39], v[40:41] offset0:92 offset1:93
	ds_write2_b64 v1, v[34:35], v[36:37] offset0:94 offset1:95
	ds_write2_b64 v1, v[30:31], v[32:33] offset0:96 offset1:97
	ds_write2_b64 v1, v[26:27], v[28:29] offset0:98 offset1:99
	ds_write2_b64 v1, v[22:23], v[24:25] offset0:100 offset1:101
	ds_write2_b64 v1, v[18:19], v[20:21] offset0:102 offset1:103
	ds_write2_b64 v1, v[14:15], v[16:17] offset0:104 offset1:105
	ds_write2_b64 v1, v[10:11], v[12:13] offset0:106 offset1:107
	ds_write2_b64 v1, v[249:250], v[251:252] offset0:108 offset1:109
	ds_write2_b64 v1, v[230:231], v[232:233] offset0:110 offset1:111
.LBB110_250:
	s_or_b32 exec_lo, exec_lo, s0
	s_mov_b32 s0, exec_lo
	s_waitcnt lgkmcnt(0)
	s_waitcnt_vscnt null, 0x0
	s_barrier
	buffer_gl0_inv
	v_cmpx_lt_i32_e32 11, v240
	s_cbranch_execz .LBB110_252
; %bb.251:
	v_mul_f64 v[210:211], v[228:229], v[180:181]
	v_mul_f64 v[180:181], v[226:227], v[180:181]
	v_fma_f64 v[234:235], v[226:227], v[178:179], -v[210:211]
	v_fma_f64 v[180:181], v[228:229], v[178:179], v[180:181]
	ds_read2_b64 v[226:229], v1 offset0:24 offset1:25
	s_waitcnt lgkmcnt(0)
	v_mul_f64 v[178:179], v[228:229], v[180:181]
	v_mul_f64 v[210:211], v[226:227], v[180:181]
	v_fma_f64 v[178:179], v[226:227], v[234:235], -v[178:179]
	v_fma_f64 v[210:211], v[228:229], v[234:235], v[210:211]
	ds_read2_b64 v[226:229], v1 offset0:26 offset1:27
	v_add_f64 v[174:175], v[174:175], -v[178:179]
	v_add_f64 v[176:177], v[176:177], -v[210:211]
	s_waitcnt lgkmcnt(0)
	v_mul_f64 v[178:179], v[228:229], v[180:181]
	v_mul_f64 v[210:211], v[226:227], v[180:181]
	v_fma_f64 v[178:179], v[226:227], v[234:235], -v[178:179]
	v_fma_f64 v[210:211], v[228:229], v[234:235], v[210:211]
	ds_read2_b64 v[226:229], v1 offset0:28 offset1:29
	v_add_f64 v[170:171], v[170:171], -v[178:179]
	v_add_f64 v[172:173], v[172:173], -v[210:211]
	s_waitcnt lgkmcnt(0)
	v_mul_f64 v[178:179], v[228:229], v[180:181]
	v_mul_f64 v[210:211], v[226:227], v[180:181]
	v_fma_f64 v[178:179], v[226:227], v[234:235], -v[178:179]
	v_fma_f64 v[210:211], v[228:229], v[234:235], v[210:211]
	ds_read2_b64 v[226:229], v1 offset0:30 offset1:31
	v_add_f64 v[166:167], v[166:167], -v[178:179]
	v_add_f64 v[168:169], v[168:169], -v[210:211]
	s_waitcnt lgkmcnt(0)
	v_mul_f64 v[178:179], v[228:229], v[180:181]
	v_mul_f64 v[210:211], v[226:227], v[180:181]
	v_fma_f64 v[178:179], v[226:227], v[234:235], -v[178:179]
	v_fma_f64 v[210:211], v[228:229], v[234:235], v[210:211]
	ds_read2_b64 v[226:229], v1 offset0:32 offset1:33
	v_add_f64 v[162:163], v[162:163], -v[178:179]
	v_add_f64 v[164:165], v[164:165], -v[210:211]
	s_waitcnt lgkmcnt(0)
	v_mul_f64 v[178:179], v[228:229], v[180:181]
	v_mul_f64 v[210:211], v[226:227], v[180:181]
	v_fma_f64 v[178:179], v[226:227], v[234:235], -v[178:179]
	v_fma_f64 v[210:211], v[228:229], v[234:235], v[210:211]
	ds_read2_b64 v[226:229], v1 offset0:34 offset1:35
	v_add_f64 v[158:159], v[158:159], -v[178:179]
	v_add_f64 v[160:161], v[160:161], -v[210:211]
	s_waitcnt lgkmcnt(0)
	v_mul_f64 v[178:179], v[228:229], v[180:181]
	v_mul_f64 v[210:211], v[226:227], v[180:181]
	v_fma_f64 v[178:179], v[226:227], v[234:235], -v[178:179]
	v_fma_f64 v[210:211], v[228:229], v[234:235], v[210:211]
	ds_read2_b64 v[226:229], v1 offset0:36 offset1:37
	v_add_f64 v[154:155], v[154:155], -v[178:179]
	v_add_f64 v[156:157], v[156:157], -v[210:211]
	s_waitcnt lgkmcnt(0)
	v_mul_f64 v[178:179], v[228:229], v[180:181]
	v_mul_f64 v[210:211], v[226:227], v[180:181]
	v_fma_f64 v[178:179], v[226:227], v[234:235], -v[178:179]
	v_fma_f64 v[210:211], v[228:229], v[234:235], v[210:211]
	ds_read2_b64 v[226:229], v1 offset0:38 offset1:39
	v_add_f64 v[150:151], v[150:151], -v[178:179]
	v_add_f64 v[152:153], v[152:153], -v[210:211]
	s_waitcnt lgkmcnt(0)
	v_mul_f64 v[178:179], v[228:229], v[180:181]
	v_mul_f64 v[210:211], v[226:227], v[180:181]
	v_fma_f64 v[178:179], v[226:227], v[234:235], -v[178:179]
	v_fma_f64 v[210:211], v[228:229], v[234:235], v[210:211]
	ds_read2_b64 v[226:229], v1 offset0:40 offset1:41
	v_add_f64 v[146:147], v[146:147], -v[178:179]
	v_add_f64 v[148:149], v[148:149], -v[210:211]
	s_waitcnt lgkmcnt(0)
	v_mul_f64 v[178:179], v[228:229], v[180:181]
	v_mul_f64 v[210:211], v[226:227], v[180:181]
	v_fma_f64 v[178:179], v[226:227], v[234:235], -v[178:179]
	v_fma_f64 v[210:211], v[228:229], v[234:235], v[210:211]
	ds_read2_b64 v[226:229], v1 offset0:42 offset1:43
	v_add_f64 v[142:143], v[142:143], -v[178:179]
	v_add_f64 v[144:145], v[144:145], -v[210:211]
	s_waitcnt lgkmcnt(0)
	v_mul_f64 v[178:179], v[228:229], v[180:181]
	v_mul_f64 v[210:211], v[226:227], v[180:181]
	v_fma_f64 v[178:179], v[226:227], v[234:235], -v[178:179]
	v_fma_f64 v[210:211], v[228:229], v[234:235], v[210:211]
	ds_read2_b64 v[226:229], v1 offset0:44 offset1:45
	v_add_f64 v[138:139], v[138:139], -v[178:179]
	v_add_f64 v[140:141], v[140:141], -v[210:211]
	s_waitcnt lgkmcnt(0)
	v_mul_f64 v[178:179], v[228:229], v[180:181]
	v_mul_f64 v[210:211], v[226:227], v[180:181]
	v_fma_f64 v[178:179], v[226:227], v[234:235], -v[178:179]
	v_fma_f64 v[210:211], v[228:229], v[234:235], v[210:211]
	ds_read2_b64 v[226:229], v1 offset0:46 offset1:47
	v_add_f64 v[134:135], v[134:135], -v[178:179]
	v_add_f64 v[136:137], v[136:137], -v[210:211]
	s_waitcnt lgkmcnt(0)
	v_mul_f64 v[178:179], v[228:229], v[180:181]
	v_mul_f64 v[210:211], v[226:227], v[180:181]
	v_fma_f64 v[178:179], v[226:227], v[234:235], -v[178:179]
	v_fma_f64 v[210:211], v[228:229], v[234:235], v[210:211]
	ds_read2_b64 v[226:229], v1 offset0:48 offset1:49
	v_add_f64 v[130:131], v[130:131], -v[178:179]
	v_add_f64 v[132:133], v[132:133], -v[210:211]
	s_waitcnt lgkmcnt(0)
	v_mul_f64 v[178:179], v[228:229], v[180:181]
	v_mul_f64 v[210:211], v[226:227], v[180:181]
	v_fma_f64 v[178:179], v[226:227], v[234:235], -v[178:179]
	v_fma_f64 v[210:211], v[228:229], v[234:235], v[210:211]
	ds_read2_b64 v[226:229], v1 offset0:50 offset1:51
	v_add_f64 v[126:127], v[126:127], -v[178:179]
	v_add_f64 v[128:129], v[128:129], -v[210:211]
	s_waitcnt lgkmcnt(0)
	v_mul_f64 v[178:179], v[228:229], v[180:181]
	v_mul_f64 v[210:211], v[226:227], v[180:181]
	v_fma_f64 v[178:179], v[226:227], v[234:235], -v[178:179]
	v_fma_f64 v[210:211], v[228:229], v[234:235], v[210:211]
	ds_read2_b64 v[226:229], v1 offset0:52 offset1:53
	v_add_f64 v[122:123], v[122:123], -v[178:179]
	v_add_f64 v[124:125], v[124:125], -v[210:211]
	s_waitcnt lgkmcnt(0)
	v_mul_f64 v[178:179], v[228:229], v[180:181]
	v_mul_f64 v[210:211], v[226:227], v[180:181]
	v_fma_f64 v[178:179], v[226:227], v[234:235], -v[178:179]
	v_fma_f64 v[210:211], v[228:229], v[234:235], v[210:211]
	ds_read2_b64 v[226:229], v1 offset0:54 offset1:55
	v_add_f64 v[118:119], v[118:119], -v[178:179]
	v_add_f64 v[120:121], v[120:121], -v[210:211]
	s_waitcnt lgkmcnt(0)
	v_mul_f64 v[178:179], v[228:229], v[180:181]
	v_mul_f64 v[210:211], v[226:227], v[180:181]
	v_fma_f64 v[178:179], v[226:227], v[234:235], -v[178:179]
	v_fma_f64 v[210:211], v[228:229], v[234:235], v[210:211]
	ds_read2_b64 v[226:229], v1 offset0:56 offset1:57
	v_add_f64 v[114:115], v[114:115], -v[178:179]
	v_add_f64 v[116:117], v[116:117], -v[210:211]
	s_waitcnt lgkmcnt(0)
	v_mul_f64 v[178:179], v[228:229], v[180:181]
	v_mul_f64 v[210:211], v[226:227], v[180:181]
	v_fma_f64 v[178:179], v[226:227], v[234:235], -v[178:179]
	v_fma_f64 v[210:211], v[228:229], v[234:235], v[210:211]
	ds_read2_b64 v[226:229], v1 offset0:58 offset1:59
	v_add_f64 v[110:111], v[110:111], -v[178:179]
	v_add_f64 v[112:113], v[112:113], -v[210:211]
	s_waitcnt lgkmcnt(0)
	v_mul_f64 v[178:179], v[228:229], v[180:181]
	v_mul_f64 v[210:211], v[226:227], v[180:181]
	v_fma_f64 v[178:179], v[226:227], v[234:235], -v[178:179]
	v_fma_f64 v[210:211], v[228:229], v[234:235], v[210:211]
	ds_read2_b64 v[226:229], v1 offset0:60 offset1:61
	v_add_f64 v[106:107], v[106:107], -v[178:179]
	v_add_f64 v[108:109], v[108:109], -v[210:211]
	s_waitcnt lgkmcnt(0)
	v_mul_f64 v[178:179], v[228:229], v[180:181]
	v_mul_f64 v[210:211], v[226:227], v[180:181]
	v_fma_f64 v[178:179], v[226:227], v[234:235], -v[178:179]
	v_fma_f64 v[210:211], v[228:229], v[234:235], v[210:211]
	ds_read2_b64 v[226:229], v1 offset0:62 offset1:63
	v_add_f64 v[102:103], v[102:103], -v[178:179]
	v_add_f64 v[104:105], v[104:105], -v[210:211]
	s_waitcnt lgkmcnt(0)
	v_mul_f64 v[178:179], v[228:229], v[180:181]
	v_mul_f64 v[210:211], v[226:227], v[180:181]
	v_fma_f64 v[178:179], v[226:227], v[234:235], -v[178:179]
	v_fma_f64 v[210:211], v[228:229], v[234:235], v[210:211]
	ds_read2_b64 v[226:229], v1 offset0:64 offset1:65
	v_add_f64 v[98:99], v[98:99], -v[178:179]
	v_add_f64 v[100:101], v[100:101], -v[210:211]
	s_waitcnt lgkmcnt(0)
	v_mul_f64 v[178:179], v[228:229], v[180:181]
	v_mul_f64 v[210:211], v[226:227], v[180:181]
	v_fma_f64 v[178:179], v[226:227], v[234:235], -v[178:179]
	v_fma_f64 v[210:211], v[228:229], v[234:235], v[210:211]
	ds_read2_b64 v[226:229], v1 offset0:66 offset1:67
	v_add_f64 v[94:95], v[94:95], -v[178:179]
	v_add_f64 v[96:97], v[96:97], -v[210:211]
	s_waitcnt lgkmcnt(0)
	v_mul_f64 v[178:179], v[228:229], v[180:181]
	v_mul_f64 v[210:211], v[226:227], v[180:181]
	v_fma_f64 v[178:179], v[226:227], v[234:235], -v[178:179]
	v_fma_f64 v[210:211], v[228:229], v[234:235], v[210:211]
	ds_read2_b64 v[226:229], v1 offset0:68 offset1:69
	v_add_f64 v[90:91], v[90:91], -v[178:179]
	v_add_f64 v[92:93], v[92:93], -v[210:211]
	s_waitcnt lgkmcnt(0)
	v_mul_f64 v[178:179], v[228:229], v[180:181]
	v_mul_f64 v[210:211], v[226:227], v[180:181]
	v_fma_f64 v[178:179], v[226:227], v[234:235], -v[178:179]
	v_fma_f64 v[210:211], v[228:229], v[234:235], v[210:211]
	ds_read2_b64 v[226:229], v1 offset0:70 offset1:71
	v_add_f64 v[86:87], v[86:87], -v[178:179]
	v_add_f64 v[88:89], v[88:89], -v[210:211]
	s_waitcnt lgkmcnt(0)
	v_mul_f64 v[178:179], v[228:229], v[180:181]
	v_mul_f64 v[210:211], v[226:227], v[180:181]
	v_fma_f64 v[178:179], v[226:227], v[234:235], -v[178:179]
	v_fma_f64 v[210:211], v[228:229], v[234:235], v[210:211]
	ds_read2_b64 v[226:229], v1 offset0:72 offset1:73
	v_add_f64 v[82:83], v[82:83], -v[178:179]
	v_add_f64 v[84:85], v[84:85], -v[210:211]
	s_waitcnt lgkmcnt(0)
	v_mul_f64 v[178:179], v[228:229], v[180:181]
	v_mul_f64 v[210:211], v[226:227], v[180:181]
	v_fma_f64 v[178:179], v[226:227], v[234:235], -v[178:179]
	v_fma_f64 v[210:211], v[228:229], v[234:235], v[210:211]
	ds_read2_b64 v[226:229], v1 offset0:74 offset1:75
	v_add_f64 v[78:79], v[78:79], -v[178:179]
	v_add_f64 v[80:81], v[80:81], -v[210:211]
	s_waitcnt lgkmcnt(0)
	v_mul_f64 v[178:179], v[228:229], v[180:181]
	v_mul_f64 v[210:211], v[226:227], v[180:181]
	v_fma_f64 v[178:179], v[226:227], v[234:235], -v[178:179]
	v_fma_f64 v[210:211], v[228:229], v[234:235], v[210:211]
	ds_read2_b64 v[226:229], v1 offset0:76 offset1:77
	v_add_f64 v[74:75], v[74:75], -v[178:179]
	v_add_f64 v[76:77], v[76:77], -v[210:211]
	s_waitcnt lgkmcnt(0)
	v_mul_f64 v[178:179], v[228:229], v[180:181]
	v_mul_f64 v[210:211], v[226:227], v[180:181]
	v_fma_f64 v[178:179], v[226:227], v[234:235], -v[178:179]
	v_fma_f64 v[210:211], v[228:229], v[234:235], v[210:211]
	ds_read2_b64 v[226:229], v1 offset0:78 offset1:79
	v_add_f64 v[70:71], v[70:71], -v[178:179]
	v_add_f64 v[72:73], v[72:73], -v[210:211]
	s_waitcnt lgkmcnt(0)
	v_mul_f64 v[178:179], v[228:229], v[180:181]
	v_mul_f64 v[210:211], v[226:227], v[180:181]
	v_fma_f64 v[178:179], v[226:227], v[234:235], -v[178:179]
	v_fma_f64 v[210:211], v[228:229], v[234:235], v[210:211]
	ds_read2_b64 v[226:229], v1 offset0:80 offset1:81
	v_add_f64 v[66:67], v[66:67], -v[178:179]
	v_add_f64 v[68:69], v[68:69], -v[210:211]
	s_waitcnt lgkmcnt(0)
	v_mul_f64 v[178:179], v[228:229], v[180:181]
	v_mul_f64 v[210:211], v[226:227], v[180:181]
	v_fma_f64 v[178:179], v[226:227], v[234:235], -v[178:179]
	v_fma_f64 v[210:211], v[228:229], v[234:235], v[210:211]
	ds_read2_b64 v[226:229], v1 offset0:82 offset1:83
	v_add_f64 v[62:63], v[62:63], -v[178:179]
	v_add_f64 v[64:65], v[64:65], -v[210:211]
	s_waitcnt lgkmcnt(0)
	v_mul_f64 v[178:179], v[228:229], v[180:181]
	v_mul_f64 v[210:211], v[226:227], v[180:181]
	v_fma_f64 v[178:179], v[226:227], v[234:235], -v[178:179]
	v_fma_f64 v[210:211], v[228:229], v[234:235], v[210:211]
	ds_read2_b64 v[226:229], v1 offset0:84 offset1:85
	v_add_f64 v[58:59], v[58:59], -v[178:179]
	v_add_f64 v[60:61], v[60:61], -v[210:211]
	s_waitcnt lgkmcnt(0)
	v_mul_f64 v[178:179], v[228:229], v[180:181]
	v_mul_f64 v[210:211], v[226:227], v[180:181]
	v_fma_f64 v[178:179], v[226:227], v[234:235], -v[178:179]
	v_fma_f64 v[210:211], v[228:229], v[234:235], v[210:211]
	ds_read2_b64 v[226:229], v1 offset0:86 offset1:87
	v_add_f64 v[54:55], v[54:55], -v[178:179]
	v_add_f64 v[56:57], v[56:57], -v[210:211]
	s_waitcnt lgkmcnt(0)
	v_mul_f64 v[178:179], v[228:229], v[180:181]
	v_mul_f64 v[210:211], v[226:227], v[180:181]
	v_fma_f64 v[178:179], v[226:227], v[234:235], -v[178:179]
	v_fma_f64 v[210:211], v[228:229], v[234:235], v[210:211]
	ds_read2_b64 v[226:229], v1 offset0:88 offset1:89
	v_add_f64 v[50:51], v[50:51], -v[178:179]
	v_add_f64 v[52:53], v[52:53], -v[210:211]
	s_waitcnt lgkmcnt(0)
	v_mul_f64 v[178:179], v[228:229], v[180:181]
	v_mul_f64 v[210:211], v[226:227], v[180:181]
	v_fma_f64 v[178:179], v[226:227], v[234:235], -v[178:179]
	v_fma_f64 v[210:211], v[228:229], v[234:235], v[210:211]
	ds_read2_b64 v[226:229], v1 offset0:90 offset1:91
	v_add_f64 v[46:47], v[46:47], -v[178:179]
	v_add_f64 v[48:49], v[48:49], -v[210:211]
	s_waitcnt lgkmcnt(0)
	v_mul_f64 v[178:179], v[228:229], v[180:181]
	v_mul_f64 v[210:211], v[226:227], v[180:181]
	v_fma_f64 v[178:179], v[226:227], v[234:235], -v[178:179]
	v_fma_f64 v[210:211], v[228:229], v[234:235], v[210:211]
	ds_read2_b64 v[226:229], v1 offset0:92 offset1:93
	v_add_f64 v[42:43], v[42:43], -v[178:179]
	v_add_f64 v[44:45], v[44:45], -v[210:211]
	s_waitcnt lgkmcnt(0)
	v_mul_f64 v[178:179], v[228:229], v[180:181]
	v_mul_f64 v[210:211], v[226:227], v[180:181]
	v_fma_f64 v[178:179], v[226:227], v[234:235], -v[178:179]
	v_fma_f64 v[210:211], v[228:229], v[234:235], v[210:211]
	ds_read2_b64 v[226:229], v1 offset0:94 offset1:95
	v_add_f64 v[38:39], v[38:39], -v[178:179]
	v_add_f64 v[40:41], v[40:41], -v[210:211]
	s_waitcnt lgkmcnt(0)
	v_mul_f64 v[178:179], v[228:229], v[180:181]
	v_mul_f64 v[210:211], v[226:227], v[180:181]
	v_fma_f64 v[178:179], v[226:227], v[234:235], -v[178:179]
	v_fma_f64 v[210:211], v[228:229], v[234:235], v[210:211]
	ds_read2_b64 v[226:229], v1 offset0:96 offset1:97
	v_add_f64 v[34:35], v[34:35], -v[178:179]
	v_add_f64 v[36:37], v[36:37], -v[210:211]
	s_waitcnt lgkmcnt(0)
	v_mul_f64 v[178:179], v[228:229], v[180:181]
	v_mul_f64 v[210:211], v[226:227], v[180:181]
	v_fma_f64 v[178:179], v[226:227], v[234:235], -v[178:179]
	v_fma_f64 v[210:211], v[228:229], v[234:235], v[210:211]
	ds_read2_b64 v[226:229], v1 offset0:98 offset1:99
	v_add_f64 v[30:31], v[30:31], -v[178:179]
	v_add_f64 v[32:33], v[32:33], -v[210:211]
	s_waitcnt lgkmcnt(0)
	v_mul_f64 v[178:179], v[228:229], v[180:181]
	v_mul_f64 v[210:211], v[226:227], v[180:181]
	v_fma_f64 v[178:179], v[226:227], v[234:235], -v[178:179]
	v_fma_f64 v[210:211], v[228:229], v[234:235], v[210:211]
	ds_read2_b64 v[226:229], v1 offset0:100 offset1:101
	v_add_f64 v[26:27], v[26:27], -v[178:179]
	v_add_f64 v[28:29], v[28:29], -v[210:211]
	s_waitcnt lgkmcnt(0)
	v_mul_f64 v[178:179], v[228:229], v[180:181]
	v_mul_f64 v[210:211], v[226:227], v[180:181]
	v_fma_f64 v[178:179], v[226:227], v[234:235], -v[178:179]
	v_fma_f64 v[210:211], v[228:229], v[234:235], v[210:211]
	ds_read2_b64 v[226:229], v1 offset0:102 offset1:103
	v_add_f64 v[22:23], v[22:23], -v[178:179]
	v_add_f64 v[24:25], v[24:25], -v[210:211]
	s_waitcnt lgkmcnt(0)
	v_mul_f64 v[178:179], v[228:229], v[180:181]
	v_mul_f64 v[210:211], v[226:227], v[180:181]
	v_fma_f64 v[178:179], v[226:227], v[234:235], -v[178:179]
	v_fma_f64 v[210:211], v[228:229], v[234:235], v[210:211]
	ds_read2_b64 v[226:229], v1 offset0:104 offset1:105
	v_add_f64 v[18:19], v[18:19], -v[178:179]
	v_add_f64 v[20:21], v[20:21], -v[210:211]
	s_waitcnt lgkmcnt(0)
	v_mul_f64 v[178:179], v[228:229], v[180:181]
	v_mul_f64 v[210:211], v[226:227], v[180:181]
	v_fma_f64 v[178:179], v[226:227], v[234:235], -v[178:179]
	v_fma_f64 v[210:211], v[228:229], v[234:235], v[210:211]
	ds_read2_b64 v[226:229], v1 offset0:106 offset1:107
	v_add_f64 v[14:15], v[14:15], -v[178:179]
	v_add_f64 v[16:17], v[16:17], -v[210:211]
	s_waitcnt lgkmcnt(0)
	v_mul_f64 v[178:179], v[228:229], v[180:181]
	v_mul_f64 v[210:211], v[226:227], v[180:181]
	v_fma_f64 v[178:179], v[226:227], v[234:235], -v[178:179]
	v_fma_f64 v[210:211], v[228:229], v[234:235], v[210:211]
	ds_read2_b64 v[226:229], v1 offset0:108 offset1:109
	v_add_f64 v[10:11], v[10:11], -v[178:179]
	v_add_f64 v[12:13], v[12:13], -v[210:211]
	s_waitcnt lgkmcnt(0)
	v_mul_f64 v[178:179], v[228:229], v[180:181]
	v_mul_f64 v[210:211], v[226:227], v[180:181]
	v_fma_f64 v[178:179], v[226:227], v[234:235], -v[178:179]
	v_fma_f64 v[210:211], v[228:229], v[234:235], v[210:211]
	ds_read2_b64 v[226:229], v1 offset0:110 offset1:111
	v_add_f64 v[249:250], v[249:250], -v[178:179]
	v_add_f64 v[251:252], v[251:252], -v[210:211]
	s_waitcnt lgkmcnt(0)
	v_mul_f64 v[178:179], v[228:229], v[180:181]
	v_mul_f64 v[210:211], v[226:227], v[180:181]
	v_fma_f64 v[178:179], v[226:227], v[234:235], -v[178:179]
	v_fma_f64 v[210:211], v[228:229], v[234:235], v[210:211]
	v_add_f64 v[230:231], v[230:231], -v[178:179]
	v_add_f64 v[232:233], v[232:233], -v[210:211]
	v_mov_b32_e32 v178, v234
	v_mov_b32_e32 v179, v235
.LBB110_252:
	s_or_b32 exec_lo, exec_lo, s0
	v_lshl_add_u32 v210, v240, 4, v1
	s_barrier
	buffer_gl0_inv
	v_mov_b32_e32 v234, 12
	ds_write2_b64 v210, v[174:175], v[176:177] offset1:1
	s_waitcnt lgkmcnt(0)
	s_barrier
	buffer_gl0_inv
	ds_read2_b64 v[226:229], v1 offset0:24 offset1:25
	s_cmp_lt_i32 s8, 14
	s_cbranch_scc1 .LBB110_255
; %bb.253:
	v_add3_u32 v235, v253, 0, 0xd0
	v_mov_b32_e32 v234, 12
	s_mov_b32 s1, 13
	s_inst_prefetch 0x1
	.p2align	6
.LBB110_254:                            ; =>This Inner Loop Header: Depth=1
	s_waitcnt lgkmcnt(0)
	v_cmp_gt_f64_e32 vcc_lo, 0, v[228:229]
	v_cmp_gt_f64_e64 s0, 0, v[226:227]
	ds_read2_b64 v[241:244], v235 offset1:1
	v_xor_b32_e32 v211, 0x80000000, v227
	v_xor_b32_e32 v213, 0x80000000, v229
	v_mov_b32_e32 v210, v226
	v_mov_b32_e32 v212, v228
	v_add_nc_u32_e32 v235, 16, v235
	s_waitcnt lgkmcnt(0)
	v_xor_b32_e32 v219, 0x80000000, v244
	v_cndmask_b32_e64 v211, v227, v211, s0
	v_cndmask_b32_e32 v213, v229, v213, vcc_lo
	v_cmp_gt_f64_e32 vcc_lo, 0, v[243:244]
	v_cmp_gt_f64_e64 s0, 0, v[241:242]
	v_mov_b32_e32 v218, v243
	v_add_f64 v[210:211], v[210:211], v[212:213]
	v_xor_b32_e32 v213, 0x80000000, v242
	v_mov_b32_e32 v212, v241
	v_cndmask_b32_e32 v219, v244, v219, vcc_lo
	v_cndmask_b32_e64 v213, v242, v213, s0
	v_add_f64 v[212:213], v[212:213], v[218:219]
	v_cmp_lt_f64_e32 vcc_lo, v[210:211], v[212:213]
	v_cndmask_b32_e32 v227, v227, v242, vcc_lo
	v_cndmask_b32_e32 v226, v226, v241, vcc_lo
	;; [unrolled: 1-line block ×4, first 2 shown]
	v_cndmask_b32_e64 v234, v234, s1, vcc_lo
	s_add_i32 s1, s1, 1
	s_cmp_lg_u32 s8, s1
	s_cbranch_scc1 .LBB110_254
.LBB110_255:
	s_inst_prefetch 0x2
	s_waitcnt lgkmcnt(0)
	v_cmp_eq_f64_e32 vcc_lo, 0, v[226:227]
	v_cmp_eq_f64_e64 s0, 0, v[228:229]
	s_and_b32 s0, vcc_lo, s0
	s_and_saveexec_b32 s1, s0
	s_xor_b32 s0, exec_lo, s1
; %bb.256:
	v_cmp_ne_u32_e32 vcc_lo, 0, v239
	v_cndmask_b32_e32 v239, 13, v239, vcc_lo
; %bb.257:
	s_andn2_saveexec_b32 s0, s0
	s_cbranch_execz .LBB110_263
; %bb.258:
	v_cmp_ngt_f64_e64 s1, |v[226:227]|, |v[228:229]|
	s_and_saveexec_b32 s7, s1
	s_xor_b32 s1, exec_lo, s7
	s_cbranch_execz .LBB110_260
; %bb.259:
	v_div_scale_f64 v[210:211], null, v[228:229], v[228:229], v[226:227]
	v_div_scale_f64 v[220:221], vcc_lo, v[226:227], v[228:229], v[226:227]
	v_rcp_f64_e32 v[212:213], v[210:211]
	v_fma_f64 v[218:219], -v[210:211], v[212:213], 1.0
	v_fma_f64 v[212:213], v[212:213], v[218:219], v[212:213]
	v_fma_f64 v[218:219], -v[210:211], v[212:213], 1.0
	v_fma_f64 v[212:213], v[212:213], v[218:219], v[212:213]
	v_mul_f64 v[218:219], v[220:221], v[212:213]
	v_fma_f64 v[210:211], -v[210:211], v[218:219], v[220:221]
	v_div_fmas_f64 v[210:211], v[210:211], v[212:213], v[218:219]
	v_div_fixup_f64 v[210:211], v[210:211], v[228:229], v[226:227]
	v_fma_f64 v[212:213], v[226:227], v[210:211], v[228:229]
	v_div_scale_f64 v[218:219], null, v[212:213], v[212:213], 1.0
	v_rcp_f64_e32 v[220:221], v[218:219]
	v_fma_f64 v[222:223], -v[218:219], v[220:221], 1.0
	v_fma_f64 v[220:221], v[220:221], v[222:223], v[220:221]
	v_fma_f64 v[222:223], -v[218:219], v[220:221], 1.0
	v_fma_f64 v[220:221], v[220:221], v[222:223], v[220:221]
	v_div_scale_f64 v[222:223], vcc_lo, 1.0, v[212:213], 1.0
	v_mul_f64 v[224:225], v[222:223], v[220:221]
	v_fma_f64 v[218:219], -v[218:219], v[224:225], v[222:223]
	v_div_fmas_f64 v[218:219], v[218:219], v[220:221], v[224:225]
	v_div_fixup_f64 v[228:229], v[218:219], v[212:213], 1.0
	v_mul_f64 v[226:227], v[210:211], v[228:229]
	v_xor_b32_e32 v229, 0x80000000, v229
.LBB110_260:
	s_andn2_saveexec_b32 s1, s1
	s_cbranch_execz .LBB110_262
; %bb.261:
	v_div_scale_f64 v[210:211], null, v[226:227], v[226:227], v[228:229]
	v_div_scale_f64 v[220:221], vcc_lo, v[228:229], v[226:227], v[228:229]
	v_rcp_f64_e32 v[212:213], v[210:211]
	v_fma_f64 v[218:219], -v[210:211], v[212:213], 1.0
	v_fma_f64 v[212:213], v[212:213], v[218:219], v[212:213]
	v_fma_f64 v[218:219], -v[210:211], v[212:213], 1.0
	v_fma_f64 v[212:213], v[212:213], v[218:219], v[212:213]
	v_mul_f64 v[218:219], v[220:221], v[212:213]
	v_fma_f64 v[210:211], -v[210:211], v[218:219], v[220:221]
	v_div_fmas_f64 v[210:211], v[210:211], v[212:213], v[218:219]
	v_div_fixup_f64 v[210:211], v[210:211], v[226:227], v[228:229]
	v_fma_f64 v[212:213], v[228:229], v[210:211], v[226:227]
	v_div_scale_f64 v[218:219], null, v[212:213], v[212:213], 1.0
	v_rcp_f64_e32 v[220:221], v[218:219]
	v_fma_f64 v[222:223], -v[218:219], v[220:221], 1.0
	v_fma_f64 v[220:221], v[220:221], v[222:223], v[220:221]
	v_fma_f64 v[222:223], -v[218:219], v[220:221], 1.0
	v_fma_f64 v[220:221], v[220:221], v[222:223], v[220:221]
	v_div_scale_f64 v[222:223], vcc_lo, 1.0, v[212:213], 1.0
	v_mul_f64 v[224:225], v[222:223], v[220:221]
	v_fma_f64 v[218:219], -v[218:219], v[224:225], v[222:223]
	v_div_fmas_f64 v[218:219], v[218:219], v[220:221], v[224:225]
	v_div_fixup_f64 v[226:227], v[218:219], v[212:213], 1.0
	v_mul_f64 v[228:229], v[210:211], -v[226:227]
.LBB110_262:
	s_or_b32 exec_lo, exec_lo, s1
.LBB110_263:
	s_or_b32 exec_lo, exec_lo, s0
	s_mov_b32 s0, exec_lo
	v_cmpx_ne_u32_e64 v240, v234
	s_xor_b32 s0, exec_lo, s0
	s_cbranch_execz .LBB110_269
; %bb.264:
	s_mov_b32 s1, exec_lo
	v_cmpx_eq_u32_e32 12, v240
	s_cbranch_execz .LBB110_268
; %bb.265:
	v_cmp_ne_u32_e32 vcc_lo, 12, v234
	s_xor_b32 s7, s16, -1
	s_and_b32 s9, s7, vcc_lo
	s_and_saveexec_b32 s7, s9
	s_cbranch_execz .LBB110_267
; %bb.266:
	v_ashrrev_i32_e32 v235, 31, v234
	v_lshlrev_b64 v[210:211], 2, v[234:235]
	v_add_co_u32 v210, vcc_lo, v214, v210
	v_add_co_ci_u32_e64 v211, null, v215, v211, vcc_lo
	s_clause 0x1
	global_load_dword v0, v[210:211], off
	global_load_dword v212, v[214:215], off offset:48
	s_waitcnt vmcnt(1)
	global_store_dword v[214:215], v0, off offset:48
	s_waitcnt vmcnt(0)
	global_store_dword v[210:211], v212, off
.LBB110_267:
	s_or_b32 exec_lo, exec_lo, s7
	v_mov_b32_e32 v240, v234
	v_mov_b32_e32 v0, v234
.LBB110_268:
	s_or_b32 exec_lo, exec_lo, s1
.LBB110_269:
	s_andn2_saveexec_b32 s0, s0
	s_cbranch_execz .LBB110_271
; %bb.270:
	v_mov_b32_e32 v240, 12
	ds_write2_b64 v1, v[170:171], v[172:173] offset0:26 offset1:27
	ds_write2_b64 v1, v[166:167], v[168:169] offset0:28 offset1:29
	;; [unrolled: 1-line block ×43, first 2 shown]
.LBB110_271:
	s_or_b32 exec_lo, exec_lo, s0
	s_mov_b32 s0, exec_lo
	s_waitcnt lgkmcnt(0)
	s_waitcnt_vscnt null, 0x0
	s_barrier
	buffer_gl0_inv
	v_cmpx_lt_i32_e32 12, v240
	s_cbranch_execz .LBB110_273
; %bb.272:
	v_mul_f64 v[210:211], v[228:229], v[176:177]
	v_mul_f64 v[176:177], v[226:227], v[176:177]
	v_fma_f64 v[234:235], v[226:227], v[174:175], -v[210:211]
	v_fma_f64 v[176:177], v[228:229], v[174:175], v[176:177]
	ds_read2_b64 v[226:229], v1 offset0:26 offset1:27
	s_waitcnt lgkmcnt(0)
	v_mul_f64 v[174:175], v[228:229], v[176:177]
	v_mul_f64 v[210:211], v[226:227], v[176:177]
	v_fma_f64 v[174:175], v[226:227], v[234:235], -v[174:175]
	v_fma_f64 v[210:211], v[228:229], v[234:235], v[210:211]
	ds_read2_b64 v[226:229], v1 offset0:28 offset1:29
	v_add_f64 v[170:171], v[170:171], -v[174:175]
	v_add_f64 v[172:173], v[172:173], -v[210:211]
	s_waitcnt lgkmcnt(0)
	v_mul_f64 v[174:175], v[228:229], v[176:177]
	v_mul_f64 v[210:211], v[226:227], v[176:177]
	v_fma_f64 v[174:175], v[226:227], v[234:235], -v[174:175]
	v_fma_f64 v[210:211], v[228:229], v[234:235], v[210:211]
	ds_read2_b64 v[226:229], v1 offset0:30 offset1:31
	v_add_f64 v[166:167], v[166:167], -v[174:175]
	v_add_f64 v[168:169], v[168:169], -v[210:211]
	;; [unrolled: 8-line block ×42, first 2 shown]
	s_waitcnt lgkmcnt(0)
	v_mul_f64 v[174:175], v[228:229], v[176:177]
	v_mul_f64 v[210:211], v[226:227], v[176:177]
	v_fma_f64 v[174:175], v[226:227], v[234:235], -v[174:175]
	v_fma_f64 v[210:211], v[228:229], v[234:235], v[210:211]
	v_add_f64 v[230:231], v[230:231], -v[174:175]
	v_add_f64 v[232:233], v[232:233], -v[210:211]
	v_mov_b32_e32 v174, v234
	v_mov_b32_e32 v175, v235
.LBB110_273:
	s_or_b32 exec_lo, exec_lo, s0
	v_lshl_add_u32 v210, v240, 4, v1
	s_barrier
	buffer_gl0_inv
	v_mov_b32_e32 v234, 13
	ds_write2_b64 v210, v[170:171], v[172:173] offset1:1
	s_waitcnt lgkmcnt(0)
	s_barrier
	buffer_gl0_inv
	ds_read2_b64 v[226:229], v1 offset0:26 offset1:27
	s_cmp_lt_i32 s8, 15
	s_cbranch_scc1 .LBB110_276
; %bb.274:
	v_add3_u32 v235, v253, 0, 0xe0
	v_mov_b32_e32 v234, 13
	s_mov_b32 s1, 14
	s_inst_prefetch 0x1
	.p2align	6
.LBB110_275:                            ; =>This Inner Loop Header: Depth=1
	s_waitcnt lgkmcnt(0)
	v_cmp_gt_f64_e32 vcc_lo, 0, v[228:229]
	v_cmp_gt_f64_e64 s0, 0, v[226:227]
	ds_read2_b64 v[241:244], v235 offset1:1
	v_xor_b32_e32 v211, 0x80000000, v227
	v_xor_b32_e32 v213, 0x80000000, v229
	v_mov_b32_e32 v210, v226
	v_mov_b32_e32 v212, v228
	v_add_nc_u32_e32 v235, 16, v235
	s_waitcnt lgkmcnt(0)
	v_xor_b32_e32 v219, 0x80000000, v244
	v_cndmask_b32_e64 v211, v227, v211, s0
	v_cndmask_b32_e32 v213, v229, v213, vcc_lo
	v_cmp_gt_f64_e32 vcc_lo, 0, v[243:244]
	v_cmp_gt_f64_e64 s0, 0, v[241:242]
	v_mov_b32_e32 v218, v243
	v_add_f64 v[210:211], v[210:211], v[212:213]
	v_xor_b32_e32 v213, 0x80000000, v242
	v_mov_b32_e32 v212, v241
	v_cndmask_b32_e32 v219, v244, v219, vcc_lo
	v_cndmask_b32_e64 v213, v242, v213, s0
	v_add_f64 v[212:213], v[212:213], v[218:219]
	v_cmp_lt_f64_e32 vcc_lo, v[210:211], v[212:213]
	v_cndmask_b32_e32 v227, v227, v242, vcc_lo
	v_cndmask_b32_e32 v226, v226, v241, vcc_lo
	;; [unrolled: 1-line block ×4, first 2 shown]
	v_cndmask_b32_e64 v234, v234, s1, vcc_lo
	s_add_i32 s1, s1, 1
	s_cmp_lg_u32 s8, s1
	s_cbranch_scc1 .LBB110_275
.LBB110_276:
	s_inst_prefetch 0x2
	s_waitcnt lgkmcnt(0)
	v_cmp_eq_f64_e32 vcc_lo, 0, v[226:227]
	v_cmp_eq_f64_e64 s0, 0, v[228:229]
	s_and_b32 s0, vcc_lo, s0
	s_and_saveexec_b32 s1, s0
	s_xor_b32 s0, exec_lo, s1
; %bb.277:
	v_cmp_ne_u32_e32 vcc_lo, 0, v239
	v_cndmask_b32_e32 v239, 14, v239, vcc_lo
; %bb.278:
	s_andn2_saveexec_b32 s0, s0
	s_cbranch_execz .LBB110_284
; %bb.279:
	v_cmp_ngt_f64_e64 s1, |v[226:227]|, |v[228:229]|
	s_and_saveexec_b32 s7, s1
	s_xor_b32 s1, exec_lo, s7
	s_cbranch_execz .LBB110_281
; %bb.280:
	v_div_scale_f64 v[210:211], null, v[228:229], v[228:229], v[226:227]
	v_div_scale_f64 v[220:221], vcc_lo, v[226:227], v[228:229], v[226:227]
	v_rcp_f64_e32 v[212:213], v[210:211]
	v_fma_f64 v[218:219], -v[210:211], v[212:213], 1.0
	v_fma_f64 v[212:213], v[212:213], v[218:219], v[212:213]
	v_fma_f64 v[218:219], -v[210:211], v[212:213], 1.0
	v_fma_f64 v[212:213], v[212:213], v[218:219], v[212:213]
	v_mul_f64 v[218:219], v[220:221], v[212:213]
	v_fma_f64 v[210:211], -v[210:211], v[218:219], v[220:221]
	v_div_fmas_f64 v[210:211], v[210:211], v[212:213], v[218:219]
	v_div_fixup_f64 v[210:211], v[210:211], v[228:229], v[226:227]
	v_fma_f64 v[212:213], v[226:227], v[210:211], v[228:229]
	v_div_scale_f64 v[218:219], null, v[212:213], v[212:213], 1.0
	v_rcp_f64_e32 v[220:221], v[218:219]
	v_fma_f64 v[222:223], -v[218:219], v[220:221], 1.0
	v_fma_f64 v[220:221], v[220:221], v[222:223], v[220:221]
	v_fma_f64 v[222:223], -v[218:219], v[220:221], 1.0
	v_fma_f64 v[220:221], v[220:221], v[222:223], v[220:221]
	v_div_scale_f64 v[222:223], vcc_lo, 1.0, v[212:213], 1.0
	v_mul_f64 v[224:225], v[222:223], v[220:221]
	v_fma_f64 v[218:219], -v[218:219], v[224:225], v[222:223]
	v_div_fmas_f64 v[218:219], v[218:219], v[220:221], v[224:225]
	v_div_fixup_f64 v[228:229], v[218:219], v[212:213], 1.0
	v_mul_f64 v[226:227], v[210:211], v[228:229]
	v_xor_b32_e32 v229, 0x80000000, v229
.LBB110_281:
	s_andn2_saveexec_b32 s1, s1
	s_cbranch_execz .LBB110_283
; %bb.282:
	v_div_scale_f64 v[210:211], null, v[226:227], v[226:227], v[228:229]
	v_div_scale_f64 v[220:221], vcc_lo, v[228:229], v[226:227], v[228:229]
	v_rcp_f64_e32 v[212:213], v[210:211]
	v_fma_f64 v[218:219], -v[210:211], v[212:213], 1.0
	v_fma_f64 v[212:213], v[212:213], v[218:219], v[212:213]
	v_fma_f64 v[218:219], -v[210:211], v[212:213], 1.0
	v_fma_f64 v[212:213], v[212:213], v[218:219], v[212:213]
	v_mul_f64 v[218:219], v[220:221], v[212:213]
	v_fma_f64 v[210:211], -v[210:211], v[218:219], v[220:221]
	v_div_fmas_f64 v[210:211], v[210:211], v[212:213], v[218:219]
	v_div_fixup_f64 v[210:211], v[210:211], v[226:227], v[228:229]
	v_fma_f64 v[212:213], v[228:229], v[210:211], v[226:227]
	v_div_scale_f64 v[218:219], null, v[212:213], v[212:213], 1.0
	v_rcp_f64_e32 v[220:221], v[218:219]
	v_fma_f64 v[222:223], -v[218:219], v[220:221], 1.0
	v_fma_f64 v[220:221], v[220:221], v[222:223], v[220:221]
	v_fma_f64 v[222:223], -v[218:219], v[220:221], 1.0
	v_fma_f64 v[220:221], v[220:221], v[222:223], v[220:221]
	v_div_scale_f64 v[222:223], vcc_lo, 1.0, v[212:213], 1.0
	v_mul_f64 v[224:225], v[222:223], v[220:221]
	v_fma_f64 v[218:219], -v[218:219], v[224:225], v[222:223]
	v_div_fmas_f64 v[218:219], v[218:219], v[220:221], v[224:225]
	v_div_fixup_f64 v[226:227], v[218:219], v[212:213], 1.0
	v_mul_f64 v[228:229], v[210:211], -v[226:227]
.LBB110_283:
	s_or_b32 exec_lo, exec_lo, s1
.LBB110_284:
	s_or_b32 exec_lo, exec_lo, s0
	s_mov_b32 s0, exec_lo
	v_cmpx_ne_u32_e64 v240, v234
	s_xor_b32 s0, exec_lo, s0
	s_cbranch_execz .LBB110_290
; %bb.285:
	s_mov_b32 s1, exec_lo
	v_cmpx_eq_u32_e32 13, v240
	s_cbranch_execz .LBB110_289
; %bb.286:
	v_cmp_ne_u32_e32 vcc_lo, 13, v234
	s_xor_b32 s7, s16, -1
	s_and_b32 s9, s7, vcc_lo
	s_and_saveexec_b32 s7, s9
	s_cbranch_execz .LBB110_288
; %bb.287:
	v_ashrrev_i32_e32 v235, 31, v234
	v_lshlrev_b64 v[210:211], 2, v[234:235]
	v_add_co_u32 v210, vcc_lo, v214, v210
	v_add_co_ci_u32_e64 v211, null, v215, v211, vcc_lo
	s_clause 0x1
	global_load_dword v0, v[210:211], off
	global_load_dword v212, v[214:215], off offset:52
	s_waitcnt vmcnt(1)
	global_store_dword v[214:215], v0, off offset:52
	s_waitcnt vmcnt(0)
	global_store_dword v[210:211], v212, off
.LBB110_288:
	s_or_b32 exec_lo, exec_lo, s7
	v_mov_b32_e32 v240, v234
	v_mov_b32_e32 v0, v234
.LBB110_289:
	s_or_b32 exec_lo, exec_lo, s1
.LBB110_290:
	s_andn2_saveexec_b32 s0, s0
	s_cbranch_execz .LBB110_292
; %bb.291:
	v_mov_b32_e32 v240, 13
	ds_write2_b64 v1, v[166:167], v[168:169] offset0:28 offset1:29
	ds_write2_b64 v1, v[162:163], v[164:165] offset0:30 offset1:31
	;; [unrolled: 1-line block ×42, first 2 shown]
.LBB110_292:
	s_or_b32 exec_lo, exec_lo, s0
	s_mov_b32 s0, exec_lo
	s_waitcnt lgkmcnt(0)
	s_waitcnt_vscnt null, 0x0
	s_barrier
	buffer_gl0_inv
	v_cmpx_lt_i32_e32 13, v240
	s_cbranch_execz .LBB110_294
; %bb.293:
	v_mul_f64 v[210:211], v[228:229], v[172:173]
	v_mul_f64 v[172:173], v[226:227], v[172:173]
	v_fma_f64 v[234:235], v[226:227], v[170:171], -v[210:211]
	v_fma_f64 v[172:173], v[228:229], v[170:171], v[172:173]
	ds_read2_b64 v[226:229], v1 offset0:28 offset1:29
	s_waitcnt lgkmcnt(0)
	v_mul_f64 v[170:171], v[228:229], v[172:173]
	v_mul_f64 v[210:211], v[226:227], v[172:173]
	v_fma_f64 v[170:171], v[226:227], v[234:235], -v[170:171]
	v_fma_f64 v[210:211], v[228:229], v[234:235], v[210:211]
	ds_read2_b64 v[226:229], v1 offset0:30 offset1:31
	v_add_f64 v[166:167], v[166:167], -v[170:171]
	v_add_f64 v[168:169], v[168:169], -v[210:211]
	s_waitcnt lgkmcnt(0)
	v_mul_f64 v[170:171], v[228:229], v[172:173]
	v_mul_f64 v[210:211], v[226:227], v[172:173]
	v_fma_f64 v[170:171], v[226:227], v[234:235], -v[170:171]
	v_fma_f64 v[210:211], v[228:229], v[234:235], v[210:211]
	ds_read2_b64 v[226:229], v1 offset0:32 offset1:33
	v_add_f64 v[162:163], v[162:163], -v[170:171]
	v_add_f64 v[164:165], v[164:165], -v[210:211]
	;; [unrolled: 8-line block ×41, first 2 shown]
	s_waitcnt lgkmcnt(0)
	v_mul_f64 v[170:171], v[228:229], v[172:173]
	v_mul_f64 v[210:211], v[226:227], v[172:173]
	v_fma_f64 v[170:171], v[226:227], v[234:235], -v[170:171]
	v_fma_f64 v[210:211], v[228:229], v[234:235], v[210:211]
	v_add_f64 v[230:231], v[230:231], -v[170:171]
	v_add_f64 v[232:233], v[232:233], -v[210:211]
	v_mov_b32_e32 v170, v234
	v_mov_b32_e32 v171, v235
.LBB110_294:
	s_or_b32 exec_lo, exec_lo, s0
	v_lshl_add_u32 v210, v240, 4, v1
	s_barrier
	buffer_gl0_inv
	v_mov_b32_e32 v234, 14
	ds_write2_b64 v210, v[166:167], v[168:169] offset1:1
	s_waitcnt lgkmcnt(0)
	s_barrier
	buffer_gl0_inv
	ds_read2_b64 v[226:229], v1 offset0:28 offset1:29
	s_cmp_lt_i32 s8, 16
	s_cbranch_scc1 .LBB110_297
; %bb.295:
	v_add3_u32 v235, v253, 0, 0xf0
	v_mov_b32_e32 v234, 14
	s_mov_b32 s1, 15
	s_inst_prefetch 0x1
	.p2align	6
.LBB110_296:                            ; =>This Inner Loop Header: Depth=1
	s_waitcnt lgkmcnt(0)
	v_cmp_gt_f64_e32 vcc_lo, 0, v[228:229]
	v_cmp_gt_f64_e64 s0, 0, v[226:227]
	ds_read2_b64 v[241:244], v235 offset1:1
	v_xor_b32_e32 v211, 0x80000000, v227
	v_xor_b32_e32 v213, 0x80000000, v229
	v_mov_b32_e32 v210, v226
	v_mov_b32_e32 v212, v228
	v_add_nc_u32_e32 v235, 16, v235
	s_waitcnt lgkmcnt(0)
	v_xor_b32_e32 v219, 0x80000000, v244
	v_cndmask_b32_e64 v211, v227, v211, s0
	v_cndmask_b32_e32 v213, v229, v213, vcc_lo
	v_cmp_gt_f64_e32 vcc_lo, 0, v[243:244]
	v_cmp_gt_f64_e64 s0, 0, v[241:242]
	v_mov_b32_e32 v218, v243
	v_add_f64 v[210:211], v[210:211], v[212:213]
	v_xor_b32_e32 v213, 0x80000000, v242
	v_mov_b32_e32 v212, v241
	v_cndmask_b32_e32 v219, v244, v219, vcc_lo
	v_cndmask_b32_e64 v213, v242, v213, s0
	v_add_f64 v[212:213], v[212:213], v[218:219]
	v_cmp_lt_f64_e32 vcc_lo, v[210:211], v[212:213]
	v_cndmask_b32_e32 v227, v227, v242, vcc_lo
	v_cndmask_b32_e32 v226, v226, v241, vcc_lo
	;; [unrolled: 1-line block ×4, first 2 shown]
	v_cndmask_b32_e64 v234, v234, s1, vcc_lo
	s_add_i32 s1, s1, 1
	s_cmp_lg_u32 s8, s1
	s_cbranch_scc1 .LBB110_296
.LBB110_297:
	s_inst_prefetch 0x2
	s_waitcnt lgkmcnt(0)
	v_cmp_eq_f64_e32 vcc_lo, 0, v[226:227]
	v_cmp_eq_f64_e64 s0, 0, v[228:229]
	s_and_b32 s0, vcc_lo, s0
	s_and_saveexec_b32 s1, s0
	s_xor_b32 s0, exec_lo, s1
; %bb.298:
	v_cmp_ne_u32_e32 vcc_lo, 0, v239
	v_cndmask_b32_e32 v239, 15, v239, vcc_lo
; %bb.299:
	s_andn2_saveexec_b32 s0, s0
	s_cbranch_execz .LBB110_305
; %bb.300:
	v_cmp_ngt_f64_e64 s1, |v[226:227]|, |v[228:229]|
	s_and_saveexec_b32 s7, s1
	s_xor_b32 s1, exec_lo, s7
	s_cbranch_execz .LBB110_302
; %bb.301:
	v_div_scale_f64 v[210:211], null, v[228:229], v[228:229], v[226:227]
	v_div_scale_f64 v[220:221], vcc_lo, v[226:227], v[228:229], v[226:227]
	v_rcp_f64_e32 v[212:213], v[210:211]
	v_fma_f64 v[218:219], -v[210:211], v[212:213], 1.0
	v_fma_f64 v[212:213], v[212:213], v[218:219], v[212:213]
	v_fma_f64 v[218:219], -v[210:211], v[212:213], 1.0
	v_fma_f64 v[212:213], v[212:213], v[218:219], v[212:213]
	v_mul_f64 v[218:219], v[220:221], v[212:213]
	v_fma_f64 v[210:211], -v[210:211], v[218:219], v[220:221]
	v_div_fmas_f64 v[210:211], v[210:211], v[212:213], v[218:219]
	v_div_fixup_f64 v[210:211], v[210:211], v[228:229], v[226:227]
	v_fma_f64 v[212:213], v[226:227], v[210:211], v[228:229]
	v_div_scale_f64 v[218:219], null, v[212:213], v[212:213], 1.0
	v_rcp_f64_e32 v[220:221], v[218:219]
	v_fma_f64 v[222:223], -v[218:219], v[220:221], 1.0
	v_fma_f64 v[220:221], v[220:221], v[222:223], v[220:221]
	v_fma_f64 v[222:223], -v[218:219], v[220:221], 1.0
	v_fma_f64 v[220:221], v[220:221], v[222:223], v[220:221]
	v_div_scale_f64 v[222:223], vcc_lo, 1.0, v[212:213], 1.0
	v_mul_f64 v[224:225], v[222:223], v[220:221]
	v_fma_f64 v[218:219], -v[218:219], v[224:225], v[222:223]
	v_div_fmas_f64 v[218:219], v[218:219], v[220:221], v[224:225]
	v_div_fixup_f64 v[228:229], v[218:219], v[212:213], 1.0
	v_mul_f64 v[226:227], v[210:211], v[228:229]
	v_xor_b32_e32 v229, 0x80000000, v229
.LBB110_302:
	s_andn2_saveexec_b32 s1, s1
	s_cbranch_execz .LBB110_304
; %bb.303:
	v_div_scale_f64 v[210:211], null, v[226:227], v[226:227], v[228:229]
	v_div_scale_f64 v[220:221], vcc_lo, v[228:229], v[226:227], v[228:229]
	v_rcp_f64_e32 v[212:213], v[210:211]
	v_fma_f64 v[218:219], -v[210:211], v[212:213], 1.0
	v_fma_f64 v[212:213], v[212:213], v[218:219], v[212:213]
	v_fma_f64 v[218:219], -v[210:211], v[212:213], 1.0
	v_fma_f64 v[212:213], v[212:213], v[218:219], v[212:213]
	v_mul_f64 v[218:219], v[220:221], v[212:213]
	v_fma_f64 v[210:211], -v[210:211], v[218:219], v[220:221]
	v_div_fmas_f64 v[210:211], v[210:211], v[212:213], v[218:219]
	v_div_fixup_f64 v[210:211], v[210:211], v[226:227], v[228:229]
	v_fma_f64 v[212:213], v[228:229], v[210:211], v[226:227]
	v_div_scale_f64 v[218:219], null, v[212:213], v[212:213], 1.0
	v_rcp_f64_e32 v[220:221], v[218:219]
	v_fma_f64 v[222:223], -v[218:219], v[220:221], 1.0
	v_fma_f64 v[220:221], v[220:221], v[222:223], v[220:221]
	v_fma_f64 v[222:223], -v[218:219], v[220:221], 1.0
	v_fma_f64 v[220:221], v[220:221], v[222:223], v[220:221]
	v_div_scale_f64 v[222:223], vcc_lo, 1.0, v[212:213], 1.0
	v_mul_f64 v[224:225], v[222:223], v[220:221]
	v_fma_f64 v[218:219], -v[218:219], v[224:225], v[222:223]
	v_div_fmas_f64 v[218:219], v[218:219], v[220:221], v[224:225]
	v_div_fixup_f64 v[226:227], v[218:219], v[212:213], 1.0
	v_mul_f64 v[228:229], v[210:211], -v[226:227]
.LBB110_304:
	s_or_b32 exec_lo, exec_lo, s1
.LBB110_305:
	s_or_b32 exec_lo, exec_lo, s0
	s_mov_b32 s0, exec_lo
	v_cmpx_ne_u32_e64 v240, v234
	s_xor_b32 s0, exec_lo, s0
	s_cbranch_execz .LBB110_311
; %bb.306:
	s_mov_b32 s1, exec_lo
	v_cmpx_eq_u32_e32 14, v240
	s_cbranch_execz .LBB110_310
; %bb.307:
	v_cmp_ne_u32_e32 vcc_lo, 14, v234
	s_xor_b32 s7, s16, -1
	s_and_b32 s9, s7, vcc_lo
	s_and_saveexec_b32 s7, s9
	s_cbranch_execz .LBB110_309
; %bb.308:
	v_ashrrev_i32_e32 v235, 31, v234
	v_lshlrev_b64 v[210:211], 2, v[234:235]
	v_add_co_u32 v210, vcc_lo, v214, v210
	v_add_co_ci_u32_e64 v211, null, v215, v211, vcc_lo
	s_clause 0x1
	global_load_dword v0, v[210:211], off
	global_load_dword v212, v[214:215], off offset:56
	s_waitcnt vmcnt(1)
	global_store_dword v[214:215], v0, off offset:56
	s_waitcnt vmcnt(0)
	global_store_dword v[210:211], v212, off
.LBB110_309:
	s_or_b32 exec_lo, exec_lo, s7
	v_mov_b32_e32 v240, v234
	v_mov_b32_e32 v0, v234
.LBB110_310:
	s_or_b32 exec_lo, exec_lo, s1
.LBB110_311:
	s_andn2_saveexec_b32 s0, s0
	s_cbranch_execz .LBB110_313
; %bb.312:
	v_mov_b32_e32 v240, 14
	ds_write2_b64 v1, v[162:163], v[164:165] offset0:30 offset1:31
	ds_write2_b64 v1, v[158:159], v[160:161] offset0:32 offset1:33
	ds_write2_b64 v1, v[154:155], v[156:157] offset0:34 offset1:35
	ds_write2_b64 v1, v[150:151], v[152:153] offset0:36 offset1:37
	ds_write2_b64 v1, v[146:147], v[148:149] offset0:38 offset1:39
	ds_write2_b64 v1, v[142:143], v[144:145] offset0:40 offset1:41
	ds_write2_b64 v1, v[138:139], v[140:141] offset0:42 offset1:43
	ds_write2_b64 v1, v[134:135], v[136:137] offset0:44 offset1:45
	ds_write2_b64 v1, v[130:131], v[132:133] offset0:46 offset1:47
	ds_write2_b64 v1, v[126:127], v[128:129] offset0:48 offset1:49
	ds_write2_b64 v1, v[122:123], v[124:125] offset0:50 offset1:51
	ds_write2_b64 v1, v[118:119], v[120:121] offset0:52 offset1:53
	ds_write2_b64 v1, v[114:115], v[116:117] offset0:54 offset1:55
	ds_write2_b64 v1, v[110:111], v[112:113] offset0:56 offset1:57
	ds_write2_b64 v1, v[106:107], v[108:109] offset0:58 offset1:59
	ds_write2_b64 v1, v[102:103], v[104:105] offset0:60 offset1:61
	ds_write2_b64 v1, v[98:99], v[100:101] offset0:62 offset1:63
	ds_write2_b64 v1, v[94:95], v[96:97] offset0:64 offset1:65
	ds_write2_b64 v1, v[90:91], v[92:93] offset0:66 offset1:67
	ds_write2_b64 v1, v[86:87], v[88:89] offset0:68 offset1:69
	ds_write2_b64 v1, v[82:83], v[84:85] offset0:70 offset1:71
	ds_write2_b64 v1, v[78:79], v[80:81] offset0:72 offset1:73
	ds_write2_b64 v1, v[74:75], v[76:77] offset0:74 offset1:75
	ds_write2_b64 v1, v[70:71], v[72:73] offset0:76 offset1:77
	ds_write2_b64 v1, v[66:67], v[68:69] offset0:78 offset1:79
	ds_write2_b64 v1, v[62:63], v[64:65] offset0:80 offset1:81
	ds_write2_b64 v1, v[58:59], v[60:61] offset0:82 offset1:83
	ds_write2_b64 v1, v[54:55], v[56:57] offset0:84 offset1:85
	ds_write2_b64 v1, v[50:51], v[52:53] offset0:86 offset1:87
	ds_write2_b64 v1, v[46:47], v[48:49] offset0:88 offset1:89
	ds_write2_b64 v1, v[42:43], v[44:45] offset0:90 offset1:91
	ds_write2_b64 v1, v[38:39], v[40:41] offset0:92 offset1:93
	ds_write2_b64 v1, v[34:35], v[36:37] offset0:94 offset1:95
	ds_write2_b64 v1, v[30:31], v[32:33] offset0:96 offset1:97
	ds_write2_b64 v1, v[26:27], v[28:29] offset0:98 offset1:99
	ds_write2_b64 v1, v[22:23], v[24:25] offset0:100 offset1:101
	ds_write2_b64 v1, v[18:19], v[20:21] offset0:102 offset1:103
	ds_write2_b64 v1, v[14:15], v[16:17] offset0:104 offset1:105
	ds_write2_b64 v1, v[10:11], v[12:13] offset0:106 offset1:107
	ds_write2_b64 v1, v[249:250], v[251:252] offset0:108 offset1:109
	ds_write2_b64 v1, v[230:231], v[232:233] offset0:110 offset1:111
.LBB110_313:
	s_or_b32 exec_lo, exec_lo, s0
	s_mov_b32 s0, exec_lo
	s_waitcnt lgkmcnt(0)
	s_waitcnt_vscnt null, 0x0
	s_barrier
	buffer_gl0_inv
	v_cmpx_lt_i32_e32 14, v240
	s_cbranch_execz .LBB110_315
; %bb.314:
	v_mul_f64 v[210:211], v[228:229], v[168:169]
	v_mul_f64 v[168:169], v[226:227], v[168:169]
	v_fma_f64 v[234:235], v[226:227], v[166:167], -v[210:211]
	v_fma_f64 v[168:169], v[228:229], v[166:167], v[168:169]
	ds_read2_b64 v[226:229], v1 offset0:30 offset1:31
	s_waitcnt lgkmcnt(0)
	v_mul_f64 v[166:167], v[228:229], v[168:169]
	v_mul_f64 v[210:211], v[226:227], v[168:169]
	v_fma_f64 v[166:167], v[226:227], v[234:235], -v[166:167]
	v_fma_f64 v[210:211], v[228:229], v[234:235], v[210:211]
	ds_read2_b64 v[226:229], v1 offset0:32 offset1:33
	v_add_f64 v[162:163], v[162:163], -v[166:167]
	v_add_f64 v[164:165], v[164:165], -v[210:211]
	s_waitcnt lgkmcnt(0)
	v_mul_f64 v[166:167], v[228:229], v[168:169]
	v_mul_f64 v[210:211], v[226:227], v[168:169]
	v_fma_f64 v[166:167], v[226:227], v[234:235], -v[166:167]
	v_fma_f64 v[210:211], v[228:229], v[234:235], v[210:211]
	ds_read2_b64 v[226:229], v1 offset0:34 offset1:35
	v_add_f64 v[158:159], v[158:159], -v[166:167]
	v_add_f64 v[160:161], v[160:161], -v[210:211]
	;; [unrolled: 8-line block ×40, first 2 shown]
	s_waitcnt lgkmcnt(0)
	v_mul_f64 v[166:167], v[228:229], v[168:169]
	v_mul_f64 v[210:211], v[226:227], v[168:169]
	v_fma_f64 v[166:167], v[226:227], v[234:235], -v[166:167]
	v_fma_f64 v[210:211], v[228:229], v[234:235], v[210:211]
	v_add_f64 v[230:231], v[230:231], -v[166:167]
	v_add_f64 v[232:233], v[232:233], -v[210:211]
	v_mov_b32_e32 v166, v234
	v_mov_b32_e32 v167, v235
.LBB110_315:
	s_or_b32 exec_lo, exec_lo, s0
	v_lshl_add_u32 v210, v240, 4, v1
	s_barrier
	buffer_gl0_inv
	v_mov_b32_e32 v234, 15
	ds_write2_b64 v210, v[162:163], v[164:165] offset1:1
	s_waitcnt lgkmcnt(0)
	s_barrier
	buffer_gl0_inv
	ds_read2_b64 v[226:229], v1 offset0:30 offset1:31
	s_cmp_lt_i32 s8, 17
	s_cbranch_scc1 .LBB110_318
; %bb.316:
	v_add3_u32 v235, v253, 0, 0x100
	v_mov_b32_e32 v234, 15
	s_mov_b32 s1, 16
	s_inst_prefetch 0x1
	.p2align	6
.LBB110_317:                            ; =>This Inner Loop Header: Depth=1
	s_waitcnt lgkmcnt(0)
	v_cmp_gt_f64_e32 vcc_lo, 0, v[228:229]
	v_cmp_gt_f64_e64 s0, 0, v[226:227]
	ds_read2_b64 v[241:244], v235 offset1:1
	v_xor_b32_e32 v211, 0x80000000, v227
	v_xor_b32_e32 v213, 0x80000000, v229
	v_mov_b32_e32 v210, v226
	v_mov_b32_e32 v212, v228
	v_add_nc_u32_e32 v235, 16, v235
	s_waitcnt lgkmcnt(0)
	v_xor_b32_e32 v219, 0x80000000, v244
	v_cndmask_b32_e64 v211, v227, v211, s0
	v_cndmask_b32_e32 v213, v229, v213, vcc_lo
	v_cmp_gt_f64_e32 vcc_lo, 0, v[243:244]
	v_cmp_gt_f64_e64 s0, 0, v[241:242]
	v_mov_b32_e32 v218, v243
	v_add_f64 v[210:211], v[210:211], v[212:213]
	v_xor_b32_e32 v213, 0x80000000, v242
	v_mov_b32_e32 v212, v241
	v_cndmask_b32_e32 v219, v244, v219, vcc_lo
	v_cndmask_b32_e64 v213, v242, v213, s0
	v_add_f64 v[212:213], v[212:213], v[218:219]
	v_cmp_lt_f64_e32 vcc_lo, v[210:211], v[212:213]
	v_cndmask_b32_e32 v227, v227, v242, vcc_lo
	v_cndmask_b32_e32 v226, v226, v241, vcc_lo
	;; [unrolled: 1-line block ×4, first 2 shown]
	v_cndmask_b32_e64 v234, v234, s1, vcc_lo
	s_add_i32 s1, s1, 1
	s_cmp_lg_u32 s8, s1
	s_cbranch_scc1 .LBB110_317
.LBB110_318:
	s_inst_prefetch 0x2
	s_waitcnt lgkmcnt(0)
	v_cmp_eq_f64_e32 vcc_lo, 0, v[226:227]
	v_cmp_eq_f64_e64 s0, 0, v[228:229]
	s_and_b32 s0, vcc_lo, s0
	s_and_saveexec_b32 s1, s0
	s_xor_b32 s0, exec_lo, s1
; %bb.319:
	v_cmp_ne_u32_e32 vcc_lo, 0, v239
	v_cndmask_b32_e32 v239, 16, v239, vcc_lo
; %bb.320:
	s_andn2_saveexec_b32 s0, s0
	s_cbranch_execz .LBB110_326
; %bb.321:
	v_cmp_ngt_f64_e64 s1, |v[226:227]|, |v[228:229]|
	s_and_saveexec_b32 s7, s1
	s_xor_b32 s1, exec_lo, s7
	s_cbranch_execz .LBB110_323
; %bb.322:
	v_div_scale_f64 v[210:211], null, v[228:229], v[228:229], v[226:227]
	v_div_scale_f64 v[220:221], vcc_lo, v[226:227], v[228:229], v[226:227]
	v_rcp_f64_e32 v[212:213], v[210:211]
	v_fma_f64 v[218:219], -v[210:211], v[212:213], 1.0
	v_fma_f64 v[212:213], v[212:213], v[218:219], v[212:213]
	v_fma_f64 v[218:219], -v[210:211], v[212:213], 1.0
	v_fma_f64 v[212:213], v[212:213], v[218:219], v[212:213]
	v_mul_f64 v[218:219], v[220:221], v[212:213]
	v_fma_f64 v[210:211], -v[210:211], v[218:219], v[220:221]
	v_div_fmas_f64 v[210:211], v[210:211], v[212:213], v[218:219]
	v_div_fixup_f64 v[210:211], v[210:211], v[228:229], v[226:227]
	v_fma_f64 v[212:213], v[226:227], v[210:211], v[228:229]
	v_div_scale_f64 v[218:219], null, v[212:213], v[212:213], 1.0
	v_rcp_f64_e32 v[220:221], v[218:219]
	v_fma_f64 v[222:223], -v[218:219], v[220:221], 1.0
	v_fma_f64 v[220:221], v[220:221], v[222:223], v[220:221]
	v_fma_f64 v[222:223], -v[218:219], v[220:221], 1.0
	v_fma_f64 v[220:221], v[220:221], v[222:223], v[220:221]
	v_div_scale_f64 v[222:223], vcc_lo, 1.0, v[212:213], 1.0
	v_mul_f64 v[224:225], v[222:223], v[220:221]
	v_fma_f64 v[218:219], -v[218:219], v[224:225], v[222:223]
	v_div_fmas_f64 v[218:219], v[218:219], v[220:221], v[224:225]
	v_div_fixup_f64 v[228:229], v[218:219], v[212:213], 1.0
	v_mul_f64 v[226:227], v[210:211], v[228:229]
	v_xor_b32_e32 v229, 0x80000000, v229
.LBB110_323:
	s_andn2_saveexec_b32 s1, s1
	s_cbranch_execz .LBB110_325
; %bb.324:
	v_div_scale_f64 v[210:211], null, v[226:227], v[226:227], v[228:229]
	v_div_scale_f64 v[220:221], vcc_lo, v[228:229], v[226:227], v[228:229]
	v_rcp_f64_e32 v[212:213], v[210:211]
	v_fma_f64 v[218:219], -v[210:211], v[212:213], 1.0
	v_fma_f64 v[212:213], v[212:213], v[218:219], v[212:213]
	v_fma_f64 v[218:219], -v[210:211], v[212:213], 1.0
	v_fma_f64 v[212:213], v[212:213], v[218:219], v[212:213]
	v_mul_f64 v[218:219], v[220:221], v[212:213]
	v_fma_f64 v[210:211], -v[210:211], v[218:219], v[220:221]
	v_div_fmas_f64 v[210:211], v[210:211], v[212:213], v[218:219]
	v_div_fixup_f64 v[210:211], v[210:211], v[226:227], v[228:229]
	v_fma_f64 v[212:213], v[228:229], v[210:211], v[226:227]
	v_div_scale_f64 v[218:219], null, v[212:213], v[212:213], 1.0
	v_rcp_f64_e32 v[220:221], v[218:219]
	v_fma_f64 v[222:223], -v[218:219], v[220:221], 1.0
	v_fma_f64 v[220:221], v[220:221], v[222:223], v[220:221]
	v_fma_f64 v[222:223], -v[218:219], v[220:221], 1.0
	v_fma_f64 v[220:221], v[220:221], v[222:223], v[220:221]
	v_div_scale_f64 v[222:223], vcc_lo, 1.0, v[212:213], 1.0
	v_mul_f64 v[224:225], v[222:223], v[220:221]
	v_fma_f64 v[218:219], -v[218:219], v[224:225], v[222:223]
	v_div_fmas_f64 v[218:219], v[218:219], v[220:221], v[224:225]
	v_div_fixup_f64 v[226:227], v[218:219], v[212:213], 1.0
	v_mul_f64 v[228:229], v[210:211], -v[226:227]
.LBB110_325:
	s_or_b32 exec_lo, exec_lo, s1
.LBB110_326:
	s_or_b32 exec_lo, exec_lo, s0
	s_mov_b32 s0, exec_lo
	v_cmpx_ne_u32_e64 v240, v234
	s_xor_b32 s0, exec_lo, s0
	s_cbranch_execz .LBB110_332
; %bb.327:
	s_mov_b32 s1, exec_lo
	v_cmpx_eq_u32_e32 15, v240
	s_cbranch_execz .LBB110_331
; %bb.328:
	v_cmp_ne_u32_e32 vcc_lo, 15, v234
	s_xor_b32 s7, s16, -1
	s_and_b32 s9, s7, vcc_lo
	s_and_saveexec_b32 s7, s9
	s_cbranch_execz .LBB110_330
; %bb.329:
	v_ashrrev_i32_e32 v235, 31, v234
	v_lshlrev_b64 v[210:211], 2, v[234:235]
	v_add_co_u32 v210, vcc_lo, v214, v210
	v_add_co_ci_u32_e64 v211, null, v215, v211, vcc_lo
	s_clause 0x1
	global_load_dword v0, v[210:211], off
	global_load_dword v212, v[214:215], off offset:60
	s_waitcnt vmcnt(1)
	global_store_dword v[214:215], v0, off offset:60
	s_waitcnt vmcnt(0)
	global_store_dword v[210:211], v212, off
.LBB110_330:
	s_or_b32 exec_lo, exec_lo, s7
	v_mov_b32_e32 v240, v234
	v_mov_b32_e32 v0, v234
.LBB110_331:
	s_or_b32 exec_lo, exec_lo, s1
.LBB110_332:
	s_andn2_saveexec_b32 s0, s0
	s_cbranch_execz .LBB110_334
; %bb.333:
	v_mov_b32_e32 v240, 15
	ds_write2_b64 v1, v[158:159], v[160:161] offset0:32 offset1:33
	ds_write2_b64 v1, v[154:155], v[156:157] offset0:34 offset1:35
	;; [unrolled: 1-line block ×40, first 2 shown]
.LBB110_334:
	s_or_b32 exec_lo, exec_lo, s0
	s_mov_b32 s0, exec_lo
	s_waitcnt lgkmcnt(0)
	s_waitcnt_vscnt null, 0x0
	s_barrier
	buffer_gl0_inv
	v_cmpx_lt_i32_e32 15, v240
	s_cbranch_execz .LBB110_336
; %bb.335:
	v_mul_f64 v[210:211], v[228:229], v[164:165]
	v_mul_f64 v[164:165], v[226:227], v[164:165]
	v_fma_f64 v[234:235], v[226:227], v[162:163], -v[210:211]
	v_fma_f64 v[164:165], v[228:229], v[162:163], v[164:165]
	ds_read2_b64 v[226:229], v1 offset0:32 offset1:33
	s_waitcnt lgkmcnt(0)
	v_mul_f64 v[162:163], v[228:229], v[164:165]
	v_mul_f64 v[210:211], v[226:227], v[164:165]
	v_fma_f64 v[162:163], v[226:227], v[234:235], -v[162:163]
	v_fma_f64 v[210:211], v[228:229], v[234:235], v[210:211]
	ds_read2_b64 v[226:229], v1 offset0:34 offset1:35
	v_add_f64 v[158:159], v[158:159], -v[162:163]
	v_add_f64 v[160:161], v[160:161], -v[210:211]
	s_waitcnt lgkmcnt(0)
	v_mul_f64 v[162:163], v[228:229], v[164:165]
	v_mul_f64 v[210:211], v[226:227], v[164:165]
	v_fma_f64 v[162:163], v[226:227], v[234:235], -v[162:163]
	v_fma_f64 v[210:211], v[228:229], v[234:235], v[210:211]
	ds_read2_b64 v[226:229], v1 offset0:36 offset1:37
	v_add_f64 v[154:155], v[154:155], -v[162:163]
	v_add_f64 v[156:157], v[156:157], -v[210:211]
	;; [unrolled: 8-line block ×39, first 2 shown]
	s_waitcnt lgkmcnt(0)
	v_mul_f64 v[162:163], v[228:229], v[164:165]
	v_mul_f64 v[210:211], v[226:227], v[164:165]
	v_fma_f64 v[162:163], v[226:227], v[234:235], -v[162:163]
	v_fma_f64 v[210:211], v[228:229], v[234:235], v[210:211]
	v_add_f64 v[230:231], v[230:231], -v[162:163]
	v_add_f64 v[232:233], v[232:233], -v[210:211]
	v_mov_b32_e32 v162, v234
	v_mov_b32_e32 v163, v235
.LBB110_336:
	s_or_b32 exec_lo, exec_lo, s0
	v_lshl_add_u32 v210, v240, 4, v1
	s_barrier
	buffer_gl0_inv
	v_mov_b32_e32 v234, 16
	ds_write2_b64 v210, v[158:159], v[160:161] offset1:1
	s_waitcnt lgkmcnt(0)
	s_barrier
	buffer_gl0_inv
	ds_read2_b64 v[226:229], v1 offset0:32 offset1:33
	s_cmp_lt_i32 s8, 18
	s_cbranch_scc1 .LBB110_339
; %bb.337:
	v_add3_u32 v235, v253, 0, 0x110
	v_mov_b32_e32 v234, 16
	s_mov_b32 s1, 17
	s_inst_prefetch 0x1
	.p2align	6
.LBB110_338:                            ; =>This Inner Loop Header: Depth=1
	s_waitcnt lgkmcnt(0)
	v_cmp_gt_f64_e32 vcc_lo, 0, v[228:229]
	v_cmp_gt_f64_e64 s0, 0, v[226:227]
	ds_read2_b64 v[241:244], v235 offset1:1
	v_xor_b32_e32 v211, 0x80000000, v227
	v_xor_b32_e32 v213, 0x80000000, v229
	v_mov_b32_e32 v210, v226
	v_mov_b32_e32 v212, v228
	v_add_nc_u32_e32 v235, 16, v235
	s_waitcnt lgkmcnt(0)
	v_xor_b32_e32 v219, 0x80000000, v244
	v_cndmask_b32_e64 v211, v227, v211, s0
	v_cndmask_b32_e32 v213, v229, v213, vcc_lo
	v_cmp_gt_f64_e32 vcc_lo, 0, v[243:244]
	v_cmp_gt_f64_e64 s0, 0, v[241:242]
	v_mov_b32_e32 v218, v243
	v_add_f64 v[210:211], v[210:211], v[212:213]
	v_xor_b32_e32 v213, 0x80000000, v242
	v_mov_b32_e32 v212, v241
	v_cndmask_b32_e32 v219, v244, v219, vcc_lo
	v_cndmask_b32_e64 v213, v242, v213, s0
	v_add_f64 v[212:213], v[212:213], v[218:219]
	v_cmp_lt_f64_e32 vcc_lo, v[210:211], v[212:213]
	v_cndmask_b32_e32 v227, v227, v242, vcc_lo
	v_cndmask_b32_e32 v226, v226, v241, vcc_lo
	;; [unrolled: 1-line block ×4, first 2 shown]
	v_cndmask_b32_e64 v234, v234, s1, vcc_lo
	s_add_i32 s1, s1, 1
	s_cmp_lg_u32 s8, s1
	s_cbranch_scc1 .LBB110_338
.LBB110_339:
	s_inst_prefetch 0x2
	s_waitcnt lgkmcnt(0)
	v_cmp_eq_f64_e32 vcc_lo, 0, v[226:227]
	v_cmp_eq_f64_e64 s0, 0, v[228:229]
	s_and_b32 s0, vcc_lo, s0
	s_and_saveexec_b32 s1, s0
	s_xor_b32 s0, exec_lo, s1
; %bb.340:
	v_cmp_ne_u32_e32 vcc_lo, 0, v239
	v_cndmask_b32_e32 v239, 17, v239, vcc_lo
; %bb.341:
	s_andn2_saveexec_b32 s0, s0
	s_cbranch_execz .LBB110_347
; %bb.342:
	v_cmp_ngt_f64_e64 s1, |v[226:227]|, |v[228:229]|
	s_and_saveexec_b32 s7, s1
	s_xor_b32 s1, exec_lo, s7
	s_cbranch_execz .LBB110_344
; %bb.343:
	v_div_scale_f64 v[210:211], null, v[228:229], v[228:229], v[226:227]
	v_div_scale_f64 v[220:221], vcc_lo, v[226:227], v[228:229], v[226:227]
	v_rcp_f64_e32 v[212:213], v[210:211]
	v_fma_f64 v[218:219], -v[210:211], v[212:213], 1.0
	v_fma_f64 v[212:213], v[212:213], v[218:219], v[212:213]
	v_fma_f64 v[218:219], -v[210:211], v[212:213], 1.0
	v_fma_f64 v[212:213], v[212:213], v[218:219], v[212:213]
	v_mul_f64 v[218:219], v[220:221], v[212:213]
	v_fma_f64 v[210:211], -v[210:211], v[218:219], v[220:221]
	v_div_fmas_f64 v[210:211], v[210:211], v[212:213], v[218:219]
	v_div_fixup_f64 v[210:211], v[210:211], v[228:229], v[226:227]
	v_fma_f64 v[212:213], v[226:227], v[210:211], v[228:229]
	v_div_scale_f64 v[218:219], null, v[212:213], v[212:213], 1.0
	v_rcp_f64_e32 v[220:221], v[218:219]
	v_fma_f64 v[222:223], -v[218:219], v[220:221], 1.0
	v_fma_f64 v[220:221], v[220:221], v[222:223], v[220:221]
	v_fma_f64 v[222:223], -v[218:219], v[220:221], 1.0
	v_fma_f64 v[220:221], v[220:221], v[222:223], v[220:221]
	v_div_scale_f64 v[222:223], vcc_lo, 1.0, v[212:213], 1.0
	v_mul_f64 v[224:225], v[222:223], v[220:221]
	v_fma_f64 v[218:219], -v[218:219], v[224:225], v[222:223]
	v_div_fmas_f64 v[218:219], v[218:219], v[220:221], v[224:225]
	v_div_fixup_f64 v[228:229], v[218:219], v[212:213], 1.0
	v_mul_f64 v[226:227], v[210:211], v[228:229]
	v_xor_b32_e32 v229, 0x80000000, v229
.LBB110_344:
	s_andn2_saveexec_b32 s1, s1
	s_cbranch_execz .LBB110_346
; %bb.345:
	v_div_scale_f64 v[210:211], null, v[226:227], v[226:227], v[228:229]
	v_div_scale_f64 v[220:221], vcc_lo, v[228:229], v[226:227], v[228:229]
	v_rcp_f64_e32 v[212:213], v[210:211]
	v_fma_f64 v[218:219], -v[210:211], v[212:213], 1.0
	v_fma_f64 v[212:213], v[212:213], v[218:219], v[212:213]
	v_fma_f64 v[218:219], -v[210:211], v[212:213], 1.0
	v_fma_f64 v[212:213], v[212:213], v[218:219], v[212:213]
	v_mul_f64 v[218:219], v[220:221], v[212:213]
	v_fma_f64 v[210:211], -v[210:211], v[218:219], v[220:221]
	v_div_fmas_f64 v[210:211], v[210:211], v[212:213], v[218:219]
	v_div_fixup_f64 v[210:211], v[210:211], v[226:227], v[228:229]
	v_fma_f64 v[212:213], v[228:229], v[210:211], v[226:227]
	v_div_scale_f64 v[218:219], null, v[212:213], v[212:213], 1.0
	v_rcp_f64_e32 v[220:221], v[218:219]
	v_fma_f64 v[222:223], -v[218:219], v[220:221], 1.0
	v_fma_f64 v[220:221], v[220:221], v[222:223], v[220:221]
	v_fma_f64 v[222:223], -v[218:219], v[220:221], 1.0
	v_fma_f64 v[220:221], v[220:221], v[222:223], v[220:221]
	v_div_scale_f64 v[222:223], vcc_lo, 1.0, v[212:213], 1.0
	v_mul_f64 v[224:225], v[222:223], v[220:221]
	v_fma_f64 v[218:219], -v[218:219], v[224:225], v[222:223]
	v_div_fmas_f64 v[218:219], v[218:219], v[220:221], v[224:225]
	v_div_fixup_f64 v[226:227], v[218:219], v[212:213], 1.0
	v_mul_f64 v[228:229], v[210:211], -v[226:227]
.LBB110_346:
	s_or_b32 exec_lo, exec_lo, s1
.LBB110_347:
	s_or_b32 exec_lo, exec_lo, s0
	s_mov_b32 s0, exec_lo
	v_cmpx_ne_u32_e64 v240, v234
	s_xor_b32 s0, exec_lo, s0
	s_cbranch_execz .LBB110_353
; %bb.348:
	s_mov_b32 s1, exec_lo
	v_cmpx_eq_u32_e32 16, v240
	s_cbranch_execz .LBB110_352
; %bb.349:
	v_cmp_ne_u32_e32 vcc_lo, 16, v234
	s_xor_b32 s7, s16, -1
	s_and_b32 s9, s7, vcc_lo
	s_and_saveexec_b32 s7, s9
	s_cbranch_execz .LBB110_351
; %bb.350:
	v_ashrrev_i32_e32 v235, 31, v234
	v_lshlrev_b64 v[210:211], 2, v[234:235]
	v_add_co_u32 v210, vcc_lo, v214, v210
	v_add_co_ci_u32_e64 v211, null, v215, v211, vcc_lo
	s_clause 0x1
	global_load_dword v0, v[210:211], off
	global_load_dword v212, v[214:215], off offset:64
	s_waitcnt vmcnt(1)
	global_store_dword v[214:215], v0, off offset:64
	s_waitcnt vmcnt(0)
	global_store_dword v[210:211], v212, off
.LBB110_351:
	s_or_b32 exec_lo, exec_lo, s7
	v_mov_b32_e32 v240, v234
	v_mov_b32_e32 v0, v234
.LBB110_352:
	s_or_b32 exec_lo, exec_lo, s1
.LBB110_353:
	s_andn2_saveexec_b32 s0, s0
	s_cbranch_execz .LBB110_355
; %bb.354:
	v_mov_b32_e32 v240, 16
	ds_write2_b64 v1, v[154:155], v[156:157] offset0:34 offset1:35
	ds_write2_b64 v1, v[150:151], v[152:153] offset0:36 offset1:37
	;; [unrolled: 1-line block ×39, first 2 shown]
.LBB110_355:
	s_or_b32 exec_lo, exec_lo, s0
	s_mov_b32 s0, exec_lo
	s_waitcnt lgkmcnt(0)
	s_waitcnt_vscnt null, 0x0
	s_barrier
	buffer_gl0_inv
	v_cmpx_lt_i32_e32 16, v240
	s_cbranch_execz .LBB110_357
; %bb.356:
	v_mul_f64 v[210:211], v[228:229], v[160:161]
	v_mul_f64 v[160:161], v[226:227], v[160:161]
	v_fma_f64 v[234:235], v[226:227], v[158:159], -v[210:211]
	v_fma_f64 v[160:161], v[228:229], v[158:159], v[160:161]
	ds_read2_b64 v[226:229], v1 offset0:34 offset1:35
	s_waitcnt lgkmcnt(0)
	v_mul_f64 v[158:159], v[228:229], v[160:161]
	v_mul_f64 v[210:211], v[226:227], v[160:161]
	v_fma_f64 v[158:159], v[226:227], v[234:235], -v[158:159]
	v_fma_f64 v[210:211], v[228:229], v[234:235], v[210:211]
	ds_read2_b64 v[226:229], v1 offset0:36 offset1:37
	v_add_f64 v[154:155], v[154:155], -v[158:159]
	v_add_f64 v[156:157], v[156:157], -v[210:211]
	s_waitcnt lgkmcnt(0)
	v_mul_f64 v[158:159], v[228:229], v[160:161]
	v_mul_f64 v[210:211], v[226:227], v[160:161]
	v_fma_f64 v[158:159], v[226:227], v[234:235], -v[158:159]
	v_fma_f64 v[210:211], v[228:229], v[234:235], v[210:211]
	ds_read2_b64 v[226:229], v1 offset0:38 offset1:39
	v_add_f64 v[150:151], v[150:151], -v[158:159]
	v_add_f64 v[152:153], v[152:153], -v[210:211]
	;; [unrolled: 8-line block ×38, first 2 shown]
	s_waitcnt lgkmcnt(0)
	v_mul_f64 v[158:159], v[228:229], v[160:161]
	v_mul_f64 v[210:211], v[226:227], v[160:161]
	v_fma_f64 v[158:159], v[226:227], v[234:235], -v[158:159]
	v_fma_f64 v[210:211], v[228:229], v[234:235], v[210:211]
	v_add_f64 v[230:231], v[230:231], -v[158:159]
	v_add_f64 v[232:233], v[232:233], -v[210:211]
	v_mov_b32_e32 v158, v234
	v_mov_b32_e32 v159, v235
.LBB110_357:
	s_or_b32 exec_lo, exec_lo, s0
	v_lshl_add_u32 v210, v240, 4, v1
	s_barrier
	buffer_gl0_inv
	v_mov_b32_e32 v234, 17
	ds_write2_b64 v210, v[154:155], v[156:157] offset1:1
	s_waitcnt lgkmcnt(0)
	s_barrier
	buffer_gl0_inv
	ds_read2_b64 v[226:229], v1 offset0:34 offset1:35
	s_cmp_lt_i32 s8, 19
	s_cbranch_scc1 .LBB110_360
; %bb.358:
	v_add3_u32 v235, v253, 0, 0x120
	v_mov_b32_e32 v234, 17
	s_mov_b32 s1, 18
	s_inst_prefetch 0x1
	.p2align	6
.LBB110_359:                            ; =>This Inner Loop Header: Depth=1
	s_waitcnt lgkmcnt(0)
	v_cmp_gt_f64_e32 vcc_lo, 0, v[228:229]
	v_cmp_gt_f64_e64 s0, 0, v[226:227]
	ds_read2_b64 v[241:244], v235 offset1:1
	v_xor_b32_e32 v211, 0x80000000, v227
	v_xor_b32_e32 v213, 0x80000000, v229
	v_mov_b32_e32 v210, v226
	v_mov_b32_e32 v212, v228
	v_add_nc_u32_e32 v235, 16, v235
	s_waitcnt lgkmcnt(0)
	v_xor_b32_e32 v219, 0x80000000, v244
	v_cndmask_b32_e64 v211, v227, v211, s0
	v_cndmask_b32_e32 v213, v229, v213, vcc_lo
	v_cmp_gt_f64_e32 vcc_lo, 0, v[243:244]
	v_cmp_gt_f64_e64 s0, 0, v[241:242]
	v_mov_b32_e32 v218, v243
	v_add_f64 v[210:211], v[210:211], v[212:213]
	v_xor_b32_e32 v213, 0x80000000, v242
	v_mov_b32_e32 v212, v241
	v_cndmask_b32_e32 v219, v244, v219, vcc_lo
	v_cndmask_b32_e64 v213, v242, v213, s0
	v_add_f64 v[212:213], v[212:213], v[218:219]
	v_cmp_lt_f64_e32 vcc_lo, v[210:211], v[212:213]
	v_cndmask_b32_e32 v227, v227, v242, vcc_lo
	v_cndmask_b32_e32 v226, v226, v241, vcc_lo
	;; [unrolled: 1-line block ×4, first 2 shown]
	v_cndmask_b32_e64 v234, v234, s1, vcc_lo
	s_add_i32 s1, s1, 1
	s_cmp_lg_u32 s8, s1
	s_cbranch_scc1 .LBB110_359
.LBB110_360:
	s_inst_prefetch 0x2
	s_waitcnt lgkmcnt(0)
	v_cmp_eq_f64_e32 vcc_lo, 0, v[226:227]
	v_cmp_eq_f64_e64 s0, 0, v[228:229]
	s_and_b32 s0, vcc_lo, s0
	s_and_saveexec_b32 s1, s0
	s_xor_b32 s0, exec_lo, s1
; %bb.361:
	v_cmp_ne_u32_e32 vcc_lo, 0, v239
	v_cndmask_b32_e32 v239, 18, v239, vcc_lo
; %bb.362:
	s_andn2_saveexec_b32 s0, s0
	s_cbranch_execz .LBB110_368
; %bb.363:
	v_cmp_ngt_f64_e64 s1, |v[226:227]|, |v[228:229]|
	s_and_saveexec_b32 s7, s1
	s_xor_b32 s1, exec_lo, s7
	s_cbranch_execz .LBB110_365
; %bb.364:
	v_div_scale_f64 v[210:211], null, v[228:229], v[228:229], v[226:227]
	v_div_scale_f64 v[220:221], vcc_lo, v[226:227], v[228:229], v[226:227]
	v_rcp_f64_e32 v[212:213], v[210:211]
	v_fma_f64 v[218:219], -v[210:211], v[212:213], 1.0
	v_fma_f64 v[212:213], v[212:213], v[218:219], v[212:213]
	v_fma_f64 v[218:219], -v[210:211], v[212:213], 1.0
	v_fma_f64 v[212:213], v[212:213], v[218:219], v[212:213]
	v_mul_f64 v[218:219], v[220:221], v[212:213]
	v_fma_f64 v[210:211], -v[210:211], v[218:219], v[220:221]
	v_div_fmas_f64 v[210:211], v[210:211], v[212:213], v[218:219]
	v_div_fixup_f64 v[210:211], v[210:211], v[228:229], v[226:227]
	v_fma_f64 v[212:213], v[226:227], v[210:211], v[228:229]
	v_div_scale_f64 v[218:219], null, v[212:213], v[212:213], 1.0
	v_rcp_f64_e32 v[220:221], v[218:219]
	v_fma_f64 v[222:223], -v[218:219], v[220:221], 1.0
	v_fma_f64 v[220:221], v[220:221], v[222:223], v[220:221]
	v_fma_f64 v[222:223], -v[218:219], v[220:221], 1.0
	v_fma_f64 v[220:221], v[220:221], v[222:223], v[220:221]
	v_div_scale_f64 v[222:223], vcc_lo, 1.0, v[212:213], 1.0
	v_mul_f64 v[224:225], v[222:223], v[220:221]
	v_fma_f64 v[218:219], -v[218:219], v[224:225], v[222:223]
	v_div_fmas_f64 v[218:219], v[218:219], v[220:221], v[224:225]
	v_div_fixup_f64 v[228:229], v[218:219], v[212:213], 1.0
	v_mul_f64 v[226:227], v[210:211], v[228:229]
	v_xor_b32_e32 v229, 0x80000000, v229
.LBB110_365:
	s_andn2_saveexec_b32 s1, s1
	s_cbranch_execz .LBB110_367
; %bb.366:
	v_div_scale_f64 v[210:211], null, v[226:227], v[226:227], v[228:229]
	v_div_scale_f64 v[220:221], vcc_lo, v[228:229], v[226:227], v[228:229]
	v_rcp_f64_e32 v[212:213], v[210:211]
	v_fma_f64 v[218:219], -v[210:211], v[212:213], 1.0
	v_fma_f64 v[212:213], v[212:213], v[218:219], v[212:213]
	v_fma_f64 v[218:219], -v[210:211], v[212:213], 1.0
	v_fma_f64 v[212:213], v[212:213], v[218:219], v[212:213]
	v_mul_f64 v[218:219], v[220:221], v[212:213]
	v_fma_f64 v[210:211], -v[210:211], v[218:219], v[220:221]
	v_div_fmas_f64 v[210:211], v[210:211], v[212:213], v[218:219]
	v_div_fixup_f64 v[210:211], v[210:211], v[226:227], v[228:229]
	v_fma_f64 v[212:213], v[228:229], v[210:211], v[226:227]
	v_div_scale_f64 v[218:219], null, v[212:213], v[212:213], 1.0
	v_rcp_f64_e32 v[220:221], v[218:219]
	v_fma_f64 v[222:223], -v[218:219], v[220:221], 1.0
	v_fma_f64 v[220:221], v[220:221], v[222:223], v[220:221]
	v_fma_f64 v[222:223], -v[218:219], v[220:221], 1.0
	v_fma_f64 v[220:221], v[220:221], v[222:223], v[220:221]
	v_div_scale_f64 v[222:223], vcc_lo, 1.0, v[212:213], 1.0
	v_mul_f64 v[224:225], v[222:223], v[220:221]
	v_fma_f64 v[218:219], -v[218:219], v[224:225], v[222:223]
	v_div_fmas_f64 v[218:219], v[218:219], v[220:221], v[224:225]
	v_div_fixup_f64 v[226:227], v[218:219], v[212:213], 1.0
	v_mul_f64 v[228:229], v[210:211], -v[226:227]
.LBB110_367:
	s_or_b32 exec_lo, exec_lo, s1
.LBB110_368:
	s_or_b32 exec_lo, exec_lo, s0
	s_mov_b32 s0, exec_lo
	v_cmpx_ne_u32_e64 v240, v234
	s_xor_b32 s0, exec_lo, s0
	s_cbranch_execz .LBB110_374
; %bb.369:
	s_mov_b32 s1, exec_lo
	v_cmpx_eq_u32_e32 17, v240
	s_cbranch_execz .LBB110_373
; %bb.370:
	v_cmp_ne_u32_e32 vcc_lo, 17, v234
	s_xor_b32 s7, s16, -1
	s_and_b32 s9, s7, vcc_lo
	s_and_saveexec_b32 s7, s9
	s_cbranch_execz .LBB110_372
; %bb.371:
	v_ashrrev_i32_e32 v235, 31, v234
	v_lshlrev_b64 v[210:211], 2, v[234:235]
	v_add_co_u32 v210, vcc_lo, v214, v210
	v_add_co_ci_u32_e64 v211, null, v215, v211, vcc_lo
	s_clause 0x1
	global_load_dword v0, v[210:211], off
	global_load_dword v212, v[214:215], off offset:68
	s_waitcnt vmcnt(1)
	global_store_dword v[214:215], v0, off offset:68
	s_waitcnt vmcnt(0)
	global_store_dword v[210:211], v212, off
.LBB110_372:
	s_or_b32 exec_lo, exec_lo, s7
	v_mov_b32_e32 v240, v234
	v_mov_b32_e32 v0, v234
.LBB110_373:
	s_or_b32 exec_lo, exec_lo, s1
.LBB110_374:
	s_andn2_saveexec_b32 s0, s0
	s_cbranch_execz .LBB110_376
; %bb.375:
	v_mov_b32_e32 v240, 17
	ds_write2_b64 v1, v[150:151], v[152:153] offset0:36 offset1:37
	ds_write2_b64 v1, v[146:147], v[148:149] offset0:38 offset1:39
	;; [unrolled: 1-line block ×38, first 2 shown]
.LBB110_376:
	s_or_b32 exec_lo, exec_lo, s0
	s_mov_b32 s0, exec_lo
	s_waitcnt lgkmcnt(0)
	s_waitcnt_vscnt null, 0x0
	s_barrier
	buffer_gl0_inv
	v_cmpx_lt_i32_e32 17, v240
	s_cbranch_execz .LBB110_378
; %bb.377:
	v_mul_f64 v[210:211], v[228:229], v[156:157]
	v_mul_f64 v[156:157], v[226:227], v[156:157]
	v_fma_f64 v[234:235], v[226:227], v[154:155], -v[210:211]
	v_fma_f64 v[156:157], v[228:229], v[154:155], v[156:157]
	ds_read2_b64 v[226:229], v1 offset0:36 offset1:37
	s_waitcnt lgkmcnt(0)
	v_mul_f64 v[154:155], v[228:229], v[156:157]
	v_mul_f64 v[210:211], v[226:227], v[156:157]
	v_fma_f64 v[154:155], v[226:227], v[234:235], -v[154:155]
	v_fma_f64 v[210:211], v[228:229], v[234:235], v[210:211]
	ds_read2_b64 v[226:229], v1 offset0:38 offset1:39
	v_add_f64 v[150:151], v[150:151], -v[154:155]
	v_add_f64 v[152:153], v[152:153], -v[210:211]
	s_waitcnt lgkmcnt(0)
	v_mul_f64 v[154:155], v[228:229], v[156:157]
	v_mul_f64 v[210:211], v[226:227], v[156:157]
	v_fma_f64 v[154:155], v[226:227], v[234:235], -v[154:155]
	v_fma_f64 v[210:211], v[228:229], v[234:235], v[210:211]
	ds_read2_b64 v[226:229], v1 offset0:40 offset1:41
	v_add_f64 v[146:147], v[146:147], -v[154:155]
	v_add_f64 v[148:149], v[148:149], -v[210:211]
	;; [unrolled: 8-line block ×37, first 2 shown]
	s_waitcnt lgkmcnt(0)
	v_mul_f64 v[154:155], v[228:229], v[156:157]
	v_mul_f64 v[210:211], v[226:227], v[156:157]
	v_fma_f64 v[154:155], v[226:227], v[234:235], -v[154:155]
	v_fma_f64 v[210:211], v[228:229], v[234:235], v[210:211]
	v_add_f64 v[230:231], v[230:231], -v[154:155]
	v_add_f64 v[232:233], v[232:233], -v[210:211]
	v_mov_b32_e32 v154, v234
	v_mov_b32_e32 v155, v235
.LBB110_378:
	s_or_b32 exec_lo, exec_lo, s0
	v_lshl_add_u32 v210, v240, 4, v1
	s_barrier
	buffer_gl0_inv
	v_mov_b32_e32 v234, 18
	ds_write2_b64 v210, v[150:151], v[152:153] offset1:1
	s_waitcnt lgkmcnt(0)
	s_barrier
	buffer_gl0_inv
	ds_read2_b64 v[226:229], v1 offset0:36 offset1:37
	s_cmp_lt_i32 s8, 20
	s_cbranch_scc1 .LBB110_381
; %bb.379:
	v_add3_u32 v235, v253, 0, 0x130
	v_mov_b32_e32 v234, 18
	s_mov_b32 s1, 19
	s_inst_prefetch 0x1
	.p2align	6
.LBB110_380:                            ; =>This Inner Loop Header: Depth=1
	s_waitcnt lgkmcnt(0)
	v_cmp_gt_f64_e32 vcc_lo, 0, v[228:229]
	v_cmp_gt_f64_e64 s0, 0, v[226:227]
	ds_read2_b64 v[241:244], v235 offset1:1
	v_xor_b32_e32 v211, 0x80000000, v227
	v_xor_b32_e32 v213, 0x80000000, v229
	v_mov_b32_e32 v210, v226
	v_mov_b32_e32 v212, v228
	v_add_nc_u32_e32 v235, 16, v235
	s_waitcnt lgkmcnt(0)
	v_xor_b32_e32 v219, 0x80000000, v244
	v_cndmask_b32_e64 v211, v227, v211, s0
	v_cndmask_b32_e32 v213, v229, v213, vcc_lo
	v_cmp_gt_f64_e32 vcc_lo, 0, v[243:244]
	v_cmp_gt_f64_e64 s0, 0, v[241:242]
	v_mov_b32_e32 v218, v243
	v_add_f64 v[210:211], v[210:211], v[212:213]
	v_xor_b32_e32 v213, 0x80000000, v242
	v_mov_b32_e32 v212, v241
	v_cndmask_b32_e32 v219, v244, v219, vcc_lo
	v_cndmask_b32_e64 v213, v242, v213, s0
	v_add_f64 v[212:213], v[212:213], v[218:219]
	v_cmp_lt_f64_e32 vcc_lo, v[210:211], v[212:213]
	v_cndmask_b32_e32 v227, v227, v242, vcc_lo
	v_cndmask_b32_e32 v226, v226, v241, vcc_lo
	;; [unrolled: 1-line block ×4, first 2 shown]
	v_cndmask_b32_e64 v234, v234, s1, vcc_lo
	s_add_i32 s1, s1, 1
	s_cmp_lg_u32 s8, s1
	s_cbranch_scc1 .LBB110_380
.LBB110_381:
	s_inst_prefetch 0x2
	s_waitcnt lgkmcnt(0)
	v_cmp_eq_f64_e32 vcc_lo, 0, v[226:227]
	v_cmp_eq_f64_e64 s0, 0, v[228:229]
	s_and_b32 s0, vcc_lo, s0
	s_and_saveexec_b32 s1, s0
	s_xor_b32 s0, exec_lo, s1
; %bb.382:
	v_cmp_ne_u32_e32 vcc_lo, 0, v239
	v_cndmask_b32_e32 v239, 19, v239, vcc_lo
; %bb.383:
	s_andn2_saveexec_b32 s0, s0
	s_cbranch_execz .LBB110_389
; %bb.384:
	v_cmp_ngt_f64_e64 s1, |v[226:227]|, |v[228:229]|
	s_and_saveexec_b32 s7, s1
	s_xor_b32 s1, exec_lo, s7
	s_cbranch_execz .LBB110_386
; %bb.385:
	v_div_scale_f64 v[210:211], null, v[228:229], v[228:229], v[226:227]
	v_div_scale_f64 v[220:221], vcc_lo, v[226:227], v[228:229], v[226:227]
	v_rcp_f64_e32 v[212:213], v[210:211]
	v_fma_f64 v[218:219], -v[210:211], v[212:213], 1.0
	v_fma_f64 v[212:213], v[212:213], v[218:219], v[212:213]
	v_fma_f64 v[218:219], -v[210:211], v[212:213], 1.0
	v_fma_f64 v[212:213], v[212:213], v[218:219], v[212:213]
	v_mul_f64 v[218:219], v[220:221], v[212:213]
	v_fma_f64 v[210:211], -v[210:211], v[218:219], v[220:221]
	v_div_fmas_f64 v[210:211], v[210:211], v[212:213], v[218:219]
	v_div_fixup_f64 v[210:211], v[210:211], v[228:229], v[226:227]
	v_fma_f64 v[212:213], v[226:227], v[210:211], v[228:229]
	v_div_scale_f64 v[218:219], null, v[212:213], v[212:213], 1.0
	v_rcp_f64_e32 v[220:221], v[218:219]
	v_fma_f64 v[222:223], -v[218:219], v[220:221], 1.0
	v_fma_f64 v[220:221], v[220:221], v[222:223], v[220:221]
	v_fma_f64 v[222:223], -v[218:219], v[220:221], 1.0
	v_fma_f64 v[220:221], v[220:221], v[222:223], v[220:221]
	v_div_scale_f64 v[222:223], vcc_lo, 1.0, v[212:213], 1.0
	v_mul_f64 v[224:225], v[222:223], v[220:221]
	v_fma_f64 v[218:219], -v[218:219], v[224:225], v[222:223]
	v_div_fmas_f64 v[218:219], v[218:219], v[220:221], v[224:225]
	v_div_fixup_f64 v[228:229], v[218:219], v[212:213], 1.0
	v_mul_f64 v[226:227], v[210:211], v[228:229]
	v_xor_b32_e32 v229, 0x80000000, v229
.LBB110_386:
	s_andn2_saveexec_b32 s1, s1
	s_cbranch_execz .LBB110_388
; %bb.387:
	v_div_scale_f64 v[210:211], null, v[226:227], v[226:227], v[228:229]
	v_div_scale_f64 v[220:221], vcc_lo, v[228:229], v[226:227], v[228:229]
	v_rcp_f64_e32 v[212:213], v[210:211]
	v_fma_f64 v[218:219], -v[210:211], v[212:213], 1.0
	v_fma_f64 v[212:213], v[212:213], v[218:219], v[212:213]
	v_fma_f64 v[218:219], -v[210:211], v[212:213], 1.0
	v_fma_f64 v[212:213], v[212:213], v[218:219], v[212:213]
	v_mul_f64 v[218:219], v[220:221], v[212:213]
	v_fma_f64 v[210:211], -v[210:211], v[218:219], v[220:221]
	v_div_fmas_f64 v[210:211], v[210:211], v[212:213], v[218:219]
	v_div_fixup_f64 v[210:211], v[210:211], v[226:227], v[228:229]
	v_fma_f64 v[212:213], v[228:229], v[210:211], v[226:227]
	v_div_scale_f64 v[218:219], null, v[212:213], v[212:213], 1.0
	v_rcp_f64_e32 v[220:221], v[218:219]
	v_fma_f64 v[222:223], -v[218:219], v[220:221], 1.0
	v_fma_f64 v[220:221], v[220:221], v[222:223], v[220:221]
	v_fma_f64 v[222:223], -v[218:219], v[220:221], 1.0
	v_fma_f64 v[220:221], v[220:221], v[222:223], v[220:221]
	v_div_scale_f64 v[222:223], vcc_lo, 1.0, v[212:213], 1.0
	v_mul_f64 v[224:225], v[222:223], v[220:221]
	v_fma_f64 v[218:219], -v[218:219], v[224:225], v[222:223]
	v_div_fmas_f64 v[218:219], v[218:219], v[220:221], v[224:225]
	v_div_fixup_f64 v[226:227], v[218:219], v[212:213], 1.0
	v_mul_f64 v[228:229], v[210:211], -v[226:227]
.LBB110_388:
	s_or_b32 exec_lo, exec_lo, s1
.LBB110_389:
	s_or_b32 exec_lo, exec_lo, s0
	s_mov_b32 s0, exec_lo
	v_cmpx_ne_u32_e64 v240, v234
	s_xor_b32 s0, exec_lo, s0
	s_cbranch_execz .LBB110_395
; %bb.390:
	s_mov_b32 s1, exec_lo
	v_cmpx_eq_u32_e32 18, v240
	s_cbranch_execz .LBB110_394
; %bb.391:
	v_cmp_ne_u32_e32 vcc_lo, 18, v234
	s_xor_b32 s7, s16, -1
	s_and_b32 s9, s7, vcc_lo
	s_and_saveexec_b32 s7, s9
	s_cbranch_execz .LBB110_393
; %bb.392:
	v_ashrrev_i32_e32 v235, 31, v234
	v_lshlrev_b64 v[210:211], 2, v[234:235]
	v_add_co_u32 v210, vcc_lo, v214, v210
	v_add_co_ci_u32_e64 v211, null, v215, v211, vcc_lo
	s_clause 0x1
	global_load_dword v0, v[210:211], off
	global_load_dword v212, v[214:215], off offset:72
	s_waitcnt vmcnt(1)
	global_store_dword v[214:215], v0, off offset:72
	s_waitcnt vmcnt(0)
	global_store_dword v[210:211], v212, off
.LBB110_393:
	s_or_b32 exec_lo, exec_lo, s7
	v_mov_b32_e32 v240, v234
	v_mov_b32_e32 v0, v234
.LBB110_394:
	s_or_b32 exec_lo, exec_lo, s1
.LBB110_395:
	s_andn2_saveexec_b32 s0, s0
	s_cbranch_execz .LBB110_397
; %bb.396:
	v_mov_b32_e32 v240, 18
	ds_write2_b64 v1, v[146:147], v[148:149] offset0:38 offset1:39
	ds_write2_b64 v1, v[142:143], v[144:145] offset0:40 offset1:41
	;; [unrolled: 1-line block ×37, first 2 shown]
.LBB110_397:
	s_or_b32 exec_lo, exec_lo, s0
	s_mov_b32 s0, exec_lo
	s_waitcnt lgkmcnt(0)
	s_waitcnt_vscnt null, 0x0
	s_barrier
	buffer_gl0_inv
	v_cmpx_lt_i32_e32 18, v240
	s_cbranch_execz .LBB110_399
; %bb.398:
	v_mul_f64 v[210:211], v[228:229], v[152:153]
	v_mul_f64 v[152:153], v[226:227], v[152:153]
	v_fma_f64 v[234:235], v[226:227], v[150:151], -v[210:211]
	v_fma_f64 v[152:153], v[228:229], v[150:151], v[152:153]
	ds_read2_b64 v[226:229], v1 offset0:38 offset1:39
	s_waitcnt lgkmcnt(0)
	v_mul_f64 v[150:151], v[228:229], v[152:153]
	v_mul_f64 v[210:211], v[226:227], v[152:153]
	v_fma_f64 v[150:151], v[226:227], v[234:235], -v[150:151]
	v_fma_f64 v[210:211], v[228:229], v[234:235], v[210:211]
	ds_read2_b64 v[226:229], v1 offset0:40 offset1:41
	v_add_f64 v[146:147], v[146:147], -v[150:151]
	v_add_f64 v[148:149], v[148:149], -v[210:211]
	s_waitcnt lgkmcnt(0)
	v_mul_f64 v[150:151], v[228:229], v[152:153]
	v_mul_f64 v[210:211], v[226:227], v[152:153]
	v_fma_f64 v[150:151], v[226:227], v[234:235], -v[150:151]
	v_fma_f64 v[210:211], v[228:229], v[234:235], v[210:211]
	ds_read2_b64 v[226:229], v1 offset0:42 offset1:43
	v_add_f64 v[142:143], v[142:143], -v[150:151]
	v_add_f64 v[144:145], v[144:145], -v[210:211]
	;; [unrolled: 8-line block ×36, first 2 shown]
	s_waitcnt lgkmcnt(0)
	v_mul_f64 v[150:151], v[228:229], v[152:153]
	v_mul_f64 v[210:211], v[226:227], v[152:153]
	v_fma_f64 v[150:151], v[226:227], v[234:235], -v[150:151]
	v_fma_f64 v[210:211], v[228:229], v[234:235], v[210:211]
	v_add_f64 v[230:231], v[230:231], -v[150:151]
	v_add_f64 v[232:233], v[232:233], -v[210:211]
	v_mov_b32_e32 v150, v234
	v_mov_b32_e32 v151, v235
.LBB110_399:
	s_or_b32 exec_lo, exec_lo, s0
	v_lshl_add_u32 v210, v240, 4, v1
	s_barrier
	buffer_gl0_inv
	v_mov_b32_e32 v234, 19
	ds_write2_b64 v210, v[146:147], v[148:149] offset1:1
	s_waitcnt lgkmcnt(0)
	s_barrier
	buffer_gl0_inv
	ds_read2_b64 v[226:229], v1 offset0:38 offset1:39
	s_cmp_lt_i32 s8, 21
	s_cbranch_scc1 .LBB110_402
; %bb.400:
	v_add3_u32 v235, v253, 0, 0x140
	v_mov_b32_e32 v234, 19
	s_mov_b32 s1, 20
	s_inst_prefetch 0x1
	.p2align	6
.LBB110_401:                            ; =>This Inner Loop Header: Depth=1
	s_waitcnt lgkmcnt(0)
	v_cmp_gt_f64_e32 vcc_lo, 0, v[228:229]
	v_cmp_gt_f64_e64 s0, 0, v[226:227]
	ds_read2_b64 v[241:244], v235 offset1:1
	v_xor_b32_e32 v211, 0x80000000, v227
	v_xor_b32_e32 v213, 0x80000000, v229
	v_mov_b32_e32 v210, v226
	v_mov_b32_e32 v212, v228
	v_add_nc_u32_e32 v235, 16, v235
	s_waitcnt lgkmcnt(0)
	v_xor_b32_e32 v219, 0x80000000, v244
	v_cndmask_b32_e64 v211, v227, v211, s0
	v_cndmask_b32_e32 v213, v229, v213, vcc_lo
	v_cmp_gt_f64_e32 vcc_lo, 0, v[243:244]
	v_cmp_gt_f64_e64 s0, 0, v[241:242]
	v_mov_b32_e32 v218, v243
	v_add_f64 v[210:211], v[210:211], v[212:213]
	v_xor_b32_e32 v213, 0x80000000, v242
	v_mov_b32_e32 v212, v241
	v_cndmask_b32_e32 v219, v244, v219, vcc_lo
	v_cndmask_b32_e64 v213, v242, v213, s0
	v_add_f64 v[212:213], v[212:213], v[218:219]
	v_cmp_lt_f64_e32 vcc_lo, v[210:211], v[212:213]
	v_cndmask_b32_e32 v227, v227, v242, vcc_lo
	v_cndmask_b32_e32 v226, v226, v241, vcc_lo
	;; [unrolled: 1-line block ×4, first 2 shown]
	v_cndmask_b32_e64 v234, v234, s1, vcc_lo
	s_add_i32 s1, s1, 1
	s_cmp_lg_u32 s8, s1
	s_cbranch_scc1 .LBB110_401
.LBB110_402:
	s_inst_prefetch 0x2
	s_waitcnt lgkmcnt(0)
	v_cmp_eq_f64_e32 vcc_lo, 0, v[226:227]
	v_cmp_eq_f64_e64 s0, 0, v[228:229]
	s_and_b32 s0, vcc_lo, s0
	s_and_saveexec_b32 s1, s0
	s_xor_b32 s0, exec_lo, s1
; %bb.403:
	v_cmp_ne_u32_e32 vcc_lo, 0, v239
	v_cndmask_b32_e32 v239, 20, v239, vcc_lo
; %bb.404:
	s_andn2_saveexec_b32 s0, s0
	s_cbranch_execz .LBB110_410
; %bb.405:
	v_cmp_ngt_f64_e64 s1, |v[226:227]|, |v[228:229]|
	s_and_saveexec_b32 s7, s1
	s_xor_b32 s1, exec_lo, s7
	s_cbranch_execz .LBB110_407
; %bb.406:
	v_div_scale_f64 v[210:211], null, v[228:229], v[228:229], v[226:227]
	v_div_scale_f64 v[220:221], vcc_lo, v[226:227], v[228:229], v[226:227]
	v_rcp_f64_e32 v[212:213], v[210:211]
	v_fma_f64 v[218:219], -v[210:211], v[212:213], 1.0
	v_fma_f64 v[212:213], v[212:213], v[218:219], v[212:213]
	v_fma_f64 v[218:219], -v[210:211], v[212:213], 1.0
	v_fma_f64 v[212:213], v[212:213], v[218:219], v[212:213]
	v_mul_f64 v[218:219], v[220:221], v[212:213]
	v_fma_f64 v[210:211], -v[210:211], v[218:219], v[220:221]
	v_div_fmas_f64 v[210:211], v[210:211], v[212:213], v[218:219]
	v_div_fixup_f64 v[210:211], v[210:211], v[228:229], v[226:227]
	v_fma_f64 v[212:213], v[226:227], v[210:211], v[228:229]
	v_div_scale_f64 v[218:219], null, v[212:213], v[212:213], 1.0
	v_rcp_f64_e32 v[220:221], v[218:219]
	v_fma_f64 v[222:223], -v[218:219], v[220:221], 1.0
	v_fma_f64 v[220:221], v[220:221], v[222:223], v[220:221]
	v_fma_f64 v[222:223], -v[218:219], v[220:221], 1.0
	v_fma_f64 v[220:221], v[220:221], v[222:223], v[220:221]
	v_div_scale_f64 v[222:223], vcc_lo, 1.0, v[212:213], 1.0
	v_mul_f64 v[224:225], v[222:223], v[220:221]
	v_fma_f64 v[218:219], -v[218:219], v[224:225], v[222:223]
	v_div_fmas_f64 v[218:219], v[218:219], v[220:221], v[224:225]
	v_div_fixup_f64 v[228:229], v[218:219], v[212:213], 1.0
	v_mul_f64 v[226:227], v[210:211], v[228:229]
	v_xor_b32_e32 v229, 0x80000000, v229
.LBB110_407:
	s_andn2_saveexec_b32 s1, s1
	s_cbranch_execz .LBB110_409
; %bb.408:
	v_div_scale_f64 v[210:211], null, v[226:227], v[226:227], v[228:229]
	v_div_scale_f64 v[220:221], vcc_lo, v[228:229], v[226:227], v[228:229]
	v_rcp_f64_e32 v[212:213], v[210:211]
	v_fma_f64 v[218:219], -v[210:211], v[212:213], 1.0
	v_fma_f64 v[212:213], v[212:213], v[218:219], v[212:213]
	v_fma_f64 v[218:219], -v[210:211], v[212:213], 1.0
	v_fma_f64 v[212:213], v[212:213], v[218:219], v[212:213]
	v_mul_f64 v[218:219], v[220:221], v[212:213]
	v_fma_f64 v[210:211], -v[210:211], v[218:219], v[220:221]
	v_div_fmas_f64 v[210:211], v[210:211], v[212:213], v[218:219]
	v_div_fixup_f64 v[210:211], v[210:211], v[226:227], v[228:229]
	v_fma_f64 v[212:213], v[228:229], v[210:211], v[226:227]
	v_div_scale_f64 v[218:219], null, v[212:213], v[212:213], 1.0
	v_rcp_f64_e32 v[220:221], v[218:219]
	v_fma_f64 v[222:223], -v[218:219], v[220:221], 1.0
	v_fma_f64 v[220:221], v[220:221], v[222:223], v[220:221]
	v_fma_f64 v[222:223], -v[218:219], v[220:221], 1.0
	v_fma_f64 v[220:221], v[220:221], v[222:223], v[220:221]
	v_div_scale_f64 v[222:223], vcc_lo, 1.0, v[212:213], 1.0
	v_mul_f64 v[224:225], v[222:223], v[220:221]
	v_fma_f64 v[218:219], -v[218:219], v[224:225], v[222:223]
	v_div_fmas_f64 v[218:219], v[218:219], v[220:221], v[224:225]
	v_div_fixup_f64 v[226:227], v[218:219], v[212:213], 1.0
	v_mul_f64 v[228:229], v[210:211], -v[226:227]
.LBB110_409:
	s_or_b32 exec_lo, exec_lo, s1
.LBB110_410:
	s_or_b32 exec_lo, exec_lo, s0
	s_mov_b32 s0, exec_lo
	v_cmpx_ne_u32_e64 v240, v234
	s_xor_b32 s0, exec_lo, s0
	s_cbranch_execz .LBB110_416
; %bb.411:
	s_mov_b32 s1, exec_lo
	v_cmpx_eq_u32_e32 19, v240
	s_cbranch_execz .LBB110_415
; %bb.412:
	v_cmp_ne_u32_e32 vcc_lo, 19, v234
	s_xor_b32 s7, s16, -1
	s_and_b32 s9, s7, vcc_lo
	s_and_saveexec_b32 s7, s9
	s_cbranch_execz .LBB110_414
; %bb.413:
	v_ashrrev_i32_e32 v235, 31, v234
	v_lshlrev_b64 v[210:211], 2, v[234:235]
	v_add_co_u32 v210, vcc_lo, v214, v210
	v_add_co_ci_u32_e64 v211, null, v215, v211, vcc_lo
	s_clause 0x1
	global_load_dword v0, v[210:211], off
	global_load_dword v212, v[214:215], off offset:76
	s_waitcnt vmcnt(1)
	global_store_dword v[214:215], v0, off offset:76
	s_waitcnt vmcnt(0)
	global_store_dword v[210:211], v212, off
.LBB110_414:
	s_or_b32 exec_lo, exec_lo, s7
	v_mov_b32_e32 v240, v234
	v_mov_b32_e32 v0, v234
.LBB110_415:
	s_or_b32 exec_lo, exec_lo, s1
.LBB110_416:
	s_andn2_saveexec_b32 s0, s0
	s_cbranch_execz .LBB110_418
; %bb.417:
	v_mov_b32_e32 v240, 19
	ds_write2_b64 v1, v[142:143], v[144:145] offset0:40 offset1:41
	ds_write2_b64 v1, v[138:139], v[140:141] offset0:42 offset1:43
	;; [unrolled: 1-line block ×36, first 2 shown]
.LBB110_418:
	s_or_b32 exec_lo, exec_lo, s0
	s_mov_b32 s0, exec_lo
	s_waitcnt lgkmcnt(0)
	s_waitcnt_vscnt null, 0x0
	s_barrier
	buffer_gl0_inv
	v_cmpx_lt_i32_e32 19, v240
	s_cbranch_execz .LBB110_420
; %bb.419:
	v_mul_f64 v[210:211], v[228:229], v[148:149]
	v_mul_f64 v[148:149], v[226:227], v[148:149]
	v_fma_f64 v[234:235], v[226:227], v[146:147], -v[210:211]
	v_fma_f64 v[148:149], v[228:229], v[146:147], v[148:149]
	ds_read2_b64 v[226:229], v1 offset0:40 offset1:41
	s_waitcnt lgkmcnt(0)
	v_mul_f64 v[146:147], v[228:229], v[148:149]
	v_mul_f64 v[210:211], v[226:227], v[148:149]
	v_fma_f64 v[146:147], v[226:227], v[234:235], -v[146:147]
	v_fma_f64 v[210:211], v[228:229], v[234:235], v[210:211]
	ds_read2_b64 v[226:229], v1 offset0:42 offset1:43
	v_add_f64 v[142:143], v[142:143], -v[146:147]
	v_add_f64 v[144:145], v[144:145], -v[210:211]
	s_waitcnt lgkmcnt(0)
	v_mul_f64 v[146:147], v[228:229], v[148:149]
	v_mul_f64 v[210:211], v[226:227], v[148:149]
	v_fma_f64 v[146:147], v[226:227], v[234:235], -v[146:147]
	v_fma_f64 v[210:211], v[228:229], v[234:235], v[210:211]
	ds_read2_b64 v[226:229], v1 offset0:44 offset1:45
	v_add_f64 v[138:139], v[138:139], -v[146:147]
	v_add_f64 v[140:141], v[140:141], -v[210:211]
	;; [unrolled: 8-line block ×35, first 2 shown]
	s_waitcnt lgkmcnt(0)
	v_mul_f64 v[146:147], v[228:229], v[148:149]
	v_mul_f64 v[210:211], v[226:227], v[148:149]
	v_fma_f64 v[146:147], v[226:227], v[234:235], -v[146:147]
	v_fma_f64 v[210:211], v[228:229], v[234:235], v[210:211]
	v_add_f64 v[230:231], v[230:231], -v[146:147]
	v_add_f64 v[232:233], v[232:233], -v[210:211]
	v_mov_b32_e32 v146, v234
	v_mov_b32_e32 v147, v235
.LBB110_420:
	s_or_b32 exec_lo, exec_lo, s0
	v_lshl_add_u32 v210, v240, 4, v1
	s_barrier
	buffer_gl0_inv
	v_mov_b32_e32 v234, 20
	ds_write2_b64 v210, v[142:143], v[144:145] offset1:1
	s_waitcnt lgkmcnt(0)
	s_barrier
	buffer_gl0_inv
	ds_read2_b64 v[226:229], v1 offset0:40 offset1:41
	s_cmp_lt_i32 s8, 22
	s_cbranch_scc1 .LBB110_423
; %bb.421:
	v_add3_u32 v235, v253, 0, 0x150
	v_mov_b32_e32 v234, 20
	s_mov_b32 s1, 21
	s_inst_prefetch 0x1
	.p2align	6
.LBB110_422:                            ; =>This Inner Loop Header: Depth=1
	s_waitcnt lgkmcnt(0)
	v_cmp_gt_f64_e32 vcc_lo, 0, v[228:229]
	v_cmp_gt_f64_e64 s0, 0, v[226:227]
	ds_read2_b64 v[241:244], v235 offset1:1
	v_xor_b32_e32 v211, 0x80000000, v227
	v_xor_b32_e32 v213, 0x80000000, v229
	v_mov_b32_e32 v210, v226
	v_mov_b32_e32 v212, v228
	v_add_nc_u32_e32 v235, 16, v235
	s_waitcnt lgkmcnt(0)
	v_xor_b32_e32 v219, 0x80000000, v244
	v_cndmask_b32_e64 v211, v227, v211, s0
	v_cndmask_b32_e32 v213, v229, v213, vcc_lo
	v_cmp_gt_f64_e32 vcc_lo, 0, v[243:244]
	v_cmp_gt_f64_e64 s0, 0, v[241:242]
	v_mov_b32_e32 v218, v243
	v_add_f64 v[210:211], v[210:211], v[212:213]
	v_xor_b32_e32 v213, 0x80000000, v242
	v_mov_b32_e32 v212, v241
	v_cndmask_b32_e32 v219, v244, v219, vcc_lo
	v_cndmask_b32_e64 v213, v242, v213, s0
	v_add_f64 v[212:213], v[212:213], v[218:219]
	v_cmp_lt_f64_e32 vcc_lo, v[210:211], v[212:213]
	v_cndmask_b32_e32 v227, v227, v242, vcc_lo
	v_cndmask_b32_e32 v226, v226, v241, vcc_lo
	v_cndmask_b32_e32 v229, v229, v244, vcc_lo
	v_cndmask_b32_e32 v228, v228, v243, vcc_lo
	v_cndmask_b32_e64 v234, v234, s1, vcc_lo
	s_add_i32 s1, s1, 1
	s_cmp_lg_u32 s8, s1
	s_cbranch_scc1 .LBB110_422
.LBB110_423:
	s_inst_prefetch 0x2
	s_waitcnt lgkmcnt(0)
	v_cmp_eq_f64_e32 vcc_lo, 0, v[226:227]
	v_cmp_eq_f64_e64 s0, 0, v[228:229]
	s_and_b32 s0, vcc_lo, s0
	s_and_saveexec_b32 s1, s0
	s_xor_b32 s0, exec_lo, s1
; %bb.424:
	v_cmp_ne_u32_e32 vcc_lo, 0, v239
	v_cndmask_b32_e32 v239, 21, v239, vcc_lo
; %bb.425:
	s_andn2_saveexec_b32 s0, s0
	s_cbranch_execz .LBB110_431
; %bb.426:
	v_cmp_ngt_f64_e64 s1, |v[226:227]|, |v[228:229]|
	s_and_saveexec_b32 s7, s1
	s_xor_b32 s1, exec_lo, s7
	s_cbranch_execz .LBB110_428
; %bb.427:
	v_div_scale_f64 v[210:211], null, v[228:229], v[228:229], v[226:227]
	v_div_scale_f64 v[220:221], vcc_lo, v[226:227], v[228:229], v[226:227]
	v_rcp_f64_e32 v[212:213], v[210:211]
	v_fma_f64 v[218:219], -v[210:211], v[212:213], 1.0
	v_fma_f64 v[212:213], v[212:213], v[218:219], v[212:213]
	v_fma_f64 v[218:219], -v[210:211], v[212:213], 1.0
	v_fma_f64 v[212:213], v[212:213], v[218:219], v[212:213]
	v_mul_f64 v[218:219], v[220:221], v[212:213]
	v_fma_f64 v[210:211], -v[210:211], v[218:219], v[220:221]
	v_div_fmas_f64 v[210:211], v[210:211], v[212:213], v[218:219]
	v_div_fixup_f64 v[210:211], v[210:211], v[228:229], v[226:227]
	v_fma_f64 v[212:213], v[226:227], v[210:211], v[228:229]
	v_div_scale_f64 v[218:219], null, v[212:213], v[212:213], 1.0
	v_rcp_f64_e32 v[220:221], v[218:219]
	v_fma_f64 v[222:223], -v[218:219], v[220:221], 1.0
	v_fma_f64 v[220:221], v[220:221], v[222:223], v[220:221]
	v_fma_f64 v[222:223], -v[218:219], v[220:221], 1.0
	v_fma_f64 v[220:221], v[220:221], v[222:223], v[220:221]
	v_div_scale_f64 v[222:223], vcc_lo, 1.0, v[212:213], 1.0
	v_mul_f64 v[224:225], v[222:223], v[220:221]
	v_fma_f64 v[218:219], -v[218:219], v[224:225], v[222:223]
	v_div_fmas_f64 v[218:219], v[218:219], v[220:221], v[224:225]
	v_div_fixup_f64 v[228:229], v[218:219], v[212:213], 1.0
	v_mul_f64 v[226:227], v[210:211], v[228:229]
	v_xor_b32_e32 v229, 0x80000000, v229
.LBB110_428:
	s_andn2_saveexec_b32 s1, s1
	s_cbranch_execz .LBB110_430
; %bb.429:
	v_div_scale_f64 v[210:211], null, v[226:227], v[226:227], v[228:229]
	v_div_scale_f64 v[220:221], vcc_lo, v[228:229], v[226:227], v[228:229]
	v_rcp_f64_e32 v[212:213], v[210:211]
	v_fma_f64 v[218:219], -v[210:211], v[212:213], 1.0
	v_fma_f64 v[212:213], v[212:213], v[218:219], v[212:213]
	v_fma_f64 v[218:219], -v[210:211], v[212:213], 1.0
	v_fma_f64 v[212:213], v[212:213], v[218:219], v[212:213]
	v_mul_f64 v[218:219], v[220:221], v[212:213]
	v_fma_f64 v[210:211], -v[210:211], v[218:219], v[220:221]
	v_div_fmas_f64 v[210:211], v[210:211], v[212:213], v[218:219]
	v_div_fixup_f64 v[210:211], v[210:211], v[226:227], v[228:229]
	v_fma_f64 v[212:213], v[228:229], v[210:211], v[226:227]
	v_div_scale_f64 v[218:219], null, v[212:213], v[212:213], 1.0
	v_rcp_f64_e32 v[220:221], v[218:219]
	v_fma_f64 v[222:223], -v[218:219], v[220:221], 1.0
	v_fma_f64 v[220:221], v[220:221], v[222:223], v[220:221]
	v_fma_f64 v[222:223], -v[218:219], v[220:221], 1.0
	v_fma_f64 v[220:221], v[220:221], v[222:223], v[220:221]
	v_div_scale_f64 v[222:223], vcc_lo, 1.0, v[212:213], 1.0
	v_mul_f64 v[224:225], v[222:223], v[220:221]
	v_fma_f64 v[218:219], -v[218:219], v[224:225], v[222:223]
	v_div_fmas_f64 v[218:219], v[218:219], v[220:221], v[224:225]
	v_div_fixup_f64 v[226:227], v[218:219], v[212:213], 1.0
	v_mul_f64 v[228:229], v[210:211], -v[226:227]
.LBB110_430:
	s_or_b32 exec_lo, exec_lo, s1
.LBB110_431:
	s_or_b32 exec_lo, exec_lo, s0
	s_mov_b32 s0, exec_lo
	v_cmpx_ne_u32_e64 v240, v234
	s_xor_b32 s0, exec_lo, s0
	s_cbranch_execz .LBB110_437
; %bb.432:
	s_mov_b32 s1, exec_lo
	v_cmpx_eq_u32_e32 20, v240
	s_cbranch_execz .LBB110_436
; %bb.433:
	v_cmp_ne_u32_e32 vcc_lo, 20, v234
	s_xor_b32 s7, s16, -1
	s_and_b32 s9, s7, vcc_lo
	s_and_saveexec_b32 s7, s9
	s_cbranch_execz .LBB110_435
; %bb.434:
	v_ashrrev_i32_e32 v235, 31, v234
	v_lshlrev_b64 v[210:211], 2, v[234:235]
	v_add_co_u32 v210, vcc_lo, v214, v210
	v_add_co_ci_u32_e64 v211, null, v215, v211, vcc_lo
	s_clause 0x1
	global_load_dword v0, v[210:211], off
	global_load_dword v212, v[214:215], off offset:80
	s_waitcnt vmcnt(1)
	global_store_dword v[214:215], v0, off offset:80
	s_waitcnt vmcnt(0)
	global_store_dword v[210:211], v212, off
.LBB110_435:
	s_or_b32 exec_lo, exec_lo, s7
	v_mov_b32_e32 v240, v234
	v_mov_b32_e32 v0, v234
.LBB110_436:
	s_or_b32 exec_lo, exec_lo, s1
.LBB110_437:
	s_andn2_saveexec_b32 s0, s0
	s_cbranch_execz .LBB110_439
; %bb.438:
	v_mov_b32_e32 v240, 20
	ds_write2_b64 v1, v[138:139], v[140:141] offset0:42 offset1:43
	ds_write2_b64 v1, v[134:135], v[136:137] offset0:44 offset1:45
	;; [unrolled: 1-line block ×35, first 2 shown]
.LBB110_439:
	s_or_b32 exec_lo, exec_lo, s0
	s_mov_b32 s0, exec_lo
	s_waitcnt lgkmcnt(0)
	s_waitcnt_vscnt null, 0x0
	s_barrier
	buffer_gl0_inv
	v_cmpx_lt_i32_e32 20, v240
	s_cbranch_execz .LBB110_441
; %bb.440:
	v_mul_f64 v[210:211], v[228:229], v[144:145]
	v_mul_f64 v[144:145], v[226:227], v[144:145]
	v_fma_f64 v[234:235], v[226:227], v[142:143], -v[210:211]
	v_fma_f64 v[144:145], v[228:229], v[142:143], v[144:145]
	ds_read2_b64 v[226:229], v1 offset0:42 offset1:43
	s_waitcnt lgkmcnt(0)
	v_mul_f64 v[142:143], v[228:229], v[144:145]
	v_mul_f64 v[210:211], v[226:227], v[144:145]
	v_fma_f64 v[142:143], v[226:227], v[234:235], -v[142:143]
	v_fma_f64 v[210:211], v[228:229], v[234:235], v[210:211]
	ds_read2_b64 v[226:229], v1 offset0:44 offset1:45
	v_add_f64 v[138:139], v[138:139], -v[142:143]
	v_add_f64 v[140:141], v[140:141], -v[210:211]
	s_waitcnt lgkmcnt(0)
	v_mul_f64 v[142:143], v[228:229], v[144:145]
	v_mul_f64 v[210:211], v[226:227], v[144:145]
	v_fma_f64 v[142:143], v[226:227], v[234:235], -v[142:143]
	v_fma_f64 v[210:211], v[228:229], v[234:235], v[210:211]
	ds_read2_b64 v[226:229], v1 offset0:46 offset1:47
	v_add_f64 v[134:135], v[134:135], -v[142:143]
	v_add_f64 v[136:137], v[136:137], -v[210:211]
	s_waitcnt lgkmcnt(0)
	v_mul_f64 v[142:143], v[228:229], v[144:145]
	v_mul_f64 v[210:211], v[226:227], v[144:145]
	v_fma_f64 v[142:143], v[226:227], v[234:235], -v[142:143]
	v_fma_f64 v[210:211], v[228:229], v[234:235], v[210:211]
	ds_read2_b64 v[226:229], v1 offset0:48 offset1:49
	v_add_f64 v[130:131], v[130:131], -v[142:143]
	v_add_f64 v[132:133], v[132:133], -v[210:211]
	s_waitcnt lgkmcnt(0)
	v_mul_f64 v[142:143], v[228:229], v[144:145]
	v_mul_f64 v[210:211], v[226:227], v[144:145]
	v_fma_f64 v[142:143], v[226:227], v[234:235], -v[142:143]
	v_fma_f64 v[210:211], v[228:229], v[234:235], v[210:211]
	ds_read2_b64 v[226:229], v1 offset0:50 offset1:51
	v_add_f64 v[126:127], v[126:127], -v[142:143]
	v_add_f64 v[128:129], v[128:129], -v[210:211]
	s_waitcnt lgkmcnt(0)
	v_mul_f64 v[142:143], v[228:229], v[144:145]
	v_mul_f64 v[210:211], v[226:227], v[144:145]
	v_fma_f64 v[142:143], v[226:227], v[234:235], -v[142:143]
	v_fma_f64 v[210:211], v[228:229], v[234:235], v[210:211]
	ds_read2_b64 v[226:229], v1 offset0:52 offset1:53
	v_add_f64 v[122:123], v[122:123], -v[142:143]
	v_add_f64 v[124:125], v[124:125], -v[210:211]
	s_waitcnt lgkmcnt(0)
	v_mul_f64 v[142:143], v[228:229], v[144:145]
	v_mul_f64 v[210:211], v[226:227], v[144:145]
	v_fma_f64 v[142:143], v[226:227], v[234:235], -v[142:143]
	v_fma_f64 v[210:211], v[228:229], v[234:235], v[210:211]
	ds_read2_b64 v[226:229], v1 offset0:54 offset1:55
	v_add_f64 v[118:119], v[118:119], -v[142:143]
	v_add_f64 v[120:121], v[120:121], -v[210:211]
	s_waitcnt lgkmcnt(0)
	v_mul_f64 v[142:143], v[228:229], v[144:145]
	v_mul_f64 v[210:211], v[226:227], v[144:145]
	v_fma_f64 v[142:143], v[226:227], v[234:235], -v[142:143]
	v_fma_f64 v[210:211], v[228:229], v[234:235], v[210:211]
	ds_read2_b64 v[226:229], v1 offset0:56 offset1:57
	v_add_f64 v[114:115], v[114:115], -v[142:143]
	v_add_f64 v[116:117], v[116:117], -v[210:211]
	s_waitcnt lgkmcnt(0)
	v_mul_f64 v[142:143], v[228:229], v[144:145]
	v_mul_f64 v[210:211], v[226:227], v[144:145]
	v_fma_f64 v[142:143], v[226:227], v[234:235], -v[142:143]
	v_fma_f64 v[210:211], v[228:229], v[234:235], v[210:211]
	ds_read2_b64 v[226:229], v1 offset0:58 offset1:59
	v_add_f64 v[110:111], v[110:111], -v[142:143]
	v_add_f64 v[112:113], v[112:113], -v[210:211]
	s_waitcnt lgkmcnt(0)
	v_mul_f64 v[142:143], v[228:229], v[144:145]
	v_mul_f64 v[210:211], v[226:227], v[144:145]
	v_fma_f64 v[142:143], v[226:227], v[234:235], -v[142:143]
	v_fma_f64 v[210:211], v[228:229], v[234:235], v[210:211]
	ds_read2_b64 v[226:229], v1 offset0:60 offset1:61
	v_add_f64 v[106:107], v[106:107], -v[142:143]
	v_add_f64 v[108:109], v[108:109], -v[210:211]
	s_waitcnt lgkmcnt(0)
	v_mul_f64 v[142:143], v[228:229], v[144:145]
	v_mul_f64 v[210:211], v[226:227], v[144:145]
	v_fma_f64 v[142:143], v[226:227], v[234:235], -v[142:143]
	v_fma_f64 v[210:211], v[228:229], v[234:235], v[210:211]
	ds_read2_b64 v[226:229], v1 offset0:62 offset1:63
	v_add_f64 v[102:103], v[102:103], -v[142:143]
	v_add_f64 v[104:105], v[104:105], -v[210:211]
	s_waitcnt lgkmcnt(0)
	v_mul_f64 v[142:143], v[228:229], v[144:145]
	v_mul_f64 v[210:211], v[226:227], v[144:145]
	v_fma_f64 v[142:143], v[226:227], v[234:235], -v[142:143]
	v_fma_f64 v[210:211], v[228:229], v[234:235], v[210:211]
	ds_read2_b64 v[226:229], v1 offset0:64 offset1:65
	v_add_f64 v[98:99], v[98:99], -v[142:143]
	v_add_f64 v[100:101], v[100:101], -v[210:211]
	s_waitcnt lgkmcnt(0)
	v_mul_f64 v[142:143], v[228:229], v[144:145]
	v_mul_f64 v[210:211], v[226:227], v[144:145]
	v_fma_f64 v[142:143], v[226:227], v[234:235], -v[142:143]
	v_fma_f64 v[210:211], v[228:229], v[234:235], v[210:211]
	ds_read2_b64 v[226:229], v1 offset0:66 offset1:67
	v_add_f64 v[94:95], v[94:95], -v[142:143]
	v_add_f64 v[96:97], v[96:97], -v[210:211]
	s_waitcnt lgkmcnt(0)
	v_mul_f64 v[142:143], v[228:229], v[144:145]
	v_mul_f64 v[210:211], v[226:227], v[144:145]
	v_fma_f64 v[142:143], v[226:227], v[234:235], -v[142:143]
	v_fma_f64 v[210:211], v[228:229], v[234:235], v[210:211]
	ds_read2_b64 v[226:229], v1 offset0:68 offset1:69
	v_add_f64 v[90:91], v[90:91], -v[142:143]
	v_add_f64 v[92:93], v[92:93], -v[210:211]
	s_waitcnt lgkmcnt(0)
	v_mul_f64 v[142:143], v[228:229], v[144:145]
	v_mul_f64 v[210:211], v[226:227], v[144:145]
	v_fma_f64 v[142:143], v[226:227], v[234:235], -v[142:143]
	v_fma_f64 v[210:211], v[228:229], v[234:235], v[210:211]
	ds_read2_b64 v[226:229], v1 offset0:70 offset1:71
	v_add_f64 v[86:87], v[86:87], -v[142:143]
	v_add_f64 v[88:89], v[88:89], -v[210:211]
	s_waitcnt lgkmcnt(0)
	v_mul_f64 v[142:143], v[228:229], v[144:145]
	v_mul_f64 v[210:211], v[226:227], v[144:145]
	v_fma_f64 v[142:143], v[226:227], v[234:235], -v[142:143]
	v_fma_f64 v[210:211], v[228:229], v[234:235], v[210:211]
	ds_read2_b64 v[226:229], v1 offset0:72 offset1:73
	v_add_f64 v[82:83], v[82:83], -v[142:143]
	v_add_f64 v[84:85], v[84:85], -v[210:211]
	s_waitcnt lgkmcnt(0)
	v_mul_f64 v[142:143], v[228:229], v[144:145]
	v_mul_f64 v[210:211], v[226:227], v[144:145]
	v_fma_f64 v[142:143], v[226:227], v[234:235], -v[142:143]
	v_fma_f64 v[210:211], v[228:229], v[234:235], v[210:211]
	ds_read2_b64 v[226:229], v1 offset0:74 offset1:75
	v_add_f64 v[78:79], v[78:79], -v[142:143]
	v_add_f64 v[80:81], v[80:81], -v[210:211]
	s_waitcnt lgkmcnt(0)
	v_mul_f64 v[142:143], v[228:229], v[144:145]
	v_mul_f64 v[210:211], v[226:227], v[144:145]
	v_fma_f64 v[142:143], v[226:227], v[234:235], -v[142:143]
	v_fma_f64 v[210:211], v[228:229], v[234:235], v[210:211]
	ds_read2_b64 v[226:229], v1 offset0:76 offset1:77
	v_add_f64 v[74:75], v[74:75], -v[142:143]
	v_add_f64 v[76:77], v[76:77], -v[210:211]
	s_waitcnt lgkmcnt(0)
	v_mul_f64 v[142:143], v[228:229], v[144:145]
	v_mul_f64 v[210:211], v[226:227], v[144:145]
	v_fma_f64 v[142:143], v[226:227], v[234:235], -v[142:143]
	v_fma_f64 v[210:211], v[228:229], v[234:235], v[210:211]
	ds_read2_b64 v[226:229], v1 offset0:78 offset1:79
	v_add_f64 v[70:71], v[70:71], -v[142:143]
	v_add_f64 v[72:73], v[72:73], -v[210:211]
	s_waitcnt lgkmcnt(0)
	v_mul_f64 v[142:143], v[228:229], v[144:145]
	v_mul_f64 v[210:211], v[226:227], v[144:145]
	v_fma_f64 v[142:143], v[226:227], v[234:235], -v[142:143]
	v_fma_f64 v[210:211], v[228:229], v[234:235], v[210:211]
	ds_read2_b64 v[226:229], v1 offset0:80 offset1:81
	v_add_f64 v[66:67], v[66:67], -v[142:143]
	v_add_f64 v[68:69], v[68:69], -v[210:211]
	s_waitcnt lgkmcnt(0)
	v_mul_f64 v[142:143], v[228:229], v[144:145]
	v_mul_f64 v[210:211], v[226:227], v[144:145]
	v_fma_f64 v[142:143], v[226:227], v[234:235], -v[142:143]
	v_fma_f64 v[210:211], v[228:229], v[234:235], v[210:211]
	ds_read2_b64 v[226:229], v1 offset0:82 offset1:83
	v_add_f64 v[62:63], v[62:63], -v[142:143]
	v_add_f64 v[64:65], v[64:65], -v[210:211]
	s_waitcnt lgkmcnt(0)
	v_mul_f64 v[142:143], v[228:229], v[144:145]
	v_mul_f64 v[210:211], v[226:227], v[144:145]
	v_fma_f64 v[142:143], v[226:227], v[234:235], -v[142:143]
	v_fma_f64 v[210:211], v[228:229], v[234:235], v[210:211]
	ds_read2_b64 v[226:229], v1 offset0:84 offset1:85
	v_add_f64 v[58:59], v[58:59], -v[142:143]
	v_add_f64 v[60:61], v[60:61], -v[210:211]
	s_waitcnt lgkmcnt(0)
	v_mul_f64 v[142:143], v[228:229], v[144:145]
	v_mul_f64 v[210:211], v[226:227], v[144:145]
	v_fma_f64 v[142:143], v[226:227], v[234:235], -v[142:143]
	v_fma_f64 v[210:211], v[228:229], v[234:235], v[210:211]
	ds_read2_b64 v[226:229], v1 offset0:86 offset1:87
	v_add_f64 v[54:55], v[54:55], -v[142:143]
	v_add_f64 v[56:57], v[56:57], -v[210:211]
	s_waitcnt lgkmcnt(0)
	v_mul_f64 v[142:143], v[228:229], v[144:145]
	v_mul_f64 v[210:211], v[226:227], v[144:145]
	v_fma_f64 v[142:143], v[226:227], v[234:235], -v[142:143]
	v_fma_f64 v[210:211], v[228:229], v[234:235], v[210:211]
	ds_read2_b64 v[226:229], v1 offset0:88 offset1:89
	v_add_f64 v[50:51], v[50:51], -v[142:143]
	v_add_f64 v[52:53], v[52:53], -v[210:211]
	s_waitcnt lgkmcnt(0)
	v_mul_f64 v[142:143], v[228:229], v[144:145]
	v_mul_f64 v[210:211], v[226:227], v[144:145]
	v_fma_f64 v[142:143], v[226:227], v[234:235], -v[142:143]
	v_fma_f64 v[210:211], v[228:229], v[234:235], v[210:211]
	ds_read2_b64 v[226:229], v1 offset0:90 offset1:91
	v_add_f64 v[46:47], v[46:47], -v[142:143]
	v_add_f64 v[48:49], v[48:49], -v[210:211]
	s_waitcnt lgkmcnt(0)
	v_mul_f64 v[142:143], v[228:229], v[144:145]
	v_mul_f64 v[210:211], v[226:227], v[144:145]
	v_fma_f64 v[142:143], v[226:227], v[234:235], -v[142:143]
	v_fma_f64 v[210:211], v[228:229], v[234:235], v[210:211]
	ds_read2_b64 v[226:229], v1 offset0:92 offset1:93
	v_add_f64 v[42:43], v[42:43], -v[142:143]
	v_add_f64 v[44:45], v[44:45], -v[210:211]
	s_waitcnt lgkmcnt(0)
	v_mul_f64 v[142:143], v[228:229], v[144:145]
	v_mul_f64 v[210:211], v[226:227], v[144:145]
	v_fma_f64 v[142:143], v[226:227], v[234:235], -v[142:143]
	v_fma_f64 v[210:211], v[228:229], v[234:235], v[210:211]
	ds_read2_b64 v[226:229], v1 offset0:94 offset1:95
	v_add_f64 v[38:39], v[38:39], -v[142:143]
	v_add_f64 v[40:41], v[40:41], -v[210:211]
	s_waitcnt lgkmcnt(0)
	v_mul_f64 v[142:143], v[228:229], v[144:145]
	v_mul_f64 v[210:211], v[226:227], v[144:145]
	v_fma_f64 v[142:143], v[226:227], v[234:235], -v[142:143]
	v_fma_f64 v[210:211], v[228:229], v[234:235], v[210:211]
	ds_read2_b64 v[226:229], v1 offset0:96 offset1:97
	v_add_f64 v[34:35], v[34:35], -v[142:143]
	v_add_f64 v[36:37], v[36:37], -v[210:211]
	s_waitcnt lgkmcnt(0)
	v_mul_f64 v[142:143], v[228:229], v[144:145]
	v_mul_f64 v[210:211], v[226:227], v[144:145]
	v_fma_f64 v[142:143], v[226:227], v[234:235], -v[142:143]
	v_fma_f64 v[210:211], v[228:229], v[234:235], v[210:211]
	ds_read2_b64 v[226:229], v1 offset0:98 offset1:99
	v_add_f64 v[30:31], v[30:31], -v[142:143]
	v_add_f64 v[32:33], v[32:33], -v[210:211]
	s_waitcnt lgkmcnt(0)
	v_mul_f64 v[142:143], v[228:229], v[144:145]
	v_mul_f64 v[210:211], v[226:227], v[144:145]
	v_fma_f64 v[142:143], v[226:227], v[234:235], -v[142:143]
	v_fma_f64 v[210:211], v[228:229], v[234:235], v[210:211]
	ds_read2_b64 v[226:229], v1 offset0:100 offset1:101
	v_add_f64 v[26:27], v[26:27], -v[142:143]
	v_add_f64 v[28:29], v[28:29], -v[210:211]
	s_waitcnt lgkmcnt(0)
	v_mul_f64 v[142:143], v[228:229], v[144:145]
	v_mul_f64 v[210:211], v[226:227], v[144:145]
	v_fma_f64 v[142:143], v[226:227], v[234:235], -v[142:143]
	v_fma_f64 v[210:211], v[228:229], v[234:235], v[210:211]
	ds_read2_b64 v[226:229], v1 offset0:102 offset1:103
	v_add_f64 v[22:23], v[22:23], -v[142:143]
	v_add_f64 v[24:25], v[24:25], -v[210:211]
	s_waitcnt lgkmcnt(0)
	v_mul_f64 v[142:143], v[228:229], v[144:145]
	v_mul_f64 v[210:211], v[226:227], v[144:145]
	v_fma_f64 v[142:143], v[226:227], v[234:235], -v[142:143]
	v_fma_f64 v[210:211], v[228:229], v[234:235], v[210:211]
	ds_read2_b64 v[226:229], v1 offset0:104 offset1:105
	v_add_f64 v[18:19], v[18:19], -v[142:143]
	v_add_f64 v[20:21], v[20:21], -v[210:211]
	s_waitcnt lgkmcnt(0)
	v_mul_f64 v[142:143], v[228:229], v[144:145]
	v_mul_f64 v[210:211], v[226:227], v[144:145]
	v_fma_f64 v[142:143], v[226:227], v[234:235], -v[142:143]
	v_fma_f64 v[210:211], v[228:229], v[234:235], v[210:211]
	ds_read2_b64 v[226:229], v1 offset0:106 offset1:107
	v_add_f64 v[14:15], v[14:15], -v[142:143]
	v_add_f64 v[16:17], v[16:17], -v[210:211]
	s_waitcnt lgkmcnt(0)
	v_mul_f64 v[142:143], v[228:229], v[144:145]
	v_mul_f64 v[210:211], v[226:227], v[144:145]
	v_fma_f64 v[142:143], v[226:227], v[234:235], -v[142:143]
	v_fma_f64 v[210:211], v[228:229], v[234:235], v[210:211]
	ds_read2_b64 v[226:229], v1 offset0:108 offset1:109
	v_add_f64 v[10:11], v[10:11], -v[142:143]
	v_add_f64 v[12:13], v[12:13], -v[210:211]
	s_waitcnt lgkmcnt(0)
	v_mul_f64 v[142:143], v[228:229], v[144:145]
	v_mul_f64 v[210:211], v[226:227], v[144:145]
	v_fma_f64 v[142:143], v[226:227], v[234:235], -v[142:143]
	v_fma_f64 v[210:211], v[228:229], v[234:235], v[210:211]
	ds_read2_b64 v[226:229], v1 offset0:110 offset1:111
	v_add_f64 v[249:250], v[249:250], -v[142:143]
	v_add_f64 v[251:252], v[251:252], -v[210:211]
	s_waitcnt lgkmcnt(0)
	v_mul_f64 v[142:143], v[228:229], v[144:145]
	v_mul_f64 v[210:211], v[226:227], v[144:145]
	v_fma_f64 v[142:143], v[226:227], v[234:235], -v[142:143]
	v_fma_f64 v[210:211], v[228:229], v[234:235], v[210:211]
	v_add_f64 v[230:231], v[230:231], -v[142:143]
	v_add_f64 v[232:233], v[232:233], -v[210:211]
	v_mov_b32_e32 v142, v234
	v_mov_b32_e32 v143, v235
.LBB110_441:
	s_or_b32 exec_lo, exec_lo, s0
	v_lshl_add_u32 v210, v240, 4, v1
	s_barrier
	buffer_gl0_inv
	v_mov_b32_e32 v234, 21
	ds_write2_b64 v210, v[138:139], v[140:141] offset1:1
	s_waitcnt lgkmcnt(0)
	s_barrier
	buffer_gl0_inv
	ds_read2_b64 v[226:229], v1 offset0:42 offset1:43
	s_cmp_lt_i32 s8, 23
	s_cbranch_scc1 .LBB110_444
; %bb.442:
	v_add3_u32 v235, v253, 0, 0x160
	v_mov_b32_e32 v234, 21
	s_mov_b32 s1, 22
	s_inst_prefetch 0x1
	.p2align	6
.LBB110_443:                            ; =>This Inner Loop Header: Depth=1
	s_waitcnt lgkmcnt(0)
	v_cmp_gt_f64_e32 vcc_lo, 0, v[228:229]
	v_cmp_gt_f64_e64 s0, 0, v[226:227]
	ds_read2_b64 v[241:244], v235 offset1:1
	v_xor_b32_e32 v211, 0x80000000, v227
	v_xor_b32_e32 v213, 0x80000000, v229
	v_mov_b32_e32 v210, v226
	v_mov_b32_e32 v212, v228
	v_add_nc_u32_e32 v235, 16, v235
	s_waitcnt lgkmcnt(0)
	v_xor_b32_e32 v219, 0x80000000, v244
	v_cndmask_b32_e64 v211, v227, v211, s0
	v_cndmask_b32_e32 v213, v229, v213, vcc_lo
	v_cmp_gt_f64_e32 vcc_lo, 0, v[243:244]
	v_cmp_gt_f64_e64 s0, 0, v[241:242]
	v_mov_b32_e32 v218, v243
	v_add_f64 v[210:211], v[210:211], v[212:213]
	v_xor_b32_e32 v213, 0x80000000, v242
	v_mov_b32_e32 v212, v241
	v_cndmask_b32_e32 v219, v244, v219, vcc_lo
	v_cndmask_b32_e64 v213, v242, v213, s0
	v_add_f64 v[212:213], v[212:213], v[218:219]
	v_cmp_lt_f64_e32 vcc_lo, v[210:211], v[212:213]
	v_cndmask_b32_e32 v227, v227, v242, vcc_lo
	v_cndmask_b32_e32 v226, v226, v241, vcc_lo
	;; [unrolled: 1-line block ×4, first 2 shown]
	v_cndmask_b32_e64 v234, v234, s1, vcc_lo
	s_add_i32 s1, s1, 1
	s_cmp_lg_u32 s8, s1
	s_cbranch_scc1 .LBB110_443
.LBB110_444:
	s_inst_prefetch 0x2
	s_waitcnt lgkmcnt(0)
	v_cmp_eq_f64_e32 vcc_lo, 0, v[226:227]
	v_cmp_eq_f64_e64 s0, 0, v[228:229]
	s_and_b32 s0, vcc_lo, s0
	s_and_saveexec_b32 s1, s0
	s_xor_b32 s0, exec_lo, s1
; %bb.445:
	v_cmp_ne_u32_e32 vcc_lo, 0, v239
	v_cndmask_b32_e32 v239, 22, v239, vcc_lo
; %bb.446:
	s_andn2_saveexec_b32 s0, s0
	s_cbranch_execz .LBB110_452
; %bb.447:
	v_cmp_ngt_f64_e64 s1, |v[226:227]|, |v[228:229]|
	s_and_saveexec_b32 s7, s1
	s_xor_b32 s1, exec_lo, s7
	s_cbranch_execz .LBB110_449
; %bb.448:
	v_div_scale_f64 v[210:211], null, v[228:229], v[228:229], v[226:227]
	v_div_scale_f64 v[220:221], vcc_lo, v[226:227], v[228:229], v[226:227]
	v_rcp_f64_e32 v[212:213], v[210:211]
	v_fma_f64 v[218:219], -v[210:211], v[212:213], 1.0
	v_fma_f64 v[212:213], v[212:213], v[218:219], v[212:213]
	v_fma_f64 v[218:219], -v[210:211], v[212:213], 1.0
	v_fma_f64 v[212:213], v[212:213], v[218:219], v[212:213]
	v_mul_f64 v[218:219], v[220:221], v[212:213]
	v_fma_f64 v[210:211], -v[210:211], v[218:219], v[220:221]
	v_div_fmas_f64 v[210:211], v[210:211], v[212:213], v[218:219]
	v_div_fixup_f64 v[210:211], v[210:211], v[228:229], v[226:227]
	v_fma_f64 v[212:213], v[226:227], v[210:211], v[228:229]
	v_div_scale_f64 v[218:219], null, v[212:213], v[212:213], 1.0
	v_rcp_f64_e32 v[220:221], v[218:219]
	v_fma_f64 v[222:223], -v[218:219], v[220:221], 1.0
	v_fma_f64 v[220:221], v[220:221], v[222:223], v[220:221]
	v_fma_f64 v[222:223], -v[218:219], v[220:221], 1.0
	v_fma_f64 v[220:221], v[220:221], v[222:223], v[220:221]
	v_div_scale_f64 v[222:223], vcc_lo, 1.0, v[212:213], 1.0
	v_mul_f64 v[224:225], v[222:223], v[220:221]
	v_fma_f64 v[218:219], -v[218:219], v[224:225], v[222:223]
	v_div_fmas_f64 v[218:219], v[218:219], v[220:221], v[224:225]
	v_div_fixup_f64 v[228:229], v[218:219], v[212:213], 1.0
	v_mul_f64 v[226:227], v[210:211], v[228:229]
	v_xor_b32_e32 v229, 0x80000000, v229
.LBB110_449:
	s_andn2_saveexec_b32 s1, s1
	s_cbranch_execz .LBB110_451
; %bb.450:
	v_div_scale_f64 v[210:211], null, v[226:227], v[226:227], v[228:229]
	v_div_scale_f64 v[220:221], vcc_lo, v[228:229], v[226:227], v[228:229]
	v_rcp_f64_e32 v[212:213], v[210:211]
	v_fma_f64 v[218:219], -v[210:211], v[212:213], 1.0
	v_fma_f64 v[212:213], v[212:213], v[218:219], v[212:213]
	v_fma_f64 v[218:219], -v[210:211], v[212:213], 1.0
	v_fma_f64 v[212:213], v[212:213], v[218:219], v[212:213]
	v_mul_f64 v[218:219], v[220:221], v[212:213]
	v_fma_f64 v[210:211], -v[210:211], v[218:219], v[220:221]
	v_div_fmas_f64 v[210:211], v[210:211], v[212:213], v[218:219]
	v_div_fixup_f64 v[210:211], v[210:211], v[226:227], v[228:229]
	v_fma_f64 v[212:213], v[228:229], v[210:211], v[226:227]
	v_div_scale_f64 v[218:219], null, v[212:213], v[212:213], 1.0
	v_rcp_f64_e32 v[220:221], v[218:219]
	v_fma_f64 v[222:223], -v[218:219], v[220:221], 1.0
	v_fma_f64 v[220:221], v[220:221], v[222:223], v[220:221]
	v_fma_f64 v[222:223], -v[218:219], v[220:221], 1.0
	v_fma_f64 v[220:221], v[220:221], v[222:223], v[220:221]
	v_div_scale_f64 v[222:223], vcc_lo, 1.0, v[212:213], 1.0
	v_mul_f64 v[224:225], v[222:223], v[220:221]
	v_fma_f64 v[218:219], -v[218:219], v[224:225], v[222:223]
	v_div_fmas_f64 v[218:219], v[218:219], v[220:221], v[224:225]
	v_div_fixup_f64 v[226:227], v[218:219], v[212:213], 1.0
	v_mul_f64 v[228:229], v[210:211], -v[226:227]
.LBB110_451:
	s_or_b32 exec_lo, exec_lo, s1
.LBB110_452:
	s_or_b32 exec_lo, exec_lo, s0
	s_mov_b32 s0, exec_lo
	v_cmpx_ne_u32_e64 v240, v234
	s_xor_b32 s0, exec_lo, s0
	s_cbranch_execz .LBB110_458
; %bb.453:
	s_mov_b32 s1, exec_lo
	v_cmpx_eq_u32_e32 21, v240
	s_cbranch_execz .LBB110_457
; %bb.454:
	v_cmp_ne_u32_e32 vcc_lo, 21, v234
	s_xor_b32 s7, s16, -1
	s_and_b32 s9, s7, vcc_lo
	s_and_saveexec_b32 s7, s9
	s_cbranch_execz .LBB110_456
; %bb.455:
	v_ashrrev_i32_e32 v235, 31, v234
	v_lshlrev_b64 v[210:211], 2, v[234:235]
	v_add_co_u32 v210, vcc_lo, v214, v210
	v_add_co_ci_u32_e64 v211, null, v215, v211, vcc_lo
	s_clause 0x1
	global_load_dword v0, v[210:211], off
	global_load_dword v212, v[214:215], off offset:84
	s_waitcnt vmcnt(1)
	global_store_dword v[214:215], v0, off offset:84
	s_waitcnt vmcnt(0)
	global_store_dword v[210:211], v212, off
.LBB110_456:
	s_or_b32 exec_lo, exec_lo, s7
	v_mov_b32_e32 v240, v234
	v_mov_b32_e32 v0, v234
.LBB110_457:
	s_or_b32 exec_lo, exec_lo, s1
.LBB110_458:
	s_andn2_saveexec_b32 s0, s0
	s_cbranch_execz .LBB110_460
; %bb.459:
	v_mov_b32_e32 v240, 21
	ds_write2_b64 v1, v[134:135], v[136:137] offset0:44 offset1:45
	ds_write2_b64 v1, v[130:131], v[132:133] offset0:46 offset1:47
	;; [unrolled: 1-line block ×34, first 2 shown]
.LBB110_460:
	s_or_b32 exec_lo, exec_lo, s0
	s_mov_b32 s0, exec_lo
	s_waitcnt lgkmcnt(0)
	s_waitcnt_vscnt null, 0x0
	s_barrier
	buffer_gl0_inv
	v_cmpx_lt_i32_e32 21, v240
	s_cbranch_execz .LBB110_462
; %bb.461:
	v_mul_f64 v[210:211], v[228:229], v[140:141]
	v_mul_f64 v[140:141], v[226:227], v[140:141]
	v_fma_f64 v[234:235], v[226:227], v[138:139], -v[210:211]
	v_fma_f64 v[140:141], v[228:229], v[138:139], v[140:141]
	ds_read2_b64 v[226:229], v1 offset0:44 offset1:45
	s_waitcnt lgkmcnt(0)
	v_mul_f64 v[138:139], v[228:229], v[140:141]
	v_mul_f64 v[210:211], v[226:227], v[140:141]
	v_fma_f64 v[138:139], v[226:227], v[234:235], -v[138:139]
	v_fma_f64 v[210:211], v[228:229], v[234:235], v[210:211]
	ds_read2_b64 v[226:229], v1 offset0:46 offset1:47
	v_add_f64 v[134:135], v[134:135], -v[138:139]
	v_add_f64 v[136:137], v[136:137], -v[210:211]
	s_waitcnt lgkmcnt(0)
	v_mul_f64 v[138:139], v[228:229], v[140:141]
	v_mul_f64 v[210:211], v[226:227], v[140:141]
	v_fma_f64 v[138:139], v[226:227], v[234:235], -v[138:139]
	v_fma_f64 v[210:211], v[228:229], v[234:235], v[210:211]
	ds_read2_b64 v[226:229], v1 offset0:48 offset1:49
	v_add_f64 v[130:131], v[130:131], -v[138:139]
	v_add_f64 v[132:133], v[132:133], -v[210:211]
	;; [unrolled: 8-line block ×33, first 2 shown]
	s_waitcnt lgkmcnt(0)
	v_mul_f64 v[138:139], v[228:229], v[140:141]
	v_mul_f64 v[210:211], v[226:227], v[140:141]
	v_fma_f64 v[138:139], v[226:227], v[234:235], -v[138:139]
	v_fma_f64 v[210:211], v[228:229], v[234:235], v[210:211]
	v_add_f64 v[230:231], v[230:231], -v[138:139]
	v_add_f64 v[232:233], v[232:233], -v[210:211]
	v_mov_b32_e32 v138, v234
	v_mov_b32_e32 v139, v235
.LBB110_462:
	s_or_b32 exec_lo, exec_lo, s0
	v_lshl_add_u32 v210, v240, 4, v1
	s_barrier
	buffer_gl0_inv
	v_mov_b32_e32 v234, 22
	ds_write2_b64 v210, v[134:135], v[136:137] offset1:1
	s_waitcnt lgkmcnt(0)
	s_barrier
	buffer_gl0_inv
	ds_read2_b64 v[226:229], v1 offset0:44 offset1:45
	s_cmp_lt_i32 s8, 24
	s_cbranch_scc1 .LBB110_465
; %bb.463:
	v_add3_u32 v235, v253, 0, 0x170
	v_mov_b32_e32 v234, 22
	s_mov_b32 s1, 23
	s_inst_prefetch 0x1
	.p2align	6
.LBB110_464:                            ; =>This Inner Loop Header: Depth=1
	s_waitcnt lgkmcnt(0)
	v_cmp_gt_f64_e32 vcc_lo, 0, v[228:229]
	v_cmp_gt_f64_e64 s0, 0, v[226:227]
	ds_read2_b64 v[241:244], v235 offset1:1
	v_xor_b32_e32 v211, 0x80000000, v227
	v_xor_b32_e32 v213, 0x80000000, v229
	v_mov_b32_e32 v210, v226
	v_mov_b32_e32 v212, v228
	v_add_nc_u32_e32 v235, 16, v235
	s_waitcnt lgkmcnt(0)
	v_xor_b32_e32 v219, 0x80000000, v244
	v_cndmask_b32_e64 v211, v227, v211, s0
	v_cndmask_b32_e32 v213, v229, v213, vcc_lo
	v_cmp_gt_f64_e32 vcc_lo, 0, v[243:244]
	v_cmp_gt_f64_e64 s0, 0, v[241:242]
	v_mov_b32_e32 v218, v243
	v_add_f64 v[210:211], v[210:211], v[212:213]
	v_xor_b32_e32 v213, 0x80000000, v242
	v_mov_b32_e32 v212, v241
	v_cndmask_b32_e32 v219, v244, v219, vcc_lo
	v_cndmask_b32_e64 v213, v242, v213, s0
	v_add_f64 v[212:213], v[212:213], v[218:219]
	v_cmp_lt_f64_e32 vcc_lo, v[210:211], v[212:213]
	v_cndmask_b32_e32 v227, v227, v242, vcc_lo
	v_cndmask_b32_e32 v226, v226, v241, vcc_lo
	;; [unrolled: 1-line block ×4, first 2 shown]
	v_cndmask_b32_e64 v234, v234, s1, vcc_lo
	s_add_i32 s1, s1, 1
	s_cmp_lg_u32 s8, s1
	s_cbranch_scc1 .LBB110_464
.LBB110_465:
	s_inst_prefetch 0x2
	s_waitcnt lgkmcnt(0)
	v_cmp_eq_f64_e32 vcc_lo, 0, v[226:227]
	v_cmp_eq_f64_e64 s0, 0, v[228:229]
	s_and_b32 s0, vcc_lo, s0
	s_and_saveexec_b32 s1, s0
	s_xor_b32 s0, exec_lo, s1
; %bb.466:
	v_cmp_ne_u32_e32 vcc_lo, 0, v239
	v_cndmask_b32_e32 v239, 23, v239, vcc_lo
; %bb.467:
	s_andn2_saveexec_b32 s0, s0
	s_cbranch_execz .LBB110_473
; %bb.468:
	v_cmp_ngt_f64_e64 s1, |v[226:227]|, |v[228:229]|
	s_and_saveexec_b32 s7, s1
	s_xor_b32 s1, exec_lo, s7
	s_cbranch_execz .LBB110_470
; %bb.469:
	v_div_scale_f64 v[210:211], null, v[228:229], v[228:229], v[226:227]
	v_div_scale_f64 v[220:221], vcc_lo, v[226:227], v[228:229], v[226:227]
	v_rcp_f64_e32 v[212:213], v[210:211]
	v_fma_f64 v[218:219], -v[210:211], v[212:213], 1.0
	v_fma_f64 v[212:213], v[212:213], v[218:219], v[212:213]
	v_fma_f64 v[218:219], -v[210:211], v[212:213], 1.0
	v_fma_f64 v[212:213], v[212:213], v[218:219], v[212:213]
	v_mul_f64 v[218:219], v[220:221], v[212:213]
	v_fma_f64 v[210:211], -v[210:211], v[218:219], v[220:221]
	v_div_fmas_f64 v[210:211], v[210:211], v[212:213], v[218:219]
	v_div_fixup_f64 v[210:211], v[210:211], v[228:229], v[226:227]
	v_fma_f64 v[212:213], v[226:227], v[210:211], v[228:229]
	v_div_scale_f64 v[218:219], null, v[212:213], v[212:213], 1.0
	v_rcp_f64_e32 v[220:221], v[218:219]
	v_fma_f64 v[222:223], -v[218:219], v[220:221], 1.0
	v_fma_f64 v[220:221], v[220:221], v[222:223], v[220:221]
	v_fma_f64 v[222:223], -v[218:219], v[220:221], 1.0
	v_fma_f64 v[220:221], v[220:221], v[222:223], v[220:221]
	v_div_scale_f64 v[222:223], vcc_lo, 1.0, v[212:213], 1.0
	v_mul_f64 v[224:225], v[222:223], v[220:221]
	v_fma_f64 v[218:219], -v[218:219], v[224:225], v[222:223]
	v_div_fmas_f64 v[218:219], v[218:219], v[220:221], v[224:225]
	v_div_fixup_f64 v[228:229], v[218:219], v[212:213], 1.0
	v_mul_f64 v[226:227], v[210:211], v[228:229]
	v_xor_b32_e32 v229, 0x80000000, v229
.LBB110_470:
	s_andn2_saveexec_b32 s1, s1
	s_cbranch_execz .LBB110_472
; %bb.471:
	v_div_scale_f64 v[210:211], null, v[226:227], v[226:227], v[228:229]
	v_div_scale_f64 v[220:221], vcc_lo, v[228:229], v[226:227], v[228:229]
	v_rcp_f64_e32 v[212:213], v[210:211]
	v_fma_f64 v[218:219], -v[210:211], v[212:213], 1.0
	v_fma_f64 v[212:213], v[212:213], v[218:219], v[212:213]
	v_fma_f64 v[218:219], -v[210:211], v[212:213], 1.0
	v_fma_f64 v[212:213], v[212:213], v[218:219], v[212:213]
	v_mul_f64 v[218:219], v[220:221], v[212:213]
	v_fma_f64 v[210:211], -v[210:211], v[218:219], v[220:221]
	v_div_fmas_f64 v[210:211], v[210:211], v[212:213], v[218:219]
	v_div_fixup_f64 v[210:211], v[210:211], v[226:227], v[228:229]
	v_fma_f64 v[212:213], v[228:229], v[210:211], v[226:227]
	v_div_scale_f64 v[218:219], null, v[212:213], v[212:213], 1.0
	v_rcp_f64_e32 v[220:221], v[218:219]
	v_fma_f64 v[222:223], -v[218:219], v[220:221], 1.0
	v_fma_f64 v[220:221], v[220:221], v[222:223], v[220:221]
	v_fma_f64 v[222:223], -v[218:219], v[220:221], 1.0
	v_fma_f64 v[220:221], v[220:221], v[222:223], v[220:221]
	v_div_scale_f64 v[222:223], vcc_lo, 1.0, v[212:213], 1.0
	v_mul_f64 v[224:225], v[222:223], v[220:221]
	v_fma_f64 v[218:219], -v[218:219], v[224:225], v[222:223]
	v_div_fmas_f64 v[218:219], v[218:219], v[220:221], v[224:225]
	v_div_fixup_f64 v[226:227], v[218:219], v[212:213], 1.0
	v_mul_f64 v[228:229], v[210:211], -v[226:227]
.LBB110_472:
	s_or_b32 exec_lo, exec_lo, s1
.LBB110_473:
	s_or_b32 exec_lo, exec_lo, s0
	s_mov_b32 s0, exec_lo
	v_cmpx_ne_u32_e64 v240, v234
	s_xor_b32 s0, exec_lo, s0
	s_cbranch_execz .LBB110_479
; %bb.474:
	s_mov_b32 s1, exec_lo
	v_cmpx_eq_u32_e32 22, v240
	s_cbranch_execz .LBB110_478
; %bb.475:
	v_cmp_ne_u32_e32 vcc_lo, 22, v234
	s_xor_b32 s7, s16, -1
	s_and_b32 s9, s7, vcc_lo
	s_and_saveexec_b32 s7, s9
	s_cbranch_execz .LBB110_477
; %bb.476:
	v_ashrrev_i32_e32 v235, 31, v234
	v_lshlrev_b64 v[210:211], 2, v[234:235]
	v_add_co_u32 v210, vcc_lo, v214, v210
	v_add_co_ci_u32_e64 v211, null, v215, v211, vcc_lo
	s_clause 0x1
	global_load_dword v0, v[210:211], off
	global_load_dword v212, v[214:215], off offset:88
	s_waitcnt vmcnt(1)
	global_store_dword v[214:215], v0, off offset:88
	s_waitcnt vmcnt(0)
	global_store_dword v[210:211], v212, off
.LBB110_477:
	s_or_b32 exec_lo, exec_lo, s7
	v_mov_b32_e32 v240, v234
	v_mov_b32_e32 v0, v234
.LBB110_478:
	s_or_b32 exec_lo, exec_lo, s1
.LBB110_479:
	s_andn2_saveexec_b32 s0, s0
	s_cbranch_execz .LBB110_481
; %bb.480:
	v_mov_b32_e32 v240, 22
	ds_write2_b64 v1, v[130:131], v[132:133] offset0:46 offset1:47
	ds_write2_b64 v1, v[126:127], v[128:129] offset0:48 offset1:49
	ds_write2_b64 v1, v[122:123], v[124:125] offset0:50 offset1:51
	ds_write2_b64 v1, v[118:119], v[120:121] offset0:52 offset1:53
	ds_write2_b64 v1, v[114:115], v[116:117] offset0:54 offset1:55
	ds_write2_b64 v1, v[110:111], v[112:113] offset0:56 offset1:57
	ds_write2_b64 v1, v[106:107], v[108:109] offset0:58 offset1:59
	ds_write2_b64 v1, v[102:103], v[104:105] offset0:60 offset1:61
	ds_write2_b64 v1, v[98:99], v[100:101] offset0:62 offset1:63
	ds_write2_b64 v1, v[94:95], v[96:97] offset0:64 offset1:65
	ds_write2_b64 v1, v[90:91], v[92:93] offset0:66 offset1:67
	ds_write2_b64 v1, v[86:87], v[88:89] offset0:68 offset1:69
	ds_write2_b64 v1, v[82:83], v[84:85] offset0:70 offset1:71
	ds_write2_b64 v1, v[78:79], v[80:81] offset0:72 offset1:73
	ds_write2_b64 v1, v[74:75], v[76:77] offset0:74 offset1:75
	ds_write2_b64 v1, v[70:71], v[72:73] offset0:76 offset1:77
	ds_write2_b64 v1, v[66:67], v[68:69] offset0:78 offset1:79
	ds_write2_b64 v1, v[62:63], v[64:65] offset0:80 offset1:81
	ds_write2_b64 v1, v[58:59], v[60:61] offset0:82 offset1:83
	ds_write2_b64 v1, v[54:55], v[56:57] offset0:84 offset1:85
	ds_write2_b64 v1, v[50:51], v[52:53] offset0:86 offset1:87
	ds_write2_b64 v1, v[46:47], v[48:49] offset0:88 offset1:89
	ds_write2_b64 v1, v[42:43], v[44:45] offset0:90 offset1:91
	ds_write2_b64 v1, v[38:39], v[40:41] offset0:92 offset1:93
	ds_write2_b64 v1, v[34:35], v[36:37] offset0:94 offset1:95
	ds_write2_b64 v1, v[30:31], v[32:33] offset0:96 offset1:97
	ds_write2_b64 v1, v[26:27], v[28:29] offset0:98 offset1:99
	ds_write2_b64 v1, v[22:23], v[24:25] offset0:100 offset1:101
	ds_write2_b64 v1, v[18:19], v[20:21] offset0:102 offset1:103
	ds_write2_b64 v1, v[14:15], v[16:17] offset0:104 offset1:105
	ds_write2_b64 v1, v[10:11], v[12:13] offset0:106 offset1:107
	ds_write2_b64 v1, v[249:250], v[251:252] offset0:108 offset1:109
	ds_write2_b64 v1, v[230:231], v[232:233] offset0:110 offset1:111
.LBB110_481:
	s_or_b32 exec_lo, exec_lo, s0
	s_mov_b32 s0, exec_lo
	s_waitcnt lgkmcnt(0)
	s_waitcnt_vscnt null, 0x0
	s_barrier
	buffer_gl0_inv
	v_cmpx_lt_i32_e32 22, v240
	s_cbranch_execz .LBB110_483
; %bb.482:
	v_mul_f64 v[210:211], v[228:229], v[136:137]
	v_mul_f64 v[136:137], v[226:227], v[136:137]
	v_fma_f64 v[234:235], v[226:227], v[134:135], -v[210:211]
	v_fma_f64 v[136:137], v[228:229], v[134:135], v[136:137]
	ds_read2_b64 v[226:229], v1 offset0:46 offset1:47
	s_waitcnt lgkmcnt(0)
	v_mul_f64 v[134:135], v[228:229], v[136:137]
	v_mul_f64 v[210:211], v[226:227], v[136:137]
	v_fma_f64 v[134:135], v[226:227], v[234:235], -v[134:135]
	v_fma_f64 v[210:211], v[228:229], v[234:235], v[210:211]
	ds_read2_b64 v[226:229], v1 offset0:48 offset1:49
	v_add_f64 v[130:131], v[130:131], -v[134:135]
	v_add_f64 v[132:133], v[132:133], -v[210:211]
	s_waitcnt lgkmcnt(0)
	v_mul_f64 v[134:135], v[228:229], v[136:137]
	v_mul_f64 v[210:211], v[226:227], v[136:137]
	v_fma_f64 v[134:135], v[226:227], v[234:235], -v[134:135]
	v_fma_f64 v[210:211], v[228:229], v[234:235], v[210:211]
	ds_read2_b64 v[226:229], v1 offset0:50 offset1:51
	v_add_f64 v[126:127], v[126:127], -v[134:135]
	v_add_f64 v[128:129], v[128:129], -v[210:211]
	;; [unrolled: 8-line block ×32, first 2 shown]
	s_waitcnt lgkmcnt(0)
	v_mul_f64 v[134:135], v[228:229], v[136:137]
	v_mul_f64 v[210:211], v[226:227], v[136:137]
	v_fma_f64 v[134:135], v[226:227], v[234:235], -v[134:135]
	v_fma_f64 v[210:211], v[228:229], v[234:235], v[210:211]
	v_add_f64 v[230:231], v[230:231], -v[134:135]
	v_add_f64 v[232:233], v[232:233], -v[210:211]
	v_mov_b32_e32 v134, v234
	v_mov_b32_e32 v135, v235
.LBB110_483:
	s_or_b32 exec_lo, exec_lo, s0
	v_lshl_add_u32 v210, v240, 4, v1
	s_barrier
	buffer_gl0_inv
	v_mov_b32_e32 v234, 23
	ds_write2_b64 v210, v[130:131], v[132:133] offset1:1
	s_waitcnt lgkmcnt(0)
	s_barrier
	buffer_gl0_inv
	ds_read2_b64 v[226:229], v1 offset0:46 offset1:47
	s_cmp_lt_i32 s8, 25
	s_cbranch_scc1 .LBB110_486
; %bb.484:
	v_add3_u32 v235, v253, 0, 0x180
	v_mov_b32_e32 v234, 23
	s_mov_b32 s1, 24
	s_inst_prefetch 0x1
	.p2align	6
.LBB110_485:                            ; =>This Inner Loop Header: Depth=1
	s_waitcnt lgkmcnt(0)
	v_cmp_gt_f64_e32 vcc_lo, 0, v[228:229]
	v_cmp_gt_f64_e64 s0, 0, v[226:227]
	ds_read2_b64 v[241:244], v235 offset1:1
	v_xor_b32_e32 v211, 0x80000000, v227
	v_xor_b32_e32 v213, 0x80000000, v229
	v_mov_b32_e32 v210, v226
	v_mov_b32_e32 v212, v228
	v_add_nc_u32_e32 v235, 16, v235
	s_waitcnt lgkmcnt(0)
	v_xor_b32_e32 v219, 0x80000000, v244
	v_cndmask_b32_e64 v211, v227, v211, s0
	v_cndmask_b32_e32 v213, v229, v213, vcc_lo
	v_cmp_gt_f64_e32 vcc_lo, 0, v[243:244]
	v_cmp_gt_f64_e64 s0, 0, v[241:242]
	v_mov_b32_e32 v218, v243
	v_add_f64 v[210:211], v[210:211], v[212:213]
	v_xor_b32_e32 v213, 0x80000000, v242
	v_mov_b32_e32 v212, v241
	v_cndmask_b32_e32 v219, v244, v219, vcc_lo
	v_cndmask_b32_e64 v213, v242, v213, s0
	v_add_f64 v[212:213], v[212:213], v[218:219]
	v_cmp_lt_f64_e32 vcc_lo, v[210:211], v[212:213]
	v_cndmask_b32_e32 v227, v227, v242, vcc_lo
	v_cndmask_b32_e32 v226, v226, v241, vcc_lo
	;; [unrolled: 1-line block ×4, first 2 shown]
	v_cndmask_b32_e64 v234, v234, s1, vcc_lo
	s_add_i32 s1, s1, 1
	s_cmp_lg_u32 s8, s1
	s_cbranch_scc1 .LBB110_485
.LBB110_486:
	s_inst_prefetch 0x2
	s_waitcnt lgkmcnt(0)
	v_cmp_eq_f64_e32 vcc_lo, 0, v[226:227]
	v_cmp_eq_f64_e64 s0, 0, v[228:229]
	s_and_b32 s0, vcc_lo, s0
	s_and_saveexec_b32 s1, s0
	s_xor_b32 s0, exec_lo, s1
; %bb.487:
	v_cmp_ne_u32_e32 vcc_lo, 0, v239
	v_cndmask_b32_e32 v239, 24, v239, vcc_lo
; %bb.488:
	s_andn2_saveexec_b32 s0, s0
	s_cbranch_execz .LBB110_494
; %bb.489:
	v_cmp_ngt_f64_e64 s1, |v[226:227]|, |v[228:229]|
	s_and_saveexec_b32 s7, s1
	s_xor_b32 s1, exec_lo, s7
	s_cbranch_execz .LBB110_491
; %bb.490:
	v_div_scale_f64 v[210:211], null, v[228:229], v[228:229], v[226:227]
	v_div_scale_f64 v[220:221], vcc_lo, v[226:227], v[228:229], v[226:227]
	v_rcp_f64_e32 v[212:213], v[210:211]
	v_fma_f64 v[218:219], -v[210:211], v[212:213], 1.0
	v_fma_f64 v[212:213], v[212:213], v[218:219], v[212:213]
	v_fma_f64 v[218:219], -v[210:211], v[212:213], 1.0
	v_fma_f64 v[212:213], v[212:213], v[218:219], v[212:213]
	v_mul_f64 v[218:219], v[220:221], v[212:213]
	v_fma_f64 v[210:211], -v[210:211], v[218:219], v[220:221]
	v_div_fmas_f64 v[210:211], v[210:211], v[212:213], v[218:219]
	v_div_fixup_f64 v[210:211], v[210:211], v[228:229], v[226:227]
	v_fma_f64 v[212:213], v[226:227], v[210:211], v[228:229]
	v_div_scale_f64 v[218:219], null, v[212:213], v[212:213], 1.0
	v_rcp_f64_e32 v[220:221], v[218:219]
	v_fma_f64 v[222:223], -v[218:219], v[220:221], 1.0
	v_fma_f64 v[220:221], v[220:221], v[222:223], v[220:221]
	v_fma_f64 v[222:223], -v[218:219], v[220:221], 1.0
	v_fma_f64 v[220:221], v[220:221], v[222:223], v[220:221]
	v_div_scale_f64 v[222:223], vcc_lo, 1.0, v[212:213], 1.0
	v_mul_f64 v[224:225], v[222:223], v[220:221]
	v_fma_f64 v[218:219], -v[218:219], v[224:225], v[222:223]
	v_div_fmas_f64 v[218:219], v[218:219], v[220:221], v[224:225]
	v_div_fixup_f64 v[228:229], v[218:219], v[212:213], 1.0
	v_mul_f64 v[226:227], v[210:211], v[228:229]
	v_xor_b32_e32 v229, 0x80000000, v229
.LBB110_491:
	s_andn2_saveexec_b32 s1, s1
	s_cbranch_execz .LBB110_493
; %bb.492:
	v_div_scale_f64 v[210:211], null, v[226:227], v[226:227], v[228:229]
	v_div_scale_f64 v[220:221], vcc_lo, v[228:229], v[226:227], v[228:229]
	v_rcp_f64_e32 v[212:213], v[210:211]
	v_fma_f64 v[218:219], -v[210:211], v[212:213], 1.0
	v_fma_f64 v[212:213], v[212:213], v[218:219], v[212:213]
	v_fma_f64 v[218:219], -v[210:211], v[212:213], 1.0
	v_fma_f64 v[212:213], v[212:213], v[218:219], v[212:213]
	v_mul_f64 v[218:219], v[220:221], v[212:213]
	v_fma_f64 v[210:211], -v[210:211], v[218:219], v[220:221]
	v_div_fmas_f64 v[210:211], v[210:211], v[212:213], v[218:219]
	v_div_fixup_f64 v[210:211], v[210:211], v[226:227], v[228:229]
	v_fma_f64 v[212:213], v[228:229], v[210:211], v[226:227]
	v_div_scale_f64 v[218:219], null, v[212:213], v[212:213], 1.0
	v_rcp_f64_e32 v[220:221], v[218:219]
	v_fma_f64 v[222:223], -v[218:219], v[220:221], 1.0
	v_fma_f64 v[220:221], v[220:221], v[222:223], v[220:221]
	v_fma_f64 v[222:223], -v[218:219], v[220:221], 1.0
	v_fma_f64 v[220:221], v[220:221], v[222:223], v[220:221]
	v_div_scale_f64 v[222:223], vcc_lo, 1.0, v[212:213], 1.0
	v_mul_f64 v[224:225], v[222:223], v[220:221]
	v_fma_f64 v[218:219], -v[218:219], v[224:225], v[222:223]
	v_div_fmas_f64 v[218:219], v[218:219], v[220:221], v[224:225]
	v_div_fixup_f64 v[226:227], v[218:219], v[212:213], 1.0
	v_mul_f64 v[228:229], v[210:211], -v[226:227]
.LBB110_493:
	s_or_b32 exec_lo, exec_lo, s1
.LBB110_494:
	s_or_b32 exec_lo, exec_lo, s0
	s_mov_b32 s0, exec_lo
	v_cmpx_ne_u32_e64 v240, v234
	s_xor_b32 s0, exec_lo, s0
	s_cbranch_execz .LBB110_500
; %bb.495:
	s_mov_b32 s1, exec_lo
	v_cmpx_eq_u32_e32 23, v240
	s_cbranch_execz .LBB110_499
; %bb.496:
	v_cmp_ne_u32_e32 vcc_lo, 23, v234
	s_xor_b32 s7, s16, -1
	s_and_b32 s9, s7, vcc_lo
	s_and_saveexec_b32 s7, s9
	s_cbranch_execz .LBB110_498
; %bb.497:
	v_ashrrev_i32_e32 v235, 31, v234
	v_lshlrev_b64 v[210:211], 2, v[234:235]
	v_add_co_u32 v210, vcc_lo, v214, v210
	v_add_co_ci_u32_e64 v211, null, v215, v211, vcc_lo
	s_clause 0x1
	global_load_dword v0, v[210:211], off
	global_load_dword v212, v[214:215], off offset:92
	s_waitcnt vmcnt(1)
	global_store_dword v[214:215], v0, off offset:92
	s_waitcnt vmcnt(0)
	global_store_dword v[210:211], v212, off
.LBB110_498:
	s_or_b32 exec_lo, exec_lo, s7
	v_mov_b32_e32 v240, v234
	v_mov_b32_e32 v0, v234
.LBB110_499:
	s_or_b32 exec_lo, exec_lo, s1
.LBB110_500:
	s_andn2_saveexec_b32 s0, s0
	s_cbranch_execz .LBB110_502
; %bb.501:
	v_mov_b32_e32 v240, 23
	ds_write2_b64 v1, v[126:127], v[128:129] offset0:48 offset1:49
	ds_write2_b64 v1, v[122:123], v[124:125] offset0:50 offset1:51
	;; [unrolled: 1-line block ×32, first 2 shown]
.LBB110_502:
	s_or_b32 exec_lo, exec_lo, s0
	s_mov_b32 s0, exec_lo
	s_waitcnt lgkmcnt(0)
	s_waitcnt_vscnt null, 0x0
	s_barrier
	buffer_gl0_inv
	v_cmpx_lt_i32_e32 23, v240
	s_cbranch_execz .LBB110_504
; %bb.503:
	v_mul_f64 v[210:211], v[228:229], v[132:133]
	v_mul_f64 v[132:133], v[226:227], v[132:133]
	v_fma_f64 v[234:235], v[226:227], v[130:131], -v[210:211]
	v_fma_f64 v[132:133], v[228:229], v[130:131], v[132:133]
	ds_read2_b64 v[226:229], v1 offset0:48 offset1:49
	s_waitcnt lgkmcnt(0)
	v_mul_f64 v[130:131], v[228:229], v[132:133]
	v_mul_f64 v[210:211], v[226:227], v[132:133]
	v_fma_f64 v[130:131], v[226:227], v[234:235], -v[130:131]
	v_fma_f64 v[210:211], v[228:229], v[234:235], v[210:211]
	ds_read2_b64 v[226:229], v1 offset0:50 offset1:51
	v_add_f64 v[126:127], v[126:127], -v[130:131]
	v_add_f64 v[128:129], v[128:129], -v[210:211]
	s_waitcnt lgkmcnt(0)
	v_mul_f64 v[130:131], v[228:229], v[132:133]
	v_mul_f64 v[210:211], v[226:227], v[132:133]
	v_fma_f64 v[130:131], v[226:227], v[234:235], -v[130:131]
	v_fma_f64 v[210:211], v[228:229], v[234:235], v[210:211]
	ds_read2_b64 v[226:229], v1 offset0:52 offset1:53
	v_add_f64 v[122:123], v[122:123], -v[130:131]
	v_add_f64 v[124:125], v[124:125], -v[210:211]
	;; [unrolled: 8-line block ×31, first 2 shown]
	s_waitcnt lgkmcnt(0)
	v_mul_f64 v[130:131], v[228:229], v[132:133]
	v_mul_f64 v[210:211], v[226:227], v[132:133]
	v_fma_f64 v[130:131], v[226:227], v[234:235], -v[130:131]
	v_fma_f64 v[210:211], v[228:229], v[234:235], v[210:211]
	v_add_f64 v[230:231], v[230:231], -v[130:131]
	v_add_f64 v[232:233], v[232:233], -v[210:211]
	v_mov_b32_e32 v130, v234
	v_mov_b32_e32 v131, v235
.LBB110_504:
	s_or_b32 exec_lo, exec_lo, s0
	v_lshl_add_u32 v210, v240, 4, v1
	s_barrier
	buffer_gl0_inv
	v_mov_b32_e32 v234, 24
	ds_write2_b64 v210, v[126:127], v[128:129] offset1:1
	s_waitcnt lgkmcnt(0)
	s_barrier
	buffer_gl0_inv
	ds_read2_b64 v[226:229], v1 offset0:48 offset1:49
	s_cmp_lt_i32 s8, 26
	s_cbranch_scc1 .LBB110_507
; %bb.505:
	v_add3_u32 v235, v253, 0, 0x190
	v_mov_b32_e32 v234, 24
	s_mov_b32 s1, 25
	s_inst_prefetch 0x1
	.p2align	6
.LBB110_506:                            ; =>This Inner Loop Header: Depth=1
	s_waitcnt lgkmcnt(0)
	v_cmp_gt_f64_e32 vcc_lo, 0, v[228:229]
	v_cmp_gt_f64_e64 s0, 0, v[226:227]
	ds_read2_b64 v[241:244], v235 offset1:1
	v_xor_b32_e32 v211, 0x80000000, v227
	v_xor_b32_e32 v213, 0x80000000, v229
	v_mov_b32_e32 v210, v226
	v_mov_b32_e32 v212, v228
	v_add_nc_u32_e32 v235, 16, v235
	s_waitcnt lgkmcnt(0)
	v_xor_b32_e32 v219, 0x80000000, v244
	v_cndmask_b32_e64 v211, v227, v211, s0
	v_cndmask_b32_e32 v213, v229, v213, vcc_lo
	v_cmp_gt_f64_e32 vcc_lo, 0, v[243:244]
	v_cmp_gt_f64_e64 s0, 0, v[241:242]
	v_mov_b32_e32 v218, v243
	v_add_f64 v[210:211], v[210:211], v[212:213]
	v_xor_b32_e32 v213, 0x80000000, v242
	v_mov_b32_e32 v212, v241
	v_cndmask_b32_e32 v219, v244, v219, vcc_lo
	v_cndmask_b32_e64 v213, v242, v213, s0
	v_add_f64 v[212:213], v[212:213], v[218:219]
	v_cmp_lt_f64_e32 vcc_lo, v[210:211], v[212:213]
	v_cndmask_b32_e32 v227, v227, v242, vcc_lo
	v_cndmask_b32_e32 v226, v226, v241, vcc_lo
	;; [unrolled: 1-line block ×4, first 2 shown]
	v_cndmask_b32_e64 v234, v234, s1, vcc_lo
	s_add_i32 s1, s1, 1
	s_cmp_lg_u32 s8, s1
	s_cbranch_scc1 .LBB110_506
.LBB110_507:
	s_inst_prefetch 0x2
	s_waitcnt lgkmcnt(0)
	v_cmp_eq_f64_e32 vcc_lo, 0, v[226:227]
	v_cmp_eq_f64_e64 s0, 0, v[228:229]
	s_and_b32 s0, vcc_lo, s0
	s_and_saveexec_b32 s1, s0
	s_xor_b32 s0, exec_lo, s1
; %bb.508:
	v_cmp_ne_u32_e32 vcc_lo, 0, v239
	v_cndmask_b32_e32 v239, 25, v239, vcc_lo
; %bb.509:
	s_andn2_saveexec_b32 s0, s0
	s_cbranch_execz .LBB110_515
; %bb.510:
	v_cmp_ngt_f64_e64 s1, |v[226:227]|, |v[228:229]|
	s_and_saveexec_b32 s7, s1
	s_xor_b32 s1, exec_lo, s7
	s_cbranch_execz .LBB110_512
; %bb.511:
	v_div_scale_f64 v[210:211], null, v[228:229], v[228:229], v[226:227]
	v_div_scale_f64 v[220:221], vcc_lo, v[226:227], v[228:229], v[226:227]
	v_rcp_f64_e32 v[212:213], v[210:211]
	v_fma_f64 v[218:219], -v[210:211], v[212:213], 1.0
	v_fma_f64 v[212:213], v[212:213], v[218:219], v[212:213]
	v_fma_f64 v[218:219], -v[210:211], v[212:213], 1.0
	v_fma_f64 v[212:213], v[212:213], v[218:219], v[212:213]
	v_mul_f64 v[218:219], v[220:221], v[212:213]
	v_fma_f64 v[210:211], -v[210:211], v[218:219], v[220:221]
	v_div_fmas_f64 v[210:211], v[210:211], v[212:213], v[218:219]
	v_div_fixup_f64 v[210:211], v[210:211], v[228:229], v[226:227]
	v_fma_f64 v[212:213], v[226:227], v[210:211], v[228:229]
	v_div_scale_f64 v[218:219], null, v[212:213], v[212:213], 1.0
	v_rcp_f64_e32 v[220:221], v[218:219]
	v_fma_f64 v[222:223], -v[218:219], v[220:221], 1.0
	v_fma_f64 v[220:221], v[220:221], v[222:223], v[220:221]
	v_fma_f64 v[222:223], -v[218:219], v[220:221], 1.0
	v_fma_f64 v[220:221], v[220:221], v[222:223], v[220:221]
	v_div_scale_f64 v[222:223], vcc_lo, 1.0, v[212:213], 1.0
	v_mul_f64 v[224:225], v[222:223], v[220:221]
	v_fma_f64 v[218:219], -v[218:219], v[224:225], v[222:223]
	v_div_fmas_f64 v[218:219], v[218:219], v[220:221], v[224:225]
	v_div_fixup_f64 v[228:229], v[218:219], v[212:213], 1.0
	v_mul_f64 v[226:227], v[210:211], v[228:229]
	v_xor_b32_e32 v229, 0x80000000, v229
.LBB110_512:
	s_andn2_saveexec_b32 s1, s1
	s_cbranch_execz .LBB110_514
; %bb.513:
	v_div_scale_f64 v[210:211], null, v[226:227], v[226:227], v[228:229]
	v_div_scale_f64 v[220:221], vcc_lo, v[228:229], v[226:227], v[228:229]
	v_rcp_f64_e32 v[212:213], v[210:211]
	v_fma_f64 v[218:219], -v[210:211], v[212:213], 1.0
	v_fma_f64 v[212:213], v[212:213], v[218:219], v[212:213]
	v_fma_f64 v[218:219], -v[210:211], v[212:213], 1.0
	v_fma_f64 v[212:213], v[212:213], v[218:219], v[212:213]
	v_mul_f64 v[218:219], v[220:221], v[212:213]
	v_fma_f64 v[210:211], -v[210:211], v[218:219], v[220:221]
	v_div_fmas_f64 v[210:211], v[210:211], v[212:213], v[218:219]
	v_div_fixup_f64 v[210:211], v[210:211], v[226:227], v[228:229]
	v_fma_f64 v[212:213], v[228:229], v[210:211], v[226:227]
	v_div_scale_f64 v[218:219], null, v[212:213], v[212:213], 1.0
	v_rcp_f64_e32 v[220:221], v[218:219]
	v_fma_f64 v[222:223], -v[218:219], v[220:221], 1.0
	v_fma_f64 v[220:221], v[220:221], v[222:223], v[220:221]
	v_fma_f64 v[222:223], -v[218:219], v[220:221], 1.0
	v_fma_f64 v[220:221], v[220:221], v[222:223], v[220:221]
	v_div_scale_f64 v[222:223], vcc_lo, 1.0, v[212:213], 1.0
	v_mul_f64 v[224:225], v[222:223], v[220:221]
	v_fma_f64 v[218:219], -v[218:219], v[224:225], v[222:223]
	v_div_fmas_f64 v[218:219], v[218:219], v[220:221], v[224:225]
	v_div_fixup_f64 v[226:227], v[218:219], v[212:213], 1.0
	v_mul_f64 v[228:229], v[210:211], -v[226:227]
.LBB110_514:
	s_or_b32 exec_lo, exec_lo, s1
.LBB110_515:
	s_or_b32 exec_lo, exec_lo, s0
	s_mov_b32 s0, exec_lo
	v_cmpx_ne_u32_e64 v240, v234
	s_xor_b32 s0, exec_lo, s0
	s_cbranch_execz .LBB110_521
; %bb.516:
	s_mov_b32 s1, exec_lo
	v_cmpx_eq_u32_e32 24, v240
	s_cbranch_execz .LBB110_520
; %bb.517:
	v_cmp_ne_u32_e32 vcc_lo, 24, v234
	s_xor_b32 s7, s16, -1
	s_and_b32 s9, s7, vcc_lo
	s_and_saveexec_b32 s7, s9
	s_cbranch_execz .LBB110_519
; %bb.518:
	v_ashrrev_i32_e32 v235, 31, v234
	v_lshlrev_b64 v[210:211], 2, v[234:235]
	v_add_co_u32 v210, vcc_lo, v214, v210
	v_add_co_ci_u32_e64 v211, null, v215, v211, vcc_lo
	s_clause 0x1
	global_load_dword v0, v[210:211], off
	global_load_dword v212, v[214:215], off offset:96
	s_waitcnt vmcnt(1)
	global_store_dword v[214:215], v0, off offset:96
	s_waitcnt vmcnt(0)
	global_store_dword v[210:211], v212, off
.LBB110_519:
	s_or_b32 exec_lo, exec_lo, s7
	v_mov_b32_e32 v240, v234
	v_mov_b32_e32 v0, v234
.LBB110_520:
	s_or_b32 exec_lo, exec_lo, s1
.LBB110_521:
	s_andn2_saveexec_b32 s0, s0
	s_cbranch_execz .LBB110_523
; %bb.522:
	v_mov_b32_e32 v240, 24
	ds_write2_b64 v1, v[122:123], v[124:125] offset0:50 offset1:51
	ds_write2_b64 v1, v[118:119], v[120:121] offset0:52 offset1:53
	;; [unrolled: 1-line block ×31, first 2 shown]
.LBB110_523:
	s_or_b32 exec_lo, exec_lo, s0
	s_mov_b32 s0, exec_lo
	s_waitcnt lgkmcnt(0)
	s_waitcnt_vscnt null, 0x0
	s_barrier
	buffer_gl0_inv
	v_cmpx_lt_i32_e32 24, v240
	s_cbranch_execz .LBB110_525
; %bb.524:
	v_mul_f64 v[210:211], v[228:229], v[128:129]
	v_mul_f64 v[128:129], v[226:227], v[128:129]
	v_fma_f64 v[234:235], v[226:227], v[126:127], -v[210:211]
	v_fma_f64 v[128:129], v[228:229], v[126:127], v[128:129]
	ds_read2_b64 v[226:229], v1 offset0:50 offset1:51
	s_waitcnt lgkmcnt(0)
	v_mul_f64 v[126:127], v[228:229], v[128:129]
	v_mul_f64 v[210:211], v[226:227], v[128:129]
	v_fma_f64 v[126:127], v[226:227], v[234:235], -v[126:127]
	v_fma_f64 v[210:211], v[228:229], v[234:235], v[210:211]
	ds_read2_b64 v[226:229], v1 offset0:52 offset1:53
	v_add_f64 v[122:123], v[122:123], -v[126:127]
	v_add_f64 v[124:125], v[124:125], -v[210:211]
	s_waitcnt lgkmcnt(0)
	v_mul_f64 v[126:127], v[228:229], v[128:129]
	v_mul_f64 v[210:211], v[226:227], v[128:129]
	v_fma_f64 v[126:127], v[226:227], v[234:235], -v[126:127]
	v_fma_f64 v[210:211], v[228:229], v[234:235], v[210:211]
	ds_read2_b64 v[226:229], v1 offset0:54 offset1:55
	v_add_f64 v[118:119], v[118:119], -v[126:127]
	v_add_f64 v[120:121], v[120:121], -v[210:211]
	;; [unrolled: 8-line block ×30, first 2 shown]
	s_waitcnt lgkmcnt(0)
	v_mul_f64 v[126:127], v[228:229], v[128:129]
	v_mul_f64 v[210:211], v[226:227], v[128:129]
	v_fma_f64 v[126:127], v[226:227], v[234:235], -v[126:127]
	v_fma_f64 v[210:211], v[228:229], v[234:235], v[210:211]
	v_add_f64 v[230:231], v[230:231], -v[126:127]
	v_add_f64 v[232:233], v[232:233], -v[210:211]
	v_mov_b32_e32 v126, v234
	v_mov_b32_e32 v127, v235
.LBB110_525:
	s_or_b32 exec_lo, exec_lo, s0
	v_lshl_add_u32 v210, v240, 4, v1
	s_barrier
	buffer_gl0_inv
	v_mov_b32_e32 v234, 25
	ds_write2_b64 v210, v[122:123], v[124:125] offset1:1
	s_waitcnt lgkmcnt(0)
	s_barrier
	buffer_gl0_inv
	ds_read2_b64 v[226:229], v1 offset0:50 offset1:51
	s_cmp_lt_i32 s8, 27
	s_cbranch_scc1 .LBB110_528
; %bb.526:
	v_add3_u32 v235, v253, 0, 0x1a0
	v_mov_b32_e32 v234, 25
	s_mov_b32 s1, 26
	s_inst_prefetch 0x1
	.p2align	6
.LBB110_527:                            ; =>This Inner Loop Header: Depth=1
	s_waitcnt lgkmcnt(0)
	v_cmp_gt_f64_e32 vcc_lo, 0, v[228:229]
	v_cmp_gt_f64_e64 s0, 0, v[226:227]
	ds_read2_b64 v[241:244], v235 offset1:1
	v_xor_b32_e32 v211, 0x80000000, v227
	v_xor_b32_e32 v213, 0x80000000, v229
	v_mov_b32_e32 v210, v226
	v_mov_b32_e32 v212, v228
	v_add_nc_u32_e32 v235, 16, v235
	s_waitcnt lgkmcnt(0)
	v_xor_b32_e32 v219, 0x80000000, v244
	v_cndmask_b32_e64 v211, v227, v211, s0
	v_cndmask_b32_e32 v213, v229, v213, vcc_lo
	v_cmp_gt_f64_e32 vcc_lo, 0, v[243:244]
	v_cmp_gt_f64_e64 s0, 0, v[241:242]
	v_mov_b32_e32 v218, v243
	v_add_f64 v[210:211], v[210:211], v[212:213]
	v_xor_b32_e32 v213, 0x80000000, v242
	v_mov_b32_e32 v212, v241
	v_cndmask_b32_e32 v219, v244, v219, vcc_lo
	v_cndmask_b32_e64 v213, v242, v213, s0
	v_add_f64 v[212:213], v[212:213], v[218:219]
	v_cmp_lt_f64_e32 vcc_lo, v[210:211], v[212:213]
	v_cndmask_b32_e32 v227, v227, v242, vcc_lo
	v_cndmask_b32_e32 v226, v226, v241, vcc_lo
	;; [unrolled: 1-line block ×4, first 2 shown]
	v_cndmask_b32_e64 v234, v234, s1, vcc_lo
	s_add_i32 s1, s1, 1
	s_cmp_lg_u32 s8, s1
	s_cbranch_scc1 .LBB110_527
.LBB110_528:
	s_inst_prefetch 0x2
	s_waitcnt lgkmcnt(0)
	v_cmp_eq_f64_e32 vcc_lo, 0, v[226:227]
	v_cmp_eq_f64_e64 s0, 0, v[228:229]
	s_and_b32 s0, vcc_lo, s0
	s_and_saveexec_b32 s1, s0
	s_xor_b32 s0, exec_lo, s1
; %bb.529:
	v_cmp_ne_u32_e32 vcc_lo, 0, v239
	v_cndmask_b32_e32 v239, 26, v239, vcc_lo
; %bb.530:
	s_andn2_saveexec_b32 s0, s0
	s_cbranch_execz .LBB110_536
; %bb.531:
	v_cmp_ngt_f64_e64 s1, |v[226:227]|, |v[228:229]|
	s_and_saveexec_b32 s7, s1
	s_xor_b32 s1, exec_lo, s7
	s_cbranch_execz .LBB110_533
; %bb.532:
	v_div_scale_f64 v[210:211], null, v[228:229], v[228:229], v[226:227]
	v_div_scale_f64 v[220:221], vcc_lo, v[226:227], v[228:229], v[226:227]
	v_rcp_f64_e32 v[212:213], v[210:211]
	v_fma_f64 v[218:219], -v[210:211], v[212:213], 1.0
	v_fma_f64 v[212:213], v[212:213], v[218:219], v[212:213]
	v_fma_f64 v[218:219], -v[210:211], v[212:213], 1.0
	v_fma_f64 v[212:213], v[212:213], v[218:219], v[212:213]
	v_mul_f64 v[218:219], v[220:221], v[212:213]
	v_fma_f64 v[210:211], -v[210:211], v[218:219], v[220:221]
	v_div_fmas_f64 v[210:211], v[210:211], v[212:213], v[218:219]
	v_div_fixup_f64 v[210:211], v[210:211], v[228:229], v[226:227]
	v_fma_f64 v[212:213], v[226:227], v[210:211], v[228:229]
	v_div_scale_f64 v[218:219], null, v[212:213], v[212:213], 1.0
	v_rcp_f64_e32 v[220:221], v[218:219]
	v_fma_f64 v[222:223], -v[218:219], v[220:221], 1.0
	v_fma_f64 v[220:221], v[220:221], v[222:223], v[220:221]
	v_fma_f64 v[222:223], -v[218:219], v[220:221], 1.0
	v_fma_f64 v[220:221], v[220:221], v[222:223], v[220:221]
	v_div_scale_f64 v[222:223], vcc_lo, 1.0, v[212:213], 1.0
	v_mul_f64 v[224:225], v[222:223], v[220:221]
	v_fma_f64 v[218:219], -v[218:219], v[224:225], v[222:223]
	v_div_fmas_f64 v[218:219], v[218:219], v[220:221], v[224:225]
	v_div_fixup_f64 v[228:229], v[218:219], v[212:213], 1.0
	v_mul_f64 v[226:227], v[210:211], v[228:229]
	v_xor_b32_e32 v229, 0x80000000, v229
.LBB110_533:
	s_andn2_saveexec_b32 s1, s1
	s_cbranch_execz .LBB110_535
; %bb.534:
	v_div_scale_f64 v[210:211], null, v[226:227], v[226:227], v[228:229]
	v_div_scale_f64 v[220:221], vcc_lo, v[228:229], v[226:227], v[228:229]
	v_rcp_f64_e32 v[212:213], v[210:211]
	v_fma_f64 v[218:219], -v[210:211], v[212:213], 1.0
	v_fma_f64 v[212:213], v[212:213], v[218:219], v[212:213]
	v_fma_f64 v[218:219], -v[210:211], v[212:213], 1.0
	v_fma_f64 v[212:213], v[212:213], v[218:219], v[212:213]
	v_mul_f64 v[218:219], v[220:221], v[212:213]
	v_fma_f64 v[210:211], -v[210:211], v[218:219], v[220:221]
	v_div_fmas_f64 v[210:211], v[210:211], v[212:213], v[218:219]
	v_div_fixup_f64 v[210:211], v[210:211], v[226:227], v[228:229]
	v_fma_f64 v[212:213], v[228:229], v[210:211], v[226:227]
	v_div_scale_f64 v[218:219], null, v[212:213], v[212:213], 1.0
	v_rcp_f64_e32 v[220:221], v[218:219]
	v_fma_f64 v[222:223], -v[218:219], v[220:221], 1.0
	v_fma_f64 v[220:221], v[220:221], v[222:223], v[220:221]
	v_fma_f64 v[222:223], -v[218:219], v[220:221], 1.0
	v_fma_f64 v[220:221], v[220:221], v[222:223], v[220:221]
	v_div_scale_f64 v[222:223], vcc_lo, 1.0, v[212:213], 1.0
	v_mul_f64 v[224:225], v[222:223], v[220:221]
	v_fma_f64 v[218:219], -v[218:219], v[224:225], v[222:223]
	v_div_fmas_f64 v[218:219], v[218:219], v[220:221], v[224:225]
	v_div_fixup_f64 v[226:227], v[218:219], v[212:213], 1.0
	v_mul_f64 v[228:229], v[210:211], -v[226:227]
.LBB110_535:
	s_or_b32 exec_lo, exec_lo, s1
.LBB110_536:
	s_or_b32 exec_lo, exec_lo, s0
	s_mov_b32 s0, exec_lo
	v_cmpx_ne_u32_e64 v240, v234
	s_xor_b32 s0, exec_lo, s0
	s_cbranch_execz .LBB110_542
; %bb.537:
	s_mov_b32 s1, exec_lo
	v_cmpx_eq_u32_e32 25, v240
	s_cbranch_execz .LBB110_541
; %bb.538:
	v_cmp_ne_u32_e32 vcc_lo, 25, v234
	s_xor_b32 s7, s16, -1
	s_and_b32 s9, s7, vcc_lo
	s_and_saveexec_b32 s7, s9
	s_cbranch_execz .LBB110_540
; %bb.539:
	v_ashrrev_i32_e32 v235, 31, v234
	v_lshlrev_b64 v[210:211], 2, v[234:235]
	v_add_co_u32 v210, vcc_lo, v214, v210
	v_add_co_ci_u32_e64 v211, null, v215, v211, vcc_lo
	s_clause 0x1
	global_load_dword v0, v[210:211], off
	global_load_dword v212, v[214:215], off offset:100
	s_waitcnt vmcnt(1)
	global_store_dword v[214:215], v0, off offset:100
	s_waitcnt vmcnt(0)
	global_store_dword v[210:211], v212, off
.LBB110_540:
	s_or_b32 exec_lo, exec_lo, s7
	v_mov_b32_e32 v240, v234
	v_mov_b32_e32 v0, v234
.LBB110_541:
	s_or_b32 exec_lo, exec_lo, s1
.LBB110_542:
	s_andn2_saveexec_b32 s0, s0
	s_cbranch_execz .LBB110_544
; %bb.543:
	v_mov_b32_e32 v240, 25
	ds_write2_b64 v1, v[118:119], v[120:121] offset0:52 offset1:53
	ds_write2_b64 v1, v[114:115], v[116:117] offset0:54 offset1:55
	ds_write2_b64 v1, v[110:111], v[112:113] offset0:56 offset1:57
	ds_write2_b64 v1, v[106:107], v[108:109] offset0:58 offset1:59
	ds_write2_b64 v1, v[102:103], v[104:105] offset0:60 offset1:61
	ds_write2_b64 v1, v[98:99], v[100:101] offset0:62 offset1:63
	ds_write2_b64 v1, v[94:95], v[96:97] offset0:64 offset1:65
	ds_write2_b64 v1, v[90:91], v[92:93] offset0:66 offset1:67
	ds_write2_b64 v1, v[86:87], v[88:89] offset0:68 offset1:69
	ds_write2_b64 v1, v[82:83], v[84:85] offset0:70 offset1:71
	ds_write2_b64 v1, v[78:79], v[80:81] offset0:72 offset1:73
	ds_write2_b64 v1, v[74:75], v[76:77] offset0:74 offset1:75
	ds_write2_b64 v1, v[70:71], v[72:73] offset0:76 offset1:77
	ds_write2_b64 v1, v[66:67], v[68:69] offset0:78 offset1:79
	ds_write2_b64 v1, v[62:63], v[64:65] offset0:80 offset1:81
	ds_write2_b64 v1, v[58:59], v[60:61] offset0:82 offset1:83
	ds_write2_b64 v1, v[54:55], v[56:57] offset0:84 offset1:85
	ds_write2_b64 v1, v[50:51], v[52:53] offset0:86 offset1:87
	ds_write2_b64 v1, v[46:47], v[48:49] offset0:88 offset1:89
	ds_write2_b64 v1, v[42:43], v[44:45] offset0:90 offset1:91
	ds_write2_b64 v1, v[38:39], v[40:41] offset0:92 offset1:93
	ds_write2_b64 v1, v[34:35], v[36:37] offset0:94 offset1:95
	ds_write2_b64 v1, v[30:31], v[32:33] offset0:96 offset1:97
	ds_write2_b64 v1, v[26:27], v[28:29] offset0:98 offset1:99
	ds_write2_b64 v1, v[22:23], v[24:25] offset0:100 offset1:101
	ds_write2_b64 v1, v[18:19], v[20:21] offset0:102 offset1:103
	ds_write2_b64 v1, v[14:15], v[16:17] offset0:104 offset1:105
	ds_write2_b64 v1, v[10:11], v[12:13] offset0:106 offset1:107
	ds_write2_b64 v1, v[249:250], v[251:252] offset0:108 offset1:109
	ds_write2_b64 v1, v[230:231], v[232:233] offset0:110 offset1:111
.LBB110_544:
	s_or_b32 exec_lo, exec_lo, s0
	s_mov_b32 s0, exec_lo
	s_waitcnt lgkmcnt(0)
	s_waitcnt_vscnt null, 0x0
	s_barrier
	buffer_gl0_inv
	v_cmpx_lt_i32_e32 25, v240
	s_cbranch_execz .LBB110_546
; %bb.545:
	v_mul_f64 v[210:211], v[228:229], v[124:125]
	v_mul_f64 v[124:125], v[226:227], v[124:125]
	v_fma_f64 v[234:235], v[226:227], v[122:123], -v[210:211]
	v_fma_f64 v[124:125], v[228:229], v[122:123], v[124:125]
	ds_read2_b64 v[226:229], v1 offset0:52 offset1:53
	s_waitcnt lgkmcnt(0)
	v_mul_f64 v[122:123], v[228:229], v[124:125]
	v_mul_f64 v[210:211], v[226:227], v[124:125]
	v_fma_f64 v[122:123], v[226:227], v[234:235], -v[122:123]
	v_fma_f64 v[210:211], v[228:229], v[234:235], v[210:211]
	ds_read2_b64 v[226:229], v1 offset0:54 offset1:55
	v_add_f64 v[118:119], v[118:119], -v[122:123]
	v_add_f64 v[120:121], v[120:121], -v[210:211]
	s_waitcnt lgkmcnt(0)
	v_mul_f64 v[122:123], v[228:229], v[124:125]
	v_mul_f64 v[210:211], v[226:227], v[124:125]
	v_fma_f64 v[122:123], v[226:227], v[234:235], -v[122:123]
	v_fma_f64 v[210:211], v[228:229], v[234:235], v[210:211]
	ds_read2_b64 v[226:229], v1 offset0:56 offset1:57
	v_add_f64 v[114:115], v[114:115], -v[122:123]
	v_add_f64 v[116:117], v[116:117], -v[210:211]
	s_waitcnt lgkmcnt(0)
	v_mul_f64 v[122:123], v[228:229], v[124:125]
	v_mul_f64 v[210:211], v[226:227], v[124:125]
	v_fma_f64 v[122:123], v[226:227], v[234:235], -v[122:123]
	v_fma_f64 v[210:211], v[228:229], v[234:235], v[210:211]
	ds_read2_b64 v[226:229], v1 offset0:58 offset1:59
	v_add_f64 v[110:111], v[110:111], -v[122:123]
	v_add_f64 v[112:113], v[112:113], -v[210:211]
	s_waitcnt lgkmcnt(0)
	v_mul_f64 v[122:123], v[228:229], v[124:125]
	v_mul_f64 v[210:211], v[226:227], v[124:125]
	v_fma_f64 v[122:123], v[226:227], v[234:235], -v[122:123]
	v_fma_f64 v[210:211], v[228:229], v[234:235], v[210:211]
	ds_read2_b64 v[226:229], v1 offset0:60 offset1:61
	v_add_f64 v[106:107], v[106:107], -v[122:123]
	v_add_f64 v[108:109], v[108:109], -v[210:211]
	s_waitcnt lgkmcnt(0)
	v_mul_f64 v[122:123], v[228:229], v[124:125]
	v_mul_f64 v[210:211], v[226:227], v[124:125]
	v_fma_f64 v[122:123], v[226:227], v[234:235], -v[122:123]
	v_fma_f64 v[210:211], v[228:229], v[234:235], v[210:211]
	ds_read2_b64 v[226:229], v1 offset0:62 offset1:63
	v_add_f64 v[102:103], v[102:103], -v[122:123]
	v_add_f64 v[104:105], v[104:105], -v[210:211]
	s_waitcnt lgkmcnt(0)
	v_mul_f64 v[122:123], v[228:229], v[124:125]
	v_mul_f64 v[210:211], v[226:227], v[124:125]
	v_fma_f64 v[122:123], v[226:227], v[234:235], -v[122:123]
	v_fma_f64 v[210:211], v[228:229], v[234:235], v[210:211]
	ds_read2_b64 v[226:229], v1 offset0:64 offset1:65
	v_add_f64 v[98:99], v[98:99], -v[122:123]
	v_add_f64 v[100:101], v[100:101], -v[210:211]
	s_waitcnt lgkmcnt(0)
	v_mul_f64 v[122:123], v[228:229], v[124:125]
	v_mul_f64 v[210:211], v[226:227], v[124:125]
	v_fma_f64 v[122:123], v[226:227], v[234:235], -v[122:123]
	v_fma_f64 v[210:211], v[228:229], v[234:235], v[210:211]
	ds_read2_b64 v[226:229], v1 offset0:66 offset1:67
	v_add_f64 v[94:95], v[94:95], -v[122:123]
	v_add_f64 v[96:97], v[96:97], -v[210:211]
	s_waitcnt lgkmcnt(0)
	v_mul_f64 v[122:123], v[228:229], v[124:125]
	v_mul_f64 v[210:211], v[226:227], v[124:125]
	v_fma_f64 v[122:123], v[226:227], v[234:235], -v[122:123]
	v_fma_f64 v[210:211], v[228:229], v[234:235], v[210:211]
	ds_read2_b64 v[226:229], v1 offset0:68 offset1:69
	v_add_f64 v[90:91], v[90:91], -v[122:123]
	v_add_f64 v[92:93], v[92:93], -v[210:211]
	s_waitcnt lgkmcnt(0)
	v_mul_f64 v[122:123], v[228:229], v[124:125]
	v_mul_f64 v[210:211], v[226:227], v[124:125]
	v_fma_f64 v[122:123], v[226:227], v[234:235], -v[122:123]
	v_fma_f64 v[210:211], v[228:229], v[234:235], v[210:211]
	ds_read2_b64 v[226:229], v1 offset0:70 offset1:71
	v_add_f64 v[86:87], v[86:87], -v[122:123]
	v_add_f64 v[88:89], v[88:89], -v[210:211]
	s_waitcnt lgkmcnt(0)
	v_mul_f64 v[122:123], v[228:229], v[124:125]
	v_mul_f64 v[210:211], v[226:227], v[124:125]
	v_fma_f64 v[122:123], v[226:227], v[234:235], -v[122:123]
	v_fma_f64 v[210:211], v[228:229], v[234:235], v[210:211]
	ds_read2_b64 v[226:229], v1 offset0:72 offset1:73
	v_add_f64 v[82:83], v[82:83], -v[122:123]
	v_add_f64 v[84:85], v[84:85], -v[210:211]
	s_waitcnt lgkmcnt(0)
	v_mul_f64 v[122:123], v[228:229], v[124:125]
	v_mul_f64 v[210:211], v[226:227], v[124:125]
	v_fma_f64 v[122:123], v[226:227], v[234:235], -v[122:123]
	v_fma_f64 v[210:211], v[228:229], v[234:235], v[210:211]
	ds_read2_b64 v[226:229], v1 offset0:74 offset1:75
	v_add_f64 v[78:79], v[78:79], -v[122:123]
	v_add_f64 v[80:81], v[80:81], -v[210:211]
	s_waitcnt lgkmcnt(0)
	v_mul_f64 v[122:123], v[228:229], v[124:125]
	v_mul_f64 v[210:211], v[226:227], v[124:125]
	v_fma_f64 v[122:123], v[226:227], v[234:235], -v[122:123]
	v_fma_f64 v[210:211], v[228:229], v[234:235], v[210:211]
	ds_read2_b64 v[226:229], v1 offset0:76 offset1:77
	v_add_f64 v[74:75], v[74:75], -v[122:123]
	v_add_f64 v[76:77], v[76:77], -v[210:211]
	s_waitcnt lgkmcnt(0)
	v_mul_f64 v[122:123], v[228:229], v[124:125]
	v_mul_f64 v[210:211], v[226:227], v[124:125]
	v_fma_f64 v[122:123], v[226:227], v[234:235], -v[122:123]
	v_fma_f64 v[210:211], v[228:229], v[234:235], v[210:211]
	ds_read2_b64 v[226:229], v1 offset0:78 offset1:79
	v_add_f64 v[70:71], v[70:71], -v[122:123]
	v_add_f64 v[72:73], v[72:73], -v[210:211]
	s_waitcnt lgkmcnt(0)
	v_mul_f64 v[122:123], v[228:229], v[124:125]
	v_mul_f64 v[210:211], v[226:227], v[124:125]
	v_fma_f64 v[122:123], v[226:227], v[234:235], -v[122:123]
	v_fma_f64 v[210:211], v[228:229], v[234:235], v[210:211]
	ds_read2_b64 v[226:229], v1 offset0:80 offset1:81
	v_add_f64 v[66:67], v[66:67], -v[122:123]
	v_add_f64 v[68:69], v[68:69], -v[210:211]
	s_waitcnt lgkmcnt(0)
	v_mul_f64 v[122:123], v[228:229], v[124:125]
	v_mul_f64 v[210:211], v[226:227], v[124:125]
	v_fma_f64 v[122:123], v[226:227], v[234:235], -v[122:123]
	v_fma_f64 v[210:211], v[228:229], v[234:235], v[210:211]
	ds_read2_b64 v[226:229], v1 offset0:82 offset1:83
	v_add_f64 v[62:63], v[62:63], -v[122:123]
	v_add_f64 v[64:65], v[64:65], -v[210:211]
	s_waitcnt lgkmcnt(0)
	v_mul_f64 v[122:123], v[228:229], v[124:125]
	v_mul_f64 v[210:211], v[226:227], v[124:125]
	v_fma_f64 v[122:123], v[226:227], v[234:235], -v[122:123]
	v_fma_f64 v[210:211], v[228:229], v[234:235], v[210:211]
	ds_read2_b64 v[226:229], v1 offset0:84 offset1:85
	v_add_f64 v[58:59], v[58:59], -v[122:123]
	v_add_f64 v[60:61], v[60:61], -v[210:211]
	s_waitcnt lgkmcnt(0)
	v_mul_f64 v[122:123], v[228:229], v[124:125]
	v_mul_f64 v[210:211], v[226:227], v[124:125]
	v_fma_f64 v[122:123], v[226:227], v[234:235], -v[122:123]
	v_fma_f64 v[210:211], v[228:229], v[234:235], v[210:211]
	ds_read2_b64 v[226:229], v1 offset0:86 offset1:87
	v_add_f64 v[54:55], v[54:55], -v[122:123]
	v_add_f64 v[56:57], v[56:57], -v[210:211]
	s_waitcnt lgkmcnt(0)
	v_mul_f64 v[122:123], v[228:229], v[124:125]
	v_mul_f64 v[210:211], v[226:227], v[124:125]
	v_fma_f64 v[122:123], v[226:227], v[234:235], -v[122:123]
	v_fma_f64 v[210:211], v[228:229], v[234:235], v[210:211]
	ds_read2_b64 v[226:229], v1 offset0:88 offset1:89
	v_add_f64 v[50:51], v[50:51], -v[122:123]
	v_add_f64 v[52:53], v[52:53], -v[210:211]
	s_waitcnt lgkmcnt(0)
	v_mul_f64 v[122:123], v[228:229], v[124:125]
	v_mul_f64 v[210:211], v[226:227], v[124:125]
	v_fma_f64 v[122:123], v[226:227], v[234:235], -v[122:123]
	v_fma_f64 v[210:211], v[228:229], v[234:235], v[210:211]
	ds_read2_b64 v[226:229], v1 offset0:90 offset1:91
	v_add_f64 v[46:47], v[46:47], -v[122:123]
	v_add_f64 v[48:49], v[48:49], -v[210:211]
	s_waitcnt lgkmcnt(0)
	v_mul_f64 v[122:123], v[228:229], v[124:125]
	v_mul_f64 v[210:211], v[226:227], v[124:125]
	v_fma_f64 v[122:123], v[226:227], v[234:235], -v[122:123]
	v_fma_f64 v[210:211], v[228:229], v[234:235], v[210:211]
	ds_read2_b64 v[226:229], v1 offset0:92 offset1:93
	v_add_f64 v[42:43], v[42:43], -v[122:123]
	v_add_f64 v[44:45], v[44:45], -v[210:211]
	s_waitcnt lgkmcnt(0)
	v_mul_f64 v[122:123], v[228:229], v[124:125]
	v_mul_f64 v[210:211], v[226:227], v[124:125]
	v_fma_f64 v[122:123], v[226:227], v[234:235], -v[122:123]
	v_fma_f64 v[210:211], v[228:229], v[234:235], v[210:211]
	ds_read2_b64 v[226:229], v1 offset0:94 offset1:95
	v_add_f64 v[38:39], v[38:39], -v[122:123]
	v_add_f64 v[40:41], v[40:41], -v[210:211]
	s_waitcnt lgkmcnt(0)
	v_mul_f64 v[122:123], v[228:229], v[124:125]
	v_mul_f64 v[210:211], v[226:227], v[124:125]
	v_fma_f64 v[122:123], v[226:227], v[234:235], -v[122:123]
	v_fma_f64 v[210:211], v[228:229], v[234:235], v[210:211]
	ds_read2_b64 v[226:229], v1 offset0:96 offset1:97
	v_add_f64 v[34:35], v[34:35], -v[122:123]
	v_add_f64 v[36:37], v[36:37], -v[210:211]
	s_waitcnt lgkmcnt(0)
	v_mul_f64 v[122:123], v[228:229], v[124:125]
	v_mul_f64 v[210:211], v[226:227], v[124:125]
	v_fma_f64 v[122:123], v[226:227], v[234:235], -v[122:123]
	v_fma_f64 v[210:211], v[228:229], v[234:235], v[210:211]
	ds_read2_b64 v[226:229], v1 offset0:98 offset1:99
	v_add_f64 v[30:31], v[30:31], -v[122:123]
	v_add_f64 v[32:33], v[32:33], -v[210:211]
	s_waitcnt lgkmcnt(0)
	v_mul_f64 v[122:123], v[228:229], v[124:125]
	v_mul_f64 v[210:211], v[226:227], v[124:125]
	v_fma_f64 v[122:123], v[226:227], v[234:235], -v[122:123]
	v_fma_f64 v[210:211], v[228:229], v[234:235], v[210:211]
	ds_read2_b64 v[226:229], v1 offset0:100 offset1:101
	v_add_f64 v[26:27], v[26:27], -v[122:123]
	v_add_f64 v[28:29], v[28:29], -v[210:211]
	s_waitcnt lgkmcnt(0)
	v_mul_f64 v[122:123], v[228:229], v[124:125]
	v_mul_f64 v[210:211], v[226:227], v[124:125]
	v_fma_f64 v[122:123], v[226:227], v[234:235], -v[122:123]
	v_fma_f64 v[210:211], v[228:229], v[234:235], v[210:211]
	ds_read2_b64 v[226:229], v1 offset0:102 offset1:103
	v_add_f64 v[22:23], v[22:23], -v[122:123]
	v_add_f64 v[24:25], v[24:25], -v[210:211]
	s_waitcnt lgkmcnt(0)
	v_mul_f64 v[122:123], v[228:229], v[124:125]
	v_mul_f64 v[210:211], v[226:227], v[124:125]
	v_fma_f64 v[122:123], v[226:227], v[234:235], -v[122:123]
	v_fma_f64 v[210:211], v[228:229], v[234:235], v[210:211]
	ds_read2_b64 v[226:229], v1 offset0:104 offset1:105
	v_add_f64 v[18:19], v[18:19], -v[122:123]
	v_add_f64 v[20:21], v[20:21], -v[210:211]
	s_waitcnt lgkmcnt(0)
	v_mul_f64 v[122:123], v[228:229], v[124:125]
	v_mul_f64 v[210:211], v[226:227], v[124:125]
	v_fma_f64 v[122:123], v[226:227], v[234:235], -v[122:123]
	v_fma_f64 v[210:211], v[228:229], v[234:235], v[210:211]
	ds_read2_b64 v[226:229], v1 offset0:106 offset1:107
	v_add_f64 v[14:15], v[14:15], -v[122:123]
	v_add_f64 v[16:17], v[16:17], -v[210:211]
	s_waitcnt lgkmcnt(0)
	v_mul_f64 v[122:123], v[228:229], v[124:125]
	v_mul_f64 v[210:211], v[226:227], v[124:125]
	v_fma_f64 v[122:123], v[226:227], v[234:235], -v[122:123]
	v_fma_f64 v[210:211], v[228:229], v[234:235], v[210:211]
	ds_read2_b64 v[226:229], v1 offset0:108 offset1:109
	v_add_f64 v[10:11], v[10:11], -v[122:123]
	v_add_f64 v[12:13], v[12:13], -v[210:211]
	s_waitcnt lgkmcnt(0)
	v_mul_f64 v[122:123], v[228:229], v[124:125]
	v_mul_f64 v[210:211], v[226:227], v[124:125]
	v_fma_f64 v[122:123], v[226:227], v[234:235], -v[122:123]
	v_fma_f64 v[210:211], v[228:229], v[234:235], v[210:211]
	ds_read2_b64 v[226:229], v1 offset0:110 offset1:111
	v_add_f64 v[249:250], v[249:250], -v[122:123]
	v_add_f64 v[251:252], v[251:252], -v[210:211]
	s_waitcnt lgkmcnt(0)
	v_mul_f64 v[122:123], v[228:229], v[124:125]
	v_mul_f64 v[210:211], v[226:227], v[124:125]
	v_fma_f64 v[122:123], v[226:227], v[234:235], -v[122:123]
	v_fma_f64 v[210:211], v[228:229], v[234:235], v[210:211]
	v_add_f64 v[230:231], v[230:231], -v[122:123]
	v_add_f64 v[232:233], v[232:233], -v[210:211]
	v_mov_b32_e32 v122, v234
	v_mov_b32_e32 v123, v235
.LBB110_546:
	s_or_b32 exec_lo, exec_lo, s0
	v_lshl_add_u32 v210, v240, 4, v1
	s_barrier
	buffer_gl0_inv
	v_mov_b32_e32 v234, 26
	ds_write2_b64 v210, v[118:119], v[120:121] offset1:1
	s_waitcnt lgkmcnt(0)
	s_barrier
	buffer_gl0_inv
	ds_read2_b64 v[226:229], v1 offset0:52 offset1:53
	s_cmp_lt_i32 s8, 28
	s_cbranch_scc1 .LBB110_549
; %bb.547:
	v_add3_u32 v235, v253, 0, 0x1b0
	v_mov_b32_e32 v234, 26
	s_mov_b32 s1, 27
	s_inst_prefetch 0x1
	.p2align	6
.LBB110_548:                            ; =>This Inner Loop Header: Depth=1
	s_waitcnt lgkmcnt(0)
	v_cmp_gt_f64_e32 vcc_lo, 0, v[228:229]
	v_cmp_gt_f64_e64 s0, 0, v[226:227]
	ds_read2_b64 v[241:244], v235 offset1:1
	v_xor_b32_e32 v211, 0x80000000, v227
	v_xor_b32_e32 v213, 0x80000000, v229
	v_mov_b32_e32 v210, v226
	v_mov_b32_e32 v212, v228
	v_add_nc_u32_e32 v235, 16, v235
	s_waitcnt lgkmcnt(0)
	v_xor_b32_e32 v219, 0x80000000, v244
	v_cndmask_b32_e64 v211, v227, v211, s0
	v_cndmask_b32_e32 v213, v229, v213, vcc_lo
	v_cmp_gt_f64_e32 vcc_lo, 0, v[243:244]
	v_cmp_gt_f64_e64 s0, 0, v[241:242]
	v_mov_b32_e32 v218, v243
	v_add_f64 v[210:211], v[210:211], v[212:213]
	v_xor_b32_e32 v213, 0x80000000, v242
	v_mov_b32_e32 v212, v241
	v_cndmask_b32_e32 v219, v244, v219, vcc_lo
	v_cndmask_b32_e64 v213, v242, v213, s0
	v_add_f64 v[212:213], v[212:213], v[218:219]
	v_cmp_lt_f64_e32 vcc_lo, v[210:211], v[212:213]
	v_cndmask_b32_e32 v227, v227, v242, vcc_lo
	v_cndmask_b32_e32 v226, v226, v241, vcc_lo
	;; [unrolled: 1-line block ×4, first 2 shown]
	v_cndmask_b32_e64 v234, v234, s1, vcc_lo
	s_add_i32 s1, s1, 1
	s_cmp_lg_u32 s8, s1
	s_cbranch_scc1 .LBB110_548
.LBB110_549:
	s_inst_prefetch 0x2
	s_waitcnt lgkmcnt(0)
	v_cmp_eq_f64_e32 vcc_lo, 0, v[226:227]
	v_cmp_eq_f64_e64 s0, 0, v[228:229]
	s_and_b32 s0, vcc_lo, s0
	s_and_saveexec_b32 s1, s0
	s_xor_b32 s0, exec_lo, s1
; %bb.550:
	v_cmp_ne_u32_e32 vcc_lo, 0, v239
	v_cndmask_b32_e32 v239, 27, v239, vcc_lo
; %bb.551:
	s_andn2_saveexec_b32 s0, s0
	s_cbranch_execz .LBB110_557
; %bb.552:
	v_cmp_ngt_f64_e64 s1, |v[226:227]|, |v[228:229]|
	s_and_saveexec_b32 s7, s1
	s_xor_b32 s1, exec_lo, s7
	s_cbranch_execz .LBB110_554
; %bb.553:
	v_div_scale_f64 v[210:211], null, v[228:229], v[228:229], v[226:227]
	v_div_scale_f64 v[220:221], vcc_lo, v[226:227], v[228:229], v[226:227]
	v_rcp_f64_e32 v[212:213], v[210:211]
	v_fma_f64 v[218:219], -v[210:211], v[212:213], 1.0
	v_fma_f64 v[212:213], v[212:213], v[218:219], v[212:213]
	v_fma_f64 v[218:219], -v[210:211], v[212:213], 1.0
	v_fma_f64 v[212:213], v[212:213], v[218:219], v[212:213]
	v_mul_f64 v[218:219], v[220:221], v[212:213]
	v_fma_f64 v[210:211], -v[210:211], v[218:219], v[220:221]
	v_div_fmas_f64 v[210:211], v[210:211], v[212:213], v[218:219]
	v_div_fixup_f64 v[210:211], v[210:211], v[228:229], v[226:227]
	v_fma_f64 v[212:213], v[226:227], v[210:211], v[228:229]
	v_div_scale_f64 v[218:219], null, v[212:213], v[212:213], 1.0
	v_rcp_f64_e32 v[220:221], v[218:219]
	v_fma_f64 v[222:223], -v[218:219], v[220:221], 1.0
	v_fma_f64 v[220:221], v[220:221], v[222:223], v[220:221]
	v_fma_f64 v[222:223], -v[218:219], v[220:221], 1.0
	v_fma_f64 v[220:221], v[220:221], v[222:223], v[220:221]
	v_div_scale_f64 v[222:223], vcc_lo, 1.0, v[212:213], 1.0
	v_mul_f64 v[224:225], v[222:223], v[220:221]
	v_fma_f64 v[218:219], -v[218:219], v[224:225], v[222:223]
	v_div_fmas_f64 v[218:219], v[218:219], v[220:221], v[224:225]
	v_div_fixup_f64 v[228:229], v[218:219], v[212:213], 1.0
	v_mul_f64 v[226:227], v[210:211], v[228:229]
	v_xor_b32_e32 v229, 0x80000000, v229
.LBB110_554:
	s_andn2_saveexec_b32 s1, s1
	s_cbranch_execz .LBB110_556
; %bb.555:
	v_div_scale_f64 v[210:211], null, v[226:227], v[226:227], v[228:229]
	v_div_scale_f64 v[220:221], vcc_lo, v[228:229], v[226:227], v[228:229]
	v_rcp_f64_e32 v[212:213], v[210:211]
	v_fma_f64 v[218:219], -v[210:211], v[212:213], 1.0
	v_fma_f64 v[212:213], v[212:213], v[218:219], v[212:213]
	v_fma_f64 v[218:219], -v[210:211], v[212:213], 1.0
	v_fma_f64 v[212:213], v[212:213], v[218:219], v[212:213]
	v_mul_f64 v[218:219], v[220:221], v[212:213]
	v_fma_f64 v[210:211], -v[210:211], v[218:219], v[220:221]
	v_div_fmas_f64 v[210:211], v[210:211], v[212:213], v[218:219]
	v_div_fixup_f64 v[210:211], v[210:211], v[226:227], v[228:229]
	v_fma_f64 v[212:213], v[228:229], v[210:211], v[226:227]
	v_div_scale_f64 v[218:219], null, v[212:213], v[212:213], 1.0
	v_rcp_f64_e32 v[220:221], v[218:219]
	v_fma_f64 v[222:223], -v[218:219], v[220:221], 1.0
	v_fma_f64 v[220:221], v[220:221], v[222:223], v[220:221]
	v_fma_f64 v[222:223], -v[218:219], v[220:221], 1.0
	v_fma_f64 v[220:221], v[220:221], v[222:223], v[220:221]
	v_div_scale_f64 v[222:223], vcc_lo, 1.0, v[212:213], 1.0
	v_mul_f64 v[224:225], v[222:223], v[220:221]
	v_fma_f64 v[218:219], -v[218:219], v[224:225], v[222:223]
	v_div_fmas_f64 v[218:219], v[218:219], v[220:221], v[224:225]
	v_div_fixup_f64 v[226:227], v[218:219], v[212:213], 1.0
	v_mul_f64 v[228:229], v[210:211], -v[226:227]
.LBB110_556:
	s_or_b32 exec_lo, exec_lo, s1
.LBB110_557:
	s_or_b32 exec_lo, exec_lo, s0
	s_mov_b32 s0, exec_lo
	v_cmpx_ne_u32_e64 v240, v234
	s_xor_b32 s0, exec_lo, s0
	s_cbranch_execz .LBB110_563
; %bb.558:
	s_mov_b32 s1, exec_lo
	v_cmpx_eq_u32_e32 26, v240
	s_cbranch_execz .LBB110_562
; %bb.559:
	v_cmp_ne_u32_e32 vcc_lo, 26, v234
	s_xor_b32 s7, s16, -1
	s_and_b32 s9, s7, vcc_lo
	s_and_saveexec_b32 s7, s9
	s_cbranch_execz .LBB110_561
; %bb.560:
	v_ashrrev_i32_e32 v235, 31, v234
	v_lshlrev_b64 v[210:211], 2, v[234:235]
	v_add_co_u32 v210, vcc_lo, v214, v210
	v_add_co_ci_u32_e64 v211, null, v215, v211, vcc_lo
	s_clause 0x1
	global_load_dword v0, v[210:211], off
	global_load_dword v212, v[214:215], off offset:104
	s_waitcnt vmcnt(1)
	global_store_dword v[214:215], v0, off offset:104
	s_waitcnt vmcnt(0)
	global_store_dword v[210:211], v212, off
.LBB110_561:
	s_or_b32 exec_lo, exec_lo, s7
	v_mov_b32_e32 v240, v234
	v_mov_b32_e32 v0, v234
.LBB110_562:
	s_or_b32 exec_lo, exec_lo, s1
.LBB110_563:
	s_andn2_saveexec_b32 s0, s0
	s_cbranch_execz .LBB110_565
; %bb.564:
	v_mov_b32_e32 v240, 26
	ds_write2_b64 v1, v[114:115], v[116:117] offset0:54 offset1:55
	ds_write2_b64 v1, v[110:111], v[112:113] offset0:56 offset1:57
	;; [unrolled: 1-line block ×29, first 2 shown]
.LBB110_565:
	s_or_b32 exec_lo, exec_lo, s0
	s_mov_b32 s0, exec_lo
	s_waitcnt lgkmcnt(0)
	s_waitcnt_vscnt null, 0x0
	s_barrier
	buffer_gl0_inv
	v_cmpx_lt_i32_e32 26, v240
	s_cbranch_execz .LBB110_567
; %bb.566:
	v_mul_f64 v[210:211], v[228:229], v[120:121]
	v_mul_f64 v[120:121], v[226:227], v[120:121]
	v_fma_f64 v[234:235], v[226:227], v[118:119], -v[210:211]
	v_fma_f64 v[120:121], v[228:229], v[118:119], v[120:121]
	ds_read2_b64 v[226:229], v1 offset0:54 offset1:55
	s_waitcnt lgkmcnt(0)
	v_mul_f64 v[118:119], v[228:229], v[120:121]
	v_mul_f64 v[210:211], v[226:227], v[120:121]
	v_fma_f64 v[118:119], v[226:227], v[234:235], -v[118:119]
	v_fma_f64 v[210:211], v[228:229], v[234:235], v[210:211]
	ds_read2_b64 v[226:229], v1 offset0:56 offset1:57
	v_add_f64 v[114:115], v[114:115], -v[118:119]
	v_add_f64 v[116:117], v[116:117], -v[210:211]
	s_waitcnt lgkmcnt(0)
	v_mul_f64 v[118:119], v[228:229], v[120:121]
	v_mul_f64 v[210:211], v[226:227], v[120:121]
	v_fma_f64 v[118:119], v[226:227], v[234:235], -v[118:119]
	v_fma_f64 v[210:211], v[228:229], v[234:235], v[210:211]
	ds_read2_b64 v[226:229], v1 offset0:58 offset1:59
	v_add_f64 v[110:111], v[110:111], -v[118:119]
	v_add_f64 v[112:113], v[112:113], -v[210:211]
	;; [unrolled: 8-line block ×28, first 2 shown]
	s_waitcnt lgkmcnt(0)
	v_mul_f64 v[118:119], v[228:229], v[120:121]
	v_mul_f64 v[210:211], v[226:227], v[120:121]
	v_fma_f64 v[118:119], v[226:227], v[234:235], -v[118:119]
	v_fma_f64 v[210:211], v[228:229], v[234:235], v[210:211]
	v_add_f64 v[230:231], v[230:231], -v[118:119]
	v_add_f64 v[232:233], v[232:233], -v[210:211]
	v_mov_b32_e32 v118, v234
	v_mov_b32_e32 v119, v235
.LBB110_567:
	s_or_b32 exec_lo, exec_lo, s0
	v_lshl_add_u32 v210, v240, 4, v1
	s_barrier
	buffer_gl0_inv
	v_mov_b32_e32 v234, 27
	ds_write2_b64 v210, v[114:115], v[116:117] offset1:1
	s_waitcnt lgkmcnt(0)
	s_barrier
	buffer_gl0_inv
	ds_read2_b64 v[226:229], v1 offset0:54 offset1:55
	s_cmp_lt_i32 s8, 29
	s_cbranch_scc1 .LBB110_570
; %bb.568:
	v_add3_u32 v235, v253, 0, 0x1c0
	v_mov_b32_e32 v234, 27
	s_mov_b32 s1, 28
	s_inst_prefetch 0x1
	.p2align	6
.LBB110_569:                            ; =>This Inner Loop Header: Depth=1
	s_waitcnt lgkmcnt(0)
	v_cmp_gt_f64_e32 vcc_lo, 0, v[228:229]
	v_cmp_gt_f64_e64 s0, 0, v[226:227]
	ds_read2_b64 v[241:244], v235 offset1:1
	v_xor_b32_e32 v211, 0x80000000, v227
	v_xor_b32_e32 v213, 0x80000000, v229
	v_mov_b32_e32 v210, v226
	v_mov_b32_e32 v212, v228
	v_add_nc_u32_e32 v235, 16, v235
	s_waitcnt lgkmcnt(0)
	v_xor_b32_e32 v219, 0x80000000, v244
	v_cndmask_b32_e64 v211, v227, v211, s0
	v_cndmask_b32_e32 v213, v229, v213, vcc_lo
	v_cmp_gt_f64_e32 vcc_lo, 0, v[243:244]
	v_cmp_gt_f64_e64 s0, 0, v[241:242]
	v_mov_b32_e32 v218, v243
	v_add_f64 v[210:211], v[210:211], v[212:213]
	v_xor_b32_e32 v213, 0x80000000, v242
	v_mov_b32_e32 v212, v241
	v_cndmask_b32_e32 v219, v244, v219, vcc_lo
	v_cndmask_b32_e64 v213, v242, v213, s0
	v_add_f64 v[212:213], v[212:213], v[218:219]
	v_cmp_lt_f64_e32 vcc_lo, v[210:211], v[212:213]
	v_cndmask_b32_e32 v227, v227, v242, vcc_lo
	v_cndmask_b32_e32 v226, v226, v241, vcc_lo
	;; [unrolled: 1-line block ×4, first 2 shown]
	v_cndmask_b32_e64 v234, v234, s1, vcc_lo
	s_add_i32 s1, s1, 1
	s_cmp_lg_u32 s8, s1
	s_cbranch_scc1 .LBB110_569
.LBB110_570:
	s_inst_prefetch 0x2
	s_waitcnt lgkmcnt(0)
	v_cmp_eq_f64_e32 vcc_lo, 0, v[226:227]
	v_cmp_eq_f64_e64 s0, 0, v[228:229]
	s_and_b32 s0, vcc_lo, s0
	s_and_saveexec_b32 s1, s0
	s_xor_b32 s0, exec_lo, s1
; %bb.571:
	v_cmp_ne_u32_e32 vcc_lo, 0, v239
	v_cndmask_b32_e32 v239, 28, v239, vcc_lo
; %bb.572:
	s_andn2_saveexec_b32 s0, s0
	s_cbranch_execz .LBB110_578
; %bb.573:
	v_cmp_ngt_f64_e64 s1, |v[226:227]|, |v[228:229]|
	s_and_saveexec_b32 s7, s1
	s_xor_b32 s1, exec_lo, s7
	s_cbranch_execz .LBB110_575
; %bb.574:
	v_div_scale_f64 v[210:211], null, v[228:229], v[228:229], v[226:227]
	v_div_scale_f64 v[220:221], vcc_lo, v[226:227], v[228:229], v[226:227]
	v_rcp_f64_e32 v[212:213], v[210:211]
	v_fma_f64 v[218:219], -v[210:211], v[212:213], 1.0
	v_fma_f64 v[212:213], v[212:213], v[218:219], v[212:213]
	v_fma_f64 v[218:219], -v[210:211], v[212:213], 1.0
	v_fma_f64 v[212:213], v[212:213], v[218:219], v[212:213]
	v_mul_f64 v[218:219], v[220:221], v[212:213]
	v_fma_f64 v[210:211], -v[210:211], v[218:219], v[220:221]
	v_div_fmas_f64 v[210:211], v[210:211], v[212:213], v[218:219]
	v_div_fixup_f64 v[210:211], v[210:211], v[228:229], v[226:227]
	v_fma_f64 v[212:213], v[226:227], v[210:211], v[228:229]
	v_div_scale_f64 v[218:219], null, v[212:213], v[212:213], 1.0
	v_rcp_f64_e32 v[220:221], v[218:219]
	v_fma_f64 v[222:223], -v[218:219], v[220:221], 1.0
	v_fma_f64 v[220:221], v[220:221], v[222:223], v[220:221]
	v_fma_f64 v[222:223], -v[218:219], v[220:221], 1.0
	v_fma_f64 v[220:221], v[220:221], v[222:223], v[220:221]
	v_div_scale_f64 v[222:223], vcc_lo, 1.0, v[212:213], 1.0
	v_mul_f64 v[224:225], v[222:223], v[220:221]
	v_fma_f64 v[218:219], -v[218:219], v[224:225], v[222:223]
	v_div_fmas_f64 v[218:219], v[218:219], v[220:221], v[224:225]
	v_div_fixup_f64 v[228:229], v[218:219], v[212:213], 1.0
	v_mul_f64 v[226:227], v[210:211], v[228:229]
	v_xor_b32_e32 v229, 0x80000000, v229
.LBB110_575:
	s_andn2_saveexec_b32 s1, s1
	s_cbranch_execz .LBB110_577
; %bb.576:
	v_div_scale_f64 v[210:211], null, v[226:227], v[226:227], v[228:229]
	v_div_scale_f64 v[220:221], vcc_lo, v[228:229], v[226:227], v[228:229]
	v_rcp_f64_e32 v[212:213], v[210:211]
	v_fma_f64 v[218:219], -v[210:211], v[212:213], 1.0
	v_fma_f64 v[212:213], v[212:213], v[218:219], v[212:213]
	v_fma_f64 v[218:219], -v[210:211], v[212:213], 1.0
	v_fma_f64 v[212:213], v[212:213], v[218:219], v[212:213]
	v_mul_f64 v[218:219], v[220:221], v[212:213]
	v_fma_f64 v[210:211], -v[210:211], v[218:219], v[220:221]
	v_div_fmas_f64 v[210:211], v[210:211], v[212:213], v[218:219]
	v_div_fixup_f64 v[210:211], v[210:211], v[226:227], v[228:229]
	v_fma_f64 v[212:213], v[228:229], v[210:211], v[226:227]
	v_div_scale_f64 v[218:219], null, v[212:213], v[212:213], 1.0
	v_rcp_f64_e32 v[220:221], v[218:219]
	v_fma_f64 v[222:223], -v[218:219], v[220:221], 1.0
	v_fma_f64 v[220:221], v[220:221], v[222:223], v[220:221]
	v_fma_f64 v[222:223], -v[218:219], v[220:221], 1.0
	v_fma_f64 v[220:221], v[220:221], v[222:223], v[220:221]
	v_div_scale_f64 v[222:223], vcc_lo, 1.0, v[212:213], 1.0
	v_mul_f64 v[224:225], v[222:223], v[220:221]
	v_fma_f64 v[218:219], -v[218:219], v[224:225], v[222:223]
	v_div_fmas_f64 v[218:219], v[218:219], v[220:221], v[224:225]
	v_div_fixup_f64 v[226:227], v[218:219], v[212:213], 1.0
	v_mul_f64 v[228:229], v[210:211], -v[226:227]
.LBB110_577:
	s_or_b32 exec_lo, exec_lo, s1
.LBB110_578:
	s_or_b32 exec_lo, exec_lo, s0
	s_mov_b32 s0, exec_lo
	v_cmpx_ne_u32_e64 v240, v234
	s_xor_b32 s0, exec_lo, s0
	s_cbranch_execz .LBB110_584
; %bb.579:
	s_mov_b32 s1, exec_lo
	v_cmpx_eq_u32_e32 27, v240
	s_cbranch_execz .LBB110_583
; %bb.580:
	v_cmp_ne_u32_e32 vcc_lo, 27, v234
	s_xor_b32 s7, s16, -1
	s_and_b32 s9, s7, vcc_lo
	s_and_saveexec_b32 s7, s9
	s_cbranch_execz .LBB110_582
; %bb.581:
	v_ashrrev_i32_e32 v235, 31, v234
	v_lshlrev_b64 v[210:211], 2, v[234:235]
	v_add_co_u32 v210, vcc_lo, v214, v210
	v_add_co_ci_u32_e64 v211, null, v215, v211, vcc_lo
	s_clause 0x1
	global_load_dword v0, v[210:211], off
	global_load_dword v212, v[214:215], off offset:108
	s_waitcnt vmcnt(1)
	global_store_dword v[214:215], v0, off offset:108
	s_waitcnt vmcnt(0)
	global_store_dword v[210:211], v212, off
.LBB110_582:
	s_or_b32 exec_lo, exec_lo, s7
	v_mov_b32_e32 v240, v234
	v_mov_b32_e32 v0, v234
.LBB110_583:
	s_or_b32 exec_lo, exec_lo, s1
.LBB110_584:
	s_andn2_saveexec_b32 s0, s0
	s_cbranch_execz .LBB110_586
; %bb.585:
	v_mov_b32_e32 v240, 27
	ds_write2_b64 v1, v[110:111], v[112:113] offset0:56 offset1:57
	ds_write2_b64 v1, v[106:107], v[108:109] offset0:58 offset1:59
	;; [unrolled: 1-line block ×28, first 2 shown]
.LBB110_586:
	s_or_b32 exec_lo, exec_lo, s0
	s_mov_b32 s0, exec_lo
	s_waitcnt lgkmcnt(0)
	s_waitcnt_vscnt null, 0x0
	s_barrier
	buffer_gl0_inv
	v_cmpx_lt_i32_e32 27, v240
	s_cbranch_execz .LBB110_588
; %bb.587:
	v_mul_f64 v[210:211], v[228:229], v[116:117]
	v_mul_f64 v[116:117], v[226:227], v[116:117]
	v_fma_f64 v[234:235], v[226:227], v[114:115], -v[210:211]
	v_fma_f64 v[116:117], v[228:229], v[114:115], v[116:117]
	ds_read2_b64 v[226:229], v1 offset0:56 offset1:57
	s_waitcnt lgkmcnt(0)
	v_mul_f64 v[114:115], v[228:229], v[116:117]
	v_mul_f64 v[210:211], v[226:227], v[116:117]
	v_fma_f64 v[114:115], v[226:227], v[234:235], -v[114:115]
	v_fma_f64 v[210:211], v[228:229], v[234:235], v[210:211]
	ds_read2_b64 v[226:229], v1 offset0:58 offset1:59
	v_add_f64 v[110:111], v[110:111], -v[114:115]
	v_add_f64 v[112:113], v[112:113], -v[210:211]
	s_waitcnt lgkmcnt(0)
	v_mul_f64 v[114:115], v[228:229], v[116:117]
	v_mul_f64 v[210:211], v[226:227], v[116:117]
	v_fma_f64 v[114:115], v[226:227], v[234:235], -v[114:115]
	v_fma_f64 v[210:211], v[228:229], v[234:235], v[210:211]
	ds_read2_b64 v[226:229], v1 offset0:60 offset1:61
	v_add_f64 v[106:107], v[106:107], -v[114:115]
	v_add_f64 v[108:109], v[108:109], -v[210:211]
	;; [unrolled: 8-line block ×27, first 2 shown]
	s_waitcnt lgkmcnt(0)
	v_mul_f64 v[114:115], v[228:229], v[116:117]
	v_mul_f64 v[210:211], v[226:227], v[116:117]
	v_fma_f64 v[114:115], v[226:227], v[234:235], -v[114:115]
	v_fma_f64 v[210:211], v[228:229], v[234:235], v[210:211]
	v_add_f64 v[230:231], v[230:231], -v[114:115]
	v_add_f64 v[232:233], v[232:233], -v[210:211]
	v_mov_b32_e32 v114, v234
	v_mov_b32_e32 v115, v235
.LBB110_588:
	s_or_b32 exec_lo, exec_lo, s0
	v_lshl_add_u32 v210, v240, 4, v1
	s_barrier
	buffer_gl0_inv
	v_mov_b32_e32 v234, 28
	ds_write2_b64 v210, v[110:111], v[112:113] offset1:1
	s_waitcnt lgkmcnt(0)
	s_barrier
	buffer_gl0_inv
	ds_read2_b64 v[226:229], v1 offset0:56 offset1:57
	s_cmp_lt_i32 s8, 30
	s_cbranch_scc1 .LBB110_591
; %bb.589:
	v_add3_u32 v235, v253, 0, 0x1d0
	v_mov_b32_e32 v234, 28
	s_mov_b32 s1, 29
	s_inst_prefetch 0x1
	.p2align	6
.LBB110_590:                            ; =>This Inner Loop Header: Depth=1
	s_waitcnt lgkmcnt(0)
	v_cmp_gt_f64_e32 vcc_lo, 0, v[228:229]
	v_cmp_gt_f64_e64 s0, 0, v[226:227]
	ds_read2_b64 v[241:244], v235 offset1:1
	v_xor_b32_e32 v211, 0x80000000, v227
	v_xor_b32_e32 v213, 0x80000000, v229
	v_mov_b32_e32 v210, v226
	v_mov_b32_e32 v212, v228
	v_add_nc_u32_e32 v235, 16, v235
	s_waitcnt lgkmcnt(0)
	v_xor_b32_e32 v219, 0x80000000, v244
	v_cndmask_b32_e64 v211, v227, v211, s0
	v_cndmask_b32_e32 v213, v229, v213, vcc_lo
	v_cmp_gt_f64_e32 vcc_lo, 0, v[243:244]
	v_cmp_gt_f64_e64 s0, 0, v[241:242]
	v_mov_b32_e32 v218, v243
	v_add_f64 v[210:211], v[210:211], v[212:213]
	v_xor_b32_e32 v213, 0x80000000, v242
	v_mov_b32_e32 v212, v241
	v_cndmask_b32_e32 v219, v244, v219, vcc_lo
	v_cndmask_b32_e64 v213, v242, v213, s0
	v_add_f64 v[212:213], v[212:213], v[218:219]
	v_cmp_lt_f64_e32 vcc_lo, v[210:211], v[212:213]
	v_cndmask_b32_e32 v227, v227, v242, vcc_lo
	v_cndmask_b32_e32 v226, v226, v241, vcc_lo
	;; [unrolled: 1-line block ×4, first 2 shown]
	v_cndmask_b32_e64 v234, v234, s1, vcc_lo
	s_add_i32 s1, s1, 1
	s_cmp_lg_u32 s8, s1
	s_cbranch_scc1 .LBB110_590
.LBB110_591:
	s_inst_prefetch 0x2
	s_waitcnt lgkmcnt(0)
	v_cmp_eq_f64_e32 vcc_lo, 0, v[226:227]
	v_cmp_eq_f64_e64 s0, 0, v[228:229]
	s_and_b32 s0, vcc_lo, s0
	s_and_saveexec_b32 s1, s0
	s_xor_b32 s0, exec_lo, s1
; %bb.592:
	v_cmp_ne_u32_e32 vcc_lo, 0, v239
	v_cndmask_b32_e32 v239, 29, v239, vcc_lo
; %bb.593:
	s_andn2_saveexec_b32 s0, s0
	s_cbranch_execz .LBB110_599
; %bb.594:
	v_cmp_ngt_f64_e64 s1, |v[226:227]|, |v[228:229]|
	s_and_saveexec_b32 s7, s1
	s_xor_b32 s1, exec_lo, s7
	s_cbranch_execz .LBB110_596
; %bb.595:
	v_div_scale_f64 v[210:211], null, v[228:229], v[228:229], v[226:227]
	v_div_scale_f64 v[220:221], vcc_lo, v[226:227], v[228:229], v[226:227]
	v_rcp_f64_e32 v[212:213], v[210:211]
	v_fma_f64 v[218:219], -v[210:211], v[212:213], 1.0
	v_fma_f64 v[212:213], v[212:213], v[218:219], v[212:213]
	v_fma_f64 v[218:219], -v[210:211], v[212:213], 1.0
	v_fma_f64 v[212:213], v[212:213], v[218:219], v[212:213]
	v_mul_f64 v[218:219], v[220:221], v[212:213]
	v_fma_f64 v[210:211], -v[210:211], v[218:219], v[220:221]
	v_div_fmas_f64 v[210:211], v[210:211], v[212:213], v[218:219]
	v_div_fixup_f64 v[210:211], v[210:211], v[228:229], v[226:227]
	v_fma_f64 v[212:213], v[226:227], v[210:211], v[228:229]
	v_div_scale_f64 v[218:219], null, v[212:213], v[212:213], 1.0
	v_rcp_f64_e32 v[220:221], v[218:219]
	v_fma_f64 v[222:223], -v[218:219], v[220:221], 1.0
	v_fma_f64 v[220:221], v[220:221], v[222:223], v[220:221]
	v_fma_f64 v[222:223], -v[218:219], v[220:221], 1.0
	v_fma_f64 v[220:221], v[220:221], v[222:223], v[220:221]
	v_div_scale_f64 v[222:223], vcc_lo, 1.0, v[212:213], 1.0
	v_mul_f64 v[224:225], v[222:223], v[220:221]
	v_fma_f64 v[218:219], -v[218:219], v[224:225], v[222:223]
	v_div_fmas_f64 v[218:219], v[218:219], v[220:221], v[224:225]
	v_div_fixup_f64 v[228:229], v[218:219], v[212:213], 1.0
	v_mul_f64 v[226:227], v[210:211], v[228:229]
	v_xor_b32_e32 v229, 0x80000000, v229
.LBB110_596:
	s_andn2_saveexec_b32 s1, s1
	s_cbranch_execz .LBB110_598
; %bb.597:
	v_div_scale_f64 v[210:211], null, v[226:227], v[226:227], v[228:229]
	v_div_scale_f64 v[220:221], vcc_lo, v[228:229], v[226:227], v[228:229]
	v_rcp_f64_e32 v[212:213], v[210:211]
	v_fma_f64 v[218:219], -v[210:211], v[212:213], 1.0
	v_fma_f64 v[212:213], v[212:213], v[218:219], v[212:213]
	v_fma_f64 v[218:219], -v[210:211], v[212:213], 1.0
	v_fma_f64 v[212:213], v[212:213], v[218:219], v[212:213]
	v_mul_f64 v[218:219], v[220:221], v[212:213]
	v_fma_f64 v[210:211], -v[210:211], v[218:219], v[220:221]
	v_div_fmas_f64 v[210:211], v[210:211], v[212:213], v[218:219]
	v_div_fixup_f64 v[210:211], v[210:211], v[226:227], v[228:229]
	v_fma_f64 v[212:213], v[228:229], v[210:211], v[226:227]
	v_div_scale_f64 v[218:219], null, v[212:213], v[212:213], 1.0
	v_rcp_f64_e32 v[220:221], v[218:219]
	v_fma_f64 v[222:223], -v[218:219], v[220:221], 1.0
	v_fma_f64 v[220:221], v[220:221], v[222:223], v[220:221]
	v_fma_f64 v[222:223], -v[218:219], v[220:221], 1.0
	v_fma_f64 v[220:221], v[220:221], v[222:223], v[220:221]
	v_div_scale_f64 v[222:223], vcc_lo, 1.0, v[212:213], 1.0
	v_mul_f64 v[224:225], v[222:223], v[220:221]
	v_fma_f64 v[218:219], -v[218:219], v[224:225], v[222:223]
	v_div_fmas_f64 v[218:219], v[218:219], v[220:221], v[224:225]
	v_div_fixup_f64 v[226:227], v[218:219], v[212:213], 1.0
	v_mul_f64 v[228:229], v[210:211], -v[226:227]
.LBB110_598:
	s_or_b32 exec_lo, exec_lo, s1
.LBB110_599:
	s_or_b32 exec_lo, exec_lo, s0
	s_mov_b32 s0, exec_lo
	v_cmpx_ne_u32_e64 v240, v234
	s_xor_b32 s0, exec_lo, s0
	s_cbranch_execz .LBB110_605
; %bb.600:
	s_mov_b32 s1, exec_lo
	v_cmpx_eq_u32_e32 28, v240
	s_cbranch_execz .LBB110_604
; %bb.601:
	v_cmp_ne_u32_e32 vcc_lo, 28, v234
	s_xor_b32 s7, s16, -1
	s_and_b32 s9, s7, vcc_lo
	s_and_saveexec_b32 s7, s9
	s_cbranch_execz .LBB110_603
; %bb.602:
	v_ashrrev_i32_e32 v235, 31, v234
	v_lshlrev_b64 v[210:211], 2, v[234:235]
	v_add_co_u32 v210, vcc_lo, v214, v210
	v_add_co_ci_u32_e64 v211, null, v215, v211, vcc_lo
	s_clause 0x1
	global_load_dword v0, v[210:211], off
	global_load_dword v212, v[214:215], off offset:112
	s_waitcnt vmcnt(1)
	global_store_dword v[214:215], v0, off offset:112
	s_waitcnt vmcnt(0)
	global_store_dword v[210:211], v212, off
.LBB110_603:
	s_or_b32 exec_lo, exec_lo, s7
	v_mov_b32_e32 v240, v234
	v_mov_b32_e32 v0, v234
.LBB110_604:
	s_or_b32 exec_lo, exec_lo, s1
.LBB110_605:
	s_andn2_saveexec_b32 s0, s0
	s_cbranch_execz .LBB110_607
; %bb.606:
	v_mov_b32_e32 v240, 28
	ds_write2_b64 v1, v[106:107], v[108:109] offset0:58 offset1:59
	ds_write2_b64 v1, v[102:103], v[104:105] offset0:60 offset1:61
	ds_write2_b64 v1, v[98:99], v[100:101] offset0:62 offset1:63
	ds_write2_b64 v1, v[94:95], v[96:97] offset0:64 offset1:65
	ds_write2_b64 v1, v[90:91], v[92:93] offset0:66 offset1:67
	ds_write2_b64 v1, v[86:87], v[88:89] offset0:68 offset1:69
	ds_write2_b64 v1, v[82:83], v[84:85] offset0:70 offset1:71
	ds_write2_b64 v1, v[78:79], v[80:81] offset0:72 offset1:73
	ds_write2_b64 v1, v[74:75], v[76:77] offset0:74 offset1:75
	ds_write2_b64 v1, v[70:71], v[72:73] offset0:76 offset1:77
	ds_write2_b64 v1, v[66:67], v[68:69] offset0:78 offset1:79
	ds_write2_b64 v1, v[62:63], v[64:65] offset0:80 offset1:81
	ds_write2_b64 v1, v[58:59], v[60:61] offset0:82 offset1:83
	ds_write2_b64 v1, v[54:55], v[56:57] offset0:84 offset1:85
	ds_write2_b64 v1, v[50:51], v[52:53] offset0:86 offset1:87
	ds_write2_b64 v1, v[46:47], v[48:49] offset0:88 offset1:89
	ds_write2_b64 v1, v[42:43], v[44:45] offset0:90 offset1:91
	ds_write2_b64 v1, v[38:39], v[40:41] offset0:92 offset1:93
	ds_write2_b64 v1, v[34:35], v[36:37] offset0:94 offset1:95
	ds_write2_b64 v1, v[30:31], v[32:33] offset0:96 offset1:97
	ds_write2_b64 v1, v[26:27], v[28:29] offset0:98 offset1:99
	ds_write2_b64 v1, v[22:23], v[24:25] offset0:100 offset1:101
	ds_write2_b64 v1, v[18:19], v[20:21] offset0:102 offset1:103
	ds_write2_b64 v1, v[14:15], v[16:17] offset0:104 offset1:105
	ds_write2_b64 v1, v[10:11], v[12:13] offset0:106 offset1:107
	ds_write2_b64 v1, v[249:250], v[251:252] offset0:108 offset1:109
	ds_write2_b64 v1, v[230:231], v[232:233] offset0:110 offset1:111
.LBB110_607:
	s_or_b32 exec_lo, exec_lo, s0
	s_mov_b32 s0, exec_lo
	s_waitcnt lgkmcnt(0)
	s_waitcnt_vscnt null, 0x0
	s_barrier
	buffer_gl0_inv
	v_cmpx_lt_i32_e32 28, v240
	s_cbranch_execz .LBB110_609
; %bb.608:
	v_mul_f64 v[210:211], v[228:229], v[112:113]
	v_mul_f64 v[112:113], v[226:227], v[112:113]
	v_fma_f64 v[234:235], v[226:227], v[110:111], -v[210:211]
	v_fma_f64 v[112:113], v[228:229], v[110:111], v[112:113]
	ds_read2_b64 v[226:229], v1 offset0:58 offset1:59
	s_waitcnt lgkmcnt(0)
	v_mul_f64 v[110:111], v[228:229], v[112:113]
	v_mul_f64 v[210:211], v[226:227], v[112:113]
	v_fma_f64 v[110:111], v[226:227], v[234:235], -v[110:111]
	v_fma_f64 v[210:211], v[228:229], v[234:235], v[210:211]
	ds_read2_b64 v[226:229], v1 offset0:60 offset1:61
	v_add_f64 v[106:107], v[106:107], -v[110:111]
	v_add_f64 v[108:109], v[108:109], -v[210:211]
	s_waitcnt lgkmcnt(0)
	v_mul_f64 v[110:111], v[228:229], v[112:113]
	v_mul_f64 v[210:211], v[226:227], v[112:113]
	v_fma_f64 v[110:111], v[226:227], v[234:235], -v[110:111]
	v_fma_f64 v[210:211], v[228:229], v[234:235], v[210:211]
	ds_read2_b64 v[226:229], v1 offset0:62 offset1:63
	v_add_f64 v[102:103], v[102:103], -v[110:111]
	v_add_f64 v[104:105], v[104:105], -v[210:211]
	;; [unrolled: 8-line block ×26, first 2 shown]
	s_waitcnt lgkmcnt(0)
	v_mul_f64 v[110:111], v[228:229], v[112:113]
	v_mul_f64 v[210:211], v[226:227], v[112:113]
	v_fma_f64 v[110:111], v[226:227], v[234:235], -v[110:111]
	v_fma_f64 v[210:211], v[228:229], v[234:235], v[210:211]
	v_add_f64 v[230:231], v[230:231], -v[110:111]
	v_add_f64 v[232:233], v[232:233], -v[210:211]
	v_mov_b32_e32 v110, v234
	v_mov_b32_e32 v111, v235
.LBB110_609:
	s_or_b32 exec_lo, exec_lo, s0
	v_lshl_add_u32 v210, v240, 4, v1
	s_barrier
	buffer_gl0_inv
	v_mov_b32_e32 v234, 29
	ds_write2_b64 v210, v[106:107], v[108:109] offset1:1
	s_waitcnt lgkmcnt(0)
	s_barrier
	buffer_gl0_inv
	ds_read2_b64 v[226:229], v1 offset0:58 offset1:59
	s_cmp_lt_i32 s8, 31
	s_cbranch_scc1 .LBB110_612
; %bb.610:
	v_add3_u32 v235, v253, 0, 0x1e0
	v_mov_b32_e32 v234, 29
	s_mov_b32 s1, 30
	s_inst_prefetch 0x1
	.p2align	6
.LBB110_611:                            ; =>This Inner Loop Header: Depth=1
	s_waitcnt lgkmcnt(0)
	v_cmp_gt_f64_e32 vcc_lo, 0, v[228:229]
	v_cmp_gt_f64_e64 s0, 0, v[226:227]
	ds_read2_b64 v[241:244], v235 offset1:1
	v_xor_b32_e32 v211, 0x80000000, v227
	v_xor_b32_e32 v213, 0x80000000, v229
	v_mov_b32_e32 v210, v226
	v_mov_b32_e32 v212, v228
	v_add_nc_u32_e32 v235, 16, v235
	s_waitcnt lgkmcnt(0)
	v_xor_b32_e32 v219, 0x80000000, v244
	v_cndmask_b32_e64 v211, v227, v211, s0
	v_cndmask_b32_e32 v213, v229, v213, vcc_lo
	v_cmp_gt_f64_e32 vcc_lo, 0, v[243:244]
	v_cmp_gt_f64_e64 s0, 0, v[241:242]
	v_mov_b32_e32 v218, v243
	v_add_f64 v[210:211], v[210:211], v[212:213]
	v_xor_b32_e32 v213, 0x80000000, v242
	v_mov_b32_e32 v212, v241
	v_cndmask_b32_e32 v219, v244, v219, vcc_lo
	v_cndmask_b32_e64 v213, v242, v213, s0
	v_add_f64 v[212:213], v[212:213], v[218:219]
	v_cmp_lt_f64_e32 vcc_lo, v[210:211], v[212:213]
	v_cndmask_b32_e32 v227, v227, v242, vcc_lo
	v_cndmask_b32_e32 v226, v226, v241, vcc_lo
	;; [unrolled: 1-line block ×4, first 2 shown]
	v_cndmask_b32_e64 v234, v234, s1, vcc_lo
	s_add_i32 s1, s1, 1
	s_cmp_lg_u32 s8, s1
	s_cbranch_scc1 .LBB110_611
.LBB110_612:
	s_inst_prefetch 0x2
	s_waitcnt lgkmcnt(0)
	v_cmp_eq_f64_e32 vcc_lo, 0, v[226:227]
	v_cmp_eq_f64_e64 s0, 0, v[228:229]
	s_and_b32 s0, vcc_lo, s0
	s_and_saveexec_b32 s1, s0
	s_xor_b32 s0, exec_lo, s1
; %bb.613:
	v_cmp_ne_u32_e32 vcc_lo, 0, v239
	v_cndmask_b32_e32 v239, 30, v239, vcc_lo
; %bb.614:
	s_andn2_saveexec_b32 s0, s0
	s_cbranch_execz .LBB110_620
; %bb.615:
	v_cmp_ngt_f64_e64 s1, |v[226:227]|, |v[228:229]|
	s_and_saveexec_b32 s7, s1
	s_xor_b32 s1, exec_lo, s7
	s_cbranch_execz .LBB110_617
; %bb.616:
	v_div_scale_f64 v[210:211], null, v[228:229], v[228:229], v[226:227]
	v_div_scale_f64 v[220:221], vcc_lo, v[226:227], v[228:229], v[226:227]
	v_rcp_f64_e32 v[212:213], v[210:211]
	v_fma_f64 v[218:219], -v[210:211], v[212:213], 1.0
	v_fma_f64 v[212:213], v[212:213], v[218:219], v[212:213]
	v_fma_f64 v[218:219], -v[210:211], v[212:213], 1.0
	v_fma_f64 v[212:213], v[212:213], v[218:219], v[212:213]
	v_mul_f64 v[218:219], v[220:221], v[212:213]
	v_fma_f64 v[210:211], -v[210:211], v[218:219], v[220:221]
	v_div_fmas_f64 v[210:211], v[210:211], v[212:213], v[218:219]
	v_div_fixup_f64 v[210:211], v[210:211], v[228:229], v[226:227]
	v_fma_f64 v[212:213], v[226:227], v[210:211], v[228:229]
	v_div_scale_f64 v[218:219], null, v[212:213], v[212:213], 1.0
	v_rcp_f64_e32 v[220:221], v[218:219]
	v_fma_f64 v[222:223], -v[218:219], v[220:221], 1.0
	v_fma_f64 v[220:221], v[220:221], v[222:223], v[220:221]
	v_fma_f64 v[222:223], -v[218:219], v[220:221], 1.0
	v_fma_f64 v[220:221], v[220:221], v[222:223], v[220:221]
	v_div_scale_f64 v[222:223], vcc_lo, 1.0, v[212:213], 1.0
	v_mul_f64 v[224:225], v[222:223], v[220:221]
	v_fma_f64 v[218:219], -v[218:219], v[224:225], v[222:223]
	v_div_fmas_f64 v[218:219], v[218:219], v[220:221], v[224:225]
	v_div_fixup_f64 v[228:229], v[218:219], v[212:213], 1.0
	v_mul_f64 v[226:227], v[210:211], v[228:229]
	v_xor_b32_e32 v229, 0x80000000, v229
.LBB110_617:
	s_andn2_saveexec_b32 s1, s1
	s_cbranch_execz .LBB110_619
; %bb.618:
	v_div_scale_f64 v[210:211], null, v[226:227], v[226:227], v[228:229]
	v_div_scale_f64 v[220:221], vcc_lo, v[228:229], v[226:227], v[228:229]
	v_rcp_f64_e32 v[212:213], v[210:211]
	v_fma_f64 v[218:219], -v[210:211], v[212:213], 1.0
	v_fma_f64 v[212:213], v[212:213], v[218:219], v[212:213]
	v_fma_f64 v[218:219], -v[210:211], v[212:213], 1.0
	v_fma_f64 v[212:213], v[212:213], v[218:219], v[212:213]
	v_mul_f64 v[218:219], v[220:221], v[212:213]
	v_fma_f64 v[210:211], -v[210:211], v[218:219], v[220:221]
	v_div_fmas_f64 v[210:211], v[210:211], v[212:213], v[218:219]
	v_div_fixup_f64 v[210:211], v[210:211], v[226:227], v[228:229]
	v_fma_f64 v[212:213], v[228:229], v[210:211], v[226:227]
	v_div_scale_f64 v[218:219], null, v[212:213], v[212:213], 1.0
	v_rcp_f64_e32 v[220:221], v[218:219]
	v_fma_f64 v[222:223], -v[218:219], v[220:221], 1.0
	v_fma_f64 v[220:221], v[220:221], v[222:223], v[220:221]
	v_fma_f64 v[222:223], -v[218:219], v[220:221], 1.0
	v_fma_f64 v[220:221], v[220:221], v[222:223], v[220:221]
	v_div_scale_f64 v[222:223], vcc_lo, 1.0, v[212:213], 1.0
	v_mul_f64 v[224:225], v[222:223], v[220:221]
	v_fma_f64 v[218:219], -v[218:219], v[224:225], v[222:223]
	v_div_fmas_f64 v[218:219], v[218:219], v[220:221], v[224:225]
	v_div_fixup_f64 v[226:227], v[218:219], v[212:213], 1.0
	v_mul_f64 v[228:229], v[210:211], -v[226:227]
.LBB110_619:
	s_or_b32 exec_lo, exec_lo, s1
.LBB110_620:
	s_or_b32 exec_lo, exec_lo, s0
	s_mov_b32 s0, exec_lo
	v_cmpx_ne_u32_e64 v240, v234
	s_xor_b32 s0, exec_lo, s0
	s_cbranch_execz .LBB110_626
; %bb.621:
	s_mov_b32 s1, exec_lo
	v_cmpx_eq_u32_e32 29, v240
	s_cbranch_execz .LBB110_625
; %bb.622:
	v_cmp_ne_u32_e32 vcc_lo, 29, v234
	s_xor_b32 s7, s16, -1
	s_and_b32 s9, s7, vcc_lo
	s_and_saveexec_b32 s7, s9
	s_cbranch_execz .LBB110_624
; %bb.623:
	v_ashrrev_i32_e32 v235, 31, v234
	v_lshlrev_b64 v[210:211], 2, v[234:235]
	v_add_co_u32 v210, vcc_lo, v214, v210
	v_add_co_ci_u32_e64 v211, null, v215, v211, vcc_lo
	s_clause 0x1
	global_load_dword v0, v[210:211], off
	global_load_dword v212, v[214:215], off offset:116
	s_waitcnt vmcnt(1)
	global_store_dword v[214:215], v0, off offset:116
	s_waitcnt vmcnt(0)
	global_store_dword v[210:211], v212, off
.LBB110_624:
	s_or_b32 exec_lo, exec_lo, s7
	v_mov_b32_e32 v240, v234
	v_mov_b32_e32 v0, v234
.LBB110_625:
	s_or_b32 exec_lo, exec_lo, s1
.LBB110_626:
	s_andn2_saveexec_b32 s0, s0
	s_cbranch_execz .LBB110_628
; %bb.627:
	v_mov_b32_e32 v240, 29
	ds_write2_b64 v1, v[102:103], v[104:105] offset0:60 offset1:61
	ds_write2_b64 v1, v[98:99], v[100:101] offset0:62 offset1:63
	;; [unrolled: 1-line block ×26, first 2 shown]
.LBB110_628:
	s_or_b32 exec_lo, exec_lo, s0
	s_mov_b32 s0, exec_lo
	s_waitcnt lgkmcnt(0)
	s_waitcnt_vscnt null, 0x0
	s_barrier
	buffer_gl0_inv
	v_cmpx_lt_i32_e32 29, v240
	s_cbranch_execz .LBB110_630
; %bb.629:
	v_mul_f64 v[210:211], v[228:229], v[108:109]
	v_mul_f64 v[108:109], v[226:227], v[108:109]
	v_fma_f64 v[234:235], v[226:227], v[106:107], -v[210:211]
	v_fma_f64 v[108:109], v[228:229], v[106:107], v[108:109]
	ds_read2_b64 v[226:229], v1 offset0:60 offset1:61
	s_waitcnt lgkmcnt(0)
	v_mul_f64 v[106:107], v[228:229], v[108:109]
	v_mul_f64 v[210:211], v[226:227], v[108:109]
	v_fma_f64 v[106:107], v[226:227], v[234:235], -v[106:107]
	v_fma_f64 v[210:211], v[228:229], v[234:235], v[210:211]
	ds_read2_b64 v[226:229], v1 offset0:62 offset1:63
	v_add_f64 v[102:103], v[102:103], -v[106:107]
	v_add_f64 v[104:105], v[104:105], -v[210:211]
	s_waitcnt lgkmcnt(0)
	v_mul_f64 v[106:107], v[228:229], v[108:109]
	v_mul_f64 v[210:211], v[226:227], v[108:109]
	v_fma_f64 v[106:107], v[226:227], v[234:235], -v[106:107]
	v_fma_f64 v[210:211], v[228:229], v[234:235], v[210:211]
	ds_read2_b64 v[226:229], v1 offset0:64 offset1:65
	v_add_f64 v[98:99], v[98:99], -v[106:107]
	v_add_f64 v[100:101], v[100:101], -v[210:211]
	;; [unrolled: 8-line block ×25, first 2 shown]
	s_waitcnt lgkmcnt(0)
	v_mul_f64 v[106:107], v[228:229], v[108:109]
	v_mul_f64 v[210:211], v[226:227], v[108:109]
	v_fma_f64 v[106:107], v[226:227], v[234:235], -v[106:107]
	v_fma_f64 v[210:211], v[228:229], v[234:235], v[210:211]
	v_add_f64 v[230:231], v[230:231], -v[106:107]
	v_add_f64 v[232:233], v[232:233], -v[210:211]
	v_mov_b32_e32 v106, v234
	v_mov_b32_e32 v107, v235
.LBB110_630:
	s_or_b32 exec_lo, exec_lo, s0
	v_lshl_add_u32 v210, v240, 4, v1
	s_barrier
	buffer_gl0_inv
	v_mov_b32_e32 v234, 30
	ds_write2_b64 v210, v[102:103], v[104:105] offset1:1
	s_waitcnt lgkmcnt(0)
	s_barrier
	buffer_gl0_inv
	ds_read2_b64 v[226:229], v1 offset0:60 offset1:61
	s_cmp_lt_i32 s8, 32
	s_cbranch_scc1 .LBB110_633
; %bb.631:
	v_add3_u32 v235, v253, 0, 0x1f0
	v_mov_b32_e32 v234, 30
	s_mov_b32 s1, 31
	s_inst_prefetch 0x1
	.p2align	6
.LBB110_632:                            ; =>This Inner Loop Header: Depth=1
	s_waitcnt lgkmcnt(0)
	v_cmp_gt_f64_e32 vcc_lo, 0, v[228:229]
	v_cmp_gt_f64_e64 s0, 0, v[226:227]
	ds_read2_b64 v[241:244], v235 offset1:1
	v_xor_b32_e32 v211, 0x80000000, v227
	v_xor_b32_e32 v213, 0x80000000, v229
	v_mov_b32_e32 v210, v226
	v_mov_b32_e32 v212, v228
	v_add_nc_u32_e32 v235, 16, v235
	s_waitcnt lgkmcnt(0)
	v_xor_b32_e32 v219, 0x80000000, v244
	v_cndmask_b32_e64 v211, v227, v211, s0
	v_cndmask_b32_e32 v213, v229, v213, vcc_lo
	v_cmp_gt_f64_e32 vcc_lo, 0, v[243:244]
	v_cmp_gt_f64_e64 s0, 0, v[241:242]
	v_mov_b32_e32 v218, v243
	v_add_f64 v[210:211], v[210:211], v[212:213]
	v_xor_b32_e32 v213, 0x80000000, v242
	v_mov_b32_e32 v212, v241
	v_cndmask_b32_e32 v219, v244, v219, vcc_lo
	v_cndmask_b32_e64 v213, v242, v213, s0
	v_add_f64 v[212:213], v[212:213], v[218:219]
	v_cmp_lt_f64_e32 vcc_lo, v[210:211], v[212:213]
	v_cndmask_b32_e32 v227, v227, v242, vcc_lo
	v_cndmask_b32_e32 v226, v226, v241, vcc_lo
	;; [unrolled: 1-line block ×4, first 2 shown]
	v_cndmask_b32_e64 v234, v234, s1, vcc_lo
	s_add_i32 s1, s1, 1
	s_cmp_lg_u32 s8, s1
	s_cbranch_scc1 .LBB110_632
.LBB110_633:
	s_inst_prefetch 0x2
	s_waitcnt lgkmcnt(0)
	v_cmp_eq_f64_e32 vcc_lo, 0, v[226:227]
	v_cmp_eq_f64_e64 s0, 0, v[228:229]
	s_and_b32 s0, vcc_lo, s0
	s_and_saveexec_b32 s1, s0
	s_xor_b32 s0, exec_lo, s1
; %bb.634:
	v_cmp_ne_u32_e32 vcc_lo, 0, v239
	v_cndmask_b32_e32 v239, 31, v239, vcc_lo
; %bb.635:
	s_andn2_saveexec_b32 s0, s0
	s_cbranch_execz .LBB110_641
; %bb.636:
	v_cmp_ngt_f64_e64 s1, |v[226:227]|, |v[228:229]|
	s_and_saveexec_b32 s7, s1
	s_xor_b32 s1, exec_lo, s7
	s_cbranch_execz .LBB110_638
; %bb.637:
	v_div_scale_f64 v[210:211], null, v[228:229], v[228:229], v[226:227]
	v_div_scale_f64 v[220:221], vcc_lo, v[226:227], v[228:229], v[226:227]
	v_rcp_f64_e32 v[212:213], v[210:211]
	v_fma_f64 v[218:219], -v[210:211], v[212:213], 1.0
	v_fma_f64 v[212:213], v[212:213], v[218:219], v[212:213]
	v_fma_f64 v[218:219], -v[210:211], v[212:213], 1.0
	v_fma_f64 v[212:213], v[212:213], v[218:219], v[212:213]
	v_mul_f64 v[218:219], v[220:221], v[212:213]
	v_fma_f64 v[210:211], -v[210:211], v[218:219], v[220:221]
	v_div_fmas_f64 v[210:211], v[210:211], v[212:213], v[218:219]
	v_div_fixup_f64 v[210:211], v[210:211], v[228:229], v[226:227]
	v_fma_f64 v[212:213], v[226:227], v[210:211], v[228:229]
	v_div_scale_f64 v[218:219], null, v[212:213], v[212:213], 1.0
	v_rcp_f64_e32 v[220:221], v[218:219]
	v_fma_f64 v[222:223], -v[218:219], v[220:221], 1.0
	v_fma_f64 v[220:221], v[220:221], v[222:223], v[220:221]
	v_fma_f64 v[222:223], -v[218:219], v[220:221], 1.0
	v_fma_f64 v[220:221], v[220:221], v[222:223], v[220:221]
	v_div_scale_f64 v[222:223], vcc_lo, 1.0, v[212:213], 1.0
	v_mul_f64 v[224:225], v[222:223], v[220:221]
	v_fma_f64 v[218:219], -v[218:219], v[224:225], v[222:223]
	v_div_fmas_f64 v[218:219], v[218:219], v[220:221], v[224:225]
	v_div_fixup_f64 v[228:229], v[218:219], v[212:213], 1.0
	v_mul_f64 v[226:227], v[210:211], v[228:229]
	v_xor_b32_e32 v229, 0x80000000, v229
.LBB110_638:
	s_andn2_saveexec_b32 s1, s1
	s_cbranch_execz .LBB110_640
; %bb.639:
	v_div_scale_f64 v[210:211], null, v[226:227], v[226:227], v[228:229]
	v_div_scale_f64 v[220:221], vcc_lo, v[228:229], v[226:227], v[228:229]
	v_rcp_f64_e32 v[212:213], v[210:211]
	v_fma_f64 v[218:219], -v[210:211], v[212:213], 1.0
	v_fma_f64 v[212:213], v[212:213], v[218:219], v[212:213]
	v_fma_f64 v[218:219], -v[210:211], v[212:213], 1.0
	v_fma_f64 v[212:213], v[212:213], v[218:219], v[212:213]
	v_mul_f64 v[218:219], v[220:221], v[212:213]
	v_fma_f64 v[210:211], -v[210:211], v[218:219], v[220:221]
	v_div_fmas_f64 v[210:211], v[210:211], v[212:213], v[218:219]
	v_div_fixup_f64 v[210:211], v[210:211], v[226:227], v[228:229]
	v_fma_f64 v[212:213], v[228:229], v[210:211], v[226:227]
	v_div_scale_f64 v[218:219], null, v[212:213], v[212:213], 1.0
	v_rcp_f64_e32 v[220:221], v[218:219]
	v_fma_f64 v[222:223], -v[218:219], v[220:221], 1.0
	v_fma_f64 v[220:221], v[220:221], v[222:223], v[220:221]
	v_fma_f64 v[222:223], -v[218:219], v[220:221], 1.0
	v_fma_f64 v[220:221], v[220:221], v[222:223], v[220:221]
	v_div_scale_f64 v[222:223], vcc_lo, 1.0, v[212:213], 1.0
	v_mul_f64 v[224:225], v[222:223], v[220:221]
	v_fma_f64 v[218:219], -v[218:219], v[224:225], v[222:223]
	v_div_fmas_f64 v[218:219], v[218:219], v[220:221], v[224:225]
	v_div_fixup_f64 v[226:227], v[218:219], v[212:213], 1.0
	v_mul_f64 v[228:229], v[210:211], -v[226:227]
.LBB110_640:
	s_or_b32 exec_lo, exec_lo, s1
.LBB110_641:
	s_or_b32 exec_lo, exec_lo, s0
	s_mov_b32 s0, exec_lo
	v_cmpx_ne_u32_e64 v240, v234
	s_xor_b32 s0, exec_lo, s0
	s_cbranch_execz .LBB110_647
; %bb.642:
	s_mov_b32 s1, exec_lo
	v_cmpx_eq_u32_e32 30, v240
	s_cbranch_execz .LBB110_646
; %bb.643:
	v_cmp_ne_u32_e32 vcc_lo, 30, v234
	s_xor_b32 s7, s16, -1
	s_and_b32 s9, s7, vcc_lo
	s_and_saveexec_b32 s7, s9
	s_cbranch_execz .LBB110_645
; %bb.644:
	v_ashrrev_i32_e32 v235, 31, v234
	v_lshlrev_b64 v[210:211], 2, v[234:235]
	v_add_co_u32 v210, vcc_lo, v214, v210
	v_add_co_ci_u32_e64 v211, null, v215, v211, vcc_lo
	s_clause 0x1
	global_load_dword v0, v[210:211], off
	global_load_dword v212, v[214:215], off offset:120
	s_waitcnt vmcnt(1)
	global_store_dword v[214:215], v0, off offset:120
	s_waitcnt vmcnt(0)
	global_store_dword v[210:211], v212, off
.LBB110_645:
	s_or_b32 exec_lo, exec_lo, s7
	v_mov_b32_e32 v240, v234
	v_mov_b32_e32 v0, v234
.LBB110_646:
	s_or_b32 exec_lo, exec_lo, s1
.LBB110_647:
	s_andn2_saveexec_b32 s0, s0
	s_cbranch_execz .LBB110_649
; %bb.648:
	v_mov_b32_e32 v240, 30
	ds_write2_b64 v1, v[98:99], v[100:101] offset0:62 offset1:63
	ds_write2_b64 v1, v[94:95], v[96:97] offset0:64 offset1:65
	;; [unrolled: 1-line block ×25, first 2 shown]
.LBB110_649:
	s_or_b32 exec_lo, exec_lo, s0
	s_mov_b32 s0, exec_lo
	s_waitcnt lgkmcnt(0)
	s_waitcnt_vscnt null, 0x0
	s_barrier
	buffer_gl0_inv
	v_cmpx_lt_i32_e32 30, v240
	s_cbranch_execz .LBB110_651
; %bb.650:
	v_mul_f64 v[210:211], v[228:229], v[104:105]
	v_mul_f64 v[104:105], v[226:227], v[104:105]
	v_fma_f64 v[234:235], v[226:227], v[102:103], -v[210:211]
	v_fma_f64 v[104:105], v[228:229], v[102:103], v[104:105]
	ds_read2_b64 v[226:229], v1 offset0:62 offset1:63
	s_waitcnt lgkmcnt(0)
	v_mul_f64 v[102:103], v[228:229], v[104:105]
	v_mul_f64 v[210:211], v[226:227], v[104:105]
	v_fma_f64 v[102:103], v[226:227], v[234:235], -v[102:103]
	v_fma_f64 v[210:211], v[228:229], v[234:235], v[210:211]
	ds_read2_b64 v[226:229], v1 offset0:64 offset1:65
	v_add_f64 v[98:99], v[98:99], -v[102:103]
	v_add_f64 v[100:101], v[100:101], -v[210:211]
	s_waitcnt lgkmcnt(0)
	v_mul_f64 v[102:103], v[228:229], v[104:105]
	v_mul_f64 v[210:211], v[226:227], v[104:105]
	v_fma_f64 v[102:103], v[226:227], v[234:235], -v[102:103]
	v_fma_f64 v[210:211], v[228:229], v[234:235], v[210:211]
	ds_read2_b64 v[226:229], v1 offset0:66 offset1:67
	v_add_f64 v[94:95], v[94:95], -v[102:103]
	v_add_f64 v[96:97], v[96:97], -v[210:211]
	;; [unrolled: 8-line block ×24, first 2 shown]
	s_waitcnt lgkmcnt(0)
	v_mul_f64 v[102:103], v[228:229], v[104:105]
	v_mul_f64 v[210:211], v[226:227], v[104:105]
	v_fma_f64 v[102:103], v[226:227], v[234:235], -v[102:103]
	v_fma_f64 v[210:211], v[228:229], v[234:235], v[210:211]
	v_add_f64 v[230:231], v[230:231], -v[102:103]
	v_add_f64 v[232:233], v[232:233], -v[210:211]
	v_mov_b32_e32 v102, v234
	v_mov_b32_e32 v103, v235
.LBB110_651:
	s_or_b32 exec_lo, exec_lo, s0
	v_lshl_add_u32 v210, v240, 4, v1
	s_barrier
	buffer_gl0_inv
	v_mov_b32_e32 v234, 31
	ds_write2_b64 v210, v[98:99], v[100:101] offset1:1
	s_waitcnt lgkmcnt(0)
	s_barrier
	buffer_gl0_inv
	ds_read2_b64 v[226:229], v1 offset0:62 offset1:63
	s_cmp_lt_i32 s8, 33
	s_cbranch_scc1 .LBB110_654
; %bb.652:
	v_add3_u32 v235, v253, 0, 0x200
	v_mov_b32_e32 v234, 31
	s_mov_b32 s1, 32
	s_inst_prefetch 0x1
	.p2align	6
.LBB110_653:                            ; =>This Inner Loop Header: Depth=1
	s_waitcnt lgkmcnt(0)
	v_cmp_gt_f64_e32 vcc_lo, 0, v[228:229]
	v_cmp_gt_f64_e64 s0, 0, v[226:227]
	ds_read2_b64 v[241:244], v235 offset1:1
	v_xor_b32_e32 v211, 0x80000000, v227
	v_xor_b32_e32 v213, 0x80000000, v229
	v_mov_b32_e32 v210, v226
	v_mov_b32_e32 v212, v228
	v_add_nc_u32_e32 v235, 16, v235
	s_waitcnt lgkmcnt(0)
	v_xor_b32_e32 v219, 0x80000000, v244
	v_cndmask_b32_e64 v211, v227, v211, s0
	v_cndmask_b32_e32 v213, v229, v213, vcc_lo
	v_cmp_gt_f64_e32 vcc_lo, 0, v[243:244]
	v_cmp_gt_f64_e64 s0, 0, v[241:242]
	v_mov_b32_e32 v218, v243
	v_add_f64 v[210:211], v[210:211], v[212:213]
	v_xor_b32_e32 v213, 0x80000000, v242
	v_mov_b32_e32 v212, v241
	v_cndmask_b32_e32 v219, v244, v219, vcc_lo
	v_cndmask_b32_e64 v213, v242, v213, s0
	v_add_f64 v[212:213], v[212:213], v[218:219]
	v_cmp_lt_f64_e32 vcc_lo, v[210:211], v[212:213]
	v_cndmask_b32_e32 v227, v227, v242, vcc_lo
	v_cndmask_b32_e32 v226, v226, v241, vcc_lo
	;; [unrolled: 1-line block ×4, first 2 shown]
	v_cndmask_b32_e64 v234, v234, s1, vcc_lo
	s_add_i32 s1, s1, 1
	s_cmp_lg_u32 s8, s1
	s_cbranch_scc1 .LBB110_653
.LBB110_654:
	s_inst_prefetch 0x2
	s_waitcnt lgkmcnt(0)
	v_cmp_eq_f64_e32 vcc_lo, 0, v[226:227]
	v_cmp_eq_f64_e64 s0, 0, v[228:229]
	s_and_b32 s0, vcc_lo, s0
	s_and_saveexec_b32 s1, s0
	s_xor_b32 s0, exec_lo, s1
; %bb.655:
	v_cmp_ne_u32_e32 vcc_lo, 0, v239
	v_cndmask_b32_e32 v239, 32, v239, vcc_lo
; %bb.656:
	s_andn2_saveexec_b32 s0, s0
	s_cbranch_execz .LBB110_662
; %bb.657:
	v_cmp_ngt_f64_e64 s1, |v[226:227]|, |v[228:229]|
	s_and_saveexec_b32 s7, s1
	s_xor_b32 s1, exec_lo, s7
	s_cbranch_execz .LBB110_659
; %bb.658:
	v_div_scale_f64 v[210:211], null, v[228:229], v[228:229], v[226:227]
	v_div_scale_f64 v[220:221], vcc_lo, v[226:227], v[228:229], v[226:227]
	v_rcp_f64_e32 v[212:213], v[210:211]
	v_fma_f64 v[218:219], -v[210:211], v[212:213], 1.0
	v_fma_f64 v[212:213], v[212:213], v[218:219], v[212:213]
	v_fma_f64 v[218:219], -v[210:211], v[212:213], 1.0
	v_fma_f64 v[212:213], v[212:213], v[218:219], v[212:213]
	v_mul_f64 v[218:219], v[220:221], v[212:213]
	v_fma_f64 v[210:211], -v[210:211], v[218:219], v[220:221]
	v_div_fmas_f64 v[210:211], v[210:211], v[212:213], v[218:219]
	v_div_fixup_f64 v[210:211], v[210:211], v[228:229], v[226:227]
	v_fma_f64 v[212:213], v[226:227], v[210:211], v[228:229]
	v_div_scale_f64 v[218:219], null, v[212:213], v[212:213], 1.0
	v_rcp_f64_e32 v[220:221], v[218:219]
	v_fma_f64 v[222:223], -v[218:219], v[220:221], 1.0
	v_fma_f64 v[220:221], v[220:221], v[222:223], v[220:221]
	v_fma_f64 v[222:223], -v[218:219], v[220:221], 1.0
	v_fma_f64 v[220:221], v[220:221], v[222:223], v[220:221]
	v_div_scale_f64 v[222:223], vcc_lo, 1.0, v[212:213], 1.0
	v_mul_f64 v[224:225], v[222:223], v[220:221]
	v_fma_f64 v[218:219], -v[218:219], v[224:225], v[222:223]
	v_div_fmas_f64 v[218:219], v[218:219], v[220:221], v[224:225]
	v_div_fixup_f64 v[228:229], v[218:219], v[212:213], 1.0
	v_mul_f64 v[226:227], v[210:211], v[228:229]
	v_xor_b32_e32 v229, 0x80000000, v229
.LBB110_659:
	s_andn2_saveexec_b32 s1, s1
	s_cbranch_execz .LBB110_661
; %bb.660:
	v_div_scale_f64 v[210:211], null, v[226:227], v[226:227], v[228:229]
	v_div_scale_f64 v[220:221], vcc_lo, v[228:229], v[226:227], v[228:229]
	v_rcp_f64_e32 v[212:213], v[210:211]
	v_fma_f64 v[218:219], -v[210:211], v[212:213], 1.0
	v_fma_f64 v[212:213], v[212:213], v[218:219], v[212:213]
	v_fma_f64 v[218:219], -v[210:211], v[212:213], 1.0
	v_fma_f64 v[212:213], v[212:213], v[218:219], v[212:213]
	v_mul_f64 v[218:219], v[220:221], v[212:213]
	v_fma_f64 v[210:211], -v[210:211], v[218:219], v[220:221]
	v_div_fmas_f64 v[210:211], v[210:211], v[212:213], v[218:219]
	v_div_fixup_f64 v[210:211], v[210:211], v[226:227], v[228:229]
	v_fma_f64 v[212:213], v[228:229], v[210:211], v[226:227]
	v_div_scale_f64 v[218:219], null, v[212:213], v[212:213], 1.0
	v_rcp_f64_e32 v[220:221], v[218:219]
	v_fma_f64 v[222:223], -v[218:219], v[220:221], 1.0
	v_fma_f64 v[220:221], v[220:221], v[222:223], v[220:221]
	v_fma_f64 v[222:223], -v[218:219], v[220:221], 1.0
	v_fma_f64 v[220:221], v[220:221], v[222:223], v[220:221]
	v_div_scale_f64 v[222:223], vcc_lo, 1.0, v[212:213], 1.0
	v_mul_f64 v[224:225], v[222:223], v[220:221]
	v_fma_f64 v[218:219], -v[218:219], v[224:225], v[222:223]
	v_div_fmas_f64 v[218:219], v[218:219], v[220:221], v[224:225]
	v_div_fixup_f64 v[226:227], v[218:219], v[212:213], 1.0
	v_mul_f64 v[228:229], v[210:211], -v[226:227]
.LBB110_661:
	s_or_b32 exec_lo, exec_lo, s1
.LBB110_662:
	s_or_b32 exec_lo, exec_lo, s0
	s_mov_b32 s0, exec_lo
	v_cmpx_ne_u32_e64 v240, v234
	s_xor_b32 s0, exec_lo, s0
	s_cbranch_execz .LBB110_668
; %bb.663:
	s_mov_b32 s1, exec_lo
	v_cmpx_eq_u32_e32 31, v240
	s_cbranch_execz .LBB110_667
; %bb.664:
	v_cmp_ne_u32_e32 vcc_lo, 31, v234
	s_xor_b32 s7, s16, -1
	s_and_b32 s9, s7, vcc_lo
	s_and_saveexec_b32 s7, s9
	s_cbranch_execz .LBB110_666
; %bb.665:
	v_ashrrev_i32_e32 v235, 31, v234
	v_lshlrev_b64 v[210:211], 2, v[234:235]
	v_add_co_u32 v210, vcc_lo, v214, v210
	v_add_co_ci_u32_e64 v211, null, v215, v211, vcc_lo
	s_clause 0x1
	global_load_dword v0, v[210:211], off
	global_load_dword v212, v[214:215], off offset:124
	s_waitcnt vmcnt(1)
	global_store_dword v[214:215], v0, off offset:124
	s_waitcnt vmcnt(0)
	global_store_dword v[210:211], v212, off
.LBB110_666:
	s_or_b32 exec_lo, exec_lo, s7
	v_mov_b32_e32 v240, v234
	v_mov_b32_e32 v0, v234
.LBB110_667:
	s_or_b32 exec_lo, exec_lo, s1
.LBB110_668:
	s_andn2_saveexec_b32 s0, s0
	s_cbranch_execz .LBB110_670
; %bb.669:
	v_mov_b32_e32 v240, 31
	ds_write2_b64 v1, v[94:95], v[96:97] offset0:64 offset1:65
	ds_write2_b64 v1, v[90:91], v[92:93] offset0:66 offset1:67
	;; [unrolled: 1-line block ×24, first 2 shown]
.LBB110_670:
	s_or_b32 exec_lo, exec_lo, s0
	s_mov_b32 s0, exec_lo
	s_waitcnt lgkmcnt(0)
	s_waitcnt_vscnt null, 0x0
	s_barrier
	buffer_gl0_inv
	v_cmpx_lt_i32_e32 31, v240
	s_cbranch_execz .LBB110_672
; %bb.671:
	v_mul_f64 v[210:211], v[228:229], v[100:101]
	v_mul_f64 v[100:101], v[226:227], v[100:101]
	v_fma_f64 v[234:235], v[226:227], v[98:99], -v[210:211]
	v_fma_f64 v[100:101], v[228:229], v[98:99], v[100:101]
	ds_read2_b64 v[226:229], v1 offset0:64 offset1:65
	s_waitcnt lgkmcnt(0)
	v_mul_f64 v[98:99], v[228:229], v[100:101]
	v_mul_f64 v[210:211], v[226:227], v[100:101]
	v_fma_f64 v[98:99], v[226:227], v[234:235], -v[98:99]
	v_fma_f64 v[210:211], v[228:229], v[234:235], v[210:211]
	ds_read2_b64 v[226:229], v1 offset0:66 offset1:67
	v_add_f64 v[94:95], v[94:95], -v[98:99]
	v_add_f64 v[96:97], v[96:97], -v[210:211]
	s_waitcnt lgkmcnt(0)
	v_mul_f64 v[98:99], v[228:229], v[100:101]
	v_mul_f64 v[210:211], v[226:227], v[100:101]
	v_fma_f64 v[98:99], v[226:227], v[234:235], -v[98:99]
	v_fma_f64 v[210:211], v[228:229], v[234:235], v[210:211]
	ds_read2_b64 v[226:229], v1 offset0:68 offset1:69
	v_add_f64 v[90:91], v[90:91], -v[98:99]
	v_add_f64 v[92:93], v[92:93], -v[210:211]
	;; [unrolled: 8-line block ×23, first 2 shown]
	s_waitcnt lgkmcnt(0)
	v_mul_f64 v[98:99], v[228:229], v[100:101]
	v_mul_f64 v[210:211], v[226:227], v[100:101]
	v_fma_f64 v[98:99], v[226:227], v[234:235], -v[98:99]
	v_fma_f64 v[210:211], v[228:229], v[234:235], v[210:211]
	v_add_f64 v[230:231], v[230:231], -v[98:99]
	v_add_f64 v[232:233], v[232:233], -v[210:211]
	v_mov_b32_e32 v98, v234
	v_mov_b32_e32 v99, v235
.LBB110_672:
	s_or_b32 exec_lo, exec_lo, s0
	v_lshl_add_u32 v210, v240, 4, v1
	s_barrier
	buffer_gl0_inv
	v_mov_b32_e32 v234, 32
	ds_write2_b64 v210, v[94:95], v[96:97] offset1:1
	s_waitcnt lgkmcnt(0)
	s_barrier
	buffer_gl0_inv
	ds_read2_b64 v[226:229], v1 offset0:64 offset1:65
	s_cmp_lt_i32 s8, 34
	s_cbranch_scc1 .LBB110_675
; %bb.673:
	v_add3_u32 v235, v253, 0, 0x210
	v_mov_b32_e32 v234, 32
	s_mov_b32 s1, 33
	s_inst_prefetch 0x1
	.p2align	6
.LBB110_674:                            ; =>This Inner Loop Header: Depth=1
	s_waitcnt lgkmcnt(0)
	v_cmp_gt_f64_e32 vcc_lo, 0, v[228:229]
	v_cmp_gt_f64_e64 s0, 0, v[226:227]
	ds_read2_b64 v[241:244], v235 offset1:1
	v_xor_b32_e32 v211, 0x80000000, v227
	v_xor_b32_e32 v213, 0x80000000, v229
	v_mov_b32_e32 v210, v226
	v_mov_b32_e32 v212, v228
	v_add_nc_u32_e32 v235, 16, v235
	s_waitcnt lgkmcnt(0)
	v_xor_b32_e32 v219, 0x80000000, v244
	v_cndmask_b32_e64 v211, v227, v211, s0
	v_cndmask_b32_e32 v213, v229, v213, vcc_lo
	v_cmp_gt_f64_e32 vcc_lo, 0, v[243:244]
	v_cmp_gt_f64_e64 s0, 0, v[241:242]
	v_mov_b32_e32 v218, v243
	v_add_f64 v[210:211], v[210:211], v[212:213]
	v_xor_b32_e32 v213, 0x80000000, v242
	v_mov_b32_e32 v212, v241
	v_cndmask_b32_e32 v219, v244, v219, vcc_lo
	v_cndmask_b32_e64 v213, v242, v213, s0
	v_add_f64 v[212:213], v[212:213], v[218:219]
	v_cmp_lt_f64_e32 vcc_lo, v[210:211], v[212:213]
	v_cndmask_b32_e32 v227, v227, v242, vcc_lo
	v_cndmask_b32_e32 v226, v226, v241, vcc_lo
	;; [unrolled: 1-line block ×4, first 2 shown]
	v_cndmask_b32_e64 v234, v234, s1, vcc_lo
	s_add_i32 s1, s1, 1
	s_cmp_lg_u32 s8, s1
	s_cbranch_scc1 .LBB110_674
.LBB110_675:
	s_inst_prefetch 0x2
	s_waitcnt lgkmcnt(0)
	v_cmp_eq_f64_e32 vcc_lo, 0, v[226:227]
	v_cmp_eq_f64_e64 s0, 0, v[228:229]
	s_and_b32 s0, vcc_lo, s0
	s_and_saveexec_b32 s1, s0
	s_xor_b32 s0, exec_lo, s1
; %bb.676:
	v_cmp_ne_u32_e32 vcc_lo, 0, v239
	v_cndmask_b32_e32 v239, 33, v239, vcc_lo
; %bb.677:
	s_andn2_saveexec_b32 s0, s0
	s_cbranch_execz .LBB110_683
; %bb.678:
	v_cmp_ngt_f64_e64 s1, |v[226:227]|, |v[228:229]|
	s_and_saveexec_b32 s7, s1
	s_xor_b32 s1, exec_lo, s7
	s_cbranch_execz .LBB110_680
; %bb.679:
	v_div_scale_f64 v[210:211], null, v[228:229], v[228:229], v[226:227]
	v_div_scale_f64 v[220:221], vcc_lo, v[226:227], v[228:229], v[226:227]
	v_rcp_f64_e32 v[212:213], v[210:211]
	v_fma_f64 v[218:219], -v[210:211], v[212:213], 1.0
	v_fma_f64 v[212:213], v[212:213], v[218:219], v[212:213]
	v_fma_f64 v[218:219], -v[210:211], v[212:213], 1.0
	v_fma_f64 v[212:213], v[212:213], v[218:219], v[212:213]
	v_mul_f64 v[218:219], v[220:221], v[212:213]
	v_fma_f64 v[210:211], -v[210:211], v[218:219], v[220:221]
	v_div_fmas_f64 v[210:211], v[210:211], v[212:213], v[218:219]
	v_div_fixup_f64 v[210:211], v[210:211], v[228:229], v[226:227]
	v_fma_f64 v[212:213], v[226:227], v[210:211], v[228:229]
	v_div_scale_f64 v[218:219], null, v[212:213], v[212:213], 1.0
	v_rcp_f64_e32 v[220:221], v[218:219]
	v_fma_f64 v[222:223], -v[218:219], v[220:221], 1.0
	v_fma_f64 v[220:221], v[220:221], v[222:223], v[220:221]
	v_fma_f64 v[222:223], -v[218:219], v[220:221], 1.0
	v_fma_f64 v[220:221], v[220:221], v[222:223], v[220:221]
	v_div_scale_f64 v[222:223], vcc_lo, 1.0, v[212:213], 1.0
	v_mul_f64 v[224:225], v[222:223], v[220:221]
	v_fma_f64 v[218:219], -v[218:219], v[224:225], v[222:223]
	v_div_fmas_f64 v[218:219], v[218:219], v[220:221], v[224:225]
	v_div_fixup_f64 v[228:229], v[218:219], v[212:213], 1.0
	v_mul_f64 v[226:227], v[210:211], v[228:229]
	v_xor_b32_e32 v229, 0x80000000, v229
.LBB110_680:
	s_andn2_saveexec_b32 s1, s1
	s_cbranch_execz .LBB110_682
; %bb.681:
	v_div_scale_f64 v[210:211], null, v[226:227], v[226:227], v[228:229]
	v_div_scale_f64 v[220:221], vcc_lo, v[228:229], v[226:227], v[228:229]
	v_rcp_f64_e32 v[212:213], v[210:211]
	v_fma_f64 v[218:219], -v[210:211], v[212:213], 1.0
	v_fma_f64 v[212:213], v[212:213], v[218:219], v[212:213]
	v_fma_f64 v[218:219], -v[210:211], v[212:213], 1.0
	v_fma_f64 v[212:213], v[212:213], v[218:219], v[212:213]
	v_mul_f64 v[218:219], v[220:221], v[212:213]
	v_fma_f64 v[210:211], -v[210:211], v[218:219], v[220:221]
	v_div_fmas_f64 v[210:211], v[210:211], v[212:213], v[218:219]
	v_div_fixup_f64 v[210:211], v[210:211], v[226:227], v[228:229]
	v_fma_f64 v[212:213], v[228:229], v[210:211], v[226:227]
	v_div_scale_f64 v[218:219], null, v[212:213], v[212:213], 1.0
	v_rcp_f64_e32 v[220:221], v[218:219]
	v_fma_f64 v[222:223], -v[218:219], v[220:221], 1.0
	v_fma_f64 v[220:221], v[220:221], v[222:223], v[220:221]
	v_fma_f64 v[222:223], -v[218:219], v[220:221], 1.0
	v_fma_f64 v[220:221], v[220:221], v[222:223], v[220:221]
	v_div_scale_f64 v[222:223], vcc_lo, 1.0, v[212:213], 1.0
	v_mul_f64 v[224:225], v[222:223], v[220:221]
	v_fma_f64 v[218:219], -v[218:219], v[224:225], v[222:223]
	v_div_fmas_f64 v[218:219], v[218:219], v[220:221], v[224:225]
	v_div_fixup_f64 v[226:227], v[218:219], v[212:213], 1.0
	v_mul_f64 v[228:229], v[210:211], -v[226:227]
.LBB110_682:
	s_or_b32 exec_lo, exec_lo, s1
.LBB110_683:
	s_or_b32 exec_lo, exec_lo, s0
	s_mov_b32 s0, exec_lo
	v_cmpx_ne_u32_e64 v240, v234
	s_xor_b32 s0, exec_lo, s0
	s_cbranch_execz .LBB110_689
; %bb.684:
	s_mov_b32 s1, exec_lo
	v_cmpx_eq_u32_e32 32, v240
	s_cbranch_execz .LBB110_688
; %bb.685:
	v_cmp_ne_u32_e32 vcc_lo, 32, v234
	s_xor_b32 s7, s16, -1
	s_and_b32 s9, s7, vcc_lo
	s_and_saveexec_b32 s7, s9
	s_cbranch_execz .LBB110_687
; %bb.686:
	v_ashrrev_i32_e32 v235, 31, v234
	v_lshlrev_b64 v[210:211], 2, v[234:235]
	v_add_co_u32 v210, vcc_lo, v214, v210
	v_add_co_ci_u32_e64 v211, null, v215, v211, vcc_lo
	s_clause 0x1
	global_load_dword v0, v[210:211], off
	global_load_dword v212, v[214:215], off offset:128
	s_waitcnt vmcnt(1)
	global_store_dword v[214:215], v0, off offset:128
	s_waitcnt vmcnt(0)
	global_store_dword v[210:211], v212, off
.LBB110_687:
	s_or_b32 exec_lo, exec_lo, s7
	v_mov_b32_e32 v240, v234
	v_mov_b32_e32 v0, v234
.LBB110_688:
	s_or_b32 exec_lo, exec_lo, s1
.LBB110_689:
	s_andn2_saveexec_b32 s0, s0
	s_cbranch_execz .LBB110_691
; %bb.690:
	v_mov_b32_e32 v240, 32
	ds_write2_b64 v1, v[90:91], v[92:93] offset0:66 offset1:67
	ds_write2_b64 v1, v[86:87], v[88:89] offset0:68 offset1:69
	;; [unrolled: 1-line block ×23, first 2 shown]
.LBB110_691:
	s_or_b32 exec_lo, exec_lo, s0
	s_mov_b32 s0, exec_lo
	s_waitcnt lgkmcnt(0)
	s_waitcnt_vscnt null, 0x0
	s_barrier
	buffer_gl0_inv
	v_cmpx_lt_i32_e32 32, v240
	s_cbranch_execz .LBB110_693
; %bb.692:
	v_mul_f64 v[210:211], v[228:229], v[96:97]
	v_mul_f64 v[96:97], v[226:227], v[96:97]
	v_fma_f64 v[234:235], v[226:227], v[94:95], -v[210:211]
	v_fma_f64 v[96:97], v[228:229], v[94:95], v[96:97]
	ds_read2_b64 v[226:229], v1 offset0:66 offset1:67
	s_waitcnt lgkmcnt(0)
	v_mul_f64 v[94:95], v[228:229], v[96:97]
	v_mul_f64 v[210:211], v[226:227], v[96:97]
	v_fma_f64 v[94:95], v[226:227], v[234:235], -v[94:95]
	v_fma_f64 v[210:211], v[228:229], v[234:235], v[210:211]
	ds_read2_b64 v[226:229], v1 offset0:68 offset1:69
	v_add_f64 v[90:91], v[90:91], -v[94:95]
	v_add_f64 v[92:93], v[92:93], -v[210:211]
	s_waitcnt lgkmcnt(0)
	v_mul_f64 v[94:95], v[228:229], v[96:97]
	v_mul_f64 v[210:211], v[226:227], v[96:97]
	v_fma_f64 v[94:95], v[226:227], v[234:235], -v[94:95]
	v_fma_f64 v[210:211], v[228:229], v[234:235], v[210:211]
	ds_read2_b64 v[226:229], v1 offset0:70 offset1:71
	v_add_f64 v[86:87], v[86:87], -v[94:95]
	v_add_f64 v[88:89], v[88:89], -v[210:211]
	;; [unrolled: 8-line block ×22, first 2 shown]
	s_waitcnt lgkmcnt(0)
	v_mul_f64 v[94:95], v[228:229], v[96:97]
	v_mul_f64 v[210:211], v[226:227], v[96:97]
	v_fma_f64 v[94:95], v[226:227], v[234:235], -v[94:95]
	v_fma_f64 v[210:211], v[228:229], v[234:235], v[210:211]
	v_add_f64 v[230:231], v[230:231], -v[94:95]
	v_add_f64 v[232:233], v[232:233], -v[210:211]
	v_mov_b32_e32 v94, v234
	v_mov_b32_e32 v95, v235
.LBB110_693:
	s_or_b32 exec_lo, exec_lo, s0
	v_lshl_add_u32 v210, v240, 4, v1
	s_barrier
	buffer_gl0_inv
	v_mov_b32_e32 v234, 33
	ds_write2_b64 v210, v[90:91], v[92:93] offset1:1
	s_waitcnt lgkmcnt(0)
	s_barrier
	buffer_gl0_inv
	ds_read2_b64 v[226:229], v1 offset0:66 offset1:67
	s_cmp_lt_i32 s8, 35
	s_cbranch_scc1 .LBB110_696
; %bb.694:
	v_add3_u32 v235, v253, 0, 0x220
	v_mov_b32_e32 v234, 33
	s_mov_b32 s1, 34
	s_inst_prefetch 0x1
	.p2align	6
.LBB110_695:                            ; =>This Inner Loop Header: Depth=1
	s_waitcnt lgkmcnt(0)
	v_cmp_gt_f64_e32 vcc_lo, 0, v[228:229]
	v_cmp_gt_f64_e64 s0, 0, v[226:227]
	ds_read2_b64 v[241:244], v235 offset1:1
	v_xor_b32_e32 v211, 0x80000000, v227
	v_xor_b32_e32 v213, 0x80000000, v229
	v_mov_b32_e32 v210, v226
	v_mov_b32_e32 v212, v228
	v_add_nc_u32_e32 v235, 16, v235
	s_waitcnt lgkmcnt(0)
	v_xor_b32_e32 v219, 0x80000000, v244
	v_cndmask_b32_e64 v211, v227, v211, s0
	v_cndmask_b32_e32 v213, v229, v213, vcc_lo
	v_cmp_gt_f64_e32 vcc_lo, 0, v[243:244]
	v_cmp_gt_f64_e64 s0, 0, v[241:242]
	v_mov_b32_e32 v218, v243
	v_add_f64 v[210:211], v[210:211], v[212:213]
	v_xor_b32_e32 v213, 0x80000000, v242
	v_mov_b32_e32 v212, v241
	v_cndmask_b32_e32 v219, v244, v219, vcc_lo
	v_cndmask_b32_e64 v213, v242, v213, s0
	v_add_f64 v[212:213], v[212:213], v[218:219]
	v_cmp_lt_f64_e32 vcc_lo, v[210:211], v[212:213]
	v_cndmask_b32_e32 v227, v227, v242, vcc_lo
	v_cndmask_b32_e32 v226, v226, v241, vcc_lo
	;; [unrolled: 1-line block ×4, first 2 shown]
	v_cndmask_b32_e64 v234, v234, s1, vcc_lo
	s_add_i32 s1, s1, 1
	s_cmp_lg_u32 s8, s1
	s_cbranch_scc1 .LBB110_695
.LBB110_696:
	s_inst_prefetch 0x2
	s_waitcnt lgkmcnt(0)
	v_cmp_eq_f64_e32 vcc_lo, 0, v[226:227]
	v_cmp_eq_f64_e64 s0, 0, v[228:229]
	s_and_b32 s0, vcc_lo, s0
	s_and_saveexec_b32 s1, s0
	s_xor_b32 s0, exec_lo, s1
; %bb.697:
	v_cmp_ne_u32_e32 vcc_lo, 0, v239
	v_cndmask_b32_e32 v239, 34, v239, vcc_lo
; %bb.698:
	s_andn2_saveexec_b32 s0, s0
	s_cbranch_execz .LBB110_704
; %bb.699:
	v_cmp_ngt_f64_e64 s1, |v[226:227]|, |v[228:229]|
	s_and_saveexec_b32 s7, s1
	s_xor_b32 s1, exec_lo, s7
	s_cbranch_execz .LBB110_701
; %bb.700:
	v_div_scale_f64 v[210:211], null, v[228:229], v[228:229], v[226:227]
	v_div_scale_f64 v[220:221], vcc_lo, v[226:227], v[228:229], v[226:227]
	v_rcp_f64_e32 v[212:213], v[210:211]
	v_fma_f64 v[218:219], -v[210:211], v[212:213], 1.0
	v_fma_f64 v[212:213], v[212:213], v[218:219], v[212:213]
	v_fma_f64 v[218:219], -v[210:211], v[212:213], 1.0
	v_fma_f64 v[212:213], v[212:213], v[218:219], v[212:213]
	v_mul_f64 v[218:219], v[220:221], v[212:213]
	v_fma_f64 v[210:211], -v[210:211], v[218:219], v[220:221]
	v_div_fmas_f64 v[210:211], v[210:211], v[212:213], v[218:219]
	v_div_fixup_f64 v[210:211], v[210:211], v[228:229], v[226:227]
	v_fma_f64 v[212:213], v[226:227], v[210:211], v[228:229]
	v_div_scale_f64 v[218:219], null, v[212:213], v[212:213], 1.0
	v_rcp_f64_e32 v[220:221], v[218:219]
	v_fma_f64 v[222:223], -v[218:219], v[220:221], 1.0
	v_fma_f64 v[220:221], v[220:221], v[222:223], v[220:221]
	v_fma_f64 v[222:223], -v[218:219], v[220:221], 1.0
	v_fma_f64 v[220:221], v[220:221], v[222:223], v[220:221]
	v_div_scale_f64 v[222:223], vcc_lo, 1.0, v[212:213], 1.0
	v_mul_f64 v[224:225], v[222:223], v[220:221]
	v_fma_f64 v[218:219], -v[218:219], v[224:225], v[222:223]
	v_div_fmas_f64 v[218:219], v[218:219], v[220:221], v[224:225]
	v_div_fixup_f64 v[228:229], v[218:219], v[212:213], 1.0
	v_mul_f64 v[226:227], v[210:211], v[228:229]
	v_xor_b32_e32 v229, 0x80000000, v229
.LBB110_701:
	s_andn2_saveexec_b32 s1, s1
	s_cbranch_execz .LBB110_703
; %bb.702:
	v_div_scale_f64 v[210:211], null, v[226:227], v[226:227], v[228:229]
	v_div_scale_f64 v[220:221], vcc_lo, v[228:229], v[226:227], v[228:229]
	v_rcp_f64_e32 v[212:213], v[210:211]
	v_fma_f64 v[218:219], -v[210:211], v[212:213], 1.0
	v_fma_f64 v[212:213], v[212:213], v[218:219], v[212:213]
	v_fma_f64 v[218:219], -v[210:211], v[212:213], 1.0
	v_fma_f64 v[212:213], v[212:213], v[218:219], v[212:213]
	v_mul_f64 v[218:219], v[220:221], v[212:213]
	v_fma_f64 v[210:211], -v[210:211], v[218:219], v[220:221]
	v_div_fmas_f64 v[210:211], v[210:211], v[212:213], v[218:219]
	v_div_fixup_f64 v[210:211], v[210:211], v[226:227], v[228:229]
	v_fma_f64 v[212:213], v[228:229], v[210:211], v[226:227]
	v_div_scale_f64 v[218:219], null, v[212:213], v[212:213], 1.0
	v_rcp_f64_e32 v[220:221], v[218:219]
	v_fma_f64 v[222:223], -v[218:219], v[220:221], 1.0
	v_fma_f64 v[220:221], v[220:221], v[222:223], v[220:221]
	v_fma_f64 v[222:223], -v[218:219], v[220:221], 1.0
	v_fma_f64 v[220:221], v[220:221], v[222:223], v[220:221]
	v_div_scale_f64 v[222:223], vcc_lo, 1.0, v[212:213], 1.0
	v_mul_f64 v[224:225], v[222:223], v[220:221]
	v_fma_f64 v[218:219], -v[218:219], v[224:225], v[222:223]
	v_div_fmas_f64 v[218:219], v[218:219], v[220:221], v[224:225]
	v_div_fixup_f64 v[226:227], v[218:219], v[212:213], 1.0
	v_mul_f64 v[228:229], v[210:211], -v[226:227]
.LBB110_703:
	s_or_b32 exec_lo, exec_lo, s1
.LBB110_704:
	s_or_b32 exec_lo, exec_lo, s0
	s_mov_b32 s0, exec_lo
	v_cmpx_ne_u32_e64 v240, v234
	s_xor_b32 s0, exec_lo, s0
	s_cbranch_execz .LBB110_710
; %bb.705:
	s_mov_b32 s1, exec_lo
	v_cmpx_eq_u32_e32 33, v240
	s_cbranch_execz .LBB110_709
; %bb.706:
	v_cmp_ne_u32_e32 vcc_lo, 33, v234
	s_xor_b32 s7, s16, -1
	s_and_b32 s9, s7, vcc_lo
	s_and_saveexec_b32 s7, s9
	s_cbranch_execz .LBB110_708
; %bb.707:
	v_ashrrev_i32_e32 v235, 31, v234
	v_lshlrev_b64 v[210:211], 2, v[234:235]
	v_add_co_u32 v210, vcc_lo, v214, v210
	v_add_co_ci_u32_e64 v211, null, v215, v211, vcc_lo
	s_clause 0x1
	global_load_dword v0, v[210:211], off
	global_load_dword v212, v[214:215], off offset:132
	s_waitcnt vmcnt(1)
	global_store_dword v[214:215], v0, off offset:132
	s_waitcnt vmcnt(0)
	global_store_dword v[210:211], v212, off
.LBB110_708:
	s_or_b32 exec_lo, exec_lo, s7
	v_mov_b32_e32 v240, v234
	v_mov_b32_e32 v0, v234
.LBB110_709:
	s_or_b32 exec_lo, exec_lo, s1
.LBB110_710:
	s_andn2_saveexec_b32 s0, s0
	s_cbranch_execz .LBB110_712
; %bb.711:
	v_mov_b32_e32 v240, 33
	ds_write2_b64 v1, v[86:87], v[88:89] offset0:68 offset1:69
	ds_write2_b64 v1, v[82:83], v[84:85] offset0:70 offset1:71
	;; [unrolled: 1-line block ×22, first 2 shown]
.LBB110_712:
	s_or_b32 exec_lo, exec_lo, s0
	s_mov_b32 s0, exec_lo
	s_waitcnt lgkmcnt(0)
	s_waitcnt_vscnt null, 0x0
	s_barrier
	buffer_gl0_inv
	v_cmpx_lt_i32_e32 33, v240
	s_cbranch_execz .LBB110_714
; %bb.713:
	v_mul_f64 v[210:211], v[228:229], v[92:93]
	v_mul_f64 v[92:93], v[226:227], v[92:93]
	v_fma_f64 v[234:235], v[226:227], v[90:91], -v[210:211]
	v_fma_f64 v[92:93], v[228:229], v[90:91], v[92:93]
	ds_read2_b64 v[226:229], v1 offset0:68 offset1:69
	s_waitcnt lgkmcnt(0)
	v_mul_f64 v[90:91], v[228:229], v[92:93]
	v_mul_f64 v[210:211], v[226:227], v[92:93]
	v_fma_f64 v[90:91], v[226:227], v[234:235], -v[90:91]
	v_fma_f64 v[210:211], v[228:229], v[234:235], v[210:211]
	ds_read2_b64 v[226:229], v1 offset0:70 offset1:71
	v_add_f64 v[86:87], v[86:87], -v[90:91]
	v_add_f64 v[88:89], v[88:89], -v[210:211]
	s_waitcnt lgkmcnt(0)
	v_mul_f64 v[90:91], v[228:229], v[92:93]
	v_mul_f64 v[210:211], v[226:227], v[92:93]
	v_fma_f64 v[90:91], v[226:227], v[234:235], -v[90:91]
	v_fma_f64 v[210:211], v[228:229], v[234:235], v[210:211]
	ds_read2_b64 v[226:229], v1 offset0:72 offset1:73
	v_add_f64 v[82:83], v[82:83], -v[90:91]
	v_add_f64 v[84:85], v[84:85], -v[210:211]
	s_waitcnt lgkmcnt(0)
	v_mul_f64 v[90:91], v[228:229], v[92:93]
	v_mul_f64 v[210:211], v[226:227], v[92:93]
	v_fma_f64 v[90:91], v[226:227], v[234:235], -v[90:91]
	v_fma_f64 v[210:211], v[228:229], v[234:235], v[210:211]
	ds_read2_b64 v[226:229], v1 offset0:74 offset1:75
	v_add_f64 v[78:79], v[78:79], -v[90:91]
	v_add_f64 v[80:81], v[80:81], -v[210:211]
	s_waitcnt lgkmcnt(0)
	v_mul_f64 v[90:91], v[228:229], v[92:93]
	v_mul_f64 v[210:211], v[226:227], v[92:93]
	v_fma_f64 v[90:91], v[226:227], v[234:235], -v[90:91]
	v_fma_f64 v[210:211], v[228:229], v[234:235], v[210:211]
	ds_read2_b64 v[226:229], v1 offset0:76 offset1:77
	v_add_f64 v[74:75], v[74:75], -v[90:91]
	v_add_f64 v[76:77], v[76:77], -v[210:211]
	s_waitcnt lgkmcnt(0)
	v_mul_f64 v[90:91], v[228:229], v[92:93]
	v_mul_f64 v[210:211], v[226:227], v[92:93]
	v_fma_f64 v[90:91], v[226:227], v[234:235], -v[90:91]
	v_fma_f64 v[210:211], v[228:229], v[234:235], v[210:211]
	ds_read2_b64 v[226:229], v1 offset0:78 offset1:79
	v_add_f64 v[70:71], v[70:71], -v[90:91]
	v_add_f64 v[72:73], v[72:73], -v[210:211]
	s_waitcnt lgkmcnt(0)
	v_mul_f64 v[90:91], v[228:229], v[92:93]
	v_mul_f64 v[210:211], v[226:227], v[92:93]
	v_fma_f64 v[90:91], v[226:227], v[234:235], -v[90:91]
	v_fma_f64 v[210:211], v[228:229], v[234:235], v[210:211]
	ds_read2_b64 v[226:229], v1 offset0:80 offset1:81
	v_add_f64 v[66:67], v[66:67], -v[90:91]
	v_add_f64 v[68:69], v[68:69], -v[210:211]
	s_waitcnt lgkmcnt(0)
	v_mul_f64 v[90:91], v[228:229], v[92:93]
	v_mul_f64 v[210:211], v[226:227], v[92:93]
	v_fma_f64 v[90:91], v[226:227], v[234:235], -v[90:91]
	v_fma_f64 v[210:211], v[228:229], v[234:235], v[210:211]
	ds_read2_b64 v[226:229], v1 offset0:82 offset1:83
	v_add_f64 v[62:63], v[62:63], -v[90:91]
	v_add_f64 v[64:65], v[64:65], -v[210:211]
	s_waitcnt lgkmcnt(0)
	v_mul_f64 v[90:91], v[228:229], v[92:93]
	v_mul_f64 v[210:211], v[226:227], v[92:93]
	v_fma_f64 v[90:91], v[226:227], v[234:235], -v[90:91]
	v_fma_f64 v[210:211], v[228:229], v[234:235], v[210:211]
	ds_read2_b64 v[226:229], v1 offset0:84 offset1:85
	v_add_f64 v[58:59], v[58:59], -v[90:91]
	v_add_f64 v[60:61], v[60:61], -v[210:211]
	s_waitcnt lgkmcnt(0)
	v_mul_f64 v[90:91], v[228:229], v[92:93]
	v_mul_f64 v[210:211], v[226:227], v[92:93]
	v_fma_f64 v[90:91], v[226:227], v[234:235], -v[90:91]
	v_fma_f64 v[210:211], v[228:229], v[234:235], v[210:211]
	ds_read2_b64 v[226:229], v1 offset0:86 offset1:87
	v_add_f64 v[54:55], v[54:55], -v[90:91]
	v_add_f64 v[56:57], v[56:57], -v[210:211]
	s_waitcnt lgkmcnt(0)
	v_mul_f64 v[90:91], v[228:229], v[92:93]
	v_mul_f64 v[210:211], v[226:227], v[92:93]
	v_fma_f64 v[90:91], v[226:227], v[234:235], -v[90:91]
	v_fma_f64 v[210:211], v[228:229], v[234:235], v[210:211]
	ds_read2_b64 v[226:229], v1 offset0:88 offset1:89
	v_add_f64 v[50:51], v[50:51], -v[90:91]
	v_add_f64 v[52:53], v[52:53], -v[210:211]
	s_waitcnt lgkmcnt(0)
	v_mul_f64 v[90:91], v[228:229], v[92:93]
	v_mul_f64 v[210:211], v[226:227], v[92:93]
	v_fma_f64 v[90:91], v[226:227], v[234:235], -v[90:91]
	v_fma_f64 v[210:211], v[228:229], v[234:235], v[210:211]
	ds_read2_b64 v[226:229], v1 offset0:90 offset1:91
	v_add_f64 v[46:47], v[46:47], -v[90:91]
	v_add_f64 v[48:49], v[48:49], -v[210:211]
	s_waitcnt lgkmcnt(0)
	v_mul_f64 v[90:91], v[228:229], v[92:93]
	v_mul_f64 v[210:211], v[226:227], v[92:93]
	v_fma_f64 v[90:91], v[226:227], v[234:235], -v[90:91]
	v_fma_f64 v[210:211], v[228:229], v[234:235], v[210:211]
	ds_read2_b64 v[226:229], v1 offset0:92 offset1:93
	v_add_f64 v[42:43], v[42:43], -v[90:91]
	v_add_f64 v[44:45], v[44:45], -v[210:211]
	s_waitcnt lgkmcnt(0)
	v_mul_f64 v[90:91], v[228:229], v[92:93]
	v_mul_f64 v[210:211], v[226:227], v[92:93]
	v_fma_f64 v[90:91], v[226:227], v[234:235], -v[90:91]
	v_fma_f64 v[210:211], v[228:229], v[234:235], v[210:211]
	ds_read2_b64 v[226:229], v1 offset0:94 offset1:95
	v_add_f64 v[38:39], v[38:39], -v[90:91]
	v_add_f64 v[40:41], v[40:41], -v[210:211]
	s_waitcnt lgkmcnt(0)
	v_mul_f64 v[90:91], v[228:229], v[92:93]
	v_mul_f64 v[210:211], v[226:227], v[92:93]
	v_fma_f64 v[90:91], v[226:227], v[234:235], -v[90:91]
	v_fma_f64 v[210:211], v[228:229], v[234:235], v[210:211]
	ds_read2_b64 v[226:229], v1 offset0:96 offset1:97
	v_add_f64 v[34:35], v[34:35], -v[90:91]
	v_add_f64 v[36:37], v[36:37], -v[210:211]
	s_waitcnt lgkmcnt(0)
	v_mul_f64 v[90:91], v[228:229], v[92:93]
	v_mul_f64 v[210:211], v[226:227], v[92:93]
	v_fma_f64 v[90:91], v[226:227], v[234:235], -v[90:91]
	v_fma_f64 v[210:211], v[228:229], v[234:235], v[210:211]
	ds_read2_b64 v[226:229], v1 offset0:98 offset1:99
	v_add_f64 v[30:31], v[30:31], -v[90:91]
	v_add_f64 v[32:33], v[32:33], -v[210:211]
	s_waitcnt lgkmcnt(0)
	v_mul_f64 v[90:91], v[228:229], v[92:93]
	v_mul_f64 v[210:211], v[226:227], v[92:93]
	v_fma_f64 v[90:91], v[226:227], v[234:235], -v[90:91]
	v_fma_f64 v[210:211], v[228:229], v[234:235], v[210:211]
	ds_read2_b64 v[226:229], v1 offset0:100 offset1:101
	v_add_f64 v[26:27], v[26:27], -v[90:91]
	v_add_f64 v[28:29], v[28:29], -v[210:211]
	s_waitcnt lgkmcnt(0)
	v_mul_f64 v[90:91], v[228:229], v[92:93]
	v_mul_f64 v[210:211], v[226:227], v[92:93]
	v_fma_f64 v[90:91], v[226:227], v[234:235], -v[90:91]
	v_fma_f64 v[210:211], v[228:229], v[234:235], v[210:211]
	ds_read2_b64 v[226:229], v1 offset0:102 offset1:103
	v_add_f64 v[22:23], v[22:23], -v[90:91]
	v_add_f64 v[24:25], v[24:25], -v[210:211]
	s_waitcnt lgkmcnt(0)
	v_mul_f64 v[90:91], v[228:229], v[92:93]
	v_mul_f64 v[210:211], v[226:227], v[92:93]
	v_fma_f64 v[90:91], v[226:227], v[234:235], -v[90:91]
	v_fma_f64 v[210:211], v[228:229], v[234:235], v[210:211]
	ds_read2_b64 v[226:229], v1 offset0:104 offset1:105
	v_add_f64 v[18:19], v[18:19], -v[90:91]
	v_add_f64 v[20:21], v[20:21], -v[210:211]
	s_waitcnt lgkmcnt(0)
	v_mul_f64 v[90:91], v[228:229], v[92:93]
	v_mul_f64 v[210:211], v[226:227], v[92:93]
	v_fma_f64 v[90:91], v[226:227], v[234:235], -v[90:91]
	v_fma_f64 v[210:211], v[228:229], v[234:235], v[210:211]
	ds_read2_b64 v[226:229], v1 offset0:106 offset1:107
	v_add_f64 v[14:15], v[14:15], -v[90:91]
	v_add_f64 v[16:17], v[16:17], -v[210:211]
	s_waitcnt lgkmcnt(0)
	v_mul_f64 v[90:91], v[228:229], v[92:93]
	v_mul_f64 v[210:211], v[226:227], v[92:93]
	v_fma_f64 v[90:91], v[226:227], v[234:235], -v[90:91]
	v_fma_f64 v[210:211], v[228:229], v[234:235], v[210:211]
	ds_read2_b64 v[226:229], v1 offset0:108 offset1:109
	v_add_f64 v[10:11], v[10:11], -v[90:91]
	v_add_f64 v[12:13], v[12:13], -v[210:211]
	s_waitcnt lgkmcnt(0)
	v_mul_f64 v[90:91], v[228:229], v[92:93]
	v_mul_f64 v[210:211], v[226:227], v[92:93]
	v_fma_f64 v[90:91], v[226:227], v[234:235], -v[90:91]
	v_fma_f64 v[210:211], v[228:229], v[234:235], v[210:211]
	ds_read2_b64 v[226:229], v1 offset0:110 offset1:111
	v_add_f64 v[249:250], v[249:250], -v[90:91]
	v_add_f64 v[251:252], v[251:252], -v[210:211]
	s_waitcnt lgkmcnt(0)
	v_mul_f64 v[90:91], v[228:229], v[92:93]
	v_mul_f64 v[210:211], v[226:227], v[92:93]
	v_fma_f64 v[90:91], v[226:227], v[234:235], -v[90:91]
	v_fma_f64 v[210:211], v[228:229], v[234:235], v[210:211]
	v_add_f64 v[230:231], v[230:231], -v[90:91]
	v_add_f64 v[232:233], v[232:233], -v[210:211]
	v_mov_b32_e32 v90, v234
	v_mov_b32_e32 v91, v235
.LBB110_714:
	s_or_b32 exec_lo, exec_lo, s0
	v_lshl_add_u32 v210, v240, 4, v1
	s_barrier
	buffer_gl0_inv
	v_mov_b32_e32 v234, 34
	ds_write2_b64 v210, v[86:87], v[88:89] offset1:1
	s_waitcnt lgkmcnt(0)
	s_barrier
	buffer_gl0_inv
	ds_read2_b64 v[226:229], v1 offset0:68 offset1:69
	s_cmp_lt_i32 s8, 36
	s_cbranch_scc1 .LBB110_717
; %bb.715:
	v_add3_u32 v235, v253, 0, 0x230
	v_mov_b32_e32 v234, 34
	s_mov_b32 s1, 35
	s_inst_prefetch 0x1
	.p2align	6
.LBB110_716:                            ; =>This Inner Loop Header: Depth=1
	s_waitcnt lgkmcnt(0)
	v_cmp_gt_f64_e32 vcc_lo, 0, v[228:229]
	v_cmp_gt_f64_e64 s0, 0, v[226:227]
	ds_read2_b64 v[241:244], v235 offset1:1
	v_xor_b32_e32 v211, 0x80000000, v227
	v_xor_b32_e32 v213, 0x80000000, v229
	v_mov_b32_e32 v210, v226
	v_mov_b32_e32 v212, v228
	v_add_nc_u32_e32 v235, 16, v235
	s_waitcnt lgkmcnt(0)
	v_xor_b32_e32 v219, 0x80000000, v244
	v_cndmask_b32_e64 v211, v227, v211, s0
	v_cndmask_b32_e32 v213, v229, v213, vcc_lo
	v_cmp_gt_f64_e32 vcc_lo, 0, v[243:244]
	v_cmp_gt_f64_e64 s0, 0, v[241:242]
	v_mov_b32_e32 v218, v243
	v_add_f64 v[210:211], v[210:211], v[212:213]
	v_xor_b32_e32 v213, 0x80000000, v242
	v_mov_b32_e32 v212, v241
	v_cndmask_b32_e32 v219, v244, v219, vcc_lo
	v_cndmask_b32_e64 v213, v242, v213, s0
	v_add_f64 v[212:213], v[212:213], v[218:219]
	v_cmp_lt_f64_e32 vcc_lo, v[210:211], v[212:213]
	v_cndmask_b32_e32 v227, v227, v242, vcc_lo
	v_cndmask_b32_e32 v226, v226, v241, vcc_lo
	;; [unrolled: 1-line block ×4, first 2 shown]
	v_cndmask_b32_e64 v234, v234, s1, vcc_lo
	s_add_i32 s1, s1, 1
	s_cmp_lg_u32 s8, s1
	s_cbranch_scc1 .LBB110_716
.LBB110_717:
	s_inst_prefetch 0x2
	s_waitcnt lgkmcnt(0)
	v_cmp_eq_f64_e32 vcc_lo, 0, v[226:227]
	v_cmp_eq_f64_e64 s0, 0, v[228:229]
	s_and_b32 s0, vcc_lo, s0
	s_and_saveexec_b32 s1, s0
	s_xor_b32 s0, exec_lo, s1
; %bb.718:
	v_cmp_ne_u32_e32 vcc_lo, 0, v239
	v_cndmask_b32_e32 v239, 35, v239, vcc_lo
; %bb.719:
	s_andn2_saveexec_b32 s0, s0
	s_cbranch_execz .LBB110_725
; %bb.720:
	v_cmp_ngt_f64_e64 s1, |v[226:227]|, |v[228:229]|
	s_and_saveexec_b32 s7, s1
	s_xor_b32 s1, exec_lo, s7
	s_cbranch_execz .LBB110_722
; %bb.721:
	v_div_scale_f64 v[210:211], null, v[228:229], v[228:229], v[226:227]
	v_div_scale_f64 v[220:221], vcc_lo, v[226:227], v[228:229], v[226:227]
	v_rcp_f64_e32 v[212:213], v[210:211]
	v_fma_f64 v[218:219], -v[210:211], v[212:213], 1.0
	v_fma_f64 v[212:213], v[212:213], v[218:219], v[212:213]
	v_fma_f64 v[218:219], -v[210:211], v[212:213], 1.0
	v_fma_f64 v[212:213], v[212:213], v[218:219], v[212:213]
	v_mul_f64 v[218:219], v[220:221], v[212:213]
	v_fma_f64 v[210:211], -v[210:211], v[218:219], v[220:221]
	v_div_fmas_f64 v[210:211], v[210:211], v[212:213], v[218:219]
	v_div_fixup_f64 v[210:211], v[210:211], v[228:229], v[226:227]
	v_fma_f64 v[212:213], v[226:227], v[210:211], v[228:229]
	v_div_scale_f64 v[218:219], null, v[212:213], v[212:213], 1.0
	v_rcp_f64_e32 v[220:221], v[218:219]
	v_fma_f64 v[222:223], -v[218:219], v[220:221], 1.0
	v_fma_f64 v[220:221], v[220:221], v[222:223], v[220:221]
	v_fma_f64 v[222:223], -v[218:219], v[220:221], 1.0
	v_fma_f64 v[220:221], v[220:221], v[222:223], v[220:221]
	v_div_scale_f64 v[222:223], vcc_lo, 1.0, v[212:213], 1.0
	v_mul_f64 v[224:225], v[222:223], v[220:221]
	v_fma_f64 v[218:219], -v[218:219], v[224:225], v[222:223]
	v_div_fmas_f64 v[218:219], v[218:219], v[220:221], v[224:225]
	v_div_fixup_f64 v[228:229], v[218:219], v[212:213], 1.0
	v_mul_f64 v[226:227], v[210:211], v[228:229]
	v_xor_b32_e32 v229, 0x80000000, v229
.LBB110_722:
	s_andn2_saveexec_b32 s1, s1
	s_cbranch_execz .LBB110_724
; %bb.723:
	v_div_scale_f64 v[210:211], null, v[226:227], v[226:227], v[228:229]
	v_div_scale_f64 v[220:221], vcc_lo, v[228:229], v[226:227], v[228:229]
	v_rcp_f64_e32 v[212:213], v[210:211]
	v_fma_f64 v[218:219], -v[210:211], v[212:213], 1.0
	v_fma_f64 v[212:213], v[212:213], v[218:219], v[212:213]
	v_fma_f64 v[218:219], -v[210:211], v[212:213], 1.0
	v_fma_f64 v[212:213], v[212:213], v[218:219], v[212:213]
	v_mul_f64 v[218:219], v[220:221], v[212:213]
	v_fma_f64 v[210:211], -v[210:211], v[218:219], v[220:221]
	v_div_fmas_f64 v[210:211], v[210:211], v[212:213], v[218:219]
	v_div_fixup_f64 v[210:211], v[210:211], v[226:227], v[228:229]
	v_fma_f64 v[212:213], v[228:229], v[210:211], v[226:227]
	v_div_scale_f64 v[218:219], null, v[212:213], v[212:213], 1.0
	v_rcp_f64_e32 v[220:221], v[218:219]
	v_fma_f64 v[222:223], -v[218:219], v[220:221], 1.0
	v_fma_f64 v[220:221], v[220:221], v[222:223], v[220:221]
	v_fma_f64 v[222:223], -v[218:219], v[220:221], 1.0
	v_fma_f64 v[220:221], v[220:221], v[222:223], v[220:221]
	v_div_scale_f64 v[222:223], vcc_lo, 1.0, v[212:213], 1.0
	v_mul_f64 v[224:225], v[222:223], v[220:221]
	v_fma_f64 v[218:219], -v[218:219], v[224:225], v[222:223]
	v_div_fmas_f64 v[218:219], v[218:219], v[220:221], v[224:225]
	v_div_fixup_f64 v[226:227], v[218:219], v[212:213], 1.0
	v_mul_f64 v[228:229], v[210:211], -v[226:227]
.LBB110_724:
	s_or_b32 exec_lo, exec_lo, s1
.LBB110_725:
	s_or_b32 exec_lo, exec_lo, s0
	s_mov_b32 s0, exec_lo
	v_cmpx_ne_u32_e64 v240, v234
	s_xor_b32 s0, exec_lo, s0
	s_cbranch_execz .LBB110_731
; %bb.726:
	s_mov_b32 s1, exec_lo
	v_cmpx_eq_u32_e32 34, v240
	s_cbranch_execz .LBB110_730
; %bb.727:
	v_cmp_ne_u32_e32 vcc_lo, 34, v234
	s_xor_b32 s7, s16, -1
	s_and_b32 s9, s7, vcc_lo
	s_and_saveexec_b32 s7, s9
	s_cbranch_execz .LBB110_729
; %bb.728:
	v_ashrrev_i32_e32 v235, 31, v234
	v_lshlrev_b64 v[210:211], 2, v[234:235]
	v_add_co_u32 v210, vcc_lo, v214, v210
	v_add_co_ci_u32_e64 v211, null, v215, v211, vcc_lo
	s_clause 0x1
	global_load_dword v0, v[210:211], off
	global_load_dword v212, v[214:215], off offset:136
	s_waitcnt vmcnt(1)
	global_store_dword v[214:215], v0, off offset:136
	s_waitcnt vmcnt(0)
	global_store_dword v[210:211], v212, off
.LBB110_729:
	s_or_b32 exec_lo, exec_lo, s7
	v_mov_b32_e32 v240, v234
	v_mov_b32_e32 v0, v234
.LBB110_730:
	s_or_b32 exec_lo, exec_lo, s1
.LBB110_731:
	s_andn2_saveexec_b32 s0, s0
	s_cbranch_execz .LBB110_733
; %bb.732:
	v_mov_b32_e32 v240, 34
	ds_write2_b64 v1, v[82:83], v[84:85] offset0:70 offset1:71
	ds_write2_b64 v1, v[78:79], v[80:81] offset0:72 offset1:73
	;; [unrolled: 1-line block ×21, first 2 shown]
.LBB110_733:
	s_or_b32 exec_lo, exec_lo, s0
	s_mov_b32 s0, exec_lo
	s_waitcnt lgkmcnt(0)
	s_waitcnt_vscnt null, 0x0
	s_barrier
	buffer_gl0_inv
	v_cmpx_lt_i32_e32 34, v240
	s_cbranch_execz .LBB110_735
; %bb.734:
	v_mul_f64 v[210:211], v[228:229], v[88:89]
	v_mul_f64 v[88:89], v[226:227], v[88:89]
	v_fma_f64 v[234:235], v[226:227], v[86:87], -v[210:211]
	v_fma_f64 v[88:89], v[228:229], v[86:87], v[88:89]
	ds_read2_b64 v[226:229], v1 offset0:70 offset1:71
	s_waitcnt lgkmcnt(0)
	v_mul_f64 v[86:87], v[228:229], v[88:89]
	v_mul_f64 v[210:211], v[226:227], v[88:89]
	v_fma_f64 v[86:87], v[226:227], v[234:235], -v[86:87]
	v_fma_f64 v[210:211], v[228:229], v[234:235], v[210:211]
	ds_read2_b64 v[226:229], v1 offset0:72 offset1:73
	v_add_f64 v[82:83], v[82:83], -v[86:87]
	v_add_f64 v[84:85], v[84:85], -v[210:211]
	s_waitcnt lgkmcnt(0)
	v_mul_f64 v[86:87], v[228:229], v[88:89]
	v_mul_f64 v[210:211], v[226:227], v[88:89]
	v_fma_f64 v[86:87], v[226:227], v[234:235], -v[86:87]
	v_fma_f64 v[210:211], v[228:229], v[234:235], v[210:211]
	ds_read2_b64 v[226:229], v1 offset0:74 offset1:75
	v_add_f64 v[78:79], v[78:79], -v[86:87]
	v_add_f64 v[80:81], v[80:81], -v[210:211]
	;; [unrolled: 8-line block ×20, first 2 shown]
	s_waitcnt lgkmcnt(0)
	v_mul_f64 v[86:87], v[228:229], v[88:89]
	v_mul_f64 v[210:211], v[226:227], v[88:89]
	v_fma_f64 v[86:87], v[226:227], v[234:235], -v[86:87]
	v_fma_f64 v[210:211], v[228:229], v[234:235], v[210:211]
	v_add_f64 v[230:231], v[230:231], -v[86:87]
	v_add_f64 v[232:233], v[232:233], -v[210:211]
	v_mov_b32_e32 v86, v234
	v_mov_b32_e32 v87, v235
.LBB110_735:
	s_or_b32 exec_lo, exec_lo, s0
	v_lshl_add_u32 v210, v240, 4, v1
	s_barrier
	buffer_gl0_inv
	v_mov_b32_e32 v234, 35
	ds_write2_b64 v210, v[82:83], v[84:85] offset1:1
	s_waitcnt lgkmcnt(0)
	s_barrier
	buffer_gl0_inv
	ds_read2_b64 v[226:229], v1 offset0:70 offset1:71
	s_cmp_lt_i32 s8, 37
	s_cbranch_scc1 .LBB110_738
; %bb.736:
	v_add3_u32 v235, v253, 0, 0x240
	v_mov_b32_e32 v234, 35
	s_mov_b32 s1, 36
	s_inst_prefetch 0x1
	.p2align	6
.LBB110_737:                            ; =>This Inner Loop Header: Depth=1
	s_waitcnt lgkmcnt(0)
	v_cmp_gt_f64_e32 vcc_lo, 0, v[228:229]
	v_cmp_gt_f64_e64 s0, 0, v[226:227]
	ds_read2_b64 v[241:244], v235 offset1:1
	v_xor_b32_e32 v211, 0x80000000, v227
	v_xor_b32_e32 v213, 0x80000000, v229
	v_mov_b32_e32 v210, v226
	v_mov_b32_e32 v212, v228
	v_add_nc_u32_e32 v235, 16, v235
	s_waitcnt lgkmcnt(0)
	v_xor_b32_e32 v219, 0x80000000, v244
	v_cndmask_b32_e64 v211, v227, v211, s0
	v_cndmask_b32_e32 v213, v229, v213, vcc_lo
	v_cmp_gt_f64_e32 vcc_lo, 0, v[243:244]
	v_cmp_gt_f64_e64 s0, 0, v[241:242]
	v_mov_b32_e32 v218, v243
	v_add_f64 v[210:211], v[210:211], v[212:213]
	v_xor_b32_e32 v213, 0x80000000, v242
	v_mov_b32_e32 v212, v241
	v_cndmask_b32_e32 v219, v244, v219, vcc_lo
	v_cndmask_b32_e64 v213, v242, v213, s0
	v_add_f64 v[212:213], v[212:213], v[218:219]
	v_cmp_lt_f64_e32 vcc_lo, v[210:211], v[212:213]
	v_cndmask_b32_e32 v227, v227, v242, vcc_lo
	v_cndmask_b32_e32 v226, v226, v241, vcc_lo
	v_cndmask_b32_e32 v229, v229, v244, vcc_lo
	v_cndmask_b32_e32 v228, v228, v243, vcc_lo
	v_cndmask_b32_e64 v234, v234, s1, vcc_lo
	s_add_i32 s1, s1, 1
	s_cmp_lg_u32 s8, s1
	s_cbranch_scc1 .LBB110_737
.LBB110_738:
	s_inst_prefetch 0x2
	s_waitcnt lgkmcnt(0)
	v_cmp_eq_f64_e32 vcc_lo, 0, v[226:227]
	v_cmp_eq_f64_e64 s0, 0, v[228:229]
	s_and_b32 s0, vcc_lo, s0
	s_and_saveexec_b32 s1, s0
	s_xor_b32 s0, exec_lo, s1
; %bb.739:
	v_cmp_ne_u32_e32 vcc_lo, 0, v239
	v_cndmask_b32_e32 v239, 36, v239, vcc_lo
; %bb.740:
	s_andn2_saveexec_b32 s0, s0
	s_cbranch_execz .LBB110_746
; %bb.741:
	v_cmp_ngt_f64_e64 s1, |v[226:227]|, |v[228:229]|
	s_and_saveexec_b32 s7, s1
	s_xor_b32 s1, exec_lo, s7
	s_cbranch_execz .LBB110_743
; %bb.742:
	v_div_scale_f64 v[210:211], null, v[228:229], v[228:229], v[226:227]
	v_div_scale_f64 v[220:221], vcc_lo, v[226:227], v[228:229], v[226:227]
	v_rcp_f64_e32 v[212:213], v[210:211]
	v_fma_f64 v[218:219], -v[210:211], v[212:213], 1.0
	v_fma_f64 v[212:213], v[212:213], v[218:219], v[212:213]
	v_fma_f64 v[218:219], -v[210:211], v[212:213], 1.0
	v_fma_f64 v[212:213], v[212:213], v[218:219], v[212:213]
	v_mul_f64 v[218:219], v[220:221], v[212:213]
	v_fma_f64 v[210:211], -v[210:211], v[218:219], v[220:221]
	v_div_fmas_f64 v[210:211], v[210:211], v[212:213], v[218:219]
	v_div_fixup_f64 v[210:211], v[210:211], v[228:229], v[226:227]
	v_fma_f64 v[212:213], v[226:227], v[210:211], v[228:229]
	v_div_scale_f64 v[218:219], null, v[212:213], v[212:213], 1.0
	v_rcp_f64_e32 v[220:221], v[218:219]
	v_fma_f64 v[222:223], -v[218:219], v[220:221], 1.0
	v_fma_f64 v[220:221], v[220:221], v[222:223], v[220:221]
	v_fma_f64 v[222:223], -v[218:219], v[220:221], 1.0
	v_fma_f64 v[220:221], v[220:221], v[222:223], v[220:221]
	v_div_scale_f64 v[222:223], vcc_lo, 1.0, v[212:213], 1.0
	v_mul_f64 v[224:225], v[222:223], v[220:221]
	v_fma_f64 v[218:219], -v[218:219], v[224:225], v[222:223]
	v_div_fmas_f64 v[218:219], v[218:219], v[220:221], v[224:225]
	v_div_fixup_f64 v[228:229], v[218:219], v[212:213], 1.0
	v_mul_f64 v[226:227], v[210:211], v[228:229]
	v_xor_b32_e32 v229, 0x80000000, v229
.LBB110_743:
	s_andn2_saveexec_b32 s1, s1
	s_cbranch_execz .LBB110_745
; %bb.744:
	v_div_scale_f64 v[210:211], null, v[226:227], v[226:227], v[228:229]
	v_div_scale_f64 v[220:221], vcc_lo, v[228:229], v[226:227], v[228:229]
	v_rcp_f64_e32 v[212:213], v[210:211]
	v_fma_f64 v[218:219], -v[210:211], v[212:213], 1.0
	v_fma_f64 v[212:213], v[212:213], v[218:219], v[212:213]
	v_fma_f64 v[218:219], -v[210:211], v[212:213], 1.0
	v_fma_f64 v[212:213], v[212:213], v[218:219], v[212:213]
	v_mul_f64 v[218:219], v[220:221], v[212:213]
	v_fma_f64 v[210:211], -v[210:211], v[218:219], v[220:221]
	v_div_fmas_f64 v[210:211], v[210:211], v[212:213], v[218:219]
	v_div_fixup_f64 v[210:211], v[210:211], v[226:227], v[228:229]
	v_fma_f64 v[212:213], v[228:229], v[210:211], v[226:227]
	v_div_scale_f64 v[218:219], null, v[212:213], v[212:213], 1.0
	v_rcp_f64_e32 v[220:221], v[218:219]
	v_fma_f64 v[222:223], -v[218:219], v[220:221], 1.0
	v_fma_f64 v[220:221], v[220:221], v[222:223], v[220:221]
	v_fma_f64 v[222:223], -v[218:219], v[220:221], 1.0
	v_fma_f64 v[220:221], v[220:221], v[222:223], v[220:221]
	v_div_scale_f64 v[222:223], vcc_lo, 1.0, v[212:213], 1.0
	v_mul_f64 v[224:225], v[222:223], v[220:221]
	v_fma_f64 v[218:219], -v[218:219], v[224:225], v[222:223]
	v_div_fmas_f64 v[218:219], v[218:219], v[220:221], v[224:225]
	v_div_fixup_f64 v[226:227], v[218:219], v[212:213], 1.0
	v_mul_f64 v[228:229], v[210:211], -v[226:227]
.LBB110_745:
	s_or_b32 exec_lo, exec_lo, s1
.LBB110_746:
	s_or_b32 exec_lo, exec_lo, s0
	s_mov_b32 s0, exec_lo
	v_cmpx_ne_u32_e64 v240, v234
	s_xor_b32 s0, exec_lo, s0
	s_cbranch_execz .LBB110_752
; %bb.747:
	s_mov_b32 s1, exec_lo
	v_cmpx_eq_u32_e32 35, v240
	s_cbranch_execz .LBB110_751
; %bb.748:
	v_cmp_ne_u32_e32 vcc_lo, 35, v234
	s_xor_b32 s7, s16, -1
	s_and_b32 s9, s7, vcc_lo
	s_and_saveexec_b32 s7, s9
	s_cbranch_execz .LBB110_750
; %bb.749:
	v_ashrrev_i32_e32 v235, 31, v234
	v_lshlrev_b64 v[210:211], 2, v[234:235]
	v_add_co_u32 v210, vcc_lo, v214, v210
	v_add_co_ci_u32_e64 v211, null, v215, v211, vcc_lo
	s_clause 0x1
	global_load_dword v0, v[210:211], off
	global_load_dword v212, v[214:215], off offset:140
	s_waitcnt vmcnt(1)
	global_store_dword v[214:215], v0, off offset:140
	s_waitcnt vmcnt(0)
	global_store_dword v[210:211], v212, off
.LBB110_750:
	s_or_b32 exec_lo, exec_lo, s7
	v_mov_b32_e32 v240, v234
	v_mov_b32_e32 v0, v234
.LBB110_751:
	s_or_b32 exec_lo, exec_lo, s1
.LBB110_752:
	s_andn2_saveexec_b32 s0, s0
	s_cbranch_execz .LBB110_754
; %bb.753:
	v_mov_b32_e32 v240, 35
	ds_write2_b64 v1, v[78:79], v[80:81] offset0:72 offset1:73
	ds_write2_b64 v1, v[74:75], v[76:77] offset0:74 offset1:75
	;; [unrolled: 1-line block ×20, first 2 shown]
.LBB110_754:
	s_or_b32 exec_lo, exec_lo, s0
	s_mov_b32 s0, exec_lo
	s_waitcnt lgkmcnt(0)
	s_waitcnt_vscnt null, 0x0
	s_barrier
	buffer_gl0_inv
	v_cmpx_lt_i32_e32 35, v240
	s_cbranch_execz .LBB110_756
; %bb.755:
	v_mul_f64 v[210:211], v[228:229], v[84:85]
	v_mul_f64 v[84:85], v[226:227], v[84:85]
	v_fma_f64 v[234:235], v[226:227], v[82:83], -v[210:211]
	v_fma_f64 v[84:85], v[228:229], v[82:83], v[84:85]
	ds_read2_b64 v[226:229], v1 offset0:72 offset1:73
	s_waitcnt lgkmcnt(0)
	v_mul_f64 v[82:83], v[228:229], v[84:85]
	v_mul_f64 v[210:211], v[226:227], v[84:85]
	v_fma_f64 v[82:83], v[226:227], v[234:235], -v[82:83]
	v_fma_f64 v[210:211], v[228:229], v[234:235], v[210:211]
	ds_read2_b64 v[226:229], v1 offset0:74 offset1:75
	v_add_f64 v[78:79], v[78:79], -v[82:83]
	v_add_f64 v[80:81], v[80:81], -v[210:211]
	s_waitcnt lgkmcnt(0)
	v_mul_f64 v[82:83], v[228:229], v[84:85]
	v_mul_f64 v[210:211], v[226:227], v[84:85]
	v_fma_f64 v[82:83], v[226:227], v[234:235], -v[82:83]
	v_fma_f64 v[210:211], v[228:229], v[234:235], v[210:211]
	ds_read2_b64 v[226:229], v1 offset0:76 offset1:77
	v_add_f64 v[74:75], v[74:75], -v[82:83]
	v_add_f64 v[76:77], v[76:77], -v[210:211]
	;; [unrolled: 8-line block ×19, first 2 shown]
	s_waitcnt lgkmcnt(0)
	v_mul_f64 v[82:83], v[228:229], v[84:85]
	v_mul_f64 v[210:211], v[226:227], v[84:85]
	v_fma_f64 v[82:83], v[226:227], v[234:235], -v[82:83]
	v_fma_f64 v[210:211], v[228:229], v[234:235], v[210:211]
	v_add_f64 v[230:231], v[230:231], -v[82:83]
	v_add_f64 v[232:233], v[232:233], -v[210:211]
	v_mov_b32_e32 v82, v234
	v_mov_b32_e32 v83, v235
.LBB110_756:
	s_or_b32 exec_lo, exec_lo, s0
	v_lshl_add_u32 v210, v240, 4, v1
	s_barrier
	buffer_gl0_inv
	v_mov_b32_e32 v234, 36
	ds_write2_b64 v210, v[78:79], v[80:81] offset1:1
	s_waitcnt lgkmcnt(0)
	s_barrier
	buffer_gl0_inv
	ds_read2_b64 v[226:229], v1 offset0:72 offset1:73
	s_cmp_lt_i32 s8, 38
	s_cbranch_scc1 .LBB110_759
; %bb.757:
	v_add3_u32 v235, v253, 0, 0x250
	v_mov_b32_e32 v234, 36
	s_mov_b32 s1, 37
	s_inst_prefetch 0x1
	.p2align	6
.LBB110_758:                            ; =>This Inner Loop Header: Depth=1
	s_waitcnt lgkmcnt(0)
	v_cmp_gt_f64_e32 vcc_lo, 0, v[228:229]
	v_cmp_gt_f64_e64 s0, 0, v[226:227]
	ds_read2_b64 v[241:244], v235 offset1:1
	v_xor_b32_e32 v211, 0x80000000, v227
	v_xor_b32_e32 v213, 0x80000000, v229
	v_mov_b32_e32 v210, v226
	v_mov_b32_e32 v212, v228
	v_add_nc_u32_e32 v235, 16, v235
	s_waitcnt lgkmcnt(0)
	v_xor_b32_e32 v219, 0x80000000, v244
	v_cndmask_b32_e64 v211, v227, v211, s0
	v_cndmask_b32_e32 v213, v229, v213, vcc_lo
	v_cmp_gt_f64_e32 vcc_lo, 0, v[243:244]
	v_cmp_gt_f64_e64 s0, 0, v[241:242]
	v_mov_b32_e32 v218, v243
	v_add_f64 v[210:211], v[210:211], v[212:213]
	v_xor_b32_e32 v213, 0x80000000, v242
	v_mov_b32_e32 v212, v241
	v_cndmask_b32_e32 v219, v244, v219, vcc_lo
	v_cndmask_b32_e64 v213, v242, v213, s0
	v_add_f64 v[212:213], v[212:213], v[218:219]
	v_cmp_lt_f64_e32 vcc_lo, v[210:211], v[212:213]
	v_cndmask_b32_e32 v227, v227, v242, vcc_lo
	v_cndmask_b32_e32 v226, v226, v241, vcc_lo
	;; [unrolled: 1-line block ×4, first 2 shown]
	v_cndmask_b32_e64 v234, v234, s1, vcc_lo
	s_add_i32 s1, s1, 1
	s_cmp_lg_u32 s8, s1
	s_cbranch_scc1 .LBB110_758
.LBB110_759:
	s_inst_prefetch 0x2
	s_waitcnt lgkmcnt(0)
	v_cmp_eq_f64_e32 vcc_lo, 0, v[226:227]
	v_cmp_eq_f64_e64 s0, 0, v[228:229]
	s_and_b32 s0, vcc_lo, s0
	s_and_saveexec_b32 s1, s0
	s_xor_b32 s0, exec_lo, s1
; %bb.760:
	v_cmp_ne_u32_e32 vcc_lo, 0, v239
	v_cndmask_b32_e32 v239, 37, v239, vcc_lo
; %bb.761:
	s_andn2_saveexec_b32 s0, s0
	s_cbranch_execz .LBB110_767
; %bb.762:
	v_cmp_ngt_f64_e64 s1, |v[226:227]|, |v[228:229]|
	s_and_saveexec_b32 s7, s1
	s_xor_b32 s1, exec_lo, s7
	s_cbranch_execz .LBB110_764
; %bb.763:
	v_div_scale_f64 v[210:211], null, v[228:229], v[228:229], v[226:227]
	v_div_scale_f64 v[220:221], vcc_lo, v[226:227], v[228:229], v[226:227]
	v_rcp_f64_e32 v[212:213], v[210:211]
	v_fma_f64 v[218:219], -v[210:211], v[212:213], 1.0
	v_fma_f64 v[212:213], v[212:213], v[218:219], v[212:213]
	v_fma_f64 v[218:219], -v[210:211], v[212:213], 1.0
	v_fma_f64 v[212:213], v[212:213], v[218:219], v[212:213]
	v_mul_f64 v[218:219], v[220:221], v[212:213]
	v_fma_f64 v[210:211], -v[210:211], v[218:219], v[220:221]
	v_div_fmas_f64 v[210:211], v[210:211], v[212:213], v[218:219]
	v_div_fixup_f64 v[210:211], v[210:211], v[228:229], v[226:227]
	v_fma_f64 v[212:213], v[226:227], v[210:211], v[228:229]
	v_div_scale_f64 v[218:219], null, v[212:213], v[212:213], 1.0
	v_rcp_f64_e32 v[220:221], v[218:219]
	v_fma_f64 v[222:223], -v[218:219], v[220:221], 1.0
	v_fma_f64 v[220:221], v[220:221], v[222:223], v[220:221]
	v_fma_f64 v[222:223], -v[218:219], v[220:221], 1.0
	v_fma_f64 v[220:221], v[220:221], v[222:223], v[220:221]
	v_div_scale_f64 v[222:223], vcc_lo, 1.0, v[212:213], 1.0
	v_mul_f64 v[224:225], v[222:223], v[220:221]
	v_fma_f64 v[218:219], -v[218:219], v[224:225], v[222:223]
	v_div_fmas_f64 v[218:219], v[218:219], v[220:221], v[224:225]
	v_div_fixup_f64 v[228:229], v[218:219], v[212:213], 1.0
	v_mul_f64 v[226:227], v[210:211], v[228:229]
	v_xor_b32_e32 v229, 0x80000000, v229
.LBB110_764:
	s_andn2_saveexec_b32 s1, s1
	s_cbranch_execz .LBB110_766
; %bb.765:
	v_div_scale_f64 v[210:211], null, v[226:227], v[226:227], v[228:229]
	v_div_scale_f64 v[220:221], vcc_lo, v[228:229], v[226:227], v[228:229]
	v_rcp_f64_e32 v[212:213], v[210:211]
	v_fma_f64 v[218:219], -v[210:211], v[212:213], 1.0
	v_fma_f64 v[212:213], v[212:213], v[218:219], v[212:213]
	v_fma_f64 v[218:219], -v[210:211], v[212:213], 1.0
	v_fma_f64 v[212:213], v[212:213], v[218:219], v[212:213]
	v_mul_f64 v[218:219], v[220:221], v[212:213]
	v_fma_f64 v[210:211], -v[210:211], v[218:219], v[220:221]
	v_div_fmas_f64 v[210:211], v[210:211], v[212:213], v[218:219]
	v_div_fixup_f64 v[210:211], v[210:211], v[226:227], v[228:229]
	v_fma_f64 v[212:213], v[228:229], v[210:211], v[226:227]
	v_div_scale_f64 v[218:219], null, v[212:213], v[212:213], 1.0
	v_rcp_f64_e32 v[220:221], v[218:219]
	v_fma_f64 v[222:223], -v[218:219], v[220:221], 1.0
	v_fma_f64 v[220:221], v[220:221], v[222:223], v[220:221]
	v_fma_f64 v[222:223], -v[218:219], v[220:221], 1.0
	v_fma_f64 v[220:221], v[220:221], v[222:223], v[220:221]
	v_div_scale_f64 v[222:223], vcc_lo, 1.0, v[212:213], 1.0
	v_mul_f64 v[224:225], v[222:223], v[220:221]
	v_fma_f64 v[218:219], -v[218:219], v[224:225], v[222:223]
	v_div_fmas_f64 v[218:219], v[218:219], v[220:221], v[224:225]
	v_div_fixup_f64 v[226:227], v[218:219], v[212:213], 1.0
	v_mul_f64 v[228:229], v[210:211], -v[226:227]
.LBB110_766:
	s_or_b32 exec_lo, exec_lo, s1
.LBB110_767:
	s_or_b32 exec_lo, exec_lo, s0
	s_mov_b32 s0, exec_lo
	v_cmpx_ne_u32_e64 v240, v234
	s_xor_b32 s0, exec_lo, s0
	s_cbranch_execz .LBB110_773
; %bb.768:
	s_mov_b32 s1, exec_lo
	v_cmpx_eq_u32_e32 36, v240
	s_cbranch_execz .LBB110_772
; %bb.769:
	v_cmp_ne_u32_e32 vcc_lo, 36, v234
	s_xor_b32 s7, s16, -1
	s_and_b32 s9, s7, vcc_lo
	s_and_saveexec_b32 s7, s9
	s_cbranch_execz .LBB110_771
; %bb.770:
	v_ashrrev_i32_e32 v235, 31, v234
	v_lshlrev_b64 v[210:211], 2, v[234:235]
	v_add_co_u32 v210, vcc_lo, v214, v210
	v_add_co_ci_u32_e64 v211, null, v215, v211, vcc_lo
	s_clause 0x1
	global_load_dword v0, v[210:211], off
	global_load_dword v212, v[214:215], off offset:144
	s_waitcnt vmcnt(1)
	global_store_dword v[214:215], v0, off offset:144
	s_waitcnt vmcnt(0)
	global_store_dword v[210:211], v212, off
.LBB110_771:
	s_or_b32 exec_lo, exec_lo, s7
	v_mov_b32_e32 v240, v234
	v_mov_b32_e32 v0, v234
.LBB110_772:
	s_or_b32 exec_lo, exec_lo, s1
.LBB110_773:
	s_andn2_saveexec_b32 s0, s0
	s_cbranch_execz .LBB110_775
; %bb.774:
	v_mov_b32_e32 v240, 36
	ds_write2_b64 v1, v[74:75], v[76:77] offset0:74 offset1:75
	ds_write2_b64 v1, v[70:71], v[72:73] offset0:76 offset1:77
	;; [unrolled: 1-line block ×19, first 2 shown]
.LBB110_775:
	s_or_b32 exec_lo, exec_lo, s0
	s_mov_b32 s0, exec_lo
	s_waitcnt lgkmcnt(0)
	s_waitcnt_vscnt null, 0x0
	s_barrier
	buffer_gl0_inv
	v_cmpx_lt_i32_e32 36, v240
	s_cbranch_execz .LBB110_777
; %bb.776:
	v_mul_f64 v[210:211], v[228:229], v[80:81]
	v_mul_f64 v[80:81], v[226:227], v[80:81]
	v_fma_f64 v[234:235], v[226:227], v[78:79], -v[210:211]
	v_fma_f64 v[80:81], v[228:229], v[78:79], v[80:81]
	ds_read2_b64 v[226:229], v1 offset0:74 offset1:75
	s_waitcnt lgkmcnt(0)
	v_mul_f64 v[78:79], v[228:229], v[80:81]
	v_mul_f64 v[210:211], v[226:227], v[80:81]
	v_fma_f64 v[78:79], v[226:227], v[234:235], -v[78:79]
	v_fma_f64 v[210:211], v[228:229], v[234:235], v[210:211]
	ds_read2_b64 v[226:229], v1 offset0:76 offset1:77
	v_add_f64 v[74:75], v[74:75], -v[78:79]
	v_add_f64 v[76:77], v[76:77], -v[210:211]
	s_waitcnt lgkmcnt(0)
	v_mul_f64 v[78:79], v[228:229], v[80:81]
	v_mul_f64 v[210:211], v[226:227], v[80:81]
	v_fma_f64 v[78:79], v[226:227], v[234:235], -v[78:79]
	v_fma_f64 v[210:211], v[228:229], v[234:235], v[210:211]
	ds_read2_b64 v[226:229], v1 offset0:78 offset1:79
	v_add_f64 v[70:71], v[70:71], -v[78:79]
	v_add_f64 v[72:73], v[72:73], -v[210:211]
	;; [unrolled: 8-line block ×18, first 2 shown]
	s_waitcnt lgkmcnt(0)
	v_mul_f64 v[78:79], v[228:229], v[80:81]
	v_mul_f64 v[210:211], v[226:227], v[80:81]
	v_fma_f64 v[78:79], v[226:227], v[234:235], -v[78:79]
	v_fma_f64 v[210:211], v[228:229], v[234:235], v[210:211]
	v_add_f64 v[230:231], v[230:231], -v[78:79]
	v_add_f64 v[232:233], v[232:233], -v[210:211]
	v_mov_b32_e32 v78, v234
	v_mov_b32_e32 v79, v235
.LBB110_777:
	s_or_b32 exec_lo, exec_lo, s0
	v_lshl_add_u32 v210, v240, 4, v1
	s_barrier
	buffer_gl0_inv
	v_mov_b32_e32 v234, 37
	ds_write2_b64 v210, v[74:75], v[76:77] offset1:1
	s_waitcnt lgkmcnt(0)
	s_barrier
	buffer_gl0_inv
	ds_read2_b64 v[226:229], v1 offset0:74 offset1:75
	s_cmp_lt_i32 s8, 39
	s_cbranch_scc1 .LBB110_780
; %bb.778:
	v_add3_u32 v235, v253, 0, 0x260
	v_mov_b32_e32 v234, 37
	s_mov_b32 s1, 38
	s_inst_prefetch 0x1
	.p2align	6
.LBB110_779:                            ; =>This Inner Loop Header: Depth=1
	s_waitcnt lgkmcnt(0)
	v_cmp_gt_f64_e32 vcc_lo, 0, v[228:229]
	v_cmp_gt_f64_e64 s0, 0, v[226:227]
	ds_read2_b64 v[241:244], v235 offset1:1
	v_xor_b32_e32 v211, 0x80000000, v227
	v_xor_b32_e32 v213, 0x80000000, v229
	v_mov_b32_e32 v210, v226
	v_mov_b32_e32 v212, v228
	v_add_nc_u32_e32 v235, 16, v235
	s_waitcnt lgkmcnt(0)
	v_xor_b32_e32 v219, 0x80000000, v244
	v_cndmask_b32_e64 v211, v227, v211, s0
	v_cndmask_b32_e32 v213, v229, v213, vcc_lo
	v_cmp_gt_f64_e32 vcc_lo, 0, v[243:244]
	v_cmp_gt_f64_e64 s0, 0, v[241:242]
	v_mov_b32_e32 v218, v243
	v_add_f64 v[210:211], v[210:211], v[212:213]
	v_xor_b32_e32 v213, 0x80000000, v242
	v_mov_b32_e32 v212, v241
	v_cndmask_b32_e32 v219, v244, v219, vcc_lo
	v_cndmask_b32_e64 v213, v242, v213, s0
	v_add_f64 v[212:213], v[212:213], v[218:219]
	v_cmp_lt_f64_e32 vcc_lo, v[210:211], v[212:213]
	v_cndmask_b32_e32 v227, v227, v242, vcc_lo
	v_cndmask_b32_e32 v226, v226, v241, vcc_lo
	;; [unrolled: 1-line block ×4, first 2 shown]
	v_cndmask_b32_e64 v234, v234, s1, vcc_lo
	s_add_i32 s1, s1, 1
	s_cmp_lg_u32 s8, s1
	s_cbranch_scc1 .LBB110_779
.LBB110_780:
	s_inst_prefetch 0x2
	s_waitcnt lgkmcnt(0)
	v_cmp_eq_f64_e32 vcc_lo, 0, v[226:227]
	v_cmp_eq_f64_e64 s0, 0, v[228:229]
	s_and_b32 s0, vcc_lo, s0
	s_and_saveexec_b32 s1, s0
	s_xor_b32 s0, exec_lo, s1
; %bb.781:
	v_cmp_ne_u32_e32 vcc_lo, 0, v239
	v_cndmask_b32_e32 v239, 38, v239, vcc_lo
; %bb.782:
	s_andn2_saveexec_b32 s0, s0
	s_cbranch_execz .LBB110_788
; %bb.783:
	v_cmp_ngt_f64_e64 s1, |v[226:227]|, |v[228:229]|
	s_and_saveexec_b32 s7, s1
	s_xor_b32 s1, exec_lo, s7
	s_cbranch_execz .LBB110_785
; %bb.784:
	v_div_scale_f64 v[210:211], null, v[228:229], v[228:229], v[226:227]
	v_div_scale_f64 v[220:221], vcc_lo, v[226:227], v[228:229], v[226:227]
	v_rcp_f64_e32 v[212:213], v[210:211]
	v_fma_f64 v[218:219], -v[210:211], v[212:213], 1.0
	v_fma_f64 v[212:213], v[212:213], v[218:219], v[212:213]
	v_fma_f64 v[218:219], -v[210:211], v[212:213], 1.0
	v_fma_f64 v[212:213], v[212:213], v[218:219], v[212:213]
	v_mul_f64 v[218:219], v[220:221], v[212:213]
	v_fma_f64 v[210:211], -v[210:211], v[218:219], v[220:221]
	v_div_fmas_f64 v[210:211], v[210:211], v[212:213], v[218:219]
	v_div_fixup_f64 v[210:211], v[210:211], v[228:229], v[226:227]
	v_fma_f64 v[212:213], v[226:227], v[210:211], v[228:229]
	v_div_scale_f64 v[218:219], null, v[212:213], v[212:213], 1.0
	v_rcp_f64_e32 v[220:221], v[218:219]
	v_fma_f64 v[222:223], -v[218:219], v[220:221], 1.0
	v_fma_f64 v[220:221], v[220:221], v[222:223], v[220:221]
	v_fma_f64 v[222:223], -v[218:219], v[220:221], 1.0
	v_fma_f64 v[220:221], v[220:221], v[222:223], v[220:221]
	v_div_scale_f64 v[222:223], vcc_lo, 1.0, v[212:213], 1.0
	v_mul_f64 v[224:225], v[222:223], v[220:221]
	v_fma_f64 v[218:219], -v[218:219], v[224:225], v[222:223]
	v_div_fmas_f64 v[218:219], v[218:219], v[220:221], v[224:225]
	v_div_fixup_f64 v[228:229], v[218:219], v[212:213], 1.0
	v_mul_f64 v[226:227], v[210:211], v[228:229]
	v_xor_b32_e32 v229, 0x80000000, v229
.LBB110_785:
	s_andn2_saveexec_b32 s1, s1
	s_cbranch_execz .LBB110_787
; %bb.786:
	v_div_scale_f64 v[210:211], null, v[226:227], v[226:227], v[228:229]
	v_div_scale_f64 v[220:221], vcc_lo, v[228:229], v[226:227], v[228:229]
	v_rcp_f64_e32 v[212:213], v[210:211]
	v_fma_f64 v[218:219], -v[210:211], v[212:213], 1.0
	v_fma_f64 v[212:213], v[212:213], v[218:219], v[212:213]
	v_fma_f64 v[218:219], -v[210:211], v[212:213], 1.0
	v_fma_f64 v[212:213], v[212:213], v[218:219], v[212:213]
	v_mul_f64 v[218:219], v[220:221], v[212:213]
	v_fma_f64 v[210:211], -v[210:211], v[218:219], v[220:221]
	v_div_fmas_f64 v[210:211], v[210:211], v[212:213], v[218:219]
	v_div_fixup_f64 v[210:211], v[210:211], v[226:227], v[228:229]
	v_fma_f64 v[212:213], v[228:229], v[210:211], v[226:227]
	v_div_scale_f64 v[218:219], null, v[212:213], v[212:213], 1.0
	v_rcp_f64_e32 v[220:221], v[218:219]
	v_fma_f64 v[222:223], -v[218:219], v[220:221], 1.0
	v_fma_f64 v[220:221], v[220:221], v[222:223], v[220:221]
	v_fma_f64 v[222:223], -v[218:219], v[220:221], 1.0
	v_fma_f64 v[220:221], v[220:221], v[222:223], v[220:221]
	v_div_scale_f64 v[222:223], vcc_lo, 1.0, v[212:213], 1.0
	v_mul_f64 v[224:225], v[222:223], v[220:221]
	v_fma_f64 v[218:219], -v[218:219], v[224:225], v[222:223]
	v_div_fmas_f64 v[218:219], v[218:219], v[220:221], v[224:225]
	v_div_fixup_f64 v[226:227], v[218:219], v[212:213], 1.0
	v_mul_f64 v[228:229], v[210:211], -v[226:227]
.LBB110_787:
	s_or_b32 exec_lo, exec_lo, s1
.LBB110_788:
	s_or_b32 exec_lo, exec_lo, s0
	s_mov_b32 s0, exec_lo
	v_cmpx_ne_u32_e64 v240, v234
	s_xor_b32 s0, exec_lo, s0
	s_cbranch_execz .LBB110_794
; %bb.789:
	s_mov_b32 s1, exec_lo
	v_cmpx_eq_u32_e32 37, v240
	s_cbranch_execz .LBB110_793
; %bb.790:
	v_cmp_ne_u32_e32 vcc_lo, 37, v234
	s_xor_b32 s7, s16, -1
	s_and_b32 s9, s7, vcc_lo
	s_and_saveexec_b32 s7, s9
	s_cbranch_execz .LBB110_792
; %bb.791:
	v_ashrrev_i32_e32 v235, 31, v234
	v_lshlrev_b64 v[210:211], 2, v[234:235]
	v_add_co_u32 v210, vcc_lo, v214, v210
	v_add_co_ci_u32_e64 v211, null, v215, v211, vcc_lo
	s_clause 0x1
	global_load_dword v0, v[210:211], off
	global_load_dword v212, v[214:215], off offset:148
	s_waitcnt vmcnt(1)
	global_store_dword v[214:215], v0, off offset:148
	s_waitcnt vmcnt(0)
	global_store_dword v[210:211], v212, off
.LBB110_792:
	s_or_b32 exec_lo, exec_lo, s7
	v_mov_b32_e32 v240, v234
	v_mov_b32_e32 v0, v234
.LBB110_793:
	s_or_b32 exec_lo, exec_lo, s1
.LBB110_794:
	s_andn2_saveexec_b32 s0, s0
	s_cbranch_execz .LBB110_796
; %bb.795:
	v_mov_b32_e32 v240, 37
	ds_write2_b64 v1, v[70:71], v[72:73] offset0:76 offset1:77
	ds_write2_b64 v1, v[66:67], v[68:69] offset0:78 offset1:79
	;; [unrolled: 1-line block ×18, first 2 shown]
.LBB110_796:
	s_or_b32 exec_lo, exec_lo, s0
	s_mov_b32 s0, exec_lo
	s_waitcnt lgkmcnt(0)
	s_waitcnt_vscnt null, 0x0
	s_barrier
	buffer_gl0_inv
	v_cmpx_lt_i32_e32 37, v240
	s_cbranch_execz .LBB110_798
; %bb.797:
	v_mul_f64 v[210:211], v[228:229], v[76:77]
	v_mul_f64 v[76:77], v[226:227], v[76:77]
	v_fma_f64 v[234:235], v[226:227], v[74:75], -v[210:211]
	v_fma_f64 v[76:77], v[228:229], v[74:75], v[76:77]
	ds_read2_b64 v[226:229], v1 offset0:76 offset1:77
	s_waitcnt lgkmcnt(0)
	v_mul_f64 v[74:75], v[228:229], v[76:77]
	v_mul_f64 v[210:211], v[226:227], v[76:77]
	v_fma_f64 v[74:75], v[226:227], v[234:235], -v[74:75]
	v_fma_f64 v[210:211], v[228:229], v[234:235], v[210:211]
	ds_read2_b64 v[226:229], v1 offset0:78 offset1:79
	v_add_f64 v[70:71], v[70:71], -v[74:75]
	v_add_f64 v[72:73], v[72:73], -v[210:211]
	s_waitcnt lgkmcnt(0)
	v_mul_f64 v[74:75], v[228:229], v[76:77]
	v_mul_f64 v[210:211], v[226:227], v[76:77]
	v_fma_f64 v[74:75], v[226:227], v[234:235], -v[74:75]
	v_fma_f64 v[210:211], v[228:229], v[234:235], v[210:211]
	ds_read2_b64 v[226:229], v1 offset0:80 offset1:81
	v_add_f64 v[66:67], v[66:67], -v[74:75]
	v_add_f64 v[68:69], v[68:69], -v[210:211]
	;; [unrolled: 8-line block ×17, first 2 shown]
	s_waitcnt lgkmcnt(0)
	v_mul_f64 v[74:75], v[228:229], v[76:77]
	v_mul_f64 v[210:211], v[226:227], v[76:77]
	v_fma_f64 v[74:75], v[226:227], v[234:235], -v[74:75]
	v_fma_f64 v[210:211], v[228:229], v[234:235], v[210:211]
	v_add_f64 v[230:231], v[230:231], -v[74:75]
	v_add_f64 v[232:233], v[232:233], -v[210:211]
	v_mov_b32_e32 v74, v234
	v_mov_b32_e32 v75, v235
.LBB110_798:
	s_or_b32 exec_lo, exec_lo, s0
	v_lshl_add_u32 v210, v240, 4, v1
	s_barrier
	buffer_gl0_inv
	v_mov_b32_e32 v234, 38
	ds_write2_b64 v210, v[70:71], v[72:73] offset1:1
	s_waitcnt lgkmcnt(0)
	s_barrier
	buffer_gl0_inv
	ds_read2_b64 v[226:229], v1 offset0:76 offset1:77
	s_cmp_lt_i32 s8, 40
	s_cbranch_scc1 .LBB110_801
; %bb.799:
	v_add3_u32 v235, v253, 0, 0x270
	v_mov_b32_e32 v234, 38
	s_mov_b32 s1, 39
	s_inst_prefetch 0x1
	.p2align	6
.LBB110_800:                            ; =>This Inner Loop Header: Depth=1
	s_waitcnt lgkmcnt(0)
	v_cmp_gt_f64_e32 vcc_lo, 0, v[228:229]
	v_cmp_gt_f64_e64 s0, 0, v[226:227]
	ds_read2_b64 v[241:244], v235 offset1:1
	v_xor_b32_e32 v211, 0x80000000, v227
	v_xor_b32_e32 v213, 0x80000000, v229
	v_mov_b32_e32 v210, v226
	v_mov_b32_e32 v212, v228
	v_add_nc_u32_e32 v235, 16, v235
	s_waitcnt lgkmcnt(0)
	v_xor_b32_e32 v219, 0x80000000, v244
	v_cndmask_b32_e64 v211, v227, v211, s0
	v_cndmask_b32_e32 v213, v229, v213, vcc_lo
	v_cmp_gt_f64_e32 vcc_lo, 0, v[243:244]
	v_cmp_gt_f64_e64 s0, 0, v[241:242]
	v_mov_b32_e32 v218, v243
	v_add_f64 v[210:211], v[210:211], v[212:213]
	v_xor_b32_e32 v213, 0x80000000, v242
	v_mov_b32_e32 v212, v241
	v_cndmask_b32_e32 v219, v244, v219, vcc_lo
	v_cndmask_b32_e64 v213, v242, v213, s0
	v_add_f64 v[212:213], v[212:213], v[218:219]
	v_cmp_lt_f64_e32 vcc_lo, v[210:211], v[212:213]
	v_cndmask_b32_e32 v227, v227, v242, vcc_lo
	v_cndmask_b32_e32 v226, v226, v241, vcc_lo
	;; [unrolled: 1-line block ×4, first 2 shown]
	v_cndmask_b32_e64 v234, v234, s1, vcc_lo
	s_add_i32 s1, s1, 1
	s_cmp_lg_u32 s8, s1
	s_cbranch_scc1 .LBB110_800
.LBB110_801:
	s_inst_prefetch 0x2
	s_waitcnt lgkmcnt(0)
	v_cmp_eq_f64_e32 vcc_lo, 0, v[226:227]
	v_cmp_eq_f64_e64 s0, 0, v[228:229]
	s_and_b32 s0, vcc_lo, s0
	s_and_saveexec_b32 s1, s0
	s_xor_b32 s0, exec_lo, s1
; %bb.802:
	v_cmp_ne_u32_e32 vcc_lo, 0, v239
	v_cndmask_b32_e32 v239, 39, v239, vcc_lo
; %bb.803:
	s_andn2_saveexec_b32 s0, s0
	s_cbranch_execz .LBB110_809
; %bb.804:
	v_cmp_ngt_f64_e64 s1, |v[226:227]|, |v[228:229]|
	s_and_saveexec_b32 s7, s1
	s_xor_b32 s1, exec_lo, s7
	s_cbranch_execz .LBB110_806
; %bb.805:
	v_div_scale_f64 v[210:211], null, v[228:229], v[228:229], v[226:227]
	v_div_scale_f64 v[220:221], vcc_lo, v[226:227], v[228:229], v[226:227]
	v_rcp_f64_e32 v[212:213], v[210:211]
	v_fma_f64 v[218:219], -v[210:211], v[212:213], 1.0
	v_fma_f64 v[212:213], v[212:213], v[218:219], v[212:213]
	v_fma_f64 v[218:219], -v[210:211], v[212:213], 1.0
	v_fma_f64 v[212:213], v[212:213], v[218:219], v[212:213]
	v_mul_f64 v[218:219], v[220:221], v[212:213]
	v_fma_f64 v[210:211], -v[210:211], v[218:219], v[220:221]
	v_div_fmas_f64 v[210:211], v[210:211], v[212:213], v[218:219]
	v_div_fixup_f64 v[210:211], v[210:211], v[228:229], v[226:227]
	v_fma_f64 v[212:213], v[226:227], v[210:211], v[228:229]
	v_div_scale_f64 v[218:219], null, v[212:213], v[212:213], 1.0
	v_rcp_f64_e32 v[220:221], v[218:219]
	v_fma_f64 v[222:223], -v[218:219], v[220:221], 1.0
	v_fma_f64 v[220:221], v[220:221], v[222:223], v[220:221]
	v_fma_f64 v[222:223], -v[218:219], v[220:221], 1.0
	v_fma_f64 v[220:221], v[220:221], v[222:223], v[220:221]
	v_div_scale_f64 v[222:223], vcc_lo, 1.0, v[212:213], 1.0
	v_mul_f64 v[224:225], v[222:223], v[220:221]
	v_fma_f64 v[218:219], -v[218:219], v[224:225], v[222:223]
	v_div_fmas_f64 v[218:219], v[218:219], v[220:221], v[224:225]
	v_div_fixup_f64 v[228:229], v[218:219], v[212:213], 1.0
	v_mul_f64 v[226:227], v[210:211], v[228:229]
	v_xor_b32_e32 v229, 0x80000000, v229
.LBB110_806:
	s_andn2_saveexec_b32 s1, s1
	s_cbranch_execz .LBB110_808
; %bb.807:
	v_div_scale_f64 v[210:211], null, v[226:227], v[226:227], v[228:229]
	v_div_scale_f64 v[220:221], vcc_lo, v[228:229], v[226:227], v[228:229]
	v_rcp_f64_e32 v[212:213], v[210:211]
	v_fma_f64 v[218:219], -v[210:211], v[212:213], 1.0
	v_fma_f64 v[212:213], v[212:213], v[218:219], v[212:213]
	v_fma_f64 v[218:219], -v[210:211], v[212:213], 1.0
	v_fma_f64 v[212:213], v[212:213], v[218:219], v[212:213]
	v_mul_f64 v[218:219], v[220:221], v[212:213]
	v_fma_f64 v[210:211], -v[210:211], v[218:219], v[220:221]
	v_div_fmas_f64 v[210:211], v[210:211], v[212:213], v[218:219]
	v_div_fixup_f64 v[210:211], v[210:211], v[226:227], v[228:229]
	v_fma_f64 v[212:213], v[228:229], v[210:211], v[226:227]
	v_div_scale_f64 v[218:219], null, v[212:213], v[212:213], 1.0
	v_rcp_f64_e32 v[220:221], v[218:219]
	v_fma_f64 v[222:223], -v[218:219], v[220:221], 1.0
	v_fma_f64 v[220:221], v[220:221], v[222:223], v[220:221]
	v_fma_f64 v[222:223], -v[218:219], v[220:221], 1.0
	v_fma_f64 v[220:221], v[220:221], v[222:223], v[220:221]
	v_div_scale_f64 v[222:223], vcc_lo, 1.0, v[212:213], 1.0
	v_mul_f64 v[224:225], v[222:223], v[220:221]
	v_fma_f64 v[218:219], -v[218:219], v[224:225], v[222:223]
	v_div_fmas_f64 v[218:219], v[218:219], v[220:221], v[224:225]
	v_div_fixup_f64 v[226:227], v[218:219], v[212:213], 1.0
	v_mul_f64 v[228:229], v[210:211], -v[226:227]
.LBB110_808:
	s_or_b32 exec_lo, exec_lo, s1
.LBB110_809:
	s_or_b32 exec_lo, exec_lo, s0
	s_mov_b32 s0, exec_lo
	v_cmpx_ne_u32_e64 v240, v234
	s_xor_b32 s0, exec_lo, s0
	s_cbranch_execz .LBB110_815
; %bb.810:
	s_mov_b32 s1, exec_lo
	v_cmpx_eq_u32_e32 38, v240
	s_cbranch_execz .LBB110_814
; %bb.811:
	v_cmp_ne_u32_e32 vcc_lo, 38, v234
	s_xor_b32 s7, s16, -1
	s_and_b32 s9, s7, vcc_lo
	s_and_saveexec_b32 s7, s9
	s_cbranch_execz .LBB110_813
; %bb.812:
	v_ashrrev_i32_e32 v235, 31, v234
	v_lshlrev_b64 v[210:211], 2, v[234:235]
	v_add_co_u32 v210, vcc_lo, v214, v210
	v_add_co_ci_u32_e64 v211, null, v215, v211, vcc_lo
	s_clause 0x1
	global_load_dword v0, v[210:211], off
	global_load_dword v212, v[214:215], off offset:152
	s_waitcnt vmcnt(1)
	global_store_dword v[214:215], v0, off offset:152
	s_waitcnt vmcnt(0)
	global_store_dword v[210:211], v212, off
.LBB110_813:
	s_or_b32 exec_lo, exec_lo, s7
	v_mov_b32_e32 v240, v234
	v_mov_b32_e32 v0, v234
.LBB110_814:
	s_or_b32 exec_lo, exec_lo, s1
.LBB110_815:
	s_andn2_saveexec_b32 s0, s0
	s_cbranch_execz .LBB110_817
; %bb.816:
	v_mov_b32_e32 v240, 38
	ds_write2_b64 v1, v[66:67], v[68:69] offset0:78 offset1:79
	ds_write2_b64 v1, v[62:63], v[64:65] offset0:80 offset1:81
	;; [unrolled: 1-line block ×17, first 2 shown]
.LBB110_817:
	s_or_b32 exec_lo, exec_lo, s0
	s_mov_b32 s0, exec_lo
	s_waitcnt lgkmcnt(0)
	s_waitcnt_vscnt null, 0x0
	s_barrier
	buffer_gl0_inv
	v_cmpx_lt_i32_e32 38, v240
	s_cbranch_execz .LBB110_819
; %bb.818:
	v_mul_f64 v[210:211], v[228:229], v[72:73]
	v_mul_f64 v[72:73], v[226:227], v[72:73]
	v_fma_f64 v[234:235], v[226:227], v[70:71], -v[210:211]
	v_fma_f64 v[72:73], v[228:229], v[70:71], v[72:73]
	ds_read2_b64 v[226:229], v1 offset0:78 offset1:79
	s_waitcnt lgkmcnt(0)
	v_mul_f64 v[70:71], v[228:229], v[72:73]
	v_mul_f64 v[210:211], v[226:227], v[72:73]
	v_fma_f64 v[70:71], v[226:227], v[234:235], -v[70:71]
	v_fma_f64 v[210:211], v[228:229], v[234:235], v[210:211]
	ds_read2_b64 v[226:229], v1 offset0:80 offset1:81
	v_add_f64 v[66:67], v[66:67], -v[70:71]
	v_add_f64 v[68:69], v[68:69], -v[210:211]
	s_waitcnt lgkmcnt(0)
	v_mul_f64 v[70:71], v[228:229], v[72:73]
	v_mul_f64 v[210:211], v[226:227], v[72:73]
	v_fma_f64 v[70:71], v[226:227], v[234:235], -v[70:71]
	v_fma_f64 v[210:211], v[228:229], v[234:235], v[210:211]
	ds_read2_b64 v[226:229], v1 offset0:82 offset1:83
	v_add_f64 v[62:63], v[62:63], -v[70:71]
	v_add_f64 v[64:65], v[64:65], -v[210:211]
	;; [unrolled: 8-line block ×16, first 2 shown]
	s_waitcnt lgkmcnt(0)
	v_mul_f64 v[70:71], v[228:229], v[72:73]
	v_mul_f64 v[210:211], v[226:227], v[72:73]
	v_fma_f64 v[70:71], v[226:227], v[234:235], -v[70:71]
	v_fma_f64 v[210:211], v[228:229], v[234:235], v[210:211]
	v_add_f64 v[230:231], v[230:231], -v[70:71]
	v_add_f64 v[232:233], v[232:233], -v[210:211]
	v_mov_b32_e32 v70, v234
	v_mov_b32_e32 v71, v235
.LBB110_819:
	s_or_b32 exec_lo, exec_lo, s0
	v_lshl_add_u32 v210, v240, 4, v1
	s_barrier
	buffer_gl0_inv
	v_mov_b32_e32 v234, 39
	ds_write2_b64 v210, v[66:67], v[68:69] offset1:1
	s_waitcnt lgkmcnt(0)
	s_barrier
	buffer_gl0_inv
	ds_read2_b64 v[226:229], v1 offset0:78 offset1:79
	s_cmp_lt_i32 s8, 41
	s_cbranch_scc1 .LBB110_822
; %bb.820:
	v_add3_u32 v235, v253, 0, 0x280
	v_mov_b32_e32 v234, 39
	s_mov_b32 s1, 40
	s_inst_prefetch 0x1
	.p2align	6
.LBB110_821:                            ; =>This Inner Loop Header: Depth=1
	s_waitcnt lgkmcnt(0)
	v_cmp_gt_f64_e32 vcc_lo, 0, v[228:229]
	v_cmp_gt_f64_e64 s0, 0, v[226:227]
	ds_read2_b64 v[241:244], v235 offset1:1
	v_xor_b32_e32 v211, 0x80000000, v227
	v_xor_b32_e32 v213, 0x80000000, v229
	v_mov_b32_e32 v210, v226
	v_mov_b32_e32 v212, v228
	v_add_nc_u32_e32 v235, 16, v235
	s_waitcnt lgkmcnt(0)
	v_xor_b32_e32 v219, 0x80000000, v244
	v_cndmask_b32_e64 v211, v227, v211, s0
	v_cndmask_b32_e32 v213, v229, v213, vcc_lo
	v_cmp_gt_f64_e32 vcc_lo, 0, v[243:244]
	v_cmp_gt_f64_e64 s0, 0, v[241:242]
	v_mov_b32_e32 v218, v243
	v_add_f64 v[210:211], v[210:211], v[212:213]
	v_xor_b32_e32 v213, 0x80000000, v242
	v_mov_b32_e32 v212, v241
	v_cndmask_b32_e32 v219, v244, v219, vcc_lo
	v_cndmask_b32_e64 v213, v242, v213, s0
	v_add_f64 v[212:213], v[212:213], v[218:219]
	v_cmp_lt_f64_e32 vcc_lo, v[210:211], v[212:213]
	v_cndmask_b32_e32 v227, v227, v242, vcc_lo
	v_cndmask_b32_e32 v226, v226, v241, vcc_lo
	;; [unrolled: 1-line block ×4, first 2 shown]
	v_cndmask_b32_e64 v234, v234, s1, vcc_lo
	s_add_i32 s1, s1, 1
	s_cmp_lg_u32 s8, s1
	s_cbranch_scc1 .LBB110_821
.LBB110_822:
	s_inst_prefetch 0x2
	s_waitcnt lgkmcnt(0)
	v_cmp_eq_f64_e32 vcc_lo, 0, v[226:227]
	v_cmp_eq_f64_e64 s0, 0, v[228:229]
	s_and_b32 s0, vcc_lo, s0
	s_and_saveexec_b32 s1, s0
	s_xor_b32 s0, exec_lo, s1
; %bb.823:
	v_cmp_ne_u32_e32 vcc_lo, 0, v239
	v_cndmask_b32_e32 v239, 40, v239, vcc_lo
; %bb.824:
	s_andn2_saveexec_b32 s0, s0
	s_cbranch_execz .LBB110_830
; %bb.825:
	v_cmp_ngt_f64_e64 s1, |v[226:227]|, |v[228:229]|
	s_and_saveexec_b32 s7, s1
	s_xor_b32 s1, exec_lo, s7
	s_cbranch_execz .LBB110_827
; %bb.826:
	v_div_scale_f64 v[210:211], null, v[228:229], v[228:229], v[226:227]
	v_div_scale_f64 v[220:221], vcc_lo, v[226:227], v[228:229], v[226:227]
	v_rcp_f64_e32 v[212:213], v[210:211]
	v_fma_f64 v[218:219], -v[210:211], v[212:213], 1.0
	v_fma_f64 v[212:213], v[212:213], v[218:219], v[212:213]
	v_fma_f64 v[218:219], -v[210:211], v[212:213], 1.0
	v_fma_f64 v[212:213], v[212:213], v[218:219], v[212:213]
	v_mul_f64 v[218:219], v[220:221], v[212:213]
	v_fma_f64 v[210:211], -v[210:211], v[218:219], v[220:221]
	v_div_fmas_f64 v[210:211], v[210:211], v[212:213], v[218:219]
	v_div_fixup_f64 v[210:211], v[210:211], v[228:229], v[226:227]
	v_fma_f64 v[212:213], v[226:227], v[210:211], v[228:229]
	v_div_scale_f64 v[218:219], null, v[212:213], v[212:213], 1.0
	v_rcp_f64_e32 v[220:221], v[218:219]
	v_fma_f64 v[222:223], -v[218:219], v[220:221], 1.0
	v_fma_f64 v[220:221], v[220:221], v[222:223], v[220:221]
	v_fma_f64 v[222:223], -v[218:219], v[220:221], 1.0
	v_fma_f64 v[220:221], v[220:221], v[222:223], v[220:221]
	v_div_scale_f64 v[222:223], vcc_lo, 1.0, v[212:213], 1.0
	v_mul_f64 v[224:225], v[222:223], v[220:221]
	v_fma_f64 v[218:219], -v[218:219], v[224:225], v[222:223]
	v_div_fmas_f64 v[218:219], v[218:219], v[220:221], v[224:225]
	v_div_fixup_f64 v[228:229], v[218:219], v[212:213], 1.0
	v_mul_f64 v[226:227], v[210:211], v[228:229]
	v_xor_b32_e32 v229, 0x80000000, v229
.LBB110_827:
	s_andn2_saveexec_b32 s1, s1
	s_cbranch_execz .LBB110_829
; %bb.828:
	v_div_scale_f64 v[210:211], null, v[226:227], v[226:227], v[228:229]
	v_div_scale_f64 v[220:221], vcc_lo, v[228:229], v[226:227], v[228:229]
	v_rcp_f64_e32 v[212:213], v[210:211]
	v_fma_f64 v[218:219], -v[210:211], v[212:213], 1.0
	v_fma_f64 v[212:213], v[212:213], v[218:219], v[212:213]
	v_fma_f64 v[218:219], -v[210:211], v[212:213], 1.0
	v_fma_f64 v[212:213], v[212:213], v[218:219], v[212:213]
	v_mul_f64 v[218:219], v[220:221], v[212:213]
	v_fma_f64 v[210:211], -v[210:211], v[218:219], v[220:221]
	v_div_fmas_f64 v[210:211], v[210:211], v[212:213], v[218:219]
	v_div_fixup_f64 v[210:211], v[210:211], v[226:227], v[228:229]
	v_fma_f64 v[212:213], v[228:229], v[210:211], v[226:227]
	v_div_scale_f64 v[218:219], null, v[212:213], v[212:213], 1.0
	v_rcp_f64_e32 v[220:221], v[218:219]
	v_fma_f64 v[222:223], -v[218:219], v[220:221], 1.0
	v_fma_f64 v[220:221], v[220:221], v[222:223], v[220:221]
	v_fma_f64 v[222:223], -v[218:219], v[220:221], 1.0
	v_fma_f64 v[220:221], v[220:221], v[222:223], v[220:221]
	v_div_scale_f64 v[222:223], vcc_lo, 1.0, v[212:213], 1.0
	v_mul_f64 v[224:225], v[222:223], v[220:221]
	v_fma_f64 v[218:219], -v[218:219], v[224:225], v[222:223]
	v_div_fmas_f64 v[218:219], v[218:219], v[220:221], v[224:225]
	v_div_fixup_f64 v[226:227], v[218:219], v[212:213], 1.0
	v_mul_f64 v[228:229], v[210:211], -v[226:227]
.LBB110_829:
	s_or_b32 exec_lo, exec_lo, s1
.LBB110_830:
	s_or_b32 exec_lo, exec_lo, s0
	s_mov_b32 s0, exec_lo
	v_cmpx_ne_u32_e64 v240, v234
	s_xor_b32 s0, exec_lo, s0
	s_cbranch_execz .LBB110_836
; %bb.831:
	s_mov_b32 s1, exec_lo
	v_cmpx_eq_u32_e32 39, v240
	s_cbranch_execz .LBB110_835
; %bb.832:
	v_cmp_ne_u32_e32 vcc_lo, 39, v234
	s_xor_b32 s7, s16, -1
	s_and_b32 s9, s7, vcc_lo
	s_and_saveexec_b32 s7, s9
	s_cbranch_execz .LBB110_834
; %bb.833:
	v_ashrrev_i32_e32 v235, 31, v234
	v_lshlrev_b64 v[210:211], 2, v[234:235]
	v_add_co_u32 v210, vcc_lo, v214, v210
	v_add_co_ci_u32_e64 v211, null, v215, v211, vcc_lo
	s_clause 0x1
	global_load_dword v0, v[210:211], off
	global_load_dword v212, v[214:215], off offset:156
	s_waitcnt vmcnt(1)
	global_store_dword v[214:215], v0, off offset:156
	s_waitcnt vmcnt(0)
	global_store_dword v[210:211], v212, off
.LBB110_834:
	s_or_b32 exec_lo, exec_lo, s7
	v_mov_b32_e32 v240, v234
	v_mov_b32_e32 v0, v234
.LBB110_835:
	s_or_b32 exec_lo, exec_lo, s1
.LBB110_836:
	s_andn2_saveexec_b32 s0, s0
	s_cbranch_execz .LBB110_838
; %bb.837:
	v_mov_b32_e32 v240, 39
	ds_write2_b64 v1, v[62:63], v[64:65] offset0:80 offset1:81
	ds_write2_b64 v1, v[58:59], v[60:61] offset0:82 offset1:83
	;; [unrolled: 1-line block ×16, first 2 shown]
.LBB110_838:
	s_or_b32 exec_lo, exec_lo, s0
	s_mov_b32 s0, exec_lo
	s_waitcnt lgkmcnt(0)
	s_waitcnt_vscnt null, 0x0
	s_barrier
	buffer_gl0_inv
	v_cmpx_lt_i32_e32 39, v240
	s_cbranch_execz .LBB110_840
; %bb.839:
	v_mul_f64 v[210:211], v[226:227], v[68:69]
	v_mul_f64 v[68:69], v[228:229], v[68:69]
	v_fma_f64 v[234:235], v[228:229], v[66:67], v[210:211]
	v_fma_f64 v[66:67], v[226:227], v[66:67], -v[68:69]
	ds_read2_b64 v[226:229], v1 offset0:80 offset1:81
	s_waitcnt lgkmcnt(0)
	v_mul_f64 v[68:69], v[228:229], v[234:235]
	v_mul_f64 v[210:211], v[226:227], v[234:235]
	v_fma_f64 v[68:69], v[226:227], v[66:67], -v[68:69]
	v_fma_f64 v[210:211], v[228:229], v[66:67], v[210:211]
	ds_read2_b64 v[226:229], v1 offset0:82 offset1:83
	v_add_f64 v[62:63], v[62:63], -v[68:69]
	v_add_f64 v[64:65], v[64:65], -v[210:211]
	s_waitcnt lgkmcnt(0)
	v_mul_f64 v[68:69], v[228:229], v[234:235]
	v_mul_f64 v[210:211], v[226:227], v[234:235]
	v_fma_f64 v[68:69], v[226:227], v[66:67], -v[68:69]
	v_fma_f64 v[210:211], v[228:229], v[66:67], v[210:211]
	ds_read2_b64 v[226:229], v1 offset0:84 offset1:85
	v_add_f64 v[58:59], v[58:59], -v[68:69]
	v_add_f64 v[60:61], v[60:61], -v[210:211]
	;; [unrolled: 8-line block ×15, first 2 shown]
	s_waitcnt lgkmcnt(0)
	v_mul_f64 v[68:69], v[228:229], v[234:235]
	v_mul_f64 v[210:211], v[226:227], v[234:235]
	v_fma_f64 v[68:69], v[226:227], v[66:67], -v[68:69]
	v_fma_f64 v[210:211], v[228:229], v[66:67], v[210:211]
	v_add_f64 v[230:231], v[230:231], -v[68:69]
	v_add_f64 v[232:233], v[232:233], -v[210:211]
	v_mov_b32_e32 v68, v234
	v_mov_b32_e32 v69, v235
.LBB110_840:
	s_or_b32 exec_lo, exec_lo, s0
	v_lshl_add_u32 v210, v240, 4, v1
	s_barrier
	buffer_gl0_inv
	v_mov_b32_e32 v234, 40
	ds_write2_b64 v210, v[62:63], v[64:65] offset1:1
	s_waitcnt lgkmcnt(0)
	s_barrier
	buffer_gl0_inv
	ds_read2_b64 v[226:229], v1 offset0:80 offset1:81
	s_cmp_lt_i32 s8, 42
	s_cbranch_scc1 .LBB110_843
; %bb.841:
	v_add3_u32 v235, v253, 0, 0x290
	v_mov_b32_e32 v234, 40
	s_mov_b32 s1, 41
	s_inst_prefetch 0x1
	.p2align	6
.LBB110_842:                            ; =>This Inner Loop Header: Depth=1
	s_waitcnt lgkmcnt(0)
	v_cmp_gt_f64_e32 vcc_lo, 0, v[228:229]
	v_cmp_gt_f64_e64 s0, 0, v[226:227]
	ds_read2_b64 v[241:244], v235 offset1:1
	v_xor_b32_e32 v211, 0x80000000, v227
	v_xor_b32_e32 v213, 0x80000000, v229
	v_mov_b32_e32 v210, v226
	v_mov_b32_e32 v212, v228
	v_add_nc_u32_e32 v235, 16, v235
	s_waitcnt lgkmcnt(0)
	v_xor_b32_e32 v219, 0x80000000, v244
	v_cndmask_b32_e64 v211, v227, v211, s0
	v_cndmask_b32_e32 v213, v229, v213, vcc_lo
	v_cmp_gt_f64_e32 vcc_lo, 0, v[243:244]
	v_cmp_gt_f64_e64 s0, 0, v[241:242]
	v_mov_b32_e32 v218, v243
	v_add_f64 v[210:211], v[210:211], v[212:213]
	v_xor_b32_e32 v213, 0x80000000, v242
	v_mov_b32_e32 v212, v241
	v_cndmask_b32_e32 v219, v244, v219, vcc_lo
	v_cndmask_b32_e64 v213, v242, v213, s0
	v_add_f64 v[212:213], v[212:213], v[218:219]
	v_cmp_lt_f64_e32 vcc_lo, v[210:211], v[212:213]
	v_cndmask_b32_e32 v227, v227, v242, vcc_lo
	v_cndmask_b32_e32 v226, v226, v241, vcc_lo
	v_cndmask_b32_e32 v229, v229, v244, vcc_lo
	v_cndmask_b32_e32 v228, v228, v243, vcc_lo
	v_cndmask_b32_e64 v234, v234, s1, vcc_lo
	s_add_i32 s1, s1, 1
	s_cmp_lg_u32 s8, s1
	s_cbranch_scc1 .LBB110_842
.LBB110_843:
	s_inst_prefetch 0x2
	s_waitcnt lgkmcnt(0)
	v_cmp_eq_f64_e32 vcc_lo, 0, v[226:227]
	v_cmp_eq_f64_e64 s0, 0, v[228:229]
	s_and_b32 s0, vcc_lo, s0
	s_and_saveexec_b32 s1, s0
	s_xor_b32 s0, exec_lo, s1
; %bb.844:
	v_cmp_ne_u32_e32 vcc_lo, 0, v239
	v_cndmask_b32_e32 v239, 41, v239, vcc_lo
; %bb.845:
	s_andn2_saveexec_b32 s0, s0
	s_cbranch_execz .LBB110_851
; %bb.846:
	v_cmp_ngt_f64_e64 s1, |v[226:227]|, |v[228:229]|
	s_and_saveexec_b32 s7, s1
	s_xor_b32 s1, exec_lo, s7
	s_cbranch_execz .LBB110_848
; %bb.847:
	v_div_scale_f64 v[210:211], null, v[228:229], v[228:229], v[226:227]
	v_div_scale_f64 v[220:221], vcc_lo, v[226:227], v[228:229], v[226:227]
	v_rcp_f64_e32 v[212:213], v[210:211]
	v_fma_f64 v[218:219], -v[210:211], v[212:213], 1.0
	v_fma_f64 v[212:213], v[212:213], v[218:219], v[212:213]
	v_fma_f64 v[218:219], -v[210:211], v[212:213], 1.0
	v_fma_f64 v[212:213], v[212:213], v[218:219], v[212:213]
	v_mul_f64 v[218:219], v[220:221], v[212:213]
	v_fma_f64 v[210:211], -v[210:211], v[218:219], v[220:221]
	v_div_fmas_f64 v[210:211], v[210:211], v[212:213], v[218:219]
	v_div_fixup_f64 v[210:211], v[210:211], v[228:229], v[226:227]
	v_fma_f64 v[212:213], v[226:227], v[210:211], v[228:229]
	v_div_scale_f64 v[218:219], null, v[212:213], v[212:213], 1.0
	v_rcp_f64_e32 v[220:221], v[218:219]
	v_fma_f64 v[222:223], -v[218:219], v[220:221], 1.0
	v_fma_f64 v[220:221], v[220:221], v[222:223], v[220:221]
	v_fma_f64 v[222:223], -v[218:219], v[220:221], 1.0
	v_fma_f64 v[220:221], v[220:221], v[222:223], v[220:221]
	v_div_scale_f64 v[222:223], vcc_lo, 1.0, v[212:213], 1.0
	v_mul_f64 v[224:225], v[222:223], v[220:221]
	v_fma_f64 v[218:219], -v[218:219], v[224:225], v[222:223]
	v_div_fmas_f64 v[218:219], v[218:219], v[220:221], v[224:225]
	v_div_fixup_f64 v[228:229], v[218:219], v[212:213], 1.0
	v_mul_f64 v[226:227], v[210:211], v[228:229]
	v_xor_b32_e32 v229, 0x80000000, v229
.LBB110_848:
	s_andn2_saveexec_b32 s1, s1
	s_cbranch_execz .LBB110_850
; %bb.849:
	v_div_scale_f64 v[210:211], null, v[226:227], v[226:227], v[228:229]
	v_div_scale_f64 v[220:221], vcc_lo, v[228:229], v[226:227], v[228:229]
	v_rcp_f64_e32 v[212:213], v[210:211]
	v_fma_f64 v[218:219], -v[210:211], v[212:213], 1.0
	v_fma_f64 v[212:213], v[212:213], v[218:219], v[212:213]
	v_fma_f64 v[218:219], -v[210:211], v[212:213], 1.0
	v_fma_f64 v[212:213], v[212:213], v[218:219], v[212:213]
	v_mul_f64 v[218:219], v[220:221], v[212:213]
	v_fma_f64 v[210:211], -v[210:211], v[218:219], v[220:221]
	v_div_fmas_f64 v[210:211], v[210:211], v[212:213], v[218:219]
	v_div_fixup_f64 v[210:211], v[210:211], v[226:227], v[228:229]
	v_fma_f64 v[212:213], v[228:229], v[210:211], v[226:227]
	v_div_scale_f64 v[218:219], null, v[212:213], v[212:213], 1.0
	v_rcp_f64_e32 v[220:221], v[218:219]
	v_fma_f64 v[222:223], -v[218:219], v[220:221], 1.0
	v_fma_f64 v[220:221], v[220:221], v[222:223], v[220:221]
	v_fma_f64 v[222:223], -v[218:219], v[220:221], 1.0
	v_fma_f64 v[220:221], v[220:221], v[222:223], v[220:221]
	v_div_scale_f64 v[222:223], vcc_lo, 1.0, v[212:213], 1.0
	v_mul_f64 v[224:225], v[222:223], v[220:221]
	v_fma_f64 v[218:219], -v[218:219], v[224:225], v[222:223]
	v_div_fmas_f64 v[218:219], v[218:219], v[220:221], v[224:225]
	v_div_fixup_f64 v[226:227], v[218:219], v[212:213], 1.0
	v_mul_f64 v[228:229], v[210:211], -v[226:227]
.LBB110_850:
	s_or_b32 exec_lo, exec_lo, s1
.LBB110_851:
	s_or_b32 exec_lo, exec_lo, s0
	s_mov_b32 s0, exec_lo
	v_cmpx_ne_u32_e64 v240, v234
	s_xor_b32 s0, exec_lo, s0
	s_cbranch_execz .LBB110_857
; %bb.852:
	s_mov_b32 s1, exec_lo
	v_cmpx_eq_u32_e32 40, v240
	s_cbranch_execz .LBB110_856
; %bb.853:
	v_cmp_ne_u32_e32 vcc_lo, 40, v234
	s_xor_b32 s7, s16, -1
	s_and_b32 s9, s7, vcc_lo
	s_and_saveexec_b32 s7, s9
	s_cbranch_execz .LBB110_855
; %bb.854:
	v_ashrrev_i32_e32 v235, 31, v234
	v_lshlrev_b64 v[210:211], 2, v[234:235]
	v_add_co_u32 v210, vcc_lo, v214, v210
	v_add_co_ci_u32_e64 v211, null, v215, v211, vcc_lo
	s_clause 0x1
	global_load_dword v0, v[210:211], off
	global_load_dword v212, v[214:215], off offset:160
	s_waitcnt vmcnt(1)
	global_store_dword v[214:215], v0, off offset:160
	s_waitcnt vmcnt(0)
	global_store_dword v[210:211], v212, off
.LBB110_855:
	s_or_b32 exec_lo, exec_lo, s7
	v_mov_b32_e32 v240, v234
	v_mov_b32_e32 v0, v234
.LBB110_856:
	s_or_b32 exec_lo, exec_lo, s1
.LBB110_857:
	s_andn2_saveexec_b32 s0, s0
	s_cbranch_execz .LBB110_859
; %bb.858:
	v_mov_b32_e32 v240, 40
	ds_write2_b64 v1, v[58:59], v[60:61] offset0:82 offset1:83
	ds_write2_b64 v1, v[54:55], v[56:57] offset0:84 offset1:85
	;; [unrolled: 1-line block ×15, first 2 shown]
.LBB110_859:
	s_or_b32 exec_lo, exec_lo, s0
	s_mov_b32 s0, exec_lo
	s_waitcnt lgkmcnt(0)
	s_waitcnt_vscnt null, 0x0
	s_barrier
	buffer_gl0_inv
	v_cmpx_lt_i32_e32 40, v240
	s_cbranch_execz .LBB110_861
; %bb.860:
	v_mul_f64 v[210:211], v[226:227], v[64:65]
	v_mul_f64 v[64:65], v[228:229], v[64:65]
	v_fma_f64 v[234:235], v[228:229], v[62:63], v[210:211]
	v_fma_f64 v[62:63], v[226:227], v[62:63], -v[64:65]
	ds_read2_b64 v[226:229], v1 offset0:82 offset1:83
	s_waitcnt lgkmcnt(0)
	v_mul_f64 v[64:65], v[228:229], v[234:235]
	v_mul_f64 v[210:211], v[226:227], v[234:235]
	v_fma_f64 v[64:65], v[226:227], v[62:63], -v[64:65]
	v_fma_f64 v[210:211], v[228:229], v[62:63], v[210:211]
	ds_read2_b64 v[226:229], v1 offset0:84 offset1:85
	v_add_f64 v[58:59], v[58:59], -v[64:65]
	v_add_f64 v[60:61], v[60:61], -v[210:211]
	s_waitcnt lgkmcnt(0)
	v_mul_f64 v[64:65], v[228:229], v[234:235]
	v_mul_f64 v[210:211], v[226:227], v[234:235]
	v_fma_f64 v[64:65], v[226:227], v[62:63], -v[64:65]
	v_fma_f64 v[210:211], v[228:229], v[62:63], v[210:211]
	ds_read2_b64 v[226:229], v1 offset0:86 offset1:87
	v_add_f64 v[54:55], v[54:55], -v[64:65]
	v_add_f64 v[56:57], v[56:57], -v[210:211]
	;; [unrolled: 8-line block ×14, first 2 shown]
	s_waitcnt lgkmcnt(0)
	v_mul_f64 v[64:65], v[228:229], v[234:235]
	v_mul_f64 v[210:211], v[226:227], v[234:235]
	v_fma_f64 v[64:65], v[226:227], v[62:63], -v[64:65]
	v_fma_f64 v[210:211], v[228:229], v[62:63], v[210:211]
	v_add_f64 v[230:231], v[230:231], -v[64:65]
	v_add_f64 v[232:233], v[232:233], -v[210:211]
	v_mov_b32_e32 v64, v234
	v_mov_b32_e32 v65, v235
.LBB110_861:
	s_or_b32 exec_lo, exec_lo, s0
	v_lshl_add_u32 v210, v240, 4, v1
	s_barrier
	buffer_gl0_inv
	v_mov_b32_e32 v234, 41
	ds_write2_b64 v210, v[58:59], v[60:61] offset1:1
	s_waitcnt lgkmcnt(0)
	s_barrier
	buffer_gl0_inv
	ds_read2_b64 v[226:229], v1 offset0:82 offset1:83
	s_cmp_lt_i32 s8, 43
	s_cbranch_scc1 .LBB110_864
; %bb.862:
	v_add3_u32 v235, v253, 0, 0x2a0
	v_mov_b32_e32 v234, 41
	s_mov_b32 s1, 42
	s_inst_prefetch 0x1
	.p2align	6
.LBB110_863:                            ; =>This Inner Loop Header: Depth=1
	s_waitcnt lgkmcnt(0)
	v_cmp_gt_f64_e32 vcc_lo, 0, v[228:229]
	v_cmp_gt_f64_e64 s0, 0, v[226:227]
	ds_read2_b64 v[241:244], v235 offset1:1
	v_xor_b32_e32 v211, 0x80000000, v227
	v_xor_b32_e32 v213, 0x80000000, v229
	v_mov_b32_e32 v210, v226
	v_mov_b32_e32 v212, v228
	v_add_nc_u32_e32 v235, 16, v235
	s_waitcnt lgkmcnt(0)
	v_xor_b32_e32 v219, 0x80000000, v244
	v_cndmask_b32_e64 v211, v227, v211, s0
	v_cndmask_b32_e32 v213, v229, v213, vcc_lo
	v_cmp_gt_f64_e32 vcc_lo, 0, v[243:244]
	v_cmp_gt_f64_e64 s0, 0, v[241:242]
	v_mov_b32_e32 v218, v243
	v_add_f64 v[210:211], v[210:211], v[212:213]
	v_xor_b32_e32 v213, 0x80000000, v242
	v_mov_b32_e32 v212, v241
	v_cndmask_b32_e32 v219, v244, v219, vcc_lo
	v_cndmask_b32_e64 v213, v242, v213, s0
	v_add_f64 v[212:213], v[212:213], v[218:219]
	v_cmp_lt_f64_e32 vcc_lo, v[210:211], v[212:213]
	v_cndmask_b32_e32 v227, v227, v242, vcc_lo
	v_cndmask_b32_e32 v226, v226, v241, vcc_lo
	;; [unrolled: 1-line block ×4, first 2 shown]
	v_cndmask_b32_e64 v234, v234, s1, vcc_lo
	s_add_i32 s1, s1, 1
	s_cmp_lg_u32 s8, s1
	s_cbranch_scc1 .LBB110_863
.LBB110_864:
	s_inst_prefetch 0x2
	s_waitcnt lgkmcnt(0)
	v_cmp_eq_f64_e32 vcc_lo, 0, v[226:227]
	v_cmp_eq_f64_e64 s0, 0, v[228:229]
	s_and_b32 s0, vcc_lo, s0
	s_and_saveexec_b32 s1, s0
	s_xor_b32 s0, exec_lo, s1
; %bb.865:
	v_cmp_ne_u32_e32 vcc_lo, 0, v239
	v_cndmask_b32_e32 v239, 42, v239, vcc_lo
; %bb.866:
	s_andn2_saveexec_b32 s0, s0
	s_cbranch_execz .LBB110_872
; %bb.867:
	v_cmp_ngt_f64_e64 s1, |v[226:227]|, |v[228:229]|
	s_and_saveexec_b32 s7, s1
	s_xor_b32 s1, exec_lo, s7
	s_cbranch_execz .LBB110_869
; %bb.868:
	v_div_scale_f64 v[210:211], null, v[228:229], v[228:229], v[226:227]
	v_div_scale_f64 v[220:221], vcc_lo, v[226:227], v[228:229], v[226:227]
	v_rcp_f64_e32 v[212:213], v[210:211]
	v_fma_f64 v[218:219], -v[210:211], v[212:213], 1.0
	v_fma_f64 v[212:213], v[212:213], v[218:219], v[212:213]
	v_fma_f64 v[218:219], -v[210:211], v[212:213], 1.0
	v_fma_f64 v[212:213], v[212:213], v[218:219], v[212:213]
	v_mul_f64 v[218:219], v[220:221], v[212:213]
	v_fma_f64 v[210:211], -v[210:211], v[218:219], v[220:221]
	v_div_fmas_f64 v[210:211], v[210:211], v[212:213], v[218:219]
	v_div_fixup_f64 v[210:211], v[210:211], v[228:229], v[226:227]
	v_fma_f64 v[212:213], v[226:227], v[210:211], v[228:229]
	v_div_scale_f64 v[218:219], null, v[212:213], v[212:213], 1.0
	v_rcp_f64_e32 v[220:221], v[218:219]
	v_fma_f64 v[222:223], -v[218:219], v[220:221], 1.0
	v_fma_f64 v[220:221], v[220:221], v[222:223], v[220:221]
	v_fma_f64 v[222:223], -v[218:219], v[220:221], 1.0
	v_fma_f64 v[220:221], v[220:221], v[222:223], v[220:221]
	v_div_scale_f64 v[222:223], vcc_lo, 1.0, v[212:213], 1.0
	v_mul_f64 v[224:225], v[222:223], v[220:221]
	v_fma_f64 v[218:219], -v[218:219], v[224:225], v[222:223]
	v_div_fmas_f64 v[218:219], v[218:219], v[220:221], v[224:225]
	v_div_fixup_f64 v[228:229], v[218:219], v[212:213], 1.0
	v_mul_f64 v[226:227], v[210:211], v[228:229]
	v_xor_b32_e32 v229, 0x80000000, v229
.LBB110_869:
	s_andn2_saveexec_b32 s1, s1
	s_cbranch_execz .LBB110_871
; %bb.870:
	v_div_scale_f64 v[210:211], null, v[226:227], v[226:227], v[228:229]
	v_div_scale_f64 v[220:221], vcc_lo, v[228:229], v[226:227], v[228:229]
	v_rcp_f64_e32 v[212:213], v[210:211]
	v_fma_f64 v[218:219], -v[210:211], v[212:213], 1.0
	v_fma_f64 v[212:213], v[212:213], v[218:219], v[212:213]
	v_fma_f64 v[218:219], -v[210:211], v[212:213], 1.0
	v_fma_f64 v[212:213], v[212:213], v[218:219], v[212:213]
	v_mul_f64 v[218:219], v[220:221], v[212:213]
	v_fma_f64 v[210:211], -v[210:211], v[218:219], v[220:221]
	v_div_fmas_f64 v[210:211], v[210:211], v[212:213], v[218:219]
	v_div_fixup_f64 v[210:211], v[210:211], v[226:227], v[228:229]
	v_fma_f64 v[212:213], v[228:229], v[210:211], v[226:227]
	v_div_scale_f64 v[218:219], null, v[212:213], v[212:213], 1.0
	v_rcp_f64_e32 v[220:221], v[218:219]
	v_fma_f64 v[222:223], -v[218:219], v[220:221], 1.0
	v_fma_f64 v[220:221], v[220:221], v[222:223], v[220:221]
	v_fma_f64 v[222:223], -v[218:219], v[220:221], 1.0
	v_fma_f64 v[220:221], v[220:221], v[222:223], v[220:221]
	v_div_scale_f64 v[222:223], vcc_lo, 1.0, v[212:213], 1.0
	v_mul_f64 v[224:225], v[222:223], v[220:221]
	v_fma_f64 v[218:219], -v[218:219], v[224:225], v[222:223]
	v_div_fmas_f64 v[218:219], v[218:219], v[220:221], v[224:225]
	v_div_fixup_f64 v[226:227], v[218:219], v[212:213], 1.0
	v_mul_f64 v[228:229], v[210:211], -v[226:227]
.LBB110_871:
	s_or_b32 exec_lo, exec_lo, s1
.LBB110_872:
	s_or_b32 exec_lo, exec_lo, s0
	s_mov_b32 s0, exec_lo
	v_cmpx_ne_u32_e64 v240, v234
	s_xor_b32 s0, exec_lo, s0
	s_cbranch_execz .LBB110_878
; %bb.873:
	s_mov_b32 s1, exec_lo
	v_cmpx_eq_u32_e32 41, v240
	s_cbranch_execz .LBB110_877
; %bb.874:
	v_cmp_ne_u32_e32 vcc_lo, 41, v234
	s_xor_b32 s7, s16, -1
	s_and_b32 s9, s7, vcc_lo
	s_and_saveexec_b32 s7, s9
	s_cbranch_execz .LBB110_876
; %bb.875:
	v_ashrrev_i32_e32 v235, 31, v234
	v_lshlrev_b64 v[210:211], 2, v[234:235]
	v_add_co_u32 v210, vcc_lo, v214, v210
	v_add_co_ci_u32_e64 v211, null, v215, v211, vcc_lo
	s_clause 0x1
	global_load_dword v0, v[210:211], off
	global_load_dword v212, v[214:215], off offset:164
	s_waitcnt vmcnt(1)
	global_store_dword v[214:215], v0, off offset:164
	s_waitcnt vmcnt(0)
	global_store_dword v[210:211], v212, off
.LBB110_876:
	s_or_b32 exec_lo, exec_lo, s7
	v_mov_b32_e32 v240, v234
	v_mov_b32_e32 v0, v234
.LBB110_877:
	s_or_b32 exec_lo, exec_lo, s1
.LBB110_878:
	s_andn2_saveexec_b32 s0, s0
	s_cbranch_execz .LBB110_880
; %bb.879:
	v_mov_b32_e32 v240, 41
	ds_write2_b64 v1, v[54:55], v[56:57] offset0:84 offset1:85
	ds_write2_b64 v1, v[50:51], v[52:53] offset0:86 offset1:87
	;; [unrolled: 1-line block ×14, first 2 shown]
.LBB110_880:
	s_or_b32 exec_lo, exec_lo, s0
	s_mov_b32 s0, exec_lo
	s_waitcnt lgkmcnt(0)
	s_waitcnt_vscnt null, 0x0
	s_barrier
	buffer_gl0_inv
	v_cmpx_lt_i32_e32 41, v240
	s_cbranch_execz .LBB110_882
; %bb.881:
	v_mul_f64 v[210:211], v[226:227], v[60:61]
	v_mul_f64 v[60:61], v[228:229], v[60:61]
	v_fma_f64 v[210:211], v[228:229], v[58:59], v[210:211]
	v_fma_f64 v[58:59], v[226:227], v[58:59], -v[60:61]
	ds_read2_b64 v[226:229], v1 offset0:84 offset1:85
	s_waitcnt lgkmcnt(0)
	v_mul_f64 v[60:61], v[228:229], v[210:211]
	v_mul_f64 v[212:213], v[226:227], v[210:211]
	v_fma_f64 v[60:61], v[226:227], v[58:59], -v[60:61]
	v_fma_f64 v[212:213], v[228:229], v[58:59], v[212:213]
	ds_read2_b64 v[226:229], v1 offset0:86 offset1:87
	v_add_f64 v[54:55], v[54:55], -v[60:61]
	v_add_f64 v[56:57], v[56:57], -v[212:213]
	s_waitcnt lgkmcnt(0)
	v_mul_f64 v[60:61], v[228:229], v[210:211]
	v_mul_f64 v[212:213], v[226:227], v[210:211]
	v_fma_f64 v[60:61], v[226:227], v[58:59], -v[60:61]
	v_fma_f64 v[212:213], v[228:229], v[58:59], v[212:213]
	ds_read2_b64 v[226:229], v1 offset0:88 offset1:89
	v_add_f64 v[50:51], v[50:51], -v[60:61]
	v_add_f64 v[52:53], v[52:53], -v[212:213]
	s_waitcnt lgkmcnt(0)
	v_mul_f64 v[60:61], v[228:229], v[210:211]
	v_mul_f64 v[212:213], v[226:227], v[210:211]
	v_fma_f64 v[60:61], v[226:227], v[58:59], -v[60:61]
	v_fma_f64 v[212:213], v[228:229], v[58:59], v[212:213]
	ds_read2_b64 v[226:229], v1 offset0:90 offset1:91
	v_add_f64 v[46:47], v[46:47], -v[60:61]
	v_add_f64 v[48:49], v[48:49], -v[212:213]
	s_waitcnt lgkmcnt(0)
	v_mul_f64 v[60:61], v[228:229], v[210:211]
	v_mul_f64 v[212:213], v[226:227], v[210:211]
	v_fma_f64 v[60:61], v[226:227], v[58:59], -v[60:61]
	v_fma_f64 v[212:213], v[228:229], v[58:59], v[212:213]
	ds_read2_b64 v[226:229], v1 offset0:92 offset1:93
	v_add_f64 v[42:43], v[42:43], -v[60:61]
	v_add_f64 v[44:45], v[44:45], -v[212:213]
	s_waitcnt lgkmcnt(0)
	v_mul_f64 v[60:61], v[228:229], v[210:211]
	v_mul_f64 v[212:213], v[226:227], v[210:211]
	v_fma_f64 v[60:61], v[226:227], v[58:59], -v[60:61]
	v_fma_f64 v[212:213], v[228:229], v[58:59], v[212:213]
	ds_read2_b64 v[226:229], v1 offset0:94 offset1:95
	v_add_f64 v[38:39], v[38:39], -v[60:61]
	v_add_f64 v[40:41], v[40:41], -v[212:213]
	s_waitcnt lgkmcnt(0)
	v_mul_f64 v[60:61], v[228:229], v[210:211]
	v_mul_f64 v[212:213], v[226:227], v[210:211]
	v_fma_f64 v[60:61], v[226:227], v[58:59], -v[60:61]
	v_fma_f64 v[212:213], v[228:229], v[58:59], v[212:213]
	ds_read2_b64 v[226:229], v1 offset0:96 offset1:97
	v_add_f64 v[34:35], v[34:35], -v[60:61]
	v_add_f64 v[36:37], v[36:37], -v[212:213]
	s_waitcnt lgkmcnt(0)
	v_mul_f64 v[60:61], v[228:229], v[210:211]
	v_mul_f64 v[212:213], v[226:227], v[210:211]
	v_fma_f64 v[60:61], v[226:227], v[58:59], -v[60:61]
	v_fma_f64 v[212:213], v[228:229], v[58:59], v[212:213]
	ds_read2_b64 v[226:229], v1 offset0:98 offset1:99
	v_add_f64 v[30:31], v[30:31], -v[60:61]
	v_add_f64 v[32:33], v[32:33], -v[212:213]
	s_waitcnt lgkmcnt(0)
	v_mul_f64 v[60:61], v[228:229], v[210:211]
	v_mul_f64 v[212:213], v[226:227], v[210:211]
	v_fma_f64 v[60:61], v[226:227], v[58:59], -v[60:61]
	v_fma_f64 v[212:213], v[228:229], v[58:59], v[212:213]
	ds_read2_b64 v[226:229], v1 offset0:100 offset1:101
	v_add_f64 v[26:27], v[26:27], -v[60:61]
	v_add_f64 v[28:29], v[28:29], -v[212:213]
	s_waitcnt lgkmcnt(0)
	v_mul_f64 v[60:61], v[228:229], v[210:211]
	v_mul_f64 v[212:213], v[226:227], v[210:211]
	v_fma_f64 v[60:61], v[226:227], v[58:59], -v[60:61]
	v_fma_f64 v[212:213], v[228:229], v[58:59], v[212:213]
	ds_read2_b64 v[226:229], v1 offset0:102 offset1:103
	v_add_f64 v[22:23], v[22:23], -v[60:61]
	v_add_f64 v[24:25], v[24:25], -v[212:213]
	s_waitcnt lgkmcnt(0)
	v_mul_f64 v[60:61], v[228:229], v[210:211]
	v_mul_f64 v[212:213], v[226:227], v[210:211]
	v_fma_f64 v[60:61], v[226:227], v[58:59], -v[60:61]
	v_fma_f64 v[212:213], v[228:229], v[58:59], v[212:213]
	ds_read2_b64 v[226:229], v1 offset0:104 offset1:105
	v_add_f64 v[18:19], v[18:19], -v[60:61]
	v_add_f64 v[20:21], v[20:21], -v[212:213]
	s_waitcnt lgkmcnt(0)
	v_mul_f64 v[60:61], v[228:229], v[210:211]
	v_mul_f64 v[212:213], v[226:227], v[210:211]
	v_fma_f64 v[60:61], v[226:227], v[58:59], -v[60:61]
	v_fma_f64 v[212:213], v[228:229], v[58:59], v[212:213]
	ds_read2_b64 v[226:229], v1 offset0:106 offset1:107
	v_add_f64 v[14:15], v[14:15], -v[60:61]
	v_add_f64 v[16:17], v[16:17], -v[212:213]
	s_waitcnt lgkmcnt(0)
	v_mul_f64 v[60:61], v[228:229], v[210:211]
	v_mul_f64 v[212:213], v[226:227], v[210:211]
	v_fma_f64 v[60:61], v[226:227], v[58:59], -v[60:61]
	v_fma_f64 v[212:213], v[228:229], v[58:59], v[212:213]
	ds_read2_b64 v[226:229], v1 offset0:108 offset1:109
	v_add_f64 v[10:11], v[10:11], -v[60:61]
	v_add_f64 v[12:13], v[12:13], -v[212:213]
	s_waitcnt lgkmcnt(0)
	v_mul_f64 v[60:61], v[228:229], v[210:211]
	v_mul_f64 v[212:213], v[226:227], v[210:211]
	v_fma_f64 v[60:61], v[226:227], v[58:59], -v[60:61]
	v_fma_f64 v[212:213], v[228:229], v[58:59], v[212:213]
	ds_read2_b64 v[226:229], v1 offset0:110 offset1:111
	v_add_f64 v[249:250], v[249:250], -v[60:61]
	v_add_f64 v[251:252], v[251:252], -v[212:213]
	s_waitcnt lgkmcnt(0)
	v_mul_f64 v[60:61], v[228:229], v[210:211]
	v_mul_f64 v[212:213], v[226:227], v[210:211]
	v_fma_f64 v[60:61], v[226:227], v[58:59], -v[60:61]
	v_fma_f64 v[212:213], v[228:229], v[58:59], v[212:213]
	v_add_f64 v[230:231], v[230:231], -v[60:61]
	v_add_f64 v[232:233], v[232:233], -v[212:213]
	v_mov_b32_e32 v60, v210
	v_mov_b32_e32 v61, v211
.LBB110_882:
	s_or_b32 exec_lo, exec_lo, s0
	v_lshl_add_u32 v210, v240, 4, v1
	s_barrier
	buffer_gl0_inv
	v_mov_b32_e32 v234, 42
	ds_write2_b64 v210, v[54:55], v[56:57] offset1:1
	s_waitcnt lgkmcnt(0)
	s_barrier
	buffer_gl0_inv
	ds_read2_b64 v[226:229], v1 offset0:84 offset1:85
	s_cmp_lt_i32 s8, 44
	s_cbranch_scc1 .LBB110_885
; %bb.883:
	v_add3_u32 v235, v253, 0, 0x2b0
	v_mov_b32_e32 v234, 42
	s_mov_b32 s1, 43
	s_inst_prefetch 0x1
	.p2align	6
.LBB110_884:                            ; =>This Inner Loop Header: Depth=1
	s_waitcnt lgkmcnt(0)
	v_cmp_gt_f64_e32 vcc_lo, 0, v[228:229]
	v_cmp_gt_f64_e64 s0, 0, v[226:227]
	ds_read2_b64 v[241:244], v235 offset1:1
	v_xor_b32_e32 v211, 0x80000000, v227
	v_xor_b32_e32 v213, 0x80000000, v229
	v_mov_b32_e32 v210, v226
	v_mov_b32_e32 v212, v228
	v_add_nc_u32_e32 v235, 16, v235
	s_waitcnt lgkmcnt(0)
	v_xor_b32_e32 v219, 0x80000000, v244
	v_cndmask_b32_e64 v211, v227, v211, s0
	v_cndmask_b32_e32 v213, v229, v213, vcc_lo
	v_cmp_gt_f64_e32 vcc_lo, 0, v[243:244]
	v_cmp_gt_f64_e64 s0, 0, v[241:242]
	v_mov_b32_e32 v218, v243
	v_add_f64 v[210:211], v[210:211], v[212:213]
	v_xor_b32_e32 v213, 0x80000000, v242
	v_mov_b32_e32 v212, v241
	v_cndmask_b32_e32 v219, v244, v219, vcc_lo
	v_cndmask_b32_e64 v213, v242, v213, s0
	v_add_f64 v[212:213], v[212:213], v[218:219]
	v_cmp_lt_f64_e32 vcc_lo, v[210:211], v[212:213]
	v_cndmask_b32_e32 v227, v227, v242, vcc_lo
	v_cndmask_b32_e32 v226, v226, v241, vcc_lo
	;; [unrolled: 1-line block ×4, first 2 shown]
	v_cndmask_b32_e64 v234, v234, s1, vcc_lo
	s_add_i32 s1, s1, 1
	s_cmp_lg_u32 s8, s1
	s_cbranch_scc1 .LBB110_884
.LBB110_885:
	s_inst_prefetch 0x2
	s_waitcnt lgkmcnt(0)
	v_cmp_eq_f64_e32 vcc_lo, 0, v[226:227]
	v_cmp_eq_f64_e64 s0, 0, v[228:229]
	s_and_b32 s0, vcc_lo, s0
	s_and_saveexec_b32 s1, s0
	s_xor_b32 s0, exec_lo, s1
; %bb.886:
	v_cmp_ne_u32_e32 vcc_lo, 0, v239
	v_cndmask_b32_e32 v239, 43, v239, vcc_lo
; %bb.887:
	s_andn2_saveexec_b32 s0, s0
	s_cbranch_execz .LBB110_893
; %bb.888:
	v_cmp_ngt_f64_e64 s1, |v[226:227]|, |v[228:229]|
	s_and_saveexec_b32 s7, s1
	s_xor_b32 s1, exec_lo, s7
	s_cbranch_execz .LBB110_890
; %bb.889:
	v_div_scale_f64 v[210:211], null, v[228:229], v[228:229], v[226:227]
	v_div_scale_f64 v[220:221], vcc_lo, v[226:227], v[228:229], v[226:227]
	v_rcp_f64_e32 v[212:213], v[210:211]
	v_fma_f64 v[218:219], -v[210:211], v[212:213], 1.0
	v_fma_f64 v[212:213], v[212:213], v[218:219], v[212:213]
	v_fma_f64 v[218:219], -v[210:211], v[212:213], 1.0
	v_fma_f64 v[212:213], v[212:213], v[218:219], v[212:213]
	v_mul_f64 v[218:219], v[220:221], v[212:213]
	v_fma_f64 v[210:211], -v[210:211], v[218:219], v[220:221]
	v_div_fmas_f64 v[210:211], v[210:211], v[212:213], v[218:219]
	v_div_fixup_f64 v[210:211], v[210:211], v[228:229], v[226:227]
	v_fma_f64 v[212:213], v[226:227], v[210:211], v[228:229]
	v_div_scale_f64 v[218:219], null, v[212:213], v[212:213], 1.0
	v_rcp_f64_e32 v[220:221], v[218:219]
	v_fma_f64 v[222:223], -v[218:219], v[220:221], 1.0
	v_fma_f64 v[220:221], v[220:221], v[222:223], v[220:221]
	v_fma_f64 v[222:223], -v[218:219], v[220:221], 1.0
	v_fma_f64 v[220:221], v[220:221], v[222:223], v[220:221]
	v_div_scale_f64 v[222:223], vcc_lo, 1.0, v[212:213], 1.0
	v_mul_f64 v[224:225], v[222:223], v[220:221]
	v_fma_f64 v[218:219], -v[218:219], v[224:225], v[222:223]
	v_div_fmas_f64 v[218:219], v[218:219], v[220:221], v[224:225]
	v_div_fixup_f64 v[228:229], v[218:219], v[212:213], 1.0
	v_mul_f64 v[226:227], v[210:211], v[228:229]
	v_xor_b32_e32 v229, 0x80000000, v229
.LBB110_890:
	s_andn2_saveexec_b32 s1, s1
	s_cbranch_execz .LBB110_892
; %bb.891:
	v_div_scale_f64 v[210:211], null, v[226:227], v[226:227], v[228:229]
	v_div_scale_f64 v[220:221], vcc_lo, v[228:229], v[226:227], v[228:229]
	v_rcp_f64_e32 v[212:213], v[210:211]
	v_fma_f64 v[218:219], -v[210:211], v[212:213], 1.0
	v_fma_f64 v[212:213], v[212:213], v[218:219], v[212:213]
	v_fma_f64 v[218:219], -v[210:211], v[212:213], 1.0
	v_fma_f64 v[212:213], v[212:213], v[218:219], v[212:213]
	v_mul_f64 v[218:219], v[220:221], v[212:213]
	v_fma_f64 v[210:211], -v[210:211], v[218:219], v[220:221]
	v_div_fmas_f64 v[210:211], v[210:211], v[212:213], v[218:219]
	v_div_fixup_f64 v[210:211], v[210:211], v[226:227], v[228:229]
	v_fma_f64 v[212:213], v[228:229], v[210:211], v[226:227]
	v_div_scale_f64 v[218:219], null, v[212:213], v[212:213], 1.0
	v_rcp_f64_e32 v[220:221], v[218:219]
	v_fma_f64 v[222:223], -v[218:219], v[220:221], 1.0
	v_fma_f64 v[220:221], v[220:221], v[222:223], v[220:221]
	v_fma_f64 v[222:223], -v[218:219], v[220:221], 1.0
	v_fma_f64 v[220:221], v[220:221], v[222:223], v[220:221]
	v_div_scale_f64 v[222:223], vcc_lo, 1.0, v[212:213], 1.0
	v_mul_f64 v[224:225], v[222:223], v[220:221]
	v_fma_f64 v[218:219], -v[218:219], v[224:225], v[222:223]
	v_div_fmas_f64 v[218:219], v[218:219], v[220:221], v[224:225]
	v_div_fixup_f64 v[226:227], v[218:219], v[212:213], 1.0
	v_mul_f64 v[228:229], v[210:211], -v[226:227]
.LBB110_892:
	s_or_b32 exec_lo, exec_lo, s1
.LBB110_893:
	s_or_b32 exec_lo, exec_lo, s0
	s_mov_b32 s0, exec_lo
	v_cmpx_ne_u32_e64 v240, v234
	s_xor_b32 s0, exec_lo, s0
	s_cbranch_execz .LBB110_899
; %bb.894:
	s_mov_b32 s1, exec_lo
	v_cmpx_eq_u32_e32 42, v240
	s_cbranch_execz .LBB110_898
; %bb.895:
	v_cmp_ne_u32_e32 vcc_lo, 42, v234
	s_xor_b32 s7, s16, -1
	s_and_b32 s9, s7, vcc_lo
	s_and_saveexec_b32 s7, s9
	s_cbranch_execz .LBB110_897
; %bb.896:
	v_ashrrev_i32_e32 v235, 31, v234
	v_lshlrev_b64 v[210:211], 2, v[234:235]
	v_add_co_u32 v210, vcc_lo, v214, v210
	v_add_co_ci_u32_e64 v211, null, v215, v211, vcc_lo
	s_clause 0x1
	global_load_dword v0, v[210:211], off
	global_load_dword v212, v[214:215], off offset:168
	s_waitcnt vmcnt(1)
	global_store_dword v[214:215], v0, off offset:168
	s_waitcnt vmcnt(0)
	global_store_dword v[210:211], v212, off
.LBB110_897:
	s_or_b32 exec_lo, exec_lo, s7
	v_mov_b32_e32 v240, v234
	v_mov_b32_e32 v0, v234
.LBB110_898:
	s_or_b32 exec_lo, exec_lo, s1
.LBB110_899:
	s_andn2_saveexec_b32 s0, s0
	s_cbranch_execz .LBB110_901
; %bb.900:
	v_mov_b32_e32 v240, 42
	ds_write2_b64 v1, v[50:51], v[52:53] offset0:86 offset1:87
	ds_write2_b64 v1, v[46:47], v[48:49] offset0:88 offset1:89
	;; [unrolled: 1-line block ×13, first 2 shown]
.LBB110_901:
	s_or_b32 exec_lo, exec_lo, s0
	s_mov_b32 s0, exec_lo
	s_waitcnt lgkmcnt(0)
	s_waitcnt_vscnt null, 0x0
	s_barrier
	buffer_gl0_inv
	v_cmpx_lt_i32_e32 42, v240
	s_cbranch_execz .LBB110_903
; %bb.902:
	v_mul_f64 v[210:211], v[226:227], v[56:57]
	v_mul_f64 v[56:57], v[228:229], v[56:57]
	v_fma_f64 v[210:211], v[228:229], v[54:55], v[210:211]
	v_fma_f64 v[54:55], v[226:227], v[54:55], -v[56:57]
	ds_read2_b64 v[226:229], v1 offset0:86 offset1:87
	s_waitcnt lgkmcnt(0)
	v_mul_f64 v[56:57], v[228:229], v[210:211]
	v_mul_f64 v[212:213], v[226:227], v[210:211]
	v_fma_f64 v[56:57], v[226:227], v[54:55], -v[56:57]
	v_fma_f64 v[212:213], v[228:229], v[54:55], v[212:213]
	ds_read2_b64 v[226:229], v1 offset0:88 offset1:89
	v_add_f64 v[50:51], v[50:51], -v[56:57]
	v_add_f64 v[52:53], v[52:53], -v[212:213]
	s_waitcnt lgkmcnt(0)
	v_mul_f64 v[56:57], v[228:229], v[210:211]
	v_mul_f64 v[212:213], v[226:227], v[210:211]
	v_fma_f64 v[56:57], v[226:227], v[54:55], -v[56:57]
	v_fma_f64 v[212:213], v[228:229], v[54:55], v[212:213]
	ds_read2_b64 v[226:229], v1 offset0:90 offset1:91
	v_add_f64 v[46:47], v[46:47], -v[56:57]
	v_add_f64 v[48:49], v[48:49], -v[212:213]
	;; [unrolled: 8-line block ×12, first 2 shown]
	s_waitcnt lgkmcnt(0)
	v_mul_f64 v[56:57], v[228:229], v[210:211]
	v_mul_f64 v[212:213], v[226:227], v[210:211]
	v_fma_f64 v[56:57], v[226:227], v[54:55], -v[56:57]
	v_fma_f64 v[212:213], v[228:229], v[54:55], v[212:213]
	v_add_f64 v[230:231], v[230:231], -v[56:57]
	v_add_f64 v[232:233], v[232:233], -v[212:213]
	v_mov_b32_e32 v56, v210
	v_mov_b32_e32 v57, v211
.LBB110_903:
	s_or_b32 exec_lo, exec_lo, s0
	v_lshl_add_u32 v210, v240, 4, v1
	s_barrier
	buffer_gl0_inv
	v_mov_b32_e32 v234, 43
	ds_write2_b64 v210, v[50:51], v[52:53] offset1:1
	s_waitcnt lgkmcnt(0)
	s_barrier
	buffer_gl0_inv
	ds_read2_b64 v[226:229], v1 offset0:86 offset1:87
	s_cmp_lt_i32 s8, 45
	s_cbranch_scc1 .LBB110_906
; %bb.904:
	v_add3_u32 v235, v253, 0, 0x2c0
	v_mov_b32_e32 v234, 43
	s_mov_b32 s1, 44
	s_inst_prefetch 0x1
	.p2align	6
.LBB110_905:                            ; =>This Inner Loop Header: Depth=1
	s_waitcnt lgkmcnt(0)
	v_cmp_gt_f64_e32 vcc_lo, 0, v[228:229]
	v_cmp_gt_f64_e64 s0, 0, v[226:227]
	ds_read2_b64 v[241:244], v235 offset1:1
	v_xor_b32_e32 v211, 0x80000000, v227
	v_xor_b32_e32 v213, 0x80000000, v229
	v_mov_b32_e32 v210, v226
	v_mov_b32_e32 v212, v228
	v_add_nc_u32_e32 v235, 16, v235
	s_waitcnt lgkmcnt(0)
	v_xor_b32_e32 v219, 0x80000000, v244
	v_cndmask_b32_e64 v211, v227, v211, s0
	v_cndmask_b32_e32 v213, v229, v213, vcc_lo
	v_cmp_gt_f64_e32 vcc_lo, 0, v[243:244]
	v_cmp_gt_f64_e64 s0, 0, v[241:242]
	v_mov_b32_e32 v218, v243
	v_add_f64 v[210:211], v[210:211], v[212:213]
	v_xor_b32_e32 v213, 0x80000000, v242
	v_mov_b32_e32 v212, v241
	v_cndmask_b32_e32 v219, v244, v219, vcc_lo
	v_cndmask_b32_e64 v213, v242, v213, s0
	v_add_f64 v[212:213], v[212:213], v[218:219]
	v_cmp_lt_f64_e32 vcc_lo, v[210:211], v[212:213]
	v_cndmask_b32_e32 v227, v227, v242, vcc_lo
	v_cndmask_b32_e32 v226, v226, v241, vcc_lo
	;; [unrolled: 1-line block ×4, first 2 shown]
	v_cndmask_b32_e64 v234, v234, s1, vcc_lo
	s_add_i32 s1, s1, 1
	s_cmp_lg_u32 s8, s1
	s_cbranch_scc1 .LBB110_905
.LBB110_906:
	s_inst_prefetch 0x2
	s_waitcnt lgkmcnt(0)
	v_cmp_eq_f64_e32 vcc_lo, 0, v[226:227]
	v_cmp_eq_f64_e64 s0, 0, v[228:229]
	s_and_b32 s0, vcc_lo, s0
	s_and_saveexec_b32 s1, s0
	s_xor_b32 s0, exec_lo, s1
; %bb.907:
	v_cmp_ne_u32_e32 vcc_lo, 0, v239
	v_cndmask_b32_e32 v239, 44, v239, vcc_lo
; %bb.908:
	s_andn2_saveexec_b32 s0, s0
	s_cbranch_execz .LBB110_914
; %bb.909:
	v_cmp_ngt_f64_e64 s1, |v[226:227]|, |v[228:229]|
	s_and_saveexec_b32 s7, s1
	s_xor_b32 s1, exec_lo, s7
	s_cbranch_execz .LBB110_911
; %bb.910:
	v_div_scale_f64 v[210:211], null, v[228:229], v[228:229], v[226:227]
	v_div_scale_f64 v[220:221], vcc_lo, v[226:227], v[228:229], v[226:227]
	v_rcp_f64_e32 v[212:213], v[210:211]
	v_fma_f64 v[218:219], -v[210:211], v[212:213], 1.0
	v_fma_f64 v[212:213], v[212:213], v[218:219], v[212:213]
	v_fma_f64 v[218:219], -v[210:211], v[212:213], 1.0
	v_fma_f64 v[212:213], v[212:213], v[218:219], v[212:213]
	v_mul_f64 v[218:219], v[220:221], v[212:213]
	v_fma_f64 v[210:211], -v[210:211], v[218:219], v[220:221]
	v_div_fmas_f64 v[210:211], v[210:211], v[212:213], v[218:219]
	v_div_fixup_f64 v[210:211], v[210:211], v[228:229], v[226:227]
	v_fma_f64 v[212:213], v[226:227], v[210:211], v[228:229]
	v_div_scale_f64 v[218:219], null, v[212:213], v[212:213], 1.0
	v_rcp_f64_e32 v[220:221], v[218:219]
	v_fma_f64 v[222:223], -v[218:219], v[220:221], 1.0
	v_fma_f64 v[220:221], v[220:221], v[222:223], v[220:221]
	v_fma_f64 v[222:223], -v[218:219], v[220:221], 1.0
	v_fma_f64 v[220:221], v[220:221], v[222:223], v[220:221]
	v_div_scale_f64 v[222:223], vcc_lo, 1.0, v[212:213], 1.0
	v_mul_f64 v[224:225], v[222:223], v[220:221]
	v_fma_f64 v[218:219], -v[218:219], v[224:225], v[222:223]
	v_div_fmas_f64 v[218:219], v[218:219], v[220:221], v[224:225]
	v_div_fixup_f64 v[228:229], v[218:219], v[212:213], 1.0
	v_mul_f64 v[226:227], v[210:211], v[228:229]
	v_xor_b32_e32 v229, 0x80000000, v229
.LBB110_911:
	s_andn2_saveexec_b32 s1, s1
	s_cbranch_execz .LBB110_913
; %bb.912:
	v_div_scale_f64 v[210:211], null, v[226:227], v[226:227], v[228:229]
	v_div_scale_f64 v[220:221], vcc_lo, v[228:229], v[226:227], v[228:229]
	v_rcp_f64_e32 v[212:213], v[210:211]
	v_fma_f64 v[218:219], -v[210:211], v[212:213], 1.0
	v_fma_f64 v[212:213], v[212:213], v[218:219], v[212:213]
	v_fma_f64 v[218:219], -v[210:211], v[212:213], 1.0
	v_fma_f64 v[212:213], v[212:213], v[218:219], v[212:213]
	v_mul_f64 v[218:219], v[220:221], v[212:213]
	v_fma_f64 v[210:211], -v[210:211], v[218:219], v[220:221]
	v_div_fmas_f64 v[210:211], v[210:211], v[212:213], v[218:219]
	v_div_fixup_f64 v[210:211], v[210:211], v[226:227], v[228:229]
	v_fma_f64 v[212:213], v[228:229], v[210:211], v[226:227]
	v_div_scale_f64 v[218:219], null, v[212:213], v[212:213], 1.0
	v_rcp_f64_e32 v[220:221], v[218:219]
	v_fma_f64 v[222:223], -v[218:219], v[220:221], 1.0
	v_fma_f64 v[220:221], v[220:221], v[222:223], v[220:221]
	v_fma_f64 v[222:223], -v[218:219], v[220:221], 1.0
	v_fma_f64 v[220:221], v[220:221], v[222:223], v[220:221]
	v_div_scale_f64 v[222:223], vcc_lo, 1.0, v[212:213], 1.0
	v_mul_f64 v[224:225], v[222:223], v[220:221]
	v_fma_f64 v[218:219], -v[218:219], v[224:225], v[222:223]
	v_div_fmas_f64 v[218:219], v[218:219], v[220:221], v[224:225]
	v_div_fixup_f64 v[226:227], v[218:219], v[212:213], 1.0
	v_mul_f64 v[228:229], v[210:211], -v[226:227]
.LBB110_913:
	s_or_b32 exec_lo, exec_lo, s1
.LBB110_914:
	s_or_b32 exec_lo, exec_lo, s0
	s_mov_b32 s0, exec_lo
	v_cmpx_ne_u32_e64 v240, v234
	s_xor_b32 s0, exec_lo, s0
	s_cbranch_execz .LBB110_920
; %bb.915:
	s_mov_b32 s1, exec_lo
	v_cmpx_eq_u32_e32 43, v240
	s_cbranch_execz .LBB110_919
; %bb.916:
	v_cmp_ne_u32_e32 vcc_lo, 43, v234
	s_xor_b32 s7, s16, -1
	s_and_b32 s9, s7, vcc_lo
	s_and_saveexec_b32 s7, s9
	s_cbranch_execz .LBB110_918
; %bb.917:
	v_ashrrev_i32_e32 v235, 31, v234
	v_lshlrev_b64 v[210:211], 2, v[234:235]
	v_add_co_u32 v210, vcc_lo, v214, v210
	v_add_co_ci_u32_e64 v211, null, v215, v211, vcc_lo
	s_clause 0x1
	global_load_dword v0, v[210:211], off
	global_load_dword v212, v[214:215], off offset:172
	s_waitcnt vmcnt(1)
	global_store_dword v[214:215], v0, off offset:172
	s_waitcnt vmcnt(0)
	global_store_dword v[210:211], v212, off
.LBB110_918:
	s_or_b32 exec_lo, exec_lo, s7
	v_mov_b32_e32 v240, v234
	v_mov_b32_e32 v0, v234
.LBB110_919:
	s_or_b32 exec_lo, exec_lo, s1
.LBB110_920:
	s_andn2_saveexec_b32 s0, s0
	s_cbranch_execz .LBB110_922
; %bb.921:
	v_mov_b32_e32 v240, 43
	ds_write2_b64 v1, v[46:47], v[48:49] offset0:88 offset1:89
	ds_write2_b64 v1, v[42:43], v[44:45] offset0:90 offset1:91
	;; [unrolled: 1-line block ×12, first 2 shown]
.LBB110_922:
	s_or_b32 exec_lo, exec_lo, s0
	s_mov_b32 s0, exec_lo
	s_waitcnt lgkmcnt(0)
	s_waitcnt_vscnt null, 0x0
	s_barrier
	buffer_gl0_inv
	v_cmpx_lt_i32_e32 43, v240
	s_cbranch_execz .LBB110_924
; %bb.923:
	v_mul_f64 v[210:211], v[226:227], v[52:53]
	v_mul_f64 v[52:53], v[228:229], v[52:53]
	v_fma_f64 v[210:211], v[228:229], v[50:51], v[210:211]
	v_fma_f64 v[50:51], v[226:227], v[50:51], -v[52:53]
	ds_read2_b64 v[226:229], v1 offset0:88 offset1:89
	s_waitcnt lgkmcnt(0)
	v_mul_f64 v[52:53], v[228:229], v[210:211]
	v_mul_f64 v[212:213], v[226:227], v[210:211]
	v_fma_f64 v[52:53], v[226:227], v[50:51], -v[52:53]
	v_fma_f64 v[212:213], v[228:229], v[50:51], v[212:213]
	ds_read2_b64 v[226:229], v1 offset0:90 offset1:91
	v_add_f64 v[46:47], v[46:47], -v[52:53]
	v_add_f64 v[48:49], v[48:49], -v[212:213]
	s_waitcnt lgkmcnt(0)
	v_mul_f64 v[52:53], v[228:229], v[210:211]
	v_mul_f64 v[212:213], v[226:227], v[210:211]
	v_fma_f64 v[52:53], v[226:227], v[50:51], -v[52:53]
	v_fma_f64 v[212:213], v[228:229], v[50:51], v[212:213]
	ds_read2_b64 v[226:229], v1 offset0:92 offset1:93
	v_add_f64 v[42:43], v[42:43], -v[52:53]
	v_add_f64 v[44:45], v[44:45], -v[212:213]
	;; [unrolled: 8-line block ×11, first 2 shown]
	s_waitcnt lgkmcnt(0)
	v_mul_f64 v[52:53], v[228:229], v[210:211]
	v_mul_f64 v[212:213], v[226:227], v[210:211]
	v_fma_f64 v[52:53], v[226:227], v[50:51], -v[52:53]
	v_fma_f64 v[212:213], v[228:229], v[50:51], v[212:213]
	v_add_f64 v[230:231], v[230:231], -v[52:53]
	v_add_f64 v[232:233], v[232:233], -v[212:213]
	v_mov_b32_e32 v52, v210
	v_mov_b32_e32 v53, v211
.LBB110_924:
	s_or_b32 exec_lo, exec_lo, s0
	v_lshl_add_u32 v210, v240, 4, v1
	s_barrier
	buffer_gl0_inv
	v_mov_b32_e32 v234, 44
	ds_write2_b64 v210, v[46:47], v[48:49] offset1:1
	s_waitcnt lgkmcnt(0)
	s_barrier
	buffer_gl0_inv
	ds_read2_b64 v[226:229], v1 offset0:88 offset1:89
	s_cmp_lt_i32 s8, 46
	s_cbranch_scc1 .LBB110_927
; %bb.925:
	v_add3_u32 v235, v253, 0, 0x2d0
	v_mov_b32_e32 v234, 44
	s_mov_b32 s1, 45
	s_inst_prefetch 0x1
	.p2align	6
.LBB110_926:                            ; =>This Inner Loop Header: Depth=1
	s_waitcnt lgkmcnt(0)
	v_cmp_gt_f64_e32 vcc_lo, 0, v[228:229]
	v_cmp_gt_f64_e64 s0, 0, v[226:227]
	ds_read2_b64 v[241:244], v235 offset1:1
	v_xor_b32_e32 v211, 0x80000000, v227
	v_xor_b32_e32 v213, 0x80000000, v229
	v_mov_b32_e32 v210, v226
	v_mov_b32_e32 v212, v228
	v_add_nc_u32_e32 v235, 16, v235
	s_waitcnt lgkmcnt(0)
	v_xor_b32_e32 v219, 0x80000000, v244
	v_cndmask_b32_e64 v211, v227, v211, s0
	v_cndmask_b32_e32 v213, v229, v213, vcc_lo
	v_cmp_gt_f64_e32 vcc_lo, 0, v[243:244]
	v_cmp_gt_f64_e64 s0, 0, v[241:242]
	v_mov_b32_e32 v218, v243
	v_add_f64 v[210:211], v[210:211], v[212:213]
	v_xor_b32_e32 v213, 0x80000000, v242
	v_mov_b32_e32 v212, v241
	v_cndmask_b32_e32 v219, v244, v219, vcc_lo
	v_cndmask_b32_e64 v213, v242, v213, s0
	v_add_f64 v[212:213], v[212:213], v[218:219]
	v_cmp_lt_f64_e32 vcc_lo, v[210:211], v[212:213]
	v_cndmask_b32_e32 v227, v227, v242, vcc_lo
	v_cndmask_b32_e32 v226, v226, v241, vcc_lo
	;; [unrolled: 1-line block ×4, first 2 shown]
	v_cndmask_b32_e64 v234, v234, s1, vcc_lo
	s_add_i32 s1, s1, 1
	s_cmp_lg_u32 s8, s1
	s_cbranch_scc1 .LBB110_926
.LBB110_927:
	s_inst_prefetch 0x2
	s_waitcnt lgkmcnt(0)
	v_cmp_eq_f64_e32 vcc_lo, 0, v[226:227]
	v_cmp_eq_f64_e64 s0, 0, v[228:229]
	s_and_b32 s0, vcc_lo, s0
	s_and_saveexec_b32 s1, s0
	s_xor_b32 s0, exec_lo, s1
; %bb.928:
	v_cmp_ne_u32_e32 vcc_lo, 0, v239
	v_cndmask_b32_e32 v239, 45, v239, vcc_lo
; %bb.929:
	s_andn2_saveexec_b32 s0, s0
	s_cbranch_execz .LBB110_935
; %bb.930:
	v_cmp_ngt_f64_e64 s1, |v[226:227]|, |v[228:229]|
	s_and_saveexec_b32 s7, s1
	s_xor_b32 s1, exec_lo, s7
	s_cbranch_execz .LBB110_932
; %bb.931:
	v_div_scale_f64 v[210:211], null, v[228:229], v[228:229], v[226:227]
	v_div_scale_f64 v[220:221], vcc_lo, v[226:227], v[228:229], v[226:227]
	v_rcp_f64_e32 v[212:213], v[210:211]
	v_fma_f64 v[218:219], -v[210:211], v[212:213], 1.0
	v_fma_f64 v[212:213], v[212:213], v[218:219], v[212:213]
	v_fma_f64 v[218:219], -v[210:211], v[212:213], 1.0
	v_fma_f64 v[212:213], v[212:213], v[218:219], v[212:213]
	v_mul_f64 v[218:219], v[220:221], v[212:213]
	v_fma_f64 v[210:211], -v[210:211], v[218:219], v[220:221]
	v_div_fmas_f64 v[210:211], v[210:211], v[212:213], v[218:219]
	v_div_fixup_f64 v[210:211], v[210:211], v[228:229], v[226:227]
	v_fma_f64 v[212:213], v[226:227], v[210:211], v[228:229]
	v_div_scale_f64 v[218:219], null, v[212:213], v[212:213], 1.0
	v_rcp_f64_e32 v[220:221], v[218:219]
	v_fma_f64 v[222:223], -v[218:219], v[220:221], 1.0
	v_fma_f64 v[220:221], v[220:221], v[222:223], v[220:221]
	v_fma_f64 v[222:223], -v[218:219], v[220:221], 1.0
	v_fma_f64 v[220:221], v[220:221], v[222:223], v[220:221]
	v_div_scale_f64 v[222:223], vcc_lo, 1.0, v[212:213], 1.0
	v_mul_f64 v[224:225], v[222:223], v[220:221]
	v_fma_f64 v[218:219], -v[218:219], v[224:225], v[222:223]
	v_div_fmas_f64 v[218:219], v[218:219], v[220:221], v[224:225]
	v_div_fixup_f64 v[228:229], v[218:219], v[212:213], 1.0
	v_mul_f64 v[226:227], v[210:211], v[228:229]
	v_xor_b32_e32 v229, 0x80000000, v229
.LBB110_932:
	s_andn2_saveexec_b32 s1, s1
	s_cbranch_execz .LBB110_934
; %bb.933:
	v_div_scale_f64 v[210:211], null, v[226:227], v[226:227], v[228:229]
	v_div_scale_f64 v[220:221], vcc_lo, v[228:229], v[226:227], v[228:229]
	v_rcp_f64_e32 v[212:213], v[210:211]
	v_fma_f64 v[218:219], -v[210:211], v[212:213], 1.0
	v_fma_f64 v[212:213], v[212:213], v[218:219], v[212:213]
	v_fma_f64 v[218:219], -v[210:211], v[212:213], 1.0
	v_fma_f64 v[212:213], v[212:213], v[218:219], v[212:213]
	v_mul_f64 v[218:219], v[220:221], v[212:213]
	v_fma_f64 v[210:211], -v[210:211], v[218:219], v[220:221]
	v_div_fmas_f64 v[210:211], v[210:211], v[212:213], v[218:219]
	v_div_fixup_f64 v[210:211], v[210:211], v[226:227], v[228:229]
	v_fma_f64 v[212:213], v[228:229], v[210:211], v[226:227]
	v_div_scale_f64 v[218:219], null, v[212:213], v[212:213], 1.0
	v_rcp_f64_e32 v[220:221], v[218:219]
	v_fma_f64 v[222:223], -v[218:219], v[220:221], 1.0
	v_fma_f64 v[220:221], v[220:221], v[222:223], v[220:221]
	v_fma_f64 v[222:223], -v[218:219], v[220:221], 1.0
	v_fma_f64 v[220:221], v[220:221], v[222:223], v[220:221]
	v_div_scale_f64 v[222:223], vcc_lo, 1.0, v[212:213], 1.0
	v_mul_f64 v[224:225], v[222:223], v[220:221]
	v_fma_f64 v[218:219], -v[218:219], v[224:225], v[222:223]
	v_div_fmas_f64 v[218:219], v[218:219], v[220:221], v[224:225]
	v_div_fixup_f64 v[226:227], v[218:219], v[212:213], 1.0
	v_mul_f64 v[228:229], v[210:211], -v[226:227]
.LBB110_934:
	s_or_b32 exec_lo, exec_lo, s1
.LBB110_935:
	s_or_b32 exec_lo, exec_lo, s0
	s_mov_b32 s0, exec_lo
	v_cmpx_ne_u32_e64 v240, v234
	s_xor_b32 s0, exec_lo, s0
	s_cbranch_execz .LBB110_941
; %bb.936:
	s_mov_b32 s1, exec_lo
	v_cmpx_eq_u32_e32 44, v240
	s_cbranch_execz .LBB110_940
; %bb.937:
	v_cmp_ne_u32_e32 vcc_lo, 44, v234
	s_xor_b32 s7, s16, -1
	s_and_b32 s9, s7, vcc_lo
	s_and_saveexec_b32 s7, s9
	s_cbranch_execz .LBB110_939
; %bb.938:
	v_ashrrev_i32_e32 v235, 31, v234
	v_lshlrev_b64 v[210:211], 2, v[234:235]
	v_add_co_u32 v210, vcc_lo, v214, v210
	v_add_co_ci_u32_e64 v211, null, v215, v211, vcc_lo
	s_clause 0x1
	global_load_dword v0, v[210:211], off
	global_load_dword v212, v[214:215], off offset:176
	s_waitcnt vmcnt(1)
	global_store_dword v[214:215], v0, off offset:176
	s_waitcnt vmcnt(0)
	global_store_dword v[210:211], v212, off
.LBB110_939:
	s_or_b32 exec_lo, exec_lo, s7
	v_mov_b32_e32 v240, v234
	v_mov_b32_e32 v0, v234
.LBB110_940:
	s_or_b32 exec_lo, exec_lo, s1
.LBB110_941:
	s_andn2_saveexec_b32 s0, s0
	s_cbranch_execz .LBB110_943
; %bb.942:
	v_mov_b32_e32 v240, 44
	ds_write2_b64 v1, v[42:43], v[44:45] offset0:90 offset1:91
	ds_write2_b64 v1, v[38:39], v[40:41] offset0:92 offset1:93
	;; [unrolled: 1-line block ×11, first 2 shown]
.LBB110_943:
	s_or_b32 exec_lo, exec_lo, s0
	s_mov_b32 s0, exec_lo
	s_waitcnt lgkmcnt(0)
	s_waitcnt_vscnt null, 0x0
	s_barrier
	buffer_gl0_inv
	v_cmpx_lt_i32_e32 44, v240
	s_cbranch_execz .LBB110_945
; %bb.944:
	v_mul_f64 v[210:211], v[226:227], v[48:49]
	v_mul_f64 v[48:49], v[228:229], v[48:49]
	v_fma_f64 v[210:211], v[228:229], v[46:47], v[210:211]
	v_fma_f64 v[46:47], v[226:227], v[46:47], -v[48:49]
	ds_read2_b64 v[226:229], v1 offset0:90 offset1:91
	s_waitcnt lgkmcnt(0)
	v_mul_f64 v[48:49], v[228:229], v[210:211]
	v_mul_f64 v[212:213], v[226:227], v[210:211]
	v_fma_f64 v[48:49], v[226:227], v[46:47], -v[48:49]
	v_fma_f64 v[212:213], v[228:229], v[46:47], v[212:213]
	ds_read2_b64 v[226:229], v1 offset0:92 offset1:93
	v_add_f64 v[42:43], v[42:43], -v[48:49]
	v_add_f64 v[44:45], v[44:45], -v[212:213]
	s_waitcnt lgkmcnt(0)
	v_mul_f64 v[48:49], v[228:229], v[210:211]
	v_mul_f64 v[212:213], v[226:227], v[210:211]
	v_fma_f64 v[48:49], v[226:227], v[46:47], -v[48:49]
	v_fma_f64 v[212:213], v[228:229], v[46:47], v[212:213]
	ds_read2_b64 v[226:229], v1 offset0:94 offset1:95
	v_add_f64 v[38:39], v[38:39], -v[48:49]
	v_add_f64 v[40:41], v[40:41], -v[212:213]
	;; [unrolled: 8-line block ×10, first 2 shown]
	s_waitcnt lgkmcnt(0)
	v_mul_f64 v[48:49], v[228:229], v[210:211]
	v_mul_f64 v[212:213], v[226:227], v[210:211]
	v_fma_f64 v[48:49], v[226:227], v[46:47], -v[48:49]
	v_fma_f64 v[212:213], v[228:229], v[46:47], v[212:213]
	v_add_f64 v[230:231], v[230:231], -v[48:49]
	v_add_f64 v[232:233], v[232:233], -v[212:213]
	v_mov_b32_e32 v48, v210
	v_mov_b32_e32 v49, v211
.LBB110_945:
	s_or_b32 exec_lo, exec_lo, s0
	v_lshl_add_u32 v210, v240, 4, v1
	s_barrier
	buffer_gl0_inv
	v_mov_b32_e32 v234, 45
	ds_write2_b64 v210, v[42:43], v[44:45] offset1:1
	s_waitcnt lgkmcnt(0)
	s_barrier
	buffer_gl0_inv
	ds_read2_b64 v[226:229], v1 offset0:90 offset1:91
	s_cmp_lt_i32 s8, 47
	s_cbranch_scc1 .LBB110_948
; %bb.946:
	v_add3_u32 v235, v253, 0, 0x2e0
	v_mov_b32_e32 v234, 45
	s_mov_b32 s1, 46
	s_inst_prefetch 0x1
	.p2align	6
.LBB110_947:                            ; =>This Inner Loop Header: Depth=1
	s_waitcnt lgkmcnt(0)
	v_cmp_gt_f64_e32 vcc_lo, 0, v[228:229]
	v_cmp_gt_f64_e64 s0, 0, v[226:227]
	ds_read2_b64 v[241:244], v235 offset1:1
	v_xor_b32_e32 v211, 0x80000000, v227
	v_xor_b32_e32 v213, 0x80000000, v229
	v_mov_b32_e32 v210, v226
	v_mov_b32_e32 v212, v228
	v_add_nc_u32_e32 v235, 16, v235
	s_waitcnt lgkmcnt(0)
	v_xor_b32_e32 v219, 0x80000000, v244
	v_cndmask_b32_e64 v211, v227, v211, s0
	v_cndmask_b32_e32 v213, v229, v213, vcc_lo
	v_cmp_gt_f64_e32 vcc_lo, 0, v[243:244]
	v_cmp_gt_f64_e64 s0, 0, v[241:242]
	v_mov_b32_e32 v218, v243
	v_add_f64 v[210:211], v[210:211], v[212:213]
	v_xor_b32_e32 v213, 0x80000000, v242
	v_mov_b32_e32 v212, v241
	v_cndmask_b32_e32 v219, v244, v219, vcc_lo
	v_cndmask_b32_e64 v213, v242, v213, s0
	v_add_f64 v[212:213], v[212:213], v[218:219]
	v_cmp_lt_f64_e32 vcc_lo, v[210:211], v[212:213]
	v_cndmask_b32_e32 v227, v227, v242, vcc_lo
	v_cndmask_b32_e32 v226, v226, v241, vcc_lo
	;; [unrolled: 1-line block ×4, first 2 shown]
	v_cndmask_b32_e64 v234, v234, s1, vcc_lo
	s_add_i32 s1, s1, 1
	s_cmp_lg_u32 s8, s1
	s_cbranch_scc1 .LBB110_947
.LBB110_948:
	s_inst_prefetch 0x2
	s_waitcnt lgkmcnt(0)
	v_cmp_eq_f64_e32 vcc_lo, 0, v[226:227]
	v_cmp_eq_f64_e64 s0, 0, v[228:229]
	s_and_b32 s0, vcc_lo, s0
	s_and_saveexec_b32 s1, s0
	s_xor_b32 s0, exec_lo, s1
; %bb.949:
	v_cmp_ne_u32_e32 vcc_lo, 0, v239
	v_cndmask_b32_e32 v239, 46, v239, vcc_lo
; %bb.950:
	s_andn2_saveexec_b32 s0, s0
	s_cbranch_execz .LBB110_956
; %bb.951:
	v_cmp_ngt_f64_e64 s1, |v[226:227]|, |v[228:229]|
	s_and_saveexec_b32 s7, s1
	s_xor_b32 s1, exec_lo, s7
	s_cbranch_execz .LBB110_953
; %bb.952:
	v_div_scale_f64 v[210:211], null, v[228:229], v[228:229], v[226:227]
	v_div_scale_f64 v[220:221], vcc_lo, v[226:227], v[228:229], v[226:227]
	v_rcp_f64_e32 v[212:213], v[210:211]
	v_fma_f64 v[218:219], -v[210:211], v[212:213], 1.0
	v_fma_f64 v[212:213], v[212:213], v[218:219], v[212:213]
	v_fma_f64 v[218:219], -v[210:211], v[212:213], 1.0
	v_fma_f64 v[212:213], v[212:213], v[218:219], v[212:213]
	v_mul_f64 v[218:219], v[220:221], v[212:213]
	v_fma_f64 v[210:211], -v[210:211], v[218:219], v[220:221]
	v_div_fmas_f64 v[210:211], v[210:211], v[212:213], v[218:219]
	v_div_fixup_f64 v[210:211], v[210:211], v[228:229], v[226:227]
	v_fma_f64 v[212:213], v[226:227], v[210:211], v[228:229]
	v_div_scale_f64 v[218:219], null, v[212:213], v[212:213], 1.0
	v_rcp_f64_e32 v[220:221], v[218:219]
	v_fma_f64 v[222:223], -v[218:219], v[220:221], 1.0
	v_fma_f64 v[220:221], v[220:221], v[222:223], v[220:221]
	v_fma_f64 v[222:223], -v[218:219], v[220:221], 1.0
	v_fma_f64 v[220:221], v[220:221], v[222:223], v[220:221]
	v_div_scale_f64 v[222:223], vcc_lo, 1.0, v[212:213], 1.0
	v_mul_f64 v[224:225], v[222:223], v[220:221]
	v_fma_f64 v[218:219], -v[218:219], v[224:225], v[222:223]
	v_div_fmas_f64 v[218:219], v[218:219], v[220:221], v[224:225]
	v_div_fixup_f64 v[228:229], v[218:219], v[212:213], 1.0
	v_mul_f64 v[226:227], v[210:211], v[228:229]
	v_xor_b32_e32 v229, 0x80000000, v229
.LBB110_953:
	s_andn2_saveexec_b32 s1, s1
	s_cbranch_execz .LBB110_955
; %bb.954:
	v_div_scale_f64 v[210:211], null, v[226:227], v[226:227], v[228:229]
	v_div_scale_f64 v[220:221], vcc_lo, v[228:229], v[226:227], v[228:229]
	v_rcp_f64_e32 v[212:213], v[210:211]
	v_fma_f64 v[218:219], -v[210:211], v[212:213], 1.0
	v_fma_f64 v[212:213], v[212:213], v[218:219], v[212:213]
	v_fma_f64 v[218:219], -v[210:211], v[212:213], 1.0
	v_fma_f64 v[212:213], v[212:213], v[218:219], v[212:213]
	v_mul_f64 v[218:219], v[220:221], v[212:213]
	v_fma_f64 v[210:211], -v[210:211], v[218:219], v[220:221]
	v_div_fmas_f64 v[210:211], v[210:211], v[212:213], v[218:219]
	v_div_fixup_f64 v[210:211], v[210:211], v[226:227], v[228:229]
	v_fma_f64 v[212:213], v[228:229], v[210:211], v[226:227]
	v_div_scale_f64 v[218:219], null, v[212:213], v[212:213], 1.0
	v_rcp_f64_e32 v[220:221], v[218:219]
	v_fma_f64 v[222:223], -v[218:219], v[220:221], 1.0
	v_fma_f64 v[220:221], v[220:221], v[222:223], v[220:221]
	v_fma_f64 v[222:223], -v[218:219], v[220:221], 1.0
	v_fma_f64 v[220:221], v[220:221], v[222:223], v[220:221]
	v_div_scale_f64 v[222:223], vcc_lo, 1.0, v[212:213], 1.0
	v_mul_f64 v[224:225], v[222:223], v[220:221]
	v_fma_f64 v[218:219], -v[218:219], v[224:225], v[222:223]
	v_div_fmas_f64 v[218:219], v[218:219], v[220:221], v[224:225]
	v_div_fixup_f64 v[226:227], v[218:219], v[212:213], 1.0
	v_mul_f64 v[228:229], v[210:211], -v[226:227]
.LBB110_955:
	s_or_b32 exec_lo, exec_lo, s1
.LBB110_956:
	s_or_b32 exec_lo, exec_lo, s0
	s_mov_b32 s0, exec_lo
	v_cmpx_ne_u32_e64 v240, v234
	s_xor_b32 s0, exec_lo, s0
	s_cbranch_execz .LBB110_962
; %bb.957:
	s_mov_b32 s1, exec_lo
	v_cmpx_eq_u32_e32 45, v240
	s_cbranch_execz .LBB110_961
; %bb.958:
	v_cmp_ne_u32_e32 vcc_lo, 45, v234
	s_xor_b32 s7, s16, -1
	s_and_b32 s9, s7, vcc_lo
	s_and_saveexec_b32 s7, s9
	s_cbranch_execz .LBB110_960
; %bb.959:
	v_ashrrev_i32_e32 v235, 31, v234
	v_lshlrev_b64 v[210:211], 2, v[234:235]
	v_add_co_u32 v210, vcc_lo, v214, v210
	v_add_co_ci_u32_e64 v211, null, v215, v211, vcc_lo
	s_clause 0x1
	global_load_dword v0, v[210:211], off
	global_load_dword v212, v[214:215], off offset:180
	s_waitcnt vmcnt(1)
	global_store_dword v[214:215], v0, off offset:180
	s_waitcnt vmcnt(0)
	global_store_dword v[210:211], v212, off
.LBB110_960:
	s_or_b32 exec_lo, exec_lo, s7
	v_mov_b32_e32 v240, v234
	v_mov_b32_e32 v0, v234
.LBB110_961:
	s_or_b32 exec_lo, exec_lo, s1
.LBB110_962:
	s_andn2_saveexec_b32 s0, s0
	s_cbranch_execz .LBB110_964
; %bb.963:
	v_mov_b32_e32 v240, 45
	ds_write2_b64 v1, v[38:39], v[40:41] offset0:92 offset1:93
	ds_write2_b64 v1, v[34:35], v[36:37] offset0:94 offset1:95
	;; [unrolled: 1-line block ×10, first 2 shown]
.LBB110_964:
	s_or_b32 exec_lo, exec_lo, s0
	s_mov_b32 s0, exec_lo
	s_waitcnt lgkmcnt(0)
	s_waitcnt_vscnt null, 0x0
	s_barrier
	buffer_gl0_inv
	v_cmpx_lt_i32_e32 45, v240
	s_cbranch_execz .LBB110_966
; %bb.965:
	v_mul_f64 v[210:211], v[226:227], v[44:45]
	v_mul_f64 v[44:45], v[228:229], v[44:45]
	v_fma_f64 v[210:211], v[228:229], v[42:43], v[210:211]
	v_fma_f64 v[42:43], v[226:227], v[42:43], -v[44:45]
	ds_read2_b64 v[226:229], v1 offset0:92 offset1:93
	s_waitcnt lgkmcnt(0)
	v_mul_f64 v[44:45], v[228:229], v[210:211]
	v_mul_f64 v[212:213], v[226:227], v[210:211]
	v_fma_f64 v[44:45], v[226:227], v[42:43], -v[44:45]
	v_fma_f64 v[212:213], v[228:229], v[42:43], v[212:213]
	ds_read2_b64 v[226:229], v1 offset0:94 offset1:95
	v_add_f64 v[38:39], v[38:39], -v[44:45]
	v_add_f64 v[40:41], v[40:41], -v[212:213]
	s_waitcnt lgkmcnt(0)
	v_mul_f64 v[44:45], v[228:229], v[210:211]
	v_mul_f64 v[212:213], v[226:227], v[210:211]
	v_fma_f64 v[44:45], v[226:227], v[42:43], -v[44:45]
	v_fma_f64 v[212:213], v[228:229], v[42:43], v[212:213]
	ds_read2_b64 v[226:229], v1 offset0:96 offset1:97
	v_add_f64 v[34:35], v[34:35], -v[44:45]
	v_add_f64 v[36:37], v[36:37], -v[212:213]
	;; [unrolled: 8-line block ×9, first 2 shown]
	s_waitcnt lgkmcnt(0)
	v_mul_f64 v[44:45], v[228:229], v[210:211]
	v_mul_f64 v[212:213], v[226:227], v[210:211]
	v_fma_f64 v[44:45], v[226:227], v[42:43], -v[44:45]
	v_fma_f64 v[212:213], v[228:229], v[42:43], v[212:213]
	v_add_f64 v[230:231], v[230:231], -v[44:45]
	v_add_f64 v[232:233], v[232:233], -v[212:213]
	v_mov_b32_e32 v44, v210
	v_mov_b32_e32 v45, v211
.LBB110_966:
	s_or_b32 exec_lo, exec_lo, s0
	v_lshl_add_u32 v210, v240, 4, v1
	s_barrier
	buffer_gl0_inv
	v_mov_b32_e32 v234, 46
	ds_write2_b64 v210, v[38:39], v[40:41] offset1:1
	s_waitcnt lgkmcnt(0)
	s_barrier
	buffer_gl0_inv
	ds_read2_b64 v[226:229], v1 offset0:92 offset1:93
	s_cmp_lt_i32 s8, 48
	s_cbranch_scc1 .LBB110_969
; %bb.967:
	v_add3_u32 v235, v253, 0, 0x2f0
	v_mov_b32_e32 v234, 46
	s_mov_b32 s1, 47
	s_inst_prefetch 0x1
	.p2align	6
.LBB110_968:                            ; =>This Inner Loop Header: Depth=1
	s_waitcnt lgkmcnt(0)
	v_cmp_gt_f64_e32 vcc_lo, 0, v[228:229]
	v_cmp_gt_f64_e64 s0, 0, v[226:227]
	ds_read2_b64 v[241:244], v235 offset1:1
	v_xor_b32_e32 v211, 0x80000000, v227
	v_xor_b32_e32 v213, 0x80000000, v229
	v_mov_b32_e32 v210, v226
	v_mov_b32_e32 v212, v228
	v_add_nc_u32_e32 v235, 16, v235
	s_waitcnt lgkmcnt(0)
	v_xor_b32_e32 v219, 0x80000000, v244
	v_cndmask_b32_e64 v211, v227, v211, s0
	v_cndmask_b32_e32 v213, v229, v213, vcc_lo
	v_cmp_gt_f64_e32 vcc_lo, 0, v[243:244]
	v_cmp_gt_f64_e64 s0, 0, v[241:242]
	v_mov_b32_e32 v218, v243
	v_add_f64 v[210:211], v[210:211], v[212:213]
	v_xor_b32_e32 v213, 0x80000000, v242
	v_mov_b32_e32 v212, v241
	v_cndmask_b32_e32 v219, v244, v219, vcc_lo
	v_cndmask_b32_e64 v213, v242, v213, s0
	v_add_f64 v[212:213], v[212:213], v[218:219]
	v_cmp_lt_f64_e32 vcc_lo, v[210:211], v[212:213]
	v_cndmask_b32_e32 v227, v227, v242, vcc_lo
	v_cndmask_b32_e32 v226, v226, v241, vcc_lo
	;; [unrolled: 1-line block ×4, first 2 shown]
	v_cndmask_b32_e64 v234, v234, s1, vcc_lo
	s_add_i32 s1, s1, 1
	s_cmp_lg_u32 s8, s1
	s_cbranch_scc1 .LBB110_968
.LBB110_969:
	s_inst_prefetch 0x2
	s_waitcnt lgkmcnt(0)
	v_cmp_eq_f64_e32 vcc_lo, 0, v[226:227]
	v_cmp_eq_f64_e64 s0, 0, v[228:229]
	s_and_b32 s0, vcc_lo, s0
	s_and_saveexec_b32 s1, s0
	s_xor_b32 s0, exec_lo, s1
; %bb.970:
	v_cmp_ne_u32_e32 vcc_lo, 0, v239
	v_cndmask_b32_e32 v239, 47, v239, vcc_lo
; %bb.971:
	s_andn2_saveexec_b32 s0, s0
	s_cbranch_execz .LBB110_977
; %bb.972:
	v_cmp_ngt_f64_e64 s1, |v[226:227]|, |v[228:229]|
	s_and_saveexec_b32 s7, s1
	s_xor_b32 s1, exec_lo, s7
	s_cbranch_execz .LBB110_974
; %bb.973:
	v_div_scale_f64 v[210:211], null, v[228:229], v[228:229], v[226:227]
	v_div_scale_f64 v[220:221], vcc_lo, v[226:227], v[228:229], v[226:227]
	v_rcp_f64_e32 v[212:213], v[210:211]
	v_fma_f64 v[218:219], -v[210:211], v[212:213], 1.0
	v_fma_f64 v[212:213], v[212:213], v[218:219], v[212:213]
	v_fma_f64 v[218:219], -v[210:211], v[212:213], 1.0
	v_fma_f64 v[212:213], v[212:213], v[218:219], v[212:213]
	v_mul_f64 v[218:219], v[220:221], v[212:213]
	v_fma_f64 v[210:211], -v[210:211], v[218:219], v[220:221]
	v_div_fmas_f64 v[210:211], v[210:211], v[212:213], v[218:219]
	v_div_fixup_f64 v[210:211], v[210:211], v[228:229], v[226:227]
	v_fma_f64 v[212:213], v[226:227], v[210:211], v[228:229]
	v_div_scale_f64 v[218:219], null, v[212:213], v[212:213], 1.0
	v_rcp_f64_e32 v[220:221], v[218:219]
	v_fma_f64 v[222:223], -v[218:219], v[220:221], 1.0
	v_fma_f64 v[220:221], v[220:221], v[222:223], v[220:221]
	v_fma_f64 v[222:223], -v[218:219], v[220:221], 1.0
	v_fma_f64 v[220:221], v[220:221], v[222:223], v[220:221]
	v_div_scale_f64 v[222:223], vcc_lo, 1.0, v[212:213], 1.0
	v_mul_f64 v[224:225], v[222:223], v[220:221]
	v_fma_f64 v[218:219], -v[218:219], v[224:225], v[222:223]
	v_div_fmas_f64 v[218:219], v[218:219], v[220:221], v[224:225]
	v_div_fixup_f64 v[228:229], v[218:219], v[212:213], 1.0
	v_mul_f64 v[226:227], v[210:211], v[228:229]
	v_xor_b32_e32 v229, 0x80000000, v229
.LBB110_974:
	s_andn2_saveexec_b32 s1, s1
	s_cbranch_execz .LBB110_976
; %bb.975:
	v_div_scale_f64 v[210:211], null, v[226:227], v[226:227], v[228:229]
	v_div_scale_f64 v[220:221], vcc_lo, v[228:229], v[226:227], v[228:229]
	v_rcp_f64_e32 v[212:213], v[210:211]
	v_fma_f64 v[218:219], -v[210:211], v[212:213], 1.0
	v_fma_f64 v[212:213], v[212:213], v[218:219], v[212:213]
	v_fma_f64 v[218:219], -v[210:211], v[212:213], 1.0
	v_fma_f64 v[212:213], v[212:213], v[218:219], v[212:213]
	v_mul_f64 v[218:219], v[220:221], v[212:213]
	v_fma_f64 v[210:211], -v[210:211], v[218:219], v[220:221]
	v_div_fmas_f64 v[210:211], v[210:211], v[212:213], v[218:219]
	v_div_fixup_f64 v[210:211], v[210:211], v[226:227], v[228:229]
	v_fma_f64 v[212:213], v[228:229], v[210:211], v[226:227]
	v_div_scale_f64 v[218:219], null, v[212:213], v[212:213], 1.0
	v_rcp_f64_e32 v[220:221], v[218:219]
	v_fma_f64 v[222:223], -v[218:219], v[220:221], 1.0
	v_fma_f64 v[220:221], v[220:221], v[222:223], v[220:221]
	v_fma_f64 v[222:223], -v[218:219], v[220:221], 1.0
	v_fma_f64 v[220:221], v[220:221], v[222:223], v[220:221]
	v_div_scale_f64 v[222:223], vcc_lo, 1.0, v[212:213], 1.0
	v_mul_f64 v[224:225], v[222:223], v[220:221]
	v_fma_f64 v[218:219], -v[218:219], v[224:225], v[222:223]
	v_div_fmas_f64 v[218:219], v[218:219], v[220:221], v[224:225]
	v_div_fixup_f64 v[226:227], v[218:219], v[212:213], 1.0
	v_mul_f64 v[228:229], v[210:211], -v[226:227]
.LBB110_976:
	s_or_b32 exec_lo, exec_lo, s1
.LBB110_977:
	s_or_b32 exec_lo, exec_lo, s0
	s_mov_b32 s0, exec_lo
	v_cmpx_ne_u32_e64 v240, v234
	s_xor_b32 s0, exec_lo, s0
	s_cbranch_execz .LBB110_983
; %bb.978:
	s_mov_b32 s1, exec_lo
	v_cmpx_eq_u32_e32 46, v240
	s_cbranch_execz .LBB110_982
; %bb.979:
	v_cmp_ne_u32_e32 vcc_lo, 46, v234
	s_xor_b32 s7, s16, -1
	s_and_b32 s9, s7, vcc_lo
	s_and_saveexec_b32 s7, s9
	s_cbranch_execz .LBB110_981
; %bb.980:
	v_ashrrev_i32_e32 v235, 31, v234
	v_lshlrev_b64 v[210:211], 2, v[234:235]
	v_add_co_u32 v210, vcc_lo, v214, v210
	v_add_co_ci_u32_e64 v211, null, v215, v211, vcc_lo
	s_clause 0x1
	global_load_dword v0, v[210:211], off
	global_load_dword v212, v[214:215], off offset:184
	s_waitcnt vmcnt(1)
	global_store_dword v[214:215], v0, off offset:184
	s_waitcnt vmcnt(0)
	global_store_dword v[210:211], v212, off
.LBB110_981:
	s_or_b32 exec_lo, exec_lo, s7
	v_mov_b32_e32 v240, v234
	v_mov_b32_e32 v0, v234
.LBB110_982:
	s_or_b32 exec_lo, exec_lo, s1
.LBB110_983:
	s_andn2_saveexec_b32 s0, s0
	s_cbranch_execz .LBB110_985
; %bb.984:
	v_mov_b32_e32 v240, 46
	ds_write2_b64 v1, v[34:35], v[36:37] offset0:94 offset1:95
	ds_write2_b64 v1, v[30:31], v[32:33] offset0:96 offset1:97
	;; [unrolled: 1-line block ×9, first 2 shown]
.LBB110_985:
	s_or_b32 exec_lo, exec_lo, s0
	s_mov_b32 s0, exec_lo
	s_waitcnt lgkmcnt(0)
	s_waitcnt_vscnt null, 0x0
	s_barrier
	buffer_gl0_inv
	v_cmpx_lt_i32_e32 46, v240
	s_cbranch_execz .LBB110_987
; %bb.986:
	v_mul_f64 v[210:211], v[226:227], v[40:41]
	v_mul_f64 v[40:41], v[228:229], v[40:41]
	v_fma_f64 v[210:211], v[228:229], v[38:39], v[210:211]
	v_fma_f64 v[38:39], v[226:227], v[38:39], -v[40:41]
	ds_read2_b64 v[226:229], v1 offset0:94 offset1:95
	s_waitcnt lgkmcnt(0)
	v_mul_f64 v[40:41], v[228:229], v[210:211]
	v_mul_f64 v[212:213], v[226:227], v[210:211]
	v_fma_f64 v[40:41], v[226:227], v[38:39], -v[40:41]
	v_fma_f64 v[212:213], v[228:229], v[38:39], v[212:213]
	ds_read2_b64 v[226:229], v1 offset0:96 offset1:97
	v_add_f64 v[34:35], v[34:35], -v[40:41]
	v_add_f64 v[36:37], v[36:37], -v[212:213]
	s_waitcnt lgkmcnt(0)
	v_mul_f64 v[40:41], v[228:229], v[210:211]
	v_mul_f64 v[212:213], v[226:227], v[210:211]
	v_fma_f64 v[40:41], v[226:227], v[38:39], -v[40:41]
	v_fma_f64 v[212:213], v[228:229], v[38:39], v[212:213]
	ds_read2_b64 v[226:229], v1 offset0:98 offset1:99
	v_add_f64 v[30:31], v[30:31], -v[40:41]
	v_add_f64 v[32:33], v[32:33], -v[212:213]
	;; [unrolled: 8-line block ×8, first 2 shown]
	s_waitcnt lgkmcnt(0)
	v_mul_f64 v[40:41], v[228:229], v[210:211]
	v_mul_f64 v[212:213], v[226:227], v[210:211]
	v_fma_f64 v[40:41], v[226:227], v[38:39], -v[40:41]
	v_fma_f64 v[212:213], v[228:229], v[38:39], v[212:213]
	v_add_f64 v[230:231], v[230:231], -v[40:41]
	v_add_f64 v[232:233], v[232:233], -v[212:213]
	v_mov_b32_e32 v40, v210
	v_mov_b32_e32 v41, v211
.LBB110_987:
	s_or_b32 exec_lo, exec_lo, s0
	v_lshl_add_u32 v210, v240, 4, v1
	s_barrier
	buffer_gl0_inv
	v_mov_b32_e32 v234, 47
	ds_write2_b64 v210, v[34:35], v[36:37] offset1:1
	s_waitcnt lgkmcnt(0)
	s_barrier
	buffer_gl0_inv
	ds_read2_b64 v[226:229], v1 offset0:94 offset1:95
	s_cmp_lt_i32 s8, 49
	s_cbranch_scc1 .LBB110_990
; %bb.988:
	v_add3_u32 v235, v253, 0, 0x300
	v_mov_b32_e32 v234, 47
	s_mov_b32 s1, 48
	s_inst_prefetch 0x1
	.p2align	6
.LBB110_989:                            ; =>This Inner Loop Header: Depth=1
	s_waitcnt lgkmcnt(0)
	v_cmp_gt_f64_e32 vcc_lo, 0, v[228:229]
	v_cmp_gt_f64_e64 s0, 0, v[226:227]
	ds_read2_b64 v[241:244], v235 offset1:1
	v_xor_b32_e32 v211, 0x80000000, v227
	v_xor_b32_e32 v213, 0x80000000, v229
	v_mov_b32_e32 v210, v226
	v_mov_b32_e32 v212, v228
	v_add_nc_u32_e32 v235, 16, v235
	s_waitcnt lgkmcnt(0)
	v_xor_b32_e32 v219, 0x80000000, v244
	v_cndmask_b32_e64 v211, v227, v211, s0
	v_cndmask_b32_e32 v213, v229, v213, vcc_lo
	v_cmp_gt_f64_e32 vcc_lo, 0, v[243:244]
	v_cmp_gt_f64_e64 s0, 0, v[241:242]
	v_mov_b32_e32 v218, v243
	v_add_f64 v[210:211], v[210:211], v[212:213]
	v_xor_b32_e32 v213, 0x80000000, v242
	v_mov_b32_e32 v212, v241
	v_cndmask_b32_e32 v219, v244, v219, vcc_lo
	v_cndmask_b32_e64 v213, v242, v213, s0
	v_add_f64 v[212:213], v[212:213], v[218:219]
	v_cmp_lt_f64_e32 vcc_lo, v[210:211], v[212:213]
	v_cndmask_b32_e32 v227, v227, v242, vcc_lo
	v_cndmask_b32_e32 v226, v226, v241, vcc_lo
	;; [unrolled: 1-line block ×4, first 2 shown]
	v_cndmask_b32_e64 v234, v234, s1, vcc_lo
	s_add_i32 s1, s1, 1
	s_cmp_lg_u32 s8, s1
	s_cbranch_scc1 .LBB110_989
.LBB110_990:
	s_inst_prefetch 0x2
	s_waitcnt lgkmcnt(0)
	v_cmp_eq_f64_e32 vcc_lo, 0, v[226:227]
	v_cmp_eq_f64_e64 s0, 0, v[228:229]
	s_and_b32 s0, vcc_lo, s0
	s_and_saveexec_b32 s1, s0
	s_xor_b32 s0, exec_lo, s1
; %bb.991:
	v_cmp_ne_u32_e32 vcc_lo, 0, v239
	v_cndmask_b32_e32 v239, 48, v239, vcc_lo
; %bb.992:
	s_andn2_saveexec_b32 s0, s0
	s_cbranch_execz .LBB110_998
; %bb.993:
	v_cmp_ngt_f64_e64 s1, |v[226:227]|, |v[228:229]|
	s_and_saveexec_b32 s7, s1
	s_xor_b32 s1, exec_lo, s7
	s_cbranch_execz .LBB110_995
; %bb.994:
	v_div_scale_f64 v[210:211], null, v[228:229], v[228:229], v[226:227]
	v_div_scale_f64 v[220:221], vcc_lo, v[226:227], v[228:229], v[226:227]
	v_rcp_f64_e32 v[212:213], v[210:211]
	v_fma_f64 v[218:219], -v[210:211], v[212:213], 1.0
	v_fma_f64 v[212:213], v[212:213], v[218:219], v[212:213]
	v_fma_f64 v[218:219], -v[210:211], v[212:213], 1.0
	v_fma_f64 v[212:213], v[212:213], v[218:219], v[212:213]
	v_mul_f64 v[218:219], v[220:221], v[212:213]
	v_fma_f64 v[210:211], -v[210:211], v[218:219], v[220:221]
	v_div_fmas_f64 v[210:211], v[210:211], v[212:213], v[218:219]
	v_div_fixup_f64 v[210:211], v[210:211], v[228:229], v[226:227]
	v_fma_f64 v[212:213], v[226:227], v[210:211], v[228:229]
	v_div_scale_f64 v[218:219], null, v[212:213], v[212:213], 1.0
	v_rcp_f64_e32 v[220:221], v[218:219]
	v_fma_f64 v[222:223], -v[218:219], v[220:221], 1.0
	v_fma_f64 v[220:221], v[220:221], v[222:223], v[220:221]
	v_fma_f64 v[222:223], -v[218:219], v[220:221], 1.0
	v_fma_f64 v[220:221], v[220:221], v[222:223], v[220:221]
	v_div_scale_f64 v[222:223], vcc_lo, 1.0, v[212:213], 1.0
	v_mul_f64 v[224:225], v[222:223], v[220:221]
	v_fma_f64 v[218:219], -v[218:219], v[224:225], v[222:223]
	v_div_fmas_f64 v[218:219], v[218:219], v[220:221], v[224:225]
	v_div_fixup_f64 v[228:229], v[218:219], v[212:213], 1.0
	v_mul_f64 v[226:227], v[210:211], v[228:229]
	v_xor_b32_e32 v229, 0x80000000, v229
.LBB110_995:
	s_andn2_saveexec_b32 s1, s1
	s_cbranch_execz .LBB110_997
; %bb.996:
	v_div_scale_f64 v[210:211], null, v[226:227], v[226:227], v[228:229]
	v_div_scale_f64 v[220:221], vcc_lo, v[228:229], v[226:227], v[228:229]
	v_rcp_f64_e32 v[212:213], v[210:211]
	v_fma_f64 v[218:219], -v[210:211], v[212:213], 1.0
	v_fma_f64 v[212:213], v[212:213], v[218:219], v[212:213]
	v_fma_f64 v[218:219], -v[210:211], v[212:213], 1.0
	v_fma_f64 v[212:213], v[212:213], v[218:219], v[212:213]
	v_mul_f64 v[218:219], v[220:221], v[212:213]
	v_fma_f64 v[210:211], -v[210:211], v[218:219], v[220:221]
	v_div_fmas_f64 v[210:211], v[210:211], v[212:213], v[218:219]
	v_div_fixup_f64 v[210:211], v[210:211], v[226:227], v[228:229]
	v_fma_f64 v[212:213], v[228:229], v[210:211], v[226:227]
	v_div_scale_f64 v[218:219], null, v[212:213], v[212:213], 1.0
	v_rcp_f64_e32 v[220:221], v[218:219]
	v_fma_f64 v[222:223], -v[218:219], v[220:221], 1.0
	v_fma_f64 v[220:221], v[220:221], v[222:223], v[220:221]
	v_fma_f64 v[222:223], -v[218:219], v[220:221], 1.0
	v_fma_f64 v[220:221], v[220:221], v[222:223], v[220:221]
	v_div_scale_f64 v[222:223], vcc_lo, 1.0, v[212:213], 1.0
	v_mul_f64 v[224:225], v[222:223], v[220:221]
	v_fma_f64 v[218:219], -v[218:219], v[224:225], v[222:223]
	v_div_fmas_f64 v[218:219], v[218:219], v[220:221], v[224:225]
	v_div_fixup_f64 v[226:227], v[218:219], v[212:213], 1.0
	v_mul_f64 v[228:229], v[210:211], -v[226:227]
.LBB110_997:
	s_or_b32 exec_lo, exec_lo, s1
.LBB110_998:
	s_or_b32 exec_lo, exec_lo, s0
	s_mov_b32 s0, exec_lo
	v_cmpx_ne_u32_e64 v240, v234
	s_xor_b32 s0, exec_lo, s0
	s_cbranch_execz .LBB110_1004
; %bb.999:
	s_mov_b32 s1, exec_lo
	v_cmpx_eq_u32_e32 47, v240
	s_cbranch_execz .LBB110_1003
; %bb.1000:
	v_cmp_ne_u32_e32 vcc_lo, 47, v234
	s_xor_b32 s7, s16, -1
	s_and_b32 s9, s7, vcc_lo
	s_and_saveexec_b32 s7, s9
	s_cbranch_execz .LBB110_1002
; %bb.1001:
	v_ashrrev_i32_e32 v235, 31, v234
	v_lshlrev_b64 v[210:211], 2, v[234:235]
	v_add_co_u32 v210, vcc_lo, v214, v210
	v_add_co_ci_u32_e64 v211, null, v215, v211, vcc_lo
	s_clause 0x1
	global_load_dword v0, v[210:211], off
	global_load_dword v212, v[214:215], off offset:188
	s_waitcnt vmcnt(1)
	global_store_dword v[214:215], v0, off offset:188
	s_waitcnt vmcnt(0)
	global_store_dword v[210:211], v212, off
.LBB110_1002:
	s_or_b32 exec_lo, exec_lo, s7
	v_mov_b32_e32 v240, v234
	v_mov_b32_e32 v0, v234
.LBB110_1003:
	s_or_b32 exec_lo, exec_lo, s1
.LBB110_1004:
	s_andn2_saveexec_b32 s0, s0
	s_cbranch_execz .LBB110_1006
; %bb.1005:
	v_mov_b32_e32 v240, 47
	ds_write2_b64 v1, v[30:31], v[32:33] offset0:96 offset1:97
	ds_write2_b64 v1, v[26:27], v[28:29] offset0:98 offset1:99
	;; [unrolled: 1-line block ×8, first 2 shown]
.LBB110_1006:
	s_or_b32 exec_lo, exec_lo, s0
	s_mov_b32 s0, exec_lo
	s_waitcnt lgkmcnt(0)
	s_waitcnt_vscnt null, 0x0
	s_barrier
	buffer_gl0_inv
	v_cmpx_lt_i32_e32 47, v240
	s_cbranch_execz .LBB110_1008
; %bb.1007:
	v_mul_f64 v[210:211], v[226:227], v[36:37]
	v_mul_f64 v[36:37], v[228:229], v[36:37]
	v_fma_f64 v[210:211], v[228:229], v[34:35], v[210:211]
	v_fma_f64 v[34:35], v[226:227], v[34:35], -v[36:37]
	ds_read2_b64 v[226:229], v1 offset0:96 offset1:97
	s_waitcnt lgkmcnt(0)
	v_mul_f64 v[36:37], v[228:229], v[210:211]
	v_mul_f64 v[212:213], v[226:227], v[210:211]
	v_fma_f64 v[36:37], v[226:227], v[34:35], -v[36:37]
	v_fma_f64 v[212:213], v[228:229], v[34:35], v[212:213]
	ds_read2_b64 v[226:229], v1 offset0:98 offset1:99
	v_add_f64 v[30:31], v[30:31], -v[36:37]
	v_add_f64 v[32:33], v[32:33], -v[212:213]
	s_waitcnt lgkmcnt(0)
	v_mul_f64 v[36:37], v[228:229], v[210:211]
	v_mul_f64 v[212:213], v[226:227], v[210:211]
	v_fma_f64 v[36:37], v[226:227], v[34:35], -v[36:37]
	v_fma_f64 v[212:213], v[228:229], v[34:35], v[212:213]
	ds_read2_b64 v[226:229], v1 offset0:100 offset1:101
	v_add_f64 v[26:27], v[26:27], -v[36:37]
	v_add_f64 v[28:29], v[28:29], -v[212:213]
	;; [unrolled: 8-line block ×7, first 2 shown]
	s_waitcnt lgkmcnt(0)
	v_mul_f64 v[36:37], v[228:229], v[210:211]
	v_mul_f64 v[212:213], v[226:227], v[210:211]
	v_fma_f64 v[36:37], v[226:227], v[34:35], -v[36:37]
	v_fma_f64 v[212:213], v[228:229], v[34:35], v[212:213]
	v_add_f64 v[230:231], v[230:231], -v[36:37]
	v_add_f64 v[232:233], v[232:233], -v[212:213]
	v_mov_b32_e32 v36, v210
	v_mov_b32_e32 v37, v211
.LBB110_1008:
	s_or_b32 exec_lo, exec_lo, s0
	v_lshl_add_u32 v210, v240, 4, v1
	s_barrier
	buffer_gl0_inv
	v_mov_b32_e32 v234, 48
	ds_write2_b64 v210, v[30:31], v[32:33] offset1:1
	s_waitcnt lgkmcnt(0)
	s_barrier
	buffer_gl0_inv
	ds_read2_b64 v[226:229], v1 offset0:96 offset1:97
	s_cmp_lt_i32 s8, 50
	s_cbranch_scc1 .LBB110_1011
; %bb.1009:
	v_add3_u32 v235, v253, 0, 0x310
	v_mov_b32_e32 v234, 48
	s_mov_b32 s1, 49
	s_inst_prefetch 0x1
	.p2align	6
.LBB110_1010:                           ; =>This Inner Loop Header: Depth=1
	s_waitcnt lgkmcnt(0)
	v_cmp_gt_f64_e32 vcc_lo, 0, v[228:229]
	v_cmp_gt_f64_e64 s0, 0, v[226:227]
	ds_read2_b64 v[241:244], v235 offset1:1
	v_xor_b32_e32 v211, 0x80000000, v227
	v_xor_b32_e32 v213, 0x80000000, v229
	v_mov_b32_e32 v210, v226
	v_mov_b32_e32 v212, v228
	v_add_nc_u32_e32 v235, 16, v235
	s_waitcnt lgkmcnt(0)
	v_xor_b32_e32 v219, 0x80000000, v244
	v_cndmask_b32_e64 v211, v227, v211, s0
	v_cndmask_b32_e32 v213, v229, v213, vcc_lo
	v_cmp_gt_f64_e32 vcc_lo, 0, v[243:244]
	v_cmp_gt_f64_e64 s0, 0, v[241:242]
	v_mov_b32_e32 v218, v243
	v_add_f64 v[210:211], v[210:211], v[212:213]
	v_xor_b32_e32 v213, 0x80000000, v242
	v_mov_b32_e32 v212, v241
	v_cndmask_b32_e32 v219, v244, v219, vcc_lo
	v_cndmask_b32_e64 v213, v242, v213, s0
	v_add_f64 v[212:213], v[212:213], v[218:219]
	v_cmp_lt_f64_e32 vcc_lo, v[210:211], v[212:213]
	v_cndmask_b32_e32 v227, v227, v242, vcc_lo
	v_cndmask_b32_e32 v226, v226, v241, vcc_lo
	;; [unrolled: 1-line block ×4, first 2 shown]
	v_cndmask_b32_e64 v234, v234, s1, vcc_lo
	s_add_i32 s1, s1, 1
	s_cmp_lg_u32 s8, s1
	s_cbranch_scc1 .LBB110_1010
.LBB110_1011:
	s_inst_prefetch 0x2
	s_waitcnt lgkmcnt(0)
	v_cmp_eq_f64_e32 vcc_lo, 0, v[226:227]
	v_cmp_eq_f64_e64 s0, 0, v[228:229]
	s_and_b32 s0, vcc_lo, s0
	s_and_saveexec_b32 s1, s0
	s_xor_b32 s0, exec_lo, s1
; %bb.1012:
	v_cmp_ne_u32_e32 vcc_lo, 0, v239
	v_cndmask_b32_e32 v239, 49, v239, vcc_lo
; %bb.1013:
	s_andn2_saveexec_b32 s0, s0
	s_cbranch_execz .LBB110_1019
; %bb.1014:
	v_cmp_ngt_f64_e64 s1, |v[226:227]|, |v[228:229]|
	s_and_saveexec_b32 s7, s1
	s_xor_b32 s1, exec_lo, s7
	s_cbranch_execz .LBB110_1016
; %bb.1015:
	v_div_scale_f64 v[210:211], null, v[228:229], v[228:229], v[226:227]
	v_div_scale_f64 v[220:221], vcc_lo, v[226:227], v[228:229], v[226:227]
	v_rcp_f64_e32 v[212:213], v[210:211]
	v_fma_f64 v[218:219], -v[210:211], v[212:213], 1.0
	v_fma_f64 v[212:213], v[212:213], v[218:219], v[212:213]
	v_fma_f64 v[218:219], -v[210:211], v[212:213], 1.0
	v_fma_f64 v[212:213], v[212:213], v[218:219], v[212:213]
	v_mul_f64 v[218:219], v[220:221], v[212:213]
	v_fma_f64 v[210:211], -v[210:211], v[218:219], v[220:221]
	v_div_fmas_f64 v[210:211], v[210:211], v[212:213], v[218:219]
	v_div_fixup_f64 v[210:211], v[210:211], v[228:229], v[226:227]
	v_fma_f64 v[212:213], v[226:227], v[210:211], v[228:229]
	v_div_scale_f64 v[218:219], null, v[212:213], v[212:213], 1.0
	v_rcp_f64_e32 v[220:221], v[218:219]
	v_fma_f64 v[222:223], -v[218:219], v[220:221], 1.0
	v_fma_f64 v[220:221], v[220:221], v[222:223], v[220:221]
	v_fma_f64 v[222:223], -v[218:219], v[220:221], 1.0
	v_fma_f64 v[220:221], v[220:221], v[222:223], v[220:221]
	v_div_scale_f64 v[222:223], vcc_lo, 1.0, v[212:213], 1.0
	v_mul_f64 v[224:225], v[222:223], v[220:221]
	v_fma_f64 v[218:219], -v[218:219], v[224:225], v[222:223]
	v_div_fmas_f64 v[218:219], v[218:219], v[220:221], v[224:225]
	v_div_fixup_f64 v[228:229], v[218:219], v[212:213], 1.0
	v_mul_f64 v[226:227], v[210:211], v[228:229]
	v_xor_b32_e32 v229, 0x80000000, v229
.LBB110_1016:
	s_andn2_saveexec_b32 s1, s1
	s_cbranch_execz .LBB110_1018
; %bb.1017:
	v_div_scale_f64 v[210:211], null, v[226:227], v[226:227], v[228:229]
	v_div_scale_f64 v[220:221], vcc_lo, v[228:229], v[226:227], v[228:229]
	v_rcp_f64_e32 v[212:213], v[210:211]
	v_fma_f64 v[218:219], -v[210:211], v[212:213], 1.0
	v_fma_f64 v[212:213], v[212:213], v[218:219], v[212:213]
	v_fma_f64 v[218:219], -v[210:211], v[212:213], 1.0
	v_fma_f64 v[212:213], v[212:213], v[218:219], v[212:213]
	v_mul_f64 v[218:219], v[220:221], v[212:213]
	v_fma_f64 v[210:211], -v[210:211], v[218:219], v[220:221]
	v_div_fmas_f64 v[210:211], v[210:211], v[212:213], v[218:219]
	v_div_fixup_f64 v[210:211], v[210:211], v[226:227], v[228:229]
	v_fma_f64 v[212:213], v[228:229], v[210:211], v[226:227]
	v_div_scale_f64 v[218:219], null, v[212:213], v[212:213], 1.0
	v_rcp_f64_e32 v[220:221], v[218:219]
	v_fma_f64 v[222:223], -v[218:219], v[220:221], 1.0
	v_fma_f64 v[220:221], v[220:221], v[222:223], v[220:221]
	v_fma_f64 v[222:223], -v[218:219], v[220:221], 1.0
	v_fma_f64 v[220:221], v[220:221], v[222:223], v[220:221]
	v_div_scale_f64 v[222:223], vcc_lo, 1.0, v[212:213], 1.0
	v_mul_f64 v[224:225], v[222:223], v[220:221]
	v_fma_f64 v[218:219], -v[218:219], v[224:225], v[222:223]
	v_div_fmas_f64 v[218:219], v[218:219], v[220:221], v[224:225]
	v_div_fixup_f64 v[226:227], v[218:219], v[212:213], 1.0
	v_mul_f64 v[228:229], v[210:211], -v[226:227]
.LBB110_1018:
	s_or_b32 exec_lo, exec_lo, s1
.LBB110_1019:
	s_or_b32 exec_lo, exec_lo, s0
	s_mov_b32 s0, exec_lo
	v_cmpx_ne_u32_e64 v240, v234
	s_xor_b32 s0, exec_lo, s0
	s_cbranch_execz .LBB110_1025
; %bb.1020:
	s_mov_b32 s1, exec_lo
	v_cmpx_eq_u32_e32 48, v240
	s_cbranch_execz .LBB110_1024
; %bb.1021:
	v_cmp_ne_u32_e32 vcc_lo, 48, v234
	s_xor_b32 s7, s16, -1
	s_and_b32 s9, s7, vcc_lo
	s_and_saveexec_b32 s7, s9
	s_cbranch_execz .LBB110_1023
; %bb.1022:
	v_ashrrev_i32_e32 v235, 31, v234
	v_lshlrev_b64 v[210:211], 2, v[234:235]
	v_add_co_u32 v210, vcc_lo, v214, v210
	v_add_co_ci_u32_e64 v211, null, v215, v211, vcc_lo
	s_clause 0x1
	global_load_dword v0, v[210:211], off
	global_load_dword v212, v[214:215], off offset:192
	s_waitcnt vmcnt(1)
	global_store_dword v[214:215], v0, off offset:192
	s_waitcnt vmcnt(0)
	global_store_dword v[210:211], v212, off
.LBB110_1023:
	s_or_b32 exec_lo, exec_lo, s7
	v_mov_b32_e32 v240, v234
	v_mov_b32_e32 v0, v234
.LBB110_1024:
	s_or_b32 exec_lo, exec_lo, s1
.LBB110_1025:
	s_andn2_saveexec_b32 s0, s0
	s_cbranch_execz .LBB110_1027
; %bb.1026:
	v_mov_b32_e32 v240, 48
	ds_write2_b64 v1, v[26:27], v[28:29] offset0:98 offset1:99
	ds_write2_b64 v1, v[22:23], v[24:25] offset0:100 offset1:101
	;; [unrolled: 1-line block ×7, first 2 shown]
.LBB110_1027:
	s_or_b32 exec_lo, exec_lo, s0
	s_mov_b32 s0, exec_lo
	s_waitcnt lgkmcnt(0)
	s_waitcnt_vscnt null, 0x0
	s_barrier
	buffer_gl0_inv
	v_cmpx_lt_i32_e32 48, v240
	s_cbranch_execz .LBB110_1029
; %bb.1028:
	v_mul_f64 v[210:211], v[226:227], v[32:33]
	v_mul_f64 v[32:33], v[228:229], v[32:33]
	v_fma_f64 v[210:211], v[228:229], v[30:31], v[210:211]
	v_fma_f64 v[30:31], v[226:227], v[30:31], -v[32:33]
	ds_read2_b64 v[226:229], v1 offset0:98 offset1:99
	s_waitcnt lgkmcnt(0)
	v_mul_f64 v[32:33], v[228:229], v[210:211]
	v_mul_f64 v[212:213], v[226:227], v[210:211]
	v_fma_f64 v[32:33], v[226:227], v[30:31], -v[32:33]
	v_fma_f64 v[212:213], v[228:229], v[30:31], v[212:213]
	ds_read2_b64 v[226:229], v1 offset0:100 offset1:101
	v_add_f64 v[26:27], v[26:27], -v[32:33]
	v_add_f64 v[28:29], v[28:29], -v[212:213]
	s_waitcnt lgkmcnt(0)
	v_mul_f64 v[32:33], v[228:229], v[210:211]
	v_mul_f64 v[212:213], v[226:227], v[210:211]
	v_fma_f64 v[32:33], v[226:227], v[30:31], -v[32:33]
	v_fma_f64 v[212:213], v[228:229], v[30:31], v[212:213]
	ds_read2_b64 v[226:229], v1 offset0:102 offset1:103
	v_add_f64 v[22:23], v[22:23], -v[32:33]
	v_add_f64 v[24:25], v[24:25], -v[212:213]
	;; [unrolled: 8-line block ×6, first 2 shown]
	s_waitcnt lgkmcnt(0)
	v_mul_f64 v[32:33], v[228:229], v[210:211]
	v_mul_f64 v[212:213], v[226:227], v[210:211]
	v_fma_f64 v[32:33], v[226:227], v[30:31], -v[32:33]
	v_fma_f64 v[212:213], v[228:229], v[30:31], v[212:213]
	v_add_f64 v[230:231], v[230:231], -v[32:33]
	v_add_f64 v[232:233], v[232:233], -v[212:213]
	v_mov_b32_e32 v32, v210
	v_mov_b32_e32 v33, v211
.LBB110_1029:
	s_or_b32 exec_lo, exec_lo, s0
	v_lshl_add_u32 v210, v240, 4, v1
	s_barrier
	buffer_gl0_inv
	v_mov_b32_e32 v234, 49
	ds_write2_b64 v210, v[26:27], v[28:29] offset1:1
	s_waitcnt lgkmcnt(0)
	s_barrier
	buffer_gl0_inv
	ds_read2_b64 v[226:229], v1 offset0:98 offset1:99
	s_cmp_lt_i32 s8, 51
	s_cbranch_scc1 .LBB110_1032
; %bb.1030:
	v_add3_u32 v235, v253, 0, 0x320
	v_mov_b32_e32 v234, 49
	s_mov_b32 s1, 50
	s_inst_prefetch 0x1
	.p2align	6
.LBB110_1031:                           ; =>This Inner Loop Header: Depth=1
	s_waitcnt lgkmcnt(0)
	v_cmp_gt_f64_e32 vcc_lo, 0, v[228:229]
	v_cmp_gt_f64_e64 s0, 0, v[226:227]
	ds_read2_b64 v[241:244], v235 offset1:1
	v_xor_b32_e32 v211, 0x80000000, v227
	v_xor_b32_e32 v213, 0x80000000, v229
	v_mov_b32_e32 v210, v226
	v_mov_b32_e32 v212, v228
	v_add_nc_u32_e32 v235, 16, v235
	s_waitcnt lgkmcnt(0)
	v_xor_b32_e32 v219, 0x80000000, v244
	v_cndmask_b32_e64 v211, v227, v211, s0
	v_cndmask_b32_e32 v213, v229, v213, vcc_lo
	v_cmp_gt_f64_e32 vcc_lo, 0, v[243:244]
	v_cmp_gt_f64_e64 s0, 0, v[241:242]
	v_mov_b32_e32 v218, v243
	v_add_f64 v[210:211], v[210:211], v[212:213]
	v_xor_b32_e32 v213, 0x80000000, v242
	v_mov_b32_e32 v212, v241
	v_cndmask_b32_e32 v219, v244, v219, vcc_lo
	v_cndmask_b32_e64 v213, v242, v213, s0
	v_add_f64 v[212:213], v[212:213], v[218:219]
	v_cmp_lt_f64_e32 vcc_lo, v[210:211], v[212:213]
	v_cndmask_b32_e32 v227, v227, v242, vcc_lo
	v_cndmask_b32_e32 v226, v226, v241, vcc_lo
	;; [unrolled: 1-line block ×4, first 2 shown]
	v_cndmask_b32_e64 v234, v234, s1, vcc_lo
	s_add_i32 s1, s1, 1
	s_cmp_lg_u32 s8, s1
	s_cbranch_scc1 .LBB110_1031
.LBB110_1032:
	s_inst_prefetch 0x2
	s_waitcnt lgkmcnt(0)
	v_cmp_eq_f64_e32 vcc_lo, 0, v[226:227]
	v_cmp_eq_f64_e64 s0, 0, v[228:229]
	s_and_b32 s0, vcc_lo, s0
	s_and_saveexec_b32 s1, s0
	s_xor_b32 s0, exec_lo, s1
; %bb.1033:
	v_cmp_ne_u32_e32 vcc_lo, 0, v239
	v_cndmask_b32_e32 v239, 50, v239, vcc_lo
; %bb.1034:
	s_andn2_saveexec_b32 s0, s0
	s_cbranch_execz .LBB110_1040
; %bb.1035:
	v_cmp_ngt_f64_e64 s1, |v[226:227]|, |v[228:229]|
	s_and_saveexec_b32 s7, s1
	s_xor_b32 s1, exec_lo, s7
	s_cbranch_execz .LBB110_1037
; %bb.1036:
	v_div_scale_f64 v[210:211], null, v[228:229], v[228:229], v[226:227]
	v_div_scale_f64 v[220:221], vcc_lo, v[226:227], v[228:229], v[226:227]
	v_rcp_f64_e32 v[212:213], v[210:211]
	v_fma_f64 v[218:219], -v[210:211], v[212:213], 1.0
	v_fma_f64 v[212:213], v[212:213], v[218:219], v[212:213]
	v_fma_f64 v[218:219], -v[210:211], v[212:213], 1.0
	v_fma_f64 v[212:213], v[212:213], v[218:219], v[212:213]
	v_mul_f64 v[218:219], v[220:221], v[212:213]
	v_fma_f64 v[210:211], -v[210:211], v[218:219], v[220:221]
	v_div_fmas_f64 v[210:211], v[210:211], v[212:213], v[218:219]
	v_div_fixup_f64 v[210:211], v[210:211], v[228:229], v[226:227]
	v_fma_f64 v[212:213], v[226:227], v[210:211], v[228:229]
	v_div_scale_f64 v[218:219], null, v[212:213], v[212:213], 1.0
	v_rcp_f64_e32 v[220:221], v[218:219]
	v_fma_f64 v[222:223], -v[218:219], v[220:221], 1.0
	v_fma_f64 v[220:221], v[220:221], v[222:223], v[220:221]
	v_fma_f64 v[222:223], -v[218:219], v[220:221], 1.0
	v_fma_f64 v[220:221], v[220:221], v[222:223], v[220:221]
	v_div_scale_f64 v[222:223], vcc_lo, 1.0, v[212:213], 1.0
	v_mul_f64 v[224:225], v[222:223], v[220:221]
	v_fma_f64 v[218:219], -v[218:219], v[224:225], v[222:223]
	v_div_fmas_f64 v[218:219], v[218:219], v[220:221], v[224:225]
	v_div_fixup_f64 v[228:229], v[218:219], v[212:213], 1.0
	v_mul_f64 v[226:227], v[210:211], v[228:229]
	v_xor_b32_e32 v229, 0x80000000, v229
.LBB110_1037:
	s_andn2_saveexec_b32 s1, s1
	s_cbranch_execz .LBB110_1039
; %bb.1038:
	v_div_scale_f64 v[210:211], null, v[226:227], v[226:227], v[228:229]
	v_div_scale_f64 v[220:221], vcc_lo, v[228:229], v[226:227], v[228:229]
	v_rcp_f64_e32 v[212:213], v[210:211]
	v_fma_f64 v[218:219], -v[210:211], v[212:213], 1.0
	v_fma_f64 v[212:213], v[212:213], v[218:219], v[212:213]
	v_fma_f64 v[218:219], -v[210:211], v[212:213], 1.0
	v_fma_f64 v[212:213], v[212:213], v[218:219], v[212:213]
	v_mul_f64 v[218:219], v[220:221], v[212:213]
	v_fma_f64 v[210:211], -v[210:211], v[218:219], v[220:221]
	v_div_fmas_f64 v[210:211], v[210:211], v[212:213], v[218:219]
	v_div_fixup_f64 v[210:211], v[210:211], v[226:227], v[228:229]
	v_fma_f64 v[212:213], v[228:229], v[210:211], v[226:227]
	v_div_scale_f64 v[218:219], null, v[212:213], v[212:213], 1.0
	v_rcp_f64_e32 v[220:221], v[218:219]
	v_fma_f64 v[222:223], -v[218:219], v[220:221], 1.0
	v_fma_f64 v[220:221], v[220:221], v[222:223], v[220:221]
	v_fma_f64 v[222:223], -v[218:219], v[220:221], 1.0
	v_fma_f64 v[220:221], v[220:221], v[222:223], v[220:221]
	v_div_scale_f64 v[222:223], vcc_lo, 1.0, v[212:213], 1.0
	v_mul_f64 v[224:225], v[222:223], v[220:221]
	v_fma_f64 v[218:219], -v[218:219], v[224:225], v[222:223]
	v_div_fmas_f64 v[218:219], v[218:219], v[220:221], v[224:225]
	v_div_fixup_f64 v[226:227], v[218:219], v[212:213], 1.0
	v_mul_f64 v[228:229], v[210:211], -v[226:227]
.LBB110_1039:
	s_or_b32 exec_lo, exec_lo, s1
.LBB110_1040:
	s_or_b32 exec_lo, exec_lo, s0
	s_mov_b32 s0, exec_lo
	v_cmpx_ne_u32_e64 v240, v234
	s_xor_b32 s0, exec_lo, s0
	s_cbranch_execz .LBB110_1046
; %bb.1041:
	s_mov_b32 s1, exec_lo
	v_cmpx_eq_u32_e32 49, v240
	s_cbranch_execz .LBB110_1045
; %bb.1042:
	v_cmp_ne_u32_e32 vcc_lo, 49, v234
	s_xor_b32 s7, s16, -1
	s_and_b32 s9, s7, vcc_lo
	s_and_saveexec_b32 s7, s9
	s_cbranch_execz .LBB110_1044
; %bb.1043:
	v_ashrrev_i32_e32 v235, 31, v234
	v_lshlrev_b64 v[210:211], 2, v[234:235]
	v_add_co_u32 v210, vcc_lo, v214, v210
	v_add_co_ci_u32_e64 v211, null, v215, v211, vcc_lo
	s_clause 0x1
	global_load_dword v0, v[210:211], off
	global_load_dword v212, v[214:215], off offset:196
	s_waitcnt vmcnt(1)
	global_store_dword v[214:215], v0, off offset:196
	s_waitcnt vmcnt(0)
	global_store_dword v[210:211], v212, off
.LBB110_1044:
	s_or_b32 exec_lo, exec_lo, s7
	v_mov_b32_e32 v240, v234
	v_mov_b32_e32 v0, v234
.LBB110_1045:
	s_or_b32 exec_lo, exec_lo, s1
.LBB110_1046:
	s_andn2_saveexec_b32 s0, s0
	s_cbranch_execz .LBB110_1048
; %bb.1047:
	v_mov_b32_e32 v240, 49
	ds_write2_b64 v1, v[22:23], v[24:25] offset0:100 offset1:101
	ds_write2_b64 v1, v[18:19], v[20:21] offset0:102 offset1:103
	;; [unrolled: 1-line block ×6, first 2 shown]
.LBB110_1048:
	s_or_b32 exec_lo, exec_lo, s0
	s_mov_b32 s0, exec_lo
	s_waitcnt lgkmcnt(0)
	s_waitcnt_vscnt null, 0x0
	s_barrier
	buffer_gl0_inv
	v_cmpx_lt_i32_e32 49, v240
	s_cbranch_execz .LBB110_1050
; %bb.1049:
	v_mul_f64 v[210:211], v[226:227], v[28:29]
	v_mul_f64 v[28:29], v[228:229], v[28:29]
	v_fma_f64 v[210:211], v[228:229], v[26:27], v[210:211]
	v_fma_f64 v[26:27], v[226:227], v[26:27], -v[28:29]
	ds_read2_b64 v[226:229], v1 offset0:100 offset1:101
	s_waitcnt lgkmcnt(0)
	v_mul_f64 v[28:29], v[228:229], v[210:211]
	v_mul_f64 v[212:213], v[226:227], v[210:211]
	v_fma_f64 v[28:29], v[226:227], v[26:27], -v[28:29]
	v_fma_f64 v[212:213], v[228:229], v[26:27], v[212:213]
	ds_read2_b64 v[226:229], v1 offset0:102 offset1:103
	v_add_f64 v[22:23], v[22:23], -v[28:29]
	v_add_f64 v[24:25], v[24:25], -v[212:213]
	s_waitcnt lgkmcnt(0)
	v_mul_f64 v[28:29], v[228:229], v[210:211]
	v_mul_f64 v[212:213], v[226:227], v[210:211]
	v_fma_f64 v[28:29], v[226:227], v[26:27], -v[28:29]
	v_fma_f64 v[212:213], v[228:229], v[26:27], v[212:213]
	ds_read2_b64 v[226:229], v1 offset0:104 offset1:105
	v_add_f64 v[18:19], v[18:19], -v[28:29]
	v_add_f64 v[20:21], v[20:21], -v[212:213]
	;; [unrolled: 8-line block ×5, first 2 shown]
	s_waitcnt lgkmcnt(0)
	v_mul_f64 v[28:29], v[228:229], v[210:211]
	v_mul_f64 v[212:213], v[226:227], v[210:211]
	v_fma_f64 v[28:29], v[226:227], v[26:27], -v[28:29]
	v_fma_f64 v[212:213], v[228:229], v[26:27], v[212:213]
	v_add_f64 v[230:231], v[230:231], -v[28:29]
	v_add_f64 v[232:233], v[232:233], -v[212:213]
	v_mov_b32_e32 v28, v210
	v_mov_b32_e32 v29, v211
.LBB110_1050:
	s_or_b32 exec_lo, exec_lo, s0
	v_lshl_add_u32 v210, v240, 4, v1
	s_barrier
	buffer_gl0_inv
	v_mov_b32_e32 v234, 50
	ds_write2_b64 v210, v[22:23], v[24:25] offset1:1
	s_waitcnt lgkmcnt(0)
	s_barrier
	buffer_gl0_inv
	ds_read2_b64 v[226:229], v1 offset0:100 offset1:101
	s_cmp_lt_i32 s8, 52
	s_cbranch_scc1 .LBB110_1053
; %bb.1051:
	v_add3_u32 v235, v253, 0, 0x330
	v_mov_b32_e32 v234, 50
	s_mov_b32 s1, 51
	s_inst_prefetch 0x1
	.p2align	6
.LBB110_1052:                           ; =>This Inner Loop Header: Depth=1
	s_waitcnt lgkmcnt(0)
	v_cmp_gt_f64_e32 vcc_lo, 0, v[228:229]
	v_cmp_gt_f64_e64 s0, 0, v[226:227]
	ds_read2_b64 v[241:244], v235 offset1:1
	v_xor_b32_e32 v211, 0x80000000, v227
	v_xor_b32_e32 v213, 0x80000000, v229
	v_mov_b32_e32 v210, v226
	v_mov_b32_e32 v212, v228
	v_add_nc_u32_e32 v235, 16, v235
	s_waitcnt lgkmcnt(0)
	v_xor_b32_e32 v219, 0x80000000, v244
	v_cndmask_b32_e64 v211, v227, v211, s0
	v_cndmask_b32_e32 v213, v229, v213, vcc_lo
	v_cmp_gt_f64_e32 vcc_lo, 0, v[243:244]
	v_cmp_gt_f64_e64 s0, 0, v[241:242]
	v_mov_b32_e32 v218, v243
	v_add_f64 v[210:211], v[210:211], v[212:213]
	v_xor_b32_e32 v213, 0x80000000, v242
	v_mov_b32_e32 v212, v241
	v_cndmask_b32_e32 v219, v244, v219, vcc_lo
	v_cndmask_b32_e64 v213, v242, v213, s0
	v_add_f64 v[212:213], v[212:213], v[218:219]
	v_cmp_lt_f64_e32 vcc_lo, v[210:211], v[212:213]
	v_cndmask_b32_e32 v227, v227, v242, vcc_lo
	v_cndmask_b32_e32 v226, v226, v241, vcc_lo
	;; [unrolled: 1-line block ×4, first 2 shown]
	v_cndmask_b32_e64 v234, v234, s1, vcc_lo
	s_add_i32 s1, s1, 1
	s_cmp_lg_u32 s8, s1
	s_cbranch_scc1 .LBB110_1052
.LBB110_1053:
	s_inst_prefetch 0x2
	s_waitcnt lgkmcnt(0)
	v_cmp_eq_f64_e32 vcc_lo, 0, v[226:227]
	v_cmp_eq_f64_e64 s0, 0, v[228:229]
	s_and_b32 s0, vcc_lo, s0
	s_and_saveexec_b32 s1, s0
	s_xor_b32 s0, exec_lo, s1
; %bb.1054:
	v_cmp_ne_u32_e32 vcc_lo, 0, v239
	v_cndmask_b32_e32 v239, 51, v239, vcc_lo
; %bb.1055:
	s_andn2_saveexec_b32 s0, s0
	s_cbranch_execz .LBB110_1061
; %bb.1056:
	v_cmp_ngt_f64_e64 s1, |v[226:227]|, |v[228:229]|
	s_and_saveexec_b32 s7, s1
	s_xor_b32 s1, exec_lo, s7
	s_cbranch_execz .LBB110_1058
; %bb.1057:
	v_div_scale_f64 v[210:211], null, v[228:229], v[228:229], v[226:227]
	v_div_scale_f64 v[220:221], vcc_lo, v[226:227], v[228:229], v[226:227]
	v_rcp_f64_e32 v[212:213], v[210:211]
	v_fma_f64 v[218:219], -v[210:211], v[212:213], 1.0
	v_fma_f64 v[212:213], v[212:213], v[218:219], v[212:213]
	v_fma_f64 v[218:219], -v[210:211], v[212:213], 1.0
	v_fma_f64 v[212:213], v[212:213], v[218:219], v[212:213]
	v_mul_f64 v[218:219], v[220:221], v[212:213]
	v_fma_f64 v[210:211], -v[210:211], v[218:219], v[220:221]
	v_div_fmas_f64 v[210:211], v[210:211], v[212:213], v[218:219]
	v_div_fixup_f64 v[210:211], v[210:211], v[228:229], v[226:227]
	v_fma_f64 v[212:213], v[226:227], v[210:211], v[228:229]
	v_div_scale_f64 v[218:219], null, v[212:213], v[212:213], 1.0
	v_rcp_f64_e32 v[220:221], v[218:219]
	v_fma_f64 v[222:223], -v[218:219], v[220:221], 1.0
	v_fma_f64 v[220:221], v[220:221], v[222:223], v[220:221]
	v_fma_f64 v[222:223], -v[218:219], v[220:221], 1.0
	v_fma_f64 v[220:221], v[220:221], v[222:223], v[220:221]
	v_div_scale_f64 v[222:223], vcc_lo, 1.0, v[212:213], 1.0
	v_mul_f64 v[224:225], v[222:223], v[220:221]
	v_fma_f64 v[218:219], -v[218:219], v[224:225], v[222:223]
	v_div_fmas_f64 v[218:219], v[218:219], v[220:221], v[224:225]
	v_div_fixup_f64 v[228:229], v[218:219], v[212:213], 1.0
	v_mul_f64 v[226:227], v[210:211], v[228:229]
	v_xor_b32_e32 v229, 0x80000000, v229
.LBB110_1058:
	s_andn2_saveexec_b32 s1, s1
	s_cbranch_execz .LBB110_1060
; %bb.1059:
	v_div_scale_f64 v[210:211], null, v[226:227], v[226:227], v[228:229]
	v_div_scale_f64 v[220:221], vcc_lo, v[228:229], v[226:227], v[228:229]
	v_rcp_f64_e32 v[212:213], v[210:211]
	v_fma_f64 v[218:219], -v[210:211], v[212:213], 1.0
	v_fma_f64 v[212:213], v[212:213], v[218:219], v[212:213]
	v_fma_f64 v[218:219], -v[210:211], v[212:213], 1.0
	v_fma_f64 v[212:213], v[212:213], v[218:219], v[212:213]
	v_mul_f64 v[218:219], v[220:221], v[212:213]
	v_fma_f64 v[210:211], -v[210:211], v[218:219], v[220:221]
	v_div_fmas_f64 v[210:211], v[210:211], v[212:213], v[218:219]
	v_div_fixup_f64 v[210:211], v[210:211], v[226:227], v[228:229]
	v_fma_f64 v[212:213], v[228:229], v[210:211], v[226:227]
	v_div_scale_f64 v[218:219], null, v[212:213], v[212:213], 1.0
	v_rcp_f64_e32 v[220:221], v[218:219]
	v_fma_f64 v[222:223], -v[218:219], v[220:221], 1.0
	v_fma_f64 v[220:221], v[220:221], v[222:223], v[220:221]
	v_fma_f64 v[222:223], -v[218:219], v[220:221], 1.0
	v_fma_f64 v[220:221], v[220:221], v[222:223], v[220:221]
	v_div_scale_f64 v[222:223], vcc_lo, 1.0, v[212:213], 1.0
	v_mul_f64 v[224:225], v[222:223], v[220:221]
	v_fma_f64 v[218:219], -v[218:219], v[224:225], v[222:223]
	v_div_fmas_f64 v[218:219], v[218:219], v[220:221], v[224:225]
	v_div_fixup_f64 v[226:227], v[218:219], v[212:213], 1.0
	v_mul_f64 v[228:229], v[210:211], -v[226:227]
.LBB110_1060:
	s_or_b32 exec_lo, exec_lo, s1
.LBB110_1061:
	s_or_b32 exec_lo, exec_lo, s0
	s_mov_b32 s0, exec_lo
	v_cmpx_ne_u32_e64 v240, v234
	s_xor_b32 s0, exec_lo, s0
	s_cbranch_execz .LBB110_1067
; %bb.1062:
	s_mov_b32 s1, exec_lo
	v_cmpx_eq_u32_e32 50, v240
	s_cbranch_execz .LBB110_1066
; %bb.1063:
	v_cmp_ne_u32_e32 vcc_lo, 50, v234
	s_xor_b32 s7, s16, -1
	s_and_b32 s9, s7, vcc_lo
	s_and_saveexec_b32 s7, s9
	s_cbranch_execz .LBB110_1065
; %bb.1064:
	v_ashrrev_i32_e32 v235, 31, v234
	v_lshlrev_b64 v[210:211], 2, v[234:235]
	v_add_co_u32 v210, vcc_lo, v214, v210
	v_add_co_ci_u32_e64 v211, null, v215, v211, vcc_lo
	s_clause 0x1
	global_load_dword v0, v[210:211], off
	global_load_dword v212, v[214:215], off offset:200
	s_waitcnt vmcnt(1)
	global_store_dword v[214:215], v0, off offset:200
	s_waitcnt vmcnt(0)
	global_store_dword v[210:211], v212, off
.LBB110_1065:
	s_or_b32 exec_lo, exec_lo, s7
	v_mov_b32_e32 v240, v234
	v_mov_b32_e32 v0, v234
.LBB110_1066:
	s_or_b32 exec_lo, exec_lo, s1
.LBB110_1067:
	s_andn2_saveexec_b32 s0, s0
	s_cbranch_execz .LBB110_1069
; %bb.1068:
	v_mov_b32_e32 v240, 50
	ds_write2_b64 v1, v[18:19], v[20:21] offset0:102 offset1:103
	ds_write2_b64 v1, v[14:15], v[16:17] offset0:104 offset1:105
	;; [unrolled: 1-line block ×5, first 2 shown]
.LBB110_1069:
	s_or_b32 exec_lo, exec_lo, s0
	s_mov_b32 s0, exec_lo
	s_waitcnt lgkmcnt(0)
	s_waitcnt_vscnt null, 0x0
	s_barrier
	buffer_gl0_inv
	v_cmpx_lt_i32_e32 50, v240
	s_cbranch_execz .LBB110_1071
; %bb.1070:
	v_mul_f64 v[210:211], v[226:227], v[24:25]
	v_mul_f64 v[24:25], v[228:229], v[24:25]
	v_fma_f64 v[210:211], v[228:229], v[22:23], v[210:211]
	v_fma_f64 v[22:23], v[226:227], v[22:23], -v[24:25]
	ds_read2_b64 v[226:229], v1 offset0:102 offset1:103
	s_waitcnt lgkmcnt(0)
	v_mul_f64 v[24:25], v[228:229], v[210:211]
	v_mul_f64 v[212:213], v[226:227], v[210:211]
	v_fma_f64 v[24:25], v[226:227], v[22:23], -v[24:25]
	v_fma_f64 v[212:213], v[228:229], v[22:23], v[212:213]
	ds_read2_b64 v[226:229], v1 offset0:104 offset1:105
	v_add_f64 v[18:19], v[18:19], -v[24:25]
	v_add_f64 v[20:21], v[20:21], -v[212:213]
	s_waitcnt lgkmcnt(0)
	v_mul_f64 v[24:25], v[228:229], v[210:211]
	v_mul_f64 v[212:213], v[226:227], v[210:211]
	v_fma_f64 v[24:25], v[226:227], v[22:23], -v[24:25]
	v_fma_f64 v[212:213], v[228:229], v[22:23], v[212:213]
	ds_read2_b64 v[226:229], v1 offset0:106 offset1:107
	v_add_f64 v[14:15], v[14:15], -v[24:25]
	v_add_f64 v[16:17], v[16:17], -v[212:213]
	;; [unrolled: 8-line block ×4, first 2 shown]
	s_waitcnt lgkmcnt(0)
	v_mul_f64 v[24:25], v[228:229], v[210:211]
	v_mul_f64 v[212:213], v[226:227], v[210:211]
	v_fma_f64 v[24:25], v[226:227], v[22:23], -v[24:25]
	v_fma_f64 v[212:213], v[228:229], v[22:23], v[212:213]
	v_add_f64 v[230:231], v[230:231], -v[24:25]
	v_add_f64 v[232:233], v[232:233], -v[212:213]
	v_mov_b32_e32 v24, v210
	v_mov_b32_e32 v25, v211
.LBB110_1071:
	s_or_b32 exec_lo, exec_lo, s0
	v_lshl_add_u32 v210, v240, 4, v1
	s_barrier
	buffer_gl0_inv
	v_mov_b32_e32 v234, 51
	ds_write2_b64 v210, v[18:19], v[20:21] offset1:1
	s_waitcnt lgkmcnt(0)
	s_barrier
	buffer_gl0_inv
	ds_read2_b64 v[226:229], v1 offset0:102 offset1:103
	s_cmp_lt_i32 s8, 53
	s_cbranch_scc1 .LBB110_1074
; %bb.1072:
	v_add3_u32 v235, v253, 0, 0x340
	v_mov_b32_e32 v234, 51
	s_mov_b32 s1, 52
	s_inst_prefetch 0x1
	.p2align	6
.LBB110_1073:                           ; =>This Inner Loop Header: Depth=1
	s_waitcnt lgkmcnt(0)
	v_cmp_gt_f64_e32 vcc_lo, 0, v[228:229]
	v_cmp_gt_f64_e64 s0, 0, v[226:227]
	ds_read2_b64 v[241:244], v235 offset1:1
	v_xor_b32_e32 v211, 0x80000000, v227
	v_xor_b32_e32 v213, 0x80000000, v229
	v_mov_b32_e32 v210, v226
	v_mov_b32_e32 v212, v228
	v_add_nc_u32_e32 v235, 16, v235
	s_waitcnt lgkmcnt(0)
	v_xor_b32_e32 v219, 0x80000000, v244
	v_cndmask_b32_e64 v211, v227, v211, s0
	v_cndmask_b32_e32 v213, v229, v213, vcc_lo
	v_cmp_gt_f64_e32 vcc_lo, 0, v[243:244]
	v_cmp_gt_f64_e64 s0, 0, v[241:242]
	v_mov_b32_e32 v218, v243
	v_add_f64 v[210:211], v[210:211], v[212:213]
	v_xor_b32_e32 v213, 0x80000000, v242
	v_mov_b32_e32 v212, v241
	v_cndmask_b32_e32 v219, v244, v219, vcc_lo
	v_cndmask_b32_e64 v213, v242, v213, s0
	v_add_f64 v[212:213], v[212:213], v[218:219]
	v_cmp_lt_f64_e32 vcc_lo, v[210:211], v[212:213]
	v_cndmask_b32_e32 v227, v227, v242, vcc_lo
	v_cndmask_b32_e32 v226, v226, v241, vcc_lo
	;; [unrolled: 1-line block ×4, first 2 shown]
	v_cndmask_b32_e64 v234, v234, s1, vcc_lo
	s_add_i32 s1, s1, 1
	s_cmp_lg_u32 s8, s1
	s_cbranch_scc1 .LBB110_1073
.LBB110_1074:
	s_inst_prefetch 0x2
	s_waitcnt lgkmcnt(0)
	v_cmp_eq_f64_e32 vcc_lo, 0, v[226:227]
	v_cmp_eq_f64_e64 s0, 0, v[228:229]
	s_and_b32 s0, vcc_lo, s0
	s_and_saveexec_b32 s1, s0
	s_xor_b32 s0, exec_lo, s1
; %bb.1075:
	v_cmp_ne_u32_e32 vcc_lo, 0, v239
	v_cndmask_b32_e32 v239, 52, v239, vcc_lo
; %bb.1076:
	s_andn2_saveexec_b32 s0, s0
	s_cbranch_execz .LBB110_1082
; %bb.1077:
	v_cmp_ngt_f64_e64 s1, |v[226:227]|, |v[228:229]|
	s_and_saveexec_b32 s7, s1
	s_xor_b32 s1, exec_lo, s7
	s_cbranch_execz .LBB110_1079
; %bb.1078:
	v_div_scale_f64 v[210:211], null, v[228:229], v[228:229], v[226:227]
	v_div_scale_f64 v[220:221], vcc_lo, v[226:227], v[228:229], v[226:227]
	v_rcp_f64_e32 v[212:213], v[210:211]
	v_fma_f64 v[218:219], -v[210:211], v[212:213], 1.0
	v_fma_f64 v[212:213], v[212:213], v[218:219], v[212:213]
	v_fma_f64 v[218:219], -v[210:211], v[212:213], 1.0
	v_fma_f64 v[212:213], v[212:213], v[218:219], v[212:213]
	v_mul_f64 v[218:219], v[220:221], v[212:213]
	v_fma_f64 v[210:211], -v[210:211], v[218:219], v[220:221]
	v_div_fmas_f64 v[210:211], v[210:211], v[212:213], v[218:219]
	v_div_fixup_f64 v[210:211], v[210:211], v[228:229], v[226:227]
	v_fma_f64 v[212:213], v[226:227], v[210:211], v[228:229]
	v_div_scale_f64 v[218:219], null, v[212:213], v[212:213], 1.0
	v_rcp_f64_e32 v[220:221], v[218:219]
	v_fma_f64 v[222:223], -v[218:219], v[220:221], 1.0
	v_fma_f64 v[220:221], v[220:221], v[222:223], v[220:221]
	v_fma_f64 v[222:223], -v[218:219], v[220:221], 1.0
	v_fma_f64 v[220:221], v[220:221], v[222:223], v[220:221]
	v_div_scale_f64 v[222:223], vcc_lo, 1.0, v[212:213], 1.0
	v_mul_f64 v[224:225], v[222:223], v[220:221]
	v_fma_f64 v[218:219], -v[218:219], v[224:225], v[222:223]
	v_div_fmas_f64 v[218:219], v[218:219], v[220:221], v[224:225]
	v_div_fixup_f64 v[228:229], v[218:219], v[212:213], 1.0
	v_mul_f64 v[226:227], v[210:211], v[228:229]
	v_xor_b32_e32 v229, 0x80000000, v229
.LBB110_1079:
	s_andn2_saveexec_b32 s1, s1
	s_cbranch_execz .LBB110_1081
; %bb.1080:
	v_div_scale_f64 v[210:211], null, v[226:227], v[226:227], v[228:229]
	v_div_scale_f64 v[220:221], vcc_lo, v[228:229], v[226:227], v[228:229]
	v_rcp_f64_e32 v[212:213], v[210:211]
	v_fma_f64 v[218:219], -v[210:211], v[212:213], 1.0
	v_fma_f64 v[212:213], v[212:213], v[218:219], v[212:213]
	v_fma_f64 v[218:219], -v[210:211], v[212:213], 1.0
	v_fma_f64 v[212:213], v[212:213], v[218:219], v[212:213]
	v_mul_f64 v[218:219], v[220:221], v[212:213]
	v_fma_f64 v[210:211], -v[210:211], v[218:219], v[220:221]
	v_div_fmas_f64 v[210:211], v[210:211], v[212:213], v[218:219]
	v_div_fixup_f64 v[210:211], v[210:211], v[226:227], v[228:229]
	v_fma_f64 v[212:213], v[228:229], v[210:211], v[226:227]
	v_div_scale_f64 v[218:219], null, v[212:213], v[212:213], 1.0
	v_rcp_f64_e32 v[220:221], v[218:219]
	v_fma_f64 v[222:223], -v[218:219], v[220:221], 1.0
	v_fma_f64 v[220:221], v[220:221], v[222:223], v[220:221]
	v_fma_f64 v[222:223], -v[218:219], v[220:221], 1.0
	v_fma_f64 v[220:221], v[220:221], v[222:223], v[220:221]
	v_div_scale_f64 v[222:223], vcc_lo, 1.0, v[212:213], 1.0
	v_mul_f64 v[224:225], v[222:223], v[220:221]
	v_fma_f64 v[218:219], -v[218:219], v[224:225], v[222:223]
	v_div_fmas_f64 v[218:219], v[218:219], v[220:221], v[224:225]
	v_div_fixup_f64 v[226:227], v[218:219], v[212:213], 1.0
	v_mul_f64 v[228:229], v[210:211], -v[226:227]
.LBB110_1081:
	s_or_b32 exec_lo, exec_lo, s1
.LBB110_1082:
	s_or_b32 exec_lo, exec_lo, s0
	s_mov_b32 s0, exec_lo
	v_cmpx_ne_u32_e64 v240, v234
	s_xor_b32 s0, exec_lo, s0
	s_cbranch_execz .LBB110_1088
; %bb.1083:
	s_mov_b32 s1, exec_lo
	v_cmpx_eq_u32_e32 51, v240
	s_cbranch_execz .LBB110_1087
; %bb.1084:
	v_cmp_ne_u32_e32 vcc_lo, 51, v234
	s_xor_b32 s7, s16, -1
	s_and_b32 s9, s7, vcc_lo
	s_and_saveexec_b32 s7, s9
	s_cbranch_execz .LBB110_1086
; %bb.1085:
	v_ashrrev_i32_e32 v235, 31, v234
	v_lshlrev_b64 v[210:211], 2, v[234:235]
	v_add_co_u32 v210, vcc_lo, v214, v210
	v_add_co_ci_u32_e64 v211, null, v215, v211, vcc_lo
	s_clause 0x1
	global_load_dword v0, v[210:211], off
	global_load_dword v212, v[214:215], off offset:204
	s_waitcnt vmcnt(1)
	global_store_dword v[214:215], v0, off offset:204
	s_waitcnt vmcnt(0)
	global_store_dword v[210:211], v212, off
.LBB110_1086:
	s_or_b32 exec_lo, exec_lo, s7
	v_mov_b32_e32 v240, v234
	v_mov_b32_e32 v0, v234
.LBB110_1087:
	s_or_b32 exec_lo, exec_lo, s1
.LBB110_1088:
	s_andn2_saveexec_b32 s0, s0
	s_cbranch_execz .LBB110_1090
; %bb.1089:
	v_mov_b32_e32 v240, 51
	ds_write2_b64 v1, v[14:15], v[16:17] offset0:104 offset1:105
	ds_write2_b64 v1, v[10:11], v[12:13] offset0:106 offset1:107
	;; [unrolled: 1-line block ×4, first 2 shown]
.LBB110_1090:
	s_or_b32 exec_lo, exec_lo, s0
	s_mov_b32 s0, exec_lo
	s_waitcnt lgkmcnt(0)
	s_waitcnt_vscnt null, 0x0
	s_barrier
	buffer_gl0_inv
	v_cmpx_lt_i32_e32 51, v240
	s_cbranch_execz .LBB110_1092
; %bb.1091:
	v_mul_f64 v[210:211], v[226:227], v[20:21]
	v_mul_f64 v[20:21], v[228:229], v[20:21]
	v_fma_f64 v[210:211], v[228:229], v[18:19], v[210:211]
	v_fma_f64 v[18:19], v[226:227], v[18:19], -v[20:21]
	ds_read2_b64 v[226:229], v1 offset0:104 offset1:105
	s_waitcnt lgkmcnt(0)
	v_mul_f64 v[20:21], v[228:229], v[210:211]
	v_mul_f64 v[212:213], v[226:227], v[210:211]
	v_fma_f64 v[20:21], v[226:227], v[18:19], -v[20:21]
	v_fma_f64 v[212:213], v[228:229], v[18:19], v[212:213]
	ds_read2_b64 v[226:229], v1 offset0:106 offset1:107
	v_add_f64 v[14:15], v[14:15], -v[20:21]
	v_add_f64 v[16:17], v[16:17], -v[212:213]
	s_waitcnt lgkmcnt(0)
	v_mul_f64 v[20:21], v[228:229], v[210:211]
	v_mul_f64 v[212:213], v[226:227], v[210:211]
	v_fma_f64 v[20:21], v[226:227], v[18:19], -v[20:21]
	v_fma_f64 v[212:213], v[228:229], v[18:19], v[212:213]
	ds_read2_b64 v[226:229], v1 offset0:108 offset1:109
	v_add_f64 v[10:11], v[10:11], -v[20:21]
	v_add_f64 v[12:13], v[12:13], -v[212:213]
	;; [unrolled: 8-line block ×3, first 2 shown]
	s_waitcnt lgkmcnt(0)
	v_mul_f64 v[20:21], v[228:229], v[210:211]
	v_mul_f64 v[212:213], v[226:227], v[210:211]
	v_fma_f64 v[20:21], v[226:227], v[18:19], -v[20:21]
	v_fma_f64 v[212:213], v[228:229], v[18:19], v[212:213]
	v_add_f64 v[230:231], v[230:231], -v[20:21]
	v_add_f64 v[232:233], v[232:233], -v[212:213]
	v_mov_b32_e32 v20, v210
	v_mov_b32_e32 v21, v211
.LBB110_1092:
	s_or_b32 exec_lo, exec_lo, s0
	v_lshl_add_u32 v210, v240, 4, v1
	s_barrier
	buffer_gl0_inv
	v_mov_b32_e32 v234, 52
	ds_write2_b64 v210, v[14:15], v[16:17] offset1:1
	s_waitcnt lgkmcnt(0)
	s_barrier
	buffer_gl0_inv
	ds_read2_b64 v[226:229], v1 offset0:104 offset1:105
	s_cmp_lt_i32 s8, 54
	s_cbranch_scc1 .LBB110_1095
; %bb.1093:
	v_add3_u32 v235, v253, 0, 0x350
	v_mov_b32_e32 v234, 52
	s_mov_b32 s1, 53
	s_inst_prefetch 0x1
	.p2align	6
.LBB110_1094:                           ; =>This Inner Loop Header: Depth=1
	s_waitcnt lgkmcnt(0)
	v_cmp_gt_f64_e32 vcc_lo, 0, v[228:229]
	v_cmp_gt_f64_e64 s0, 0, v[226:227]
	ds_read2_b64 v[241:244], v235 offset1:1
	v_xor_b32_e32 v211, 0x80000000, v227
	v_xor_b32_e32 v213, 0x80000000, v229
	v_mov_b32_e32 v210, v226
	v_mov_b32_e32 v212, v228
	v_add_nc_u32_e32 v235, 16, v235
	s_waitcnt lgkmcnt(0)
	v_xor_b32_e32 v219, 0x80000000, v244
	v_cndmask_b32_e64 v211, v227, v211, s0
	v_cndmask_b32_e32 v213, v229, v213, vcc_lo
	v_cmp_gt_f64_e32 vcc_lo, 0, v[243:244]
	v_cmp_gt_f64_e64 s0, 0, v[241:242]
	v_mov_b32_e32 v218, v243
	v_add_f64 v[210:211], v[210:211], v[212:213]
	v_xor_b32_e32 v213, 0x80000000, v242
	v_mov_b32_e32 v212, v241
	v_cndmask_b32_e32 v219, v244, v219, vcc_lo
	v_cndmask_b32_e64 v213, v242, v213, s0
	v_add_f64 v[212:213], v[212:213], v[218:219]
	v_cmp_lt_f64_e32 vcc_lo, v[210:211], v[212:213]
	v_cndmask_b32_e32 v227, v227, v242, vcc_lo
	v_cndmask_b32_e32 v226, v226, v241, vcc_lo
	;; [unrolled: 1-line block ×4, first 2 shown]
	v_cndmask_b32_e64 v234, v234, s1, vcc_lo
	s_add_i32 s1, s1, 1
	s_cmp_lg_u32 s8, s1
	s_cbranch_scc1 .LBB110_1094
.LBB110_1095:
	s_inst_prefetch 0x2
	s_waitcnt lgkmcnt(0)
	v_cmp_eq_f64_e32 vcc_lo, 0, v[226:227]
	v_cmp_eq_f64_e64 s0, 0, v[228:229]
	s_and_b32 s0, vcc_lo, s0
	s_and_saveexec_b32 s1, s0
	s_xor_b32 s0, exec_lo, s1
; %bb.1096:
	v_cmp_ne_u32_e32 vcc_lo, 0, v239
	v_cndmask_b32_e32 v239, 53, v239, vcc_lo
; %bb.1097:
	s_andn2_saveexec_b32 s0, s0
	s_cbranch_execz .LBB110_1103
; %bb.1098:
	v_cmp_ngt_f64_e64 s1, |v[226:227]|, |v[228:229]|
	s_and_saveexec_b32 s7, s1
	s_xor_b32 s1, exec_lo, s7
	s_cbranch_execz .LBB110_1100
; %bb.1099:
	v_div_scale_f64 v[210:211], null, v[228:229], v[228:229], v[226:227]
	v_div_scale_f64 v[220:221], vcc_lo, v[226:227], v[228:229], v[226:227]
	v_rcp_f64_e32 v[212:213], v[210:211]
	v_fma_f64 v[218:219], -v[210:211], v[212:213], 1.0
	v_fma_f64 v[212:213], v[212:213], v[218:219], v[212:213]
	v_fma_f64 v[218:219], -v[210:211], v[212:213], 1.0
	v_fma_f64 v[212:213], v[212:213], v[218:219], v[212:213]
	v_mul_f64 v[218:219], v[220:221], v[212:213]
	v_fma_f64 v[210:211], -v[210:211], v[218:219], v[220:221]
	v_div_fmas_f64 v[210:211], v[210:211], v[212:213], v[218:219]
	v_div_fixup_f64 v[210:211], v[210:211], v[228:229], v[226:227]
	v_fma_f64 v[212:213], v[226:227], v[210:211], v[228:229]
	v_div_scale_f64 v[218:219], null, v[212:213], v[212:213], 1.0
	v_rcp_f64_e32 v[220:221], v[218:219]
	v_fma_f64 v[222:223], -v[218:219], v[220:221], 1.0
	v_fma_f64 v[220:221], v[220:221], v[222:223], v[220:221]
	v_fma_f64 v[222:223], -v[218:219], v[220:221], 1.0
	v_fma_f64 v[220:221], v[220:221], v[222:223], v[220:221]
	v_div_scale_f64 v[222:223], vcc_lo, 1.0, v[212:213], 1.0
	v_mul_f64 v[224:225], v[222:223], v[220:221]
	v_fma_f64 v[218:219], -v[218:219], v[224:225], v[222:223]
	v_div_fmas_f64 v[218:219], v[218:219], v[220:221], v[224:225]
	v_div_fixup_f64 v[228:229], v[218:219], v[212:213], 1.0
	v_mul_f64 v[226:227], v[210:211], v[228:229]
	v_xor_b32_e32 v229, 0x80000000, v229
.LBB110_1100:
	s_andn2_saveexec_b32 s1, s1
	s_cbranch_execz .LBB110_1102
; %bb.1101:
	v_div_scale_f64 v[210:211], null, v[226:227], v[226:227], v[228:229]
	v_div_scale_f64 v[220:221], vcc_lo, v[228:229], v[226:227], v[228:229]
	v_rcp_f64_e32 v[212:213], v[210:211]
	v_fma_f64 v[218:219], -v[210:211], v[212:213], 1.0
	v_fma_f64 v[212:213], v[212:213], v[218:219], v[212:213]
	v_fma_f64 v[218:219], -v[210:211], v[212:213], 1.0
	v_fma_f64 v[212:213], v[212:213], v[218:219], v[212:213]
	v_mul_f64 v[218:219], v[220:221], v[212:213]
	v_fma_f64 v[210:211], -v[210:211], v[218:219], v[220:221]
	v_div_fmas_f64 v[210:211], v[210:211], v[212:213], v[218:219]
	v_div_fixup_f64 v[210:211], v[210:211], v[226:227], v[228:229]
	v_fma_f64 v[212:213], v[228:229], v[210:211], v[226:227]
	v_div_scale_f64 v[218:219], null, v[212:213], v[212:213], 1.0
	v_rcp_f64_e32 v[220:221], v[218:219]
	v_fma_f64 v[222:223], -v[218:219], v[220:221], 1.0
	v_fma_f64 v[220:221], v[220:221], v[222:223], v[220:221]
	v_fma_f64 v[222:223], -v[218:219], v[220:221], 1.0
	v_fma_f64 v[220:221], v[220:221], v[222:223], v[220:221]
	v_div_scale_f64 v[222:223], vcc_lo, 1.0, v[212:213], 1.0
	v_mul_f64 v[224:225], v[222:223], v[220:221]
	v_fma_f64 v[218:219], -v[218:219], v[224:225], v[222:223]
	v_div_fmas_f64 v[218:219], v[218:219], v[220:221], v[224:225]
	v_div_fixup_f64 v[226:227], v[218:219], v[212:213], 1.0
	v_mul_f64 v[228:229], v[210:211], -v[226:227]
.LBB110_1102:
	s_or_b32 exec_lo, exec_lo, s1
.LBB110_1103:
	s_or_b32 exec_lo, exec_lo, s0
	s_mov_b32 s0, exec_lo
	v_cmpx_ne_u32_e64 v240, v234
	s_xor_b32 s0, exec_lo, s0
	s_cbranch_execz .LBB110_1109
; %bb.1104:
	s_mov_b32 s1, exec_lo
	v_cmpx_eq_u32_e32 52, v240
	s_cbranch_execz .LBB110_1108
; %bb.1105:
	v_cmp_ne_u32_e32 vcc_lo, 52, v234
	s_xor_b32 s7, s16, -1
	s_and_b32 s9, s7, vcc_lo
	s_and_saveexec_b32 s7, s9
	s_cbranch_execz .LBB110_1107
; %bb.1106:
	v_ashrrev_i32_e32 v235, 31, v234
	v_lshlrev_b64 v[210:211], 2, v[234:235]
	v_add_co_u32 v210, vcc_lo, v214, v210
	v_add_co_ci_u32_e64 v211, null, v215, v211, vcc_lo
	s_clause 0x1
	global_load_dword v0, v[210:211], off
	global_load_dword v212, v[214:215], off offset:208
	s_waitcnt vmcnt(1)
	global_store_dword v[214:215], v0, off offset:208
	s_waitcnt vmcnt(0)
	global_store_dword v[210:211], v212, off
.LBB110_1107:
	s_or_b32 exec_lo, exec_lo, s7
	v_mov_b32_e32 v240, v234
	v_mov_b32_e32 v0, v234
.LBB110_1108:
	s_or_b32 exec_lo, exec_lo, s1
.LBB110_1109:
	s_andn2_saveexec_b32 s0, s0
	s_cbranch_execz .LBB110_1111
; %bb.1110:
	v_mov_b32_e32 v240, 52
	ds_write2_b64 v1, v[10:11], v[12:13] offset0:106 offset1:107
	ds_write2_b64 v1, v[249:250], v[251:252] offset0:108 offset1:109
	ds_write2_b64 v1, v[230:231], v[232:233] offset0:110 offset1:111
.LBB110_1111:
	s_or_b32 exec_lo, exec_lo, s0
	s_mov_b32 s0, exec_lo
	s_waitcnt lgkmcnt(0)
	s_waitcnt_vscnt null, 0x0
	s_barrier
	buffer_gl0_inv
	v_cmpx_lt_i32_e32 52, v240
	s_cbranch_execz .LBB110_1113
; %bb.1112:
	v_mul_f64 v[210:211], v[226:227], v[16:17]
	v_mul_f64 v[16:17], v[228:229], v[16:17]
	v_fma_f64 v[210:211], v[228:229], v[14:15], v[210:211]
	v_fma_f64 v[14:15], v[226:227], v[14:15], -v[16:17]
	ds_read2_b64 v[226:229], v1 offset0:106 offset1:107
	s_waitcnt lgkmcnt(0)
	v_mul_f64 v[16:17], v[228:229], v[210:211]
	v_mul_f64 v[212:213], v[226:227], v[210:211]
	v_fma_f64 v[16:17], v[226:227], v[14:15], -v[16:17]
	v_fma_f64 v[212:213], v[228:229], v[14:15], v[212:213]
	ds_read2_b64 v[226:229], v1 offset0:108 offset1:109
	v_add_f64 v[10:11], v[10:11], -v[16:17]
	v_add_f64 v[12:13], v[12:13], -v[212:213]
	s_waitcnt lgkmcnt(0)
	v_mul_f64 v[16:17], v[228:229], v[210:211]
	v_mul_f64 v[212:213], v[226:227], v[210:211]
	v_fma_f64 v[16:17], v[226:227], v[14:15], -v[16:17]
	v_fma_f64 v[212:213], v[228:229], v[14:15], v[212:213]
	ds_read2_b64 v[226:229], v1 offset0:110 offset1:111
	v_add_f64 v[249:250], v[249:250], -v[16:17]
	v_add_f64 v[251:252], v[251:252], -v[212:213]
	s_waitcnt lgkmcnt(0)
	v_mul_f64 v[16:17], v[228:229], v[210:211]
	v_mul_f64 v[212:213], v[226:227], v[210:211]
	v_fma_f64 v[16:17], v[226:227], v[14:15], -v[16:17]
	v_fma_f64 v[212:213], v[228:229], v[14:15], v[212:213]
	v_add_f64 v[230:231], v[230:231], -v[16:17]
	v_add_f64 v[232:233], v[232:233], -v[212:213]
	v_mov_b32_e32 v16, v210
	v_mov_b32_e32 v17, v211
.LBB110_1113:
	s_or_b32 exec_lo, exec_lo, s0
	v_lshl_add_u32 v210, v240, 4, v1
	s_barrier
	buffer_gl0_inv
	v_mov_b32_e32 v234, 53
	ds_write2_b64 v210, v[10:11], v[12:13] offset1:1
	s_waitcnt lgkmcnt(0)
	s_barrier
	buffer_gl0_inv
	ds_read2_b64 v[226:229], v1 offset0:106 offset1:107
	s_cmp_lt_i32 s8, 55
	s_cbranch_scc1 .LBB110_1116
; %bb.1114:
	v_add3_u32 v235, v253, 0, 0x360
	v_mov_b32_e32 v234, 53
	s_mov_b32 s1, 54
	s_inst_prefetch 0x1
	.p2align	6
.LBB110_1115:                           ; =>This Inner Loop Header: Depth=1
	s_waitcnt lgkmcnt(0)
	v_cmp_gt_f64_e32 vcc_lo, 0, v[228:229]
	v_cmp_gt_f64_e64 s0, 0, v[226:227]
	ds_read2_b64 v[241:244], v235 offset1:1
	v_xor_b32_e32 v211, 0x80000000, v227
	v_xor_b32_e32 v213, 0x80000000, v229
	v_mov_b32_e32 v210, v226
	v_mov_b32_e32 v212, v228
	v_add_nc_u32_e32 v235, 16, v235
	s_waitcnt lgkmcnt(0)
	v_xor_b32_e32 v219, 0x80000000, v244
	v_cndmask_b32_e64 v211, v227, v211, s0
	v_cndmask_b32_e32 v213, v229, v213, vcc_lo
	v_cmp_gt_f64_e32 vcc_lo, 0, v[243:244]
	v_cmp_gt_f64_e64 s0, 0, v[241:242]
	v_mov_b32_e32 v218, v243
	v_add_f64 v[210:211], v[210:211], v[212:213]
	v_xor_b32_e32 v213, 0x80000000, v242
	v_mov_b32_e32 v212, v241
	v_cndmask_b32_e32 v219, v244, v219, vcc_lo
	v_cndmask_b32_e64 v213, v242, v213, s0
	v_add_f64 v[212:213], v[212:213], v[218:219]
	v_cmp_lt_f64_e32 vcc_lo, v[210:211], v[212:213]
	v_cndmask_b32_e32 v227, v227, v242, vcc_lo
	v_cndmask_b32_e32 v226, v226, v241, vcc_lo
	;; [unrolled: 1-line block ×4, first 2 shown]
	v_cndmask_b32_e64 v234, v234, s1, vcc_lo
	s_add_i32 s1, s1, 1
	s_cmp_lg_u32 s8, s1
	s_cbranch_scc1 .LBB110_1115
.LBB110_1116:
	s_inst_prefetch 0x2
	s_waitcnt lgkmcnt(0)
	v_cmp_eq_f64_e32 vcc_lo, 0, v[226:227]
	v_cmp_eq_f64_e64 s0, 0, v[228:229]
	s_and_b32 s0, vcc_lo, s0
	s_and_saveexec_b32 s1, s0
	s_xor_b32 s0, exec_lo, s1
; %bb.1117:
	v_cmp_ne_u32_e32 vcc_lo, 0, v239
	v_cndmask_b32_e32 v239, 54, v239, vcc_lo
; %bb.1118:
	s_andn2_saveexec_b32 s0, s0
	s_cbranch_execz .LBB110_1124
; %bb.1119:
	v_cmp_ngt_f64_e64 s1, |v[226:227]|, |v[228:229]|
	s_and_saveexec_b32 s7, s1
	s_xor_b32 s1, exec_lo, s7
	s_cbranch_execz .LBB110_1121
; %bb.1120:
	v_div_scale_f64 v[210:211], null, v[228:229], v[228:229], v[226:227]
	v_div_scale_f64 v[220:221], vcc_lo, v[226:227], v[228:229], v[226:227]
	v_rcp_f64_e32 v[212:213], v[210:211]
	v_fma_f64 v[218:219], -v[210:211], v[212:213], 1.0
	v_fma_f64 v[212:213], v[212:213], v[218:219], v[212:213]
	v_fma_f64 v[218:219], -v[210:211], v[212:213], 1.0
	v_fma_f64 v[212:213], v[212:213], v[218:219], v[212:213]
	v_mul_f64 v[218:219], v[220:221], v[212:213]
	v_fma_f64 v[210:211], -v[210:211], v[218:219], v[220:221]
	v_div_fmas_f64 v[210:211], v[210:211], v[212:213], v[218:219]
	v_div_fixup_f64 v[210:211], v[210:211], v[228:229], v[226:227]
	v_fma_f64 v[212:213], v[226:227], v[210:211], v[228:229]
	v_div_scale_f64 v[218:219], null, v[212:213], v[212:213], 1.0
	v_rcp_f64_e32 v[220:221], v[218:219]
	v_fma_f64 v[222:223], -v[218:219], v[220:221], 1.0
	v_fma_f64 v[220:221], v[220:221], v[222:223], v[220:221]
	v_fma_f64 v[222:223], -v[218:219], v[220:221], 1.0
	v_fma_f64 v[220:221], v[220:221], v[222:223], v[220:221]
	v_div_scale_f64 v[222:223], vcc_lo, 1.0, v[212:213], 1.0
	v_mul_f64 v[224:225], v[222:223], v[220:221]
	v_fma_f64 v[218:219], -v[218:219], v[224:225], v[222:223]
	v_div_fmas_f64 v[218:219], v[218:219], v[220:221], v[224:225]
	v_div_fixup_f64 v[228:229], v[218:219], v[212:213], 1.0
	v_mul_f64 v[226:227], v[210:211], v[228:229]
	v_xor_b32_e32 v229, 0x80000000, v229
.LBB110_1121:
	s_andn2_saveexec_b32 s1, s1
	s_cbranch_execz .LBB110_1123
; %bb.1122:
	v_div_scale_f64 v[210:211], null, v[226:227], v[226:227], v[228:229]
	v_div_scale_f64 v[220:221], vcc_lo, v[228:229], v[226:227], v[228:229]
	v_rcp_f64_e32 v[212:213], v[210:211]
	v_fma_f64 v[218:219], -v[210:211], v[212:213], 1.0
	v_fma_f64 v[212:213], v[212:213], v[218:219], v[212:213]
	v_fma_f64 v[218:219], -v[210:211], v[212:213], 1.0
	v_fma_f64 v[212:213], v[212:213], v[218:219], v[212:213]
	v_mul_f64 v[218:219], v[220:221], v[212:213]
	v_fma_f64 v[210:211], -v[210:211], v[218:219], v[220:221]
	v_div_fmas_f64 v[210:211], v[210:211], v[212:213], v[218:219]
	v_div_fixup_f64 v[210:211], v[210:211], v[226:227], v[228:229]
	v_fma_f64 v[212:213], v[228:229], v[210:211], v[226:227]
	v_div_scale_f64 v[218:219], null, v[212:213], v[212:213], 1.0
	v_rcp_f64_e32 v[220:221], v[218:219]
	v_fma_f64 v[222:223], -v[218:219], v[220:221], 1.0
	v_fma_f64 v[220:221], v[220:221], v[222:223], v[220:221]
	v_fma_f64 v[222:223], -v[218:219], v[220:221], 1.0
	v_fma_f64 v[220:221], v[220:221], v[222:223], v[220:221]
	v_div_scale_f64 v[222:223], vcc_lo, 1.0, v[212:213], 1.0
	v_mul_f64 v[224:225], v[222:223], v[220:221]
	v_fma_f64 v[218:219], -v[218:219], v[224:225], v[222:223]
	v_div_fmas_f64 v[218:219], v[218:219], v[220:221], v[224:225]
	v_div_fixup_f64 v[226:227], v[218:219], v[212:213], 1.0
	v_mul_f64 v[228:229], v[210:211], -v[226:227]
.LBB110_1123:
	s_or_b32 exec_lo, exec_lo, s1
.LBB110_1124:
	s_or_b32 exec_lo, exec_lo, s0
	s_mov_b32 s0, exec_lo
	v_cmpx_ne_u32_e64 v240, v234
	s_xor_b32 s0, exec_lo, s0
	s_cbranch_execz .LBB110_1130
; %bb.1125:
	s_mov_b32 s1, exec_lo
	v_cmpx_eq_u32_e32 53, v240
	s_cbranch_execz .LBB110_1129
; %bb.1126:
	v_cmp_ne_u32_e32 vcc_lo, 53, v234
	s_xor_b32 s7, s16, -1
	s_and_b32 s9, s7, vcc_lo
	s_and_saveexec_b32 s7, s9
	s_cbranch_execz .LBB110_1128
; %bb.1127:
	v_ashrrev_i32_e32 v235, 31, v234
	v_lshlrev_b64 v[210:211], 2, v[234:235]
	v_add_co_u32 v210, vcc_lo, v214, v210
	v_add_co_ci_u32_e64 v211, null, v215, v211, vcc_lo
	s_clause 0x1
	global_load_dword v0, v[210:211], off
	global_load_dword v212, v[214:215], off offset:212
	s_waitcnt vmcnt(1)
	global_store_dword v[214:215], v0, off offset:212
	s_waitcnt vmcnt(0)
	global_store_dword v[210:211], v212, off
.LBB110_1128:
	s_or_b32 exec_lo, exec_lo, s7
	v_mov_b32_e32 v240, v234
	v_mov_b32_e32 v0, v234
.LBB110_1129:
	s_or_b32 exec_lo, exec_lo, s1
.LBB110_1130:
	s_andn2_saveexec_b32 s0, s0
	s_cbranch_execz .LBB110_1132
; %bb.1131:
	v_mov_b32_e32 v240, 53
	ds_write2_b64 v1, v[249:250], v[251:252] offset0:108 offset1:109
	ds_write2_b64 v1, v[230:231], v[232:233] offset0:110 offset1:111
.LBB110_1132:
	s_or_b32 exec_lo, exec_lo, s0
	s_mov_b32 s0, exec_lo
	s_waitcnt lgkmcnt(0)
	s_waitcnt_vscnt null, 0x0
	s_barrier
	buffer_gl0_inv
	v_cmpx_lt_i32_e32 53, v240
	s_cbranch_execz .LBB110_1134
; %bb.1133:
	v_mul_f64 v[210:211], v[226:227], v[12:13]
	v_mul_f64 v[12:13], v[228:229], v[12:13]
	v_mov_b32_e32 v225, v7
	v_mov_b32_e32 v224, v6
	;; [unrolled: 1-line block ×5, first 2 shown]
	ds_read2_b64 v[241:244], v1 offset0:108 offset1:109
	v_mov_b32_e32 v5, v246
	v_mov_b32_e32 v6, v247
	;; [unrolled: 1-line block ×3, first 2 shown]
	ds_read2_b64 v[245:248], v1 offset0:110 offset1:111
	v_fma_f64 v[210:211], v[228:229], v[10:11], v[210:211]
	v_fma_f64 v[10:11], v[226:227], v[10:11], -v[12:13]
	s_waitcnt lgkmcnt(1)
	v_mul_f64 v[12:13], v[243:244], v[210:211]
	v_mul_f64 v[212:213], v[241:242], v[210:211]
	s_waitcnt lgkmcnt(0)
	v_mul_f64 v[218:219], v[247:248], v[210:211]
	v_mul_f64 v[220:221], v[245:246], v[210:211]
	v_fma_f64 v[12:13], v[241:242], v[10:11], -v[12:13]
	v_fma_f64 v[212:213], v[243:244], v[10:11], v[212:213]
	v_fma_f64 v[218:219], v[245:246], v[10:11], -v[218:219]
	v_fma_f64 v[220:221], v[247:248], v[10:11], v[220:221]
	v_mov_b32_e32 v248, v7
	v_mov_b32_e32 v247, v6
	;; [unrolled: 1-line block ×8, first 2 shown]
	v_add_f64 v[249:250], v[249:250], -v[12:13]
	v_add_f64 v[251:252], v[251:252], -v[212:213]
	;; [unrolled: 1-line block ×4, first 2 shown]
	v_mov_b32_e32 v12, v210
	v_mov_b32_e32 v13, v211
.LBB110_1134:
	s_or_b32 exec_lo, exec_lo, s0
	v_lshl_add_u32 v210, v240, 4, v1
	s_barrier
	buffer_gl0_inv
	v_mov_b32_e32 v234, 54
	ds_write2_b64 v210, v[249:250], v[251:252] offset1:1
	s_waitcnt lgkmcnt(0)
	s_barrier
	buffer_gl0_inv
	ds_read2_b64 v[226:229], v1 offset0:108 offset1:109
	s_cmp_lt_i32 s8, 56
	s_cbranch_scc1 .LBB110_1137
; %bb.1135:
	v_add3_u32 v235, v253, 0, 0x370
	v_mov_b32_e32 v234, 54
	s_mov_b32 s1, 55
	s_inst_prefetch 0x1
	.p2align	6
.LBB110_1136:                           ; =>This Inner Loop Header: Depth=1
	s_waitcnt lgkmcnt(0)
	v_cmp_gt_f64_e32 vcc_lo, 0, v[228:229]
	v_cmp_gt_f64_e64 s0, 0, v[226:227]
	ds_read2_b64 v[241:244], v235 offset1:1
	v_xor_b32_e32 v211, 0x80000000, v227
	v_xor_b32_e32 v213, 0x80000000, v229
	v_mov_b32_e32 v210, v226
	v_mov_b32_e32 v212, v228
	v_add_nc_u32_e32 v235, 16, v235
	s_waitcnt lgkmcnt(0)
	v_xor_b32_e32 v219, 0x80000000, v244
	v_cndmask_b32_e64 v211, v227, v211, s0
	v_cndmask_b32_e32 v213, v229, v213, vcc_lo
	v_cmp_gt_f64_e32 vcc_lo, 0, v[243:244]
	v_cmp_gt_f64_e64 s0, 0, v[241:242]
	v_mov_b32_e32 v218, v243
	v_add_f64 v[210:211], v[210:211], v[212:213]
	v_xor_b32_e32 v213, 0x80000000, v242
	v_mov_b32_e32 v212, v241
	v_cndmask_b32_e32 v219, v244, v219, vcc_lo
	v_cndmask_b32_e64 v213, v242, v213, s0
	v_add_f64 v[212:213], v[212:213], v[218:219]
	v_cmp_lt_f64_e32 vcc_lo, v[210:211], v[212:213]
	v_cndmask_b32_e32 v227, v227, v242, vcc_lo
	v_cndmask_b32_e32 v226, v226, v241, vcc_lo
	v_cndmask_b32_e32 v229, v229, v244, vcc_lo
	v_cndmask_b32_e32 v228, v228, v243, vcc_lo
	v_cndmask_b32_e64 v234, v234, s1, vcc_lo
	s_add_i32 s1, s1, 1
	s_cmp_lg_u32 s8, s1
	s_cbranch_scc1 .LBB110_1136
.LBB110_1137:
	s_inst_prefetch 0x2
	s_waitcnt lgkmcnt(0)
	v_cmp_eq_f64_e32 vcc_lo, 0, v[226:227]
	v_cmp_eq_f64_e64 s0, 0, v[228:229]
	s_and_b32 s0, vcc_lo, s0
	s_and_saveexec_b32 s1, s0
	s_xor_b32 s0, exec_lo, s1
; %bb.1138:
	v_cmp_ne_u32_e32 vcc_lo, 0, v239
	v_cndmask_b32_e32 v239, 55, v239, vcc_lo
; %bb.1139:
	s_andn2_saveexec_b32 s0, s0
	s_cbranch_execz .LBB110_1145
; %bb.1140:
	v_cmp_ngt_f64_e64 s1, |v[226:227]|, |v[228:229]|
	s_and_saveexec_b32 s7, s1
	s_xor_b32 s1, exec_lo, s7
	s_cbranch_execz .LBB110_1142
; %bb.1141:
	v_div_scale_f64 v[210:211], null, v[228:229], v[228:229], v[226:227]
	v_div_scale_f64 v[220:221], vcc_lo, v[226:227], v[228:229], v[226:227]
	v_rcp_f64_e32 v[212:213], v[210:211]
	v_fma_f64 v[218:219], -v[210:211], v[212:213], 1.0
	v_fma_f64 v[212:213], v[212:213], v[218:219], v[212:213]
	v_fma_f64 v[218:219], -v[210:211], v[212:213], 1.0
	v_fma_f64 v[212:213], v[212:213], v[218:219], v[212:213]
	v_mul_f64 v[218:219], v[220:221], v[212:213]
	v_fma_f64 v[210:211], -v[210:211], v[218:219], v[220:221]
	v_div_fmas_f64 v[210:211], v[210:211], v[212:213], v[218:219]
	v_div_fixup_f64 v[210:211], v[210:211], v[228:229], v[226:227]
	v_fma_f64 v[212:213], v[226:227], v[210:211], v[228:229]
	v_div_scale_f64 v[218:219], null, v[212:213], v[212:213], 1.0
	v_rcp_f64_e32 v[220:221], v[218:219]
	v_fma_f64 v[222:223], -v[218:219], v[220:221], 1.0
	v_fma_f64 v[220:221], v[220:221], v[222:223], v[220:221]
	v_fma_f64 v[222:223], -v[218:219], v[220:221], 1.0
	v_fma_f64 v[220:221], v[220:221], v[222:223], v[220:221]
	v_div_scale_f64 v[222:223], vcc_lo, 1.0, v[212:213], 1.0
	v_mul_f64 v[224:225], v[222:223], v[220:221]
	v_fma_f64 v[218:219], -v[218:219], v[224:225], v[222:223]
	v_div_fmas_f64 v[218:219], v[218:219], v[220:221], v[224:225]
	v_div_fixup_f64 v[228:229], v[218:219], v[212:213], 1.0
	v_mul_f64 v[226:227], v[210:211], v[228:229]
	v_xor_b32_e32 v229, 0x80000000, v229
.LBB110_1142:
	s_andn2_saveexec_b32 s1, s1
	s_cbranch_execz .LBB110_1144
; %bb.1143:
	v_div_scale_f64 v[210:211], null, v[226:227], v[226:227], v[228:229]
	v_div_scale_f64 v[220:221], vcc_lo, v[228:229], v[226:227], v[228:229]
	v_rcp_f64_e32 v[212:213], v[210:211]
	v_fma_f64 v[218:219], -v[210:211], v[212:213], 1.0
	v_fma_f64 v[212:213], v[212:213], v[218:219], v[212:213]
	v_fma_f64 v[218:219], -v[210:211], v[212:213], 1.0
	v_fma_f64 v[212:213], v[212:213], v[218:219], v[212:213]
	v_mul_f64 v[218:219], v[220:221], v[212:213]
	v_fma_f64 v[210:211], -v[210:211], v[218:219], v[220:221]
	v_div_fmas_f64 v[210:211], v[210:211], v[212:213], v[218:219]
	v_div_fixup_f64 v[210:211], v[210:211], v[226:227], v[228:229]
	v_fma_f64 v[212:213], v[228:229], v[210:211], v[226:227]
	v_div_scale_f64 v[218:219], null, v[212:213], v[212:213], 1.0
	v_rcp_f64_e32 v[220:221], v[218:219]
	v_fma_f64 v[222:223], -v[218:219], v[220:221], 1.0
	v_fma_f64 v[220:221], v[220:221], v[222:223], v[220:221]
	v_fma_f64 v[222:223], -v[218:219], v[220:221], 1.0
	v_fma_f64 v[220:221], v[220:221], v[222:223], v[220:221]
	v_div_scale_f64 v[222:223], vcc_lo, 1.0, v[212:213], 1.0
	v_mul_f64 v[224:225], v[222:223], v[220:221]
	v_fma_f64 v[218:219], -v[218:219], v[224:225], v[222:223]
	v_div_fmas_f64 v[218:219], v[218:219], v[220:221], v[224:225]
	v_div_fixup_f64 v[226:227], v[218:219], v[212:213], 1.0
	v_mul_f64 v[228:229], v[210:211], -v[226:227]
.LBB110_1144:
	s_or_b32 exec_lo, exec_lo, s1
.LBB110_1145:
	s_or_b32 exec_lo, exec_lo, s0
	s_mov_b32 s0, exec_lo
	v_cmpx_ne_u32_e64 v240, v234
	s_xor_b32 s0, exec_lo, s0
	s_cbranch_execz .LBB110_1151
; %bb.1146:
	s_mov_b32 s1, exec_lo
	v_cmpx_eq_u32_e32 54, v240
	s_cbranch_execz .LBB110_1150
; %bb.1147:
	v_cmp_ne_u32_e32 vcc_lo, 54, v234
	s_xor_b32 s7, s16, -1
	s_and_b32 s9, s7, vcc_lo
	s_and_saveexec_b32 s7, s9
	s_cbranch_execz .LBB110_1149
; %bb.1148:
	v_ashrrev_i32_e32 v235, 31, v234
	v_lshlrev_b64 v[210:211], 2, v[234:235]
	v_add_co_u32 v210, vcc_lo, v214, v210
	v_add_co_ci_u32_e64 v211, null, v215, v211, vcc_lo
	s_clause 0x1
	global_load_dword v0, v[210:211], off
	global_load_dword v212, v[214:215], off offset:216
	s_waitcnt vmcnt(1)
	global_store_dword v[214:215], v0, off offset:216
	s_waitcnt vmcnt(0)
	global_store_dword v[210:211], v212, off
.LBB110_1149:
	s_or_b32 exec_lo, exec_lo, s7
	v_mov_b32_e32 v240, v234
	v_mov_b32_e32 v0, v234
.LBB110_1150:
	s_or_b32 exec_lo, exec_lo, s1
.LBB110_1151:
	s_andn2_saveexec_b32 s0, s0
; %bb.1152:
	v_mov_b32_e32 v240, 54
	ds_write2_b64 v1, v[230:231], v[232:233] offset0:110 offset1:111
; %bb.1153:
	s_or_b32 exec_lo, exec_lo, s0
	s_mov_b32 s0, exec_lo
	s_waitcnt lgkmcnt(0)
	s_waitcnt_vscnt null, 0x0
	s_barrier
	buffer_gl0_inv
	v_cmpx_lt_i32_e32 54, v240
	s_cbranch_execz .LBB110_1155
; %bb.1154:
	v_mul_f64 v[210:211], v[226:227], v[251:252]
	v_mul_f64 v[8:9], v[228:229], v[251:252]
	ds_read2_b64 v[241:244], v1 offset0:110 offset1:111
	v_fma_f64 v[210:211], v[228:229], v[249:250], v[210:211]
	v_fma_f64 v[249:250], v[226:227], v[249:250], -v[8:9]
	s_waitcnt lgkmcnt(0)
	v_mul_f64 v[8:9], v[243:244], v[210:211]
	v_mul_f64 v[212:213], v[241:242], v[210:211]
	v_mov_b32_e32 v252, v211
	v_mov_b32_e32 v251, v210
	v_fma_f64 v[8:9], v[241:242], v[249:250], -v[8:9]
	v_fma_f64 v[212:213], v[243:244], v[249:250], v[212:213]
	v_add_f64 v[230:231], v[230:231], -v[8:9]
	v_add_f64 v[232:233], v[232:233], -v[212:213]
.LBB110_1155:
	s_or_b32 exec_lo, exec_lo, s0
	v_lshl_add_u32 v210, v240, 4, v1
	s_barrier
	buffer_gl0_inv
	v_mov_b32_e32 v234, 55
	ds_write2_b64 v210, v[230:231], v[232:233] offset1:1
	s_waitcnt lgkmcnt(0)
	s_barrier
	buffer_gl0_inv
	ds_read2_b64 v[226:229], v1 offset0:110 offset1:111
	s_cmp_lt_i32 s8, 57
	s_cbranch_scc1 .LBB110_1158
; %bb.1156:
	v_add3_u32 v1, v253, 0, 0x380
	v_mov_b32_e32 v234, 55
	s_mov_b32 s1, 56
	s_inst_prefetch 0x1
	.p2align	6
.LBB110_1157:                           ; =>This Inner Loop Header: Depth=1
	s_waitcnt lgkmcnt(0)
	v_cmp_gt_f64_e32 vcc_lo, 0, v[228:229]
	v_cmp_gt_f64_e64 s0, 0, v[226:227]
	ds_read2_b64 v[241:244], v1 offset1:1
	v_xor_b32_e32 v211, 0x80000000, v227
	v_xor_b32_e32 v213, 0x80000000, v229
	v_mov_b32_e32 v210, v226
	v_mov_b32_e32 v212, v228
	v_add_nc_u32_e32 v1, 16, v1
	s_waitcnt lgkmcnt(0)
	v_xor_b32_e32 v219, 0x80000000, v244
	v_cndmask_b32_e64 v211, v227, v211, s0
	v_cndmask_b32_e32 v213, v229, v213, vcc_lo
	v_cmp_gt_f64_e32 vcc_lo, 0, v[243:244]
	v_cmp_gt_f64_e64 s0, 0, v[241:242]
	v_mov_b32_e32 v218, v243
	v_add_f64 v[210:211], v[210:211], v[212:213]
	v_xor_b32_e32 v213, 0x80000000, v242
	v_mov_b32_e32 v212, v241
	v_cndmask_b32_e32 v219, v244, v219, vcc_lo
	v_cndmask_b32_e64 v213, v242, v213, s0
	v_add_f64 v[212:213], v[212:213], v[218:219]
	v_cmp_lt_f64_e32 vcc_lo, v[210:211], v[212:213]
	v_cndmask_b32_e32 v227, v227, v242, vcc_lo
	v_cndmask_b32_e32 v226, v226, v241, vcc_lo
	;; [unrolled: 1-line block ×4, first 2 shown]
	v_cndmask_b32_e64 v234, v234, s1, vcc_lo
	s_add_i32 s1, s1, 1
	s_cmp_lg_u32 s8, s1
	s_cbranch_scc1 .LBB110_1157
.LBB110_1158:
	s_inst_prefetch 0x2
	s_waitcnt lgkmcnt(0)
	v_cmp_eq_f64_e32 vcc_lo, 0, v[226:227]
	v_cmp_eq_f64_e64 s0, 0, v[228:229]
	s_and_b32 s0, vcc_lo, s0
	s_and_saveexec_b32 s1, s0
	s_xor_b32 s0, exec_lo, s1
; %bb.1159:
	v_cmp_ne_u32_e32 vcc_lo, 0, v239
	v_cndmask_b32_e32 v239, 56, v239, vcc_lo
; %bb.1160:
	s_andn2_saveexec_b32 s0, s0
	s_cbranch_execz .LBB110_1166
; %bb.1161:
	v_cmp_ngt_f64_e64 s1, |v[226:227]|, |v[228:229]|
	s_and_saveexec_b32 s7, s1
	s_xor_b32 s1, exec_lo, s7
	s_cbranch_execz .LBB110_1163
; %bb.1162:
	v_div_scale_f64 v[210:211], null, v[228:229], v[228:229], v[226:227]
	v_div_scale_f64 v[220:221], vcc_lo, v[226:227], v[228:229], v[226:227]
	v_rcp_f64_e32 v[212:213], v[210:211]
	v_fma_f64 v[218:219], -v[210:211], v[212:213], 1.0
	v_fma_f64 v[212:213], v[212:213], v[218:219], v[212:213]
	v_fma_f64 v[218:219], -v[210:211], v[212:213], 1.0
	v_fma_f64 v[212:213], v[212:213], v[218:219], v[212:213]
	v_mul_f64 v[218:219], v[220:221], v[212:213]
	v_fma_f64 v[210:211], -v[210:211], v[218:219], v[220:221]
	v_div_fmas_f64 v[210:211], v[210:211], v[212:213], v[218:219]
	v_div_fixup_f64 v[210:211], v[210:211], v[228:229], v[226:227]
	v_fma_f64 v[212:213], v[226:227], v[210:211], v[228:229]
	v_div_scale_f64 v[218:219], null, v[212:213], v[212:213], 1.0
	v_rcp_f64_e32 v[220:221], v[218:219]
	v_fma_f64 v[222:223], -v[218:219], v[220:221], 1.0
	v_fma_f64 v[220:221], v[220:221], v[222:223], v[220:221]
	v_fma_f64 v[222:223], -v[218:219], v[220:221], 1.0
	v_fma_f64 v[220:221], v[220:221], v[222:223], v[220:221]
	v_div_scale_f64 v[222:223], vcc_lo, 1.0, v[212:213], 1.0
	v_mul_f64 v[224:225], v[222:223], v[220:221]
	v_fma_f64 v[218:219], -v[218:219], v[224:225], v[222:223]
	v_div_fmas_f64 v[218:219], v[218:219], v[220:221], v[224:225]
	v_div_fixup_f64 v[228:229], v[218:219], v[212:213], 1.0
	v_mul_f64 v[226:227], v[210:211], v[228:229]
	v_xor_b32_e32 v229, 0x80000000, v229
.LBB110_1163:
	s_andn2_saveexec_b32 s1, s1
	s_cbranch_execz .LBB110_1165
; %bb.1164:
	v_div_scale_f64 v[210:211], null, v[226:227], v[226:227], v[228:229]
	v_div_scale_f64 v[220:221], vcc_lo, v[228:229], v[226:227], v[228:229]
	v_rcp_f64_e32 v[212:213], v[210:211]
	v_fma_f64 v[218:219], -v[210:211], v[212:213], 1.0
	v_fma_f64 v[212:213], v[212:213], v[218:219], v[212:213]
	v_fma_f64 v[218:219], -v[210:211], v[212:213], 1.0
	v_fma_f64 v[212:213], v[212:213], v[218:219], v[212:213]
	v_mul_f64 v[218:219], v[220:221], v[212:213]
	v_fma_f64 v[210:211], -v[210:211], v[218:219], v[220:221]
	v_div_fmas_f64 v[210:211], v[210:211], v[212:213], v[218:219]
	v_div_fixup_f64 v[210:211], v[210:211], v[226:227], v[228:229]
	v_fma_f64 v[212:213], v[228:229], v[210:211], v[226:227]
	v_div_scale_f64 v[218:219], null, v[212:213], v[212:213], 1.0
	v_rcp_f64_e32 v[220:221], v[218:219]
	v_fma_f64 v[222:223], -v[218:219], v[220:221], 1.0
	v_fma_f64 v[220:221], v[220:221], v[222:223], v[220:221]
	v_fma_f64 v[222:223], -v[218:219], v[220:221], 1.0
	v_fma_f64 v[220:221], v[220:221], v[222:223], v[220:221]
	v_div_scale_f64 v[222:223], vcc_lo, 1.0, v[212:213], 1.0
	v_mul_f64 v[224:225], v[222:223], v[220:221]
	v_fma_f64 v[218:219], -v[218:219], v[224:225], v[222:223]
	v_div_fmas_f64 v[218:219], v[218:219], v[220:221], v[224:225]
	v_div_fixup_f64 v[226:227], v[218:219], v[212:213], 1.0
	v_mul_f64 v[228:229], v[210:211], -v[226:227]
.LBB110_1165:
	s_or_b32 exec_lo, exec_lo, s1
.LBB110_1166:
	s_or_b32 exec_lo, exec_lo, s0
	v_mov_b32_e32 v235, 55
	s_mov_b32 s0, exec_lo
	v_cmpx_ne_u32_e64 v240, v234
	s_cbranch_execz .LBB110_1172
; %bb.1167:
	s_mov_b32 s1, exec_lo
	v_cmpx_eq_u32_e32 55, v240
	s_cbranch_execz .LBB110_1171
; %bb.1168:
	v_cmp_ne_u32_e32 vcc_lo, 55, v234
	s_xor_b32 s7, s16, -1
	s_and_b32 s8, s7, vcc_lo
	s_and_saveexec_b32 s7, s8
	s_cbranch_execz .LBB110_1170
; %bb.1169:
	v_ashrrev_i32_e32 v235, 31, v234
	v_lshlrev_b64 v[0:1], 2, v[234:235]
	v_add_co_u32 v0, vcc_lo, v214, v0
	v_add_co_ci_u32_e64 v1, null, v215, v1, vcc_lo
	s_clause 0x1
	global_load_dword v210, v[0:1], off
	global_load_dword v211, v[214:215], off offset:220
	s_waitcnt vmcnt(1)
	global_store_dword v[214:215], v210, off offset:220
	s_waitcnt vmcnt(0)
	global_store_dword v[0:1], v211, off
.LBB110_1170:
	s_or_b32 exec_lo, exec_lo, s7
	v_mov_b32_e32 v240, v234
	v_mov_b32_e32 v0, v234
.LBB110_1171:
	s_or_b32 exec_lo, exec_lo, s1
	v_mov_b32_e32 v235, v240
.LBB110_1172:
	s_or_b32 exec_lo, exec_lo, s0
	s_mov_b32 s0, exec_lo
	s_waitcnt_vscnt null, 0x0
	s_barrier
	buffer_gl0_inv
	v_cmpx_lt_i32_e32 55, v235
	s_cbranch_execz .LBB110_1174
; %bb.1173:
	v_mul_f64 v[210:211], v[228:229], v[232:233]
	v_mov_b32_e32 v9, v7
	v_mov_b32_e32 v8, v6
	;; [unrolled: 1-line block ×4, first 2 shown]
	v_mul_f64 v[4:5], v[226:227], v[232:233]
	v_fma_f64 v[210:211], v[226:227], v[230:231], -v[210:211]
	v_fma_f64 v[232:233], v[228:229], v[230:231], v[4:5]
	v_mov_b32_e32 v4, v6
	v_mov_b32_e32 v5, v7
	;; [unrolled: 1-line block ×6, first 2 shown]
.LBB110_1174:
	s_or_b32 exec_lo, exec_lo, s0
	v_ashrrev_i32_e32 v236, 31, v235
	s_mov_b32 s0, exec_lo
	s_barrier
	buffer_gl0_inv
	v_cmpx_gt_i32_e32 56, v235
	s_cbranch_execz .LBB110_1176
; %bb.1175:
	v_mul_lo_u32 v1, s15, v2
	v_mul_lo_u32 v212, s14, v3
	v_mad_u64_u32 v[210:211], null, s14, v2, 0
	s_lshl_b64 s[8:9], s[12:13], 2
	v_add3_u32 v0, v0, s17, 1
	v_add3_u32 v211, v211, v212, v1
	v_lshlrev_b64 v[210:211], 2, v[210:211]
	v_add_co_u32 v1, vcc_lo, s10, v210
	v_add_co_ci_u32_e64 v212, null, s11, v211, vcc_lo
	v_lshlrev_b64 v[210:211], 2, v[235:236]
	v_add_co_u32 v1, vcc_lo, v1, s8
	v_add_co_ci_u32_e64 v212, null, s9, v212, vcc_lo
	v_add_co_u32 v210, vcc_lo, v1, v210
	v_add_co_ci_u32_e64 v211, null, v212, v211, vcc_lo
	global_store_dword v[210:211], v0, off
.LBB110_1176:
	s_or_b32 exec_lo, exec_lo, s0
	s_mov_b32 s1, exec_lo
	v_cmpx_eq_u32_e32 0, v235
	s_cbranch_execz .LBB110_1179
; %bb.1177:
	v_lshlrev_b64 v[0:1], 2, v[2:3]
	v_cmp_ne_u32_e64 s0, 0, v239
	v_add_co_u32 v0, vcc_lo, s4, v0
	v_add_co_ci_u32_e64 v1, null, s5, v1, vcc_lo
	global_load_dword v210, v[0:1], off
	s_waitcnt vmcnt(0)
	v_cmp_eq_u32_e32 vcc_lo, 0, v210
	s_and_b32 s0, vcc_lo, s0
	s_and_b32 exec_lo, exec_lo, s0
	s_cbranch_execz .LBB110_1179
; %bb.1178:
	v_add_nc_u32_e32 v210, s17, v239
	global_store_dword v[0:1], v210, off
.LBB110_1179:
	s_or_b32 exec_lo, exec_lo, s1
	s_clause 0x3
	buffer_load_dword v214, off, s[20:23], 0 offset:16
	buffer_load_dword v215, off, s[20:23], 0 offset:20
	;; [unrolled: 1-line block ×4, first 2 shown]
	v_lshlrev_b64 v[210:211], 4, v[235:236]
	v_add3_u32 v0, s6, s6, v235
	v_add_nc_u32_e32 v212, s6, v0
	v_add_co_u32 v210, vcc_lo, v255, v210
	v_add_co_ci_u32_e64 v211, null, v238, v211, vcc_lo
	v_ashrrev_i32_e32 v213, 31, v212
	v_ashrrev_i32_e32 v1, 31, v0
	v_lshlrev_b64 v[218:219], 4, v[212:213]
	v_add_nc_u32_e32 v212, s6, v212
	v_lshlrev_b64 v[0:1], 4, v[0:1]
	v_ashrrev_i32_e32 v213, 31, v212
	v_add_nc_u32_e32 v220, s6, v212
	v_ashrrev_i32_e32 v221, 31, v220
	s_waitcnt vmcnt(0)
	global_store_dwordx4 v[210:211], v[214:217], off
	s_clause 0x3
	buffer_load_dword v214, off, s[20:23], 0
	buffer_load_dword v215, off, s[20:23], 0 offset:4
	buffer_load_dword v216, off, s[20:23], 0 offset:8
	;; [unrolled: 1-line block ×3, first 2 shown]
	v_add_co_u32 v210, vcc_lo, v210, s2
	v_add_co_ci_u32_e64 v211, null, s3, v211, vcc_lo
	v_add_co_u32 v0, vcc_lo, v255, v0
	v_add_co_ci_u32_e64 v1, null, v238, v1, vcc_lo
	;; [unrolled: 2-line block ×3, first 2 shown]
	s_waitcnt vmcnt(0)
	global_store_dwordx4 v[210:211], v[214:217], off
	v_lshlrev_b64 v[210:211], 4, v[212:213]
	v_add_nc_u32_e32 v212, s6, v220
	global_store_dwordx4 v[0:1], v[4:7], off
	global_store_dwordx4 v[218:219], v[245:248], off
	v_lshlrev_b64 v[0:1], 4, v[220:221]
	v_add_nc_u32_e32 v214, s6, v212
	v_add_co_u32 v210, vcc_lo, v255, v210
	v_ashrrev_i32_e32 v213, 31, v212
	v_add_co_ci_u32_e64 v211, null, v238, v211, vcc_lo
	v_add_nc_u32_e32 v216, s6, v214
	v_add_co_u32 v0, vcc_lo, v255, v0
	v_ashrrev_i32_e32 v215, 31, v214
	v_add_co_ci_u32_e64 v1, null, v238, v1, vcc_lo
	v_ashrrev_i32_e32 v217, 31, v216
	v_lshlrev_b64 v[212:213], 4, v[212:213]
	global_store_dwordx4 v[210:211], v[206:209], off
	global_store_dwordx4 v[0:1], v[202:205], off
	v_lshlrev_b64 v[0:1], 4, v[214:215]
	v_add_nc_u32_e32 v206, s6, v216
	v_lshlrev_b64 v[204:205], 4, v[216:217]
	v_add_co_u32 v202, vcc_lo, v255, v212
	v_add_co_ci_u32_e64 v203, null, v238, v213, vcc_lo
	v_add_co_u32 v0, vcc_lo, v255, v0
	v_add_co_ci_u32_e64 v1, null, v238, v1, vcc_lo
	v_add_co_u32 v204, vcc_lo, v255, v204
	v_add_nc_u32_e32 v208, s6, v206
	v_add_co_ci_u32_e64 v205, null, v238, v205, vcc_lo
	v_ashrrev_i32_e32 v207, 31, v206
	global_store_dwordx4 v[202:203], v[198:201], off
	global_store_dwordx4 v[0:1], v[194:197], off
	global_store_dwordx4 v[204:205], v[190:193], off
	v_add_nc_u32_e32 v190, s6, v208
	v_ashrrev_i32_e32 v209, 31, v208
	v_lshlrev_b64 v[198:199], 4, v[206:207]
	v_add_nc_u32_e32 v194, s6, v190
	v_lshlrev_b64 v[0:1], 4, v[208:209]
	v_ashrrev_i32_e32 v191, 31, v190
	v_add_co_u32 v192, vcc_lo, v255, v198
	v_add_nc_u32_e32 v196, s6, v194
	v_add_co_ci_u32_e64 v193, null, v238, v199, vcc_lo
	v_add_co_u32 v0, vcc_lo, v255, v0
	v_ashrrev_i32_e32 v195, 31, v194
	v_add_co_ci_u32_e64 v1, null, v238, v1, vcc_lo
	v_ashrrev_i32_e32 v197, 31, v196
	v_lshlrev_b64 v[190:191], 4, v[190:191]
	global_store_dwordx4 v[192:193], v[186:189], off
	global_store_dwordx4 v[0:1], v[182:185], off
	v_lshlrev_b64 v[0:1], 4, v[194:195]
	v_add_nc_u32_e32 v186, s6, v196
	v_lshlrev_b64 v[184:185], 4, v[196:197]
	v_add_co_u32 v182, vcc_lo, v255, v190
	v_add_co_ci_u32_e64 v183, null, v238, v191, vcc_lo
	v_add_co_u32 v0, vcc_lo, v255, v0
	v_add_co_ci_u32_e64 v1, null, v238, v1, vcc_lo
	v_add_co_u32 v184, vcc_lo, v255, v184
	v_add_nc_u32_e32 v188, s6, v186
	v_add_co_ci_u32_e64 v185, null, v238, v185, vcc_lo
	v_ashrrev_i32_e32 v187, 31, v186
	global_store_dwordx4 v[182:183], v[178:181], off
	global_store_dwordx4 v[0:1], v[174:177], off
	global_store_dwordx4 v[184:185], v[170:173], off
	v_add_nc_u32_e32 v170, s6, v188
	v_ashrrev_i32_e32 v189, 31, v188
	v_lshlrev_b64 v[178:179], 4, v[186:187]
	v_add_nc_u32_e32 v174, s6, v170
	v_lshlrev_b64 v[0:1], 4, v[188:189]
	v_ashrrev_i32_e32 v171, 31, v170
	v_add_co_u32 v172, vcc_lo, v255, v178
	v_add_nc_u32_e32 v176, s6, v174
	v_add_co_ci_u32_e64 v173, null, v238, v179, vcc_lo
	;; [unrolled: 30-line block ×8, first 2 shown]
	v_add_co_u32 v0, vcc_lo, v255, v0
	v_ashrrev_i32_e32 v55, 31, v54
	v_add_co_ci_u32_e64 v1, null, v238, v1, vcc_lo
	v_ashrrev_i32_e32 v57, 31, v56
	v_lshlrev_b64 v[50:51], 4, v[50:51]
	global_store_dwordx4 v[52:53], v[46:49], off
	global_store_dwordx4 v[0:1], v[42:45], off
	v_lshlrev_b64 v[0:1], 4, v[54:55]
	v_add_nc_u32_e32 v46, s6, v56
	v_lshlrev_b64 v[44:45], 4, v[56:57]
	v_add_co_u32 v42, vcc_lo, v255, v50
	v_add_co_ci_u32_e64 v43, null, v238, v51, vcc_lo
	v_add_co_u32 v0, vcc_lo, v255, v0
	v_add_nc_u32_e32 v48, s6, v46
	v_add_co_ci_u32_e64 v1, null, v238, v1, vcc_lo
	v_add_co_u32 v44, vcc_lo, v255, v44
	v_ashrrev_i32_e32 v47, 31, v46
	v_add_co_ci_u32_e64 v45, null, v238, v45, vcc_lo
	v_ashrrev_i32_e32 v49, 31, v48
	global_store_dwordx4 v[42:43], v[38:41], off
	v_lshlrev_b64 v[38:39], 4, v[46:47]
	global_store_dwordx4 v[0:1], v[34:37], off
	global_store_dwordx4 v[44:45], v[30:33], off
	v_add_nc_u32_e32 v30, s6, v48
	v_lshlrev_b64 v[0:1], 4, v[48:49]
	v_add_co_u32 v32, vcc_lo, v255, v38
	v_add_nc_u32_e32 v34, s6, v30
	v_add_co_ci_u32_e64 v33, null, v238, v39, vcc_lo
	v_add_co_u32 v0, vcc_lo, v255, v0
	v_add_co_ci_u32_e64 v1, null, v238, v1, vcc_lo
	v_add_nc_u32_e32 v36, s6, v34
	v_ashrrev_i32_e32 v31, 31, v30
	global_store_dwordx4 v[32:33], v[26:29], off
	global_store_dwordx4 v[0:1], v[22:25], off
	v_ashrrev_i32_e32 v35, 31, v34
	v_add_nc_u32_e32 v22, s6, v36
	v_lshlrev_b64 v[26:27], 4, v[30:31]
	v_ashrrev_i32_e32 v37, 31, v36
	v_lshlrev_b64 v[0:1], 4, v[34:35]
	v_add_nc_u32_e32 v28, s6, v22
	v_ashrrev_i32_e32 v23, 31, v22
	v_add_co_u32 v24, vcc_lo, v255, v26
	v_add_co_ci_u32_e64 v25, null, v238, v27, vcc_lo
	v_ashrrev_i32_e32 v29, 31, v28
	v_lshlrev_b64 v[26:27], 4, v[36:37]
	v_lshlrev_b64 v[22:23], 4, v[22:23]
	v_add_co_u32 v0, vcc_lo, v255, v0
	v_lshlrev_b64 v[28:29], 4, v[28:29]
	v_add_co_ci_u32_e64 v1, null, v238, v1, vcc_lo
	v_add_co_u32 v26, vcc_lo, v255, v26
	v_add_co_ci_u32_e64 v27, null, v238, v27, vcc_lo
	v_add_co_u32 v22, vcc_lo, v255, v22
	;; [unrolled: 2-line block ×3, first 2 shown]
	v_add_co_ci_u32_e64 v29, null, v238, v29, vcc_lo
	global_store_dwordx4 v[24:25], v[18:21], off
	global_store_dwordx4 v[0:1], v[14:17], off
	;; [unrolled: 1-line block ×5, first 2 shown]
.LBB110_1180:
	s_endpgm
	.section	.rodata,"a",@progbits
	.p2align	6, 0x0
	.amdhsa_kernel _ZN9rocsolver6v33100L18getf2_small_kernelILi56E19rocblas_complex_numIdEiiPS3_EEvT1_T3_lS5_lPS5_llPT2_S5_S5_S7_l
		.amdhsa_group_segment_fixed_size 0
		.amdhsa_private_segment_fixed_size 60
		.amdhsa_kernarg_size 352
		.amdhsa_user_sgpr_count 6
		.amdhsa_user_sgpr_private_segment_buffer 1
		.amdhsa_user_sgpr_dispatch_ptr 0
		.amdhsa_user_sgpr_queue_ptr 0
		.amdhsa_user_sgpr_kernarg_segment_ptr 1
		.amdhsa_user_sgpr_dispatch_id 0
		.amdhsa_user_sgpr_flat_scratch_init 0
		.amdhsa_user_sgpr_private_segment_size 0
		.amdhsa_wavefront_size32 1
		.amdhsa_uses_dynamic_stack 0
		.amdhsa_system_sgpr_private_segment_wavefront_offset 1
		.amdhsa_system_sgpr_workgroup_id_x 1
		.amdhsa_system_sgpr_workgroup_id_y 1
		.amdhsa_system_sgpr_workgroup_id_z 0
		.amdhsa_system_sgpr_workgroup_info 0
		.amdhsa_system_vgpr_workitem_id 1
		.amdhsa_next_free_vgpr 256
		.amdhsa_next_free_sgpr 24
		.amdhsa_reserve_vcc 1
		.amdhsa_reserve_flat_scratch 0
		.amdhsa_float_round_mode_32 0
		.amdhsa_float_round_mode_16_64 0
		.amdhsa_float_denorm_mode_32 3
		.amdhsa_float_denorm_mode_16_64 3
		.amdhsa_dx10_clamp 1
		.amdhsa_ieee_mode 1
		.amdhsa_fp16_overflow 0
		.amdhsa_workgroup_processor_mode 1
		.amdhsa_memory_ordered 1
		.amdhsa_forward_progress 1
		.amdhsa_shared_vgpr_count 0
		.amdhsa_exception_fp_ieee_invalid_op 0
		.amdhsa_exception_fp_denorm_src 0
		.amdhsa_exception_fp_ieee_div_zero 0
		.amdhsa_exception_fp_ieee_overflow 0
		.amdhsa_exception_fp_ieee_underflow 0
		.amdhsa_exception_fp_ieee_inexact 0
		.amdhsa_exception_int_div_zero 0
	.end_amdhsa_kernel
	.section	.text._ZN9rocsolver6v33100L18getf2_small_kernelILi56E19rocblas_complex_numIdEiiPS3_EEvT1_T3_lS5_lPS5_llPT2_S5_S5_S7_l,"axG",@progbits,_ZN9rocsolver6v33100L18getf2_small_kernelILi56E19rocblas_complex_numIdEiiPS3_EEvT1_T3_lS5_lPS5_llPT2_S5_S5_S7_l,comdat
.Lfunc_end110:
	.size	_ZN9rocsolver6v33100L18getf2_small_kernelILi56E19rocblas_complex_numIdEiiPS3_EEvT1_T3_lS5_lPS5_llPT2_S5_S5_S7_l, .Lfunc_end110-_ZN9rocsolver6v33100L18getf2_small_kernelILi56E19rocblas_complex_numIdEiiPS3_EEvT1_T3_lS5_lPS5_llPT2_S5_S5_S7_l
                                        ; -- End function
	.set _ZN9rocsolver6v33100L18getf2_small_kernelILi56E19rocblas_complex_numIdEiiPS3_EEvT1_T3_lS5_lPS5_llPT2_S5_S5_S7_l.num_vgpr, 256
	.set _ZN9rocsolver6v33100L18getf2_small_kernelILi56E19rocblas_complex_numIdEiiPS3_EEvT1_T3_lS5_lPS5_llPT2_S5_S5_S7_l.num_agpr, 0
	.set _ZN9rocsolver6v33100L18getf2_small_kernelILi56E19rocblas_complex_numIdEiiPS3_EEvT1_T3_lS5_lPS5_llPT2_S5_S5_S7_l.numbered_sgpr, 24
	.set _ZN9rocsolver6v33100L18getf2_small_kernelILi56E19rocblas_complex_numIdEiiPS3_EEvT1_T3_lS5_lPS5_llPT2_S5_S5_S7_l.num_named_barrier, 0
	.set _ZN9rocsolver6v33100L18getf2_small_kernelILi56E19rocblas_complex_numIdEiiPS3_EEvT1_T3_lS5_lPS5_llPT2_S5_S5_S7_l.private_seg_size, 60
	.set _ZN9rocsolver6v33100L18getf2_small_kernelILi56E19rocblas_complex_numIdEiiPS3_EEvT1_T3_lS5_lPS5_llPT2_S5_S5_S7_l.uses_vcc, 1
	.set _ZN9rocsolver6v33100L18getf2_small_kernelILi56E19rocblas_complex_numIdEiiPS3_EEvT1_T3_lS5_lPS5_llPT2_S5_S5_S7_l.uses_flat_scratch, 0
	.set _ZN9rocsolver6v33100L18getf2_small_kernelILi56E19rocblas_complex_numIdEiiPS3_EEvT1_T3_lS5_lPS5_llPT2_S5_S5_S7_l.has_dyn_sized_stack, 0
	.set _ZN9rocsolver6v33100L18getf2_small_kernelILi56E19rocblas_complex_numIdEiiPS3_EEvT1_T3_lS5_lPS5_llPT2_S5_S5_S7_l.has_recursion, 0
	.set _ZN9rocsolver6v33100L18getf2_small_kernelILi56E19rocblas_complex_numIdEiiPS3_EEvT1_T3_lS5_lPS5_llPT2_S5_S5_S7_l.has_indirect_call, 0
	.section	.AMDGPU.csdata,"",@progbits
; Kernel info:
; codeLenInByte = 165536
; TotalNumSgprs: 26
; NumVgprs: 256
; ScratchSize: 60
; MemoryBound: 0
; FloatMode: 240
; IeeeMode: 1
; LDSByteSize: 0 bytes/workgroup (compile time only)
; SGPRBlocks: 0
; VGPRBlocks: 31
; NumSGPRsForWavesPerEU: 26
; NumVGPRsForWavesPerEU: 256
; Occupancy: 4
; WaveLimiterHint : 0
; COMPUTE_PGM_RSRC2:SCRATCH_EN: 1
; COMPUTE_PGM_RSRC2:USER_SGPR: 6
; COMPUTE_PGM_RSRC2:TRAP_HANDLER: 0
; COMPUTE_PGM_RSRC2:TGID_X_EN: 1
; COMPUTE_PGM_RSRC2:TGID_Y_EN: 1
; COMPUTE_PGM_RSRC2:TGID_Z_EN: 0
; COMPUTE_PGM_RSRC2:TIDIG_COMP_CNT: 1
	.section	.text._ZN9rocsolver6v33100L23getf2_npvt_small_kernelILi56E19rocblas_complex_numIdEiiPS3_EEvT1_T3_lS5_lPT2_S5_S5_,"axG",@progbits,_ZN9rocsolver6v33100L23getf2_npvt_small_kernelILi56E19rocblas_complex_numIdEiiPS3_EEvT1_T3_lS5_lPT2_S5_S5_,comdat
	.globl	_ZN9rocsolver6v33100L23getf2_npvt_small_kernelILi56E19rocblas_complex_numIdEiiPS3_EEvT1_T3_lS5_lPT2_S5_S5_ ; -- Begin function _ZN9rocsolver6v33100L23getf2_npvt_small_kernelILi56E19rocblas_complex_numIdEiiPS3_EEvT1_T3_lS5_lPT2_S5_S5_
	.p2align	8
	.type	_ZN9rocsolver6v33100L23getf2_npvt_small_kernelILi56E19rocblas_complex_numIdEiiPS3_EEvT1_T3_lS5_lPT2_S5_S5_,@function
_ZN9rocsolver6v33100L23getf2_npvt_small_kernelILi56E19rocblas_complex_numIdEiiPS3_EEvT1_T3_lS5_lPT2_S5_S5_: ; @_ZN9rocsolver6v33100L23getf2_npvt_small_kernelILi56E19rocblas_complex_numIdEiiPS3_EEvT1_T3_lS5_lPT2_S5_S5_
; %bb.0:
	s_mov_b64 s[18:19], s[2:3]
	s_mov_b64 s[16:17], s[0:1]
	s_clause 0x1
	s_load_dword s0, s[4:5], 0x44
	s_load_dwordx2 s[12:13], s[4:5], 0x30
	s_add_u32 s16, s16, s8
	s_addc_u32 s17, s17, 0
	s_waitcnt lgkmcnt(0)
	s_lshr_b32 s14, s0, 16
	s_mov_b32 s0, exec_lo
	v_mad_u64_u32 v[199:200], null, s7, s14, v[1:2]
	v_cmpx_gt_i32_e64 s12, v199
	s_cbranch_execnz .LBB111_1
; %bb.510:
	s_getpc_b64 s[20:21]
.Lpost_getpc13:
	s_add_u32 s20, s20, (.LBB111_509-.Lpost_getpc13)&4294967295
	s_addc_u32 s21, s21, (.LBB111_509-.Lpost_getpc13)>>32
	s_setpc_b64 s[20:21]
.LBB111_1:
	s_clause 0x2
	s_load_dwordx4 s[8:11], s[4:5], 0x20
	s_load_dword s6, s[4:5], 0x18
	s_load_dwordx4 s[0:3], s[4:5], 0x8
	v_ashrrev_i32_e32 v200, 31, v199
	v_mad_u32_u24 v253, 0x380, v1, 0
	v_lshlrev_b32_e32 v1, 4, v1
	s_mulk_i32 s14, 0x380
	v_add3_u32 v255, 0, s14, v1
	s_waitcnt lgkmcnt(0)
	v_mul_lo_u32 v5, s9, v199
	v_mul_lo_u32 v7, s8, v200
	v_mad_u64_u32 v[2:3], null, s8, v199, 0
	v_add3_u32 v4, s6, s6, v0
	s_lshl_b64 s[2:3], s[2:3], 4
	s_ashr_i32 s7, s6, 31
	v_add_nc_u32_e32 v6, s6, v4
	v_add3_u32 v3, v3, v7, v5
	v_ashrrev_i32_e32 v5, 31, v4
	v_add_nc_u32_e32 v8, s6, v6
	v_lshlrev_b64 v[2:3], 4, v[2:3]
	v_ashrrev_i32_e32 v7, 31, v6
	v_lshlrev_b64 v[4:5], 4, v[4:5]
	v_add_nc_u32_e32 v10, s6, v8
	v_ashrrev_i32_e32 v9, 31, v8
	v_add_co_u32 v2, vcc_lo, s0, v2
	v_add_co_ci_u32_e64 v3, null, s1, v3, vcc_lo
	v_add_nc_u32_e32 v12, s6, v10
	v_add_co_u32 v2, vcc_lo, v2, s2
	v_lshlrev_b64 v[6:7], 4, v[6:7]
	v_ashrrev_i32_e32 v11, 31, v10
	v_add_co_ci_u32_e64 v3, null, s3, v3, vcc_lo
	v_add_nc_u32_e32 v14, s6, v12
	v_lshlrev_b64 v[8:9], 4, v[8:9]
	v_ashrrev_i32_e32 v13, 31, v12
	v_add_co_u32 v78, vcc_lo, v2, v4
	v_lshlrev_b64 v[10:11], 4, v[10:11]
	v_add_co_ci_u32_e64 v79, null, v3, v5, vcc_lo
	v_add_co_u32 v16, vcc_lo, v2, v6
	v_add_nc_u32_e32 v6, s6, v14
	v_lshlrev_b64 v[4:5], 4, v[12:13]
	v_ashrrev_i32_e32 v15, 31, v14
	v_add_co_ci_u32_e64 v17, null, v3, v7, vcc_lo
	v_add_co_u32 v207, vcc_lo, v2, v8
	v_add_co_ci_u32_e64 v208, null, v3, v9, vcc_lo
	v_add_co_u32 v76, vcc_lo, v2, v10
	v_ashrrev_i32_e32 v7, 31, v6
	v_add_nc_u32_e32 v10, s6, v6
	v_lshlrev_b64 v[8:9], 4, v[14:15]
	v_add_co_ci_u32_e64 v77, null, v3, v11, vcc_lo
	v_add_co_u32 v12, vcc_lo, v2, v4
	v_add_co_ci_u32_e64 v13, null, v3, v5, vcc_lo
	v_lshlrev_b64 v[4:5], 4, v[6:7]
	v_ashrrev_i32_e32 v11, 31, v10
	v_add_nc_u32_e32 v6, s6, v10
	v_add_co_u32 v80, vcc_lo, v2, v8
	v_add_co_ci_u32_e64 v81, null, v3, v9, vcc_lo
	v_lshlrev_b64 v[8:9], 4, v[10:11]
	v_ashrrev_i32_e32 v7, 31, v6
	v_add_nc_u32_e32 v10, s6, v6
	;; [unrolled: 5-line block ×45, first 2 shown]
	v_add_co_u32 v231, vcc_lo, v2, v8
	v_add_co_ci_u32_e64 v232, null, v3, v9, vcc_lo
	v_lshlrev_b64 v[8:9], 4, v[10:11]
	v_add_nc_u32_e32 v10, s6, v6
	v_ashrrev_i32_e32 v7, 31, v6
	v_add_co_u32 v233, vcc_lo, v2, v4
	v_add_co_ci_u32_e64 v234, null, v3, v5, vcc_lo
	v_ashrrev_i32_e32 v11, 31, v10
	v_lshlrev_b64 v[4:5], 4, v[6:7]
	v_add_co_u32 v8, vcc_lo, v2, v8
	v_add_co_ci_u32_e64 v9, null, v3, v9, vcc_lo
	v_lshlrev_b64 v[6:7], 4, v[10:11]
	v_add_co_u32 v235, vcc_lo, v2, v4
	v_lshlrev_b32_e32 v4, 4, v0
	v_add_co_ci_u32_e64 v236, null, v3, v5, vcc_lo
	v_add_co_u32 v237, vcc_lo, v2, v6
	v_add_co_ci_u32_e64 v238, null, v3, v7, vcc_lo
	v_add_co_u32 v4, vcc_lo, v2, v4
	v_add_co_ci_u32_e64 v5, null, 0, v3, vcc_lo
	s_lshl_b64 s[0:1], s[6:7], 4
	v_add_co_u32 v2, vcc_lo, v4, s0
	v_add_co_ci_u32_e64 v3, null, s1, v5, vcc_lo
	buffer_store_dword v4, off, s[16:19], 0 offset:1000 ; 4-byte Folded Spill
	buffer_store_dword v5, off, s[16:19], 0 offset:1004 ; 4-byte Folded Spill
	v_cmp_ne_u32_e64 s1, 0, v0
	v_cmp_eq_u32_e64 s0, 0, v0
	global_load_dwordx4 v[4:7], v[4:5], off
	s_waitcnt vmcnt(0)
	buffer_store_dword v4, off, s[16:19], 0 offset:80 ; 4-byte Folded Spill
	buffer_store_dword v5, off, s[16:19], 0 offset:84 ; 4-byte Folded Spill
	buffer_store_dword v6, off, s[16:19], 0 offset:88 ; 4-byte Folded Spill
	buffer_store_dword v7, off, s[16:19], 0 offset:92 ; 4-byte Folded Spill
	buffer_store_dword v2, off, s[16:19], 0 offset:512 ; 4-byte Folded Spill
	buffer_store_dword v3, off, s[16:19], 0 offset:516 ; 4-byte Folded Spill
	global_load_dwordx4 v[1:4], v[2:3], off
	s_waitcnt vmcnt(0)
	buffer_store_dword v1, off, s[16:19], 0 offset:64 ; 4-byte Folded Spill
	buffer_store_dword v2, off, s[16:19], 0 offset:68 ; 4-byte Folded Spill
	buffer_store_dword v3, off, s[16:19], 0 offset:72 ; 4-byte Folded Spill
	buffer_store_dword v4, off, s[16:19], 0 offset:76 ; 4-byte Folded Spill
	buffer_store_dword v78, off, s[16:19], 0 offset:992 ; 4-byte Folded Spill
	buffer_store_dword v79, off, s[16:19], 0 offset:996 ; 4-byte Folded Spill
	;; [unrolled: 8-line block ×3, first 2 shown]
	global_load_dwordx4 v[1:4], v[16:17], off
	s_waitcnt vmcnt(0)
	buffer_store_dword v1, off, s[16:19], 0 offset:32 ; 4-byte Folded Spill
	buffer_store_dword v2, off, s[16:19], 0 offset:36 ; 4-byte Folded Spill
	buffer_store_dword v3, off, s[16:19], 0 offset:40 ; 4-byte Folded Spill
	buffer_store_dword v4, off, s[16:19], 0 offset:44 ; 4-byte Folded Spill
	global_load_dwordx4 v[1:4], v[207:208], off
	s_waitcnt vmcnt(0)
	buffer_store_dword v1, off, s[16:19], 0 offset:16 ; 4-byte Folded Spill
	buffer_store_dword v2, off, s[16:19], 0 offset:20 ; 4-byte Folded Spill
	;; [unrolled: 1-line block ×6, first 2 shown]
	global_load_dwordx4 v[247:250], v[76:77], off
	buffer_store_dword v12, off, s[16:19], 0 offset:120 ; 4-byte Folded Spill
	buffer_store_dword v13, off, s[16:19], 0 offset:124 ; 4-byte Folded Spill
	global_load_dwordx4 v[1:4], v[12:13], off
	s_waitcnt vmcnt(0)
	buffer_store_dword v1, off, s[16:19], 0 ; 4-byte Folded Spill
	buffer_store_dword v2, off, s[16:19], 0 offset:4 ; 4-byte Folded Spill
	buffer_store_dword v3, off, s[16:19], 0 offset:8 ; 4-byte Folded Spill
	buffer_store_dword v4, off, s[16:19], 0 offset:12 ; 4-byte Folded Spill
	buffer_store_dword v80, off, s[16:19], 0 offset:1008 ; 4-byte Folded Spill
	buffer_store_dword v81, off, s[16:19], 0 offset:1012 ; 4-byte Folded Spill
	global_load_dwordx4 v[1:4], v[80:81], off
	buffer_store_dword v14, off, s[16:19], 0 offset:128 ; 4-byte Folded Spill
	buffer_store_dword v15, off, s[16:19], 0 offset:132 ; 4-byte Folded Spill
	global_load_dwordx4 v[189:192], v[14:15], off
	buffer_store_dword v18, off, s[16:19], 0 offset:136 ; 4-byte Folded Spill
	buffer_store_dword v19, off, s[16:19], 0 offset:140 ; 4-byte Folded Spill
	;; [unrolled: 3-line block ×32, first 2 shown]
	v_mov_b32_e32 v193, v247
	v_mov_b32_e32 v194, v248
	;; [unrolled: 1-line block ×4, first 2 shown]
	global_load_dwordx4 v[65:68], v[205:206], off
	buffer_store_dword v209, off, s[16:19], 0 offset:376 ; 4-byte Folded Spill
	buffer_store_dword v210, off, s[16:19], 0 offset:380 ; 4-byte Folded Spill
	global_load_dwordx4 v[61:64], v[209:210], off
	buffer_store_dword v211, off, s[16:19], 0 offset:384 ; 4-byte Folded Spill
	buffer_store_dword v212, off, s[16:19], 0 offset:388 ; 4-byte Folded Spill
	;; [unrolled: 3-line block ×3, first 2 shown]
	s_waitcnt vmcnt(34)
	v_mov_b32_e32 v212, v4
	v_mov_b32_e32 v211, v3
	;; [unrolled: 1-line block ×4, first 2 shown]
	global_load_dwordx4 v[53:56], v[213:214], off
	buffer_store_dword v215, off, s[16:19], 0 offset:400 ; 4-byte Folded Spill
	buffer_store_dword v216, off, s[16:19], 0 offset:404 ; 4-byte Folded Spill
	global_load_dwordx4 v[49:52], v[215:216], off
	buffer_store_dword v217, off, s[16:19], 0 offset:408 ; 4-byte Folded Spill
	buffer_store_dword v218, off, s[16:19], 0 offset:412 ; 4-byte Folded Spill
	;; [unrolled: 3-line block ×13, first 2 shown]
	global_load_dwordx4 v[1:4], v[237:238], off
	s_and_saveexec_b32 s3, s0
	s_cbranch_execz .LBB111_8
; %bb.2:
	s_clause 0x3
	buffer_load_dword v213, off, s[16:19], 0 offset:80
	buffer_load_dword v214, off, s[16:19], 0 offset:84
	;; [unrolled: 1-line block ×4, first 2 shown]
	s_waitcnt vmcnt(0)
	ds_write2_b64 v255, v[213:214], v[215:216] offset1:1
	s_clause 0x3
	buffer_load_dword v213, off, s[16:19], 0 offset:64
	buffer_load_dword v214, off, s[16:19], 0 offset:68
	buffer_load_dword v215, off, s[16:19], 0 offset:72
	buffer_load_dword v216, off, s[16:19], 0 offset:76
	s_waitcnt vmcnt(0)
	ds_write2_b64 v253, v[213:214], v[215:216] offset0:2 offset1:3
	s_clause 0x3
	buffer_load_dword v213, off, s[16:19], 0 offset:48
	buffer_load_dword v214, off, s[16:19], 0 offset:52
	buffer_load_dword v215, off, s[16:19], 0 offset:56
	buffer_load_dword v216, off, s[16:19], 0 offset:60
	s_waitcnt vmcnt(0)
	ds_write2_b64 v253, v[213:214], v[215:216] offset0:4 offset1:5
	;; [unrolled: 7-line block ×4, first 2 shown]
	ds_write2_b64 v253, v[193:194], v[195:196] offset0:10 offset1:11
	s_clause 0x3
	buffer_load_dword v201, off, s[16:19], 0
	buffer_load_dword v202, off, s[16:19], 0 offset:4
	buffer_load_dword v203, off, s[16:19], 0 offset:8
	;; [unrolled: 1-line block ×3, first 2 shown]
	s_waitcnt vmcnt(0)
	ds_write2_b64 v253, v[201:202], v[203:204] offset0:12 offset1:13
	ds_write2_b64 v253, v[209:210], v[211:212] offset0:14 offset1:15
	ds_write2_b64 v253, v[189:190], v[191:192] offset0:16 offset1:17
	ds_write2_b64 v253, v[185:186], v[187:188] offset0:18 offset1:19
	ds_write2_b64 v253, v[181:182], v[183:184] offset0:20 offset1:21
	ds_write2_b64 v253, v[177:178], v[179:180] offset0:22 offset1:23
	ds_write2_b64 v253, v[173:174], v[175:176] offset0:24 offset1:25
	ds_write2_b64 v253, v[169:170], v[171:172] offset0:26 offset1:27
	ds_write2_b64 v253, v[165:166], v[167:168] offset0:28 offset1:29
	ds_write2_b64 v253, v[161:162], v[163:164] offset0:30 offset1:31
	ds_write2_b64 v253, v[157:158], v[159:160] offset0:32 offset1:33
	ds_write2_b64 v253, v[153:154], v[155:156] offset0:34 offset1:35
	ds_write2_b64 v253, v[149:150], v[151:152] offset0:36 offset1:37
	ds_write2_b64 v253, v[145:146], v[147:148] offset0:38 offset1:39
	ds_write2_b64 v253, v[141:142], v[143:144] offset0:40 offset1:41
	ds_write2_b64 v253, v[137:138], v[139:140] offset0:42 offset1:43
	ds_write2_b64 v253, v[133:134], v[135:136] offset0:44 offset1:45
	ds_write2_b64 v253, v[129:130], v[131:132] offset0:46 offset1:47
	ds_write2_b64 v253, v[125:126], v[127:128] offset0:48 offset1:49
	ds_write2_b64 v253, v[121:122], v[123:124] offset0:50 offset1:51
	ds_write2_b64 v253, v[117:118], v[119:120] offset0:52 offset1:53
	ds_write2_b64 v253, v[113:114], v[115:116] offset0:54 offset1:55
	ds_write2_b64 v253, v[109:110], v[111:112] offset0:56 offset1:57
	ds_write2_b64 v253, v[105:106], v[107:108] offset0:58 offset1:59
	ds_write2_b64 v253, v[101:102], v[103:104] offset0:60 offset1:61
	ds_write2_b64 v253, v[97:98], v[99:100] offset0:62 offset1:63
	ds_write2_b64 v253, v[93:94], v[95:96] offset0:64 offset1:65
	ds_write2_b64 v253, v[89:90], v[91:92] offset0:66 offset1:67
	ds_write2_b64 v253, v[85:86], v[87:88] offset0:68 offset1:69
	ds_write2_b64 v253, v[81:82], v[83:84] offset0:70 offset1:71
	ds_write2_b64 v253, v[77:78], v[79:80] offset0:72 offset1:73
	ds_write2_b64 v253, v[73:74], v[75:76] offset0:74 offset1:75
	ds_write2_b64 v253, v[69:70], v[71:72] offset0:76 offset1:77
	ds_write2_b64 v253, v[65:66], v[67:68] offset0:78 offset1:79
	ds_write2_b64 v253, v[61:62], v[63:64] offset0:80 offset1:81
	ds_write2_b64 v253, v[57:58], v[59:60] offset0:82 offset1:83
	ds_write2_b64 v253, v[53:54], v[55:56] offset0:84 offset1:85
	ds_write2_b64 v253, v[49:50], v[51:52] offset0:86 offset1:87
	ds_write2_b64 v253, v[45:46], v[47:48] offset0:88 offset1:89
	ds_write2_b64 v253, v[41:42], v[43:44] offset0:90 offset1:91
	ds_write2_b64 v253, v[37:38], v[39:40] offset0:92 offset1:93
	ds_write2_b64 v253, v[33:34], v[35:36] offset0:94 offset1:95
	ds_write2_b64 v253, v[29:30], v[31:32] offset0:96 offset1:97
	ds_write2_b64 v253, v[25:26], v[27:28] offset0:98 offset1:99
	ds_write2_b64 v253, v[21:22], v[23:24] offset0:100 offset1:101
	ds_write2_b64 v253, v[17:18], v[19:20] offset0:102 offset1:103
	ds_write2_b64 v253, v[13:14], v[15:16] offset0:104 offset1:105
	ds_write2_b64 v253, v[9:10], v[11:12] offset0:106 offset1:107
	ds_write2_b64 v253, v[5:6], v[7:8] offset0:108 offset1:109
	ds_write2_b64 v253, v[1:2], v[3:4] offset0:110 offset1:111
	ds_read2_b64 v[213:216], v255 offset1:1
	s_waitcnt lgkmcnt(0)
	v_cmp_neq_f64_e32 vcc_lo, 0, v[213:214]
	v_cmp_neq_f64_e64 s2, 0, v[215:216]
	s_or_b32 s2, vcc_lo, s2
	s_and_b32 exec_lo, exec_lo, s2
	s_cbranch_execz .LBB111_8
; %bb.3:
	v_cmp_ngt_f64_e64 s2, |v[213:214]|, |v[215:216]|
                                        ; implicit-def: $vgpr217_vgpr218
	s_and_saveexec_b32 s4, s2
	s_xor_b32 s2, exec_lo, s4
                                        ; implicit-def: $vgpr219_vgpr220
	s_cbranch_execz .LBB111_5
; %bb.4:
	v_div_scale_f64 v[217:218], null, v[215:216], v[215:216], v[213:214]
	v_div_scale_f64 v[223:224], vcc_lo, v[213:214], v[215:216], v[213:214]
	v_rcp_f64_e32 v[219:220], v[217:218]
	v_fma_f64 v[221:222], -v[217:218], v[219:220], 1.0
	v_fma_f64 v[219:220], v[219:220], v[221:222], v[219:220]
	v_fma_f64 v[221:222], -v[217:218], v[219:220], 1.0
	v_fma_f64 v[219:220], v[219:220], v[221:222], v[219:220]
	v_mul_f64 v[221:222], v[223:224], v[219:220]
	v_fma_f64 v[217:218], -v[217:218], v[221:222], v[223:224]
	v_div_fmas_f64 v[217:218], v[217:218], v[219:220], v[221:222]
	v_div_fixup_f64 v[217:218], v[217:218], v[215:216], v[213:214]
	v_fma_f64 v[213:214], v[213:214], v[217:218], v[215:216]
	v_div_scale_f64 v[215:216], null, v[213:214], v[213:214], 1.0
	v_rcp_f64_e32 v[219:220], v[215:216]
	v_fma_f64 v[221:222], -v[215:216], v[219:220], 1.0
	v_fma_f64 v[219:220], v[219:220], v[221:222], v[219:220]
	v_fma_f64 v[221:222], -v[215:216], v[219:220], 1.0
	v_fma_f64 v[219:220], v[219:220], v[221:222], v[219:220]
	v_div_scale_f64 v[221:222], vcc_lo, 1.0, v[213:214], 1.0
	v_mul_f64 v[223:224], v[221:222], v[219:220]
	v_fma_f64 v[215:216], -v[215:216], v[223:224], v[221:222]
	v_div_fmas_f64 v[215:216], v[215:216], v[219:220], v[223:224]
	v_div_fixup_f64 v[219:220], v[215:216], v[213:214], 1.0
                                        ; implicit-def: $vgpr213_vgpr214
	v_mul_f64 v[217:218], v[217:218], v[219:220]
	v_xor_b32_e32 v220, 0x80000000, v220
.LBB111_5:
	s_andn2_saveexec_b32 s2, s2
	s_cbranch_execz .LBB111_7
; %bb.6:
	v_div_scale_f64 v[217:218], null, v[213:214], v[213:214], v[215:216]
	v_div_scale_f64 v[223:224], vcc_lo, v[215:216], v[213:214], v[215:216]
	v_rcp_f64_e32 v[219:220], v[217:218]
	v_fma_f64 v[221:222], -v[217:218], v[219:220], 1.0
	v_fma_f64 v[219:220], v[219:220], v[221:222], v[219:220]
	v_fma_f64 v[221:222], -v[217:218], v[219:220], 1.0
	v_fma_f64 v[219:220], v[219:220], v[221:222], v[219:220]
	v_mul_f64 v[221:222], v[223:224], v[219:220]
	v_fma_f64 v[217:218], -v[217:218], v[221:222], v[223:224]
	v_div_fmas_f64 v[217:218], v[217:218], v[219:220], v[221:222]
	v_div_fixup_f64 v[219:220], v[217:218], v[213:214], v[215:216]
	v_fma_f64 v[213:214], v[215:216], v[219:220], v[213:214]
	v_div_scale_f64 v[215:216], null, v[213:214], v[213:214], 1.0
	v_rcp_f64_e32 v[217:218], v[215:216]
	v_fma_f64 v[221:222], -v[215:216], v[217:218], 1.0
	v_fma_f64 v[217:218], v[217:218], v[221:222], v[217:218]
	v_fma_f64 v[221:222], -v[215:216], v[217:218], 1.0
	v_fma_f64 v[217:218], v[217:218], v[221:222], v[217:218]
	v_div_scale_f64 v[221:222], vcc_lo, 1.0, v[213:214], 1.0
	v_mul_f64 v[223:224], v[221:222], v[217:218]
	v_fma_f64 v[215:216], -v[215:216], v[223:224], v[221:222]
	v_div_fmas_f64 v[215:216], v[215:216], v[217:218], v[223:224]
	v_div_fixup_f64 v[217:218], v[215:216], v[213:214], 1.0
	v_mul_f64 v[219:220], v[219:220], -v[217:218]
.LBB111_7:
	s_or_b32 exec_lo, exec_lo, s2
	ds_write2_b64 v255, v[217:218], v[219:220] offset1:1
.LBB111_8:
	s_or_b32 exec_lo, exec_lo, s3
	s_waitcnt vmcnt(0) lgkmcnt(0)
	s_waitcnt_vscnt null, 0x0
	s_barrier
	buffer_gl0_inv
	ds_read2_b64 v[213:216], v255 offset1:1
	s_waitcnt lgkmcnt(0)
	buffer_store_dword v213, off, s[16:19], 0 offset:520 ; 4-byte Folded Spill
	buffer_store_dword v214, off, s[16:19], 0 offset:524 ; 4-byte Folded Spill
	;; [unrolled: 1-line block ×4, first 2 shown]
	s_and_saveexec_b32 s2, s1
	s_cbranch_execz .LBB111_10
; %bb.9:
	s_clause 0x7
	buffer_load_dword v223, off, s[16:19], 0 offset:80
	buffer_load_dword v224, off, s[16:19], 0 offset:84
	;; [unrolled: 1-line block ×8, first 2 shown]
	s_waitcnt vmcnt(0)
	v_mul_f64 v[213:214], v[217:218], v[225:226]
	v_fma_f64 v[213:214], v[215:216], v[223:224], -v[213:214]
	v_mul_f64 v[215:216], v[215:216], v[225:226]
	v_fma_f64 v[225:226], v[217:218], v[223:224], v[215:216]
	ds_read2_b64 v[215:218], v253 offset0:2 offset1:3
	s_clause 0x3
	buffer_load_dword v221, off, s[16:19], 0 offset:64
	buffer_load_dword v222, off, s[16:19], 0 offset:68
	buffer_load_dword v223, off, s[16:19], 0 offset:72
	buffer_load_dword v224, off, s[16:19], 0 offset:76
	s_waitcnt lgkmcnt(0)
	v_mul_f64 v[219:220], v[217:218], v[225:226]
	v_fma_f64 v[219:220], v[215:216], v[213:214], -v[219:220]
	v_mul_f64 v[215:216], v[215:216], v[225:226]
	v_fma_f64 v[215:216], v[217:218], v[213:214], v[215:216]
	s_waitcnt vmcnt(2)
	v_add_f64 v[221:222], v[221:222], -v[219:220]
	s_waitcnt vmcnt(0)
	v_add_f64 v[223:224], v[223:224], -v[215:216]
	buffer_store_dword v221, off, s[16:19], 0 offset:64 ; 4-byte Folded Spill
	buffer_store_dword v222, off, s[16:19], 0 offset:68 ; 4-byte Folded Spill
	buffer_store_dword v223, off, s[16:19], 0 offset:72 ; 4-byte Folded Spill
	buffer_store_dword v224, off, s[16:19], 0 offset:76 ; 4-byte Folded Spill
	ds_read2_b64 v[215:218], v253 offset0:4 offset1:5
	s_clause 0x3
	buffer_load_dword v221, off, s[16:19], 0 offset:48
	buffer_load_dword v222, off, s[16:19], 0 offset:52
	buffer_load_dword v223, off, s[16:19], 0 offset:56
	buffer_load_dword v224, off, s[16:19], 0 offset:60
	s_waitcnt lgkmcnt(0)
	v_mul_f64 v[219:220], v[217:218], v[225:226]
	v_fma_f64 v[219:220], v[215:216], v[213:214], -v[219:220]
	v_mul_f64 v[215:216], v[215:216], v[225:226]
	v_fma_f64 v[215:216], v[217:218], v[213:214], v[215:216]
	s_waitcnt vmcnt(2)
	v_add_f64 v[221:222], v[221:222], -v[219:220]
	s_waitcnt vmcnt(0)
	v_add_f64 v[223:224], v[223:224], -v[215:216]
	buffer_store_dword v221, off, s[16:19], 0 offset:48 ; 4-byte Folded Spill
	buffer_store_dword v222, off, s[16:19], 0 offset:52 ; 4-byte Folded Spill
	buffer_store_dword v223, off, s[16:19], 0 offset:56 ; 4-byte Folded Spill
	buffer_store_dword v224, off, s[16:19], 0 offset:60 ; 4-byte Folded Spill
	;; [unrolled: 19-line block ×4, first 2 shown]
	ds_read2_b64 v[215:218], v253 offset0:10 offset1:11
	v_mov_b32_e32 v224, v214
	v_mov_b32_e32 v223, v213
	s_waitcnt lgkmcnt(0)
	v_mul_f64 v[219:220], v[217:218], v[225:226]
	v_fma_f64 v[219:220], v[215:216], v[213:214], -v[219:220]
	v_mul_f64 v[215:216], v[215:216], v[225:226]
	v_add_f64 v[193:194], v[193:194], -v[219:220]
	v_fma_f64 v[215:216], v[217:218], v[213:214], v[215:216]
	v_add_f64 v[195:196], v[195:196], -v[215:216]
	ds_read2_b64 v[215:218], v253 offset0:12 offset1:13
	s_clause 0x3
	buffer_load_dword v201, off, s[16:19], 0
	buffer_load_dword v202, off, s[16:19], 0 offset:4
	buffer_load_dword v203, off, s[16:19], 0 offset:8
	buffer_load_dword v204, off, s[16:19], 0 offset:12
	s_waitcnt lgkmcnt(0)
	v_mul_f64 v[219:220], v[217:218], v[225:226]
	v_fma_f64 v[219:220], v[215:216], v[213:214], -v[219:220]
	v_mul_f64 v[215:216], v[215:216], v[225:226]
	v_fma_f64 v[215:216], v[217:218], v[213:214], v[215:216]
	s_waitcnt vmcnt(2)
	v_add_f64 v[201:202], v[201:202], -v[219:220]
	s_waitcnt vmcnt(0)
	v_add_f64 v[203:204], v[203:204], -v[215:216]
	buffer_store_dword v201, off, s[16:19], 0 ; 4-byte Folded Spill
	buffer_store_dword v202, off, s[16:19], 0 offset:4 ; 4-byte Folded Spill
	buffer_store_dword v203, off, s[16:19], 0 offset:8 ; 4-byte Folded Spill
	;; [unrolled: 1-line block ×3, first 2 shown]
	ds_read2_b64 v[215:218], v253 offset0:14 offset1:15
	s_waitcnt lgkmcnt(0)
	v_mul_f64 v[219:220], v[217:218], v[225:226]
	v_fma_f64 v[219:220], v[215:216], v[213:214], -v[219:220]
	v_mul_f64 v[215:216], v[215:216], v[225:226]
	v_add_f64 v[209:210], v[209:210], -v[219:220]
	v_fma_f64 v[215:216], v[217:218], v[213:214], v[215:216]
	v_add_f64 v[211:212], v[211:212], -v[215:216]
	ds_read2_b64 v[215:218], v253 offset0:16 offset1:17
	s_waitcnt lgkmcnt(0)
	v_mul_f64 v[219:220], v[217:218], v[225:226]
	v_fma_f64 v[219:220], v[215:216], v[213:214], -v[219:220]
	v_mul_f64 v[215:216], v[215:216], v[225:226]
	v_add_f64 v[189:190], v[189:190], -v[219:220]
	v_fma_f64 v[215:216], v[217:218], v[213:214], v[215:216]
	v_add_f64 v[191:192], v[191:192], -v[215:216]
	;; [unrolled: 8-line block ×48, first 2 shown]
	ds_read2_b64 v[215:218], v253 offset0:110 offset1:111
	s_waitcnt lgkmcnt(0)
	v_mul_f64 v[219:220], v[217:218], v[225:226]
	v_fma_f64 v[219:220], v[215:216], v[213:214], -v[219:220]
	v_mul_f64 v[215:216], v[215:216], v[225:226]
	buffer_store_dword v223, off, s[16:19], 0 offset:80 ; 4-byte Folded Spill
	buffer_store_dword v224, off, s[16:19], 0 offset:84 ; 4-byte Folded Spill
	;; [unrolled: 1-line block ×4, first 2 shown]
	v_add_f64 v[1:2], v[1:2], -v[219:220]
	v_fma_f64 v[215:216], v[217:218], v[213:214], v[215:216]
	v_add_f64 v[3:4], v[3:4], -v[215:216]
.LBB111_10:
	s_or_b32 exec_lo, exec_lo, s2
	s_mov_b32 s2, exec_lo
	s_waitcnt_vscnt null, 0x0
	s_barrier
	buffer_gl0_inv
	v_cmpx_eq_u32_e32 1, v0
	s_cbranch_execz .LBB111_17
; %bb.11:
	s_clause 0x3
	buffer_load_dword v213, off, s[16:19], 0 offset:64
	buffer_load_dword v214, off, s[16:19], 0 offset:68
	;; [unrolled: 1-line block ×4, first 2 shown]
	s_waitcnt vmcnt(0)
	ds_write2_b64 v255, v[213:214], v[215:216] offset1:1
	s_clause 0x3
	buffer_load_dword v213, off, s[16:19], 0 offset:48
	buffer_load_dword v214, off, s[16:19], 0 offset:52
	buffer_load_dword v215, off, s[16:19], 0 offset:56
	buffer_load_dword v216, off, s[16:19], 0 offset:60
	s_waitcnt vmcnt(0)
	ds_write2_b64 v253, v[213:214], v[215:216] offset0:4 offset1:5
	s_clause 0x3
	buffer_load_dword v213, off, s[16:19], 0 offset:32
	buffer_load_dword v214, off, s[16:19], 0 offset:36
	buffer_load_dword v215, off, s[16:19], 0 offset:40
	buffer_load_dword v216, off, s[16:19], 0 offset:44
	s_waitcnt vmcnt(0)
	ds_write2_b64 v253, v[213:214], v[215:216] offset0:6 offset1:7
	;; [unrolled: 7-line block ×3, first 2 shown]
	ds_write2_b64 v253, v[193:194], v[195:196] offset0:10 offset1:11
	s_clause 0x3
	buffer_load_dword v201, off, s[16:19], 0
	buffer_load_dword v202, off, s[16:19], 0 offset:4
	buffer_load_dword v203, off, s[16:19], 0 offset:8
	;; [unrolled: 1-line block ×3, first 2 shown]
	s_waitcnt vmcnt(0)
	ds_write2_b64 v253, v[201:202], v[203:204] offset0:12 offset1:13
	ds_write2_b64 v253, v[209:210], v[211:212] offset0:14 offset1:15
	;; [unrolled: 1-line block ×50, first 2 shown]
	ds_read2_b64 v[213:216], v255 offset1:1
	s_waitcnt lgkmcnt(0)
	v_cmp_neq_f64_e32 vcc_lo, 0, v[213:214]
	v_cmp_neq_f64_e64 s1, 0, v[215:216]
	s_or_b32 s1, vcc_lo, s1
	s_and_b32 exec_lo, exec_lo, s1
	s_cbranch_execz .LBB111_17
; %bb.12:
	v_cmp_ngt_f64_e64 s1, |v[213:214]|, |v[215:216]|
                                        ; implicit-def: $vgpr217_vgpr218
	s_and_saveexec_b32 s3, s1
	s_xor_b32 s1, exec_lo, s3
                                        ; implicit-def: $vgpr219_vgpr220
	s_cbranch_execz .LBB111_14
; %bb.13:
	v_div_scale_f64 v[217:218], null, v[215:216], v[215:216], v[213:214]
	v_div_scale_f64 v[223:224], vcc_lo, v[213:214], v[215:216], v[213:214]
	v_rcp_f64_e32 v[219:220], v[217:218]
	v_fma_f64 v[221:222], -v[217:218], v[219:220], 1.0
	v_fma_f64 v[219:220], v[219:220], v[221:222], v[219:220]
	v_fma_f64 v[221:222], -v[217:218], v[219:220], 1.0
	v_fma_f64 v[219:220], v[219:220], v[221:222], v[219:220]
	v_mul_f64 v[221:222], v[223:224], v[219:220]
	v_fma_f64 v[217:218], -v[217:218], v[221:222], v[223:224]
	v_div_fmas_f64 v[217:218], v[217:218], v[219:220], v[221:222]
	v_div_fixup_f64 v[217:218], v[217:218], v[215:216], v[213:214]
	v_fma_f64 v[213:214], v[213:214], v[217:218], v[215:216]
	v_div_scale_f64 v[215:216], null, v[213:214], v[213:214], 1.0
	v_rcp_f64_e32 v[219:220], v[215:216]
	v_fma_f64 v[221:222], -v[215:216], v[219:220], 1.0
	v_fma_f64 v[219:220], v[219:220], v[221:222], v[219:220]
	v_fma_f64 v[221:222], -v[215:216], v[219:220], 1.0
	v_fma_f64 v[219:220], v[219:220], v[221:222], v[219:220]
	v_div_scale_f64 v[221:222], vcc_lo, 1.0, v[213:214], 1.0
	v_mul_f64 v[223:224], v[221:222], v[219:220]
	v_fma_f64 v[215:216], -v[215:216], v[223:224], v[221:222]
	v_div_fmas_f64 v[215:216], v[215:216], v[219:220], v[223:224]
	v_div_fixup_f64 v[219:220], v[215:216], v[213:214], 1.0
                                        ; implicit-def: $vgpr213_vgpr214
	v_mul_f64 v[217:218], v[217:218], v[219:220]
	v_xor_b32_e32 v220, 0x80000000, v220
.LBB111_14:
	s_andn2_saveexec_b32 s1, s1
	s_cbranch_execz .LBB111_16
; %bb.15:
	v_div_scale_f64 v[217:218], null, v[213:214], v[213:214], v[215:216]
	v_div_scale_f64 v[223:224], vcc_lo, v[215:216], v[213:214], v[215:216]
	v_rcp_f64_e32 v[219:220], v[217:218]
	v_fma_f64 v[221:222], -v[217:218], v[219:220], 1.0
	v_fma_f64 v[219:220], v[219:220], v[221:222], v[219:220]
	v_fma_f64 v[221:222], -v[217:218], v[219:220], 1.0
	v_fma_f64 v[219:220], v[219:220], v[221:222], v[219:220]
	v_mul_f64 v[221:222], v[223:224], v[219:220]
	v_fma_f64 v[217:218], -v[217:218], v[221:222], v[223:224]
	v_div_fmas_f64 v[217:218], v[217:218], v[219:220], v[221:222]
	v_div_fixup_f64 v[219:220], v[217:218], v[213:214], v[215:216]
	v_fma_f64 v[213:214], v[215:216], v[219:220], v[213:214]
	v_div_scale_f64 v[215:216], null, v[213:214], v[213:214], 1.0
	v_rcp_f64_e32 v[217:218], v[215:216]
	v_fma_f64 v[221:222], -v[215:216], v[217:218], 1.0
	v_fma_f64 v[217:218], v[217:218], v[221:222], v[217:218]
	v_fma_f64 v[221:222], -v[215:216], v[217:218], 1.0
	v_fma_f64 v[217:218], v[217:218], v[221:222], v[217:218]
	v_div_scale_f64 v[221:222], vcc_lo, 1.0, v[213:214], 1.0
	v_mul_f64 v[223:224], v[221:222], v[217:218]
	v_fma_f64 v[215:216], -v[215:216], v[223:224], v[221:222]
	v_div_fmas_f64 v[215:216], v[215:216], v[217:218], v[223:224]
	v_div_fixup_f64 v[217:218], v[215:216], v[213:214], 1.0
	v_mul_f64 v[219:220], v[219:220], -v[217:218]
.LBB111_16:
	s_or_b32 exec_lo, exec_lo, s1
	ds_write2_b64 v255, v[217:218], v[219:220] offset1:1
.LBB111_17:
	s_or_b32 exec_lo, exec_lo, s2
	s_waitcnt lgkmcnt(0)
	s_barrier
	buffer_gl0_inv
	ds_read2_b64 v[203:206], v255 offset1:1
	s_mov_b32 s1, exec_lo
	s_waitcnt lgkmcnt(0)
	buffer_store_dword v203, off, s[16:19], 0 offset:544 ; 4-byte Folded Spill
	buffer_store_dword v204, off, s[16:19], 0 offset:548 ; 4-byte Folded Spill
	;; [unrolled: 1-line block ×4, first 2 shown]
	v_cmpx_lt_u32_e32 1, v0
	s_cbranch_execz .LBB111_19
; %bb.18:
	s_clause 0x7
	buffer_load_dword v223, off, s[16:19], 0 offset:64
	buffer_load_dword v224, off, s[16:19], 0 offset:68
	;; [unrolled: 1-line block ×8, first 2 shown]
	s_waitcnt vmcnt(2)
	v_mul_f64 v[215:216], v[203:204], v[225:226]
	s_waitcnt vmcnt(0)
	v_mul_f64 v[213:214], v[205:206], v[225:226]
	v_fma_f64 v[225:226], v[205:206], v[223:224], v[215:216]
	ds_read2_b64 v[215:218], v253 offset0:4 offset1:5
	v_fma_f64 v[213:214], v[203:204], v[223:224], -v[213:214]
	s_clause 0x3
	buffer_load_dword v221, off, s[16:19], 0 offset:48
	buffer_load_dword v222, off, s[16:19], 0 offset:52
	buffer_load_dword v223, off, s[16:19], 0 offset:56
	buffer_load_dword v224, off, s[16:19], 0 offset:60
	s_waitcnt lgkmcnt(0)
	v_mul_f64 v[219:220], v[217:218], v[225:226]
	v_fma_f64 v[219:220], v[215:216], v[213:214], -v[219:220]
	v_mul_f64 v[215:216], v[215:216], v[225:226]
	v_fma_f64 v[215:216], v[217:218], v[213:214], v[215:216]
	s_waitcnt vmcnt(2)
	v_add_f64 v[221:222], v[221:222], -v[219:220]
	s_waitcnt vmcnt(0)
	v_add_f64 v[223:224], v[223:224], -v[215:216]
	buffer_store_dword v221, off, s[16:19], 0 offset:48 ; 4-byte Folded Spill
	buffer_store_dword v222, off, s[16:19], 0 offset:52 ; 4-byte Folded Spill
	buffer_store_dword v223, off, s[16:19], 0 offset:56 ; 4-byte Folded Spill
	buffer_store_dword v224, off, s[16:19], 0 offset:60 ; 4-byte Folded Spill
	ds_read2_b64 v[215:218], v253 offset0:6 offset1:7
	s_clause 0x3
	buffer_load_dword v221, off, s[16:19], 0 offset:32
	buffer_load_dword v222, off, s[16:19], 0 offset:36
	buffer_load_dword v223, off, s[16:19], 0 offset:40
	buffer_load_dword v224, off, s[16:19], 0 offset:44
	s_waitcnt lgkmcnt(0)
	v_mul_f64 v[219:220], v[217:218], v[225:226]
	v_fma_f64 v[219:220], v[215:216], v[213:214], -v[219:220]
	v_mul_f64 v[215:216], v[215:216], v[225:226]
	v_fma_f64 v[215:216], v[217:218], v[213:214], v[215:216]
	s_waitcnt vmcnt(2)
	v_add_f64 v[221:222], v[221:222], -v[219:220]
	s_waitcnt vmcnt(0)
	v_add_f64 v[223:224], v[223:224], -v[215:216]
	buffer_store_dword v221, off, s[16:19], 0 offset:32 ; 4-byte Folded Spill
	buffer_store_dword v222, off, s[16:19], 0 offset:36 ; 4-byte Folded Spill
	buffer_store_dword v223, off, s[16:19], 0 offset:40 ; 4-byte Folded Spill
	buffer_store_dword v224, off, s[16:19], 0 offset:44 ; 4-byte Folded Spill
	ds_read2_b64 v[215:218], v253 offset0:8 offset1:9
	;; [unrolled: 19-line block ×3, first 2 shown]
	v_mov_b32_e32 v224, v214
	v_mov_b32_e32 v223, v213
	s_waitcnt lgkmcnt(0)
	v_mul_f64 v[219:220], v[217:218], v[225:226]
	v_fma_f64 v[219:220], v[215:216], v[213:214], -v[219:220]
	v_mul_f64 v[215:216], v[215:216], v[225:226]
	v_add_f64 v[193:194], v[193:194], -v[219:220]
	v_fma_f64 v[215:216], v[217:218], v[213:214], v[215:216]
	v_add_f64 v[195:196], v[195:196], -v[215:216]
	ds_read2_b64 v[215:218], v253 offset0:12 offset1:13
	s_clause 0x3
	buffer_load_dword v201, off, s[16:19], 0
	buffer_load_dword v202, off, s[16:19], 0 offset:4
	buffer_load_dword v203, off, s[16:19], 0 offset:8
	;; [unrolled: 1-line block ×3, first 2 shown]
	s_waitcnt lgkmcnt(0)
	v_mul_f64 v[219:220], v[217:218], v[225:226]
	v_fma_f64 v[219:220], v[215:216], v[213:214], -v[219:220]
	v_mul_f64 v[215:216], v[215:216], v[225:226]
	v_fma_f64 v[215:216], v[217:218], v[213:214], v[215:216]
	s_waitcnt vmcnt(2)
	v_add_f64 v[201:202], v[201:202], -v[219:220]
	s_waitcnt vmcnt(0)
	v_add_f64 v[203:204], v[203:204], -v[215:216]
	buffer_store_dword v201, off, s[16:19], 0 ; 4-byte Folded Spill
	buffer_store_dword v202, off, s[16:19], 0 offset:4 ; 4-byte Folded Spill
	buffer_store_dword v203, off, s[16:19], 0 offset:8 ; 4-byte Folded Spill
	;; [unrolled: 1-line block ×3, first 2 shown]
	ds_read2_b64 v[215:218], v253 offset0:14 offset1:15
	s_waitcnt lgkmcnt(0)
	v_mul_f64 v[219:220], v[217:218], v[225:226]
	v_fma_f64 v[219:220], v[215:216], v[213:214], -v[219:220]
	v_mul_f64 v[215:216], v[215:216], v[225:226]
	v_add_f64 v[209:210], v[209:210], -v[219:220]
	v_fma_f64 v[215:216], v[217:218], v[213:214], v[215:216]
	v_add_f64 v[211:212], v[211:212], -v[215:216]
	ds_read2_b64 v[215:218], v253 offset0:16 offset1:17
	s_waitcnt lgkmcnt(0)
	v_mul_f64 v[219:220], v[217:218], v[225:226]
	v_fma_f64 v[219:220], v[215:216], v[213:214], -v[219:220]
	v_mul_f64 v[215:216], v[215:216], v[225:226]
	v_add_f64 v[189:190], v[189:190], -v[219:220]
	v_fma_f64 v[215:216], v[217:218], v[213:214], v[215:216]
	v_add_f64 v[191:192], v[191:192], -v[215:216]
	;; [unrolled: 8-line block ×48, first 2 shown]
	ds_read2_b64 v[215:218], v253 offset0:110 offset1:111
	s_waitcnt lgkmcnt(0)
	v_mul_f64 v[219:220], v[217:218], v[225:226]
	v_fma_f64 v[219:220], v[215:216], v[213:214], -v[219:220]
	v_mul_f64 v[215:216], v[215:216], v[225:226]
	buffer_store_dword v223, off, s[16:19], 0 offset:64 ; 4-byte Folded Spill
	buffer_store_dword v224, off, s[16:19], 0 offset:68 ; 4-byte Folded Spill
	;; [unrolled: 1-line block ×4, first 2 shown]
	v_add_f64 v[1:2], v[1:2], -v[219:220]
	v_fma_f64 v[215:216], v[217:218], v[213:214], v[215:216]
	v_add_f64 v[3:4], v[3:4], -v[215:216]
.LBB111_19:
	s_or_b32 exec_lo, exec_lo, s1
	s_mov_b32 s2, exec_lo
	s_waitcnt_vscnt null, 0x0
	s_barrier
	buffer_gl0_inv
	v_cmpx_eq_u32_e32 2, v0
	s_cbranch_execz .LBB111_26
; %bb.20:
	s_clause 0x3
	buffer_load_dword v213, off, s[16:19], 0 offset:48
	buffer_load_dword v214, off, s[16:19], 0 offset:52
	buffer_load_dword v215, off, s[16:19], 0 offset:56
	buffer_load_dword v216, off, s[16:19], 0 offset:60
	s_waitcnt vmcnt(0)
	ds_write2_b64 v255, v[213:214], v[215:216] offset1:1
	s_clause 0x3
	buffer_load_dword v213, off, s[16:19], 0 offset:32
	buffer_load_dword v214, off, s[16:19], 0 offset:36
	;; [unrolled: 1-line block ×4, first 2 shown]
	s_waitcnt vmcnt(0)
	ds_write2_b64 v253, v[213:214], v[215:216] offset0:6 offset1:7
	s_clause 0x3
	buffer_load_dword v213, off, s[16:19], 0 offset:16
	buffer_load_dword v214, off, s[16:19], 0 offset:20
	;; [unrolled: 1-line block ×4, first 2 shown]
	s_waitcnt vmcnt(0)
	ds_write2_b64 v253, v[213:214], v[215:216] offset0:8 offset1:9
	ds_write2_b64 v253, v[193:194], v[195:196] offset0:10 offset1:11
	s_clause 0x3
	buffer_load_dword v201, off, s[16:19], 0
	buffer_load_dword v202, off, s[16:19], 0 offset:4
	buffer_load_dword v203, off, s[16:19], 0 offset:8
	;; [unrolled: 1-line block ×3, first 2 shown]
	s_waitcnt vmcnt(0)
	ds_write2_b64 v253, v[201:202], v[203:204] offset0:12 offset1:13
	ds_write2_b64 v253, v[209:210], v[211:212] offset0:14 offset1:15
	;; [unrolled: 1-line block ×50, first 2 shown]
	ds_read2_b64 v[213:216], v255 offset1:1
	s_waitcnt lgkmcnt(0)
	v_cmp_neq_f64_e32 vcc_lo, 0, v[213:214]
	v_cmp_neq_f64_e64 s1, 0, v[215:216]
	s_or_b32 s1, vcc_lo, s1
	s_and_b32 exec_lo, exec_lo, s1
	s_cbranch_execz .LBB111_26
; %bb.21:
	v_cmp_ngt_f64_e64 s1, |v[213:214]|, |v[215:216]|
                                        ; implicit-def: $vgpr217_vgpr218
	s_and_saveexec_b32 s3, s1
	s_xor_b32 s1, exec_lo, s3
                                        ; implicit-def: $vgpr219_vgpr220
	s_cbranch_execz .LBB111_23
; %bb.22:
	v_div_scale_f64 v[217:218], null, v[215:216], v[215:216], v[213:214]
	v_div_scale_f64 v[223:224], vcc_lo, v[213:214], v[215:216], v[213:214]
	v_rcp_f64_e32 v[219:220], v[217:218]
	v_fma_f64 v[221:222], -v[217:218], v[219:220], 1.0
	v_fma_f64 v[219:220], v[219:220], v[221:222], v[219:220]
	v_fma_f64 v[221:222], -v[217:218], v[219:220], 1.0
	v_fma_f64 v[219:220], v[219:220], v[221:222], v[219:220]
	v_mul_f64 v[221:222], v[223:224], v[219:220]
	v_fma_f64 v[217:218], -v[217:218], v[221:222], v[223:224]
	v_div_fmas_f64 v[217:218], v[217:218], v[219:220], v[221:222]
	v_div_fixup_f64 v[217:218], v[217:218], v[215:216], v[213:214]
	v_fma_f64 v[213:214], v[213:214], v[217:218], v[215:216]
	v_div_scale_f64 v[215:216], null, v[213:214], v[213:214], 1.0
	v_rcp_f64_e32 v[219:220], v[215:216]
	v_fma_f64 v[221:222], -v[215:216], v[219:220], 1.0
	v_fma_f64 v[219:220], v[219:220], v[221:222], v[219:220]
	v_fma_f64 v[221:222], -v[215:216], v[219:220], 1.0
	v_fma_f64 v[219:220], v[219:220], v[221:222], v[219:220]
	v_div_scale_f64 v[221:222], vcc_lo, 1.0, v[213:214], 1.0
	v_mul_f64 v[223:224], v[221:222], v[219:220]
	v_fma_f64 v[215:216], -v[215:216], v[223:224], v[221:222]
	v_div_fmas_f64 v[215:216], v[215:216], v[219:220], v[223:224]
	v_div_fixup_f64 v[219:220], v[215:216], v[213:214], 1.0
                                        ; implicit-def: $vgpr213_vgpr214
	v_mul_f64 v[217:218], v[217:218], v[219:220]
	v_xor_b32_e32 v220, 0x80000000, v220
.LBB111_23:
	s_andn2_saveexec_b32 s1, s1
	s_cbranch_execz .LBB111_25
; %bb.24:
	v_div_scale_f64 v[217:218], null, v[213:214], v[213:214], v[215:216]
	v_div_scale_f64 v[223:224], vcc_lo, v[215:216], v[213:214], v[215:216]
	v_rcp_f64_e32 v[219:220], v[217:218]
	v_fma_f64 v[221:222], -v[217:218], v[219:220], 1.0
	v_fma_f64 v[219:220], v[219:220], v[221:222], v[219:220]
	v_fma_f64 v[221:222], -v[217:218], v[219:220], 1.0
	v_fma_f64 v[219:220], v[219:220], v[221:222], v[219:220]
	v_mul_f64 v[221:222], v[223:224], v[219:220]
	v_fma_f64 v[217:218], -v[217:218], v[221:222], v[223:224]
	v_div_fmas_f64 v[217:218], v[217:218], v[219:220], v[221:222]
	v_div_fixup_f64 v[219:220], v[217:218], v[213:214], v[215:216]
	v_fma_f64 v[213:214], v[215:216], v[219:220], v[213:214]
	v_div_scale_f64 v[215:216], null, v[213:214], v[213:214], 1.0
	v_rcp_f64_e32 v[217:218], v[215:216]
	v_fma_f64 v[221:222], -v[215:216], v[217:218], 1.0
	v_fma_f64 v[217:218], v[217:218], v[221:222], v[217:218]
	v_fma_f64 v[221:222], -v[215:216], v[217:218], 1.0
	v_fma_f64 v[217:218], v[217:218], v[221:222], v[217:218]
	v_div_scale_f64 v[221:222], vcc_lo, 1.0, v[213:214], 1.0
	v_mul_f64 v[223:224], v[221:222], v[217:218]
	v_fma_f64 v[215:216], -v[215:216], v[223:224], v[221:222]
	v_div_fmas_f64 v[215:216], v[215:216], v[217:218], v[223:224]
	v_div_fixup_f64 v[217:218], v[215:216], v[213:214], 1.0
	v_mul_f64 v[219:220], v[219:220], -v[217:218]
.LBB111_25:
	s_or_b32 exec_lo, exec_lo, s1
	ds_write2_b64 v255, v[217:218], v[219:220] offset1:1
.LBB111_26:
	s_or_b32 exec_lo, exec_lo, s2
	s_waitcnt lgkmcnt(0)
	s_barrier
	buffer_gl0_inv
	ds_read2_b64 v[203:206], v255 offset1:1
	s_mov_b32 s1, exec_lo
	s_waitcnt lgkmcnt(0)
	buffer_store_dword v203, off, s[16:19], 0 offset:560 ; 4-byte Folded Spill
	buffer_store_dword v204, off, s[16:19], 0 offset:564 ; 4-byte Folded Spill
	buffer_store_dword v205, off, s[16:19], 0 offset:568 ; 4-byte Folded Spill
	buffer_store_dword v206, off, s[16:19], 0 offset:572 ; 4-byte Folded Spill
	v_cmpx_lt_u32_e32 2, v0
	s_cbranch_execz .LBB111_28
; %bb.27:
	s_clause 0x7
	buffer_load_dword v223, off, s[16:19], 0 offset:48
	buffer_load_dword v224, off, s[16:19], 0 offset:52
	;; [unrolled: 1-line block ×8, first 2 shown]
	s_waitcnt vmcnt(2)
	v_mul_f64 v[215:216], v[203:204], v[225:226]
	s_waitcnt vmcnt(0)
	v_mul_f64 v[213:214], v[205:206], v[225:226]
	v_fma_f64 v[225:226], v[205:206], v[223:224], v[215:216]
	ds_read2_b64 v[215:218], v253 offset0:6 offset1:7
	v_fma_f64 v[213:214], v[203:204], v[223:224], -v[213:214]
	s_clause 0x3
	buffer_load_dword v221, off, s[16:19], 0 offset:32
	buffer_load_dword v222, off, s[16:19], 0 offset:36
	;; [unrolled: 1-line block ×4, first 2 shown]
	s_waitcnt lgkmcnt(0)
	v_mul_f64 v[219:220], v[217:218], v[225:226]
	v_fma_f64 v[219:220], v[215:216], v[213:214], -v[219:220]
	v_mul_f64 v[215:216], v[215:216], v[225:226]
	v_fma_f64 v[215:216], v[217:218], v[213:214], v[215:216]
	s_waitcnt vmcnt(2)
	v_add_f64 v[221:222], v[221:222], -v[219:220]
	s_waitcnt vmcnt(0)
	v_add_f64 v[223:224], v[223:224], -v[215:216]
	buffer_store_dword v221, off, s[16:19], 0 offset:32 ; 4-byte Folded Spill
	buffer_store_dword v222, off, s[16:19], 0 offset:36 ; 4-byte Folded Spill
	;; [unrolled: 1-line block ×4, first 2 shown]
	ds_read2_b64 v[215:218], v253 offset0:8 offset1:9
	s_clause 0x3
	buffer_load_dword v221, off, s[16:19], 0 offset:16
	buffer_load_dword v222, off, s[16:19], 0 offset:20
	;; [unrolled: 1-line block ×4, first 2 shown]
	s_waitcnt lgkmcnt(0)
	v_mul_f64 v[219:220], v[217:218], v[225:226]
	v_fma_f64 v[219:220], v[215:216], v[213:214], -v[219:220]
	v_mul_f64 v[215:216], v[215:216], v[225:226]
	v_fma_f64 v[215:216], v[217:218], v[213:214], v[215:216]
	s_waitcnt vmcnt(2)
	v_add_f64 v[221:222], v[221:222], -v[219:220]
	s_waitcnt vmcnt(0)
	v_add_f64 v[223:224], v[223:224], -v[215:216]
	buffer_store_dword v221, off, s[16:19], 0 offset:16 ; 4-byte Folded Spill
	buffer_store_dword v222, off, s[16:19], 0 offset:20 ; 4-byte Folded Spill
	buffer_store_dword v223, off, s[16:19], 0 offset:24 ; 4-byte Folded Spill
	buffer_store_dword v224, off, s[16:19], 0 offset:28 ; 4-byte Folded Spill
	ds_read2_b64 v[215:218], v253 offset0:10 offset1:11
	v_mov_b32_e32 v224, v214
	v_mov_b32_e32 v223, v213
	s_waitcnt lgkmcnt(0)
	v_mul_f64 v[219:220], v[217:218], v[225:226]
	v_fma_f64 v[219:220], v[215:216], v[213:214], -v[219:220]
	v_mul_f64 v[215:216], v[215:216], v[225:226]
	v_add_f64 v[193:194], v[193:194], -v[219:220]
	v_fma_f64 v[215:216], v[217:218], v[213:214], v[215:216]
	v_add_f64 v[195:196], v[195:196], -v[215:216]
	ds_read2_b64 v[215:218], v253 offset0:12 offset1:13
	s_clause 0x3
	buffer_load_dword v201, off, s[16:19], 0
	buffer_load_dword v202, off, s[16:19], 0 offset:4
	buffer_load_dword v203, off, s[16:19], 0 offset:8
	;; [unrolled: 1-line block ×3, first 2 shown]
	s_waitcnt lgkmcnt(0)
	v_mul_f64 v[219:220], v[217:218], v[225:226]
	v_fma_f64 v[219:220], v[215:216], v[213:214], -v[219:220]
	v_mul_f64 v[215:216], v[215:216], v[225:226]
	v_fma_f64 v[215:216], v[217:218], v[213:214], v[215:216]
	s_waitcnt vmcnt(2)
	v_add_f64 v[201:202], v[201:202], -v[219:220]
	s_waitcnt vmcnt(0)
	v_add_f64 v[203:204], v[203:204], -v[215:216]
	buffer_store_dword v201, off, s[16:19], 0 ; 4-byte Folded Spill
	buffer_store_dword v202, off, s[16:19], 0 offset:4 ; 4-byte Folded Spill
	buffer_store_dword v203, off, s[16:19], 0 offset:8 ; 4-byte Folded Spill
	;; [unrolled: 1-line block ×3, first 2 shown]
	ds_read2_b64 v[215:218], v253 offset0:14 offset1:15
	s_waitcnt lgkmcnt(0)
	v_mul_f64 v[219:220], v[217:218], v[225:226]
	v_fma_f64 v[219:220], v[215:216], v[213:214], -v[219:220]
	v_mul_f64 v[215:216], v[215:216], v[225:226]
	v_add_f64 v[209:210], v[209:210], -v[219:220]
	v_fma_f64 v[215:216], v[217:218], v[213:214], v[215:216]
	v_add_f64 v[211:212], v[211:212], -v[215:216]
	ds_read2_b64 v[215:218], v253 offset0:16 offset1:17
	s_waitcnt lgkmcnt(0)
	v_mul_f64 v[219:220], v[217:218], v[225:226]
	v_fma_f64 v[219:220], v[215:216], v[213:214], -v[219:220]
	v_mul_f64 v[215:216], v[215:216], v[225:226]
	v_add_f64 v[189:190], v[189:190], -v[219:220]
	v_fma_f64 v[215:216], v[217:218], v[213:214], v[215:216]
	v_add_f64 v[191:192], v[191:192], -v[215:216]
	;; [unrolled: 8-line block ×48, first 2 shown]
	ds_read2_b64 v[215:218], v253 offset0:110 offset1:111
	s_waitcnt lgkmcnt(0)
	v_mul_f64 v[219:220], v[217:218], v[225:226]
	v_fma_f64 v[219:220], v[215:216], v[213:214], -v[219:220]
	v_mul_f64 v[215:216], v[215:216], v[225:226]
	buffer_store_dword v223, off, s[16:19], 0 offset:48 ; 4-byte Folded Spill
	buffer_store_dword v224, off, s[16:19], 0 offset:52 ; 4-byte Folded Spill
	;; [unrolled: 1-line block ×4, first 2 shown]
	v_add_f64 v[1:2], v[1:2], -v[219:220]
	v_fma_f64 v[215:216], v[217:218], v[213:214], v[215:216]
	v_add_f64 v[3:4], v[3:4], -v[215:216]
.LBB111_28:
	s_or_b32 exec_lo, exec_lo, s1
	s_mov_b32 s2, exec_lo
	s_waitcnt_vscnt null, 0x0
	s_barrier
	buffer_gl0_inv
	v_cmpx_eq_u32_e32 3, v0
	s_cbranch_execz .LBB111_35
; %bb.29:
	s_clause 0x3
	buffer_load_dword v213, off, s[16:19], 0 offset:32
	buffer_load_dword v214, off, s[16:19], 0 offset:36
	;; [unrolled: 1-line block ×4, first 2 shown]
	s_waitcnt vmcnt(0)
	ds_write2_b64 v255, v[213:214], v[215:216] offset1:1
	s_clause 0x3
	buffer_load_dword v213, off, s[16:19], 0 offset:16
	buffer_load_dword v214, off, s[16:19], 0 offset:20
	;; [unrolled: 1-line block ×4, first 2 shown]
	s_waitcnt vmcnt(0)
	ds_write2_b64 v253, v[213:214], v[215:216] offset0:8 offset1:9
	ds_write2_b64 v253, v[193:194], v[195:196] offset0:10 offset1:11
	s_clause 0x3
	buffer_load_dword v201, off, s[16:19], 0
	buffer_load_dword v202, off, s[16:19], 0 offset:4
	buffer_load_dword v203, off, s[16:19], 0 offset:8
	;; [unrolled: 1-line block ×3, first 2 shown]
	s_waitcnt vmcnt(0)
	ds_write2_b64 v253, v[201:202], v[203:204] offset0:12 offset1:13
	ds_write2_b64 v253, v[209:210], v[211:212] offset0:14 offset1:15
	;; [unrolled: 1-line block ×50, first 2 shown]
	ds_read2_b64 v[213:216], v255 offset1:1
	s_waitcnt lgkmcnt(0)
	v_cmp_neq_f64_e32 vcc_lo, 0, v[213:214]
	v_cmp_neq_f64_e64 s1, 0, v[215:216]
	s_or_b32 s1, vcc_lo, s1
	s_and_b32 exec_lo, exec_lo, s1
	s_cbranch_execz .LBB111_35
; %bb.30:
	v_cmp_ngt_f64_e64 s1, |v[213:214]|, |v[215:216]|
                                        ; implicit-def: $vgpr217_vgpr218
	s_and_saveexec_b32 s3, s1
	s_xor_b32 s1, exec_lo, s3
                                        ; implicit-def: $vgpr219_vgpr220
	s_cbranch_execz .LBB111_32
; %bb.31:
	v_div_scale_f64 v[217:218], null, v[215:216], v[215:216], v[213:214]
	v_div_scale_f64 v[223:224], vcc_lo, v[213:214], v[215:216], v[213:214]
	v_rcp_f64_e32 v[219:220], v[217:218]
	v_fma_f64 v[221:222], -v[217:218], v[219:220], 1.0
	v_fma_f64 v[219:220], v[219:220], v[221:222], v[219:220]
	v_fma_f64 v[221:222], -v[217:218], v[219:220], 1.0
	v_fma_f64 v[219:220], v[219:220], v[221:222], v[219:220]
	v_mul_f64 v[221:222], v[223:224], v[219:220]
	v_fma_f64 v[217:218], -v[217:218], v[221:222], v[223:224]
	v_div_fmas_f64 v[217:218], v[217:218], v[219:220], v[221:222]
	v_div_fixup_f64 v[217:218], v[217:218], v[215:216], v[213:214]
	v_fma_f64 v[213:214], v[213:214], v[217:218], v[215:216]
	v_div_scale_f64 v[215:216], null, v[213:214], v[213:214], 1.0
	v_rcp_f64_e32 v[219:220], v[215:216]
	v_fma_f64 v[221:222], -v[215:216], v[219:220], 1.0
	v_fma_f64 v[219:220], v[219:220], v[221:222], v[219:220]
	v_fma_f64 v[221:222], -v[215:216], v[219:220], 1.0
	v_fma_f64 v[219:220], v[219:220], v[221:222], v[219:220]
	v_div_scale_f64 v[221:222], vcc_lo, 1.0, v[213:214], 1.0
	v_mul_f64 v[223:224], v[221:222], v[219:220]
	v_fma_f64 v[215:216], -v[215:216], v[223:224], v[221:222]
	v_div_fmas_f64 v[215:216], v[215:216], v[219:220], v[223:224]
	v_div_fixup_f64 v[219:220], v[215:216], v[213:214], 1.0
                                        ; implicit-def: $vgpr213_vgpr214
	v_mul_f64 v[217:218], v[217:218], v[219:220]
	v_xor_b32_e32 v220, 0x80000000, v220
.LBB111_32:
	s_andn2_saveexec_b32 s1, s1
	s_cbranch_execz .LBB111_34
; %bb.33:
	v_div_scale_f64 v[217:218], null, v[213:214], v[213:214], v[215:216]
	v_div_scale_f64 v[223:224], vcc_lo, v[215:216], v[213:214], v[215:216]
	v_rcp_f64_e32 v[219:220], v[217:218]
	v_fma_f64 v[221:222], -v[217:218], v[219:220], 1.0
	v_fma_f64 v[219:220], v[219:220], v[221:222], v[219:220]
	v_fma_f64 v[221:222], -v[217:218], v[219:220], 1.0
	v_fma_f64 v[219:220], v[219:220], v[221:222], v[219:220]
	v_mul_f64 v[221:222], v[223:224], v[219:220]
	v_fma_f64 v[217:218], -v[217:218], v[221:222], v[223:224]
	v_div_fmas_f64 v[217:218], v[217:218], v[219:220], v[221:222]
	v_div_fixup_f64 v[219:220], v[217:218], v[213:214], v[215:216]
	v_fma_f64 v[213:214], v[215:216], v[219:220], v[213:214]
	v_div_scale_f64 v[215:216], null, v[213:214], v[213:214], 1.0
	v_rcp_f64_e32 v[217:218], v[215:216]
	v_fma_f64 v[221:222], -v[215:216], v[217:218], 1.0
	v_fma_f64 v[217:218], v[217:218], v[221:222], v[217:218]
	v_fma_f64 v[221:222], -v[215:216], v[217:218], 1.0
	v_fma_f64 v[217:218], v[217:218], v[221:222], v[217:218]
	v_div_scale_f64 v[221:222], vcc_lo, 1.0, v[213:214], 1.0
	v_mul_f64 v[223:224], v[221:222], v[217:218]
	v_fma_f64 v[215:216], -v[215:216], v[223:224], v[221:222]
	v_div_fmas_f64 v[215:216], v[215:216], v[217:218], v[223:224]
	v_div_fixup_f64 v[217:218], v[215:216], v[213:214], 1.0
	v_mul_f64 v[219:220], v[219:220], -v[217:218]
.LBB111_34:
	s_or_b32 exec_lo, exec_lo, s1
	ds_write2_b64 v255, v[217:218], v[219:220] offset1:1
.LBB111_35:
	s_or_b32 exec_lo, exec_lo, s2
	s_waitcnt lgkmcnt(0)
	s_barrier
	buffer_gl0_inv
	ds_read2_b64 v[203:206], v255 offset1:1
	s_mov_b32 s1, exec_lo
	s_waitcnt lgkmcnt(0)
	buffer_store_dword v203, off, s[16:19], 0 offset:576 ; 4-byte Folded Spill
	buffer_store_dword v204, off, s[16:19], 0 offset:580 ; 4-byte Folded Spill
	;; [unrolled: 1-line block ×4, first 2 shown]
	v_cmpx_lt_u32_e32 3, v0
	s_cbranch_execz .LBB111_37
; %bb.36:
	s_clause 0x7
	buffer_load_dword v225, off, s[16:19], 0 offset:32
	buffer_load_dword v226, off, s[16:19], 0 offset:36
	;; [unrolled: 1-line block ×8, first 2 shown]
	v_mov_b32_e32 v222, v212
	v_mov_b32_e32 v221, v211
	;; [unrolled: 1-line block ×4, first 2 shown]
	ds_read2_b64 v[215:218], v253 offset0:8 offset1:9
	s_waitcnt vmcnt(2)
	v_mul_f64 v[211:212], v[203:204], v[227:228]
	s_waitcnt vmcnt(0)
	v_mul_f64 v[213:214], v[205:206], v[227:228]
	v_fma_f64 v[227:228], v[205:206], v[225:226], v[211:212]
	v_fma_f64 v[213:214], v[203:204], v[225:226], -v[213:214]
	s_clause 0x3
	buffer_load_dword v223, off, s[16:19], 0 offset:16
	buffer_load_dword v224, off, s[16:19], 0 offset:20
	;; [unrolled: 1-line block ×4, first 2 shown]
	s_waitcnt lgkmcnt(0)
	v_mul_f64 v[209:210], v[217:218], v[227:228]
	v_fma_f64 v[209:210], v[215:216], v[213:214], -v[209:210]
	v_mul_f64 v[215:216], v[215:216], v[227:228]
	v_fma_f64 v[215:216], v[217:218], v[213:214], v[215:216]
	s_waitcnt vmcnt(2)
	v_add_f64 v[223:224], v[223:224], -v[209:210]
	s_waitcnt vmcnt(0)
	v_add_f64 v[225:226], v[225:226], -v[215:216]
	buffer_store_dword v223, off, s[16:19], 0 offset:16 ; 4-byte Folded Spill
	buffer_store_dword v224, off, s[16:19], 0 offset:20 ; 4-byte Folded Spill
	buffer_store_dword v225, off, s[16:19], 0 offset:24 ; 4-byte Folded Spill
	buffer_store_dword v226, off, s[16:19], 0 offset:28 ; 4-byte Folded Spill
	ds_read2_b64 v[215:218], v253 offset0:10 offset1:11
	v_mov_b32_e32 v226, v214
	v_mov_b32_e32 v225, v213
	s_waitcnt lgkmcnt(0)
	v_mul_f64 v[209:210], v[217:218], v[227:228]
	v_fma_f64 v[209:210], v[215:216], v[213:214], -v[209:210]
	v_mul_f64 v[215:216], v[215:216], v[227:228]
	v_add_f64 v[193:194], v[193:194], -v[209:210]
	v_fma_f64 v[215:216], v[217:218], v[213:214], v[215:216]
	v_add_f64 v[195:196], v[195:196], -v[215:216]
	ds_read2_b64 v[215:218], v253 offset0:12 offset1:13
	s_clause 0x3
	buffer_load_dword v201, off, s[16:19], 0
	buffer_load_dword v202, off, s[16:19], 0 offset:4
	buffer_load_dword v203, off, s[16:19], 0 offset:8
	;; [unrolled: 1-line block ×3, first 2 shown]
	s_waitcnt lgkmcnt(0)
	v_mul_f64 v[209:210], v[217:218], v[227:228]
	v_fma_f64 v[209:210], v[215:216], v[213:214], -v[209:210]
	v_mul_f64 v[215:216], v[215:216], v[227:228]
	v_fma_f64 v[215:216], v[217:218], v[213:214], v[215:216]
	s_waitcnt vmcnt(2)
	v_add_f64 v[201:202], v[201:202], -v[209:210]
	s_waitcnt vmcnt(0)
	v_add_f64 v[203:204], v[203:204], -v[215:216]
	buffer_store_dword v201, off, s[16:19], 0 ; 4-byte Folded Spill
	buffer_store_dword v202, off, s[16:19], 0 offset:4 ; 4-byte Folded Spill
	buffer_store_dword v203, off, s[16:19], 0 offset:8 ; 4-byte Folded Spill
	;; [unrolled: 1-line block ×3, first 2 shown]
	ds_read2_b64 v[215:218], v253 offset0:14 offset1:15
	s_waitcnt lgkmcnt(0)
	v_mul_f64 v[209:210], v[217:218], v[227:228]
	v_fma_f64 v[209:210], v[215:216], v[213:214], -v[209:210]
	v_mul_f64 v[215:216], v[215:216], v[227:228]
	v_add_f64 v[219:220], v[219:220], -v[209:210]
	v_fma_f64 v[215:216], v[217:218], v[213:214], v[215:216]
	v_add_f64 v[221:222], v[221:222], -v[215:216]
	ds_read2_b64 v[215:218], v253 offset0:16 offset1:17
	s_waitcnt lgkmcnt(0)
	v_mul_f64 v[209:210], v[217:218], v[227:228]
	v_fma_f64 v[209:210], v[215:216], v[213:214], -v[209:210]
	v_mul_f64 v[215:216], v[215:216], v[227:228]
	v_add_f64 v[189:190], v[189:190], -v[209:210]
	v_fma_f64 v[215:216], v[217:218], v[213:214], v[215:216]
	v_add_f64 v[191:192], v[191:192], -v[215:216]
	ds_read2_b64 v[215:218], v253 offset0:18 offset1:19
	s_waitcnt lgkmcnt(0)
	v_mul_f64 v[209:210], v[217:218], v[227:228]
	v_fma_f64 v[209:210], v[215:216], v[213:214], -v[209:210]
	v_mul_f64 v[215:216], v[215:216], v[227:228]
	v_add_f64 v[185:186], v[185:186], -v[209:210]
	v_fma_f64 v[215:216], v[217:218], v[213:214], v[215:216]
	v_add_f64 v[187:188], v[187:188], -v[215:216]
	ds_read2_b64 v[215:218], v253 offset0:20 offset1:21
	s_waitcnt lgkmcnt(0)
	v_mul_f64 v[209:210], v[217:218], v[227:228]
	v_fma_f64 v[209:210], v[215:216], v[213:214], -v[209:210]
	v_mul_f64 v[215:216], v[215:216], v[227:228]
	v_add_f64 v[181:182], v[181:182], -v[209:210]
	v_fma_f64 v[215:216], v[217:218], v[213:214], v[215:216]
	v_add_f64 v[183:184], v[183:184], -v[215:216]
	ds_read2_b64 v[215:218], v253 offset0:22 offset1:23
	s_waitcnt lgkmcnt(0)
	v_mul_f64 v[209:210], v[217:218], v[227:228]
	v_fma_f64 v[209:210], v[215:216], v[213:214], -v[209:210]
	v_mul_f64 v[215:216], v[215:216], v[227:228]
	v_add_f64 v[177:178], v[177:178], -v[209:210]
	v_fma_f64 v[215:216], v[217:218], v[213:214], v[215:216]
	v_add_f64 v[179:180], v[179:180], -v[215:216]
	ds_read2_b64 v[215:218], v253 offset0:24 offset1:25
	s_waitcnt lgkmcnt(0)
	v_mul_f64 v[209:210], v[217:218], v[227:228]
	v_fma_f64 v[209:210], v[215:216], v[213:214], -v[209:210]
	v_mul_f64 v[215:216], v[215:216], v[227:228]
	v_add_f64 v[173:174], v[173:174], -v[209:210]
	v_fma_f64 v[215:216], v[217:218], v[213:214], v[215:216]
	v_add_f64 v[175:176], v[175:176], -v[215:216]
	ds_read2_b64 v[215:218], v253 offset0:26 offset1:27
	s_waitcnt lgkmcnt(0)
	v_mul_f64 v[209:210], v[217:218], v[227:228]
	v_fma_f64 v[209:210], v[215:216], v[213:214], -v[209:210]
	v_mul_f64 v[215:216], v[215:216], v[227:228]
	v_add_f64 v[169:170], v[169:170], -v[209:210]
	v_fma_f64 v[215:216], v[217:218], v[213:214], v[215:216]
	v_add_f64 v[171:172], v[171:172], -v[215:216]
	ds_read2_b64 v[215:218], v253 offset0:28 offset1:29
	s_waitcnt lgkmcnt(0)
	v_mul_f64 v[209:210], v[217:218], v[227:228]
	v_fma_f64 v[209:210], v[215:216], v[213:214], -v[209:210]
	v_mul_f64 v[215:216], v[215:216], v[227:228]
	v_add_f64 v[165:166], v[165:166], -v[209:210]
	v_fma_f64 v[215:216], v[217:218], v[213:214], v[215:216]
	v_add_f64 v[167:168], v[167:168], -v[215:216]
	ds_read2_b64 v[215:218], v253 offset0:30 offset1:31
	s_waitcnt lgkmcnt(0)
	v_mul_f64 v[209:210], v[217:218], v[227:228]
	v_fma_f64 v[209:210], v[215:216], v[213:214], -v[209:210]
	v_mul_f64 v[215:216], v[215:216], v[227:228]
	v_add_f64 v[161:162], v[161:162], -v[209:210]
	v_fma_f64 v[215:216], v[217:218], v[213:214], v[215:216]
	v_add_f64 v[163:164], v[163:164], -v[215:216]
	ds_read2_b64 v[215:218], v253 offset0:32 offset1:33
	s_waitcnt lgkmcnt(0)
	v_mul_f64 v[209:210], v[217:218], v[227:228]
	v_fma_f64 v[209:210], v[215:216], v[213:214], -v[209:210]
	v_mul_f64 v[215:216], v[215:216], v[227:228]
	v_add_f64 v[157:158], v[157:158], -v[209:210]
	v_fma_f64 v[215:216], v[217:218], v[213:214], v[215:216]
	v_add_f64 v[159:160], v[159:160], -v[215:216]
	ds_read2_b64 v[215:218], v253 offset0:34 offset1:35
	s_waitcnt lgkmcnt(0)
	v_mul_f64 v[209:210], v[217:218], v[227:228]
	v_fma_f64 v[209:210], v[215:216], v[213:214], -v[209:210]
	v_mul_f64 v[215:216], v[215:216], v[227:228]
	v_add_f64 v[153:154], v[153:154], -v[209:210]
	v_fma_f64 v[215:216], v[217:218], v[213:214], v[215:216]
	v_add_f64 v[155:156], v[155:156], -v[215:216]
	ds_read2_b64 v[215:218], v253 offset0:36 offset1:37
	s_waitcnt lgkmcnt(0)
	v_mul_f64 v[209:210], v[217:218], v[227:228]
	v_fma_f64 v[209:210], v[215:216], v[213:214], -v[209:210]
	v_mul_f64 v[215:216], v[215:216], v[227:228]
	v_add_f64 v[149:150], v[149:150], -v[209:210]
	v_fma_f64 v[215:216], v[217:218], v[213:214], v[215:216]
	v_add_f64 v[151:152], v[151:152], -v[215:216]
	ds_read2_b64 v[215:218], v253 offset0:38 offset1:39
	s_waitcnt lgkmcnt(0)
	v_mul_f64 v[209:210], v[217:218], v[227:228]
	v_fma_f64 v[209:210], v[215:216], v[213:214], -v[209:210]
	v_mul_f64 v[215:216], v[215:216], v[227:228]
	v_add_f64 v[145:146], v[145:146], -v[209:210]
	v_fma_f64 v[215:216], v[217:218], v[213:214], v[215:216]
	v_add_f64 v[147:148], v[147:148], -v[215:216]
	ds_read2_b64 v[215:218], v253 offset0:40 offset1:41
	s_waitcnt lgkmcnt(0)
	v_mul_f64 v[209:210], v[217:218], v[227:228]
	v_fma_f64 v[209:210], v[215:216], v[213:214], -v[209:210]
	v_mul_f64 v[215:216], v[215:216], v[227:228]
	v_add_f64 v[141:142], v[141:142], -v[209:210]
	v_fma_f64 v[215:216], v[217:218], v[213:214], v[215:216]
	v_add_f64 v[143:144], v[143:144], -v[215:216]
	ds_read2_b64 v[215:218], v253 offset0:42 offset1:43
	s_waitcnt lgkmcnt(0)
	v_mul_f64 v[209:210], v[217:218], v[227:228]
	v_fma_f64 v[209:210], v[215:216], v[213:214], -v[209:210]
	v_mul_f64 v[215:216], v[215:216], v[227:228]
	v_add_f64 v[137:138], v[137:138], -v[209:210]
	v_fma_f64 v[215:216], v[217:218], v[213:214], v[215:216]
	v_add_f64 v[139:140], v[139:140], -v[215:216]
	ds_read2_b64 v[215:218], v253 offset0:44 offset1:45
	s_waitcnt lgkmcnt(0)
	v_mul_f64 v[209:210], v[217:218], v[227:228]
	v_fma_f64 v[209:210], v[215:216], v[213:214], -v[209:210]
	v_mul_f64 v[215:216], v[215:216], v[227:228]
	v_add_f64 v[133:134], v[133:134], -v[209:210]
	v_fma_f64 v[215:216], v[217:218], v[213:214], v[215:216]
	v_add_f64 v[135:136], v[135:136], -v[215:216]
	ds_read2_b64 v[215:218], v253 offset0:46 offset1:47
	s_waitcnt lgkmcnt(0)
	v_mul_f64 v[209:210], v[217:218], v[227:228]
	v_fma_f64 v[209:210], v[215:216], v[213:214], -v[209:210]
	v_mul_f64 v[215:216], v[215:216], v[227:228]
	v_add_f64 v[129:130], v[129:130], -v[209:210]
	v_fma_f64 v[215:216], v[217:218], v[213:214], v[215:216]
	v_add_f64 v[131:132], v[131:132], -v[215:216]
	ds_read2_b64 v[215:218], v253 offset0:48 offset1:49
	s_waitcnt lgkmcnt(0)
	v_mul_f64 v[209:210], v[217:218], v[227:228]
	v_fma_f64 v[209:210], v[215:216], v[213:214], -v[209:210]
	v_mul_f64 v[215:216], v[215:216], v[227:228]
	v_add_f64 v[125:126], v[125:126], -v[209:210]
	v_fma_f64 v[215:216], v[217:218], v[213:214], v[215:216]
	v_add_f64 v[127:128], v[127:128], -v[215:216]
	ds_read2_b64 v[215:218], v253 offset0:50 offset1:51
	s_waitcnt lgkmcnt(0)
	v_mul_f64 v[209:210], v[217:218], v[227:228]
	v_fma_f64 v[209:210], v[215:216], v[213:214], -v[209:210]
	v_mul_f64 v[215:216], v[215:216], v[227:228]
	v_add_f64 v[121:122], v[121:122], -v[209:210]
	v_fma_f64 v[215:216], v[217:218], v[213:214], v[215:216]
	v_add_f64 v[123:124], v[123:124], -v[215:216]
	ds_read2_b64 v[215:218], v253 offset0:52 offset1:53
	s_waitcnt lgkmcnt(0)
	v_mul_f64 v[209:210], v[217:218], v[227:228]
	v_fma_f64 v[209:210], v[215:216], v[213:214], -v[209:210]
	v_mul_f64 v[215:216], v[215:216], v[227:228]
	v_add_f64 v[117:118], v[117:118], -v[209:210]
	v_fma_f64 v[215:216], v[217:218], v[213:214], v[215:216]
	v_add_f64 v[119:120], v[119:120], -v[215:216]
	ds_read2_b64 v[215:218], v253 offset0:54 offset1:55
	s_waitcnt lgkmcnt(0)
	v_mul_f64 v[209:210], v[217:218], v[227:228]
	v_fma_f64 v[209:210], v[215:216], v[213:214], -v[209:210]
	v_mul_f64 v[215:216], v[215:216], v[227:228]
	v_add_f64 v[113:114], v[113:114], -v[209:210]
	v_fma_f64 v[215:216], v[217:218], v[213:214], v[215:216]
	v_add_f64 v[115:116], v[115:116], -v[215:216]
	ds_read2_b64 v[215:218], v253 offset0:56 offset1:57
	s_waitcnt lgkmcnt(0)
	v_mul_f64 v[209:210], v[217:218], v[227:228]
	v_fma_f64 v[209:210], v[215:216], v[213:214], -v[209:210]
	v_mul_f64 v[215:216], v[215:216], v[227:228]
	v_add_f64 v[109:110], v[109:110], -v[209:210]
	v_fma_f64 v[215:216], v[217:218], v[213:214], v[215:216]
	v_add_f64 v[111:112], v[111:112], -v[215:216]
	ds_read2_b64 v[215:218], v253 offset0:58 offset1:59
	s_waitcnt lgkmcnt(0)
	v_mul_f64 v[209:210], v[217:218], v[227:228]
	v_fma_f64 v[209:210], v[215:216], v[213:214], -v[209:210]
	v_mul_f64 v[215:216], v[215:216], v[227:228]
	v_add_f64 v[105:106], v[105:106], -v[209:210]
	v_fma_f64 v[215:216], v[217:218], v[213:214], v[215:216]
	v_add_f64 v[107:108], v[107:108], -v[215:216]
	ds_read2_b64 v[215:218], v253 offset0:60 offset1:61
	s_waitcnt lgkmcnt(0)
	v_mul_f64 v[209:210], v[217:218], v[227:228]
	v_fma_f64 v[209:210], v[215:216], v[213:214], -v[209:210]
	v_mul_f64 v[215:216], v[215:216], v[227:228]
	v_add_f64 v[101:102], v[101:102], -v[209:210]
	v_fma_f64 v[215:216], v[217:218], v[213:214], v[215:216]
	v_add_f64 v[103:104], v[103:104], -v[215:216]
	ds_read2_b64 v[215:218], v253 offset0:62 offset1:63
	s_waitcnt lgkmcnt(0)
	v_mul_f64 v[209:210], v[217:218], v[227:228]
	v_fma_f64 v[209:210], v[215:216], v[213:214], -v[209:210]
	v_mul_f64 v[215:216], v[215:216], v[227:228]
	v_add_f64 v[97:98], v[97:98], -v[209:210]
	v_fma_f64 v[215:216], v[217:218], v[213:214], v[215:216]
	v_add_f64 v[99:100], v[99:100], -v[215:216]
	ds_read2_b64 v[215:218], v253 offset0:64 offset1:65
	s_waitcnt lgkmcnt(0)
	v_mul_f64 v[209:210], v[217:218], v[227:228]
	v_fma_f64 v[209:210], v[215:216], v[213:214], -v[209:210]
	v_mul_f64 v[215:216], v[215:216], v[227:228]
	v_add_f64 v[93:94], v[93:94], -v[209:210]
	v_fma_f64 v[215:216], v[217:218], v[213:214], v[215:216]
	v_add_f64 v[95:96], v[95:96], -v[215:216]
	ds_read2_b64 v[215:218], v253 offset0:66 offset1:67
	s_waitcnt lgkmcnt(0)
	v_mul_f64 v[209:210], v[217:218], v[227:228]
	v_fma_f64 v[209:210], v[215:216], v[213:214], -v[209:210]
	v_mul_f64 v[215:216], v[215:216], v[227:228]
	v_add_f64 v[89:90], v[89:90], -v[209:210]
	v_fma_f64 v[215:216], v[217:218], v[213:214], v[215:216]
	v_add_f64 v[91:92], v[91:92], -v[215:216]
	ds_read2_b64 v[215:218], v253 offset0:68 offset1:69
	s_waitcnt lgkmcnt(0)
	v_mul_f64 v[209:210], v[217:218], v[227:228]
	v_fma_f64 v[209:210], v[215:216], v[213:214], -v[209:210]
	v_mul_f64 v[215:216], v[215:216], v[227:228]
	v_add_f64 v[85:86], v[85:86], -v[209:210]
	v_fma_f64 v[215:216], v[217:218], v[213:214], v[215:216]
	v_add_f64 v[87:88], v[87:88], -v[215:216]
	ds_read2_b64 v[215:218], v253 offset0:70 offset1:71
	s_waitcnt lgkmcnt(0)
	v_mul_f64 v[209:210], v[217:218], v[227:228]
	v_fma_f64 v[209:210], v[215:216], v[213:214], -v[209:210]
	v_mul_f64 v[215:216], v[215:216], v[227:228]
	v_add_f64 v[81:82], v[81:82], -v[209:210]
	v_fma_f64 v[215:216], v[217:218], v[213:214], v[215:216]
	v_add_f64 v[83:84], v[83:84], -v[215:216]
	ds_read2_b64 v[215:218], v253 offset0:72 offset1:73
	s_waitcnt lgkmcnt(0)
	v_mul_f64 v[209:210], v[217:218], v[227:228]
	v_fma_f64 v[209:210], v[215:216], v[213:214], -v[209:210]
	v_mul_f64 v[215:216], v[215:216], v[227:228]
	v_add_f64 v[77:78], v[77:78], -v[209:210]
	v_fma_f64 v[215:216], v[217:218], v[213:214], v[215:216]
	v_add_f64 v[79:80], v[79:80], -v[215:216]
	ds_read2_b64 v[215:218], v253 offset0:74 offset1:75
	s_waitcnt lgkmcnt(0)
	v_mul_f64 v[209:210], v[217:218], v[227:228]
	v_fma_f64 v[209:210], v[215:216], v[213:214], -v[209:210]
	v_mul_f64 v[215:216], v[215:216], v[227:228]
	v_add_f64 v[73:74], v[73:74], -v[209:210]
	v_fma_f64 v[215:216], v[217:218], v[213:214], v[215:216]
	v_add_f64 v[75:76], v[75:76], -v[215:216]
	ds_read2_b64 v[215:218], v253 offset0:76 offset1:77
	s_waitcnt lgkmcnt(0)
	v_mul_f64 v[209:210], v[217:218], v[227:228]
	v_fma_f64 v[209:210], v[215:216], v[213:214], -v[209:210]
	v_mul_f64 v[215:216], v[215:216], v[227:228]
	v_add_f64 v[69:70], v[69:70], -v[209:210]
	v_fma_f64 v[215:216], v[217:218], v[213:214], v[215:216]
	v_add_f64 v[71:72], v[71:72], -v[215:216]
	ds_read2_b64 v[215:218], v253 offset0:78 offset1:79
	s_waitcnt lgkmcnt(0)
	v_mul_f64 v[209:210], v[217:218], v[227:228]
	v_fma_f64 v[209:210], v[215:216], v[213:214], -v[209:210]
	v_mul_f64 v[215:216], v[215:216], v[227:228]
	v_add_f64 v[65:66], v[65:66], -v[209:210]
	v_fma_f64 v[215:216], v[217:218], v[213:214], v[215:216]
	v_add_f64 v[67:68], v[67:68], -v[215:216]
	ds_read2_b64 v[215:218], v253 offset0:80 offset1:81
	s_waitcnt lgkmcnt(0)
	v_mul_f64 v[209:210], v[217:218], v[227:228]
	v_fma_f64 v[209:210], v[215:216], v[213:214], -v[209:210]
	v_mul_f64 v[215:216], v[215:216], v[227:228]
	v_add_f64 v[61:62], v[61:62], -v[209:210]
	v_fma_f64 v[215:216], v[217:218], v[213:214], v[215:216]
	v_add_f64 v[63:64], v[63:64], -v[215:216]
	ds_read2_b64 v[215:218], v253 offset0:82 offset1:83
	s_waitcnt lgkmcnt(0)
	v_mul_f64 v[209:210], v[217:218], v[227:228]
	v_fma_f64 v[209:210], v[215:216], v[213:214], -v[209:210]
	v_mul_f64 v[215:216], v[215:216], v[227:228]
	v_add_f64 v[57:58], v[57:58], -v[209:210]
	v_fma_f64 v[215:216], v[217:218], v[213:214], v[215:216]
	v_add_f64 v[59:60], v[59:60], -v[215:216]
	ds_read2_b64 v[215:218], v253 offset0:84 offset1:85
	s_waitcnt lgkmcnt(0)
	v_mul_f64 v[209:210], v[217:218], v[227:228]
	v_fma_f64 v[209:210], v[215:216], v[213:214], -v[209:210]
	v_mul_f64 v[215:216], v[215:216], v[227:228]
	v_add_f64 v[53:54], v[53:54], -v[209:210]
	v_fma_f64 v[215:216], v[217:218], v[213:214], v[215:216]
	v_add_f64 v[55:56], v[55:56], -v[215:216]
	ds_read2_b64 v[215:218], v253 offset0:86 offset1:87
	s_waitcnt lgkmcnt(0)
	v_mul_f64 v[209:210], v[217:218], v[227:228]
	v_fma_f64 v[209:210], v[215:216], v[213:214], -v[209:210]
	v_mul_f64 v[215:216], v[215:216], v[227:228]
	v_add_f64 v[49:50], v[49:50], -v[209:210]
	v_fma_f64 v[215:216], v[217:218], v[213:214], v[215:216]
	v_add_f64 v[51:52], v[51:52], -v[215:216]
	ds_read2_b64 v[215:218], v253 offset0:88 offset1:89
	s_waitcnt lgkmcnt(0)
	v_mul_f64 v[209:210], v[217:218], v[227:228]
	v_fma_f64 v[209:210], v[215:216], v[213:214], -v[209:210]
	v_mul_f64 v[215:216], v[215:216], v[227:228]
	v_add_f64 v[45:46], v[45:46], -v[209:210]
	v_fma_f64 v[215:216], v[217:218], v[213:214], v[215:216]
	v_add_f64 v[47:48], v[47:48], -v[215:216]
	ds_read2_b64 v[215:218], v253 offset0:90 offset1:91
	s_waitcnt lgkmcnt(0)
	v_mul_f64 v[209:210], v[217:218], v[227:228]
	v_fma_f64 v[209:210], v[215:216], v[213:214], -v[209:210]
	v_mul_f64 v[215:216], v[215:216], v[227:228]
	v_add_f64 v[41:42], v[41:42], -v[209:210]
	v_fma_f64 v[215:216], v[217:218], v[213:214], v[215:216]
	v_add_f64 v[43:44], v[43:44], -v[215:216]
	ds_read2_b64 v[215:218], v253 offset0:92 offset1:93
	s_waitcnt lgkmcnt(0)
	v_mul_f64 v[209:210], v[217:218], v[227:228]
	v_fma_f64 v[209:210], v[215:216], v[213:214], -v[209:210]
	v_mul_f64 v[215:216], v[215:216], v[227:228]
	v_add_f64 v[37:38], v[37:38], -v[209:210]
	v_fma_f64 v[215:216], v[217:218], v[213:214], v[215:216]
	v_add_f64 v[39:40], v[39:40], -v[215:216]
	ds_read2_b64 v[215:218], v253 offset0:94 offset1:95
	s_waitcnt lgkmcnt(0)
	v_mul_f64 v[209:210], v[217:218], v[227:228]
	v_fma_f64 v[209:210], v[215:216], v[213:214], -v[209:210]
	v_mul_f64 v[215:216], v[215:216], v[227:228]
	v_add_f64 v[33:34], v[33:34], -v[209:210]
	v_fma_f64 v[215:216], v[217:218], v[213:214], v[215:216]
	v_add_f64 v[35:36], v[35:36], -v[215:216]
	ds_read2_b64 v[215:218], v253 offset0:96 offset1:97
	s_waitcnt lgkmcnt(0)
	v_mul_f64 v[209:210], v[217:218], v[227:228]
	v_fma_f64 v[209:210], v[215:216], v[213:214], -v[209:210]
	v_mul_f64 v[215:216], v[215:216], v[227:228]
	v_add_f64 v[29:30], v[29:30], -v[209:210]
	v_fma_f64 v[215:216], v[217:218], v[213:214], v[215:216]
	v_add_f64 v[31:32], v[31:32], -v[215:216]
	ds_read2_b64 v[215:218], v253 offset0:98 offset1:99
	s_waitcnt lgkmcnt(0)
	v_mul_f64 v[209:210], v[217:218], v[227:228]
	v_fma_f64 v[209:210], v[215:216], v[213:214], -v[209:210]
	v_mul_f64 v[215:216], v[215:216], v[227:228]
	v_add_f64 v[25:26], v[25:26], -v[209:210]
	v_fma_f64 v[215:216], v[217:218], v[213:214], v[215:216]
	v_add_f64 v[27:28], v[27:28], -v[215:216]
	ds_read2_b64 v[215:218], v253 offset0:100 offset1:101
	s_waitcnt lgkmcnt(0)
	v_mul_f64 v[209:210], v[217:218], v[227:228]
	v_fma_f64 v[209:210], v[215:216], v[213:214], -v[209:210]
	v_mul_f64 v[215:216], v[215:216], v[227:228]
	v_add_f64 v[21:22], v[21:22], -v[209:210]
	v_fma_f64 v[215:216], v[217:218], v[213:214], v[215:216]
	v_add_f64 v[23:24], v[23:24], -v[215:216]
	ds_read2_b64 v[215:218], v253 offset0:102 offset1:103
	s_waitcnt lgkmcnt(0)
	v_mul_f64 v[209:210], v[217:218], v[227:228]
	v_fma_f64 v[209:210], v[215:216], v[213:214], -v[209:210]
	v_mul_f64 v[215:216], v[215:216], v[227:228]
	v_add_f64 v[17:18], v[17:18], -v[209:210]
	v_fma_f64 v[215:216], v[217:218], v[213:214], v[215:216]
	v_add_f64 v[19:20], v[19:20], -v[215:216]
	ds_read2_b64 v[215:218], v253 offset0:104 offset1:105
	s_waitcnt lgkmcnt(0)
	v_mul_f64 v[209:210], v[217:218], v[227:228]
	v_fma_f64 v[209:210], v[215:216], v[213:214], -v[209:210]
	v_mul_f64 v[215:216], v[215:216], v[227:228]
	v_add_f64 v[13:14], v[13:14], -v[209:210]
	v_fma_f64 v[215:216], v[217:218], v[213:214], v[215:216]
	v_add_f64 v[15:16], v[15:16], -v[215:216]
	ds_read2_b64 v[215:218], v253 offset0:106 offset1:107
	s_waitcnt lgkmcnt(0)
	v_mul_f64 v[209:210], v[217:218], v[227:228]
	v_fma_f64 v[209:210], v[215:216], v[213:214], -v[209:210]
	v_mul_f64 v[215:216], v[215:216], v[227:228]
	v_add_f64 v[9:10], v[9:10], -v[209:210]
	v_fma_f64 v[215:216], v[217:218], v[213:214], v[215:216]
	v_add_f64 v[11:12], v[11:12], -v[215:216]
	ds_read2_b64 v[215:218], v253 offset0:108 offset1:109
	s_waitcnt lgkmcnt(0)
	v_mul_f64 v[209:210], v[217:218], v[227:228]
	v_fma_f64 v[209:210], v[215:216], v[213:214], -v[209:210]
	v_mul_f64 v[215:216], v[215:216], v[227:228]
	v_add_f64 v[5:6], v[5:6], -v[209:210]
	v_fma_f64 v[215:216], v[217:218], v[213:214], v[215:216]
	v_add_f64 v[7:8], v[7:8], -v[215:216]
	ds_read2_b64 v[215:218], v253 offset0:110 offset1:111
	s_waitcnt lgkmcnt(0)
	v_mul_f64 v[209:210], v[217:218], v[227:228]
	v_fma_f64 v[209:210], v[215:216], v[213:214], -v[209:210]
	v_mul_f64 v[215:216], v[215:216], v[227:228]
	buffer_store_dword v225, off, s[16:19], 0 offset:32 ; 4-byte Folded Spill
	buffer_store_dword v226, off, s[16:19], 0 offset:36 ; 4-byte Folded Spill
	;; [unrolled: 1-line block ×4, first 2 shown]
	v_add_f64 v[1:2], v[1:2], -v[209:210]
	v_fma_f64 v[215:216], v[217:218], v[213:214], v[215:216]
	v_mov_b32_e32 v209, v219
	v_mov_b32_e32 v210, v220
	;; [unrolled: 1-line block ×4, first 2 shown]
	v_add_f64 v[3:4], v[3:4], -v[215:216]
.LBB111_37:
	s_or_b32 exec_lo, exec_lo, s1
	s_mov_b32 s2, exec_lo
	s_waitcnt_vscnt null, 0x0
	s_barrier
	buffer_gl0_inv
	v_cmpx_eq_u32_e32 4, v0
	s_cbranch_execz .LBB111_44
; %bb.38:
	s_clause 0x3
	buffer_load_dword v213, off, s[16:19], 0 offset:16
	buffer_load_dword v214, off, s[16:19], 0 offset:20
	;; [unrolled: 1-line block ×4, first 2 shown]
	s_waitcnt vmcnt(0)
	ds_write2_b64 v255, v[213:214], v[215:216] offset1:1
	ds_write2_b64 v253, v[193:194], v[195:196] offset0:10 offset1:11
	s_clause 0x3
	buffer_load_dword v201, off, s[16:19], 0
	buffer_load_dword v202, off, s[16:19], 0 offset:4
	buffer_load_dword v203, off, s[16:19], 0 offset:8
	;; [unrolled: 1-line block ×3, first 2 shown]
	s_waitcnt vmcnt(0)
	ds_write2_b64 v253, v[201:202], v[203:204] offset0:12 offset1:13
	ds_write2_b64 v253, v[209:210], v[211:212] offset0:14 offset1:15
	;; [unrolled: 1-line block ×50, first 2 shown]
	ds_read2_b64 v[213:216], v255 offset1:1
	s_waitcnt lgkmcnt(0)
	v_cmp_neq_f64_e32 vcc_lo, 0, v[213:214]
	v_cmp_neq_f64_e64 s1, 0, v[215:216]
	s_or_b32 s1, vcc_lo, s1
	s_and_b32 exec_lo, exec_lo, s1
	s_cbranch_execz .LBB111_44
; %bb.39:
	v_cmp_ngt_f64_e64 s1, |v[213:214]|, |v[215:216]|
                                        ; implicit-def: $vgpr217_vgpr218
	s_and_saveexec_b32 s3, s1
	s_xor_b32 s1, exec_lo, s3
                                        ; implicit-def: $vgpr219_vgpr220
	s_cbranch_execz .LBB111_41
; %bb.40:
	v_div_scale_f64 v[217:218], null, v[215:216], v[215:216], v[213:214]
	v_div_scale_f64 v[223:224], vcc_lo, v[213:214], v[215:216], v[213:214]
	v_rcp_f64_e32 v[219:220], v[217:218]
	v_fma_f64 v[221:222], -v[217:218], v[219:220], 1.0
	v_fma_f64 v[219:220], v[219:220], v[221:222], v[219:220]
	v_fma_f64 v[221:222], -v[217:218], v[219:220], 1.0
	v_fma_f64 v[219:220], v[219:220], v[221:222], v[219:220]
	v_mul_f64 v[221:222], v[223:224], v[219:220]
	v_fma_f64 v[217:218], -v[217:218], v[221:222], v[223:224]
	v_div_fmas_f64 v[217:218], v[217:218], v[219:220], v[221:222]
	v_div_fixup_f64 v[217:218], v[217:218], v[215:216], v[213:214]
	v_fma_f64 v[213:214], v[213:214], v[217:218], v[215:216]
	v_div_scale_f64 v[215:216], null, v[213:214], v[213:214], 1.0
	v_rcp_f64_e32 v[219:220], v[215:216]
	v_fma_f64 v[221:222], -v[215:216], v[219:220], 1.0
	v_fma_f64 v[219:220], v[219:220], v[221:222], v[219:220]
	v_fma_f64 v[221:222], -v[215:216], v[219:220], 1.0
	v_fma_f64 v[219:220], v[219:220], v[221:222], v[219:220]
	v_div_scale_f64 v[221:222], vcc_lo, 1.0, v[213:214], 1.0
	v_mul_f64 v[223:224], v[221:222], v[219:220]
	v_fma_f64 v[215:216], -v[215:216], v[223:224], v[221:222]
	v_div_fmas_f64 v[215:216], v[215:216], v[219:220], v[223:224]
	v_div_fixup_f64 v[219:220], v[215:216], v[213:214], 1.0
                                        ; implicit-def: $vgpr213_vgpr214
	v_mul_f64 v[217:218], v[217:218], v[219:220]
	v_xor_b32_e32 v220, 0x80000000, v220
.LBB111_41:
	s_andn2_saveexec_b32 s1, s1
	s_cbranch_execz .LBB111_43
; %bb.42:
	v_div_scale_f64 v[217:218], null, v[213:214], v[213:214], v[215:216]
	v_div_scale_f64 v[223:224], vcc_lo, v[215:216], v[213:214], v[215:216]
	v_rcp_f64_e32 v[219:220], v[217:218]
	v_fma_f64 v[221:222], -v[217:218], v[219:220], 1.0
	v_fma_f64 v[219:220], v[219:220], v[221:222], v[219:220]
	v_fma_f64 v[221:222], -v[217:218], v[219:220], 1.0
	v_fma_f64 v[219:220], v[219:220], v[221:222], v[219:220]
	v_mul_f64 v[221:222], v[223:224], v[219:220]
	v_fma_f64 v[217:218], -v[217:218], v[221:222], v[223:224]
	v_div_fmas_f64 v[217:218], v[217:218], v[219:220], v[221:222]
	v_div_fixup_f64 v[219:220], v[217:218], v[213:214], v[215:216]
	v_fma_f64 v[213:214], v[215:216], v[219:220], v[213:214]
	v_div_scale_f64 v[215:216], null, v[213:214], v[213:214], 1.0
	v_rcp_f64_e32 v[217:218], v[215:216]
	v_fma_f64 v[221:222], -v[215:216], v[217:218], 1.0
	v_fma_f64 v[217:218], v[217:218], v[221:222], v[217:218]
	v_fma_f64 v[221:222], -v[215:216], v[217:218], 1.0
	v_fma_f64 v[217:218], v[217:218], v[221:222], v[217:218]
	v_div_scale_f64 v[221:222], vcc_lo, 1.0, v[213:214], 1.0
	v_mul_f64 v[223:224], v[221:222], v[217:218]
	v_fma_f64 v[215:216], -v[215:216], v[223:224], v[221:222]
	v_div_fmas_f64 v[215:216], v[215:216], v[217:218], v[223:224]
	v_div_fixup_f64 v[217:218], v[215:216], v[213:214], 1.0
	v_mul_f64 v[219:220], v[219:220], -v[217:218]
.LBB111_43:
	s_or_b32 exec_lo, exec_lo, s1
	ds_write2_b64 v255, v[217:218], v[219:220] offset1:1
.LBB111_44:
	s_or_b32 exec_lo, exec_lo, s2
	s_waitcnt lgkmcnt(0)
	s_barrier
	buffer_gl0_inv
	ds_read2_b64 v[203:206], v255 offset1:1
	s_mov_b32 s1, exec_lo
	s_waitcnt lgkmcnt(0)
	buffer_store_dword v203, off, s[16:19], 0 offset:592 ; 4-byte Folded Spill
	buffer_store_dword v204, off, s[16:19], 0 offset:596 ; 4-byte Folded Spill
	;; [unrolled: 1-line block ×4, first 2 shown]
	v_cmpx_lt_u32_e32 4, v0
	s_cbranch_execz .LBB111_46
; %bb.45:
	s_clause 0x7
	buffer_load_dword v217, off, s[16:19], 0 offset:16
	buffer_load_dword v218, off, s[16:19], 0 offset:20
	;; [unrolled: 1-line block ×8, first 2 shown]
	v_mov_b32_e32 v205, v207
	v_mov_b32_e32 v206, v208
	s_waitcnt vmcnt(2)
	v_mul_f64 v[207:208], v[221:222], v[219:220]
	s_waitcnt vmcnt(0)
	v_mul_f64 v[213:214], v[223:224], v[219:220]
	v_fma_f64 v[219:220], v[223:224], v[217:218], v[207:208]
	v_mov_b32_e32 v208, v206
	v_fma_f64 v[213:214], v[221:222], v[217:218], -v[213:214]
	ds_read2_b64 v[215:218], v253 offset0:10 offset1:11
	v_mov_b32_e32 v207, v205
	s_waitcnt lgkmcnt(0)
	v_mul_f64 v[205:206], v[217:218], v[219:220]
	v_fma_f64 v[205:206], v[215:216], v[213:214], -v[205:206]
	v_mul_f64 v[215:216], v[215:216], v[219:220]
	v_add_f64 v[193:194], v[193:194], -v[205:206]
	v_fma_f64 v[215:216], v[217:218], v[213:214], v[215:216]
	v_add_f64 v[195:196], v[195:196], -v[215:216]
	ds_read2_b64 v[215:218], v253 offset0:12 offset1:13
	s_clause 0x3
	buffer_load_dword v201, off, s[16:19], 0
	buffer_load_dword v202, off, s[16:19], 0 offset:4
	buffer_load_dword v203, off, s[16:19], 0 offset:8
	;; [unrolled: 1-line block ×3, first 2 shown]
	s_waitcnt lgkmcnt(0)
	v_mul_f64 v[205:206], v[217:218], v[219:220]
	v_fma_f64 v[205:206], v[215:216], v[213:214], -v[205:206]
	v_mul_f64 v[215:216], v[215:216], v[219:220]
	v_fma_f64 v[215:216], v[217:218], v[213:214], v[215:216]
	s_waitcnt vmcnt(2)
	v_add_f64 v[201:202], v[201:202], -v[205:206]
	s_waitcnt vmcnt(0)
	v_add_f64 v[203:204], v[203:204], -v[215:216]
	buffer_store_dword v201, off, s[16:19], 0 ; 4-byte Folded Spill
	buffer_store_dword v202, off, s[16:19], 0 offset:4 ; 4-byte Folded Spill
	buffer_store_dword v203, off, s[16:19], 0 offset:8 ; 4-byte Folded Spill
	;; [unrolled: 1-line block ×3, first 2 shown]
	ds_read2_b64 v[215:218], v253 offset0:14 offset1:15
	s_waitcnt lgkmcnt(0)
	v_mul_f64 v[205:206], v[217:218], v[219:220]
	v_fma_f64 v[205:206], v[215:216], v[213:214], -v[205:206]
	v_mul_f64 v[215:216], v[215:216], v[219:220]
	v_add_f64 v[209:210], v[209:210], -v[205:206]
	v_fma_f64 v[215:216], v[217:218], v[213:214], v[215:216]
	v_add_f64 v[211:212], v[211:212], -v[215:216]
	ds_read2_b64 v[215:218], v253 offset0:16 offset1:17
	s_waitcnt lgkmcnt(0)
	v_mul_f64 v[205:206], v[217:218], v[219:220]
	v_fma_f64 v[205:206], v[215:216], v[213:214], -v[205:206]
	v_mul_f64 v[215:216], v[215:216], v[219:220]
	v_add_f64 v[189:190], v[189:190], -v[205:206]
	v_fma_f64 v[215:216], v[217:218], v[213:214], v[215:216]
	v_add_f64 v[191:192], v[191:192], -v[215:216]
	;; [unrolled: 8-line block ×48, first 2 shown]
	ds_read2_b64 v[215:218], v253 offset0:110 offset1:111
	s_waitcnt lgkmcnt(0)
	v_mul_f64 v[205:206], v[217:218], v[219:220]
	v_fma_f64 v[205:206], v[215:216], v[213:214], -v[205:206]
	v_mul_f64 v[215:216], v[215:216], v[219:220]
	v_add_f64 v[1:2], v[1:2], -v[205:206]
	v_fma_f64 v[215:216], v[217:218], v[213:214], v[215:216]
	v_mov_b32_e32 v218, v214
	v_mov_b32_e32 v217, v213
	buffer_store_dword v217, off, s[16:19], 0 offset:16 ; 4-byte Folded Spill
	buffer_store_dword v218, off, s[16:19], 0 offset:20 ; 4-byte Folded Spill
	;; [unrolled: 1-line block ×4, first 2 shown]
	v_add_f64 v[3:4], v[3:4], -v[215:216]
.LBB111_46:
	s_or_b32 exec_lo, exec_lo, s1
	s_mov_b32 s2, exec_lo
	s_waitcnt_vscnt null, 0x0
	s_barrier
	buffer_gl0_inv
	v_cmpx_eq_u32_e32 5, v0
	s_cbranch_execz .LBB111_53
; %bb.47:
	ds_write2_b64 v255, v[193:194], v[195:196] offset1:1
	s_clause 0x3
	buffer_load_dword v201, off, s[16:19], 0
	buffer_load_dword v202, off, s[16:19], 0 offset:4
	buffer_load_dword v203, off, s[16:19], 0 offset:8
	;; [unrolled: 1-line block ×3, first 2 shown]
	s_waitcnt vmcnt(0)
	ds_write2_b64 v253, v[201:202], v[203:204] offset0:12 offset1:13
	ds_write2_b64 v253, v[209:210], v[211:212] offset0:14 offset1:15
	;; [unrolled: 1-line block ×50, first 2 shown]
	ds_read2_b64 v[213:216], v255 offset1:1
	s_waitcnt lgkmcnt(0)
	v_cmp_neq_f64_e32 vcc_lo, 0, v[213:214]
	v_cmp_neq_f64_e64 s1, 0, v[215:216]
	s_or_b32 s1, vcc_lo, s1
	s_and_b32 exec_lo, exec_lo, s1
	s_cbranch_execz .LBB111_53
; %bb.48:
	v_cmp_ngt_f64_e64 s1, |v[213:214]|, |v[215:216]|
                                        ; implicit-def: $vgpr217_vgpr218
	s_and_saveexec_b32 s3, s1
	s_xor_b32 s1, exec_lo, s3
                                        ; implicit-def: $vgpr219_vgpr220
	s_cbranch_execz .LBB111_50
; %bb.49:
	v_div_scale_f64 v[217:218], null, v[215:216], v[215:216], v[213:214]
	v_div_scale_f64 v[223:224], vcc_lo, v[213:214], v[215:216], v[213:214]
	v_rcp_f64_e32 v[219:220], v[217:218]
	v_fma_f64 v[221:222], -v[217:218], v[219:220], 1.0
	v_fma_f64 v[219:220], v[219:220], v[221:222], v[219:220]
	v_fma_f64 v[221:222], -v[217:218], v[219:220], 1.0
	v_fma_f64 v[219:220], v[219:220], v[221:222], v[219:220]
	v_mul_f64 v[221:222], v[223:224], v[219:220]
	v_fma_f64 v[217:218], -v[217:218], v[221:222], v[223:224]
	v_div_fmas_f64 v[217:218], v[217:218], v[219:220], v[221:222]
	v_div_fixup_f64 v[217:218], v[217:218], v[215:216], v[213:214]
	v_fma_f64 v[213:214], v[213:214], v[217:218], v[215:216]
	v_div_scale_f64 v[215:216], null, v[213:214], v[213:214], 1.0
	v_rcp_f64_e32 v[219:220], v[215:216]
	v_fma_f64 v[221:222], -v[215:216], v[219:220], 1.0
	v_fma_f64 v[219:220], v[219:220], v[221:222], v[219:220]
	v_fma_f64 v[221:222], -v[215:216], v[219:220], 1.0
	v_fma_f64 v[219:220], v[219:220], v[221:222], v[219:220]
	v_div_scale_f64 v[221:222], vcc_lo, 1.0, v[213:214], 1.0
	v_mul_f64 v[223:224], v[221:222], v[219:220]
	v_fma_f64 v[215:216], -v[215:216], v[223:224], v[221:222]
	v_div_fmas_f64 v[215:216], v[215:216], v[219:220], v[223:224]
	v_div_fixup_f64 v[219:220], v[215:216], v[213:214], 1.0
                                        ; implicit-def: $vgpr213_vgpr214
	v_mul_f64 v[217:218], v[217:218], v[219:220]
	v_xor_b32_e32 v220, 0x80000000, v220
.LBB111_50:
	s_andn2_saveexec_b32 s1, s1
	s_cbranch_execz .LBB111_52
; %bb.51:
	v_div_scale_f64 v[217:218], null, v[213:214], v[213:214], v[215:216]
	v_div_scale_f64 v[223:224], vcc_lo, v[215:216], v[213:214], v[215:216]
	v_rcp_f64_e32 v[219:220], v[217:218]
	v_fma_f64 v[221:222], -v[217:218], v[219:220], 1.0
	v_fma_f64 v[219:220], v[219:220], v[221:222], v[219:220]
	v_fma_f64 v[221:222], -v[217:218], v[219:220], 1.0
	v_fma_f64 v[219:220], v[219:220], v[221:222], v[219:220]
	v_mul_f64 v[221:222], v[223:224], v[219:220]
	v_fma_f64 v[217:218], -v[217:218], v[221:222], v[223:224]
	v_div_fmas_f64 v[217:218], v[217:218], v[219:220], v[221:222]
	v_div_fixup_f64 v[219:220], v[217:218], v[213:214], v[215:216]
	v_fma_f64 v[213:214], v[215:216], v[219:220], v[213:214]
	v_div_scale_f64 v[215:216], null, v[213:214], v[213:214], 1.0
	v_rcp_f64_e32 v[217:218], v[215:216]
	v_fma_f64 v[221:222], -v[215:216], v[217:218], 1.0
	v_fma_f64 v[217:218], v[217:218], v[221:222], v[217:218]
	v_fma_f64 v[221:222], -v[215:216], v[217:218], 1.0
	v_fma_f64 v[217:218], v[217:218], v[221:222], v[217:218]
	v_div_scale_f64 v[221:222], vcc_lo, 1.0, v[213:214], 1.0
	v_mul_f64 v[223:224], v[221:222], v[217:218]
	v_fma_f64 v[215:216], -v[215:216], v[223:224], v[221:222]
	v_div_fmas_f64 v[215:216], v[215:216], v[217:218], v[223:224]
	v_div_fixup_f64 v[217:218], v[215:216], v[213:214], 1.0
	v_mul_f64 v[219:220], v[219:220], -v[217:218]
.LBB111_52:
	s_or_b32 exec_lo, exec_lo, s1
	ds_write2_b64 v255, v[217:218], v[219:220] offset1:1
.LBB111_53:
	s_or_b32 exec_lo, exec_lo, s2
	s_waitcnt lgkmcnt(0)
	s_barrier
	buffer_gl0_inv
	ds_read2_b64 v[203:206], v255 offset1:1
	s_mov_b32 s1, exec_lo
	s_waitcnt lgkmcnt(0)
	buffer_store_dword v203, off, s[16:19], 0 offset:608 ; 4-byte Folded Spill
	buffer_store_dword v204, off, s[16:19], 0 offset:612 ; 4-byte Folded Spill
	;; [unrolled: 1-line block ×4, first 2 shown]
	v_cmpx_lt_u32_e32 5, v0
	s_cbranch_execz .LBB111_55
; %bb.54:
	s_clause 0x3
	buffer_load_dword v215, off, s[16:19], 0 offset:608
	buffer_load_dword v216, off, s[16:19], 0 offset:612
	;; [unrolled: 1-line block ×4, first 2 shown]
	s_waitcnt vmcnt(2)
	v_mul_f64 v[203:204], v[215:216], v[195:196]
	s_waitcnt vmcnt(0)
	v_mul_f64 v[213:214], v[217:218], v[195:196]
	v_fma_f64 v[195:196], v[217:218], v[193:194], v[203:204]
	v_fma_f64 v[213:214], v[215:216], v[193:194], -v[213:214]
	ds_read2_b64 v[215:218], v253 offset0:12 offset1:13
	s_clause 0x3
	buffer_load_dword v203, off, s[16:19], 0
	buffer_load_dword v204, off, s[16:19], 0 offset:4
	buffer_load_dword v205, off, s[16:19], 0 offset:8
	;; [unrolled: 1-line block ×3, first 2 shown]
	s_waitcnt lgkmcnt(0)
	v_mul_f64 v[201:202], v[217:218], v[195:196]
	v_mov_b32_e32 v193, v213
	v_mov_b32_e32 v194, v214
	v_fma_f64 v[201:202], v[215:216], v[213:214], -v[201:202]
	v_mul_f64 v[215:216], v[215:216], v[195:196]
	v_fma_f64 v[215:216], v[217:218], v[213:214], v[215:216]
	s_waitcnt vmcnt(2)
	v_add_f64 v[203:204], v[203:204], -v[201:202]
	s_waitcnt vmcnt(0)
	v_add_f64 v[205:206], v[205:206], -v[215:216]
	buffer_store_dword v203, off, s[16:19], 0 ; 4-byte Folded Spill
	buffer_store_dword v204, off, s[16:19], 0 offset:4 ; 4-byte Folded Spill
	buffer_store_dword v205, off, s[16:19], 0 offset:8 ; 4-byte Folded Spill
	;; [unrolled: 1-line block ×3, first 2 shown]
	ds_read2_b64 v[215:218], v253 offset0:14 offset1:15
	s_waitcnt lgkmcnt(0)
	v_mul_f64 v[201:202], v[217:218], v[195:196]
	v_fma_f64 v[201:202], v[215:216], v[213:214], -v[201:202]
	v_mul_f64 v[215:216], v[215:216], v[195:196]
	v_add_f64 v[209:210], v[209:210], -v[201:202]
	v_fma_f64 v[215:216], v[217:218], v[213:214], v[215:216]
	v_add_f64 v[211:212], v[211:212], -v[215:216]
	ds_read2_b64 v[215:218], v253 offset0:16 offset1:17
	s_waitcnt lgkmcnt(0)
	v_mul_f64 v[201:202], v[217:218], v[195:196]
	v_fma_f64 v[201:202], v[215:216], v[213:214], -v[201:202]
	v_mul_f64 v[215:216], v[215:216], v[195:196]
	v_add_f64 v[189:190], v[189:190], -v[201:202]
	v_fma_f64 v[215:216], v[217:218], v[213:214], v[215:216]
	v_add_f64 v[191:192], v[191:192], -v[215:216]
	ds_read2_b64 v[215:218], v253 offset0:18 offset1:19
	s_waitcnt lgkmcnt(0)
	v_mul_f64 v[201:202], v[217:218], v[195:196]
	v_fma_f64 v[201:202], v[215:216], v[213:214], -v[201:202]
	v_mul_f64 v[215:216], v[215:216], v[195:196]
	v_add_f64 v[185:186], v[185:186], -v[201:202]
	v_fma_f64 v[215:216], v[217:218], v[213:214], v[215:216]
	v_add_f64 v[187:188], v[187:188], -v[215:216]
	ds_read2_b64 v[215:218], v253 offset0:20 offset1:21
	s_waitcnt lgkmcnt(0)
	v_mul_f64 v[201:202], v[217:218], v[195:196]
	v_fma_f64 v[201:202], v[215:216], v[213:214], -v[201:202]
	v_mul_f64 v[215:216], v[215:216], v[195:196]
	v_add_f64 v[181:182], v[181:182], -v[201:202]
	v_fma_f64 v[215:216], v[217:218], v[213:214], v[215:216]
	v_add_f64 v[183:184], v[183:184], -v[215:216]
	ds_read2_b64 v[215:218], v253 offset0:22 offset1:23
	s_waitcnt lgkmcnt(0)
	v_mul_f64 v[201:202], v[217:218], v[195:196]
	v_fma_f64 v[201:202], v[215:216], v[213:214], -v[201:202]
	v_mul_f64 v[215:216], v[215:216], v[195:196]
	v_add_f64 v[177:178], v[177:178], -v[201:202]
	v_fma_f64 v[215:216], v[217:218], v[213:214], v[215:216]
	v_add_f64 v[179:180], v[179:180], -v[215:216]
	ds_read2_b64 v[215:218], v253 offset0:24 offset1:25
	s_waitcnt lgkmcnt(0)
	v_mul_f64 v[201:202], v[217:218], v[195:196]
	v_fma_f64 v[201:202], v[215:216], v[213:214], -v[201:202]
	v_mul_f64 v[215:216], v[215:216], v[195:196]
	v_add_f64 v[173:174], v[173:174], -v[201:202]
	v_fma_f64 v[215:216], v[217:218], v[213:214], v[215:216]
	v_add_f64 v[175:176], v[175:176], -v[215:216]
	ds_read2_b64 v[215:218], v253 offset0:26 offset1:27
	s_waitcnt lgkmcnt(0)
	v_mul_f64 v[201:202], v[217:218], v[195:196]
	v_fma_f64 v[201:202], v[215:216], v[213:214], -v[201:202]
	v_mul_f64 v[215:216], v[215:216], v[195:196]
	v_add_f64 v[169:170], v[169:170], -v[201:202]
	v_fma_f64 v[215:216], v[217:218], v[213:214], v[215:216]
	v_add_f64 v[171:172], v[171:172], -v[215:216]
	ds_read2_b64 v[215:218], v253 offset0:28 offset1:29
	s_waitcnt lgkmcnt(0)
	v_mul_f64 v[201:202], v[217:218], v[195:196]
	v_fma_f64 v[201:202], v[215:216], v[213:214], -v[201:202]
	v_mul_f64 v[215:216], v[215:216], v[195:196]
	v_add_f64 v[165:166], v[165:166], -v[201:202]
	v_fma_f64 v[215:216], v[217:218], v[213:214], v[215:216]
	v_add_f64 v[167:168], v[167:168], -v[215:216]
	ds_read2_b64 v[215:218], v253 offset0:30 offset1:31
	s_waitcnt lgkmcnt(0)
	v_mul_f64 v[201:202], v[217:218], v[195:196]
	v_fma_f64 v[201:202], v[215:216], v[213:214], -v[201:202]
	v_mul_f64 v[215:216], v[215:216], v[195:196]
	v_add_f64 v[161:162], v[161:162], -v[201:202]
	v_fma_f64 v[215:216], v[217:218], v[213:214], v[215:216]
	v_add_f64 v[163:164], v[163:164], -v[215:216]
	ds_read2_b64 v[215:218], v253 offset0:32 offset1:33
	s_waitcnt lgkmcnt(0)
	v_mul_f64 v[201:202], v[217:218], v[195:196]
	v_fma_f64 v[201:202], v[215:216], v[213:214], -v[201:202]
	v_mul_f64 v[215:216], v[215:216], v[195:196]
	v_add_f64 v[157:158], v[157:158], -v[201:202]
	v_fma_f64 v[215:216], v[217:218], v[213:214], v[215:216]
	v_add_f64 v[159:160], v[159:160], -v[215:216]
	ds_read2_b64 v[215:218], v253 offset0:34 offset1:35
	s_waitcnt lgkmcnt(0)
	v_mul_f64 v[201:202], v[217:218], v[195:196]
	v_fma_f64 v[201:202], v[215:216], v[213:214], -v[201:202]
	v_mul_f64 v[215:216], v[215:216], v[195:196]
	v_add_f64 v[153:154], v[153:154], -v[201:202]
	v_fma_f64 v[215:216], v[217:218], v[213:214], v[215:216]
	v_add_f64 v[155:156], v[155:156], -v[215:216]
	ds_read2_b64 v[215:218], v253 offset0:36 offset1:37
	s_waitcnt lgkmcnt(0)
	v_mul_f64 v[201:202], v[217:218], v[195:196]
	v_fma_f64 v[201:202], v[215:216], v[213:214], -v[201:202]
	v_mul_f64 v[215:216], v[215:216], v[195:196]
	v_add_f64 v[149:150], v[149:150], -v[201:202]
	v_fma_f64 v[215:216], v[217:218], v[213:214], v[215:216]
	v_add_f64 v[151:152], v[151:152], -v[215:216]
	ds_read2_b64 v[215:218], v253 offset0:38 offset1:39
	s_waitcnt lgkmcnt(0)
	v_mul_f64 v[201:202], v[217:218], v[195:196]
	v_fma_f64 v[201:202], v[215:216], v[213:214], -v[201:202]
	v_mul_f64 v[215:216], v[215:216], v[195:196]
	v_add_f64 v[145:146], v[145:146], -v[201:202]
	v_fma_f64 v[215:216], v[217:218], v[213:214], v[215:216]
	v_add_f64 v[147:148], v[147:148], -v[215:216]
	ds_read2_b64 v[215:218], v253 offset0:40 offset1:41
	s_waitcnt lgkmcnt(0)
	v_mul_f64 v[201:202], v[217:218], v[195:196]
	v_fma_f64 v[201:202], v[215:216], v[213:214], -v[201:202]
	v_mul_f64 v[215:216], v[215:216], v[195:196]
	v_add_f64 v[141:142], v[141:142], -v[201:202]
	v_fma_f64 v[215:216], v[217:218], v[213:214], v[215:216]
	v_add_f64 v[143:144], v[143:144], -v[215:216]
	ds_read2_b64 v[215:218], v253 offset0:42 offset1:43
	s_waitcnt lgkmcnt(0)
	v_mul_f64 v[201:202], v[217:218], v[195:196]
	v_fma_f64 v[201:202], v[215:216], v[213:214], -v[201:202]
	v_mul_f64 v[215:216], v[215:216], v[195:196]
	v_add_f64 v[137:138], v[137:138], -v[201:202]
	v_fma_f64 v[215:216], v[217:218], v[213:214], v[215:216]
	v_add_f64 v[139:140], v[139:140], -v[215:216]
	ds_read2_b64 v[215:218], v253 offset0:44 offset1:45
	s_waitcnt lgkmcnt(0)
	v_mul_f64 v[201:202], v[217:218], v[195:196]
	v_fma_f64 v[201:202], v[215:216], v[213:214], -v[201:202]
	v_mul_f64 v[215:216], v[215:216], v[195:196]
	v_add_f64 v[133:134], v[133:134], -v[201:202]
	v_fma_f64 v[215:216], v[217:218], v[213:214], v[215:216]
	v_add_f64 v[135:136], v[135:136], -v[215:216]
	ds_read2_b64 v[215:218], v253 offset0:46 offset1:47
	s_waitcnt lgkmcnt(0)
	v_mul_f64 v[201:202], v[217:218], v[195:196]
	v_fma_f64 v[201:202], v[215:216], v[213:214], -v[201:202]
	v_mul_f64 v[215:216], v[215:216], v[195:196]
	v_add_f64 v[129:130], v[129:130], -v[201:202]
	v_fma_f64 v[215:216], v[217:218], v[213:214], v[215:216]
	v_add_f64 v[131:132], v[131:132], -v[215:216]
	ds_read2_b64 v[215:218], v253 offset0:48 offset1:49
	s_waitcnt lgkmcnt(0)
	v_mul_f64 v[201:202], v[217:218], v[195:196]
	v_fma_f64 v[201:202], v[215:216], v[213:214], -v[201:202]
	v_mul_f64 v[215:216], v[215:216], v[195:196]
	v_add_f64 v[125:126], v[125:126], -v[201:202]
	v_fma_f64 v[215:216], v[217:218], v[213:214], v[215:216]
	v_add_f64 v[127:128], v[127:128], -v[215:216]
	ds_read2_b64 v[215:218], v253 offset0:50 offset1:51
	s_waitcnt lgkmcnt(0)
	v_mul_f64 v[201:202], v[217:218], v[195:196]
	v_fma_f64 v[201:202], v[215:216], v[213:214], -v[201:202]
	v_mul_f64 v[215:216], v[215:216], v[195:196]
	v_add_f64 v[121:122], v[121:122], -v[201:202]
	v_fma_f64 v[215:216], v[217:218], v[213:214], v[215:216]
	v_add_f64 v[123:124], v[123:124], -v[215:216]
	ds_read2_b64 v[215:218], v253 offset0:52 offset1:53
	s_waitcnt lgkmcnt(0)
	v_mul_f64 v[201:202], v[217:218], v[195:196]
	v_fma_f64 v[201:202], v[215:216], v[213:214], -v[201:202]
	v_mul_f64 v[215:216], v[215:216], v[195:196]
	v_add_f64 v[117:118], v[117:118], -v[201:202]
	v_fma_f64 v[215:216], v[217:218], v[213:214], v[215:216]
	v_add_f64 v[119:120], v[119:120], -v[215:216]
	ds_read2_b64 v[215:218], v253 offset0:54 offset1:55
	s_waitcnt lgkmcnt(0)
	v_mul_f64 v[201:202], v[217:218], v[195:196]
	v_fma_f64 v[201:202], v[215:216], v[213:214], -v[201:202]
	v_mul_f64 v[215:216], v[215:216], v[195:196]
	v_add_f64 v[113:114], v[113:114], -v[201:202]
	v_fma_f64 v[215:216], v[217:218], v[213:214], v[215:216]
	v_add_f64 v[115:116], v[115:116], -v[215:216]
	ds_read2_b64 v[215:218], v253 offset0:56 offset1:57
	s_waitcnt lgkmcnt(0)
	v_mul_f64 v[201:202], v[217:218], v[195:196]
	v_fma_f64 v[201:202], v[215:216], v[213:214], -v[201:202]
	v_mul_f64 v[215:216], v[215:216], v[195:196]
	v_add_f64 v[109:110], v[109:110], -v[201:202]
	v_fma_f64 v[215:216], v[217:218], v[213:214], v[215:216]
	v_add_f64 v[111:112], v[111:112], -v[215:216]
	ds_read2_b64 v[215:218], v253 offset0:58 offset1:59
	s_waitcnt lgkmcnt(0)
	v_mul_f64 v[201:202], v[217:218], v[195:196]
	v_fma_f64 v[201:202], v[215:216], v[213:214], -v[201:202]
	v_mul_f64 v[215:216], v[215:216], v[195:196]
	v_add_f64 v[105:106], v[105:106], -v[201:202]
	v_fma_f64 v[215:216], v[217:218], v[213:214], v[215:216]
	v_add_f64 v[107:108], v[107:108], -v[215:216]
	ds_read2_b64 v[215:218], v253 offset0:60 offset1:61
	s_waitcnt lgkmcnt(0)
	v_mul_f64 v[201:202], v[217:218], v[195:196]
	v_fma_f64 v[201:202], v[215:216], v[213:214], -v[201:202]
	v_mul_f64 v[215:216], v[215:216], v[195:196]
	v_add_f64 v[101:102], v[101:102], -v[201:202]
	v_fma_f64 v[215:216], v[217:218], v[213:214], v[215:216]
	v_add_f64 v[103:104], v[103:104], -v[215:216]
	ds_read2_b64 v[215:218], v253 offset0:62 offset1:63
	s_waitcnt lgkmcnt(0)
	v_mul_f64 v[201:202], v[217:218], v[195:196]
	v_fma_f64 v[201:202], v[215:216], v[213:214], -v[201:202]
	v_mul_f64 v[215:216], v[215:216], v[195:196]
	v_add_f64 v[97:98], v[97:98], -v[201:202]
	v_fma_f64 v[215:216], v[217:218], v[213:214], v[215:216]
	v_add_f64 v[99:100], v[99:100], -v[215:216]
	ds_read2_b64 v[215:218], v253 offset0:64 offset1:65
	s_waitcnt lgkmcnt(0)
	v_mul_f64 v[201:202], v[217:218], v[195:196]
	v_fma_f64 v[201:202], v[215:216], v[213:214], -v[201:202]
	v_mul_f64 v[215:216], v[215:216], v[195:196]
	v_add_f64 v[93:94], v[93:94], -v[201:202]
	v_fma_f64 v[215:216], v[217:218], v[213:214], v[215:216]
	v_add_f64 v[95:96], v[95:96], -v[215:216]
	ds_read2_b64 v[215:218], v253 offset0:66 offset1:67
	s_waitcnt lgkmcnt(0)
	v_mul_f64 v[201:202], v[217:218], v[195:196]
	v_fma_f64 v[201:202], v[215:216], v[213:214], -v[201:202]
	v_mul_f64 v[215:216], v[215:216], v[195:196]
	v_add_f64 v[89:90], v[89:90], -v[201:202]
	v_fma_f64 v[215:216], v[217:218], v[213:214], v[215:216]
	v_add_f64 v[91:92], v[91:92], -v[215:216]
	ds_read2_b64 v[215:218], v253 offset0:68 offset1:69
	s_waitcnt lgkmcnt(0)
	v_mul_f64 v[201:202], v[217:218], v[195:196]
	v_fma_f64 v[201:202], v[215:216], v[213:214], -v[201:202]
	v_mul_f64 v[215:216], v[215:216], v[195:196]
	v_add_f64 v[85:86], v[85:86], -v[201:202]
	v_fma_f64 v[215:216], v[217:218], v[213:214], v[215:216]
	v_add_f64 v[87:88], v[87:88], -v[215:216]
	ds_read2_b64 v[215:218], v253 offset0:70 offset1:71
	s_waitcnt lgkmcnt(0)
	v_mul_f64 v[201:202], v[217:218], v[195:196]
	v_fma_f64 v[201:202], v[215:216], v[213:214], -v[201:202]
	v_mul_f64 v[215:216], v[215:216], v[195:196]
	v_add_f64 v[81:82], v[81:82], -v[201:202]
	v_fma_f64 v[215:216], v[217:218], v[213:214], v[215:216]
	v_add_f64 v[83:84], v[83:84], -v[215:216]
	ds_read2_b64 v[215:218], v253 offset0:72 offset1:73
	s_waitcnt lgkmcnt(0)
	v_mul_f64 v[201:202], v[217:218], v[195:196]
	v_fma_f64 v[201:202], v[215:216], v[213:214], -v[201:202]
	v_mul_f64 v[215:216], v[215:216], v[195:196]
	v_add_f64 v[77:78], v[77:78], -v[201:202]
	v_fma_f64 v[215:216], v[217:218], v[213:214], v[215:216]
	v_add_f64 v[79:80], v[79:80], -v[215:216]
	ds_read2_b64 v[215:218], v253 offset0:74 offset1:75
	s_waitcnt lgkmcnt(0)
	v_mul_f64 v[201:202], v[217:218], v[195:196]
	v_fma_f64 v[201:202], v[215:216], v[213:214], -v[201:202]
	v_mul_f64 v[215:216], v[215:216], v[195:196]
	v_add_f64 v[73:74], v[73:74], -v[201:202]
	v_fma_f64 v[215:216], v[217:218], v[213:214], v[215:216]
	v_add_f64 v[75:76], v[75:76], -v[215:216]
	ds_read2_b64 v[215:218], v253 offset0:76 offset1:77
	s_waitcnt lgkmcnt(0)
	v_mul_f64 v[201:202], v[217:218], v[195:196]
	v_fma_f64 v[201:202], v[215:216], v[213:214], -v[201:202]
	v_mul_f64 v[215:216], v[215:216], v[195:196]
	v_add_f64 v[69:70], v[69:70], -v[201:202]
	v_fma_f64 v[215:216], v[217:218], v[213:214], v[215:216]
	v_add_f64 v[71:72], v[71:72], -v[215:216]
	ds_read2_b64 v[215:218], v253 offset0:78 offset1:79
	s_waitcnt lgkmcnt(0)
	v_mul_f64 v[201:202], v[217:218], v[195:196]
	v_fma_f64 v[201:202], v[215:216], v[213:214], -v[201:202]
	v_mul_f64 v[215:216], v[215:216], v[195:196]
	v_add_f64 v[65:66], v[65:66], -v[201:202]
	v_fma_f64 v[215:216], v[217:218], v[213:214], v[215:216]
	v_add_f64 v[67:68], v[67:68], -v[215:216]
	ds_read2_b64 v[215:218], v253 offset0:80 offset1:81
	s_waitcnt lgkmcnt(0)
	v_mul_f64 v[201:202], v[217:218], v[195:196]
	v_fma_f64 v[201:202], v[215:216], v[213:214], -v[201:202]
	v_mul_f64 v[215:216], v[215:216], v[195:196]
	v_add_f64 v[61:62], v[61:62], -v[201:202]
	v_fma_f64 v[215:216], v[217:218], v[213:214], v[215:216]
	v_add_f64 v[63:64], v[63:64], -v[215:216]
	ds_read2_b64 v[215:218], v253 offset0:82 offset1:83
	s_waitcnt lgkmcnt(0)
	v_mul_f64 v[201:202], v[217:218], v[195:196]
	v_fma_f64 v[201:202], v[215:216], v[213:214], -v[201:202]
	v_mul_f64 v[215:216], v[215:216], v[195:196]
	v_add_f64 v[57:58], v[57:58], -v[201:202]
	v_fma_f64 v[215:216], v[217:218], v[213:214], v[215:216]
	v_add_f64 v[59:60], v[59:60], -v[215:216]
	ds_read2_b64 v[215:218], v253 offset0:84 offset1:85
	s_waitcnt lgkmcnt(0)
	v_mul_f64 v[201:202], v[217:218], v[195:196]
	v_fma_f64 v[201:202], v[215:216], v[213:214], -v[201:202]
	v_mul_f64 v[215:216], v[215:216], v[195:196]
	v_add_f64 v[53:54], v[53:54], -v[201:202]
	v_fma_f64 v[215:216], v[217:218], v[213:214], v[215:216]
	v_add_f64 v[55:56], v[55:56], -v[215:216]
	ds_read2_b64 v[215:218], v253 offset0:86 offset1:87
	s_waitcnt lgkmcnt(0)
	v_mul_f64 v[201:202], v[217:218], v[195:196]
	v_fma_f64 v[201:202], v[215:216], v[213:214], -v[201:202]
	v_mul_f64 v[215:216], v[215:216], v[195:196]
	v_add_f64 v[49:50], v[49:50], -v[201:202]
	v_fma_f64 v[215:216], v[217:218], v[213:214], v[215:216]
	v_add_f64 v[51:52], v[51:52], -v[215:216]
	ds_read2_b64 v[215:218], v253 offset0:88 offset1:89
	s_waitcnt lgkmcnt(0)
	v_mul_f64 v[201:202], v[217:218], v[195:196]
	v_fma_f64 v[201:202], v[215:216], v[213:214], -v[201:202]
	v_mul_f64 v[215:216], v[215:216], v[195:196]
	v_add_f64 v[45:46], v[45:46], -v[201:202]
	v_fma_f64 v[215:216], v[217:218], v[213:214], v[215:216]
	v_add_f64 v[47:48], v[47:48], -v[215:216]
	ds_read2_b64 v[215:218], v253 offset0:90 offset1:91
	s_waitcnt lgkmcnt(0)
	v_mul_f64 v[201:202], v[217:218], v[195:196]
	v_fma_f64 v[201:202], v[215:216], v[213:214], -v[201:202]
	v_mul_f64 v[215:216], v[215:216], v[195:196]
	v_add_f64 v[41:42], v[41:42], -v[201:202]
	v_fma_f64 v[215:216], v[217:218], v[213:214], v[215:216]
	v_add_f64 v[43:44], v[43:44], -v[215:216]
	ds_read2_b64 v[215:218], v253 offset0:92 offset1:93
	s_waitcnt lgkmcnt(0)
	v_mul_f64 v[201:202], v[217:218], v[195:196]
	v_fma_f64 v[201:202], v[215:216], v[213:214], -v[201:202]
	v_mul_f64 v[215:216], v[215:216], v[195:196]
	v_add_f64 v[37:38], v[37:38], -v[201:202]
	v_fma_f64 v[215:216], v[217:218], v[213:214], v[215:216]
	v_add_f64 v[39:40], v[39:40], -v[215:216]
	ds_read2_b64 v[215:218], v253 offset0:94 offset1:95
	s_waitcnt lgkmcnt(0)
	v_mul_f64 v[201:202], v[217:218], v[195:196]
	v_fma_f64 v[201:202], v[215:216], v[213:214], -v[201:202]
	v_mul_f64 v[215:216], v[215:216], v[195:196]
	v_add_f64 v[33:34], v[33:34], -v[201:202]
	v_fma_f64 v[215:216], v[217:218], v[213:214], v[215:216]
	v_add_f64 v[35:36], v[35:36], -v[215:216]
	ds_read2_b64 v[215:218], v253 offset0:96 offset1:97
	s_waitcnt lgkmcnt(0)
	v_mul_f64 v[201:202], v[217:218], v[195:196]
	v_fma_f64 v[201:202], v[215:216], v[213:214], -v[201:202]
	v_mul_f64 v[215:216], v[215:216], v[195:196]
	v_add_f64 v[29:30], v[29:30], -v[201:202]
	v_fma_f64 v[215:216], v[217:218], v[213:214], v[215:216]
	v_add_f64 v[31:32], v[31:32], -v[215:216]
	ds_read2_b64 v[215:218], v253 offset0:98 offset1:99
	s_waitcnt lgkmcnt(0)
	v_mul_f64 v[201:202], v[217:218], v[195:196]
	v_fma_f64 v[201:202], v[215:216], v[213:214], -v[201:202]
	v_mul_f64 v[215:216], v[215:216], v[195:196]
	v_add_f64 v[25:26], v[25:26], -v[201:202]
	v_fma_f64 v[215:216], v[217:218], v[213:214], v[215:216]
	v_add_f64 v[27:28], v[27:28], -v[215:216]
	ds_read2_b64 v[215:218], v253 offset0:100 offset1:101
	s_waitcnt lgkmcnt(0)
	v_mul_f64 v[201:202], v[217:218], v[195:196]
	v_fma_f64 v[201:202], v[215:216], v[213:214], -v[201:202]
	v_mul_f64 v[215:216], v[215:216], v[195:196]
	v_add_f64 v[21:22], v[21:22], -v[201:202]
	v_fma_f64 v[215:216], v[217:218], v[213:214], v[215:216]
	v_add_f64 v[23:24], v[23:24], -v[215:216]
	ds_read2_b64 v[215:218], v253 offset0:102 offset1:103
	s_waitcnt lgkmcnt(0)
	v_mul_f64 v[201:202], v[217:218], v[195:196]
	v_fma_f64 v[201:202], v[215:216], v[213:214], -v[201:202]
	v_mul_f64 v[215:216], v[215:216], v[195:196]
	v_add_f64 v[17:18], v[17:18], -v[201:202]
	v_fma_f64 v[215:216], v[217:218], v[213:214], v[215:216]
	v_add_f64 v[19:20], v[19:20], -v[215:216]
	ds_read2_b64 v[215:218], v253 offset0:104 offset1:105
	s_waitcnt lgkmcnt(0)
	v_mul_f64 v[201:202], v[217:218], v[195:196]
	v_fma_f64 v[201:202], v[215:216], v[213:214], -v[201:202]
	v_mul_f64 v[215:216], v[215:216], v[195:196]
	v_add_f64 v[13:14], v[13:14], -v[201:202]
	v_fma_f64 v[215:216], v[217:218], v[213:214], v[215:216]
	v_add_f64 v[15:16], v[15:16], -v[215:216]
	ds_read2_b64 v[215:218], v253 offset0:106 offset1:107
	s_waitcnt lgkmcnt(0)
	v_mul_f64 v[201:202], v[217:218], v[195:196]
	v_fma_f64 v[201:202], v[215:216], v[213:214], -v[201:202]
	v_mul_f64 v[215:216], v[215:216], v[195:196]
	v_add_f64 v[9:10], v[9:10], -v[201:202]
	v_fma_f64 v[215:216], v[217:218], v[213:214], v[215:216]
	v_add_f64 v[11:12], v[11:12], -v[215:216]
	ds_read2_b64 v[215:218], v253 offset0:108 offset1:109
	s_waitcnt lgkmcnt(0)
	v_mul_f64 v[201:202], v[217:218], v[195:196]
	v_fma_f64 v[201:202], v[215:216], v[213:214], -v[201:202]
	v_mul_f64 v[215:216], v[215:216], v[195:196]
	v_add_f64 v[5:6], v[5:6], -v[201:202]
	v_fma_f64 v[215:216], v[217:218], v[213:214], v[215:216]
	v_add_f64 v[7:8], v[7:8], -v[215:216]
	ds_read2_b64 v[215:218], v253 offset0:110 offset1:111
	s_waitcnt lgkmcnt(0)
	v_mul_f64 v[201:202], v[217:218], v[195:196]
	v_fma_f64 v[201:202], v[215:216], v[213:214], -v[201:202]
	v_mul_f64 v[215:216], v[215:216], v[195:196]
	v_add_f64 v[1:2], v[1:2], -v[201:202]
	v_fma_f64 v[215:216], v[217:218], v[213:214], v[215:216]
	v_add_f64 v[3:4], v[3:4], -v[215:216]
.LBB111_55:
	s_or_b32 exec_lo, exec_lo, s1
	s_mov_b32 s2, exec_lo
	s_waitcnt_vscnt null, 0x0
	s_barrier
	buffer_gl0_inv
	v_cmpx_eq_u32_e32 6, v0
	s_cbranch_execz .LBB111_62
; %bb.56:
	s_clause 0x3
	buffer_load_dword v201, off, s[16:19], 0
	buffer_load_dword v202, off, s[16:19], 0 offset:4
	buffer_load_dword v203, off, s[16:19], 0 offset:8
	;; [unrolled: 1-line block ×3, first 2 shown]
	s_waitcnt vmcnt(0)
	ds_write2_b64 v255, v[201:202], v[203:204] offset1:1
	ds_write2_b64 v253, v[209:210], v[211:212] offset0:14 offset1:15
	ds_write2_b64 v253, v[189:190], v[191:192] offset0:16 offset1:17
	;; [unrolled: 1-line block ×49, first 2 shown]
	ds_read2_b64 v[213:216], v255 offset1:1
	s_waitcnt lgkmcnt(0)
	v_cmp_neq_f64_e32 vcc_lo, 0, v[213:214]
	v_cmp_neq_f64_e64 s1, 0, v[215:216]
	s_or_b32 s1, vcc_lo, s1
	s_and_b32 exec_lo, exec_lo, s1
	s_cbranch_execz .LBB111_62
; %bb.57:
	v_cmp_ngt_f64_e64 s1, |v[213:214]|, |v[215:216]|
                                        ; implicit-def: $vgpr217_vgpr218
	s_and_saveexec_b32 s3, s1
	s_xor_b32 s1, exec_lo, s3
                                        ; implicit-def: $vgpr219_vgpr220
	s_cbranch_execz .LBB111_59
; %bb.58:
	v_div_scale_f64 v[217:218], null, v[215:216], v[215:216], v[213:214]
	v_div_scale_f64 v[223:224], vcc_lo, v[213:214], v[215:216], v[213:214]
	v_rcp_f64_e32 v[219:220], v[217:218]
	v_fma_f64 v[221:222], -v[217:218], v[219:220], 1.0
	v_fma_f64 v[219:220], v[219:220], v[221:222], v[219:220]
	v_fma_f64 v[221:222], -v[217:218], v[219:220], 1.0
	v_fma_f64 v[219:220], v[219:220], v[221:222], v[219:220]
	v_mul_f64 v[221:222], v[223:224], v[219:220]
	v_fma_f64 v[217:218], -v[217:218], v[221:222], v[223:224]
	v_div_fmas_f64 v[217:218], v[217:218], v[219:220], v[221:222]
	v_div_fixup_f64 v[217:218], v[217:218], v[215:216], v[213:214]
	v_fma_f64 v[213:214], v[213:214], v[217:218], v[215:216]
	v_div_scale_f64 v[215:216], null, v[213:214], v[213:214], 1.0
	v_rcp_f64_e32 v[219:220], v[215:216]
	v_fma_f64 v[221:222], -v[215:216], v[219:220], 1.0
	v_fma_f64 v[219:220], v[219:220], v[221:222], v[219:220]
	v_fma_f64 v[221:222], -v[215:216], v[219:220], 1.0
	v_fma_f64 v[219:220], v[219:220], v[221:222], v[219:220]
	v_div_scale_f64 v[221:222], vcc_lo, 1.0, v[213:214], 1.0
	v_mul_f64 v[223:224], v[221:222], v[219:220]
	v_fma_f64 v[215:216], -v[215:216], v[223:224], v[221:222]
	v_div_fmas_f64 v[215:216], v[215:216], v[219:220], v[223:224]
	v_div_fixup_f64 v[219:220], v[215:216], v[213:214], 1.0
                                        ; implicit-def: $vgpr213_vgpr214
	v_mul_f64 v[217:218], v[217:218], v[219:220]
	v_xor_b32_e32 v220, 0x80000000, v220
.LBB111_59:
	s_andn2_saveexec_b32 s1, s1
	s_cbranch_execz .LBB111_61
; %bb.60:
	v_div_scale_f64 v[217:218], null, v[213:214], v[213:214], v[215:216]
	v_div_scale_f64 v[223:224], vcc_lo, v[215:216], v[213:214], v[215:216]
	v_rcp_f64_e32 v[219:220], v[217:218]
	v_fma_f64 v[221:222], -v[217:218], v[219:220], 1.0
	v_fma_f64 v[219:220], v[219:220], v[221:222], v[219:220]
	v_fma_f64 v[221:222], -v[217:218], v[219:220], 1.0
	v_fma_f64 v[219:220], v[219:220], v[221:222], v[219:220]
	v_mul_f64 v[221:222], v[223:224], v[219:220]
	v_fma_f64 v[217:218], -v[217:218], v[221:222], v[223:224]
	v_div_fmas_f64 v[217:218], v[217:218], v[219:220], v[221:222]
	v_div_fixup_f64 v[219:220], v[217:218], v[213:214], v[215:216]
	v_fma_f64 v[213:214], v[215:216], v[219:220], v[213:214]
	v_div_scale_f64 v[215:216], null, v[213:214], v[213:214], 1.0
	v_rcp_f64_e32 v[217:218], v[215:216]
	v_fma_f64 v[221:222], -v[215:216], v[217:218], 1.0
	v_fma_f64 v[217:218], v[217:218], v[221:222], v[217:218]
	v_fma_f64 v[221:222], -v[215:216], v[217:218], 1.0
	v_fma_f64 v[217:218], v[217:218], v[221:222], v[217:218]
	v_div_scale_f64 v[221:222], vcc_lo, 1.0, v[213:214], 1.0
	v_mul_f64 v[223:224], v[221:222], v[217:218]
	v_fma_f64 v[215:216], -v[215:216], v[223:224], v[221:222]
	v_div_fmas_f64 v[215:216], v[215:216], v[217:218], v[223:224]
	v_div_fixup_f64 v[217:218], v[215:216], v[213:214], 1.0
	v_mul_f64 v[219:220], v[219:220], -v[217:218]
.LBB111_61:
	s_or_b32 exec_lo, exec_lo, s1
	ds_write2_b64 v255, v[217:218], v[219:220] offset1:1
.LBB111_62:
	s_or_b32 exec_lo, exec_lo, s2
	s_waitcnt lgkmcnt(0)
	s_barrier
	buffer_gl0_inv
	ds_read2_b64 v[203:206], v255 offset1:1
	s_mov_b32 s1, exec_lo
	s_waitcnt lgkmcnt(0)
	buffer_store_dword v203, off, s[16:19], 0 offset:624 ; 4-byte Folded Spill
	buffer_store_dword v204, off, s[16:19], 0 offset:628 ; 4-byte Folded Spill
	;; [unrolled: 1-line block ×4, first 2 shown]
	v_cmpx_lt_u32_e32 6, v0
	s_cbranch_execz .LBB111_64
; %bb.63:
	s_clause 0x7
	buffer_load_dword v215, off, s[16:19], 0 offset:624
	buffer_load_dword v216, off, s[16:19], 0 offset:628
	;; [unrolled: 1-line block ×4, first 2 shown]
	buffer_load_dword v201, off, s[16:19], 0
	buffer_load_dword v202, off, s[16:19], 0 offset:4
	buffer_load_dword v203, off, s[16:19], 0 offset:8
	;; [unrolled: 1-line block ×3, first 2 shown]
	v_mov_b32_e32 v197, v199
	v_mov_b32_e32 v198, v200
	s_waitcnt vmcnt(0)
	v_mul_f64 v[199:200], v[215:216], v[203:204]
	v_mul_f64 v[213:214], v[217:218], v[203:204]
	v_fma_f64 v[203:204], v[217:218], v[201:202], v[199:200]
	v_fma_f64 v[213:214], v[215:216], v[201:202], -v[213:214]
	ds_read2_b64 v[215:218], v253 offset0:14 offset1:15
	v_mov_b32_e32 v200, v198
	v_mov_b32_e32 v199, v197
	s_waitcnt lgkmcnt(0)
	v_mul_f64 v[197:198], v[217:218], v[203:204]
	v_mov_b32_e32 v201, v213
	v_mov_b32_e32 v202, v214
	v_fma_f64 v[197:198], v[215:216], v[213:214], -v[197:198]
	v_mul_f64 v[215:216], v[215:216], v[203:204]
	v_add_f64 v[209:210], v[209:210], -v[197:198]
	v_fma_f64 v[215:216], v[217:218], v[213:214], v[215:216]
	v_add_f64 v[211:212], v[211:212], -v[215:216]
	ds_read2_b64 v[215:218], v253 offset0:16 offset1:17
	s_waitcnt lgkmcnt(0)
	v_mul_f64 v[197:198], v[217:218], v[203:204]
	v_fma_f64 v[197:198], v[215:216], v[213:214], -v[197:198]
	v_mul_f64 v[215:216], v[215:216], v[203:204]
	v_add_f64 v[189:190], v[189:190], -v[197:198]
	v_fma_f64 v[215:216], v[217:218], v[213:214], v[215:216]
	v_add_f64 v[191:192], v[191:192], -v[215:216]
	ds_read2_b64 v[215:218], v253 offset0:18 offset1:19
	s_waitcnt lgkmcnt(0)
	v_mul_f64 v[197:198], v[217:218], v[203:204]
	;; [unrolled: 8-line block ×48, first 2 shown]
	v_fma_f64 v[197:198], v[215:216], v[213:214], -v[197:198]
	v_mul_f64 v[215:216], v[215:216], v[203:204]
	buffer_store_dword v201, off, s[16:19], 0 ; 4-byte Folded Spill
	buffer_store_dword v202, off, s[16:19], 0 offset:4 ; 4-byte Folded Spill
	buffer_store_dword v203, off, s[16:19], 0 offset:8 ; 4-byte Folded Spill
	;; [unrolled: 1-line block ×3, first 2 shown]
	v_add_f64 v[1:2], v[1:2], -v[197:198]
	v_fma_f64 v[215:216], v[217:218], v[213:214], v[215:216]
	v_add_f64 v[3:4], v[3:4], -v[215:216]
.LBB111_64:
	s_or_b32 exec_lo, exec_lo, s1
	s_mov_b32 s2, exec_lo
	s_waitcnt_vscnt null, 0x0
	s_barrier
	buffer_gl0_inv
	v_cmpx_eq_u32_e32 7, v0
	s_cbranch_execz .LBB111_71
; %bb.65:
	ds_write2_b64 v255, v[209:210], v[211:212] offset1:1
	ds_write2_b64 v253, v[189:190], v[191:192] offset0:16 offset1:17
	ds_write2_b64 v253, v[185:186], v[187:188] offset0:18 offset1:19
	;; [unrolled: 1-line block ×48, first 2 shown]
	ds_read2_b64 v[213:216], v255 offset1:1
	s_waitcnt lgkmcnt(0)
	v_cmp_neq_f64_e32 vcc_lo, 0, v[213:214]
	v_cmp_neq_f64_e64 s1, 0, v[215:216]
	s_or_b32 s1, vcc_lo, s1
	s_and_b32 exec_lo, exec_lo, s1
	s_cbranch_execz .LBB111_71
; %bb.66:
	v_cmp_ngt_f64_e64 s1, |v[213:214]|, |v[215:216]|
                                        ; implicit-def: $vgpr217_vgpr218
	s_and_saveexec_b32 s3, s1
	s_xor_b32 s1, exec_lo, s3
                                        ; implicit-def: $vgpr219_vgpr220
	s_cbranch_execz .LBB111_68
; %bb.67:
	v_div_scale_f64 v[217:218], null, v[215:216], v[215:216], v[213:214]
	v_div_scale_f64 v[223:224], vcc_lo, v[213:214], v[215:216], v[213:214]
	v_rcp_f64_e32 v[219:220], v[217:218]
	v_fma_f64 v[221:222], -v[217:218], v[219:220], 1.0
	v_fma_f64 v[219:220], v[219:220], v[221:222], v[219:220]
	v_fma_f64 v[221:222], -v[217:218], v[219:220], 1.0
	v_fma_f64 v[219:220], v[219:220], v[221:222], v[219:220]
	v_mul_f64 v[221:222], v[223:224], v[219:220]
	v_fma_f64 v[217:218], -v[217:218], v[221:222], v[223:224]
	v_div_fmas_f64 v[217:218], v[217:218], v[219:220], v[221:222]
	v_div_fixup_f64 v[217:218], v[217:218], v[215:216], v[213:214]
	v_fma_f64 v[213:214], v[213:214], v[217:218], v[215:216]
	v_div_scale_f64 v[215:216], null, v[213:214], v[213:214], 1.0
	v_rcp_f64_e32 v[219:220], v[215:216]
	v_fma_f64 v[221:222], -v[215:216], v[219:220], 1.0
	v_fma_f64 v[219:220], v[219:220], v[221:222], v[219:220]
	v_fma_f64 v[221:222], -v[215:216], v[219:220], 1.0
	v_fma_f64 v[219:220], v[219:220], v[221:222], v[219:220]
	v_div_scale_f64 v[221:222], vcc_lo, 1.0, v[213:214], 1.0
	v_mul_f64 v[223:224], v[221:222], v[219:220]
	v_fma_f64 v[215:216], -v[215:216], v[223:224], v[221:222]
	v_div_fmas_f64 v[215:216], v[215:216], v[219:220], v[223:224]
	v_div_fixup_f64 v[219:220], v[215:216], v[213:214], 1.0
                                        ; implicit-def: $vgpr213_vgpr214
	v_mul_f64 v[217:218], v[217:218], v[219:220]
	v_xor_b32_e32 v220, 0x80000000, v220
.LBB111_68:
	s_andn2_saveexec_b32 s1, s1
	s_cbranch_execz .LBB111_70
; %bb.69:
	v_div_scale_f64 v[217:218], null, v[213:214], v[213:214], v[215:216]
	v_div_scale_f64 v[223:224], vcc_lo, v[215:216], v[213:214], v[215:216]
	v_rcp_f64_e32 v[219:220], v[217:218]
	v_fma_f64 v[221:222], -v[217:218], v[219:220], 1.0
	v_fma_f64 v[219:220], v[219:220], v[221:222], v[219:220]
	v_fma_f64 v[221:222], -v[217:218], v[219:220], 1.0
	v_fma_f64 v[219:220], v[219:220], v[221:222], v[219:220]
	v_mul_f64 v[221:222], v[223:224], v[219:220]
	v_fma_f64 v[217:218], -v[217:218], v[221:222], v[223:224]
	v_div_fmas_f64 v[217:218], v[217:218], v[219:220], v[221:222]
	v_div_fixup_f64 v[219:220], v[217:218], v[213:214], v[215:216]
	v_fma_f64 v[213:214], v[215:216], v[219:220], v[213:214]
	v_div_scale_f64 v[215:216], null, v[213:214], v[213:214], 1.0
	v_rcp_f64_e32 v[217:218], v[215:216]
	v_fma_f64 v[221:222], -v[215:216], v[217:218], 1.0
	v_fma_f64 v[217:218], v[217:218], v[221:222], v[217:218]
	v_fma_f64 v[221:222], -v[215:216], v[217:218], 1.0
	v_fma_f64 v[217:218], v[217:218], v[221:222], v[217:218]
	v_div_scale_f64 v[221:222], vcc_lo, 1.0, v[213:214], 1.0
	v_mul_f64 v[223:224], v[221:222], v[217:218]
	v_fma_f64 v[215:216], -v[215:216], v[223:224], v[221:222]
	v_div_fmas_f64 v[215:216], v[215:216], v[217:218], v[223:224]
	v_div_fixup_f64 v[217:218], v[215:216], v[213:214], 1.0
	v_mul_f64 v[219:220], v[219:220], -v[217:218]
.LBB111_70:
	s_or_b32 exec_lo, exec_lo, s1
	ds_write2_b64 v255, v[217:218], v[219:220] offset1:1
.LBB111_71:
	s_or_b32 exec_lo, exec_lo, s2
	s_waitcnt lgkmcnt(0)
	s_barrier
	buffer_gl0_inv
	ds_read2_b64 v[203:206], v255 offset1:1
	v_cmp_lt_u32_e32 vcc_lo, 7, v0
	s_waitcnt lgkmcnt(0)
	buffer_store_dword v203, off, s[16:19], 0 offset:640 ; 4-byte Folded Spill
	buffer_store_dword v204, off, s[16:19], 0 offset:644 ; 4-byte Folded Spill
	buffer_store_dword v205, off, s[16:19], 0 offset:648 ; 4-byte Folded Spill
	buffer_store_dword v206, off, s[16:19], 0 offset:652 ; 4-byte Folded Spill
	s_mov_b32 s1, exec_lo
	s_and_b32 s2, s1, vcc_lo
	buffer_store_dword v193, off, s[16:19], 0 offset:96 ; 4-byte Folded Spill
	buffer_store_dword v194, off, s[16:19], 0 offset:100 ; 4-byte Folded Spill
	;; [unrolled: 1-line block ×4, first 2 shown]
	s_mov_b32 exec_lo, s2
	s_cbranch_execz .LBB111_73
; %bb.72:
	s_clause 0x3
	buffer_load_dword v203, off, s[16:19], 0 offset:640
	buffer_load_dword v204, off, s[16:19], 0 offset:644
	;; [unrolled: 1-line block ×4, first 2 shown]
	ds_read2_b64 v[215:218], v253 offset0:16 offset1:17
	s_waitcnt vmcnt(2)
	v_mul_f64 v[195:196], v[203:204], v[211:212]
	s_waitcnt vmcnt(0)
	v_mul_f64 v[213:214], v[205:206], v[211:212]
	v_fma_f64 v[211:212], v[205:206], v[209:210], v[195:196]
	v_fma_f64 v[213:214], v[203:204], v[209:210], -v[213:214]
	s_waitcnt lgkmcnt(0)
	v_mul_f64 v[193:194], v[217:218], v[211:212]
	v_mov_b32_e32 v209, v213
	v_mov_b32_e32 v210, v214
	v_fma_f64 v[193:194], v[215:216], v[213:214], -v[193:194]
	v_mul_f64 v[215:216], v[215:216], v[211:212]
	v_add_f64 v[189:190], v[189:190], -v[193:194]
	v_fma_f64 v[215:216], v[217:218], v[213:214], v[215:216]
	v_add_f64 v[191:192], v[191:192], -v[215:216]
	ds_read2_b64 v[215:218], v253 offset0:18 offset1:19
	s_waitcnt lgkmcnt(0)
	v_mul_f64 v[193:194], v[217:218], v[211:212]
	v_fma_f64 v[193:194], v[215:216], v[213:214], -v[193:194]
	v_mul_f64 v[215:216], v[215:216], v[211:212]
	v_add_f64 v[185:186], v[185:186], -v[193:194]
	v_fma_f64 v[215:216], v[217:218], v[213:214], v[215:216]
	v_add_f64 v[187:188], v[187:188], -v[215:216]
	ds_read2_b64 v[215:218], v253 offset0:20 offset1:21
	s_waitcnt lgkmcnt(0)
	v_mul_f64 v[193:194], v[217:218], v[211:212]
	;; [unrolled: 8-line block ×47, first 2 shown]
	v_fma_f64 v[193:194], v[215:216], v[213:214], -v[193:194]
	v_mul_f64 v[215:216], v[215:216], v[211:212]
	v_add_f64 v[1:2], v[1:2], -v[193:194]
	s_clause 0x3
	buffer_load_dword v193, off, s[16:19], 0 offset:96
	buffer_load_dword v194, off, s[16:19], 0 offset:100
	;; [unrolled: 1-line block ×4, first 2 shown]
	v_fma_f64 v[215:216], v[217:218], v[213:214], v[215:216]
	v_add_f64 v[3:4], v[3:4], -v[215:216]
.LBB111_73:
	s_or_b32 exec_lo, exec_lo, s1
	s_mov_b32 s2, exec_lo
	s_waitcnt vmcnt(0)
	s_waitcnt_vscnt null, 0x0
	s_barrier
	buffer_gl0_inv
	v_cmpx_eq_u32_e32 8, v0
	s_cbranch_execz .LBB111_80
; %bb.74:
	ds_write2_b64 v255, v[189:190], v[191:192] offset1:1
	ds_write2_b64 v253, v[185:186], v[187:188] offset0:18 offset1:19
	ds_write2_b64 v253, v[181:182], v[183:184] offset0:20 offset1:21
	;; [unrolled: 1-line block ×47, first 2 shown]
	ds_read2_b64 v[213:216], v255 offset1:1
	s_waitcnt lgkmcnt(0)
	v_cmp_neq_f64_e32 vcc_lo, 0, v[213:214]
	v_cmp_neq_f64_e64 s1, 0, v[215:216]
	s_or_b32 s1, vcc_lo, s1
	s_and_b32 exec_lo, exec_lo, s1
	s_cbranch_execz .LBB111_80
; %bb.75:
	v_cmp_ngt_f64_e64 s1, |v[213:214]|, |v[215:216]|
                                        ; implicit-def: $vgpr217_vgpr218
	s_and_saveexec_b32 s3, s1
	s_xor_b32 s1, exec_lo, s3
                                        ; implicit-def: $vgpr219_vgpr220
	s_cbranch_execz .LBB111_77
; %bb.76:
	v_div_scale_f64 v[217:218], null, v[215:216], v[215:216], v[213:214]
	v_div_scale_f64 v[223:224], vcc_lo, v[213:214], v[215:216], v[213:214]
	v_rcp_f64_e32 v[219:220], v[217:218]
	v_fma_f64 v[221:222], -v[217:218], v[219:220], 1.0
	v_fma_f64 v[219:220], v[219:220], v[221:222], v[219:220]
	v_fma_f64 v[221:222], -v[217:218], v[219:220], 1.0
	v_fma_f64 v[219:220], v[219:220], v[221:222], v[219:220]
	v_mul_f64 v[221:222], v[223:224], v[219:220]
	v_fma_f64 v[217:218], -v[217:218], v[221:222], v[223:224]
	v_div_fmas_f64 v[217:218], v[217:218], v[219:220], v[221:222]
	v_div_fixup_f64 v[217:218], v[217:218], v[215:216], v[213:214]
	v_fma_f64 v[213:214], v[213:214], v[217:218], v[215:216]
	v_div_scale_f64 v[215:216], null, v[213:214], v[213:214], 1.0
	v_rcp_f64_e32 v[219:220], v[215:216]
	v_fma_f64 v[221:222], -v[215:216], v[219:220], 1.0
	v_fma_f64 v[219:220], v[219:220], v[221:222], v[219:220]
	v_fma_f64 v[221:222], -v[215:216], v[219:220], 1.0
	v_fma_f64 v[219:220], v[219:220], v[221:222], v[219:220]
	v_div_scale_f64 v[221:222], vcc_lo, 1.0, v[213:214], 1.0
	v_mul_f64 v[223:224], v[221:222], v[219:220]
	v_fma_f64 v[215:216], -v[215:216], v[223:224], v[221:222]
	v_div_fmas_f64 v[215:216], v[215:216], v[219:220], v[223:224]
	v_div_fixup_f64 v[219:220], v[215:216], v[213:214], 1.0
                                        ; implicit-def: $vgpr213_vgpr214
	v_mul_f64 v[217:218], v[217:218], v[219:220]
	v_xor_b32_e32 v220, 0x80000000, v220
.LBB111_77:
	s_andn2_saveexec_b32 s1, s1
	s_cbranch_execz .LBB111_79
; %bb.78:
	v_div_scale_f64 v[217:218], null, v[213:214], v[213:214], v[215:216]
	v_div_scale_f64 v[223:224], vcc_lo, v[215:216], v[213:214], v[215:216]
	v_rcp_f64_e32 v[219:220], v[217:218]
	v_fma_f64 v[221:222], -v[217:218], v[219:220], 1.0
	v_fma_f64 v[219:220], v[219:220], v[221:222], v[219:220]
	v_fma_f64 v[221:222], -v[217:218], v[219:220], 1.0
	v_fma_f64 v[219:220], v[219:220], v[221:222], v[219:220]
	v_mul_f64 v[221:222], v[223:224], v[219:220]
	v_fma_f64 v[217:218], -v[217:218], v[221:222], v[223:224]
	v_div_fmas_f64 v[217:218], v[217:218], v[219:220], v[221:222]
	v_div_fixup_f64 v[219:220], v[217:218], v[213:214], v[215:216]
	v_fma_f64 v[213:214], v[215:216], v[219:220], v[213:214]
	v_div_scale_f64 v[215:216], null, v[213:214], v[213:214], 1.0
	v_rcp_f64_e32 v[217:218], v[215:216]
	v_fma_f64 v[221:222], -v[215:216], v[217:218], 1.0
	v_fma_f64 v[217:218], v[217:218], v[221:222], v[217:218]
	v_fma_f64 v[221:222], -v[215:216], v[217:218], 1.0
	v_fma_f64 v[217:218], v[217:218], v[221:222], v[217:218]
	v_div_scale_f64 v[221:222], vcc_lo, 1.0, v[213:214], 1.0
	v_mul_f64 v[223:224], v[221:222], v[217:218]
	v_fma_f64 v[215:216], -v[215:216], v[223:224], v[221:222]
	v_div_fmas_f64 v[215:216], v[215:216], v[217:218], v[223:224]
	v_div_fixup_f64 v[217:218], v[215:216], v[213:214], 1.0
	v_mul_f64 v[219:220], v[219:220], -v[217:218]
.LBB111_79:
	s_or_b32 exec_lo, exec_lo, s1
	ds_write2_b64 v255, v[217:218], v[219:220] offset1:1
.LBB111_80:
	s_or_b32 exec_lo, exec_lo, s2
	s_waitcnt lgkmcnt(0)
	s_barrier
	buffer_gl0_inv
	ds_read2_b64 v[203:206], v255 offset1:1
	s_mov_b32 s1, exec_lo
	s_waitcnt lgkmcnt(0)
	buffer_store_dword v203, off, s[16:19], 0 offset:656 ; 4-byte Folded Spill
	buffer_store_dword v204, off, s[16:19], 0 offset:660 ; 4-byte Folded Spill
	;; [unrolled: 1-line block ×4, first 2 shown]
	v_cmpx_lt_u32_e32 8, v0
	s_cbranch_execz .LBB111_82
; %bb.81:
	s_clause 0x3
	buffer_load_dword v203, off, s[16:19], 0 offset:656
	buffer_load_dword v204, off, s[16:19], 0 offset:660
	;; [unrolled: 1-line block ×4, first 2 shown]
	ds_read2_b64 v[215:218], v253 offset0:18 offset1:19
	s_waitcnt vmcnt(0)
	v_mul_f64 v[213:214], v[205:206], v[191:192]
	v_mul_f64 v[191:192], v[203:204], v[191:192]
	v_fma_f64 v[213:214], v[203:204], v[189:190], -v[213:214]
	v_fma_f64 v[191:192], v[205:206], v[189:190], v[191:192]
	s_waitcnt lgkmcnt(0)
	v_mul_f64 v[189:190], v[217:218], v[191:192]
	v_fma_f64 v[189:190], v[215:216], v[213:214], -v[189:190]
	v_mul_f64 v[215:216], v[215:216], v[191:192]
	v_add_f64 v[185:186], v[185:186], -v[189:190]
	v_fma_f64 v[215:216], v[217:218], v[213:214], v[215:216]
	v_add_f64 v[187:188], v[187:188], -v[215:216]
	ds_read2_b64 v[215:218], v253 offset0:20 offset1:21
	s_waitcnt lgkmcnt(0)
	v_mul_f64 v[189:190], v[217:218], v[191:192]
	v_fma_f64 v[189:190], v[215:216], v[213:214], -v[189:190]
	v_mul_f64 v[215:216], v[215:216], v[191:192]
	v_add_f64 v[181:182], v[181:182], -v[189:190]
	v_fma_f64 v[215:216], v[217:218], v[213:214], v[215:216]
	v_add_f64 v[183:184], v[183:184], -v[215:216]
	ds_read2_b64 v[215:218], v253 offset0:22 offset1:23
	;; [unrolled: 8-line block ×46, first 2 shown]
	s_waitcnt lgkmcnt(0)
	v_mul_f64 v[189:190], v[217:218], v[191:192]
	v_fma_f64 v[189:190], v[215:216], v[213:214], -v[189:190]
	v_mul_f64 v[215:216], v[215:216], v[191:192]
	v_add_f64 v[1:2], v[1:2], -v[189:190]
	v_fma_f64 v[215:216], v[217:218], v[213:214], v[215:216]
	v_mov_b32_e32 v189, v213
	v_mov_b32_e32 v190, v214
	v_add_f64 v[3:4], v[3:4], -v[215:216]
.LBB111_82:
	s_or_b32 exec_lo, exec_lo, s1
	s_mov_b32 s2, exec_lo
	s_waitcnt_vscnt null, 0x0
	s_barrier
	buffer_gl0_inv
	v_cmpx_eq_u32_e32 9, v0
	s_cbranch_execz .LBB111_89
; %bb.83:
	ds_write2_b64 v255, v[185:186], v[187:188] offset1:1
	ds_write2_b64 v253, v[181:182], v[183:184] offset0:20 offset1:21
	ds_write2_b64 v253, v[177:178], v[179:180] offset0:22 offset1:23
	;; [unrolled: 1-line block ×46, first 2 shown]
	ds_read2_b64 v[213:216], v255 offset1:1
	s_waitcnt lgkmcnt(0)
	v_cmp_neq_f64_e32 vcc_lo, 0, v[213:214]
	v_cmp_neq_f64_e64 s1, 0, v[215:216]
	s_or_b32 s1, vcc_lo, s1
	s_and_b32 exec_lo, exec_lo, s1
	s_cbranch_execz .LBB111_89
; %bb.84:
	v_cmp_ngt_f64_e64 s1, |v[213:214]|, |v[215:216]|
                                        ; implicit-def: $vgpr217_vgpr218
	s_and_saveexec_b32 s3, s1
	s_xor_b32 s1, exec_lo, s3
                                        ; implicit-def: $vgpr219_vgpr220
	s_cbranch_execz .LBB111_86
; %bb.85:
	v_div_scale_f64 v[217:218], null, v[215:216], v[215:216], v[213:214]
	v_div_scale_f64 v[223:224], vcc_lo, v[213:214], v[215:216], v[213:214]
	v_rcp_f64_e32 v[219:220], v[217:218]
	v_fma_f64 v[221:222], -v[217:218], v[219:220], 1.0
	v_fma_f64 v[219:220], v[219:220], v[221:222], v[219:220]
	v_fma_f64 v[221:222], -v[217:218], v[219:220], 1.0
	v_fma_f64 v[219:220], v[219:220], v[221:222], v[219:220]
	v_mul_f64 v[221:222], v[223:224], v[219:220]
	v_fma_f64 v[217:218], -v[217:218], v[221:222], v[223:224]
	v_div_fmas_f64 v[217:218], v[217:218], v[219:220], v[221:222]
	v_div_fixup_f64 v[217:218], v[217:218], v[215:216], v[213:214]
	v_fma_f64 v[213:214], v[213:214], v[217:218], v[215:216]
	v_div_scale_f64 v[215:216], null, v[213:214], v[213:214], 1.0
	v_rcp_f64_e32 v[219:220], v[215:216]
	v_fma_f64 v[221:222], -v[215:216], v[219:220], 1.0
	v_fma_f64 v[219:220], v[219:220], v[221:222], v[219:220]
	v_fma_f64 v[221:222], -v[215:216], v[219:220], 1.0
	v_fma_f64 v[219:220], v[219:220], v[221:222], v[219:220]
	v_div_scale_f64 v[221:222], vcc_lo, 1.0, v[213:214], 1.0
	v_mul_f64 v[223:224], v[221:222], v[219:220]
	v_fma_f64 v[215:216], -v[215:216], v[223:224], v[221:222]
	v_div_fmas_f64 v[215:216], v[215:216], v[219:220], v[223:224]
	v_div_fixup_f64 v[219:220], v[215:216], v[213:214], 1.0
                                        ; implicit-def: $vgpr213_vgpr214
	v_mul_f64 v[217:218], v[217:218], v[219:220]
	v_xor_b32_e32 v220, 0x80000000, v220
.LBB111_86:
	s_andn2_saveexec_b32 s1, s1
	s_cbranch_execz .LBB111_88
; %bb.87:
	v_div_scale_f64 v[217:218], null, v[213:214], v[213:214], v[215:216]
	v_div_scale_f64 v[223:224], vcc_lo, v[215:216], v[213:214], v[215:216]
	v_rcp_f64_e32 v[219:220], v[217:218]
	v_fma_f64 v[221:222], -v[217:218], v[219:220], 1.0
	v_fma_f64 v[219:220], v[219:220], v[221:222], v[219:220]
	v_fma_f64 v[221:222], -v[217:218], v[219:220], 1.0
	v_fma_f64 v[219:220], v[219:220], v[221:222], v[219:220]
	v_mul_f64 v[221:222], v[223:224], v[219:220]
	v_fma_f64 v[217:218], -v[217:218], v[221:222], v[223:224]
	v_div_fmas_f64 v[217:218], v[217:218], v[219:220], v[221:222]
	v_div_fixup_f64 v[219:220], v[217:218], v[213:214], v[215:216]
	v_fma_f64 v[213:214], v[215:216], v[219:220], v[213:214]
	v_div_scale_f64 v[215:216], null, v[213:214], v[213:214], 1.0
	v_rcp_f64_e32 v[217:218], v[215:216]
	v_fma_f64 v[221:222], -v[215:216], v[217:218], 1.0
	v_fma_f64 v[217:218], v[217:218], v[221:222], v[217:218]
	v_fma_f64 v[221:222], -v[215:216], v[217:218], 1.0
	v_fma_f64 v[217:218], v[217:218], v[221:222], v[217:218]
	v_div_scale_f64 v[221:222], vcc_lo, 1.0, v[213:214], 1.0
	v_mul_f64 v[223:224], v[221:222], v[217:218]
	v_fma_f64 v[215:216], -v[215:216], v[223:224], v[221:222]
	v_div_fmas_f64 v[215:216], v[215:216], v[217:218], v[223:224]
	v_div_fixup_f64 v[217:218], v[215:216], v[213:214], 1.0
	v_mul_f64 v[219:220], v[219:220], -v[217:218]
.LBB111_88:
	s_or_b32 exec_lo, exec_lo, s1
	ds_write2_b64 v255, v[217:218], v[219:220] offset1:1
.LBB111_89:
	s_or_b32 exec_lo, exec_lo, s2
	s_waitcnt lgkmcnt(0)
	s_barrier
	buffer_gl0_inv
	ds_read2_b64 v[203:206], v255 offset1:1
	s_mov_b32 s1, exec_lo
	s_waitcnt lgkmcnt(0)
	buffer_store_dword v203, off, s[16:19], 0 offset:672 ; 4-byte Folded Spill
	buffer_store_dword v204, off, s[16:19], 0 offset:676 ; 4-byte Folded Spill
	;; [unrolled: 1-line block ×4, first 2 shown]
	v_cmpx_lt_u32_e32 9, v0
	s_cbranch_execz .LBB111_91
; %bb.90:
	s_clause 0x3
	buffer_load_dword v203, off, s[16:19], 0 offset:672
	buffer_load_dword v204, off, s[16:19], 0 offset:676
	;; [unrolled: 1-line block ×4, first 2 shown]
	ds_read2_b64 v[215:218], v253 offset0:20 offset1:21
	s_waitcnt vmcnt(0)
	v_mul_f64 v[213:214], v[205:206], v[187:188]
	v_mul_f64 v[187:188], v[203:204], v[187:188]
	v_fma_f64 v[213:214], v[203:204], v[185:186], -v[213:214]
	v_fma_f64 v[187:188], v[205:206], v[185:186], v[187:188]
	s_waitcnt lgkmcnt(0)
	v_mul_f64 v[185:186], v[217:218], v[187:188]
	v_fma_f64 v[185:186], v[215:216], v[213:214], -v[185:186]
	v_mul_f64 v[215:216], v[215:216], v[187:188]
	v_add_f64 v[181:182], v[181:182], -v[185:186]
	v_fma_f64 v[215:216], v[217:218], v[213:214], v[215:216]
	v_add_f64 v[183:184], v[183:184], -v[215:216]
	ds_read2_b64 v[215:218], v253 offset0:22 offset1:23
	s_waitcnt lgkmcnt(0)
	v_mul_f64 v[185:186], v[217:218], v[187:188]
	v_fma_f64 v[185:186], v[215:216], v[213:214], -v[185:186]
	v_mul_f64 v[215:216], v[215:216], v[187:188]
	v_add_f64 v[177:178], v[177:178], -v[185:186]
	v_fma_f64 v[215:216], v[217:218], v[213:214], v[215:216]
	v_add_f64 v[179:180], v[179:180], -v[215:216]
	ds_read2_b64 v[215:218], v253 offset0:24 offset1:25
	s_waitcnt lgkmcnt(0)
	v_mul_f64 v[185:186], v[217:218], v[187:188]
	v_fma_f64 v[185:186], v[215:216], v[213:214], -v[185:186]
	v_mul_f64 v[215:216], v[215:216], v[187:188]
	v_add_f64 v[173:174], v[173:174], -v[185:186]
	v_fma_f64 v[215:216], v[217:218], v[213:214], v[215:216]
	v_add_f64 v[175:176], v[175:176], -v[215:216]
	ds_read2_b64 v[215:218], v253 offset0:26 offset1:27
	s_waitcnt lgkmcnt(0)
	v_mul_f64 v[185:186], v[217:218], v[187:188]
	v_fma_f64 v[185:186], v[215:216], v[213:214], -v[185:186]
	v_mul_f64 v[215:216], v[215:216], v[187:188]
	v_add_f64 v[169:170], v[169:170], -v[185:186]
	v_fma_f64 v[215:216], v[217:218], v[213:214], v[215:216]
	v_add_f64 v[171:172], v[171:172], -v[215:216]
	ds_read2_b64 v[215:218], v253 offset0:28 offset1:29
	s_waitcnt lgkmcnt(0)
	v_mul_f64 v[185:186], v[217:218], v[187:188]
	v_fma_f64 v[185:186], v[215:216], v[213:214], -v[185:186]
	v_mul_f64 v[215:216], v[215:216], v[187:188]
	v_add_f64 v[165:166], v[165:166], -v[185:186]
	v_fma_f64 v[215:216], v[217:218], v[213:214], v[215:216]
	v_add_f64 v[167:168], v[167:168], -v[215:216]
	ds_read2_b64 v[215:218], v253 offset0:30 offset1:31
	s_waitcnt lgkmcnt(0)
	v_mul_f64 v[185:186], v[217:218], v[187:188]
	v_fma_f64 v[185:186], v[215:216], v[213:214], -v[185:186]
	v_mul_f64 v[215:216], v[215:216], v[187:188]
	v_add_f64 v[161:162], v[161:162], -v[185:186]
	v_fma_f64 v[215:216], v[217:218], v[213:214], v[215:216]
	v_add_f64 v[163:164], v[163:164], -v[215:216]
	ds_read2_b64 v[215:218], v253 offset0:32 offset1:33
	s_waitcnt lgkmcnt(0)
	v_mul_f64 v[185:186], v[217:218], v[187:188]
	v_fma_f64 v[185:186], v[215:216], v[213:214], -v[185:186]
	v_mul_f64 v[215:216], v[215:216], v[187:188]
	v_add_f64 v[157:158], v[157:158], -v[185:186]
	v_fma_f64 v[215:216], v[217:218], v[213:214], v[215:216]
	v_add_f64 v[159:160], v[159:160], -v[215:216]
	ds_read2_b64 v[215:218], v253 offset0:34 offset1:35
	s_waitcnt lgkmcnt(0)
	v_mul_f64 v[185:186], v[217:218], v[187:188]
	v_fma_f64 v[185:186], v[215:216], v[213:214], -v[185:186]
	v_mul_f64 v[215:216], v[215:216], v[187:188]
	v_add_f64 v[153:154], v[153:154], -v[185:186]
	v_fma_f64 v[215:216], v[217:218], v[213:214], v[215:216]
	v_add_f64 v[155:156], v[155:156], -v[215:216]
	ds_read2_b64 v[215:218], v253 offset0:36 offset1:37
	s_waitcnt lgkmcnt(0)
	v_mul_f64 v[185:186], v[217:218], v[187:188]
	v_fma_f64 v[185:186], v[215:216], v[213:214], -v[185:186]
	v_mul_f64 v[215:216], v[215:216], v[187:188]
	v_add_f64 v[149:150], v[149:150], -v[185:186]
	v_fma_f64 v[215:216], v[217:218], v[213:214], v[215:216]
	v_add_f64 v[151:152], v[151:152], -v[215:216]
	ds_read2_b64 v[215:218], v253 offset0:38 offset1:39
	s_waitcnt lgkmcnt(0)
	v_mul_f64 v[185:186], v[217:218], v[187:188]
	v_fma_f64 v[185:186], v[215:216], v[213:214], -v[185:186]
	v_mul_f64 v[215:216], v[215:216], v[187:188]
	v_add_f64 v[145:146], v[145:146], -v[185:186]
	v_fma_f64 v[215:216], v[217:218], v[213:214], v[215:216]
	v_add_f64 v[147:148], v[147:148], -v[215:216]
	ds_read2_b64 v[215:218], v253 offset0:40 offset1:41
	s_waitcnt lgkmcnt(0)
	v_mul_f64 v[185:186], v[217:218], v[187:188]
	v_fma_f64 v[185:186], v[215:216], v[213:214], -v[185:186]
	v_mul_f64 v[215:216], v[215:216], v[187:188]
	v_add_f64 v[141:142], v[141:142], -v[185:186]
	v_fma_f64 v[215:216], v[217:218], v[213:214], v[215:216]
	v_add_f64 v[143:144], v[143:144], -v[215:216]
	ds_read2_b64 v[215:218], v253 offset0:42 offset1:43
	s_waitcnt lgkmcnt(0)
	v_mul_f64 v[185:186], v[217:218], v[187:188]
	v_fma_f64 v[185:186], v[215:216], v[213:214], -v[185:186]
	v_mul_f64 v[215:216], v[215:216], v[187:188]
	v_add_f64 v[137:138], v[137:138], -v[185:186]
	v_fma_f64 v[215:216], v[217:218], v[213:214], v[215:216]
	v_add_f64 v[139:140], v[139:140], -v[215:216]
	ds_read2_b64 v[215:218], v253 offset0:44 offset1:45
	s_waitcnt lgkmcnt(0)
	v_mul_f64 v[185:186], v[217:218], v[187:188]
	v_fma_f64 v[185:186], v[215:216], v[213:214], -v[185:186]
	v_mul_f64 v[215:216], v[215:216], v[187:188]
	v_add_f64 v[133:134], v[133:134], -v[185:186]
	v_fma_f64 v[215:216], v[217:218], v[213:214], v[215:216]
	v_add_f64 v[135:136], v[135:136], -v[215:216]
	ds_read2_b64 v[215:218], v253 offset0:46 offset1:47
	s_waitcnt lgkmcnt(0)
	v_mul_f64 v[185:186], v[217:218], v[187:188]
	v_fma_f64 v[185:186], v[215:216], v[213:214], -v[185:186]
	v_mul_f64 v[215:216], v[215:216], v[187:188]
	v_add_f64 v[129:130], v[129:130], -v[185:186]
	v_fma_f64 v[215:216], v[217:218], v[213:214], v[215:216]
	v_add_f64 v[131:132], v[131:132], -v[215:216]
	ds_read2_b64 v[215:218], v253 offset0:48 offset1:49
	s_waitcnt lgkmcnt(0)
	v_mul_f64 v[185:186], v[217:218], v[187:188]
	v_fma_f64 v[185:186], v[215:216], v[213:214], -v[185:186]
	v_mul_f64 v[215:216], v[215:216], v[187:188]
	v_add_f64 v[125:126], v[125:126], -v[185:186]
	v_fma_f64 v[215:216], v[217:218], v[213:214], v[215:216]
	v_add_f64 v[127:128], v[127:128], -v[215:216]
	ds_read2_b64 v[215:218], v253 offset0:50 offset1:51
	s_waitcnt lgkmcnt(0)
	v_mul_f64 v[185:186], v[217:218], v[187:188]
	v_fma_f64 v[185:186], v[215:216], v[213:214], -v[185:186]
	v_mul_f64 v[215:216], v[215:216], v[187:188]
	v_add_f64 v[121:122], v[121:122], -v[185:186]
	v_fma_f64 v[215:216], v[217:218], v[213:214], v[215:216]
	v_add_f64 v[123:124], v[123:124], -v[215:216]
	ds_read2_b64 v[215:218], v253 offset0:52 offset1:53
	s_waitcnt lgkmcnt(0)
	v_mul_f64 v[185:186], v[217:218], v[187:188]
	v_fma_f64 v[185:186], v[215:216], v[213:214], -v[185:186]
	v_mul_f64 v[215:216], v[215:216], v[187:188]
	v_add_f64 v[117:118], v[117:118], -v[185:186]
	v_fma_f64 v[215:216], v[217:218], v[213:214], v[215:216]
	v_add_f64 v[119:120], v[119:120], -v[215:216]
	ds_read2_b64 v[215:218], v253 offset0:54 offset1:55
	s_waitcnt lgkmcnt(0)
	v_mul_f64 v[185:186], v[217:218], v[187:188]
	v_fma_f64 v[185:186], v[215:216], v[213:214], -v[185:186]
	v_mul_f64 v[215:216], v[215:216], v[187:188]
	v_add_f64 v[113:114], v[113:114], -v[185:186]
	v_fma_f64 v[215:216], v[217:218], v[213:214], v[215:216]
	v_add_f64 v[115:116], v[115:116], -v[215:216]
	ds_read2_b64 v[215:218], v253 offset0:56 offset1:57
	s_waitcnt lgkmcnt(0)
	v_mul_f64 v[185:186], v[217:218], v[187:188]
	v_fma_f64 v[185:186], v[215:216], v[213:214], -v[185:186]
	v_mul_f64 v[215:216], v[215:216], v[187:188]
	v_add_f64 v[109:110], v[109:110], -v[185:186]
	v_fma_f64 v[215:216], v[217:218], v[213:214], v[215:216]
	v_add_f64 v[111:112], v[111:112], -v[215:216]
	ds_read2_b64 v[215:218], v253 offset0:58 offset1:59
	s_waitcnt lgkmcnt(0)
	v_mul_f64 v[185:186], v[217:218], v[187:188]
	v_fma_f64 v[185:186], v[215:216], v[213:214], -v[185:186]
	v_mul_f64 v[215:216], v[215:216], v[187:188]
	v_add_f64 v[105:106], v[105:106], -v[185:186]
	v_fma_f64 v[215:216], v[217:218], v[213:214], v[215:216]
	v_add_f64 v[107:108], v[107:108], -v[215:216]
	ds_read2_b64 v[215:218], v253 offset0:60 offset1:61
	s_waitcnt lgkmcnt(0)
	v_mul_f64 v[185:186], v[217:218], v[187:188]
	v_fma_f64 v[185:186], v[215:216], v[213:214], -v[185:186]
	v_mul_f64 v[215:216], v[215:216], v[187:188]
	v_add_f64 v[101:102], v[101:102], -v[185:186]
	v_fma_f64 v[215:216], v[217:218], v[213:214], v[215:216]
	v_add_f64 v[103:104], v[103:104], -v[215:216]
	ds_read2_b64 v[215:218], v253 offset0:62 offset1:63
	s_waitcnt lgkmcnt(0)
	v_mul_f64 v[185:186], v[217:218], v[187:188]
	v_fma_f64 v[185:186], v[215:216], v[213:214], -v[185:186]
	v_mul_f64 v[215:216], v[215:216], v[187:188]
	v_add_f64 v[97:98], v[97:98], -v[185:186]
	v_fma_f64 v[215:216], v[217:218], v[213:214], v[215:216]
	v_add_f64 v[99:100], v[99:100], -v[215:216]
	ds_read2_b64 v[215:218], v253 offset0:64 offset1:65
	s_waitcnt lgkmcnt(0)
	v_mul_f64 v[185:186], v[217:218], v[187:188]
	v_fma_f64 v[185:186], v[215:216], v[213:214], -v[185:186]
	v_mul_f64 v[215:216], v[215:216], v[187:188]
	v_add_f64 v[93:94], v[93:94], -v[185:186]
	v_fma_f64 v[215:216], v[217:218], v[213:214], v[215:216]
	v_add_f64 v[95:96], v[95:96], -v[215:216]
	ds_read2_b64 v[215:218], v253 offset0:66 offset1:67
	s_waitcnt lgkmcnt(0)
	v_mul_f64 v[185:186], v[217:218], v[187:188]
	v_fma_f64 v[185:186], v[215:216], v[213:214], -v[185:186]
	v_mul_f64 v[215:216], v[215:216], v[187:188]
	v_add_f64 v[89:90], v[89:90], -v[185:186]
	v_fma_f64 v[215:216], v[217:218], v[213:214], v[215:216]
	v_add_f64 v[91:92], v[91:92], -v[215:216]
	ds_read2_b64 v[215:218], v253 offset0:68 offset1:69
	s_waitcnt lgkmcnt(0)
	v_mul_f64 v[185:186], v[217:218], v[187:188]
	v_fma_f64 v[185:186], v[215:216], v[213:214], -v[185:186]
	v_mul_f64 v[215:216], v[215:216], v[187:188]
	v_add_f64 v[85:86], v[85:86], -v[185:186]
	v_fma_f64 v[215:216], v[217:218], v[213:214], v[215:216]
	v_add_f64 v[87:88], v[87:88], -v[215:216]
	ds_read2_b64 v[215:218], v253 offset0:70 offset1:71
	s_waitcnt lgkmcnt(0)
	v_mul_f64 v[185:186], v[217:218], v[187:188]
	v_fma_f64 v[185:186], v[215:216], v[213:214], -v[185:186]
	v_mul_f64 v[215:216], v[215:216], v[187:188]
	v_add_f64 v[81:82], v[81:82], -v[185:186]
	v_fma_f64 v[215:216], v[217:218], v[213:214], v[215:216]
	v_add_f64 v[83:84], v[83:84], -v[215:216]
	ds_read2_b64 v[215:218], v253 offset0:72 offset1:73
	s_waitcnt lgkmcnt(0)
	v_mul_f64 v[185:186], v[217:218], v[187:188]
	v_fma_f64 v[185:186], v[215:216], v[213:214], -v[185:186]
	v_mul_f64 v[215:216], v[215:216], v[187:188]
	v_add_f64 v[77:78], v[77:78], -v[185:186]
	v_fma_f64 v[215:216], v[217:218], v[213:214], v[215:216]
	v_add_f64 v[79:80], v[79:80], -v[215:216]
	ds_read2_b64 v[215:218], v253 offset0:74 offset1:75
	s_waitcnt lgkmcnt(0)
	v_mul_f64 v[185:186], v[217:218], v[187:188]
	v_fma_f64 v[185:186], v[215:216], v[213:214], -v[185:186]
	v_mul_f64 v[215:216], v[215:216], v[187:188]
	v_add_f64 v[73:74], v[73:74], -v[185:186]
	v_fma_f64 v[215:216], v[217:218], v[213:214], v[215:216]
	v_add_f64 v[75:76], v[75:76], -v[215:216]
	ds_read2_b64 v[215:218], v253 offset0:76 offset1:77
	s_waitcnt lgkmcnt(0)
	v_mul_f64 v[185:186], v[217:218], v[187:188]
	v_fma_f64 v[185:186], v[215:216], v[213:214], -v[185:186]
	v_mul_f64 v[215:216], v[215:216], v[187:188]
	v_add_f64 v[69:70], v[69:70], -v[185:186]
	v_fma_f64 v[215:216], v[217:218], v[213:214], v[215:216]
	v_add_f64 v[71:72], v[71:72], -v[215:216]
	ds_read2_b64 v[215:218], v253 offset0:78 offset1:79
	s_waitcnt lgkmcnt(0)
	v_mul_f64 v[185:186], v[217:218], v[187:188]
	v_fma_f64 v[185:186], v[215:216], v[213:214], -v[185:186]
	v_mul_f64 v[215:216], v[215:216], v[187:188]
	v_add_f64 v[65:66], v[65:66], -v[185:186]
	v_fma_f64 v[215:216], v[217:218], v[213:214], v[215:216]
	v_add_f64 v[67:68], v[67:68], -v[215:216]
	ds_read2_b64 v[215:218], v253 offset0:80 offset1:81
	s_waitcnt lgkmcnt(0)
	v_mul_f64 v[185:186], v[217:218], v[187:188]
	v_fma_f64 v[185:186], v[215:216], v[213:214], -v[185:186]
	v_mul_f64 v[215:216], v[215:216], v[187:188]
	v_add_f64 v[61:62], v[61:62], -v[185:186]
	v_fma_f64 v[215:216], v[217:218], v[213:214], v[215:216]
	v_add_f64 v[63:64], v[63:64], -v[215:216]
	ds_read2_b64 v[215:218], v253 offset0:82 offset1:83
	s_waitcnt lgkmcnt(0)
	v_mul_f64 v[185:186], v[217:218], v[187:188]
	v_fma_f64 v[185:186], v[215:216], v[213:214], -v[185:186]
	v_mul_f64 v[215:216], v[215:216], v[187:188]
	v_add_f64 v[57:58], v[57:58], -v[185:186]
	v_fma_f64 v[215:216], v[217:218], v[213:214], v[215:216]
	v_add_f64 v[59:60], v[59:60], -v[215:216]
	ds_read2_b64 v[215:218], v253 offset0:84 offset1:85
	s_waitcnt lgkmcnt(0)
	v_mul_f64 v[185:186], v[217:218], v[187:188]
	v_fma_f64 v[185:186], v[215:216], v[213:214], -v[185:186]
	v_mul_f64 v[215:216], v[215:216], v[187:188]
	v_add_f64 v[53:54], v[53:54], -v[185:186]
	v_fma_f64 v[215:216], v[217:218], v[213:214], v[215:216]
	v_add_f64 v[55:56], v[55:56], -v[215:216]
	ds_read2_b64 v[215:218], v253 offset0:86 offset1:87
	s_waitcnt lgkmcnt(0)
	v_mul_f64 v[185:186], v[217:218], v[187:188]
	v_fma_f64 v[185:186], v[215:216], v[213:214], -v[185:186]
	v_mul_f64 v[215:216], v[215:216], v[187:188]
	v_add_f64 v[49:50], v[49:50], -v[185:186]
	v_fma_f64 v[215:216], v[217:218], v[213:214], v[215:216]
	v_add_f64 v[51:52], v[51:52], -v[215:216]
	ds_read2_b64 v[215:218], v253 offset0:88 offset1:89
	s_waitcnt lgkmcnt(0)
	v_mul_f64 v[185:186], v[217:218], v[187:188]
	v_fma_f64 v[185:186], v[215:216], v[213:214], -v[185:186]
	v_mul_f64 v[215:216], v[215:216], v[187:188]
	v_add_f64 v[45:46], v[45:46], -v[185:186]
	v_fma_f64 v[215:216], v[217:218], v[213:214], v[215:216]
	v_add_f64 v[47:48], v[47:48], -v[215:216]
	ds_read2_b64 v[215:218], v253 offset0:90 offset1:91
	s_waitcnt lgkmcnt(0)
	v_mul_f64 v[185:186], v[217:218], v[187:188]
	v_fma_f64 v[185:186], v[215:216], v[213:214], -v[185:186]
	v_mul_f64 v[215:216], v[215:216], v[187:188]
	v_add_f64 v[41:42], v[41:42], -v[185:186]
	v_fma_f64 v[215:216], v[217:218], v[213:214], v[215:216]
	v_add_f64 v[43:44], v[43:44], -v[215:216]
	ds_read2_b64 v[215:218], v253 offset0:92 offset1:93
	s_waitcnt lgkmcnt(0)
	v_mul_f64 v[185:186], v[217:218], v[187:188]
	v_fma_f64 v[185:186], v[215:216], v[213:214], -v[185:186]
	v_mul_f64 v[215:216], v[215:216], v[187:188]
	v_add_f64 v[37:38], v[37:38], -v[185:186]
	v_fma_f64 v[215:216], v[217:218], v[213:214], v[215:216]
	v_add_f64 v[39:40], v[39:40], -v[215:216]
	ds_read2_b64 v[215:218], v253 offset0:94 offset1:95
	s_waitcnt lgkmcnt(0)
	v_mul_f64 v[185:186], v[217:218], v[187:188]
	v_fma_f64 v[185:186], v[215:216], v[213:214], -v[185:186]
	v_mul_f64 v[215:216], v[215:216], v[187:188]
	v_add_f64 v[33:34], v[33:34], -v[185:186]
	v_fma_f64 v[215:216], v[217:218], v[213:214], v[215:216]
	v_add_f64 v[35:36], v[35:36], -v[215:216]
	ds_read2_b64 v[215:218], v253 offset0:96 offset1:97
	s_waitcnt lgkmcnt(0)
	v_mul_f64 v[185:186], v[217:218], v[187:188]
	v_fma_f64 v[185:186], v[215:216], v[213:214], -v[185:186]
	v_mul_f64 v[215:216], v[215:216], v[187:188]
	v_add_f64 v[29:30], v[29:30], -v[185:186]
	v_fma_f64 v[215:216], v[217:218], v[213:214], v[215:216]
	v_add_f64 v[31:32], v[31:32], -v[215:216]
	ds_read2_b64 v[215:218], v253 offset0:98 offset1:99
	s_waitcnt lgkmcnt(0)
	v_mul_f64 v[185:186], v[217:218], v[187:188]
	v_fma_f64 v[185:186], v[215:216], v[213:214], -v[185:186]
	v_mul_f64 v[215:216], v[215:216], v[187:188]
	v_add_f64 v[25:26], v[25:26], -v[185:186]
	v_fma_f64 v[215:216], v[217:218], v[213:214], v[215:216]
	v_add_f64 v[27:28], v[27:28], -v[215:216]
	ds_read2_b64 v[215:218], v253 offset0:100 offset1:101
	s_waitcnt lgkmcnt(0)
	v_mul_f64 v[185:186], v[217:218], v[187:188]
	v_fma_f64 v[185:186], v[215:216], v[213:214], -v[185:186]
	v_mul_f64 v[215:216], v[215:216], v[187:188]
	v_add_f64 v[21:22], v[21:22], -v[185:186]
	v_fma_f64 v[215:216], v[217:218], v[213:214], v[215:216]
	v_add_f64 v[23:24], v[23:24], -v[215:216]
	ds_read2_b64 v[215:218], v253 offset0:102 offset1:103
	s_waitcnt lgkmcnt(0)
	v_mul_f64 v[185:186], v[217:218], v[187:188]
	v_fma_f64 v[185:186], v[215:216], v[213:214], -v[185:186]
	v_mul_f64 v[215:216], v[215:216], v[187:188]
	v_add_f64 v[17:18], v[17:18], -v[185:186]
	v_fma_f64 v[215:216], v[217:218], v[213:214], v[215:216]
	v_add_f64 v[19:20], v[19:20], -v[215:216]
	ds_read2_b64 v[215:218], v253 offset0:104 offset1:105
	s_waitcnt lgkmcnt(0)
	v_mul_f64 v[185:186], v[217:218], v[187:188]
	v_fma_f64 v[185:186], v[215:216], v[213:214], -v[185:186]
	v_mul_f64 v[215:216], v[215:216], v[187:188]
	v_add_f64 v[13:14], v[13:14], -v[185:186]
	v_fma_f64 v[215:216], v[217:218], v[213:214], v[215:216]
	v_add_f64 v[15:16], v[15:16], -v[215:216]
	ds_read2_b64 v[215:218], v253 offset0:106 offset1:107
	s_waitcnt lgkmcnt(0)
	v_mul_f64 v[185:186], v[217:218], v[187:188]
	v_fma_f64 v[185:186], v[215:216], v[213:214], -v[185:186]
	v_mul_f64 v[215:216], v[215:216], v[187:188]
	v_add_f64 v[9:10], v[9:10], -v[185:186]
	v_fma_f64 v[215:216], v[217:218], v[213:214], v[215:216]
	v_add_f64 v[11:12], v[11:12], -v[215:216]
	ds_read2_b64 v[215:218], v253 offset0:108 offset1:109
	s_waitcnt lgkmcnt(0)
	v_mul_f64 v[185:186], v[217:218], v[187:188]
	v_fma_f64 v[185:186], v[215:216], v[213:214], -v[185:186]
	v_mul_f64 v[215:216], v[215:216], v[187:188]
	v_add_f64 v[5:6], v[5:6], -v[185:186]
	v_fma_f64 v[215:216], v[217:218], v[213:214], v[215:216]
	v_add_f64 v[7:8], v[7:8], -v[215:216]
	ds_read2_b64 v[215:218], v253 offset0:110 offset1:111
	s_waitcnt lgkmcnt(0)
	v_mul_f64 v[185:186], v[217:218], v[187:188]
	v_fma_f64 v[185:186], v[215:216], v[213:214], -v[185:186]
	v_mul_f64 v[215:216], v[215:216], v[187:188]
	v_add_f64 v[1:2], v[1:2], -v[185:186]
	v_fma_f64 v[215:216], v[217:218], v[213:214], v[215:216]
	v_mov_b32_e32 v185, v213
	v_mov_b32_e32 v186, v214
	v_add_f64 v[3:4], v[3:4], -v[215:216]
.LBB111_91:
	s_or_b32 exec_lo, exec_lo, s1
	s_mov_b32 s2, exec_lo
	s_waitcnt_vscnt null, 0x0
	s_barrier
	buffer_gl0_inv
	v_cmpx_eq_u32_e32 10, v0
	s_cbranch_execz .LBB111_98
; %bb.92:
	ds_write2_b64 v255, v[181:182], v[183:184] offset1:1
	ds_write2_b64 v253, v[177:178], v[179:180] offset0:22 offset1:23
	ds_write2_b64 v253, v[173:174], v[175:176] offset0:24 offset1:25
	;; [unrolled: 1-line block ×45, first 2 shown]
	ds_read2_b64 v[213:216], v255 offset1:1
	s_waitcnt lgkmcnt(0)
	v_cmp_neq_f64_e32 vcc_lo, 0, v[213:214]
	v_cmp_neq_f64_e64 s1, 0, v[215:216]
	s_or_b32 s1, vcc_lo, s1
	s_and_b32 exec_lo, exec_lo, s1
	s_cbranch_execz .LBB111_98
; %bb.93:
	v_cmp_ngt_f64_e64 s1, |v[213:214]|, |v[215:216]|
                                        ; implicit-def: $vgpr217_vgpr218
	s_and_saveexec_b32 s3, s1
	s_xor_b32 s1, exec_lo, s3
                                        ; implicit-def: $vgpr219_vgpr220
	s_cbranch_execz .LBB111_95
; %bb.94:
	v_div_scale_f64 v[217:218], null, v[215:216], v[215:216], v[213:214]
	v_div_scale_f64 v[223:224], vcc_lo, v[213:214], v[215:216], v[213:214]
	v_rcp_f64_e32 v[219:220], v[217:218]
	v_fma_f64 v[221:222], -v[217:218], v[219:220], 1.0
	v_fma_f64 v[219:220], v[219:220], v[221:222], v[219:220]
	v_fma_f64 v[221:222], -v[217:218], v[219:220], 1.0
	v_fma_f64 v[219:220], v[219:220], v[221:222], v[219:220]
	v_mul_f64 v[221:222], v[223:224], v[219:220]
	v_fma_f64 v[217:218], -v[217:218], v[221:222], v[223:224]
	v_div_fmas_f64 v[217:218], v[217:218], v[219:220], v[221:222]
	v_div_fixup_f64 v[217:218], v[217:218], v[215:216], v[213:214]
	v_fma_f64 v[213:214], v[213:214], v[217:218], v[215:216]
	v_div_scale_f64 v[215:216], null, v[213:214], v[213:214], 1.0
	v_rcp_f64_e32 v[219:220], v[215:216]
	v_fma_f64 v[221:222], -v[215:216], v[219:220], 1.0
	v_fma_f64 v[219:220], v[219:220], v[221:222], v[219:220]
	v_fma_f64 v[221:222], -v[215:216], v[219:220], 1.0
	v_fma_f64 v[219:220], v[219:220], v[221:222], v[219:220]
	v_div_scale_f64 v[221:222], vcc_lo, 1.0, v[213:214], 1.0
	v_mul_f64 v[223:224], v[221:222], v[219:220]
	v_fma_f64 v[215:216], -v[215:216], v[223:224], v[221:222]
	v_div_fmas_f64 v[215:216], v[215:216], v[219:220], v[223:224]
	v_div_fixup_f64 v[219:220], v[215:216], v[213:214], 1.0
                                        ; implicit-def: $vgpr213_vgpr214
	v_mul_f64 v[217:218], v[217:218], v[219:220]
	v_xor_b32_e32 v220, 0x80000000, v220
.LBB111_95:
	s_andn2_saveexec_b32 s1, s1
	s_cbranch_execz .LBB111_97
; %bb.96:
	v_div_scale_f64 v[217:218], null, v[213:214], v[213:214], v[215:216]
	v_div_scale_f64 v[223:224], vcc_lo, v[215:216], v[213:214], v[215:216]
	v_rcp_f64_e32 v[219:220], v[217:218]
	v_fma_f64 v[221:222], -v[217:218], v[219:220], 1.0
	v_fma_f64 v[219:220], v[219:220], v[221:222], v[219:220]
	v_fma_f64 v[221:222], -v[217:218], v[219:220], 1.0
	v_fma_f64 v[219:220], v[219:220], v[221:222], v[219:220]
	v_mul_f64 v[221:222], v[223:224], v[219:220]
	v_fma_f64 v[217:218], -v[217:218], v[221:222], v[223:224]
	v_div_fmas_f64 v[217:218], v[217:218], v[219:220], v[221:222]
	v_div_fixup_f64 v[219:220], v[217:218], v[213:214], v[215:216]
	v_fma_f64 v[213:214], v[215:216], v[219:220], v[213:214]
	v_div_scale_f64 v[215:216], null, v[213:214], v[213:214], 1.0
	v_rcp_f64_e32 v[217:218], v[215:216]
	v_fma_f64 v[221:222], -v[215:216], v[217:218], 1.0
	v_fma_f64 v[217:218], v[217:218], v[221:222], v[217:218]
	v_fma_f64 v[221:222], -v[215:216], v[217:218], 1.0
	v_fma_f64 v[217:218], v[217:218], v[221:222], v[217:218]
	v_div_scale_f64 v[221:222], vcc_lo, 1.0, v[213:214], 1.0
	v_mul_f64 v[223:224], v[221:222], v[217:218]
	v_fma_f64 v[215:216], -v[215:216], v[223:224], v[221:222]
	v_div_fmas_f64 v[215:216], v[215:216], v[217:218], v[223:224]
	v_div_fixup_f64 v[217:218], v[215:216], v[213:214], 1.0
	v_mul_f64 v[219:220], v[219:220], -v[217:218]
.LBB111_97:
	s_or_b32 exec_lo, exec_lo, s1
	ds_write2_b64 v255, v[217:218], v[219:220] offset1:1
.LBB111_98:
	s_or_b32 exec_lo, exec_lo, s2
	s_waitcnt lgkmcnt(0)
	s_barrier
	buffer_gl0_inv
	ds_read2_b64 v[203:206], v255 offset1:1
	s_mov_b32 s1, exec_lo
	s_waitcnt lgkmcnt(0)
	buffer_store_dword v203, off, s[16:19], 0 offset:688 ; 4-byte Folded Spill
	buffer_store_dword v204, off, s[16:19], 0 offset:692 ; 4-byte Folded Spill
	;; [unrolled: 1-line block ×4, first 2 shown]
	v_cmpx_lt_u32_e32 10, v0
	s_cbranch_execz .LBB111_100
; %bb.99:
	s_clause 0x3
	buffer_load_dword v203, off, s[16:19], 0 offset:688
	buffer_load_dword v204, off, s[16:19], 0 offset:692
	;; [unrolled: 1-line block ×4, first 2 shown]
	ds_read2_b64 v[215:218], v253 offset0:22 offset1:23
	s_waitcnt vmcnt(0)
	v_mul_f64 v[213:214], v[205:206], v[183:184]
	v_mul_f64 v[183:184], v[203:204], v[183:184]
	v_fma_f64 v[213:214], v[203:204], v[181:182], -v[213:214]
	v_fma_f64 v[183:184], v[205:206], v[181:182], v[183:184]
	s_waitcnt lgkmcnt(0)
	v_mul_f64 v[181:182], v[217:218], v[183:184]
	v_fma_f64 v[181:182], v[215:216], v[213:214], -v[181:182]
	v_mul_f64 v[215:216], v[215:216], v[183:184]
	v_add_f64 v[177:178], v[177:178], -v[181:182]
	v_fma_f64 v[215:216], v[217:218], v[213:214], v[215:216]
	v_add_f64 v[179:180], v[179:180], -v[215:216]
	ds_read2_b64 v[215:218], v253 offset0:24 offset1:25
	s_waitcnt lgkmcnt(0)
	v_mul_f64 v[181:182], v[217:218], v[183:184]
	v_fma_f64 v[181:182], v[215:216], v[213:214], -v[181:182]
	v_mul_f64 v[215:216], v[215:216], v[183:184]
	v_add_f64 v[173:174], v[173:174], -v[181:182]
	v_fma_f64 v[215:216], v[217:218], v[213:214], v[215:216]
	v_add_f64 v[175:176], v[175:176], -v[215:216]
	ds_read2_b64 v[215:218], v253 offset0:26 offset1:27
	;; [unrolled: 8-line block ×44, first 2 shown]
	s_waitcnt lgkmcnt(0)
	v_mul_f64 v[181:182], v[217:218], v[183:184]
	v_fma_f64 v[181:182], v[215:216], v[213:214], -v[181:182]
	v_mul_f64 v[215:216], v[215:216], v[183:184]
	v_add_f64 v[1:2], v[1:2], -v[181:182]
	v_fma_f64 v[215:216], v[217:218], v[213:214], v[215:216]
	v_mov_b32_e32 v181, v213
	v_mov_b32_e32 v182, v214
	v_add_f64 v[3:4], v[3:4], -v[215:216]
.LBB111_100:
	s_or_b32 exec_lo, exec_lo, s1
	s_mov_b32 s2, exec_lo
	s_waitcnt_vscnt null, 0x0
	s_barrier
	buffer_gl0_inv
	v_cmpx_eq_u32_e32 11, v0
	s_cbranch_execz .LBB111_107
; %bb.101:
	ds_write2_b64 v255, v[177:178], v[179:180] offset1:1
	ds_write2_b64 v253, v[173:174], v[175:176] offset0:24 offset1:25
	ds_write2_b64 v253, v[169:170], v[171:172] offset0:26 offset1:27
	ds_write2_b64 v253, v[165:166], v[167:168] offset0:28 offset1:29
	ds_write2_b64 v253, v[161:162], v[163:164] offset0:30 offset1:31
	ds_write2_b64 v253, v[157:158], v[159:160] offset0:32 offset1:33
	ds_write2_b64 v253, v[153:154], v[155:156] offset0:34 offset1:35
	ds_write2_b64 v253, v[149:150], v[151:152] offset0:36 offset1:37
	ds_write2_b64 v253, v[145:146], v[147:148] offset0:38 offset1:39
	ds_write2_b64 v253, v[141:142], v[143:144] offset0:40 offset1:41
	ds_write2_b64 v253, v[137:138], v[139:140] offset0:42 offset1:43
	ds_write2_b64 v253, v[133:134], v[135:136] offset0:44 offset1:45
	ds_write2_b64 v253, v[129:130], v[131:132] offset0:46 offset1:47
	ds_write2_b64 v253, v[125:126], v[127:128] offset0:48 offset1:49
	ds_write2_b64 v253, v[121:122], v[123:124] offset0:50 offset1:51
	ds_write2_b64 v253, v[117:118], v[119:120] offset0:52 offset1:53
	ds_write2_b64 v253, v[113:114], v[115:116] offset0:54 offset1:55
	ds_write2_b64 v253, v[109:110], v[111:112] offset0:56 offset1:57
	ds_write2_b64 v253, v[105:106], v[107:108] offset0:58 offset1:59
	ds_write2_b64 v253, v[101:102], v[103:104] offset0:60 offset1:61
	ds_write2_b64 v253, v[97:98], v[99:100] offset0:62 offset1:63
	ds_write2_b64 v253, v[93:94], v[95:96] offset0:64 offset1:65
	ds_write2_b64 v253, v[89:90], v[91:92] offset0:66 offset1:67
	ds_write2_b64 v253, v[85:86], v[87:88] offset0:68 offset1:69
	ds_write2_b64 v253, v[81:82], v[83:84] offset0:70 offset1:71
	ds_write2_b64 v253, v[77:78], v[79:80] offset0:72 offset1:73
	ds_write2_b64 v253, v[73:74], v[75:76] offset0:74 offset1:75
	ds_write2_b64 v253, v[69:70], v[71:72] offset0:76 offset1:77
	ds_write2_b64 v253, v[65:66], v[67:68] offset0:78 offset1:79
	ds_write2_b64 v253, v[61:62], v[63:64] offset0:80 offset1:81
	ds_write2_b64 v253, v[57:58], v[59:60] offset0:82 offset1:83
	ds_write2_b64 v253, v[53:54], v[55:56] offset0:84 offset1:85
	ds_write2_b64 v253, v[49:50], v[51:52] offset0:86 offset1:87
	ds_write2_b64 v253, v[45:46], v[47:48] offset0:88 offset1:89
	ds_write2_b64 v253, v[41:42], v[43:44] offset0:90 offset1:91
	ds_write2_b64 v253, v[37:38], v[39:40] offset0:92 offset1:93
	ds_write2_b64 v253, v[33:34], v[35:36] offset0:94 offset1:95
	ds_write2_b64 v253, v[29:30], v[31:32] offset0:96 offset1:97
	ds_write2_b64 v253, v[25:26], v[27:28] offset0:98 offset1:99
	ds_write2_b64 v253, v[21:22], v[23:24] offset0:100 offset1:101
	ds_write2_b64 v253, v[17:18], v[19:20] offset0:102 offset1:103
	ds_write2_b64 v253, v[13:14], v[15:16] offset0:104 offset1:105
	ds_write2_b64 v253, v[9:10], v[11:12] offset0:106 offset1:107
	ds_write2_b64 v253, v[5:6], v[7:8] offset0:108 offset1:109
	ds_write2_b64 v253, v[1:2], v[3:4] offset0:110 offset1:111
	ds_read2_b64 v[213:216], v255 offset1:1
	s_waitcnt lgkmcnt(0)
	v_cmp_neq_f64_e32 vcc_lo, 0, v[213:214]
	v_cmp_neq_f64_e64 s1, 0, v[215:216]
	s_or_b32 s1, vcc_lo, s1
	s_and_b32 exec_lo, exec_lo, s1
	s_cbranch_execz .LBB111_107
; %bb.102:
	v_cmp_ngt_f64_e64 s1, |v[213:214]|, |v[215:216]|
                                        ; implicit-def: $vgpr217_vgpr218
	s_and_saveexec_b32 s3, s1
	s_xor_b32 s1, exec_lo, s3
                                        ; implicit-def: $vgpr219_vgpr220
	s_cbranch_execz .LBB111_104
; %bb.103:
	v_div_scale_f64 v[217:218], null, v[215:216], v[215:216], v[213:214]
	v_div_scale_f64 v[223:224], vcc_lo, v[213:214], v[215:216], v[213:214]
	v_rcp_f64_e32 v[219:220], v[217:218]
	v_fma_f64 v[221:222], -v[217:218], v[219:220], 1.0
	v_fma_f64 v[219:220], v[219:220], v[221:222], v[219:220]
	v_fma_f64 v[221:222], -v[217:218], v[219:220], 1.0
	v_fma_f64 v[219:220], v[219:220], v[221:222], v[219:220]
	v_mul_f64 v[221:222], v[223:224], v[219:220]
	v_fma_f64 v[217:218], -v[217:218], v[221:222], v[223:224]
	v_div_fmas_f64 v[217:218], v[217:218], v[219:220], v[221:222]
	v_div_fixup_f64 v[217:218], v[217:218], v[215:216], v[213:214]
	v_fma_f64 v[213:214], v[213:214], v[217:218], v[215:216]
	v_div_scale_f64 v[215:216], null, v[213:214], v[213:214], 1.0
	v_rcp_f64_e32 v[219:220], v[215:216]
	v_fma_f64 v[221:222], -v[215:216], v[219:220], 1.0
	v_fma_f64 v[219:220], v[219:220], v[221:222], v[219:220]
	v_fma_f64 v[221:222], -v[215:216], v[219:220], 1.0
	v_fma_f64 v[219:220], v[219:220], v[221:222], v[219:220]
	v_div_scale_f64 v[221:222], vcc_lo, 1.0, v[213:214], 1.0
	v_mul_f64 v[223:224], v[221:222], v[219:220]
	v_fma_f64 v[215:216], -v[215:216], v[223:224], v[221:222]
	v_div_fmas_f64 v[215:216], v[215:216], v[219:220], v[223:224]
	v_div_fixup_f64 v[219:220], v[215:216], v[213:214], 1.0
                                        ; implicit-def: $vgpr213_vgpr214
	v_mul_f64 v[217:218], v[217:218], v[219:220]
	v_xor_b32_e32 v220, 0x80000000, v220
.LBB111_104:
	s_andn2_saveexec_b32 s1, s1
	s_cbranch_execz .LBB111_106
; %bb.105:
	v_div_scale_f64 v[217:218], null, v[213:214], v[213:214], v[215:216]
	v_div_scale_f64 v[223:224], vcc_lo, v[215:216], v[213:214], v[215:216]
	v_rcp_f64_e32 v[219:220], v[217:218]
	v_fma_f64 v[221:222], -v[217:218], v[219:220], 1.0
	v_fma_f64 v[219:220], v[219:220], v[221:222], v[219:220]
	v_fma_f64 v[221:222], -v[217:218], v[219:220], 1.0
	v_fma_f64 v[219:220], v[219:220], v[221:222], v[219:220]
	v_mul_f64 v[221:222], v[223:224], v[219:220]
	v_fma_f64 v[217:218], -v[217:218], v[221:222], v[223:224]
	v_div_fmas_f64 v[217:218], v[217:218], v[219:220], v[221:222]
	v_div_fixup_f64 v[219:220], v[217:218], v[213:214], v[215:216]
	v_fma_f64 v[213:214], v[215:216], v[219:220], v[213:214]
	v_div_scale_f64 v[215:216], null, v[213:214], v[213:214], 1.0
	v_rcp_f64_e32 v[217:218], v[215:216]
	v_fma_f64 v[221:222], -v[215:216], v[217:218], 1.0
	v_fma_f64 v[217:218], v[217:218], v[221:222], v[217:218]
	v_fma_f64 v[221:222], -v[215:216], v[217:218], 1.0
	v_fma_f64 v[217:218], v[217:218], v[221:222], v[217:218]
	v_div_scale_f64 v[221:222], vcc_lo, 1.0, v[213:214], 1.0
	v_mul_f64 v[223:224], v[221:222], v[217:218]
	v_fma_f64 v[215:216], -v[215:216], v[223:224], v[221:222]
	v_div_fmas_f64 v[215:216], v[215:216], v[217:218], v[223:224]
	v_div_fixup_f64 v[217:218], v[215:216], v[213:214], 1.0
	v_mul_f64 v[219:220], v[219:220], -v[217:218]
.LBB111_106:
	s_or_b32 exec_lo, exec_lo, s1
	ds_write2_b64 v255, v[217:218], v[219:220] offset1:1
.LBB111_107:
	s_or_b32 exec_lo, exec_lo, s2
	s_waitcnt lgkmcnt(0)
	s_barrier
	buffer_gl0_inv
	ds_read2_b64 v[203:206], v255 offset1:1
	s_mov_b32 s1, exec_lo
	s_waitcnt lgkmcnt(0)
	buffer_store_dword v203, off, s[16:19], 0 offset:704 ; 4-byte Folded Spill
	buffer_store_dword v204, off, s[16:19], 0 offset:708 ; 4-byte Folded Spill
	;; [unrolled: 1-line block ×4, first 2 shown]
	v_cmpx_lt_u32_e32 11, v0
	s_cbranch_execz .LBB111_109
; %bb.108:
	s_clause 0x3
	buffer_load_dword v203, off, s[16:19], 0 offset:704
	buffer_load_dword v204, off, s[16:19], 0 offset:708
	;; [unrolled: 1-line block ×4, first 2 shown]
	ds_read2_b64 v[215:218], v253 offset0:24 offset1:25
	s_waitcnt vmcnt(0)
	v_mul_f64 v[213:214], v[205:206], v[179:180]
	v_mul_f64 v[179:180], v[203:204], v[179:180]
	v_fma_f64 v[213:214], v[203:204], v[177:178], -v[213:214]
	v_fma_f64 v[179:180], v[205:206], v[177:178], v[179:180]
	s_waitcnt lgkmcnt(0)
	v_mul_f64 v[177:178], v[217:218], v[179:180]
	v_fma_f64 v[177:178], v[215:216], v[213:214], -v[177:178]
	v_mul_f64 v[215:216], v[215:216], v[179:180]
	v_add_f64 v[173:174], v[173:174], -v[177:178]
	v_fma_f64 v[215:216], v[217:218], v[213:214], v[215:216]
	v_add_f64 v[175:176], v[175:176], -v[215:216]
	ds_read2_b64 v[215:218], v253 offset0:26 offset1:27
	s_waitcnt lgkmcnt(0)
	v_mul_f64 v[177:178], v[217:218], v[179:180]
	v_fma_f64 v[177:178], v[215:216], v[213:214], -v[177:178]
	v_mul_f64 v[215:216], v[215:216], v[179:180]
	v_add_f64 v[169:170], v[169:170], -v[177:178]
	v_fma_f64 v[215:216], v[217:218], v[213:214], v[215:216]
	v_add_f64 v[171:172], v[171:172], -v[215:216]
	ds_read2_b64 v[215:218], v253 offset0:28 offset1:29
	;; [unrolled: 8-line block ×43, first 2 shown]
	s_waitcnt lgkmcnt(0)
	v_mul_f64 v[177:178], v[217:218], v[179:180]
	v_fma_f64 v[177:178], v[215:216], v[213:214], -v[177:178]
	v_mul_f64 v[215:216], v[215:216], v[179:180]
	v_add_f64 v[1:2], v[1:2], -v[177:178]
	v_fma_f64 v[215:216], v[217:218], v[213:214], v[215:216]
	v_mov_b32_e32 v177, v213
	v_mov_b32_e32 v178, v214
	v_add_f64 v[3:4], v[3:4], -v[215:216]
.LBB111_109:
	s_or_b32 exec_lo, exec_lo, s1
	s_mov_b32 s2, exec_lo
	s_waitcnt_vscnt null, 0x0
	s_barrier
	buffer_gl0_inv
	v_cmpx_eq_u32_e32 12, v0
	s_cbranch_execz .LBB111_116
; %bb.110:
	ds_write2_b64 v255, v[173:174], v[175:176] offset1:1
	ds_write2_b64 v253, v[169:170], v[171:172] offset0:26 offset1:27
	ds_write2_b64 v253, v[165:166], v[167:168] offset0:28 offset1:29
	;; [unrolled: 1-line block ×43, first 2 shown]
	ds_read2_b64 v[213:216], v255 offset1:1
	s_waitcnt lgkmcnt(0)
	v_cmp_neq_f64_e32 vcc_lo, 0, v[213:214]
	v_cmp_neq_f64_e64 s1, 0, v[215:216]
	s_or_b32 s1, vcc_lo, s1
	s_and_b32 exec_lo, exec_lo, s1
	s_cbranch_execz .LBB111_116
; %bb.111:
	v_cmp_ngt_f64_e64 s1, |v[213:214]|, |v[215:216]|
                                        ; implicit-def: $vgpr217_vgpr218
	s_and_saveexec_b32 s3, s1
	s_xor_b32 s1, exec_lo, s3
                                        ; implicit-def: $vgpr219_vgpr220
	s_cbranch_execz .LBB111_113
; %bb.112:
	v_div_scale_f64 v[217:218], null, v[215:216], v[215:216], v[213:214]
	v_div_scale_f64 v[223:224], vcc_lo, v[213:214], v[215:216], v[213:214]
	v_rcp_f64_e32 v[219:220], v[217:218]
	v_fma_f64 v[221:222], -v[217:218], v[219:220], 1.0
	v_fma_f64 v[219:220], v[219:220], v[221:222], v[219:220]
	v_fma_f64 v[221:222], -v[217:218], v[219:220], 1.0
	v_fma_f64 v[219:220], v[219:220], v[221:222], v[219:220]
	v_mul_f64 v[221:222], v[223:224], v[219:220]
	v_fma_f64 v[217:218], -v[217:218], v[221:222], v[223:224]
	v_div_fmas_f64 v[217:218], v[217:218], v[219:220], v[221:222]
	v_div_fixup_f64 v[217:218], v[217:218], v[215:216], v[213:214]
	v_fma_f64 v[213:214], v[213:214], v[217:218], v[215:216]
	v_div_scale_f64 v[215:216], null, v[213:214], v[213:214], 1.0
	v_rcp_f64_e32 v[219:220], v[215:216]
	v_fma_f64 v[221:222], -v[215:216], v[219:220], 1.0
	v_fma_f64 v[219:220], v[219:220], v[221:222], v[219:220]
	v_fma_f64 v[221:222], -v[215:216], v[219:220], 1.0
	v_fma_f64 v[219:220], v[219:220], v[221:222], v[219:220]
	v_div_scale_f64 v[221:222], vcc_lo, 1.0, v[213:214], 1.0
	v_mul_f64 v[223:224], v[221:222], v[219:220]
	v_fma_f64 v[215:216], -v[215:216], v[223:224], v[221:222]
	v_div_fmas_f64 v[215:216], v[215:216], v[219:220], v[223:224]
	v_div_fixup_f64 v[219:220], v[215:216], v[213:214], 1.0
                                        ; implicit-def: $vgpr213_vgpr214
	v_mul_f64 v[217:218], v[217:218], v[219:220]
	v_xor_b32_e32 v220, 0x80000000, v220
.LBB111_113:
	s_andn2_saveexec_b32 s1, s1
	s_cbranch_execz .LBB111_115
; %bb.114:
	v_div_scale_f64 v[217:218], null, v[213:214], v[213:214], v[215:216]
	v_div_scale_f64 v[223:224], vcc_lo, v[215:216], v[213:214], v[215:216]
	v_rcp_f64_e32 v[219:220], v[217:218]
	v_fma_f64 v[221:222], -v[217:218], v[219:220], 1.0
	v_fma_f64 v[219:220], v[219:220], v[221:222], v[219:220]
	v_fma_f64 v[221:222], -v[217:218], v[219:220], 1.0
	v_fma_f64 v[219:220], v[219:220], v[221:222], v[219:220]
	v_mul_f64 v[221:222], v[223:224], v[219:220]
	v_fma_f64 v[217:218], -v[217:218], v[221:222], v[223:224]
	v_div_fmas_f64 v[217:218], v[217:218], v[219:220], v[221:222]
	v_div_fixup_f64 v[219:220], v[217:218], v[213:214], v[215:216]
	v_fma_f64 v[213:214], v[215:216], v[219:220], v[213:214]
	v_div_scale_f64 v[215:216], null, v[213:214], v[213:214], 1.0
	v_rcp_f64_e32 v[217:218], v[215:216]
	v_fma_f64 v[221:222], -v[215:216], v[217:218], 1.0
	v_fma_f64 v[217:218], v[217:218], v[221:222], v[217:218]
	v_fma_f64 v[221:222], -v[215:216], v[217:218], 1.0
	v_fma_f64 v[217:218], v[217:218], v[221:222], v[217:218]
	v_div_scale_f64 v[221:222], vcc_lo, 1.0, v[213:214], 1.0
	v_mul_f64 v[223:224], v[221:222], v[217:218]
	v_fma_f64 v[215:216], -v[215:216], v[223:224], v[221:222]
	v_div_fmas_f64 v[215:216], v[215:216], v[217:218], v[223:224]
	v_div_fixup_f64 v[217:218], v[215:216], v[213:214], 1.0
	v_mul_f64 v[219:220], v[219:220], -v[217:218]
.LBB111_115:
	s_or_b32 exec_lo, exec_lo, s1
	ds_write2_b64 v255, v[217:218], v[219:220] offset1:1
.LBB111_116:
	s_or_b32 exec_lo, exec_lo, s2
	s_waitcnt lgkmcnt(0)
	s_barrier
	buffer_gl0_inv
	ds_read2_b64 v[203:206], v255 offset1:1
	s_mov_b32 s1, exec_lo
	s_waitcnt lgkmcnt(0)
	buffer_store_dword v203, off, s[16:19], 0 offset:720 ; 4-byte Folded Spill
	buffer_store_dword v204, off, s[16:19], 0 offset:724 ; 4-byte Folded Spill
	;; [unrolled: 1-line block ×4, first 2 shown]
	v_cmpx_lt_u32_e32 12, v0
	s_cbranch_execz .LBB111_118
; %bb.117:
	s_clause 0x3
	buffer_load_dword v203, off, s[16:19], 0 offset:720
	buffer_load_dword v204, off, s[16:19], 0 offset:724
	;; [unrolled: 1-line block ×4, first 2 shown]
	ds_read2_b64 v[215:218], v253 offset0:26 offset1:27
	s_waitcnt vmcnt(0)
	v_mul_f64 v[213:214], v[205:206], v[175:176]
	v_mul_f64 v[175:176], v[203:204], v[175:176]
	v_fma_f64 v[213:214], v[203:204], v[173:174], -v[213:214]
	v_fma_f64 v[175:176], v[205:206], v[173:174], v[175:176]
	s_waitcnt lgkmcnt(0)
	v_mul_f64 v[173:174], v[217:218], v[175:176]
	v_fma_f64 v[173:174], v[215:216], v[213:214], -v[173:174]
	v_mul_f64 v[215:216], v[215:216], v[175:176]
	v_add_f64 v[169:170], v[169:170], -v[173:174]
	v_fma_f64 v[215:216], v[217:218], v[213:214], v[215:216]
	v_add_f64 v[171:172], v[171:172], -v[215:216]
	ds_read2_b64 v[215:218], v253 offset0:28 offset1:29
	s_waitcnt lgkmcnt(0)
	v_mul_f64 v[173:174], v[217:218], v[175:176]
	v_fma_f64 v[173:174], v[215:216], v[213:214], -v[173:174]
	v_mul_f64 v[215:216], v[215:216], v[175:176]
	v_add_f64 v[165:166], v[165:166], -v[173:174]
	v_fma_f64 v[215:216], v[217:218], v[213:214], v[215:216]
	v_add_f64 v[167:168], v[167:168], -v[215:216]
	ds_read2_b64 v[215:218], v253 offset0:30 offset1:31
	;; [unrolled: 8-line block ×42, first 2 shown]
	s_waitcnt lgkmcnt(0)
	v_mul_f64 v[173:174], v[217:218], v[175:176]
	v_fma_f64 v[173:174], v[215:216], v[213:214], -v[173:174]
	v_mul_f64 v[215:216], v[215:216], v[175:176]
	v_add_f64 v[1:2], v[1:2], -v[173:174]
	v_fma_f64 v[215:216], v[217:218], v[213:214], v[215:216]
	v_mov_b32_e32 v173, v213
	v_mov_b32_e32 v174, v214
	v_add_f64 v[3:4], v[3:4], -v[215:216]
.LBB111_118:
	s_or_b32 exec_lo, exec_lo, s1
	s_mov_b32 s2, exec_lo
	s_waitcnt_vscnt null, 0x0
	s_barrier
	buffer_gl0_inv
	v_cmpx_eq_u32_e32 13, v0
	s_cbranch_execz .LBB111_125
; %bb.119:
	ds_write2_b64 v255, v[169:170], v[171:172] offset1:1
	ds_write2_b64 v253, v[165:166], v[167:168] offset0:28 offset1:29
	ds_write2_b64 v253, v[161:162], v[163:164] offset0:30 offset1:31
	;; [unrolled: 1-line block ×42, first 2 shown]
	ds_read2_b64 v[213:216], v255 offset1:1
	s_waitcnt lgkmcnt(0)
	v_cmp_neq_f64_e32 vcc_lo, 0, v[213:214]
	v_cmp_neq_f64_e64 s1, 0, v[215:216]
	s_or_b32 s1, vcc_lo, s1
	s_and_b32 exec_lo, exec_lo, s1
	s_cbranch_execz .LBB111_125
; %bb.120:
	v_cmp_ngt_f64_e64 s1, |v[213:214]|, |v[215:216]|
                                        ; implicit-def: $vgpr217_vgpr218
	s_and_saveexec_b32 s3, s1
	s_xor_b32 s1, exec_lo, s3
                                        ; implicit-def: $vgpr219_vgpr220
	s_cbranch_execz .LBB111_122
; %bb.121:
	v_div_scale_f64 v[217:218], null, v[215:216], v[215:216], v[213:214]
	v_div_scale_f64 v[223:224], vcc_lo, v[213:214], v[215:216], v[213:214]
	v_rcp_f64_e32 v[219:220], v[217:218]
	v_fma_f64 v[221:222], -v[217:218], v[219:220], 1.0
	v_fma_f64 v[219:220], v[219:220], v[221:222], v[219:220]
	v_fma_f64 v[221:222], -v[217:218], v[219:220], 1.0
	v_fma_f64 v[219:220], v[219:220], v[221:222], v[219:220]
	v_mul_f64 v[221:222], v[223:224], v[219:220]
	v_fma_f64 v[217:218], -v[217:218], v[221:222], v[223:224]
	v_div_fmas_f64 v[217:218], v[217:218], v[219:220], v[221:222]
	v_div_fixup_f64 v[217:218], v[217:218], v[215:216], v[213:214]
	v_fma_f64 v[213:214], v[213:214], v[217:218], v[215:216]
	v_div_scale_f64 v[215:216], null, v[213:214], v[213:214], 1.0
	v_rcp_f64_e32 v[219:220], v[215:216]
	v_fma_f64 v[221:222], -v[215:216], v[219:220], 1.0
	v_fma_f64 v[219:220], v[219:220], v[221:222], v[219:220]
	v_fma_f64 v[221:222], -v[215:216], v[219:220], 1.0
	v_fma_f64 v[219:220], v[219:220], v[221:222], v[219:220]
	v_div_scale_f64 v[221:222], vcc_lo, 1.0, v[213:214], 1.0
	v_mul_f64 v[223:224], v[221:222], v[219:220]
	v_fma_f64 v[215:216], -v[215:216], v[223:224], v[221:222]
	v_div_fmas_f64 v[215:216], v[215:216], v[219:220], v[223:224]
	v_div_fixup_f64 v[219:220], v[215:216], v[213:214], 1.0
                                        ; implicit-def: $vgpr213_vgpr214
	v_mul_f64 v[217:218], v[217:218], v[219:220]
	v_xor_b32_e32 v220, 0x80000000, v220
.LBB111_122:
	s_andn2_saveexec_b32 s1, s1
	s_cbranch_execz .LBB111_124
; %bb.123:
	v_div_scale_f64 v[217:218], null, v[213:214], v[213:214], v[215:216]
	v_div_scale_f64 v[223:224], vcc_lo, v[215:216], v[213:214], v[215:216]
	v_rcp_f64_e32 v[219:220], v[217:218]
	v_fma_f64 v[221:222], -v[217:218], v[219:220], 1.0
	v_fma_f64 v[219:220], v[219:220], v[221:222], v[219:220]
	v_fma_f64 v[221:222], -v[217:218], v[219:220], 1.0
	v_fma_f64 v[219:220], v[219:220], v[221:222], v[219:220]
	v_mul_f64 v[221:222], v[223:224], v[219:220]
	v_fma_f64 v[217:218], -v[217:218], v[221:222], v[223:224]
	v_div_fmas_f64 v[217:218], v[217:218], v[219:220], v[221:222]
	v_div_fixup_f64 v[219:220], v[217:218], v[213:214], v[215:216]
	v_fma_f64 v[213:214], v[215:216], v[219:220], v[213:214]
	v_div_scale_f64 v[215:216], null, v[213:214], v[213:214], 1.0
	v_rcp_f64_e32 v[217:218], v[215:216]
	v_fma_f64 v[221:222], -v[215:216], v[217:218], 1.0
	v_fma_f64 v[217:218], v[217:218], v[221:222], v[217:218]
	v_fma_f64 v[221:222], -v[215:216], v[217:218], 1.0
	v_fma_f64 v[217:218], v[217:218], v[221:222], v[217:218]
	v_div_scale_f64 v[221:222], vcc_lo, 1.0, v[213:214], 1.0
	v_mul_f64 v[223:224], v[221:222], v[217:218]
	v_fma_f64 v[215:216], -v[215:216], v[223:224], v[221:222]
	v_div_fmas_f64 v[215:216], v[215:216], v[217:218], v[223:224]
	v_div_fixup_f64 v[217:218], v[215:216], v[213:214], 1.0
	v_mul_f64 v[219:220], v[219:220], -v[217:218]
.LBB111_124:
	s_or_b32 exec_lo, exec_lo, s1
	ds_write2_b64 v255, v[217:218], v[219:220] offset1:1
.LBB111_125:
	s_or_b32 exec_lo, exec_lo, s2
	s_waitcnt lgkmcnt(0)
	s_barrier
	buffer_gl0_inv
	ds_read2_b64 v[203:206], v255 offset1:1
	s_mov_b32 s1, exec_lo
	s_waitcnt lgkmcnt(0)
	buffer_store_dword v203, off, s[16:19], 0 offset:736 ; 4-byte Folded Spill
	buffer_store_dword v204, off, s[16:19], 0 offset:740 ; 4-byte Folded Spill
	;; [unrolled: 1-line block ×4, first 2 shown]
	v_cmpx_lt_u32_e32 13, v0
	s_cbranch_execz .LBB111_127
; %bb.126:
	s_clause 0x3
	buffer_load_dword v203, off, s[16:19], 0 offset:736
	buffer_load_dword v204, off, s[16:19], 0 offset:740
	buffer_load_dword v205, off, s[16:19], 0 offset:744
	buffer_load_dword v206, off, s[16:19], 0 offset:748
	ds_read2_b64 v[215:218], v253 offset0:28 offset1:29
	s_waitcnt vmcnt(0)
	v_mul_f64 v[213:214], v[205:206], v[171:172]
	v_mul_f64 v[171:172], v[203:204], v[171:172]
	v_fma_f64 v[213:214], v[203:204], v[169:170], -v[213:214]
	v_fma_f64 v[171:172], v[205:206], v[169:170], v[171:172]
	s_waitcnt lgkmcnt(0)
	v_mul_f64 v[169:170], v[217:218], v[171:172]
	v_fma_f64 v[169:170], v[215:216], v[213:214], -v[169:170]
	v_mul_f64 v[215:216], v[215:216], v[171:172]
	v_add_f64 v[165:166], v[165:166], -v[169:170]
	v_fma_f64 v[215:216], v[217:218], v[213:214], v[215:216]
	v_add_f64 v[167:168], v[167:168], -v[215:216]
	ds_read2_b64 v[215:218], v253 offset0:30 offset1:31
	s_waitcnt lgkmcnt(0)
	v_mul_f64 v[169:170], v[217:218], v[171:172]
	v_fma_f64 v[169:170], v[215:216], v[213:214], -v[169:170]
	v_mul_f64 v[215:216], v[215:216], v[171:172]
	v_add_f64 v[161:162], v[161:162], -v[169:170]
	v_fma_f64 v[215:216], v[217:218], v[213:214], v[215:216]
	v_add_f64 v[163:164], v[163:164], -v[215:216]
	ds_read2_b64 v[215:218], v253 offset0:32 offset1:33
	;; [unrolled: 8-line block ×41, first 2 shown]
	s_waitcnt lgkmcnt(0)
	v_mul_f64 v[169:170], v[217:218], v[171:172]
	v_fma_f64 v[169:170], v[215:216], v[213:214], -v[169:170]
	v_mul_f64 v[215:216], v[215:216], v[171:172]
	v_add_f64 v[1:2], v[1:2], -v[169:170]
	v_fma_f64 v[215:216], v[217:218], v[213:214], v[215:216]
	v_mov_b32_e32 v169, v213
	v_mov_b32_e32 v170, v214
	v_add_f64 v[3:4], v[3:4], -v[215:216]
.LBB111_127:
	s_or_b32 exec_lo, exec_lo, s1
	s_mov_b32 s2, exec_lo
	s_waitcnt_vscnt null, 0x0
	s_barrier
	buffer_gl0_inv
	v_cmpx_eq_u32_e32 14, v0
	s_cbranch_execz .LBB111_134
; %bb.128:
	ds_write2_b64 v255, v[165:166], v[167:168] offset1:1
	ds_write2_b64 v253, v[161:162], v[163:164] offset0:30 offset1:31
	ds_write2_b64 v253, v[157:158], v[159:160] offset0:32 offset1:33
	;; [unrolled: 1-line block ×41, first 2 shown]
	ds_read2_b64 v[213:216], v255 offset1:1
	s_waitcnt lgkmcnt(0)
	v_cmp_neq_f64_e32 vcc_lo, 0, v[213:214]
	v_cmp_neq_f64_e64 s1, 0, v[215:216]
	s_or_b32 s1, vcc_lo, s1
	s_and_b32 exec_lo, exec_lo, s1
	s_cbranch_execz .LBB111_134
; %bb.129:
	v_cmp_ngt_f64_e64 s1, |v[213:214]|, |v[215:216]|
                                        ; implicit-def: $vgpr217_vgpr218
	s_and_saveexec_b32 s3, s1
	s_xor_b32 s1, exec_lo, s3
                                        ; implicit-def: $vgpr219_vgpr220
	s_cbranch_execz .LBB111_131
; %bb.130:
	v_div_scale_f64 v[217:218], null, v[215:216], v[215:216], v[213:214]
	v_div_scale_f64 v[223:224], vcc_lo, v[213:214], v[215:216], v[213:214]
	v_rcp_f64_e32 v[219:220], v[217:218]
	v_fma_f64 v[221:222], -v[217:218], v[219:220], 1.0
	v_fma_f64 v[219:220], v[219:220], v[221:222], v[219:220]
	v_fma_f64 v[221:222], -v[217:218], v[219:220], 1.0
	v_fma_f64 v[219:220], v[219:220], v[221:222], v[219:220]
	v_mul_f64 v[221:222], v[223:224], v[219:220]
	v_fma_f64 v[217:218], -v[217:218], v[221:222], v[223:224]
	v_div_fmas_f64 v[217:218], v[217:218], v[219:220], v[221:222]
	v_div_fixup_f64 v[217:218], v[217:218], v[215:216], v[213:214]
	v_fma_f64 v[213:214], v[213:214], v[217:218], v[215:216]
	v_div_scale_f64 v[215:216], null, v[213:214], v[213:214], 1.0
	v_rcp_f64_e32 v[219:220], v[215:216]
	v_fma_f64 v[221:222], -v[215:216], v[219:220], 1.0
	v_fma_f64 v[219:220], v[219:220], v[221:222], v[219:220]
	v_fma_f64 v[221:222], -v[215:216], v[219:220], 1.0
	v_fma_f64 v[219:220], v[219:220], v[221:222], v[219:220]
	v_div_scale_f64 v[221:222], vcc_lo, 1.0, v[213:214], 1.0
	v_mul_f64 v[223:224], v[221:222], v[219:220]
	v_fma_f64 v[215:216], -v[215:216], v[223:224], v[221:222]
	v_div_fmas_f64 v[215:216], v[215:216], v[219:220], v[223:224]
	v_div_fixup_f64 v[219:220], v[215:216], v[213:214], 1.0
                                        ; implicit-def: $vgpr213_vgpr214
	v_mul_f64 v[217:218], v[217:218], v[219:220]
	v_xor_b32_e32 v220, 0x80000000, v220
.LBB111_131:
	s_andn2_saveexec_b32 s1, s1
	s_cbranch_execz .LBB111_133
; %bb.132:
	v_div_scale_f64 v[217:218], null, v[213:214], v[213:214], v[215:216]
	v_div_scale_f64 v[223:224], vcc_lo, v[215:216], v[213:214], v[215:216]
	v_rcp_f64_e32 v[219:220], v[217:218]
	v_fma_f64 v[221:222], -v[217:218], v[219:220], 1.0
	v_fma_f64 v[219:220], v[219:220], v[221:222], v[219:220]
	v_fma_f64 v[221:222], -v[217:218], v[219:220], 1.0
	v_fma_f64 v[219:220], v[219:220], v[221:222], v[219:220]
	v_mul_f64 v[221:222], v[223:224], v[219:220]
	v_fma_f64 v[217:218], -v[217:218], v[221:222], v[223:224]
	v_div_fmas_f64 v[217:218], v[217:218], v[219:220], v[221:222]
	v_div_fixup_f64 v[219:220], v[217:218], v[213:214], v[215:216]
	v_fma_f64 v[213:214], v[215:216], v[219:220], v[213:214]
	v_div_scale_f64 v[215:216], null, v[213:214], v[213:214], 1.0
	v_rcp_f64_e32 v[217:218], v[215:216]
	v_fma_f64 v[221:222], -v[215:216], v[217:218], 1.0
	v_fma_f64 v[217:218], v[217:218], v[221:222], v[217:218]
	v_fma_f64 v[221:222], -v[215:216], v[217:218], 1.0
	v_fma_f64 v[217:218], v[217:218], v[221:222], v[217:218]
	v_div_scale_f64 v[221:222], vcc_lo, 1.0, v[213:214], 1.0
	v_mul_f64 v[223:224], v[221:222], v[217:218]
	v_fma_f64 v[215:216], -v[215:216], v[223:224], v[221:222]
	v_div_fmas_f64 v[215:216], v[215:216], v[217:218], v[223:224]
	v_div_fixup_f64 v[217:218], v[215:216], v[213:214], 1.0
	v_mul_f64 v[219:220], v[219:220], -v[217:218]
.LBB111_133:
	s_or_b32 exec_lo, exec_lo, s1
	ds_write2_b64 v255, v[217:218], v[219:220] offset1:1
.LBB111_134:
	s_or_b32 exec_lo, exec_lo, s2
	s_waitcnt lgkmcnt(0)
	s_barrier
	buffer_gl0_inv
	ds_read2_b64 v[203:206], v255 offset1:1
	s_mov_b32 s1, exec_lo
	s_waitcnt lgkmcnt(0)
	buffer_store_dword v203, off, s[16:19], 0 offset:752 ; 4-byte Folded Spill
	buffer_store_dword v204, off, s[16:19], 0 offset:756 ; 4-byte Folded Spill
	;; [unrolled: 1-line block ×4, first 2 shown]
	v_cmpx_lt_u32_e32 14, v0
	s_cbranch_execz .LBB111_136
; %bb.135:
	s_clause 0x3
	buffer_load_dword v203, off, s[16:19], 0 offset:752
	buffer_load_dword v204, off, s[16:19], 0 offset:756
	;; [unrolled: 1-line block ×4, first 2 shown]
	ds_read2_b64 v[215:218], v253 offset0:30 offset1:31
	s_waitcnt vmcnt(0)
	v_mul_f64 v[213:214], v[205:206], v[167:168]
	v_mul_f64 v[167:168], v[203:204], v[167:168]
	v_fma_f64 v[213:214], v[203:204], v[165:166], -v[213:214]
	v_fma_f64 v[167:168], v[205:206], v[165:166], v[167:168]
	s_waitcnt lgkmcnt(0)
	v_mul_f64 v[165:166], v[217:218], v[167:168]
	v_fma_f64 v[165:166], v[215:216], v[213:214], -v[165:166]
	v_mul_f64 v[215:216], v[215:216], v[167:168]
	v_add_f64 v[161:162], v[161:162], -v[165:166]
	v_fma_f64 v[215:216], v[217:218], v[213:214], v[215:216]
	v_add_f64 v[163:164], v[163:164], -v[215:216]
	ds_read2_b64 v[215:218], v253 offset0:32 offset1:33
	s_waitcnt lgkmcnt(0)
	v_mul_f64 v[165:166], v[217:218], v[167:168]
	v_fma_f64 v[165:166], v[215:216], v[213:214], -v[165:166]
	v_mul_f64 v[215:216], v[215:216], v[167:168]
	v_add_f64 v[157:158], v[157:158], -v[165:166]
	v_fma_f64 v[215:216], v[217:218], v[213:214], v[215:216]
	v_add_f64 v[159:160], v[159:160], -v[215:216]
	ds_read2_b64 v[215:218], v253 offset0:34 offset1:35
	;; [unrolled: 8-line block ×40, first 2 shown]
	s_waitcnt lgkmcnt(0)
	v_mul_f64 v[165:166], v[217:218], v[167:168]
	v_fma_f64 v[165:166], v[215:216], v[213:214], -v[165:166]
	v_mul_f64 v[215:216], v[215:216], v[167:168]
	v_add_f64 v[1:2], v[1:2], -v[165:166]
	v_fma_f64 v[215:216], v[217:218], v[213:214], v[215:216]
	v_mov_b32_e32 v165, v213
	v_mov_b32_e32 v166, v214
	v_add_f64 v[3:4], v[3:4], -v[215:216]
.LBB111_136:
	s_or_b32 exec_lo, exec_lo, s1
	s_mov_b32 s2, exec_lo
	s_waitcnt_vscnt null, 0x0
	s_barrier
	buffer_gl0_inv
	v_cmpx_eq_u32_e32 15, v0
	s_cbranch_execz .LBB111_143
; %bb.137:
	ds_write2_b64 v255, v[161:162], v[163:164] offset1:1
	ds_write2_b64 v253, v[157:158], v[159:160] offset0:32 offset1:33
	ds_write2_b64 v253, v[153:154], v[155:156] offset0:34 offset1:35
	;; [unrolled: 1-line block ×40, first 2 shown]
	ds_read2_b64 v[213:216], v255 offset1:1
	s_waitcnt lgkmcnt(0)
	v_cmp_neq_f64_e32 vcc_lo, 0, v[213:214]
	v_cmp_neq_f64_e64 s1, 0, v[215:216]
	s_or_b32 s1, vcc_lo, s1
	s_and_b32 exec_lo, exec_lo, s1
	s_cbranch_execz .LBB111_143
; %bb.138:
	v_cmp_ngt_f64_e64 s1, |v[213:214]|, |v[215:216]|
                                        ; implicit-def: $vgpr217_vgpr218
	s_and_saveexec_b32 s3, s1
	s_xor_b32 s1, exec_lo, s3
                                        ; implicit-def: $vgpr219_vgpr220
	s_cbranch_execz .LBB111_140
; %bb.139:
	v_div_scale_f64 v[217:218], null, v[215:216], v[215:216], v[213:214]
	v_div_scale_f64 v[223:224], vcc_lo, v[213:214], v[215:216], v[213:214]
	v_rcp_f64_e32 v[219:220], v[217:218]
	v_fma_f64 v[221:222], -v[217:218], v[219:220], 1.0
	v_fma_f64 v[219:220], v[219:220], v[221:222], v[219:220]
	v_fma_f64 v[221:222], -v[217:218], v[219:220], 1.0
	v_fma_f64 v[219:220], v[219:220], v[221:222], v[219:220]
	v_mul_f64 v[221:222], v[223:224], v[219:220]
	v_fma_f64 v[217:218], -v[217:218], v[221:222], v[223:224]
	v_div_fmas_f64 v[217:218], v[217:218], v[219:220], v[221:222]
	v_div_fixup_f64 v[217:218], v[217:218], v[215:216], v[213:214]
	v_fma_f64 v[213:214], v[213:214], v[217:218], v[215:216]
	v_div_scale_f64 v[215:216], null, v[213:214], v[213:214], 1.0
	v_rcp_f64_e32 v[219:220], v[215:216]
	v_fma_f64 v[221:222], -v[215:216], v[219:220], 1.0
	v_fma_f64 v[219:220], v[219:220], v[221:222], v[219:220]
	v_fma_f64 v[221:222], -v[215:216], v[219:220], 1.0
	v_fma_f64 v[219:220], v[219:220], v[221:222], v[219:220]
	v_div_scale_f64 v[221:222], vcc_lo, 1.0, v[213:214], 1.0
	v_mul_f64 v[223:224], v[221:222], v[219:220]
	v_fma_f64 v[215:216], -v[215:216], v[223:224], v[221:222]
	v_div_fmas_f64 v[215:216], v[215:216], v[219:220], v[223:224]
	v_div_fixup_f64 v[219:220], v[215:216], v[213:214], 1.0
                                        ; implicit-def: $vgpr213_vgpr214
	v_mul_f64 v[217:218], v[217:218], v[219:220]
	v_xor_b32_e32 v220, 0x80000000, v220
.LBB111_140:
	s_andn2_saveexec_b32 s1, s1
	s_cbranch_execz .LBB111_142
; %bb.141:
	v_div_scale_f64 v[217:218], null, v[213:214], v[213:214], v[215:216]
	v_div_scale_f64 v[223:224], vcc_lo, v[215:216], v[213:214], v[215:216]
	v_rcp_f64_e32 v[219:220], v[217:218]
	v_fma_f64 v[221:222], -v[217:218], v[219:220], 1.0
	v_fma_f64 v[219:220], v[219:220], v[221:222], v[219:220]
	v_fma_f64 v[221:222], -v[217:218], v[219:220], 1.0
	v_fma_f64 v[219:220], v[219:220], v[221:222], v[219:220]
	v_mul_f64 v[221:222], v[223:224], v[219:220]
	v_fma_f64 v[217:218], -v[217:218], v[221:222], v[223:224]
	v_div_fmas_f64 v[217:218], v[217:218], v[219:220], v[221:222]
	v_div_fixup_f64 v[219:220], v[217:218], v[213:214], v[215:216]
	v_fma_f64 v[213:214], v[215:216], v[219:220], v[213:214]
	v_div_scale_f64 v[215:216], null, v[213:214], v[213:214], 1.0
	v_rcp_f64_e32 v[217:218], v[215:216]
	v_fma_f64 v[221:222], -v[215:216], v[217:218], 1.0
	v_fma_f64 v[217:218], v[217:218], v[221:222], v[217:218]
	v_fma_f64 v[221:222], -v[215:216], v[217:218], 1.0
	v_fma_f64 v[217:218], v[217:218], v[221:222], v[217:218]
	v_div_scale_f64 v[221:222], vcc_lo, 1.0, v[213:214], 1.0
	v_mul_f64 v[223:224], v[221:222], v[217:218]
	v_fma_f64 v[215:216], -v[215:216], v[223:224], v[221:222]
	v_div_fmas_f64 v[215:216], v[215:216], v[217:218], v[223:224]
	v_div_fixup_f64 v[217:218], v[215:216], v[213:214], 1.0
	v_mul_f64 v[219:220], v[219:220], -v[217:218]
.LBB111_142:
	s_or_b32 exec_lo, exec_lo, s1
	ds_write2_b64 v255, v[217:218], v[219:220] offset1:1
.LBB111_143:
	s_or_b32 exec_lo, exec_lo, s2
	s_waitcnt lgkmcnt(0)
	s_barrier
	buffer_gl0_inv
	ds_read2_b64 v[203:206], v255 offset1:1
	s_mov_b32 s1, exec_lo
	s_waitcnt lgkmcnt(0)
	buffer_store_dword v203, off, s[16:19], 0 offset:768 ; 4-byte Folded Spill
	buffer_store_dword v204, off, s[16:19], 0 offset:772 ; 4-byte Folded Spill
	;; [unrolled: 1-line block ×4, first 2 shown]
	v_cmpx_lt_u32_e32 15, v0
	s_cbranch_execz .LBB111_145
; %bb.144:
	s_clause 0x3
	buffer_load_dword v203, off, s[16:19], 0 offset:768
	buffer_load_dword v204, off, s[16:19], 0 offset:772
	;; [unrolled: 1-line block ×4, first 2 shown]
	ds_read2_b64 v[215:218], v253 offset0:32 offset1:33
	s_waitcnt vmcnt(0)
	v_mul_f64 v[213:214], v[205:206], v[163:164]
	v_mul_f64 v[163:164], v[203:204], v[163:164]
	v_fma_f64 v[213:214], v[203:204], v[161:162], -v[213:214]
	v_fma_f64 v[163:164], v[205:206], v[161:162], v[163:164]
	s_waitcnt lgkmcnt(0)
	v_mul_f64 v[161:162], v[217:218], v[163:164]
	v_fma_f64 v[161:162], v[215:216], v[213:214], -v[161:162]
	v_mul_f64 v[215:216], v[215:216], v[163:164]
	v_add_f64 v[157:158], v[157:158], -v[161:162]
	v_fma_f64 v[215:216], v[217:218], v[213:214], v[215:216]
	v_add_f64 v[159:160], v[159:160], -v[215:216]
	ds_read2_b64 v[215:218], v253 offset0:34 offset1:35
	s_waitcnt lgkmcnt(0)
	v_mul_f64 v[161:162], v[217:218], v[163:164]
	v_fma_f64 v[161:162], v[215:216], v[213:214], -v[161:162]
	v_mul_f64 v[215:216], v[215:216], v[163:164]
	v_add_f64 v[153:154], v[153:154], -v[161:162]
	v_fma_f64 v[215:216], v[217:218], v[213:214], v[215:216]
	v_add_f64 v[155:156], v[155:156], -v[215:216]
	ds_read2_b64 v[215:218], v253 offset0:36 offset1:37
	;; [unrolled: 8-line block ×39, first 2 shown]
	s_waitcnt lgkmcnt(0)
	v_mul_f64 v[161:162], v[217:218], v[163:164]
	v_fma_f64 v[161:162], v[215:216], v[213:214], -v[161:162]
	v_mul_f64 v[215:216], v[215:216], v[163:164]
	v_add_f64 v[1:2], v[1:2], -v[161:162]
	v_fma_f64 v[215:216], v[217:218], v[213:214], v[215:216]
	v_mov_b32_e32 v161, v213
	v_mov_b32_e32 v162, v214
	v_add_f64 v[3:4], v[3:4], -v[215:216]
.LBB111_145:
	s_or_b32 exec_lo, exec_lo, s1
	s_mov_b32 s2, exec_lo
	s_waitcnt_vscnt null, 0x0
	s_barrier
	buffer_gl0_inv
	v_cmpx_eq_u32_e32 16, v0
	s_cbranch_execz .LBB111_152
; %bb.146:
	ds_write2_b64 v255, v[157:158], v[159:160] offset1:1
	ds_write2_b64 v253, v[153:154], v[155:156] offset0:34 offset1:35
	ds_write2_b64 v253, v[149:150], v[151:152] offset0:36 offset1:37
	;; [unrolled: 1-line block ×39, first 2 shown]
	ds_read2_b64 v[213:216], v255 offset1:1
	s_waitcnt lgkmcnt(0)
	v_cmp_neq_f64_e32 vcc_lo, 0, v[213:214]
	v_cmp_neq_f64_e64 s1, 0, v[215:216]
	s_or_b32 s1, vcc_lo, s1
	s_and_b32 exec_lo, exec_lo, s1
	s_cbranch_execz .LBB111_152
; %bb.147:
	v_cmp_ngt_f64_e64 s1, |v[213:214]|, |v[215:216]|
                                        ; implicit-def: $vgpr217_vgpr218
	s_and_saveexec_b32 s3, s1
	s_xor_b32 s1, exec_lo, s3
                                        ; implicit-def: $vgpr219_vgpr220
	s_cbranch_execz .LBB111_149
; %bb.148:
	v_div_scale_f64 v[217:218], null, v[215:216], v[215:216], v[213:214]
	v_div_scale_f64 v[223:224], vcc_lo, v[213:214], v[215:216], v[213:214]
	v_rcp_f64_e32 v[219:220], v[217:218]
	v_fma_f64 v[221:222], -v[217:218], v[219:220], 1.0
	v_fma_f64 v[219:220], v[219:220], v[221:222], v[219:220]
	v_fma_f64 v[221:222], -v[217:218], v[219:220], 1.0
	v_fma_f64 v[219:220], v[219:220], v[221:222], v[219:220]
	v_mul_f64 v[221:222], v[223:224], v[219:220]
	v_fma_f64 v[217:218], -v[217:218], v[221:222], v[223:224]
	v_div_fmas_f64 v[217:218], v[217:218], v[219:220], v[221:222]
	v_div_fixup_f64 v[217:218], v[217:218], v[215:216], v[213:214]
	v_fma_f64 v[213:214], v[213:214], v[217:218], v[215:216]
	v_div_scale_f64 v[215:216], null, v[213:214], v[213:214], 1.0
	v_rcp_f64_e32 v[219:220], v[215:216]
	v_fma_f64 v[221:222], -v[215:216], v[219:220], 1.0
	v_fma_f64 v[219:220], v[219:220], v[221:222], v[219:220]
	v_fma_f64 v[221:222], -v[215:216], v[219:220], 1.0
	v_fma_f64 v[219:220], v[219:220], v[221:222], v[219:220]
	v_div_scale_f64 v[221:222], vcc_lo, 1.0, v[213:214], 1.0
	v_mul_f64 v[223:224], v[221:222], v[219:220]
	v_fma_f64 v[215:216], -v[215:216], v[223:224], v[221:222]
	v_div_fmas_f64 v[215:216], v[215:216], v[219:220], v[223:224]
	v_div_fixup_f64 v[219:220], v[215:216], v[213:214], 1.0
                                        ; implicit-def: $vgpr213_vgpr214
	v_mul_f64 v[217:218], v[217:218], v[219:220]
	v_xor_b32_e32 v220, 0x80000000, v220
.LBB111_149:
	s_andn2_saveexec_b32 s1, s1
	s_cbranch_execz .LBB111_151
; %bb.150:
	v_div_scale_f64 v[217:218], null, v[213:214], v[213:214], v[215:216]
	v_div_scale_f64 v[223:224], vcc_lo, v[215:216], v[213:214], v[215:216]
	v_rcp_f64_e32 v[219:220], v[217:218]
	v_fma_f64 v[221:222], -v[217:218], v[219:220], 1.0
	v_fma_f64 v[219:220], v[219:220], v[221:222], v[219:220]
	v_fma_f64 v[221:222], -v[217:218], v[219:220], 1.0
	v_fma_f64 v[219:220], v[219:220], v[221:222], v[219:220]
	v_mul_f64 v[221:222], v[223:224], v[219:220]
	v_fma_f64 v[217:218], -v[217:218], v[221:222], v[223:224]
	v_div_fmas_f64 v[217:218], v[217:218], v[219:220], v[221:222]
	v_div_fixup_f64 v[219:220], v[217:218], v[213:214], v[215:216]
	v_fma_f64 v[213:214], v[215:216], v[219:220], v[213:214]
	v_div_scale_f64 v[215:216], null, v[213:214], v[213:214], 1.0
	v_rcp_f64_e32 v[217:218], v[215:216]
	v_fma_f64 v[221:222], -v[215:216], v[217:218], 1.0
	v_fma_f64 v[217:218], v[217:218], v[221:222], v[217:218]
	v_fma_f64 v[221:222], -v[215:216], v[217:218], 1.0
	v_fma_f64 v[217:218], v[217:218], v[221:222], v[217:218]
	v_div_scale_f64 v[221:222], vcc_lo, 1.0, v[213:214], 1.0
	v_mul_f64 v[223:224], v[221:222], v[217:218]
	v_fma_f64 v[215:216], -v[215:216], v[223:224], v[221:222]
	v_div_fmas_f64 v[215:216], v[215:216], v[217:218], v[223:224]
	v_div_fixup_f64 v[217:218], v[215:216], v[213:214], 1.0
	v_mul_f64 v[219:220], v[219:220], -v[217:218]
.LBB111_151:
	s_or_b32 exec_lo, exec_lo, s1
	ds_write2_b64 v255, v[217:218], v[219:220] offset1:1
.LBB111_152:
	s_or_b32 exec_lo, exec_lo, s2
	s_waitcnt lgkmcnt(0)
	s_barrier
	buffer_gl0_inv
	ds_read2_b64 v[203:206], v255 offset1:1
	s_mov_b32 s1, exec_lo
	s_waitcnt lgkmcnt(0)
	buffer_store_dword v203, off, s[16:19], 0 offset:784 ; 4-byte Folded Spill
	buffer_store_dword v204, off, s[16:19], 0 offset:788 ; 4-byte Folded Spill
	;; [unrolled: 1-line block ×4, first 2 shown]
	v_cmpx_lt_u32_e32 16, v0
	s_cbranch_execz .LBB111_154
; %bb.153:
	s_clause 0x3
	buffer_load_dword v203, off, s[16:19], 0 offset:784
	buffer_load_dword v204, off, s[16:19], 0 offset:788
	;; [unrolled: 1-line block ×4, first 2 shown]
	ds_read2_b64 v[215:218], v253 offset0:34 offset1:35
	s_waitcnt vmcnt(0)
	v_mul_f64 v[213:214], v[205:206], v[159:160]
	v_mul_f64 v[159:160], v[203:204], v[159:160]
	v_fma_f64 v[213:214], v[203:204], v[157:158], -v[213:214]
	v_fma_f64 v[159:160], v[205:206], v[157:158], v[159:160]
	s_waitcnt lgkmcnt(0)
	v_mul_f64 v[157:158], v[217:218], v[159:160]
	v_fma_f64 v[157:158], v[215:216], v[213:214], -v[157:158]
	v_mul_f64 v[215:216], v[215:216], v[159:160]
	v_add_f64 v[153:154], v[153:154], -v[157:158]
	v_fma_f64 v[215:216], v[217:218], v[213:214], v[215:216]
	v_add_f64 v[155:156], v[155:156], -v[215:216]
	ds_read2_b64 v[215:218], v253 offset0:36 offset1:37
	s_waitcnt lgkmcnt(0)
	v_mul_f64 v[157:158], v[217:218], v[159:160]
	v_fma_f64 v[157:158], v[215:216], v[213:214], -v[157:158]
	v_mul_f64 v[215:216], v[215:216], v[159:160]
	v_add_f64 v[149:150], v[149:150], -v[157:158]
	v_fma_f64 v[215:216], v[217:218], v[213:214], v[215:216]
	v_add_f64 v[151:152], v[151:152], -v[215:216]
	ds_read2_b64 v[215:218], v253 offset0:38 offset1:39
	;; [unrolled: 8-line block ×38, first 2 shown]
	s_waitcnt lgkmcnt(0)
	v_mul_f64 v[157:158], v[217:218], v[159:160]
	v_fma_f64 v[157:158], v[215:216], v[213:214], -v[157:158]
	v_mul_f64 v[215:216], v[215:216], v[159:160]
	v_add_f64 v[1:2], v[1:2], -v[157:158]
	v_fma_f64 v[215:216], v[217:218], v[213:214], v[215:216]
	v_mov_b32_e32 v157, v213
	v_mov_b32_e32 v158, v214
	v_add_f64 v[3:4], v[3:4], -v[215:216]
.LBB111_154:
	s_or_b32 exec_lo, exec_lo, s1
	s_mov_b32 s2, exec_lo
	s_waitcnt_vscnt null, 0x0
	s_barrier
	buffer_gl0_inv
	v_cmpx_eq_u32_e32 17, v0
	s_cbranch_execz .LBB111_161
; %bb.155:
	ds_write2_b64 v255, v[153:154], v[155:156] offset1:1
	ds_write2_b64 v253, v[149:150], v[151:152] offset0:36 offset1:37
	ds_write2_b64 v253, v[145:146], v[147:148] offset0:38 offset1:39
	;; [unrolled: 1-line block ×38, first 2 shown]
	ds_read2_b64 v[213:216], v255 offset1:1
	s_waitcnt lgkmcnt(0)
	v_cmp_neq_f64_e32 vcc_lo, 0, v[213:214]
	v_cmp_neq_f64_e64 s1, 0, v[215:216]
	s_or_b32 s1, vcc_lo, s1
	s_and_b32 exec_lo, exec_lo, s1
	s_cbranch_execz .LBB111_161
; %bb.156:
	v_cmp_ngt_f64_e64 s1, |v[213:214]|, |v[215:216]|
                                        ; implicit-def: $vgpr217_vgpr218
	s_and_saveexec_b32 s3, s1
	s_xor_b32 s1, exec_lo, s3
                                        ; implicit-def: $vgpr219_vgpr220
	s_cbranch_execz .LBB111_158
; %bb.157:
	v_div_scale_f64 v[217:218], null, v[215:216], v[215:216], v[213:214]
	v_div_scale_f64 v[223:224], vcc_lo, v[213:214], v[215:216], v[213:214]
	v_rcp_f64_e32 v[219:220], v[217:218]
	v_fma_f64 v[221:222], -v[217:218], v[219:220], 1.0
	v_fma_f64 v[219:220], v[219:220], v[221:222], v[219:220]
	v_fma_f64 v[221:222], -v[217:218], v[219:220], 1.0
	v_fma_f64 v[219:220], v[219:220], v[221:222], v[219:220]
	v_mul_f64 v[221:222], v[223:224], v[219:220]
	v_fma_f64 v[217:218], -v[217:218], v[221:222], v[223:224]
	v_div_fmas_f64 v[217:218], v[217:218], v[219:220], v[221:222]
	v_div_fixup_f64 v[217:218], v[217:218], v[215:216], v[213:214]
	v_fma_f64 v[213:214], v[213:214], v[217:218], v[215:216]
	v_div_scale_f64 v[215:216], null, v[213:214], v[213:214], 1.0
	v_rcp_f64_e32 v[219:220], v[215:216]
	v_fma_f64 v[221:222], -v[215:216], v[219:220], 1.0
	v_fma_f64 v[219:220], v[219:220], v[221:222], v[219:220]
	v_fma_f64 v[221:222], -v[215:216], v[219:220], 1.0
	v_fma_f64 v[219:220], v[219:220], v[221:222], v[219:220]
	v_div_scale_f64 v[221:222], vcc_lo, 1.0, v[213:214], 1.0
	v_mul_f64 v[223:224], v[221:222], v[219:220]
	v_fma_f64 v[215:216], -v[215:216], v[223:224], v[221:222]
	v_div_fmas_f64 v[215:216], v[215:216], v[219:220], v[223:224]
	v_div_fixup_f64 v[219:220], v[215:216], v[213:214], 1.0
                                        ; implicit-def: $vgpr213_vgpr214
	v_mul_f64 v[217:218], v[217:218], v[219:220]
	v_xor_b32_e32 v220, 0x80000000, v220
.LBB111_158:
	s_andn2_saveexec_b32 s1, s1
	s_cbranch_execz .LBB111_160
; %bb.159:
	v_div_scale_f64 v[217:218], null, v[213:214], v[213:214], v[215:216]
	v_div_scale_f64 v[223:224], vcc_lo, v[215:216], v[213:214], v[215:216]
	v_rcp_f64_e32 v[219:220], v[217:218]
	v_fma_f64 v[221:222], -v[217:218], v[219:220], 1.0
	v_fma_f64 v[219:220], v[219:220], v[221:222], v[219:220]
	v_fma_f64 v[221:222], -v[217:218], v[219:220], 1.0
	v_fma_f64 v[219:220], v[219:220], v[221:222], v[219:220]
	v_mul_f64 v[221:222], v[223:224], v[219:220]
	v_fma_f64 v[217:218], -v[217:218], v[221:222], v[223:224]
	v_div_fmas_f64 v[217:218], v[217:218], v[219:220], v[221:222]
	v_div_fixup_f64 v[219:220], v[217:218], v[213:214], v[215:216]
	v_fma_f64 v[213:214], v[215:216], v[219:220], v[213:214]
	v_div_scale_f64 v[215:216], null, v[213:214], v[213:214], 1.0
	v_rcp_f64_e32 v[217:218], v[215:216]
	v_fma_f64 v[221:222], -v[215:216], v[217:218], 1.0
	v_fma_f64 v[217:218], v[217:218], v[221:222], v[217:218]
	v_fma_f64 v[221:222], -v[215:216], v[217:218], 1.0
	v_fma_f64 v[217:218], v[217:218], v[221:222], v[217:218]
	v_div_scale_f64 v[221:222], vcc_lo, 1.0, v[213:214], 1.0
	v_mul_f64 v[223:224], v[221:222], v[217:218]
	v_fma_f64 v[215:216], -v[215:216], v[223:224], v[221:222]
	v_div_fmas_f64 v[215:216], v[215:216], v[217:218], v[223:224]
	v_div_fixup_f64 v[217:218], v[215:216], v[213:214], 1.0
	v_mul_f64 v[219:220], v[219:220], -v[217:218]
.LBB111_160:
	s_or_b32 exec_lo, exec_lo, s1
	ds_write2_b64 v255, v[217:218], v[219:220] offset1:1
.LBB111_161:
	s_or_b32 exec_lo, exec_lo, s2
	s_waitcnt lgkmcnt(0)
	s_barrier
	buffer_gl0_inv
	ds_read2_b64 v[203:206], v255 offset1:1
	s_mov_b32 s1, exec_lo
	s_waitcnt lgkmcnt(0)
	buffer_store_dword v203, off, s[16:19], 0 offset:800 ; 4-byte Folded Spill
	buffer_store_dword v204, off, s[16:19], 0 offset:804 ; 4-byte Folded Spill
	;; [unrolled: 1-line block ×4, first 2 shown]
	v_cmpx_lt_u32_e32 17, v0
	s_cbranch_execz .LBB111_163
; %bb.162:
	s_clause 0x3
	buffer_load_dword v203, off, s[16:19], 0 offset:800
	buffer_load_dword v204, off, s[16:19], 0 offset:804
	;; [unrolled: 1-line block ×4, first 2 shown]
	ds_read2_b64 v[215:218], v253 offset0:36 offset1:37
	s_waitcnt vmcnt(0)
	v_mul_f64 v[213:214], v[205:206], v[155:156]
	v_mul_f64 v[155:156], v[203:204], v[155:156]
	v_fma_f64 v[213:214], v[203:204], v[153:154], -v[213:214]
	v_fma_f64 v[155:156], v[205:206], v[153:154], v[155:156]
	s_waitcnt lgkmcnt(0)
	v_mul_f64 v[153:154], v[217:218], v[155:156]
	v_fma_f64 v[153:154], v[215:216], v[213:214], -v[153:154]
	v_mul_f64 v[215:216], v[215:216], v[155:156]
	v_add_f64 v[149:150], v[149:150], -v[153:154]
	v_fma_f64 v[215:216], v[217:218], v[213:214], v[215:216]
	v_add_f64 v[151:152], v[151:152], -v[215:216]
	ds_read2_b64 v[215:218], v253 offset0:38 offset1:39
	s_waitcnt lgkmcnt(0)
	v_mul_f64 v[153:154], v[217:218], v[155:156]
	v_fma_f64 v[153:154], v[215:216], v[213:214], -v[153:154]
	v_mul_f64 v[215:216], v[215:216], v[155:156]
	v_add_f64 v[145:146], v[145:146], -v[153:154]
	v_fma_f64 v[215:216], v[217:218], v[213:214], v[215:216]
	v_add_f64 v[147:148], v[147:148], -v[215:216]
	ds_read2_b64 v[215:218], v253 offset0:40 offset1:41
	;; [unrolled: 8-line block ×37, first 2 shown]
	s_waitcnt lgkmcnt(0)
	v_mul_f64 v[153:154], v[217:218], v[155:156]
	v_fma_f64 v[153:154], v[215:216], v[213:214], -v[153:154]
	v_mul_f64 v[215:216], v[215:216], v[155:156]
	v_add_f64 v[1:2], v[1:2], -v[153:154]
	v_fma_f64 v[215:216], v[217:218], v[213:214], v[215:216]
	v_mov_b32_e32 v153, v213
	v_mov_b32_e32 v154, v214
	v_add_f64 v[3:4], v[3:4], -v[215:216]
.LBB111_163:
	s_or_b32 exec_lo, exec_lo, s1
	s_mov_b32 s2, exec_lo
	s_waitcnt_vscnt null, 0x0
	s_barrier
	buffer_gl0_inv
	v_cmpx_eq_u32_e32 18, v0
	s_cbranch_execz .LBB111_170
; %bb.164:
	ds_write2_b64 v255, v[149:150], v[151:152] offset1:1
	ds_write2_b64 v253, v[145:146], v[147:148] offset0:38 offset1:39
	ds_write2_b64 v253, v[141:142], v[143:144] offset0:40 offset1:41
	;; [unrolled: 1-line block ×37, first 2 shown]
	ds_read2_b64 v[213:216], v255 offset1:1
	s_waitcnt lgkmcnt(0)
	v_cmp_neq_f64_e32 vcc_lo, 0, v[213:214]
	v_cmp_neq_f64_e64 s1, 0, v[215:216]
	s_or_b32 s1, vcc_lo, s1
	s_and_b32 exec_lo, exec_lo, s1
	s_cbranch_execz .LBB111_170
; %bb.165:
	v_cmp_ngt_f64_e64 s1, |v[213:214]|, |v[215:216]|
                                        ; implicit-def: $vgpr217_vgpr218
	s_and_saveexec_b32 s3, s1
	s_xor_b32 s1, exec_lo, s3
                                        ; implicit-def: $vgpr219_vgpr220
	s_cbranch_execz .LBB111_167
; %bb.166:
	v_div_scale_f64 v[217:218], null, v[215:216], v[215:216], v[213:214]
	v_div_scale_f64 v[223:224], vcc_lo, v[213:214], v[215:216], v[213:214]
	v_rcp_f64_e32 v[219:220], v[217:218]
	v_fma_f64 v[221:222], -v[217:218], v[219:220], 1.0
	v_fma_f64 v[219:220], v[219:220], v[221:222], v[219:220]
	v_fma_f64 v[221:222], -v[217:218], v[219:220], 1.0
	v_fma_f64 v[219:220], v[219:220], v[221:222], v[219:220]
	v_mul_f64 v[221:222], v[223:224], v[219:220]
	v_fma_f64 v[217:218], -v[217:218], v[221:222], v[223:224]
	v_div_fmas_f64 v[217:218], v[217:218], v[219:220], v[221:222]
	v_div_fixup_f64 v[217:218], v[217:218], v[215:216], v[213:214]
	v_fma_f64 v[213:214], v[213:214], v[217:218], v[215:216]
	v_div_scale_f64 v[215:216], null, v[213:214], v[213:214], 1.0
	v_rcp_f64_e32 v[219:220], v[215:216]
	v_fma_f64 v[221:222], -v[215:216], v[219:220], 1.0
	v_fma_f64 v[219:220], v[219:220], v[221:222], v[219:220]
	v_fma_f64 v[221:222], -v[215:216], v[219:220], 1.0
	v_fma_f64 v[219:220], v[219:220], v[221:222], v[219:220]
	v_div_scale_f64 v[221:222], vcc_lo, 1.0, v[213:214], 1.0
	v_mul_f64 v[223:224], v[221:222], v[219:220]
	v_fma_f64 v[215:216], -v[215:216], v[223:224], v[221:222]
	v_div_fmas_f64 v[215:216], v[215:216], v[219:220], v[223:224]
	v_div_fixup_f64 v[219:220], v[215:216], v[213:214], 1.0
                                        ; implicit-def: $vgpr213_vgpr214
	v_mul_f64 v[217:218], v[217:218], v[219:220]
	v_xor_b32_e32 v220, 0x80000000, v220
.LBB111_167:
	s_andn2_saveexec_b32 s1, s1
	s_cbranch_execz .LBB111_169
; %bb.168:
	v_div_scale_f64 v[217:218], null, v[213:214], v[213:214], v[215:216]
	v_div_scale_f64 v[223:224], vcc_lo, v[215:216], v[213:214], v[215:216]
	v_rcp_f64_e32 v[219:220], v[217:218]
	v_fma_f64 v[221:222], -v[217:218], v[219:220], 1.0
	v_fma_f64 v[219:220], v[219:220], v[221:222], v[219:220]
	v_fma_f64 v[221:222], -v[217:218], v[219:220], 1.0
	v_fma_f64 v[219:220], v[219:220], v[221:222], v[219:220]
	v_mul_f64 v[221:222], v[223:224], v[219:220]
	v_fma_f64 v[217:218], -v[217:218], v[221:222], v[223:224]
	v_div_fmas_f64 v[217:218], v[217:218], v[219:220], v[221:222]
	v_div_fixup_f64 v[219:220], v[217:218], v[213:214], v[215:216]
	v_fma_f64 v[213:214], v[215:216], v[219:220], v[213:214]
	v_div_scale_f64 v[215:216], null, v[213:214], v[213:214], 1.0
	v_rcp_f64_e32 v[217:218], v[215:216]
	v_fma_f64 v[221:222], -v[215:216], v[217:218], 1.0
	v_fma_f64 v[217:218], v[217:218], v[221:222], v[217:218]
	v_fma_f64 v[221:222], -v[215:216], v[217:218], 1.0
	v_fma_f64 v[217:218], v[217:218], v[221:222], v[217:218]
	v_div_scale_f64 v[221:222], vcc_lo, 1.0, v[213:214], 1.0
	v_mul_f64 v[223:224], v[221:222], v[217:218]
	v_fma_f64 v[215:216], -v[215:216], v[223:224], v[221:222]
	v_div_fmas_f64 v[215:216], v[215:216], v[217:218], v[223:224]
	v_div_fixup_f64 v[217:218], v[215:216], v[213:214], 1.0
	v_mul_f64 v[219:220], v[219:220], -v[217:218]
.LBB111_169:
	s_or_b32 exec_lo, exec_lo, s1
	ds_write2_b64 v255, v[217:218], v[219:220] offset1:1
.LBB111_170:
	s_or_b32 exec_lo, exec_lo, s2
	s_waitcnt lgkmcnt(0)
	s_barrier
	buffer_gl0_inv
	ds_read2_b64 v[203:206], v255 offset1:1
	s_mov_b32 s1, exec_lo
	s_waitcnt lgkmcnt(0)
	buffer_store_dword v203, off, s[16:19], 0 offset:816 ; 4-byte Folded Spill
	buffer_store_dword v204, off, s[16:19], 0 offset:820 ; 4-byte Folded Spill
	;; [unrolled: 1-line block ×4, first 2 shown]
	v_cmpx_lt_u32_e32 18, v0
	s_cbranch_execz .LBB111_172
; %bb.171:
	s_clause 0x3
	buffer_load_dword v203, off, s[16:19], 0 offset:816
	buffer_load_dword v204, off, s[16:19], 0 offset:820
	;; [unrolled: 1-line block ×4, first 2 shown]
	ds_read2_b64 v[215:218], v253 offset0:38 offset1:39
	s_waitcnt vmcnt(0)
	v_mul_f64 v[213:214], v[205:206], v[151:152]
	v_mul_f64 v[151:152], v[203:204], v[151:152]
	v_fma_f64 v[213:214], v[203:204], v[149:150], -v[213:214]
	v_fma_f64 v[151:152], v[205:206], v[149:150], v[151:152]
	s_waitcnt lgkmcnt(0)
	v_mul_f64 v[149:150], v[217:218], v[151:152]
	v_fma_f64 v[149:150], v[215:216], v[213:214], -v[149:150]
	v_mul_f64 v[215:216], v[215:216], v[151:152]
	v_add_f64 v[145:146], v[145:146], -v[149:150]
	v_fma_f64 v[215:216], v[217:218], v[213:214], v[215:216]
	v_add_f64 v[147:148], v[147:148], -v[215:216]
	ds_read2_b64 v[215:218], v253 offset0:40 offset1:41
	s_waitcnt lgkmcnt(0)
	v_mul_f64 v[149:150], v[217:218], v[151:152]
	v_fma_f64 v[149:150], v[215:216], v[213:214], -v[149:150]
	v_mul_f64 v[215:216], v[215:216], v[151:152]
	v_add_f64 v[141:142], v[141:142], -v[149:150]
	v_fma_f64 v[215:216], v[217:218], v[213:214], v[215:216]
	v_add_f64 v[143:144], v[143:144], -v[215:216]
	ds_read2_b64 v[215:218], v253 offset0:42 offset1:43
	;; [unrolled: 8-line block ×36, first 2 shown]
	s_waitcnt lgkmcnt(0)
	v_mul_f64 v[149:150], v[217:218], v[151:152]
	v_fma_f64 v[149:150], v[215:216], v[213:214], -v[149:150]
	v_mul_f64 v[215:216], v[215:216], v[151:152]
	v_add_f64 v[1:2], v[1:2], -v[149:150]
	v_fma_f64 v[215:216], v[217:218], v[213:214], v[215:216]
	v_mov_b32_e32 v149, v213
	v_mov_b32_e32 v150, v214
	v_add_f64 v[3:4], v[3:4], -v[215:216]
.LBB111_172:
	s_or_b32 exec_lo, exec_lo, s1
	s_mov_b32 s2, exec_lo
	s_waitcnt_vscnt null, 0x0
	s_barrier
	buffer_gl0_inv
	v_cmpx_eq_u32_e32 19, v0
	s_cbranch_execz .LBB111_179
; %bb.173:
	ds_write2_b64 v255, v[145:146], v[147:148] offset1:1
	ds_write2_b64 v253, v[141:142], v[143:144] offset0:40 offset1:41
	ds_write2_b64 v253, v[137:138], v[139:140] offset0:42 offset1:43
	;; [unrolled: 1-line block ×36, first 2 shown]
	ds_read2_b64 v[213:216], v255 offset1:1
	s_waitcnt lgkmcnt(0)
	v_cmp_neq_f64_e32 vcc_lo, 0, v[213:214]
	v_cmp_neq_f64_e64 s1, 0, v[215:216]
	s_or_b32 s1, vcc_lo, s1
	s_and_b32 exec_lo, exec_lo, s1
	s_cbranch_execz .LBB111_179
; %bb.174:
	v_cmp_ngt_f64_e64 s1, |v[213:214]|, |v[215:216]|
                                        ; implicit-def: $vgpr217_vgpr218
	s_and_saveexec_b32 s3, s1
	s_xor_b32 s1, exec_lo, s3
                                        ; implicit-def: $vgpr219_vgpr220
	s_cbranch_execz .LBB111_176
; %bb.175:
	v_div_scale_f64 v[217:218], null, v[215:216], v[215:216], v[213:214]
	v_div_scale_f64 v[223:224], vcc_lo, v[213:214], v[215:216], v[213:214]
	v_rcp_f64_e32 v[219:220], v[217:218]
	v_fma_f64 v[221:222], -v[217:218], v[219:220], 1.0
	v_fma_f64 v[219:220], v[219:220], v[221:222], v[219:220]
	v_fma_f64 v[221:222], -v[217:218], v[219:220], 1.0
	v_fma_f64 v[219:220], v[219:220], v[221:222], v[219:220]
	v_mul_f64 v[221:222], v[223:224], v[219:220]
	v_fma_f64 v[217:218], -v[217:218], v[221:222], v[223:224]
	v_div_fmas_f64 v[217:218], v[217:218], v[219:220], v[221:222]
	v_div_fixup_f64 v[217:218], v[217:218], v[215:216], v[213:214]
	v_fma_f64 v[213:214], v[213:214], v[217:218], v[215:216]
	v_div_scale_f64 v[215:216], null, v[213:214], v[213:214], 1.0
	v_rcp_f64_e32 v[219:220], v[215:216]
	v_fma_f64 v[221:222], -v[215:216], v[219:220], 1.0
	v_fma_f64 v[219:220], v[219:220], v[221:222], v[219:220]
	v_fma_f64 v[221:222], -v[215:216], v[219:220], 1.0
	v_fma_f64 v[219:220], v[219:220], v[221:222], v[219:220]
	v_div_scale_f64 v[221:222], vcc_lo, 1.0, v[213:214], 1.0
	v_mul_f64 v[223:224], v[221:222], v[219:220]
	v_fma_f64 v[215:216], -v[215:216], v[223:224], v[221:222]
	v_div_fmas_f64 v[215:216], v[215:216], v[219:220], v[223:224]
	v_div_fixup_f64 v[219:220], v[215:216], v[213:214], 1.0
                                        ; implicit-def: $vgpr213_vgpr214
	v_mul_f64 v[217:218], v[217:218], v[219:220]
	v_xor_b32_e32 v220, 0x80000000, v220
.LBB111_176:
	s_andn2_saveexec_b32 s1, s1
	s_cbranch_execz .LBB111_178
; %bb.177:
	v_div_scale_f64 v[217:218], null, v[213:214], v[213:214], v[215:216]
	v_div_scale_f64 v[223:224], vcc_lo, v[215:216], v[213:214], v[215:216]
	v_rcp_f64_e32 v[219:220], v[217:218]
	v_fma_f64 v[221:222], -v[217:218], v[219:220], 1.0
	v_fma_f64 v[219:220], v[219:220], v[221:222], v[219:220]
	v_fma_f64 v[221:222], -v[217:218], v[219:220], 1.0
	v_fma_f64 v[219:220], v[219:220], v[221:222], v[219:220]
	v_mul_f64 v[221:222], v[223:224], v[219:220]
	v_fma_f64 v[217:218], -v[217:218], v[221:222], v[223:224]
	v_div_fmas_f64 v[217:218], v[217:218], v[219:220], v[221:222]
	v_div_fixup_f64 v[219:220], v[217:218], v[213:214], v[215:216]
	v_fma_f64 v[213:214], v[215:216], v[219:220], v[213:214]
	v_div_scale_f64 v[215:216], null, v[213:214], v[213:214], 1.0
	v_rcp_f64_e32 v[217:218], v[215:216]
	v_fma_f64 v[221:222], -v[215:216], v[217:218], 1.0
	v_fma_f64 v[217:218], v[217:218], v[221:222], v[217:218]
	v_fma_f64 v[221:222], -v[215:216], v[217:218], 1.0
	v_fma_f64 v[217:218], v[217:218], v[221:222], v[217:218]
	v_div_scale_f64 v[221:222], vcc_lo, 1.0, v[213:214], 1.0
	v_mul_f64 v[223:224], v[221:222], v[217:218]
	v_fma_f64 v[215:216], -v[215:216], v[223:224], v[221:222]
	v_div_fmas_f64 v[215:216], v[215:216], v[217:218], v[223:224]
	v_div_fixup_f64 v[217:218], v[215:216], v[213:214], 1.0
	v_mul_f64 v[219:220], v[219:220], -v[217:218]
.LBB111_178:
	s_or_b32 exec_lo, exec_lo, s1
	ds_write2_b64 v255, v[217:218], v[219:220] offset1:1
.LBB111_179:
	s_or_b32 exec_lo, exec_lo, s2
	s_waitcnt lgkmcnt(0)
	s_barrier
	buffer_gl0_inv
	ds_read2_b64 v[203:206], v255 offset1:1
	s_mov_b32 s1, exec_lo
	s_waitcnt lgkmcnt(0)
	buffer_store_dword v203, off, s[16:19], 0 offset:832 ; 4-byte Folded Spill
	buffer_store_dword v204, off, s[16:19], 0 offset:836 ; 4-byte Folded Spill
	;; [unrolled: 1-line block ×4, first 2 shown]
	v_cmpx_lt_u32_e32 19, v0
	s_cbranch_execz .LBB111_181
; %bb.180:
	s_clause 0x3
	buffer_load_dword v203, off, s[16:19], 0 offset:832
	buffer_load_dword v204, off, s[16:19], 0 offset:836
	;; [unrolled: 1-line block ×4, first 2 shown]
	ds_read2_b64 v[215:218], v253 offset0:40 offset1:41
	s_waitcnt vmcnt(0)
	v_mul_f64 v[213:214], v[205:206], v[147:148]
	v_mul_f64 v[147:148], v[203:204], v[147:148]
	v_fma_f64 v[213:214], v[203:204], v[145:146], -v[213:214]
	v_fma_f64 v[147:148], v[205:206], v[145:146], v[147:148]
	s_waitcnt lgkmcnt(0)
	v_mul_f64 v[145:146], v[217:218], v[147:148]
	v_fma_f64 v[145:146], v[215:216], v[213:214], -v[145:146]
	v_mul_f64 v[215:216], v[215:216], v[147:148]
	v_add_f64 v[141:142], v[141:142], -v[145:146]
	v_fma_f64 v[215:216], v[217:218], v[213:214], v[215:216]
	v_add_f64 v[143:144], v[143:144], -v[215:216]
	ds_read2_b64 v[215:218], v253 offset0:42 offset1:43
	s_waitcnt lgkmcnt(0)
	v_mul_f64 v[145:146], v[217:218], v[147:148]
	v_fma_f64 v[145:146], v[215:216], v[213:214], -v[145:146]
	v_mul_f64 v[215:216], v[215:216], v[147:148]
	v_add_f64 v[137:138], v[137:138], -v[145:146]
	v_fma_f64 v[215:216], v[217:218], v[213:214], v[215:216]
	v_add_f64 v[139:140], v[139:140], -v[215:216]
	ds_read2_b64 v[215:218], v253 offset0:44 offset1:45
	;; [unrolled: 8-line block ×35, first 2 shown]
	s_waitcnt lgkmcnt(0)
	v_mul_f64 v[145:146], v[217:218], v[147:148]
	v_fma_f64 v[145:146], v[215:216], v[213:214], -v[145:146]
	v_mul_f64 v[215:216], v[215:216], v[147:148]
	v_add_f64 v[1:2], v[1:2], -v[145:146]
	v_fma_f64 v[215:216], v[217:218], v[213:214], v[215:216]
	v_mov_b32_e32 v145, v213
	v_mov_b32_e32 v146, v214
	v_add_f64 v[3:4], v[3:4], -v[215:216]
.LBB111_181:
	s_or_b32 exec_lo, exec_lo, s1
	s_mov_b32 s2, exec_lo
	s_waitcnt_vscnt null, 0x0
	s_barrier
	buffer_gl0_inv
	v_cmpx_eq_u32_e32 20, v0
	s_cbranch_execz .LBB111_188
; %bb.182:
	ds_write2_b64 v255, v[141:142], v[143:144] offset1:1
	ds_write2_b64 v253, v[137:138], v[139:140] offset0:42 offset1:43
	ds_write2_b64 v253, v[133:134], v[135:136] offset0:44 offset1:45
	;; [unrolled: 1-line block ×35, first 2 shown]
	ds_read2_b64 v[213:216], v255 offset1:1
	s_waitcnt lgkmcnt(0)
	v_cmp_neq_f64_e32 vcc_lo, 0, v[213:214]
	v_cmp_neq_f64_e64 s1, 0, v[215:216]
	s_or_b32 s1, vcc_lo, s1
	s_and_b32 exec_lo, exec_lo, s1
	s_cbranch_execz .LBB111_188
; %bb.183:
	v_cmp_ngt_f64_e64 s1, |v[213:214]|, |v[215:216]|
                                        ; implicit-def: $vgpr217_vgpr218
	s_and_saveexec_b32 s3, s1
	s_xor_b32 s1, exec_lo, s3
                                        ; implicit-def: $vgpr219_vgpr220
	s_cbranch_execz .LBB111_185
; %bb.184:
	v_div_scale_f64 v[217:218], null, v[215:216], v[215:216], v[213:214]
	v_div_scale_f64 v[223:224], vcc_lo, v[213:214], v[215:216], v[213:214]
	v_rcp_f64_e32 v[219:220], v[217:218]
	v_fma_f64 v[221:222], -v[217:218], v[219:220], 1.0
	v_fma_f64 v[219:220], v[219:220], v[221:222], v[219:220]
	v_fma_f64 v[221:222], -v[217:218], v[219:220], 1.0
	v_fma_f64 v[219:220], v[219:220], v[221:222], v[219:220]
	v_mul_f64 v[221:222], v[223:224], v[219:220]
	v_fma_f64 v[217:218], -v[217:218], v[221:222], v[223:224]
	v_div_fmas_f64 v[217:218], v[217:218], v[219:220], v[221:222]
	v_div_fixup_f64 v[217:218], v[217:218], v[215:216], v[213:214]
	v_fma_f64 v[213:214], v[213:214], v[217:218], v[215:216]
	v_div_scale_f64 v[215:216], null, v[213:214], v[213:214], 1.0
	v_rcp_f64_e32 v[219:220], v[215:216]
	v_fma_f64 v[221:222], -v[215:216], v[219:220], 1.0
	v_fma_f64 v[219:220], v[219:220], v[221:222], v[219:220]
	v_fma_f64 v[221:222], -v[215:216], v[219:220], 1.0
	v_fma_f64 v[219:220], v[219:220], v[221:222], v[219:220]
	v_div_scale_f64 v[221:222], vcc_lo, 1.0, v[213:214], 1.0
	v_mul_f64 v[223:224], v[221:222], v[219:220]
	v_fma_f64 v[215:216], -v[215:216], v[223:224], v[221:222]
	v_div_fmas_f64 v[215:216], v[215:216], v[219:220], v[223:224]
	v_div_fixup_f64 v[219:220], v[215:216], v[213:214], 1.0
                                        ; implicit-def: $vgpr213_vgpr214
	v_mul_f64 v[217:218], v[217:218], v[219:220]
	v_xor_b32_e32 v220, 0x80000000, v220
.LBB111_185:
	s_andn2_saveexec_b32 s1, s1
	s_cbranch_execz .LBB111_187
; %bb.186:
	v_div_scale_f64 v[217:218], null, v[213:214], v[213:214], v[215:216]
	v_div_scale_f64 v[223:224], vcc_lo, v[215:216], v[213:214], v[215:216]
	v_rcp_f64_e32 v[219:220], v[217:218]
	v_fma_f64 v[221:222], -v[217:218], v[219:220], 1.0
	v_fma_f64 v[219:220], v[219:220], v[221:222], v[219:220]
	v_fma_f64 v[221:222], -v[217:218], v[219:220], 1.0
	v_fma_f64 v[219:220], v[219:220], v[221:222], v[219:220]
	v_mul_f64 v[221:222], v[223:224], v[219:220]
	v_fma_f64 v[217:218], -v[217:218], v[221:222], v[223:224]
	v_div_fmas_f64 v[217:218], v[217:218], v[219:220], v[221:222]
	v_div_fixup_f64 v[219:220], v[217:218], v[213:214], v[215:216]
	v_fma_f64 v[213:214], v[215:216], v[219:220], v[213:214]
	v_div_scale_f64 v[215:216], null, v[213:214], v[213:214], 1.0
	v_rcp_f64_e32 v[217:218], v[215:216]
	v_fma_f64 v[221:222], -v[215:216], v[217:218], 1.0
	v_fma_f64 v[217:218], v[217:218], v[221:222], v[217:218]
	v_fma_f64 v[221:222], -v[215:216], v[217:218], 1.0
	v_fma_f64 v[217:218], v[217:218], v[221:222], v[217:218]
	v_div_scale_f64 v[221:222], vcc_lo, 1.0, v[213:214], 1.0
	v_mul_f64 v[223:224], v[221:222], v[217:218]
	v_fma_f64 v[215:216], -v[215:216], v[223:224], v[221:222]
	v_div_fmas_f64 v[215:216], v[215:216], v[217:218], v[223:224]
	v_div_fixup_f64 v[217:218], v[215:216], v[213:214], 1.0
	v_mul_f64 v[219:220], v[219:220], -v[217:218]
.LBB111_187:
	s_or_b32 exec_lo, exec_lo, s1
	ds_write2_b64 v255, v[217:218], v[219:220] offset1:1
.LBB111_188:
	s_or_b32 exec_lo, exec_lo, s2
	s_waitcnt lgkmcnt(0)
	s_barrier
	buffer_gl0_inv
	ds_read2_b64 v[203:206], v255 offset1:1
	s_mov_b32 s1, exec_lo
	s_waitcnt lgkmcnt(0)
	buffer_store_dword v203, off, s[16:19], 0 offset:848 ; 4-byte Folded Spill
	buffer_store_dword v204, off, s[16:19], 0 offset:852 ; 4-byte Folded Spill
	;; [unrolled: 1-line block ×4, first 2 shown]
	v_cmpx_lt_u32_e32 20, v0
	s_cbranch_execz .LBB111_190
; %bb.189:
	s_clause 0x3
	buffer_load_dword v203, off, s[16:19], 0 offset:848
	buffer_load_dword v204, off, s[16:19], 0 offset:852
	;; [unrolled: 1-line block ×4, first 2 shown]
	ds_read2_b64 v[215:218], v253 offset0:42 offset1:43
	s_waitcnt vmcnt(0)
	v_mul_f64 v[213:214], v[205:206], v[143:144]
	v_mul_f64 v[143:144], v[203:204], v[143:144]
	v_fma_f64 v[213:214], v[203:204], v[141:142], -v[213:214]
	v_fma_f64 v[143:144], v[205:206], v[141:142], v[143:144]
	s_waitcnt lgkmcnt(0)
	v_mul_f64 v[141:142], v[217:218], v[143:144]
	v_fma_f64 v[141:142], v[215:216], v[213:214], -v[141:142]
	v_mul_f64 v[215:216], v[215:216], v[143:144]
	v_add_f64 v[137:138], v[137:138], -v[141:142]
	v_fma_f64 v[215:216], v[217:218], v[213:214], v[215:216]
	v_add_f64 v[139:140], v[139:140], -v[215:216]
	ds_read2_b64 v[215:218], v253 offset0:44 offset1:45
	s_waitcnt lgkmcnt(0)
	v_mul_f64 v[141:142], v[217:218], v[143:144]
	v_fma_f64 v[141:142], v[215:216], v[213:214], -v[141:142]
	v_mul_f64 v[215:216], v[215:216], v[143:144]
	v_add_f64 v[133:134], v[133:134], -v[141:142]
	v_fma_f64 v[215:216], v[217:218], v[213:214], v[215:216]
	v_add_f64 v[135:136], v[135:136], -v[215:216]
	ds_read2_b64 v[215:218], v253 offset0:46 offset1:47
	;; [unrolled: 8-line block ×34, first 2 shown]
	s_waitcnt lgkmcnt(0)
	v_mul_f64 v[141:142], v[217:218], v[143:144]
	v_fma_f64 v[141:142], v[215:216], v[213:214], -v[141:142]
	v_mul_f64 v[215:216], v[215:216], v[143:144]
	v_add_f64 v[1:2], v[1:2], -v[141:142]
	v_fma_f64 v[215:216], v[217:218], v[213:214], v[215:216]
	v_mov_b32_e32 v141, v213
	v_mov_b32_e32 v142, v214
	v_add_f64 v[3:4], v[3:4], -v[215:216]
.LBB111_190:
	s_or_b32 exec_lo, exec_lo, s1
	s_mov_b32 s2, exec_lo
	s_waitcnt_vscnt null, 0x0
	s_barrier
	buffer_gl0_inv
	v_cmpx_eq_u32_e32 21, v0
	s_cbranch_execz .LBB111_197
; %bb.191:
	ds_write2_b64 v255, v[137:138], v[139:140] offset1:1
	ds_write2_b64 v253, v[133:134], v[135:136] offset0:44 offset1:45
	ds_write2_b64 v253, v[129:130], v[131:132] offset0:46 offset1:47
	;; [unrolled: 1-line block ×34, first 2 shown]
	ds_read2_b64 v[213:216], v255 offset1:1
	s_waitcnt lgkmcnt(0)
	v_cmp_neq_f64_e32 vcc_lo, 0, v[213:214]
	v_cmp_neq_f64_e64 s1, 0, v[215:216]
	s_or_b32 s1, vcc_lo, s1
	s_and_b32 exec_lo, exec_lo, s1
	s_cbranch_execz .LBB111_197
; %bb.192:
	v_cmp_ngt_f64_e64 s1, |v[213:214]|, |v[215:216]|
                                        ; implicit-def: $vgpr217_vgpr218
	s_and_saveexec_b32 s3, s1
	s_xor_b32 s1, exec_lo, s3
                                        ; implicit-def: $vgpr219_vgpr220
	s_cbranch_execz .LBB111_194
; %bb.193:
	v_div_scale_f64 v[217:218], null, v[215:216], v[215:216], v[213:214]
	v_div_scale_f64 v[223:224], vcc_lo, v[213:214], v[215:216], v[213:214]
	v_rcp_f64_e32 v[219:220], v[217:218]
	v_fma_f64 v[221:222], -v[217:218], v[219:220], 1.0
	v_fma_f64 v[219:220], v[219:220], v[221:222], v[219:220]
	v_fma_f64 v[221:222], -v[217:218], v[219:220], 1.0
	v_fma_f64 v[219:220], v[219:220], v[221:222], v[219:220]
	v_mul_f64 v[221:222], v[223:224], v[219:220]
	v_fma_f64 v[217:218], -v[217:218], v[221:222], v[223:224]
	v_div_fmas_f64 v[217:218], v[217:218], v[219:220], v[221:222]
	v_div_fixup_f64 v[217:218], v[217:218], v[215:216], v[213:214]
	v_fma_f64 v[213:214], v[213:214], v[217:218], v[215:216]
	v_div_scale_f64 v[215:216], null, v[213:214], v[213:214], 1.0
	v_rcp_f64_e32 v[219:220], v[215:216]
	v_fma_f64 v[221:222], -v[215:216], v[219:220], 1.0
	v_fma_f64 v[219:220], v[219:220], v[221:222], v[219:220]
	v_fma_f64 v[221:222], -v[215:216], v[219:220], 1.0
	v_fma_f64 v[219:220], v[219:220], v[221:222], v[219:220]
	v_div_scale_f64 v[221:222], vcc_lo, 1.0, v[213:214], 1.0
	v_mul_f64 v[223:224], v[221:222], v[219:220]
	v_fma_f64 v[215:216], -v[215:216], v[223:224], v[221:222]
	v_div_fmas_f64 v[215:216], v[215:216], v[219:220], v[223:224]
	v_div_fixup_f64 v[219:220], v[215:216], v[213:214], 1.0
                                        ; implicit-def: $vgpr213_vgpr214
	v_mul_f64 v[217:218], v[217:218], v[219:220]
	v_xor_b32_e32 v220, 0x80000000, v220
.LBB111_194:
	s_andn2_saveexec_b32 s1, s1
	s_cbranch_execz .LBB111_196
; %bb.195:
	v_div_scale_f64 v[217:218], null, v[213:214], v[213:214], v[215:216]
	v_div_scale_f64 v[223:224], vcc_lo, v[215:216], v[213:214], v[215:216]
	v_rcp_f64_e32 v[219:220], v[217:218]
	v_fma_f64 v[221:222], -v[217:218], v[219:220], 1.0
	v_fma_f64 v[219:220], v[219:220], v[221:222], v[219:220]
	v_fma_f64 v[221:222], -v[217:218], v[219:220], 1.0
	v_fma_f64 v[219:220], v[219:220], v[221:222], v[219:220]
	v_mul_f64 v[221:222], v[223:224], v[219:220]
	v_fma_f64 v[217:218], -v[217:218], v[221:222], v[223:224]
	v_div_fmas_f64 v[217:218], v[217:218], v[219:220], v[221:222]
	v_div_fixup_f64 v[219:220], v[217:218], v[213:214], v[215:216]
	v_fma_f64 v[213:214], v[215:216], v[219:220], v[213:214]
	v_div_scale_f64 v[215:216], null, v[213:214], v[213:214], 1.0
	v_rcp_f64_e32 v[217:218], v[215:216]
	v_fma_f64 v[221:222], -v[215:216], v[217:218], 1.0
	v_fma_f64 v[217:218], v[217:218], v[221:222], v[217:218]
	v_fma_f64 v[221:222], -v[215:216], v[217:218], 1.0
	v_fma_f64 v[217:218], v[217:218], v[221:222], v[217:218]
	v_div_scale_f64 v[221:222], vcc_lo, 1.0, v[213:214], 1.0
	v_mul_f64 v[223:224], v[221:222], v[217:218]
	v_fma_f64 v[215:216], -v[215:216], v[223:224], v[221:222]
	v_div_fmas_f64 v[215:216], v[215:216], v[217:218], v[223:224]
	v_div_fixup_f64 v[217:218], v[215:216], v[213:214], 1.0
	v_mul_f64 v[219:220], v[219:220], -v[217:218]
.LBB111_196:
	s_or_b32 exec_lo, exec_lo, s1
	ds_write2_b64 v255, v[217:218], v[219:220] offset1:1
.LBB111_197:
	s_or_b32 exec_lo, exec_lo, s2
	s_waitcnt lgkmcnt(0)
	s_barrier
	buffer_gl0_inv
	ds_read2_b64 v[203:206], v255 offset1:1
	s_mov_b32 s1, exec_lo
	s_waitcnt lgkmcnt(0)
	buffer_store_dword v203, off, s[16:19], 0 offset:864 ; 4-byte Folded Spill
	buffer_store_dword v204, off, s[16:19], 0 offset:868 ; 4-byte Folded Spill
	;; [unrolled: 1-line block ×4, first 2 shown]
	v_cmpx_lt_u32_e32 21, v0
	s_cbranch_execz .LBB111_199
; %bb.198:
	s_clause 0x3
	buffer_load_dword v203, off, s[16:19], 0 offset:864
	buffer_load_dword v204, off, s[16:19], 0 offset:868
	;; [unrolled: 1-line block ×4, first 2 shown]
	ds_read2_b64 v[215:218], v253 offset0:44 offset1:45
	s_waitcnt vmcnt(0)
	v_mul_f64 v[213:214], v[205:206], v[139:140]
	v_mul_f64 v[139:140], v[203:204], v[139:140]
	v_fma_f64 v[213:214], v[203:204], v[137:138], -v[213:214]
	v_fma_f64 v[139:140], v[205:206], v[137:138], v[139:140]
	s_waitcnt lgkmcnt(0)
	v_mul_f64 v[137:138], v[217:218], v[139:140]
	v_fma_f64 v[137:138], v[215:216], v[213:214], -v[137:138]
	v_mul_f64 v[215:216], v[215:216], v[139:140]
	v_add_f64 v[133:134], v[133:134], -v[137:138]
	v_fma_f64 v[215:216], v[217:218], v[213:214], v[215:216]
	v_add_f64 v[135:136], v[135:136], -v[215:216]
	ds_read2_b64 v[215:218], v253 offset0:46 offset1:47
	s_waitcnt lgkmcnt(0)
	v_mul_f64 v[137:138], v[217:218], v[139:140]
	v_fma_f64 v[137:138], v[215:216], v[213:214], -v[137:138]
	v_mul_f64 v[215:216], v[215:216], v[139:140]
	v_add_f64 v[129:130], v[129:130], -v[137:138]
	v_fma_f64 v[215:216], v[217:218], v[213:214], v[215:216]
	v_add_f64 v[131:132], v[131:132], -v[215:216]
	ds_read2_b64 v[215:218], v253 offset0:48 offset1:49
	;; [unrolled: 8-line block ×33, first 2 shown]
	s_waitcnt lgkmcnt(0)
	v_mul_f64 v[137:138], v[217:218], v[139:140]
	v_fma_f64 v[137:138], v[215:216], v[213:214], -v[137:138]
	v_mul_f64 v[215:216], v[215:216], v[139:140]
	v_add_f64 v[1:2], v[1:2], -v[137:138]
	v_fma_f64 v[215:216], v[217:218], v[213:214], v[215:216]
	v_mov_b32_e32 v137, v213
	v_mov_b32_e32 v138, v214
	v_add_f64 v[3:4], v[3:4], -v[215:216]
.LBB111_199:
	s_or_b32 exec_lo, exec_lo, s1
	s_mov_b32 s2, exec_lo
	s_waitcnt_vscnt null, 0x0
	s_barrier
	buffer_gl0_inv
	v_cmpx_eq_u32_e32 22, v0
	s_cbranch_execz .LBB111_206
; %bb.200:
	ds_write2_b64 v255, v[133:134], v[135:136] offset1:1
	ds_write2_b64 v253, v[129:130], v[131:132] offset0:46 offset1:47
	ds_write2_b64 v253, v[125:126], v[127:128] offset0:48 offset1:49
	;; [unrolled: 1-line block ×33, first 2 shown]
	ds_read2_b64 v[213:216], v255 offset1:1
	s_waitcnt lgkmcnt(0)
	v_cmp_neq_f64_e32 vcc_lo, 0, v[213:214]
	v_cmp_neq_f64_e64 s1, 0, v[215:216]
	s_or_b32 s1, vcc_lo, s1
	s_and_b32 exec_lo, exec_lo, s1
	s_cbranch_execz .LBB111_206
; %bb.201:
	v_cmp_ngt_f64_e64 s1, |v[213:214]|, |v[215:216]|
                                        ; implicit-def: $vgpr217_vgpr218
	s_and_saveexec_b32 s3, s1
	s_xor_b32 s1, exec_lo, s3
                                        ; implicit-def: $vgpr219_vgpr220
	s_cbranch_execz .LBB111_203
; %bb.202:
	v_div_scale_f64 v[217:218], null, v[215:216], v[215:216], v[213:214]
	v_div_scale_f64 v[223:224], vcc_lo, v[213:214], v[215:216], v[213:214]
	v_rcp_f64_e32 v[219:220], v[217:218]
	v_fma_f64 v[221:222], -v[217:218], v[219:220], 1.0
	v_fma_f64 v[219:220], v[219:220], v[221:222], v[219:220]
	v_fma_f64 v[221:222], -v[217:218], v[219:220], 1.0
	v_fma_f64 v[219:220], v[219:220], v[221:222], v[219:220]
	v_mul_f64 v[221:222], v[223:224], v[219:220]
	v_fma_f64 v[217:218], -v[217:218], v[221:222], v[223:224]
	v_div_fmas_f64 v[217:218], v[217:218], v[219:220], v[221:222]
	v_div_fixup_f64 v[217:218], v[217:218], v[215:216], v[213:214]
	v_fma_f64 v[213:214], v[213:214], v[217:218], v[215:216]
	v_div_scale_f64 v[215:216], null, v[213:214], v[213:214], 1.0
	v_rcp_f64_e32 v[219:220], v[215:216]
	v_fma_f64 v[221:222], -v[215:216], v[219:220], 1.0
	v_fma_f64 v[219:220], v[219:220], v[221:222], v[219:220]
	v_fma_f64 v[221:222], -v[215:216], v[219:220], 1.0
	v_fma_f64 v[219:220], v[219:220], v[221:222], v[219:220]
	v_div_scale_f64 v[221:222], vcc_lo, 1.0, v[213:214], 1.0
	v_mul_f64 v[223:224], v[221:222], v[219:220]
	v_fma_f64 v[215:216], -v[215:216], v[223:224], v[221:222]
	v_div_fmas_f64 v[215:216], v[215:216], v[219:220], v[223:224]
	v_div_fixup_f64 v[219:220], v[215:216], v[213:214], 1.0
                                        ; implicit-def: $vgpr213_vgpr214
	v_mul_f64 v[217:218], v[217:218], v[219:220]
	v_xor_b32_e32 v220, 0x80000000, v220
.LBB111_203:
	s_andn2_saveexec_b32 s1, s1
	s_cbranch_execz .LBB111_205
; %bb.204:
	v_div_scale_f64 v[217:218], null, v[213:214], v[213:214], v[215:216]
	v_div_scale_f64 v[223:224], vcc_lo, v[215:216], v[213:214], v[215:216]
	v_rcp_f64_e32 v[219:220], v[217:218]
	v_fma_f64 v[221:222], -v[217:218], v[219:220], 1.0
	v_fma_f64 v[219:220], v[219:220], v[221:222], v[219:220]
	v_fma_f64 v[221:222], -v[217:218], v[219:220], 1.0
	v_fma_f64 v[219:220], v[219:220], v[221:222], v[219:220]
	v_mul_f64 v[221:222], v[223:224], v[219:220]
	v_fma_f64 v[217:218], -v[217:218], v[221:222], v[223:224]
	v_div_fmas_f64 v[217:218], v[217:218], v[219:220], v[221:222]
	v_div_fixup_f64 v[219:220], v[217:218], v[213:214], v[215:216]
	v_fma_f64 v[213:214], v[215:216], v[219:220], v[213:214]
	v_div_scale_f64 v[215:216], null, v[213:214], v[213:214], 1.0
	v_rcp_f64_e32 v[217:218], v[215:216]
	v_fma_f64 v[221:222], -v[215:216], v[217:218], 1.0
	v_fma_f64 v[217:218], v[217:218], v[221:222], v[217:218]
	v_fma_f64 v[221:222], -v[215:216], v[217:218], 1.0
	v_fma_f64 v[217:218], v[217:218], v[221:222], v[217:218]
	v_div_scale_f64 v[221:222], vcc_lo, 1.0, v[213:214], 1.0
	v_mul_f64 v[223:224], v[221:222], v[217:218]
	v_fma_f64 v[215:216], -v[215:216], v[223:224], v[221:222]
	v_div_fmas_f64 v[215:216], v[215:216], v[217:218], v[223:224]
	v_div_fixup_f64 v[217:218], v[215:216], v[213:214], 1.0
	v_mul_f64 v[219:220], v[219:220], -v[217:218]
.LBB111_205:
	s_or_b32 exec_lo, exec_lo, s1
	ds_write2_b64 v255, v[217:218], v[219:220] offset1:1
.LBB111_206:
	s_or_b32 exec_lo, exec_lo, s2
	s_waitcnt lgkmcnt(0)
	s_barrier
	buffer_gl0_inv
	ds_read2_b64 v[203:206], v255 offset1:1
	s_mov_b32 s1, exec_lo
	s_waitcnt lgkmcnt(0)
	buffer_store_dword v203, off, s[16:19], 0 offset:880 ; 4-byte Folded Spill
	buffer_store_dword v204, off, s[16:19], 0 offset:884 ; 4-byte Folded Spill
	;; [unrolled: 1-line block ×4, first 2 shown]
	v_cmpx_lt_u32_e32 22, v0
	s_cbranch_execz .LBB111_208
; %bb.207:
	s_clause 0x3
	buffer_load_dword v203, off, s[16:19], 0 offset:880
	buffer_load_dword v204, off, s[16:19], 0 offset:884
	buffer_load_dword v205, off, s[16:19], 0 offset:888
	buffer_load_dword v206, off, s[16:19], 0 offset:892
	ds_read2_b64 v[215:218], v253 offset0:46 offset1:47
	s_waitcnt vmcnt(0)
	v_mul_f64 v[213:214], v[205:206], v[135:136]
	v_mul_f64 v[135:136], v[203:204], v[135:136]
	v_fma_f64 v[213:214], v[203:204], v[133:134], -v[213:214]
	v_fma_f64 v[135:136], v[205:206], v[133:134], v[135:136]
	s_waitcnt lgkmcnt(0)
	v_mul_f64 v[133:134], v[217:218], v[135:136]
	v_fma_f64 v[133:134], v[215:216], v[213:214], -v[133:134]
	v_mul_f64 v[215:216], v[215:216], v[135:136]
	v_add_f64 v[129:130], v[129:130], -v[133:134]
	v_fma_f64 v[215:216], v[217:218], v[213:214], v[215:216]
	v_add_f64 v[131:132], v[131:132], -v[215:216]
	ds_read2_b64 v[215:218], v253 offset0:48 offset1:49
	s_waitcnt lgkmcnt(0)
	v_mul_f64 v[133:134], v[217:218], v[135:136]
	v_fma_f64 v[133:134], v[215:216], v[213:214], -v[133:134]
	v_mul_f64 v[215:216], v[215:216], v[135:136]
	v_add_f64 v[125:126], v[125:126], -v[133:134]
	v_fma_f64 v[215:216], v[217:218], v[213:214], v[215:216]
	v_add_f64 v[127:128], v[127:128], -v[215:216]
	ds_read2_b64 v[215:218], v253 offset0:50 offset1:51
	;; [unrolled: 8-line block ×32, first 2 shown]
	s_waitcnt lgkmcnt(0)
	v_mul_f64 v[133:134], v[217:218], v[135:136]
	v_fma_f64 v[133:134], v[215:216], v[213:214], -v[133:134]
	v_mul_f64 v[215:216], v[215:216], v[135:136]
	v_add_f64 v[1:2], v[1:2], -v[133:134]
	v_fma_f64 v[215:216], v[217:218], v[213:214], v[215:216]
	v_mov_b32_e32 v133, v213
	v_mov_b32_e32 v134, v214
	v_add_f64 v[3:4], v[3:4], -v[215:216]
.LBB111_208:
	s_or_b32 exec_lo, exec_lo, s1
	s_mov_b32 s2, exec_lo
	s_waitcnt_vscnt null, 0x0
	s_barrier
	buffer_gl0_inv
	v_cmpx_eq_u32_e32 23, v0
	s_cbranch_execz .LBB111_215
; %bb.209:
	ds_write2_b64 v255, v[129:130], v[131:132] offset1:1
	ds_write2_b64 v253, v[125:126], v[127:128] offset0:48 offset1:49
	ds_write2_b64 v253, v[121:122], v[123:124] offset0:50 offset1:51
	;; [unrolled: 1-line block ×32, first 2 shown]
	ds_read2_b64 v[213:216], v255 offset1:1
	s_waitcnt lgkmcnt(0)
	v_cmp_neq_f64_e32 vcc_lo, 0, v[213:214]
	v_cmp_neq_f64_e64 s1, 0, v[215:216]
	s_or_b32 s1, vcc_lo, s1
	s_and_b32 exec_lo, exec_lo, s1
	s_cbranch_execz .LBB111_215
; %bb.210:
	v_cmp_ngt_f64_e64 s1, |v[213:214]|, |v[215:216]|
                                        ; implicit-def: $vgpr217_vgpr218
	s_and_saveexec_b32 s3, s1
	s_xor_b32 s1, exec_lo, s3
                                        ; implicit-def: $vgpr219_vgpr220
	s_cbranch_execz .LBB111_212
; %bb.211:
	v_div_scale_f64 v[217:218], null, v[215:216], v[215:216], v[213:214]
	v_div_scale_f64 v[223:224], vcc_lo, v[213:214], v[215:216], v[213:214]
	v_rcp_f64_e32 v[219:220], v[217:218]
	v_fma_f64 v[221:222], -v[217:218], v[219:220], 1.0
	v_fma_f64 v[219:220], v[219:220], v[221:222], v[219:220]
	v_fma_f64 v[221:222], -v[217:218], v[219:220], 1.0
	v_fma_f64 v[219:220], v[219:220], v[221:222], v[219:220]
	v_mul_f64 v[221:222], v[223:224], v[219:220]
	v_fma_f64 v[217:218], -v[217:218], v[221:222], v[223:224]
	v_div_fmas_f64 v[217:218], v[217:218], v[219:220], v[221:222]
	v_div_fixup_f64 v[217:218], v[217:218], v[215:216], v[213:214]
	v_fma_f64 v[213:214], v[213:214], v[217:218], v[215:216]
	v_div_scale_f64 v[215:216], null, v[213:214], v[213:214], 1.0
	v_rcp_f64_e32 v[219:220], v[215:216]
	v_fma_f64 v[221:222], -v[215:216], v[219:220], 1.0
	v_fma_f64 v[219:220], v[219:220], v[221:222], v[219:220]
	v_fma_f64 v[221:222], -v[215:216], v[219:220], 1.0
	v_fma_f64 v[219:220], v[219:220], v[221:222], v[219:220]
	v_div_scale_f64 v[221:222], vcc_lo, 1.0, v[213:214], 1.0
	v_mul_f64 v[223:224], v[221:222], v[219:220]
	v_fma_f64 v[215:216], -v[215:216], v[223:224], v[221:222]
	v_div_fmas_f64 v[215:216], v[215:216], v[219:220], v[223:224]
	v_div_fixup_f64 v[219:220], v[215:216], v[213:214], 1.0
                                        ; implicit-def: $vgpr213_vgpr214
	v_mul_f64 v[217:218], v[217:218], v[219:220]
	v_xor_b32_e32 v220, 0x80000000, v220
.LBB111_212:
	s_andn2_saveexec_b32 s1, s1
	s_cbranch_execz .LBB111_214
; %bb.213:
	v_div_scale_f64 v[217:218], null, v[213:214], v[213:214], v[215:216]
	v_div_scale_f64 v[223:224], vcc_lo, v[215:216], v[213:214], v[215:216]
	v_rcp_f64_e32 v[219:220], v[217:218]
	v_fma_f64 v[221:222], -v[217:218], v[219:220], 1.0
	v_fma_f64 v[219:220], v[219:220], v[221:222], v[219:220]
	v_fma_f64 v[221:222], -v[217:218], v[219:220], 1.0
	v_fma_f64 v[219:220], v[219:220], v[221:222], v[219:220]
	v_mul_f64 v[221:222], v[223:224], v[219:220]
	v_fma_f64 v[217:218], -v[217:218], v[221:222], v[223:224]
	v_div_fmas_f64 v[217:218], v[217:218], v[219:220], v[221:222]
	v_div_fixup_f64 v[219:220], v[217:218], v[213:214], v[215:216]
	v_fma_f64 v[213:214], v[215:216], v[219:220], v[213:214]
	v_div_scale_f64 v[215:216], null, v[213:214], v[213:214], 1.0
	v_rcp_f64_e32 v[217:218], v[215:216]
	v_fma_f64 v[221:222], -v[215:216], v[217:218], 1.0
	v_fma_f64 v[217:218], v[217:218], v[221:222], v[217:218]
	v_fma_f64 v[221:222], -v[215:216], v[217:218], 1.0
	v_fma_f64 v[217:218], v[217:218], v[221:222], v[217:218]
	v_div_scale_f64 v[221:222], vcc_lo, 1.0, v[213:214], 1.0
	v_mul_f64 v[223:224], v[221:222], v[217:218]
	v_fma_f64 v[215:216], -v[215:216], v[223:224], v[221:222]
	v_div_fmas_f64 v[215:216], v[215:216], v[217:218], v[223:224]
	v_div_fixup_f64 v[217:218], v[215:216], v[213:214], 1.0
	v_mul_f64 v[219:220], v[219:220], -v[217:218]
.LBB111_214:
	s_or_b32 exec_lo, exec_lo, s1
	ds_write2_b64 v255, v[217:218], v[219:220] offset1:1
.LBB111_215:
	s_or_b32 exec_lo, exec_lo, s2
	s_waitcnt lgkmcnt(0)
	s_barrier
	buffer_gl0_inv
	ds_read2_b64 v[203:206], v255 offset1:1
	s_mov_b32 s1, exec_lo
	s_waitcnt lgkmcnt(0)
	buffer_store_dword v203, off, s[16:19], 0 offset:896 ; 4-byte Folded Spill
	buffer_store_dword v204, off, s[16:19], 0 offset:900 ; 4-byte Folded Spill
	buffer_store_dword v205, off, s[16:19], 0 offset:904 ; 4-byte Folded Spill
	buffer_store_dword v206, off, s[16:19], 0 offset:908 ; 4-byte Folded Spill
	v_cmpx_lt_u32_e32 23, v0
	s_cbranch_execz .LBB111_217
; %bb.216:
	s_clause 0x3
	buffer_load_dword v203, off, s[16:19], 0 offset:896
	buffer_load_dword v204, off, s[16:19], 0 offset:900
	;; [unrolled: 1-line block ×4, first 2 shown]
	ds_read2_b64 v[215:218], v253 offset0:48 offset1:49
	s_waitcnt vmcnt(0)
	v_mul_f64 v[213:214], v[205:206], v[131:132]
	v_mul_f64 v[131:132], v[203:204], v[131:132]
	v_fma_f64 v[213:214], v[203:204], v[129:130], -v[213:214]
	v_fma_f64 v[131:132], v[205:206], v[129:130], v[131:132]
	s_waitcnt lgkmcnt(0)
	v_mul_f64 v[129:130], v[217:218], v[131:132]
	v_fma_f64 v[129:130], v[215:216], v[213:214], -v[129:130]
	v_mul_f64 v[215:216], v[215:216], v[131:132]
	v_add_f64 v[125:126], v[125:126], -v[129:130]
	v_fma_f64 v[215:216], v[217:218], v[213:214], v[215:216]
	v_add_f64 v[127:128], v[127:128], -v[215:216]
	ds_read2_b64 v[215:218], v253 offset0:50 offset1:51
	s_waitcnt lgkmcnt(0)
	v_mul_f64 v[129:130], v[217:218], v[131:132]
	v_fma_f64 v[129:130], v[215:216], v[213:214], -v[129:130]
	v_mul_f64 v[215:216], v[215:216], v[131:132]
	v_add_f64 v[121:122], v[121:122], -v[129:130]
	v_fma_f64 v[215:216], v[217:218], v[213:214], v[215:216]
	v_add_f64 v[123:124], v[123:124], -v[215:216]
	ds_read2_b64 v[215:218], v253 offset0:52 offset1:53
	;; [unrolled: 8-line block ×31, first 2 shown]
	s_waitcnt lgkmcnt(0)
	v_mul_f64 v[129:130], v[217:218], v[131:132]
	v_fma_f64 v[129:130], v[215:216], v[213:214], -v[129:130]
	v_mul_f64 v[215:216], v[215:216], v[131:132]
	v_add_f64 v[1:2], v[1:2], -v[129:130]
	v_fma_f64 v[215:216], v[217:218], v[213:214], v[215:216]
	v_mov_b32_e32 v129, v213
	v_mov_b32_e32 v130, v214
	v_add_f64 v[3:4], v[3:4], -v[215:216]
.LBB111_217:
	s_or_b32 exec_lo, exec_lo, s1
	s_mov_b32 s2, exec_lo
	s_waitcnt_vscnt null, 0x0
	s_barrier
	buffer_gl0_inv
	v_cmpx_eq_u32_e32 24, v0
	s_cbranch_execz .LBB111_224
; %bb.218:
	ds_write2_b64 v255, v[125:126], v[127:128] offset1:1
	ds_write2_b64 v253, v[121:122], v[123:124] offset0:50 offset1:51
	ds_write2_b64 v253, v[117:118], v[119:120] offset0:52 offset1:53
	;; [unrolled: 1-line block ×31, first 2 shown]
	ds_read2_b64 v[213:216], v255 offset1:1
	s_waitcnt lgkmcnt(0)
	v_cmp_neq_f64_e32 vcc_lo, 0, v[213:214]
	v_cmp_neq_f64_e64 s1, 0, v[215:216]
	s_or_b32 s1, vcc_lo, s1
	s_and_b32 exec_lo, exec_lo, s1
	s_cbranch_execz .LBB111_224
; %bb.219:
	v_cmp_ngt_f64_e64 s1, |v[213:214]|, |v[215:216]|
                                        ; implicit-def: $vgpr217_vgpr218
	s_and_saveexec_b32 s3, s1
	s_xor_b32 s1, exec_lo, s3
                                        ; implicit-def: $vgpr219_vgpr220
	s_cbranch_execz .LBB111_221
; %bb.220:
	v_div_scale_f64 v[217:218], null, v[215:216], v[215:216], v[213:214]
	v_div_scale_f64 v[223:224], vcc_lo, v[213:214], v[215:216], v[213:214]
	v_rcp_f64_e32 v[219:220], v[217:218]
	v_fma_f64 v[221:222], -v[217:218], v[219:220], 1.0
	v_fma_f64 v[219:220], v[219:220], v[221:222], v[219:220]
	v_fma_f64 v[221:222], -v[217:218], v[219:220], 1.0
	v_fma_f64 v[219:220], v[219:220], v[221:222], v[219:220]
	v_mul_f64 v[221:222], v[223:224], v[219:220]
	v_fma_f64 v[217:218], -v[217:218], v[221:222], v[223:224]
	v_div_fmas_f64 v[217:218], v[217:218], v[219:220], v[221:222]
	v_div_fixup_f64 v[217:218], v[217:218], v[215:216], v[213:214]
	v_fma_f64 v[213:214], v[213:214], v[217:218], v[215:216]
	v_div_scale_f64 v[215:216], null, v[213:214], v[213:214], 1.0
	v_rcp_f64_e32 v[219:220], v[215:216]
	v_fma_f64 v[221:222], -v[215:216], v[219:220], 1.0
	v_fma_f64 v[219:220], v[219:220], v[221:222], v[219:220]
	v_fma_f64 v[221:222], -v[215:216], v[219:220], 1.0
	v_fma_f64 v[219:220], v[219:220], v[221:222], v[219:220]
	v_div_scale_f64 v[221:222], vcc_lo, 1.0, v[213:214], 1.0
	v_mul_f64 v[223:224], v[221:222], v[219:220]
	v_fma_f64 v[215:216], -v[215:216], v[223:224], v[221:222]
	v_div_fmas_f64 v[215:216], v[215:216], v[219:220], v[223:224]
	v_div_fixup_f64 v[219:220], v[215:216], v[213:214], 1.0
                                        ; implicit-def: $vgpr213_vgpr214
	v_mul_f64 v[217:218], v[217:218], v[219:220]
	v_xor_b32_e32 v220, 0x80000000, v220
.LBB111_221:
	s_andn2_saveexec_b32 s1, s1
	s_cbranch_execz .LBB111_223
; %bb.222:
	v_div_scale_f64 v[217:218], null, v[213:214], v[213:214], v[215:216]
	v_div_scale_f64 v[223:224], vcc_lo, v[215:216], v[213:214], v[215:216]
	v_rcp_f64_e32 v[219:220], v[217:218]
	v_fma_f64 v[221:222], -v[217:218], v[219:220], 1.0
	v_fma_f64 v[219:220], v[219:220], v[221:222], v[219:220]
	v_fma_f64 v[221:222], -v[217:218], v[219:220], 1.0
	v_fma_f64 v[219:220], v[219:220], v[221:222], v[219:220]
	v_mul_f64 v[221:222], v[223:224], v[219:220]
	v_fma_f64 v[217:218], -v[217:218], v[221:222], v[223:224]
	v_div_fmas_f64 v[217:218], v[217:218], v[219:220], v[221:222]
	v_div_fixup_f64 v[219:220], v[217:218], v[213:214], v[215:216]
	v_fma_f64 v[213:214], v[215:216], v[219:220], v[213:214]
	v_div_scale_f64 v[215:216], null, v[213:214], v[213:214], 1.0
	v_rcp_f64_e32 v[217:218], v[215:216]
	v_fma_f64 v[221:222], -v[215:216], v[217:218], 1.0
	v_fma_f64 v[217:218], v[217:218], v[221:222], v[217:218]
	v_fma_f64 v[221:222], -v[215:216], v[217:218], 1.0
	v_fma_f64 v[217:218], v[217:218], v[221:222], v[217:218]
	v_div_scale_f64 v[221:222], vcc_lo, 1.0, v[213:214], 1.0
	v_mul_f64 v[223:224], v[221:222], v[217:218]
	v_fma_f64 v[215:216], -v[215:216], v[223:224], v[221:222]
	v_div_fmas_f64 v[215:216], v[215:216], v[217:218], v[223:224]
	v_div_fixup_f64 v[217:218], v[215:216], v[213:214], 1.0
	v_mul_f64 v[219:220], v[219:220], -v[217:218]
.LBB111_223:
	s_or_b32 exec_lo, exec_lo, s1
	ds_write2_b64 v255, v[217:218], v[219:220] offset1:1
.LBB111_224:
	s_or_b32 exec_lo, exec_lo, s2
	s_waitcnt lgkmcnt(0)
	s_barrier
	buffer_gl0_inv
	ds_read2_b64 v[203:206], v255 offset1:1
	s_mov_b32 s1, exec_lo
	s_waitcnt lgkmcnt(0)
	buffer_store_dword v203, off, s[16:19], 0 offset:912 ; 4-byte Folded Spill
	buffer_store_dword v204, off, s[16:19], 0 offset:916 ; 4-byte Folded Spill
	buffer_store_dword v205, off, s[16:19], 0 offset:920 ; 4-byte Folded Spill
	buffer_store_dword v206, off, s[16:19], 0 offset:924 ; 4-byte Folded Spill
	v_cmpx_lt_u32_e32 24, v0
	s_cbranch_execz .LBB111_226
; %bb.225:
	s_clause 0x3
	buffer_load_dword v203, off, s[16:19], 0 offset:912
	buffer_load_dword v204, off, s[16:19], 0 offset:916
	;; [unrolled: 1-line block ×4, first 2 shown]
	ds_read2_b64 v[215:218], v253 offset0:50 offset1:51
	s_waitcnt vmcnt(0)
	v_mul_f64 v[213:214], v[205:206], v[127:128]
	v_mul_f64 v[127:128], v[203:204], v[127:128]
	v_fma_f64 v[213:214], v[203:204], v[125:126], -v[213:214]
	v_fma_f64 v[127:128], v[205:206], v[125:126], v[127:128]
	s_waitcnt lgkmcnt(0)
	v_mul_f64 v[125:126], v[217:218], v[127:128]
	v_fma_f64 v[125:126], v[215:216], v[213:214], -v[125:126]
	v_mul_f64 v[215:216], v[215:216], v[127:128]
	v_add_f64 v[121:122], v[121:122], -v[125:126]
	v_fma_f64 v[215:216], v[217:218], v[213:214], v[215:216]
	v_add_f64 v[123:124], v[123:124], -v[215:216]
	ds_read2_b64 v[215:218], v253 offset0:52 offset1:53
	s_waitcnt lgkmcnt(0)
	v_mul_f64 v[125:126], v[217:218], v[127:128]
	v_fma_f64 v[125:126], v[215:216], v[213:214], -v[125:126]
	v_mul_f64 v[215:216], v[215:216], v[127:128]
	v_add_f64 v[117:118], v[117:118], -v[125:126]
	v_fma_f64 v[215:216], v[217:218], v[213:214], v[215:216]
	v_add_f64 v[119:120], v[119:120], -v[215:216]
	ds_read2_b64 v[215:218], v253 offset0:54 offset1:55
	;; [unrolled: 8-line block ×30, first 2 shown]
	s_waitcnt lgkmcnt(0)
	v_mul_f64 v[125:126], v[217:218], v[127:128]
	v_fma_f64 v[125:126], v[215:216], v[213:214], -v[125:126]
	v_mul_f64 v[215:216], v[215:216], v[127:128]
	v_add_f64 v[1:2], v[1:2], -v[125:126]
	v_fma_f64 v[215:216], v[217:218], v[213:214], v[215:216]
	v_mov_b32_e32 v125, v213
	v_mov_b32_e32 v126, v214
	v_add_f64 v[3:4], v[3:4], -v[215:216]
.LBB111_226:
	s_or_b32 exec_lo, exec_lo, s1
	s_mov_b32 s2, exec_lo
	s_waitcnt_vscnt null, 0x0
	s_barrier
	buffer_gl0_inv
	v_cmpx_eq_u32_e32 25, v0
	s_cbranch_execz .LBB111_233
; %bb.227:
	ds_write2_b64 v255, v[121:122], v[123:124] offset1:1
	ds_write2_b64 v253, v[117:118], v[119:120] offset0:52 offset1:53
	ds_write2_b64 v253, v[113:114], v[115:116] offset0:54 offset1:55
	ds_write2_b64 v253, v[109:110], v[111:112] offset0:56 offset1:57
	ds_write2_b64 v253, v[105:106], v[107:108] offset0:58 offset1:59
	ds_write2_b64 v253, v[101:102], v[103:104] offset0:60 offset1:61
	ds_write2_b64 v253, v[97:98], v[99:100] offset0:62 offset1:63
	ds_write2_b64 v253, v[93:94], v[95:96] offset0:64 offset1:65
	ds_write2_b64 v253, v[89:90], v[91:92] offset0:66 offset1:67
	ds_write2_b64 v253, v[85:86], v[87:88] offset0:68 offset1:69
	ds_write2_b64 v253, v[81:82], v[83:84] offset0:70 offset1:71
	ds_write2_b64 v253, v[77:78], v[79:80] offset0:72 offset1:73
	ds_write2_b64 v253, v[73:74], v[75:76] offset0:74 offset1:75
	ds_write2_b64 v253, v[69:70], v[71:72] offset0:76 offset1:77
	ds_write2_b64 v253, v[65:66], v[67:68] offset0:78 offset1:79
	ds_write2_b64 v253, v[61:62], v[63:64] offset0:80 offset1:81
	ds_write2_b64 v253, v[57:58], v[59:60] offset0:82 offset1:83
	ds_write2_b64 v253, v[53:54], v[55:56] offset0:84 offset1:85
	ds_write2_b64 v253, v[49:50], v[51:52] offset0:86 offset1:87
	ds_write2_b64 v253, v[45:46], v[47:48] offset0:88 offset1:89
	ds_write2_b64 v253, v[41:42], v[43:44] offset0:90 offset1:91
	ds_write2_b64 v253, v[37:38], v[39:40] offset0:92 offset1:93
	ds_write2_b64 v253, v[33:34], v[35:36] offset0:94 offset1:95
	ds_write2_b64 v253, v[29:30], v[31:32] offset0:96 offset1:97
	ds_write2_b64 v253, v[25:26], v[27:28] offset0:98 offset1:99
	ds_write2_b64 v253, v[21:22], v[23:24] offset0:100 offset1:101
	ds_write2_b64 v253, v[17:18], v[19:20] offset0:102 offset1:103
	ds_write2_b64 v253, v[13:14], v[15:16] offset0:104 offset1:105
	ds_write2_b64 v253, v[9:10], v[11:12] offset0:106 offset1:107
	ds_write2_b64 v253, v[5:6], v[7:8] offset0:108 offset1:109
	ds_write2_b64 v253, v[1:2], v[3:4] offset0:110 offset1:111
	ds_read2_b64 v[213:216], v255 offset1:1
	s_waitcnt lgkmcnt(0)
	v_cmp_neq_f64_e32 vcc_lo, 0, v[213:214]
	v_cmp_neq_f64_e64 s1, 0, v[215:216]
	s_or_b32 s1, vcc_lo, s1
	s_and_b32 exec_lo, exec_lo, s1
	s_cbranch_execz .LBB111_233
; %bb.228:
	v_cmp_ngt_f64_e64 s1, |v[213:214]|, |v[215:216]|
                                        ; implicit-def: $vgpr217_vgpr218
	s_and_saveexec_b32 s3, s1
	s_xor_b32 s1, exec_lo, s3
                                        ; implicit-def: $vgpr219_vgpr220
	s_cbranch_execz .LBB111_230
; %bb.229:
	v_div_scale_f64 v[217:218], null, v[215:216], v[215:216], v[213:214]
	v_div_scale_f64 v[223:224], vcc_lo, v[213:214], v[215:216], v[213:214]
	v_rcp_f64_e32 v[219:220], v[217:218]
	v_fma_f64 v[221:222], -v[217:218], v[219:220], 1.0
	v_fma_f64 v[219:220], v[219:220], v[221:222], v[219:220]
	v_fma_f64 v[221:222], -v[217:218], v[219:220], 1.0
	v_fma_f64 v[219:220], v[219:220], v[221:222], v[219:220]
	v_mul_f64 v[221:222], v[223:224], v[219:220]
	v_fma_f64 v[217:218], -v[217:218], v[221:222], v[223:224]
	v_div_fmas_f64 v[217:218], v[217:218], v[219:220], v[221:222]
	v_div_fixup_f64 v[217:218], v[217:218], v[215:216], v[213:214]
	v_fma_f64 v[213:214], v[213:214], v[217:218], v[215:216]
	v_div_scale_f64 v[215:216], null, v[213:214], v[213:214], 1.0
	v_rcp_f64_e32 v[219:220], v[215:216]
	v_fma_f64 v[221:222], -v[215:216], v[219:220], 1.0
	v_fma_f64 v[219:220], v[219:220], v[221:222], v[219:220]
	v_fma_f64 v[221:222], -v[215:216], v[219:220], 1.0
	v_fma_f64 v[219:220], v[219:220], v[221:222], v[219:220]
	v_div_scale_f64 v[221:222], vcc_lo, 1.0, v[213:214], 1.0
	v_mul_f64 v[223:224], v[221:222], v[219:220]
	v_fma_f64 v[215:216], -v[215:216], v[223:224], v[221:222]
	v_div_fmas_f64 v[215:216], v[215:216], v[219:220], v[223:224]
	v_div_fixup_f64 v[219:220], v[215:216], v[213:214], 1.0
                                        ; implicit-def: $vgpr213_vgpr214
	v_mul_f64 v[217:218], v[217:218], v[219:220]
	v_xor_b32_e32 v220, 0x80000000, v220
.LBB111_230:
	s_andn2_saveexec_b32 s1, s1
	s_cbranch_execz .LBB111_232
; %bb.231:
	v_div_scale_f64 v[217:218], null, v[213:214], v[213:214], v[215:216]
	v_div_scale_f64 v[223:224], vcc_lo, v[215:216], v[213:214], v[215:216]
	v_rcp_f64_e32 v[219:220], v[217:218]
	v_fma_f64 v[221:222], -v[217:218], v[219:220], 1.0
	v_fma_f64 v[219:220], v[219:220], v[221:222], v[219:220]
	v_fma_f64 v[221:222], -v[217:218], v[219:220], 1.0
	v_fma_f64 v[219:220], v[219:220], v[221:222], v[219:220]
	v_mul_f64 v[221:222], v[223:224], v[219:220]
	v_fma_f64 v[217:218], -v[217:218], v[221:222], v[223:224]
	v_div_fmas_f64 v[217:218], v[217:218], v[219:220], v[221:222]
	v_div_fixup_f64 v[219:220], v[217:218], v[213:214], v[215:216]
	v_fma_f64 v[213:214], v[215:216], v[219:220], v[213:214]
	v_div_scale_f64 v[215:216], null, v[213:214], v[213:214], 1.0
	v_rcp_f64_e32 v[217:218], v[215:216]
	v_fma_f64 v[221:222], -v[215:216], v[217:218], 1.0
	v_fma_f64 v[217:218], v[217:218], v[221:222], v[217:218]
	v_fma_f64 v[221:222], -v[215:216], v[217:218], 1.0
	v_fma_f64 v[217:218], v[217:218], v[221:222], v[217:218]
	v_div_scale_f64 v[221:222], vcc_lo, 1.0, v[213:214], 1.0
	v_mul_f64 v[223:224], v[221:222], v[217:218]
	v_fma_f64 v[215:216], -v[215:216], v[223:224], v[221:222]
	v_div_fmas_f64 v[215:216], v[215:216], v[217:218], v[223:224]
	v_div_fixup_f64 v[217:218], v[215:216], v[213:214], 1.0
	v_mul_f64 v[219:220], v[219:220], -v[217:218]
.LBB111_232:
	s_or_b32 exec_lo, exec_lo, s1
	ds_write2_b64 v255, v[217:218], v[219:220] offset1:1
.LBB111_233:
	s_or_b32 exec_lo, exec_lo, s2
	s_waitcnt lgkmcnt(0)
	s_barrier
	buffer_gl0_inv
	ds_read2_b64 v[203:206], v255 offset1:1
	s_mov_b32 s1, exec_lo
	s_waitcnt lgkmcnt(0)
	buffer_store_dword v203, off, s[16:19], 0 offset:928 ; 4-byte Folded Spill
	buffer_store_dword v204, off, s[16:19], 0 offset:932 ; 4-byte Folded Spill
	;; [unrolled: 1-line block ×4, first 2 shown]
	v_cmpx_lt_u32_e32 25, v0
	s_cbranch_execz .LBB111_235
; %bb.234:
	s_clause 0x3
	buffer_load_dword v203, off, s[16:19], 0 offset:928
	buffer_load_dword v204, off, s[16:19], 0 offset:932
	;; [unrolled: 1-line block ×4, first 2 shown]
	ds_read2_b64 v[215:218], v253 offset0:52 offset1:53
	s_waitcnt vmcnt(0)
	v_mul_f64 v[213:214], v[205:206], v[123:124]
	v_mul_f64 v[123:124], v[203:204], v[123:124]
	v_fma_f64 v[213:214], v[203:204], v[121:122], -v[213:214]
	v_fma_f64 v[123:124], v[205:206], v[121:122], v[123:124]
	s_waitcnt lgkmcnt(0)
	v_mul_f64 v[121:122], v[217:218], v[123:124]
	v_fma_f64 v[121:122], v[215:216], v[213:214], -v[121:122]
	v_mul_f64 v[215:216], v[215:216], v[123:124]
	v_add_f64 v[117:118], v[117:118], -v[121:122]
	v_fma_f64 v[215:216], v[217:218], v[213:214], v[215:216]
	v_add_f64 v[119:120], v[119:120], -v[215:216]
	ds_read2_b64 v[215:218], v253 offset0:54 offset1:55
	s_waitcnt lgkmcnt(0)
	v_mul_f64 v[121:122], v[217:218], v[123:124]
	v_fma_f64 v[121:122], v[215:216], v[213:214], -v[121:122]
	v_mul_f64 v[215:216], v[215:216], v[123:124]
	v_add_f64 v[113:114], v[113:114], -v[121:122]
	v_fma_f64 v[215:216], v[217:218], v[213:214], v[215:216]
	v_add_f64 v[115:116], v[115:116], -v[215:216]
	ds_read2_b64 v[215:218], v253 offset0:56 offset1:57
	;; [unrolled: 8-line block ×29, first 2 shown]
	s_waitcnt lgkmcnt(0)
	v_mul_f64 v[121:122], v[217:218], v[123:124]
	v_fma_f64 v[121:122], v[215:216], v[213:214], -v[121:122]
	v_mul_f64 v[215:216], v[215:216], v[123:124]
	v_add_f64 v[1:2], v[1:2], -v[121:122]
	v_fma_f64 v[215:216], v[217:218], v[213:214], v[215:216]
	v_mov_b32_e32 v121, v213
	v_mov_b32_e32 v122, v214
	v_add_f64 v[3:4], v[3:4], -v[215:216]
.LBB111_235:
	s_or_b32 exec_lo, exec_lo, s1
	s_mov_b32 s2, exec_lo
	s_waitcnt_vscnt null, 0x0
	s_barrier
	buffer_gl0_inv
	v_cmpx_eq_u32_e32 26, v0
	s_cbranch_execz .LBB111_242
; %bb.236:
	ds_write2_b64 v255, v[117:118], v[119:120] offset1:1
	ds_write2_b64 v253, v[113:114], v[115:116] offset0:54 offset1:55
	ds_write2_b64 v253, v[109:110], v[111:112] offset0:56 offset1:57
	;; [unrolled: 1-line block ×29, first 2 shown]
	ds_read2_b64 v[213:216], v255 offset1:1
	s_waitcnt lgkmcnt(0)
	v_cmp_neq_f64_e32 vcc_lo, 0, v[213:214]
	v_cmp_neq_f64_e64 s1, 0, v[215:216]
	s_or_b32 s1, vcc_lo, s1
	s_and_b32 exec_lo, exec_lo, s1
	s_cbranch_execz .LBB111_242
; %bb.237:
	v_cmp_ngt_f64_e64 s1, |v[213:214]|, |v[215:216]|
                                        ; implicit-def: $vgpr217_vgpr218
	s_and_saveexec_b32 s3, s1
	s_xor_b32 s1, exec_lo, s3
                                        ; implicit-def: $vgpr219_vgpr220
	s_cbranch_execz .LBB111_239
; %bb.238:
	v_div_scale_f64 v[217:218], null, v[215:216], v[215:216], v[213:214]
	v_div_scale_f64 v[223:224], vcc_lo, v[213:214], v[215:216], v[213:214]
	v_rcp_f64_e32 v[219:220], v[217:218]
	v_fma_f64 v[221:222], -v[217:218], v[219:220], 1.0
	v_fma_f64 v[219:220], v[219:220], v[221:222], v[219:220]
	v_fma_f64 v[221:222], -v[217:218], v[219:220], 1.0
	v_fma_f64 v[219:220], v[219:220], v[221:222], v[219:220]
	v_mul_f64 v[221:222], v[223:224], v[219:220]
	v_fma_f64 v[217:218], -v[217:218], v[221:222], v[223:224]
	v_div_fmas_f64 v[217:218], v[217:218], v[219:220], v[221:222]
	v_div_fixup_f64 v[217:218], v[217:218], v[215:216], v[213:214]
	v_fma_f64 v[213:214], v[213:214], v[217:218], v[215:216]
	v_div_scale_f64 v[215:216], null, v[213:214], v[213:214], 1.0
	v_rcp_f64_e32 v[219:220], v[215:216]
	v_fma_f64 v[221:222], -v[215:216], v[219:220], 1.0
	v_fma_f64 v[219:220], v[219:220], v[221:222], v[219:220]
	v_fma_f64 v[221:222], -v[215:216], v[219:220], 1.0
	v_fma_f64 v[219:220], v[219:220], v[221:222], v[219:220]
	v_div_scale_f64 v[221:222], vcc_lo, 1.0, v[213:214], 1.0
	v_mul_f64 v[223:224], v[221:222], v[219:220]
	v_fma_f64 v[215:216], -v[215:216], v[223:224], v[221:222]
	v_div_fmas_f64 v[215:216], v[215:216], v[219:220], v[223:224]
	v_div_fixup_f64 v[219:220], v[215:216], v[213:214], 1.0
                                        ; implicit-def: $vgpr213_vgpr214
	v_mul_f64 v[217:218], v[217:218], v[219:220]
	v_xor_b32_e32 v220, 0x80000000, v220
.LBB111_239:
	s_andn2_saveexec_b32 s1, s1
	s_cbranch_execz .LBB111_241
; %bb.240:
	v_div_scale_f64 v[217:218], null, v[213:214], v[213:214], v[215:216]
	v_div_scale_f64 v[223:224], vcc_lo, v[215:216], v[213:214], v[215:216]
	v_rcp_f64_e32 v[219:220], v[217:218]
	v_fma_f64 v[221:222], -v[217:218], v[219:220], 1.0
	v_fma_f64 v[219:220], v[219:220], v[221:222], v[219:220]
	v_fma_f64 v[221:222], -v[217:218], v[219:220], 1.0
	v_fma_f64 v[219:220], v[219:220], v[221:222], v[219:220]
	v_mul_f64 v[221:222], v[223:224], v[219:220]
	v_fma_f64 v[217:218], -v[217:218], v[221:222], v[223:224]
	v_div_fmas_f64 v[217:218], v[217:218], v[219:220], v[221:222]
	v_div_fixup_f64 v[219:220], v[217:218], v[213:214], v[215:216]
	v_fma_f64 v[213:214], v[215:216], v[219:220], v[213:214]
	v_div_scale_f64 v[215:216], null, v[213:214], v[213:214], 1.0
	v_rcp_f64_e32 v[217:218], v[215:216]
	v_fma_f64 v[221:222], -v[215:216], v[217:218], 1.0
	v_fma_f64 v[217:218], v[217:218], v[221:222], v[217:218]
	v_fma_f64 v[221:222], -v[215:216], v[217:218], 1.0
	v_fma_f64 v[217:218], v[217:218], v[221:222], v[217:218]
	v_div_scale_f64 v[221:222], vcc_lo, 1.0, v[213:214], 1.0
	v_mul_f64 v[223:224], v[221:222], v[217:218]
	v_fma_f64 v[215:216], -v[215:216], v[223:224], v[221:222]
	v_div_fmas_f64 v[215:216], v[215:216], v[217:218], v[223:224]
	v_div_fixup_f64 v[217:218], v[215:216], v[213:214], 1.0
	v_mul_f64 v[219:220], v[219:220], -v[217:218]
.LBB111_241:
	s_or_b32 exec_lo, exec_lo, s1
	ds_write2_b64 v255, v[217:218], v[219:220] offset1:1
.LBB111_242:
	s_or_b32 exec_lo, exec_lo, s2
	s_waitcnt lgkmcnt(0)
	s_barrier
	buffer_gl0_inv
	ds_read2_b64 v[203:206], v255 offset1:1
	s_mov_b32 s1, exec_lo
	s_waitcnt lgkmcnt(0)
	buffer_store_dword v203, off, s[16:19], 0 offset:944 ; 4-byte Folded Spill
	buffer_store_dword v204, off, s[16:19], 0 offset:948 ; 4-byte Folded Spill
	;; [unrolled: 1-line block ×4, first 2 shown]
	v_cmpx_lt_u32_e32 26, v0
	s_cbranch_execz .LBB111_244
; %bb.243:
	s_clause 0x3
	buffer_load_dword v203, off, s[16:19], 0 offset:944
	buffer_load_dword v204, off, s[16:19], 0 offset:948
	;; [unrolled: 1-line block ×4, first 2 shown]
	ds_read2_b64 v[215:218], v253 offset0:54 offset1:55
	s_waitcnt vmcnt(0)
	v_mul_f64 v[213:214], v[205:206], v[119:120]
	v_mul_f64 v[119:120], v[203:204], v[119:120]
	v_fma_f64 v[213:214], v[203:204], v[117:118], -v[213:214]
	v_fma_f64 v[119:120], v[205:206], v[117:118], v[119:120]
	s_waitcnt lgkmcnt(0)
	v_mul_f64 v[117:118], v[217:218], v[119:120]
	v_fma_f64 v[117:118], v[215:216], v[213:214], -v[117:118]
	v_mul_f64 v[215:216], v[215:216], v[119:120]
	v_add_f64 v[113:114], v[113:114], -v[117:118]
	v_fma_f64 v[215:216], v[217:218], v[213:214], v[215:216]
	v_add_f64 v[115:116], v[115:116], -v[215:216]
	ds_read2_b64 v[215:218], v253 offset0:56 offset1:57
	s_waitcnt lgkmcnt(0)
	v_mul_f64 v[117:118], v[217:218], v[119:120]
	v_fma_f64 v[117:118], v[215:216], v[213:214], -v[117:118]
	v_mul_f64 v[215:216], v[215:216], v[119:120]
	v_add_f64 v[109:110], v[109:110], -v[117:118]
	v_fma_f64 v[215:216], v[217:218], v[213:214], v[215:216]
	v_add_f64 v[111:112], v[111:112], -v[215:216]
	ds_read2_b64 v[215:218], v253 offset0:58 offset1:59
	;; [unrolled: 8-line block ×28, first 2 shown]
	s_waitcnt lgkmcnt(0)
	v_mul_f64 v[117:118], v[217:218], v[119:120]
	v_fma_f64 v[117:118], v[215:216], v[213:214], -v[117:118]
	v_mul_f64 v[215:216], v[215:216], v[119:120]
	v_add_f64 v[1:2], v[1:2], -v[117:118]
	v_fma_f64 v[215:216], v[217:218], v[213:214], v[215:216]
	v_mov_b32_e32 v117, v213
	v_mov_b32_e32 v118, v214
	v_add_f64 v[3:4], v[3:4], -v[215:216]
.LBB111_244:
	s_or_b32 exec_lo, exec_lo, s1
	s_mov_b32 s2, exec_lo
	s_waitcnt_vscnt null, 0x0
	s_barrier
	buffer_gl0_inv
	v_cmpx_eq_u32_e32 27, v0
	s_cbranch_execz .LBB111_251
; %bb.245:
	ds_write2_b64 v255, v[113:114], v[115:116] offset1:1
	ds_write2_b64 v253, v[109:110], v[111:112] offset0:56 offset1:57
	ds_write2_b64 v253, v[105:106], v[107:108] offset0:58 offset1:59
	;; [unrolled: 1-line block ×28, first 2 shown]
	ds_read2_b64 v[213:216], v255 offset1:1
	s_waitcnt lgkmcnt(0)
	v_cmp_neq_f64_e32 vcc_lo, 0, v[213:214]
	v_cmp_neq_f64_e64 s1, 0, v[215:216]
	s_or_b32 s1, vcc_lo, s1
	s_and_b32 exec_lo, exec_lo, s1
	s_cbranch_execz .LBB111_251
; %bb.246:
	v_cmp_ngt_f64_e64 s1, |v[213:214]|, |v[215:216]|
                                        ; implicit-def: $vgpr217_vgpr218
	s_and_saveexec_b32 s3, s1
	s_xor_b32 s1, exec_lo, s3
                                        ; implicit-def: $vgpr219_vgpr220
	s_cbranch_execz .LBB111_248
; %bb.247:
	v_div_scale_f64 v[217:218], null, v[215:216], v[215:216], v[213:214]
	v_div_scale_f64 v[223:224], vcc_lo, v[213:214], v[215:216], v[213:214]
	v_rcp_f64_e32 v[219:220], v[217:218]
	v_fma_f64 v[221:222], -v[217:218], v[219:220], 1.0
	v_fma_f64 v[219:220], v[219:220], v[221:222], v[219:220]
	v_fma_f64 v[221:222], -v[217:218], v[219:220], 1.0
	v_fma_f64 v[219:220], v[219:220], v[221:222], v[219:220]
	v_mul_f64 v[221:222], v[223:224], v[219:220]
	v_fma_f64 v[217:218], -v[217:218], v[221:222], v[223:224]
	v_div_fmas_f64 v[217:218], v[217:218], v[219:220], v[221:222]
	v_div_fixup_f64 v[217:218], v[217:218], v[215:216], v[213:214]
	v_fma_f64 v[213:214], v[213:214], v[217:218], v[215:216]
	v_div_scale_f64 v[215:216], null, v[213:214], v[213:214], 1.0
	v_rcp_f64_e32 v[219:220], v[215:216]
	v_fma_f64 v[221:222], -v[215:216], v[219:220], 1.0
	v_fma_f64 v[219:220], v[219:220], v[221:222], v[219:220]
	v_fma_f64 v[221:222], -v[215:216], v[219:220], 1.0
	v_fma_f64 v[219:220], v[219:220], v[221:222], v[219:220]
	v_div_scale_f64 v[221:222], vcc_lo, 1.0, v[213:214], 1.0
	v_mul_f64 v[223:224], v[221:222], v[219:220]
	v_fma_f64 v[215:216], -v[215:216], v[223:224], v[221:222]
	v_div_fmas_f64 v[215:216], v[215:216], v[219:220], v[223:224]
	v_div_fixup_f64 v[219:220], v[215:216], v[213:214], 1.0
                                        ; implicit-def: $vgpr213_vgpr214
	v_mul_f64 v[217:218], v[217:218], v[219:220]
	v_xor_b32_e32 v220, 0x80000000, v220
.LBB111_248:
	s_andn2_saveexec_b32 s1, s1
	s_cbranch_execz .LBB111_250
; %bb.249:
	v_div_scale_f64 v[217:218], null, v[213:214], v[213:214], v[215:216]
	v_div_scale_f64 v[223:224], vcc_lo, v[215:216], v[213:214], v[215:216]
	v_rcp_f64_e32 v[219:220], v[217:218]
	v_fma_f64 v[221:222], -v[217:218], v[219:220], 1.0
	v_fma_f64 v[219:220], v[219:220], v[221:222], v[219:220]
	v_fma_f64 v[221:222], -v[217:218], v[219:220], 1.0
	v_fma_f64 v[219:220], v[219:220], v[221:222], v[219:220]
	v_mul_f64 v[221:222], v[223:224], v[219:220]
	v_fma_f64 v[217:218], -v[217:218], v[221:222], v[223:224]
	v_div_fmas_f64 v[217:218], v[217:218], v[219:220], v[221:222]
	v_div_fixup_f64 v[219:220], v[217:218], v[213:214], v[215:216]
	v_fma_f64 v[213:214], v[215:216], v[219:220], v[213:214]
	v_div_scale_f64 v[215:216], null, v[213:214], v[213:214], 1.0
	v_rcp_f64_e32 v[217:218], v[215:216]
	v_fma_f64 v[221:222], -v[215:216], v[217:218], 1.0
	v_fma_f64 v[217:218], v[217:218], v[221:222], v[217:218]
	v_fma_f64 v[221:222], -v[215:216], v[217:218], 1.0
	v_fma_f64 v[217:218], v[217:218], v[221:222], v[217:218]
	v_div_scale_f64 v[221:222], vcc_lo, 1.0, v[213:214], 1.0
	v_mul_f64 v[223:224], v[221:222], v[217:218]
	v_fma_f64 v[215:216], -v[215:216], v[223:224], v[221:222]
	v_div_fmas_f64 v[215:216], v[215:216], v[217:218], v[223:224]
	v_div_fixup_f64 v[217:218], v[215:216], v[213:214], 1.0
	v_mul_f64 v[219:220], v[219:220], -v[217:218]
.LBB111_250:
	s_or_b32 exec_lo, exec_lo, s1
	ds_write2_b64 v255, v[217:218], v[219:220] offset1:1
.LBB111_251:
	s_or_b32 exec_lo, exec_lo, s2
	s_waitcnt lgkmcnt(0)
	s_barrier
	buffer_gl0_inv
	ds_read2_b64 v[203:206], v255 offset1:1
	s_mov_b32 s1, exec_lo
	s_waitcnt lgkmcnt(0)
	buffer_store_dword v203, off, s[16:19], 0 offset:960 ; 4-byte Folded Spill
	buffer_store_dword v204, off, s[16:19], 0 offset:964 ; 4-byte Folded Spill
	;; [unrolled: 1-line block ×4, first 2 shown]
	v_cmpx_lt_u32_e32 27, v0
	s_cbranch_execz .LBB111_253
; %bb.252:
	s_clause 0x3
	buffer_load_dword v203, off, s[16:19], 0 offset:960
	buffer_load_dword v204, off, s[16:19], 0 offset:964
	;; [unrolled: 1-line block ×4, first 2 shown]
	ds_read2_b64 v[215:218], v253 offset0:56 offset1:57
	s_waitcnt vmcnt(0)
	v_mul_f64 v[213:214], v[205:206], v[115:116]
	v_mul_f64 v[115:116], v[203:204], v[115:116]
	v_fma_f64 v[213:214], v[203:204], v[113:114], -v[213:214]
	v_fma_f64 v[115:116], v[205:206], v[113:114], v[115:116]
	s_waitcnt lgkmcnt(0)
	v_mul_f64 v[113:114], v[217:218], v[115:116]
	v_fma_f64 v[113:114], v[215:216], v[213:214], -v[113:114]
	v_mul_f64 v[215:216], v[215:216], v[115:116]
	v_add_f64 v[109:110], v[109:110], -v[113:114]
	v_fma_f64 v[215:216], v[217:218], v[213:214], v[215:216]
	v_add_f64 v[111:112], v[111:112], -v[215:216]
	ds_read2_b64 v[215:218], v253 offset0:58 offset1:59
	s_waitcnt lgkmcnt(0)
	v_mul_f64 v[113:114], v[217:218], v[115:116]
	v_fma_f64 v[113:114], v[215:216], v[213:214], -v[113:114]
	v_mul_f64 v[215:216], v[215:216], v[115:116]
	v_add_f64 v[105:106], v[105:106], -v[113:114]
	v_fma_f64 v[215:216], v[217:218], v[213:214], v[215:216]
	v_add_f64 v[107:108], v[107:108], -v[215:216]
	ds_read2_b64 v[215:218], v253 offset0:60 offset1:61
	;; [unrolled: 8-line block ×27, first 2 shown]
	s_waitcnt lgkmcnt(0)
	v_mul_f64 v[113:114], v[217:218], v[115:116]
	v_fma_f64 v[113:114], v[215:216], v[213:214], -v[113:114]
	v_mul_f64 v[215:216], v[215:216], v[115:116]
	v_add_f64 v[1:2], v[1:2], -v[113:114]
	v_fma_f64 v[215:216], v[217:218], v[213:214], v[215:216]
	v_mov_b32_e32 v113, v213
	v_mov_b32_e32 v114, v214
	v_add_f64 v[3:4], v[3:4], -v[215:216]
.LBB111_253:
	s_or_b32 exec_lo, exec_lo, s1
	s_mov_b32 s2, exec_lo
	s_waitcnt_vscnt null, 0x0
	s_barrier
	buffer_gl0_inv
	v_cmpx_eq_u32_e32 28, v0
	s_cbranch_execz .LBB111_260
; %bb.254:
	ds_write2_b64 v255, v[109:110], v[111:112] offset1:1
	ds_write2_b64 v253, v[105:106], v[107:108] offset0:58 offset1:59
	ds_write2_b64 v253, v[101:102], v[103:104] offset0:60 offset1:61
	;; [unrolled: 1-line block ×27, first 2 shown]
	ds_read2_b64 v[213:216], v255 offset1:1
	s_waitcnt lgkmcnt(0)
	v_cmp_neq_f64_e32 vcc_lo, 0, v[213:214]
	v_cmp_neq_f64_e64 s1, 0, v[215:216]
	s_or_b32 s1, vcc_lo, s1
	s_and_b32 exec_lo, exec_lo, s1
	s_cbranch_execz .LBB111_260
; %bb.255:
	v_cmp_ngt_f64_e64 s1, |v[213:214]|, |v[215:216]|
                                        ; implicit-def: $vgpr217_vgpr218
	s_and_saveexec_b32 s3, s1
	s_xor_b32 s1, exec_lo, s3
                                        ; implicit-def: $vgpr219_vgpr220
	s_cbranch_execz .LBB111_257
; %bb.256:
	v_div_scale_f64 v[217:218], null, v[215:216], v[215:216], v[213:214]
	v_div_scale_f64 v[223:224], vcc_lo, v[213:214], v[215:216], v[213:214]
	v_rcp_f64_e32 v[219:220], v[217:218]
	v_fma_f64 v[221:222], -v[217:218], v[219:220], 1.0
	v_fma_f64 v[219:220], v[219:220], v[221:222], v[219:220]
	v_fma_f64 v[221:222], -v[217:218], v[219:220], 1.0
	v_fma_f64 v[219:220], v[219:220], v[221:222], v[219:220]
	v_mul_f64 v[221:222], v[223:224], v[219:220]
	v_fma_f64 v[217:218], -v[217:218], v[221:222], v[223:224]
	v_div_fmas_f64 v[217:218], v[217:218], v[219:220], v[221:222]
	v_div_fixup_f64 v[217:218], v[217:218], v[215:216], v[213:214]
	v_fma_f64 v[213:214], v[213:214], v[217:218], v[215:216]
	v_div_scale_f64 v[215:216], null, v[213:214], v[213:214], 1.0
	v_rcp_f64_e32 v[219:220], v[215:216]
	v_fma_f64 v[221:222], -v[215:216], v[219:220], 1.0
	v_fma_f64 v[219:220], v[219:220], v[221:222], v[219:220]
	v_fma_f64 v[221:222], -v[215:216], v[219:220], 1.0
	v_fma_f64 v[219:220], v[219:220], v[221:222], v[219:220]
	v_div_scale_f64 v[221:222], vcc_lo, 1.0, v[213:214], 1.0
	v_mul_f64 v[223:224], v[221:222], v[219:220]
	v_fma_f64 v[215:216], -v[215:216], v[223:224], v[221:222]
	v_div_fmas_f64 v[215:216], v[215:216], v[219:220], v[223:224]
	v_div_fixup_f64 v[219:220], v[215:216], v[213:214], 1.0
                                        ; implicit-def: $vgpr213_vgpr214
	v_mul_f64 v[217:218], v[217:218], v[219:220]
	v_xor_b32_e32 v220, 0x80000000, v220
.LBB111_257:
	s_andn2_saveexec_b32 s1, s1
	s_cbranch_execz .LBB111_259
; %bb.258:
	v_div_scale_f64 v[217:218], null, v[213:214], v[213:214], v[215:216]
	v_div_scale_f64 v[223:224], vcc_lo, v[215:216], v[213:214], v[215:216]
	v_rcp_f64_e32 v[219:220], v[217:218]
	v_fma_f64 v[221:222], -v[217:218], v[219:220], 1.0
	v_fma_f64 v[219:220], v[219:220], v[221:222], v[219:220]
	v_fma_f64 v[221:222], -v[217:218], v[219:220], 1.0
	v_fma_f64 v[219:220], v[219:220], v[221:222], v[219:220]
	v_mul_f64 v[221:222], v[223:224], v[219:220]
	v_fma_f64 v[217:218], -v[217:218], v[221:222], v[223:224]
	v_div_fmas_f64 v[217:218], v[217:218], v[219:220], v[221:222]
	v_div_fixup_f64 v[219:220], v[217:218], v[213:214], v[215:216]
	v_fma_f64 v[213:214], v[215:216], v[219:220], v[213:214]
	v_div_scale_f64 v[215:216], null, v[213:214], v[213:214], 1.0
	v_rcp_f64_e32 v[217:218], v[215:216]
	v_fma_f64 v[221:222], -v[215:216], v[217:218], 1.0
	v_fma_f64 v[217:218], v[217:218], v[221:222], v[217:218]
	v_fma_f64 v[221:222], -v[215:216], v[217:218], 1.0
	v_fma_f64 v[217:218], v[217:218], v[221:222], v[217:218]
	v_div_scale_f64 v[221:222], vcc_lo, 1.0, v[213:214], 1.0
	v_mul_f64 v[223:224], v[221:222], v[217:218]
	v_fma_f64 v[215:216], -v[215:216], v[223:224], v[221:222]
	v_div_fmas_f64 v[215:216], v[215:216], v[217:218], v[223:224]
	v_div_fixup_f64 v[217:218], v[215:216], v[213:214], 1.0
	v_mul_f64 v[219:220], v[219:220], -v[217:218]
.LBB111_259:
	s_or_b32 exec_lo, exec_lo, s1
	ds_write2_b64 v255, v[217:218], v[219:220] offset1:1
.LBB111_260:
	s_or_b32 exec_lo, exec_lo, s2
	s_waitcnt lgkmcnt(0)
	s_barrier
	buffer_gl0_inv
	ds_read2_b64 v[203:206], v255 offset1:1
	s_mov_b32 s1, exec_lo
	s_waitcnt lgkmcnt(0)
	buffer_store_dword v203, off, s[16:19], 0 offset:976 ; 4-byte Folded Spill
	buffer_store_dword v204, off, s[16:19], 0 offset:980 ; 4-byte Folded Spill
	buffer_store_dword v205, off, s[16:19], 0 offset:984 ; 4-byte Folded Spill
	buffer_store_dword v206, off, s[16:19], 0 offset:988 ; 4-byte Folded Spill
	v_cmpx_lt_u32_e32 28, v0
	s_cbranch_execz .LBB111_262
; %bb.261:
	s_clause 0x3
	buffer_load_dword v203, off, s[16:19], 0 offset:976
	buffer_load_dword v204, off, s[16:19], 0 offset:980
	;; [unrolled: 1-line block ×4, first 2 shown]
	ds_read2_b64 v[215:218], v253 offset0:58 offset1:59
	s_waitcnt vmcnt(0)
	v_mul_f64 v[213:214], v[205:206], v[111:112]
	v_mul_f64 v[111:112], v[203:204], v[111:112]
	v_fma_f64 v[213:214], v[203:204], v[109:110], -v[213:214]
	v_fma_f64 v[111:112], v[205:206], v[109:110], v[111:112]
	s_waitcnt lgkmcnt(0)
	v_mul_f64 v[109:110], v[217:218], v[111:112]
	v_fma_f64 v[109:110], v[215:216], v[213:214], -v[109:110]
	v_mul_f64 v[215:216], v[215:216], v[111:112]
	v_add_f64 v[105:106], v[105:106], -v[109:110]
	v_fma_f64 v[215:216], v[217:218], v[213:214], v[215:216]
	v_add_f64 v[107:108], v[107:108], -v[215:216]
	ds_read2_b64 v[215:218], v253 offset0:60 offset1:61
	s_waitcnt lgkmcnt(0)
	v_mul_f64 v[109:110], v[217:218], v[111:112]
	v_fma_f64 v[109:110], v[215:216], v[213:214], -v[109:110]
	v_mul_f64 v[215:216], v[215:216], v[111:112]
	v_add_f64 v[101:102], v[101:102], -v[109:110]
	v_fma_f64 v[215:216], v[217:218], v[213:214], v[215:216]
	v_add_f64 v[103:104], v[103:104], -v[215:216]
	ds_read2_b64 v[215:218], v253 offset0:62 offset1:63
	;; [unrolled: 8-line block ×26, first 2 shown]
	s_waitcnt lgkmcnt(0)
	v_mul_f64 v[109:110], v[217:218], v[111:112]
	v_fma_f64 v[109:110], v[215:216], v[213:214], -v[109:110]
	v_mul_f64 v[215:216], v[215:216], v[111:112]
	v_add_f64 v[1:2], v[1:2], -v[109:110]
	v_fma_f64 v[215:216], v[217:218], v[213:214], v[215:216]
	v_mov_b32_e32 v109, v213
	v_mov_b32_e32 v110, v214
	v_add_f64 v[3:4], v[3:4], -v[215:216]
.LBB111_262:
	s_or_b32 exec_lo, exec_lo, s1
	s_mov_b32 s2, exec_lo
	s_waitcnt_vscnt null, 0x0
	s_barrier
	buffer_gl0_inv
	v_cmpx_eq_u32_e32 29, v0
	s_cbranch_execz .LBB111_269
; %bb.263:
	ds_write2_b64 v255, v[105:106], v[107:108] offset1:1
	ds_write2_b64 v253, v[101:102], v[103:104] offset0:60 offset1:61
	ds_write2_b64 v253, v[97:98], v[99:100] offset0:62 offset1:63
	;; [unrolled: 1-line block ×26, first 2 shown]
	ds_read2_b64 v[213:216], v255 offset1:1
	s_waitcnt lgkmcnt(0)
	v_cmp_neq_f64_e32 vcc_lo, 0, v[213:214]
	v_cmp_neq_f64_e64 s1, 0, v[215:216]
	s_or_b32 s1, vcc_lo, s1
	s_and_b32 exec_lo, exec_lo, s1
	s_cbranch_execz .LBB111_269
; %bb.264:
	v_cmp_ngt_f64_e64 s1, |v[213:214]|, |v[215:216]|
                                        ; implicit-def: $vgpr217_vgpr218
	s_and_saveexec_b32 s3, s1
	s_xor_b32 s1, exec_lo, s3
                                        ; implicit-def: $vgpr219_vgpr220
	s_cbranch_execz .LBB111_266
; %bb.265:
	v_div_scale_f64 v[217:218], null, v[215:216], v[215:216], v[213:214]
	v_div_scale_f64 v[223:224], vcc_lo, v[213:214], v[215:216], v[213:214]
	v_rcp_f64_e32 v[219:220], v[217:218]
	v_fma_f64 v[221:222], -v[217:218], v[219:220], 1.0
	v_fma_f64 v[219:220], v[219:220], v[221:222], v[219:220]
	v_fma_f64 v[221:222], -v[217:218], v[219:220], 1.0
	v_fma_f64 v[219:220], v[219:220], v[221:222], v[219:220]
	v_mul_f64 v[221:222], v[223:224], v[219:220]
	v_fma_f64 v[217:218], -v[217:218], v[221:222], v[223:224]
	v_div_fmas_f64 v[217:218], v[217:218], v[219:220], v[221:222]
	v_div_fixup_f64 v[217:218], v[217:218], v[215:216], v[213:214]
	v_fma_f64 v[213:214], v[213:214], v[217:218], v[215:216]
	v_div_scale_f64 v[215:216], null, v[213:214], v[213:214], 1.0
	v_rcp_f64_e32 v[219:220], v[215:216]
	v_fma_f64 v[221:222], -v[215:216], v[219:220], 1.0
	v_fma_f64 v[219:220], v[219:220], v[221:222], v[219:220]
	v_fma_f64 v[221:222], -v[215:216], v[219:220], 1.0
	v_fma_f64 v[219:220], v[219:220], v[221:222], v[219:220]
	v_div_scale_f64 v[221:222], vcc_lo, 1.0, v[213:214], 1.0
	v_mul_f64 v[223:224], v[221:222], v[219:220]
	v_fma_f64 v[215:216], -v[215:216], v[223:224], v[221:222]
	v_div_fmas_f64 v[215:216], v[215:216], v[219:220], v[223:224]
	v_div_fixup_f64 v[219:220], v[215:216], v[213:214], 1.0
                                        ; implicit-def: $vgpr213_vgpr214
	v_mul_f64 v[217:218], v[217:218], v[219:220]
	v_xor_b32_e32 v220, 0x80000000, v220
.LBB111_266:
	s_andn2_saveexec_b32 s1, s1
	s_cbranch_execz .LBB111_268
; %bb.267:
	v_div_scale_f64 v[217:218], null, v[213:214], v[213:214], v[215:216]
	v_div_scale_f64 v[223:224], vcc_lo, v[215:216], v[213:214], v[215:216]
	v_rcp_f64_e32 v[219:220], v[217:218]
	v_fma_f64 v[221:222], -v[217:218], v[219:220], 1.0
	v_fma_f64 v[219:220], v[219:220], v[221:222], v[219:220]
	v_fma_f64 v[221:222], -v[217:218], v[219:220], 1.0
	v_fma_f64 v[219:220], v[219:220], v[221:222], v[219:220]
	v_mul_f64 v[221:222], v[223:224], v[219:220]
	v_fma_f64 v[217:218], -v[217:218], v[221:222], v[223:224]
	v_div_fmas_f64 v[217:218], v[217:218], v[219:220], v[221:222]
	v_div_fixup_f64 v[219:220], v[217:218], v[213:214], v[215:216]
	v_fma_f64 v[213:214], v[215:216], v[219:220], v[213:214]
	v_div_scale_f64 v[215:216], null, v[213:214], v[213:214], 1.0
	v_rcp_f64_e32 v[217:218], v[215:216]
	v_fma_f64 v[221:222], -v[215:216], v[217:218], 1.0
	v_fma_f64 v[217:218], v[217:218], v[221:222], v[217:218]
	v_fma_f64 v[221:222], -v[215:216], v[217:218], 1.0
	v_fma_f64 v[217:218], v[217:218], v[221:222], v[217:218]
	v_div_scale_f64 v[221:222], vcc_lo, 1.0, v[213:214], 1.0
	v_mul_f64 v[223:224], v[221:222], v[217:218]
	v_fma_f64 v[215:216], -v[215:216], v[223:224], v[221:222]
	v_div_fmas_f64 v[215:216], v[215:216], v[217:218], v[223:224]
	v_div_fixup_f64 v[217:218], v[215:216], v[213:214], 1.0
	v_mul_f64 v[219:220], v[219:220], -v[217:218]
.LBB111_268:
	s_or_b32 exec_lo, exec_lo, s1
	ds_write2_b64 v255, v[217:218], v[219:220] offset1:1
.LBB111_269:
	s_or_b32 exec_lo, exec_lo, s2
	s_waitcnt lgkmcnt(0)
	s_barrier
	buffer_gl0_inv
	ds_read2_b64 v[201:204], v255 offset1:1
	s_mov_b32 s1, exec_lo
	v_cmpx_lt_u32_e32 29, v0
	s_cbranch_execz .LBB111_271
; %bb.270:
	s_waitcnt lgkmcnt(0)
	v_mul_f64 v[213:214], v[203:204], v[107:108]
	v_mul_f64 v[107:108], v[201:202], v[107:108]
	ds_read2_b64 v[215:218], v253 offset0:60 offset1:61
	v_fma_f64 v[213:214], v[201:202], v[105:106], -v[213:214]
	v_fma_f64 v[107:108], v[203:204], v[105:106], v[107:108]
	s_waitcnt lgkmcnt(0)
	v_mul_f64 v[105:106], v[217:218], v[107:108]
	v_fma_f64 v[105:106], v[215:216], v[213:214], -v[105:106]
	v_mul_f64 v[215:216], v[215:216], v[107:108]
	v_add_f64 v[101:102], v[101:102], -v[105:106]
	v_fma_f64 v[215:216], v[217:218], v[213:214], v[215:216]
	v_add_f64 v[103:104], v[103:104], -v[215:216]
	ds_read2_b64 v[215:218], v253 offset0:62 offset1:63
	s_waitcnt lgkmcnt(0)
	v_mul_f64 v[105:106], v[217:218], v[107:108]
	v_fma_f64 v[105:106], v[215:216], v[213:214], -v[105:106]
	v_mul_f64 v[215:216], v[215:216], v[107:108]
	v_add_f64 v[97:98], v[97:98], -v[105:106]
	v_fma_f64 v[215:216], v[217:218], v[213:214], v[215:216]
	v_add_f64 v[99:100], v[99:100], -v[215:216]
	ds_read2_b64 v[215:218], v253 offset0:64 offset1:65
	;; [unrolled: 8-line block ×25, first 2 shown]
	s_waitcnt lgkmcnt(0)
	v_mul_f64 v[105:106], v[217:218], v[107:108]
	v_fma_f64 v[105:106], v[215:216], v[213:214], -v[105:106]
	v_mul_f64 v[215:216], v[215:216], v[107:108]
	v_add_f64 v[1:2], v[1:2], -v[105:106]
	v_fma_f64 v[215:216], v[217:218], v[213:214], v[215:216]
	v_mov_b32_e32 v105, v213
	v_mov_b32_e32 v106, v214
	v_add_f64 v[3:4], v[3:4], -v[215:216]
.LBB111_271:
	s_or_b32 exec_lo, exec_lo, s1
	s_mov_b32 s2, exec_lo
	s_waitcnt lgkmcnt(0)
	s_barrier
	buffer_gl0_inv
	v_cmpx_eq_u32_e32 30, v0
	s_cbranch_execz .LBB111_278
; %bb.272:
	ds_write2_b64 v255, v[101:102], v[103:104] offset1:1
	ds_write2_b64 v253, v[97:98], v[99:100] offset0:62 offset1:63
	ds_write2_b64 v253, v[93:94], v[95:96] offset0:64 offset1:65
	;; [unrolled: 1-line block ×25, first 2 shown]
	ds_read2_b64 v[213:216], v255 offset1:1
	s_waitcnt lgkmcnt(0)
	v_cmp_neq_f64_e32 vcc_lo, 0, v[213:214]
	v_cmp_neq_f64_e64 s1, 0, v[215:216]
	s_or_b32 s1, vcc_lo, s1
	s_and_b32 exec_lo, exec_lo, s1
	s_cbranch_execz .LBB111_278
; %bb.273:
	v_cmp_ngt_f64_e64 s1, |v[213:214]|, |v[215:216]|
                                        ; implicit-def: $vgpr217_vgpr218
	s_and_saveexec_b32 s3, s1
	s_xor_b32 s1, exec_lo, s3
                                        ; implicit-def: $vgpr219_vgpr220
	s_cbranch_execz .LBB111_275
; %bb.274:
	v_div_scale_f64 v[217:218], null, v[215:216], v[215:216], v[213:214]
	v_div_scale_f64 v[223:224], vcc_lo, v[213:214], v[215:216], v[213:214]
	v_rcp_f64_e32 v[219:220], v[217:218]
	v_fma_f64 v[221:222], -v[217:218], v[219:220], 1.0
	v_fma_f64 v[219:220], v[219:220], v[221:222], v[219:220]
	v_fma_f64 v[221:222], -v[217:218], v[219:220], 1.0
	v_fma_f64 v[219:220], v[219:220], v[221:222], v[219:220]
	v_mul_f64 v[221:222], v[223:224], v[219:220]
	v_fma_f64 v[217:218], -v[217:218], v[221:222], v[223:224]
	v_div_fmas_f64 v[217:218], v[217:218], v[219:220], v[221:222]
	v_div_fixup_f64 v[217:218], v[217:218], v[215:216], v[213:214]
	v_fma_f64 v[213:214], v[213:214], v[217:218], v[215:216]
	v_div_scale_f64 v[215:216], null, v[213:214], v[213:214], 1.0
	v_rcp_f64_e32 v[219:220], v[215:216]
	v_fma_f64 v[221:222], -v[215:216], v[219:220], 1.0
	v_fma_f64 v[219:220], v[219:220], v[221:222], v[219:220]
	v_fma_f64 v[221:222], -v[215:216], v[219:220], 1.0
	v_fma_f64 v[219:220], v[219:220], v[221:222], v[219:220]
	v_div_scale_f64 v[221:222], vcc_lo, 1.0, v[213:214], 1.0
	v_mul_f64 v[223:224], v[221:222], v[219:220]
	v_fma_f64 v[215:216], -v[215:216], v[223:224], v[221:222]
	v_div_fmas_f64 v[215:216], v[215:216], v[219:220], v[223:224]
	v_div_fixup_f64 v[219:220], v[215:216], v[213:214], 1.0
                                        ; implicit-def: $vgpr213_vgpr214
	v_mul_f64 v[217:218], v[217:218], v[219:220]
	v_xor_b32_e32 v220, 0x80000000, v220
.LBB111_275:
	s_andn2_saveexec_b32 s1, s1
	s_cbranch_execz .LBB111_277
; %bb.276:
	v_div_scale_f64 v[217:218], null, v[213:214], v[213:214], v[215:216]
	v_div_scale_f64 v[223:224], vcc_lo, v[215:216], v[213:214], v[215:216]
	v_rcp_f64_e32 v[219:220], v[217:218]
	v_fma_f64 v[221:222], -v[217:218], v[219:220], 1.0
	v_fma_f64 v[219:220], v[219:220], v[221:222], v[219:220]
	v_fma_f64 v[221:222], -v[217:218], v[219:220], 1.0
	v_fma_f64 v[219:220], v[219:220], v[221:222], v[219:220]
	v_mul_f64 v[221:222], v[223:224], v[219:220]
	v_fma_f64 v[217:218], -v[217:218], v[221:222], v[223:224]
	v_div_fmas_f64 v[217:218], v[217:218], v[219:220], v[221:222]
	v_div_fixup_f64 v[219:220], v[217:218], v[213:214], v[215:216]
	v_fma_f64 v[213:214], v[215:216], v[219:220], v[213:214]
	v_div_scale_f64 v[215:216], null, v[213:214], v[213:214], 1.0
	v_rcp_f64_e32 v[217:218], v[215:216]
	v_fma_f64 v[221:222], -v[215:216], v[217:218], 1.0
	v_fma_f64 v[217:218], v[217:218], v[221:222], v[217:218]
	v_fma_f64 v[221:222], -v[215:216], v[217:218], 1.0
	v_fma_f64 v[217:218], v[217:218], v[221:222], v[217:218]
	v_div_scale_f64 v[221:222], vcc_lo, 1.0, v[213:214], 1.0
	v_mul_f64 v[223:224], v[221:222], v[217:218]
	v_fma_f64 v[215:216], -v[215:216], v[223:224], v[221:222]
	v_div_fmas_f64 v[215:216], v[215:216], v[217:218], v[223:224]
	v_div_fixup_f64 v[217:218], v[215:216], v[213:214], 1.0
	v_mul_f64 v[219:220], v[219:220], -v[217:218]
.LBB111_277:
	s_or_b32 exec_lo, exec_lo, s1
	ds_write2_b64 v255, v[217:218], v[219:220] offset1:1
.LBB111_278:
	s_or_b32 exec_lo, exec_lo, s2
	s_waitcnt lgkmcnt(0)
	s_barrier
	buffer_gl0_inv
	ds_read2_b64 v[245:248], v255 offset1:1
	s_mov_b32 s1, exec_lo
	v_cmpx_lt_u32_e32 30, v0
	s_cbranch_execz .LBB111_280
; %bb.279:
	s_waitcnt lgkmcnt(0)
	v_mul_f64 v[213:214], v[247:248], v[103:104]
	v_mul_f64 v[103:104], v[245:246], v[103:104]
	ds_read2_b64 v[215:218], v253 offset0:62 offset1:63
	v_fma_f64 v[213:214], v[245:246], v[101:102], -v[213:214]
	v_fma_f64 v[103:104], v[247:248], v[101:102], v[103:104]
	s_waitcnt lgkmcnt(0)
	v_mul_f64 v[101:102], v[217:218], v[103:104]
	v_fma_f64 v[101:102], v[215:216], v[213:214], -v[101:102]
	v_mul_f64 v[215:216], v[215:216], v[103:104]
	v_add_f64 v[97:98], v[97:98], -v[101:102]
	v_fma_f64 v[215:216], v[217:218], v[213:214], v[215:216]
	v_add_f64 v[99:100], v[99:100], -v[215:216]
	ds_read2_b64 v[215:218], v253 offset0:64 offset1:65
	s_waitcnt lgkmcnt(0)
	v_mul_f64 v[101:102], v[217:218], v[103:104]
	v_fma_f64 v[101:102], v[215:216], v[213:214], -v[101:102]
	v_mul_f64 v[215:216], v[215:216], v[103:104]
	v_add_f64 v[93:94], v[93:94], -v[101:102]
	v_fma_f64 v[215:216], v[217:218], v[213:214], v[215:216]
	v_add_f64 v[95:96], v[95:96], -v[215:216]
	ds_read2_b64 v[215:218], v253 offset0:66 offset1:67
	;; [unrolled: 8-line block ×24, first 2 shown]
	s_waitcnt lgkmcnt(0)
	v_mul_f64 v[101:102], v[217:218], v[103:104]
	v_fma_f64 v[101:102], v[215:216], v[213:214], -v[101:102]
	v_mul_f64 v[215:216], v[215:216], v[103:104]
	v_add_f64 v[1:2], v[1:2], -v[101:102]
	v_fma_f64 v[215:216], v[217:218], v[213:214], v[215:216]
	v_mov_b32_e32 v101, v213
	v_mov_b32_e32 v102, v214
	v_add_f64 v[3:4], v[3:4], -v[215:216]
.LBB111_280:
	s_or_b32 exec_lo, exec_lo, s1
	s_mov_b32 s2, exec_lo
	s_waitcnt lgkmcnt(0)
	s_barrier
	buffer_gl0_inv
	v_cmpx_eq_u32_e32 31, v0
	s_cbranch_execz .LBB111_287
; %bb.281:
	ds_write2_b64 v255, v[97:98], v[99:100] offset1:1
	ds_write2_b64 v253, v[93:94], v[95:96] offset0:64 offset1:65
	ds_write2_b64 v253, v[89:90], v[91:92] offset0:66 offset1:67
	;; [unrolled: 1-line block ×24, first 2 shown]
	ds_read2_b64 v[213:216], v255 offset1:1
	s_waitcnt lgkmcnt(0)
	v_cmp_neq_f64_e32 vcc_lo, 0, v[213:214]
	v_cmp_neq_f64_e64 s1, 0, v[215:216]
	s_or_b32 s1, vcc_lo, s1
	s_and_b32 exec_lo, exec_lo, s1
	s_cbranch_execz .LBB111_287
; %bb.282:
	v_cmp_ngt_f64_e64 s1, |v[213:214]|, |v[215:216]|
                                        ; implicit-def: $vgpr217_vgpr218
	s_and_saveexec_b32 s3, s1
	s_xor_b32 s1, exec_lo, s3
                                        ; implicit-def: $vgpr219_vgpr220
	s_cbranch_execz .LBB111_284
; %bb.283:
	v_div_scale_f64 v[217:218], null, v[215:216], v[215:216], v[213:214]
	v_div_scale_f64 v[223:224], vcc_lo, v[213:214], v[215:216], v[213:214]
	v_rcp_f64_e32 v[219:220], v[217:218]
	v_fma_f64 v[221:222], -v[217:218], v[219:220], 1.0
	v_fma_f64 v[219:220], v[219:220], v[221:222], v[219:220]
	v_fma_f64 v[221:222], -v[217:218], v[219:220], 1.0
	v_fma_f64 v[219:220], v[219:220], v[221:222], v[219:220]
	v_mul_f64 v[221:222], v[223:224], v[219:220]
	v_fma_f64 v[217:218], -v[217:218], v[221:222], v[223:224]
	v_div_fmas_f64 v[217:218], v[217:218], v[219:220], v[221:222]
	v_div_fixup_f64 v[217:218], v[217:218], v[215:216], v[213:214]
	v_fma_f64 v[213:214], v[213:214], v[217:218], v[215:216]
	v_div_scale_f64 v[215:216], null, v[213:214], v[213:214], 1.0
	v_rcp_f64_e32 v[219:220], v[215:216]
	v_fma_f64 v[221:222], -v[215:216], v[219:220], 1.0
	v_fma_f64 v[219:220], v[219:220], v[221:222], v[219:220]
	v_fma_f64 v[221:222], -v[215:216], v[219:220], 1.0
	v_fma_f64 v[219:220], v[219:220], v[221:222], v[219:220]
	v_div_scale_f64 v[221:222], vcc_lo, 1.0, v[213:214], 1.0
	v_mul_f64 v[223:224], v[221:222], v[219:220]
	v_fma_f64 v[215:216], -v[215:216], v[223:224], v[221:222]
	v_div_fmas_f64 v[215:216], v[215:216], v[219:220], v[223:224]
	v_div_fixup_f64 v[219:220], v[215:216], v[213:214], 1.0
                                        ; implicit-def: $vgpr213_vgpr214
	v_mul_f64 v[217:218], v[217:218], v[219:220]
	v_xor_b32_e32 v220, 0x80000000, v220
.LBB111_284:
	s_andn2_saveexec_b32 s1, s1
	s_cbranch_execz .LBB111_286
; %bb.285:
	v_div_scale_f64 v[217:218], null, v[213:214], v[213:214], v[215:216]
	v_div_scale_f64 v[223:224], vcc_lo, v[215:216], v[213:214], v[215:216]
	v_rcp_f64_e32 v[219:220], v[217:218]
	v_fma_f64 v[221:222], -v[217:218], v[219:220], 1.0
	v_fma_f64 v[219:220], v[219:220], v[221:222], v[219:220]
	v_fma_f64 v[221:222], -v[217:218], v[219:220], 1.0
	v_fma_f64 v[219:220], v[219:220], v[221:222], v[219:220]
	v_mul_f64 v[221:222], v[223:224], v[219:220]
	v_fma_f64 v[217:218], -v[217:218], v[221:222], v[223:224]
	v_div_fmas_f64 v[217:218], v[217:218], v[219:220], v[221:222]
	v_div_fixup_f64 v[219:220], v[217:218], v[213:214], v[215:216]
	v_fma_f64 v[213:214], v[215:216], v[219:220], v[213:214]
	v_div_scale_f64 v[215:216], null, v[213:214], v[213:214], 1.0
	v_rcp_f64_e32 v[217:218], v[215:216]
	v_fma_f64 v[221:222], -v[215:216], v[217:218], 1.0
	v_fma_f64 v[217:218], v[217:218], v[221:222], v[217:218]
	v_fma_f64 v[221:222], -v[215:216], v[217:218], 1.0
	v_fma_f64 v[217:218], v[217:218], v[221:222], v[217:218]
	v_div_scale_f64 v[221:222], vcc_lo, 1.0, v[213:214], 1.0
	v_mul_f64 v[223:224], v[221:222], v[217:218]
	v_fma_f64 v[215:216], -v[215:216], v[223:224], v[221:222]
	v_div_fmas_f64 v[215:216], v[215:216], v[217:218], v[223:224]
	v_div_fixup_f64 v[217:218], v[215:216], v[213:214], 1.0
	v_mul_f64 v[219:220], v[219:220], -v[217:218]
.LBB111_286:
	s_or_b32 exec_lo, exec_lo, s1
	ds_write2_b64 v255, v[217:218], v[219:220] offset1:1
.LBB111_287:
	s_or_b32 exec_lo, exec_lo, s2
	s_waitcnt lgkmcnt(0)
	s_barrier
	buffer_gl0_inv
	ds_read2_b64 v[213:216], v255 offset1:1
	s_mov_b32 s1, exec_lo
	s_waitcnt lgkmcnt(0)
	buffer_store_dword v213, off, s[16:19], 0 offset:1016 ; 4-byte Folded Spill
	buffer_store_dword v214, off, s[16:19], 0 offset:1020 ; 4-byte Folded Spill
	;; [unrolled: 1-line block ×4, first 2 shown]
	v_cmpx_lt_u32_e32 31, v0
	s_cbranch_execz .LBB111_289
; %bb.288:
	s_clause 0x3
	buffer_load_dword v215, off, s[16:19], 0 offset:1016
	buffer_load_dword v216, off, s[16:19], 0 offset:1020
	;; [unrolled: 1-line block ×4, first 2 shown]
	s_waitcnt vmcnt(0)
	v_mul_f64 v[213:214], v[217:218], v[99:100]
	v_mul_f64 v[99:100], v[215:216], v[99:100]
	v_fma_f64 v[213:214], v[215:216], v[97:98], -v[213:214]
	v_fma_f64 v[99:100], v[217:218], v[97:98], v[99:100]
	ds_read2_b64 v[215:218], v253 offset0:64 offset1:65
	s_waitcnt lgkmcnt(0)
	v_mul_f64 v[97:98], v[217:218], v[99:100]
	v_fma_f64 v[97:98], v[215:216], v[213:214], -v[97:98]
	v_mul_f64 v[215:216], v[215:216], v[99:100]
	v_add_f64 v[93:94], v[93:94], -v[97:98]
	v_fma_f64 v[215:216], v[217:218], v[213:214], v[215:216]
	v_add_f64 v[95:96], v[95:96], -v[215:216]
	ds_read2_b64 v[215:218], v253 offset0:66 offset1:67
	s_waitcnt lgkmcnt(0)
	v_mul_f64 v[97:98], v[217:218], v[99:100]
	v_fma_f64 v[97:98], v[215:216], v[213:214], -v[97:98]
	v_mul_f64 v[215:216], v[215:216], v[99:100]
	v_add_f64 v[89:90], v[89:90], -v[97:98]
	v_fma_f64 v[215:216], v[217:218], v[213:214], v[215:216]
	v_add_f64 v[91:92], v[91:92], -v[215:216]
	;; [unrolled: 8-line block ×23, first 2 shown]
	ds_read2_b64 v[215:218], v253 offset0:110 offset1:111
	s_waitcnt lgkmcnt(0)
	v_mul_f64 v[97:98], v[217:218], v[99:100]
	v_fma_f64 v[97:98], v[215:216], v[213:214], -v[97:98]
	v_mul_f64 v[215:216], v[215:216], v[99:100]
	v_add_f64 v[1:2], v[1:2], -v[97:98]
	v_fma_f64 v[215:216], v[217:218], v[213:214], v[215:216]
	v_mov_b32_e32 v97, v213
	v_mov_b32_e32 v98, v214
	v_add_f64 v[3:4], v[3:4], -v[215:216]
.LBB111_289:
	s_or_b32 exec_lo, exec_lo, s1
	s_mov_b32 s2, exec_lo
	s_waitcnt_vscnt null, 0x0
	s_barrier
	buffer_gl0_inv
	v_cmpx_eq_u32_e32 32, v0
	s_cbranch_execz .LBB111_296
; %bb.290:
	ds_write2_b64 v255, v[93:94], v[95:96] offset1:1
	ds_write2_b64 v253, v[89:90], v[91:92] offset0:66 offset1:67
	ds_write2_b64 v253, v[85:86], v[87:88] offset0:68 offset1:69
	;; [unrolled: 1-line block ×23, first 2 shown]
	ds_read2_b64 v[213:216], v255 offset1:1
	s_waitcnt lgkmcnt(0)
	v_cmp_neq_f64_e32 vcc_lo, 0, v[213:214]
	v_cmp_neq_f64_e64 s1, 0, v[215:216]
	s_or_b32 s1, vcc_lo, s1
	s_and_b32 exec_lo, exec_lo, s1
	s_cbranch_execz .LBB111_296
; %bb.291:
	v_cmp_ngt_f64_e64 s1, |v[213:214]|, |v[215:216]|
                                        ; implicit-def: $vgpr217_vgpr218
	s_and_saveexec_b32 s3, s1
	s_xor_b32 s1, exec_lo, s3
                                        ; implicit-def: $vgpr219_vgpr220
	s_cbranch_execz .LBB111_293
; %bb.292:
	v_div_scale_f64 v[217:218], null, v[215:216], v[215:216], v[213:214]
	v_div_scale_f64 v[223:224], vcc_lo, v[213:214], v[215:216], v[213:214]
	v_rcp_f64_e32 v[219:220], v[217:218]
	v_fma_f64 v[221:222], -v[217:218], v[219:220], 1.0
	v_fma_f64 v[219:220], v[219:220], v[221:222], v[219:220]
	v_fma_f64 v[221:222], -v[217:218], v[219:220], 1.0
	v_fma_f64 v[219:220], v[219:220], v[221:222], v[219:220]
	v_mul_f64 v[221:222], v[223:224], v[219:220]
	v_fma_f64 v[217:218], -v[217:218], v[221:222], v[223:224]
	v_div_fmas_f64 v[217:218], v[217:218], v[219:220], v[221:222]
	v_div_fixup_f64 v[217:218], v[217:218], v[215:216], v[213:214]
	v_fma_f64 v[213:214], v[213:214], v[217:218], v[215:216]
	v_div_scale_f64 v[215:216], null, v[213:214], v[213:214], 1.0
	v_rcp_f64_e32 v[219:220], v[215:216]
	v_fma_f64 v[221:222], -v[215:216], v[219:220], 1.0
	v_fma_f64 v[219:220], v[219:220], v[221:222], v[219:220]
	v_fma_f64 v[221:222], -v[215:216], v[219:220], 1.0
	v_fma_f64 v[219:220], v[219:220], v[221:222], v[219:220]
	v_div_scale_f64 v[221:222], vcc_lo, 1.0, v[213:214], 1.0
	v_mul_f64 v[223:224], v[221:222], v[219:220]
	v_fma_f64 v[215:216], -v[215:216], v[223:224], v[221:222]
	v_div_fmas_f64 v[215:216], v[215:216], v[219:220], v[223:224]
	v_div_fixup_f64 v[219:220], v[215:216], v[213:214], 1.0
                                        ; implicit-def: $vgpr213_vgpr214
	v_mul_f64 v[217:218], v[217:218], v[219:220]
	v_xor_b32_e32 v220, 0x80000000, v220
.LBB111_293:
	s_andn2_saveexec_b32 s1, s1
	s_cbranch_execz .LBB111_295
; %bb.294:
	v_div_scale_f64 v[217:218], null, v[213:214], v[213:214], v[215:216]
	v_div_scale_f64 v[223:224], vcc_lo, v[215:216], v[213:214], v[215:216]
	v_rcp_f64_e32 v[219:220], v[217:218]
	v_fma_f64 v[221:222], -v[217:218], v[219:220], 1.0
	v_fma_f64 v[219:220], v[219:220], v[221:222], v[219:220]
	v_fma_f64 v[221:222], -v[217:218], v[219:220], 1.0
	v_fma_f64 v[219:220], v[219:220], v[221:222], v[219:220]
	v_mul_f64 v[221:222], v[223:224], v[219:220]
	v_fma_f64 v[217:218], -v[217:218], v[221:222], v[223:224]
	v_div_fmas_f64 v[217:218], v[217:218], v[219:220], v[221:222]
	v_div_fixup_f64 v[219:220], v[217:218], v[213:214], v[215:216]
	v_fma_f64 v[213:214], v[215:216], v[219:220], v[213:214]
	v_div_scale_f64 v[215:216], null, v[213:214], v[213:214], 1.0
	v_rcp_f64_e32 v[217:218], v[215:216]
	v_fma_f64 v[221:222], -v[215:216], v[217:218], 1.0
	v_fma_f64 v[217:218], v[217:218], v[221:222], v[217:218]
	v_fma_f64 v[221:222], -v[215:216], v[217:218], 1.0
	v_fma_f64 v[217:218], v[217:218], v[221:222], v[217:218]
	v_div_scale_f64 v[221:222], vcc_lo, 1.0, v[213:214], 1.0
	v_mul_f64 v[223:224], v[221:222], v[217:218]
	v_fma_f64 v[215:216], -v[215:216], v[223:224], v[221:222]
	v_div_fmas_f64 v[215:216], v[215:216], v[217:218], v[223:224]
	v_div_fixup_f64 v[217:218], v[215:216], v[213:214], 1.0
	v_mul_f64 v[219:220], v[219:220], -v[217:218]
.LBB111_295:
	s_or_b32 exec_lo, exec_lo, s1
	ds_write2_b64 v255, v[217:218], v[219:220] offset1:1
.LBB111_296:
	s_or_b32 exec_lo, exec_lo, s2
	s_waitcnt lgkmcnt(0)
	s_barrier
	buffer_gl0_inv
	ds_read2_b64 v[213:216], v255 offset1:1
	s_mov_b32 s1, exec_lo
	s_waitcnt lgkmcnt(0)
	buffer_store_dword v213, off, s[16:19], 0 offset:1032 ; 4-byte Folded Spill
	buffer_store_dword v214, off, s[16:19], 0 offset:1036 ; 4-byte Folded Spill
	buffer_store_dword v215, off, s[16:19], 0 offset:1040 ; 4-byte Folded Spill
	buffer_store_dword v216, off, s[16:19], 0 offset:1044 ; 4-byte Folded Spill
	v_cmpx_lt_u32_e32 32, v0
	s_cbranch_execz .LBB111_298
; %bb.297:
	s_clause 0x3
	buffer_load_dword v215, off, s[16:19], 0 offset:1032
	buffer_load_dword v216, off, s[16:19], 0 offset:1036
	;; [unrolled: 1-line block ×4, first 2 shown]
	s_waitcnt vmcnt(0)
	v_mul_f64 v[213:214], v[217:218], v[95:96]
	v_mul_f64 v[95:96], v[215:216], v[95:96]
	v_fma_f64 v[213:214], v[215:216], v[93:94], -v[213:214]
	v_fma_f64 v[95:96], v[217:218], v[93:94], v[95:96]
	ds_read2_b64 v[215:218], v253 offset0:66 offset1:67
	s_waitcnt lgkmcnt(0)
	v_mul_f64 v[93:94], v[217:218], v[95:96]
	v_fma_f64 v[93:94], v[215:216], v[213:214], -v[93:94]
	v_mul_f64 v[215:216], v[215:216], v[95:96]
	v_add_f64 v[89:90], v[89:90], -v[93:94]
	v_fma_f64 v[215:216], v[217:218], v[213:214], v[215:216]
	v_add_f64 v[91:92], v[91:92], -v[215:216]
	ds_read2_b64 v[215:218], v253 offset0:68 offset1:69
	s_waitcnt lgkmcnt(0)
	v_mul_f64 v[93:94], v[217:218], v[95:96]
	v_fma_f64 v[93:94], v[215:216], v[213:214], -v[93:94]
	v_mul_f64 v[215:216], v[215:216], v[95:96]
	v_add_f64 v[85:86], v[85:86], -v[93:94]
	v_fma_f64 v[215:216], v[217:218], v[213:214], v[215:216]
	v_add_f64 v[87:88], v[87:88], -v[215:216]
	;; [unrolled: 8-line block ×22, first 2 shown]
	ds_read2_b64 v[215:218], v253 offset0:110 offset1:111
	s_waitcnt lgkmcnt(0)
	v_mul_f64 v[93:94], v[217:218], v[95:96]
	v_fma_f64 v[93:94], v[215:216], v[213:214], -v[93:94]
	v_mul_f64 v[215:216], v[215:216], v[95:96]
	v_add_f64 v[1:2], v[1:2], -v[93:94]
	v_fma_f64 v[215:216], v[217:218], v[213:214], v[215:216]
	v_mov_b32_e32 v93, v213
	v_mov_b32_e32 v94, v214
	v_add_f64 v[3:4], v[3:4], -v[215:216]
.LBB111_298:
	s_or_b32 exec_lo, exec_lo, s1
	s_mov_b32 s2, exec_lo
	s_waitcnt_vscnt null, 0x0
	s_barrier
	buffer_gl0_inv
	v_cmpx_eq_u32_e32 33, v0
	s_cbranch_execz .LBB111_305
; %bb.299:
	ds_write2_b64 v255, v[89:90], v[91:92] offset1:1
	ds_write2_b64 v253, v[85:86], v[87:88] offset0:68 offset1:69
	ds_write2_b64 v253, v[81:82], v[83:84] offset0:70 offset1:71
	;; [unrolled: 1-line block ×22, first 2 shown]
	ds_read2_b64 v[213:216], v255 offset1:1
	s_waitcnt lgkmcnt(0)
	v_cmp_neq_f64_e32 vcc_lo, 0, v[213:214]
	v_cmp_neq_f64_e64 s1, 0, v[215:216]
	s_or_b32 s1, vcc_lo, s1
	s_and_b32 exec_lo, exec_lo, s1
	s_cbranch_execz .LBB111_305
; %bb.300:
	v_cmp_ngt_f64_e64 s1, |v[213:214]|, |v[215:216]|
                                        ; implicit-def: $vgpr217_vgpr218
	s_and_saveexec_b32 s3, s1
	s_xor_b32 s1, exec_lo, s3
                                        ; implicit-def: $vgpr219_vgpr220
	s_cbranch_execz .LBB111_302
; %bb.301:
	v_div_scale_f64 v[217:218], null, v[215:216], v[215:216], v[213:214]
	v_div_scale_f64 v[223:224], vcc_lo, v[213:214], v[215:216], v[213:214]
	v_rcp_f64_e32 v[219:220], v[217:218]
	v_fma_f64 v[221:222], -v[217:218], v[219:220], 1.0
	v_fma_f64 v[219:220], v[219:220], v[221:222], v[219:220]
	v_fma_f64 v[221:222], -v[217:218], v[219:220], 1.0
	v_fma_f64 v[219:220], v[219:220], v[221:222], v[219:220]
	v_mul_f64 v[221:222], v[223:224], v[219:220]
	v_fma_f64 v[217:218], -v[217:218], v[221:222], v[223:224]
	v_div_fmas_f64 v[217:218], v[217:218], v[219:220], v[221:222]
	v_div_fixup_f64 v[217:218], v[217:218], v[215:216], v[213:214]
	v_fma_f64 v[213:214], v[213:214], v[217:218], v[215:216]
	v_div_scale_f64 v[215:216], null, v[213:214], v[213:214], 1.0
	v_rcp_f64_e32 v[219:220], v[215:216]
	v_fma_f64 v[221:222], -v[215:216], v[219:220], 1.0
	v_fma_f64 v[219:220], v[219:220], v[221:222], v[219:220]
	v_fma_f64 v[221:222], -v[215:216], v[219:220], 1.0
	v_fma_f64 v[219:220], v[219:220], v[221:222], v[219:220]
	v_div_scale_f64 v[221:222], vcc_lo, 1.0, v[213:214], 1.0
	v_mul_f64 v[223:224], v[221:222], v[219:220]
	v_fma_f64 v[215:216], -v[215:216], v[223:224], v[221:222]
	v_div_fmas_f64 v[215:216], v[215:216], v[219:220], v[223:224]
	v_div_fixup_f64 v[219:220], v[215:216], v[213:214], 1.0
                                        ; implicit-def: $vgpr213_vgpr214
	v_mul_f64 v[217:218], v[217:218], v[219:220]
	v_xor_b32_e32 v220, 0x80000000, v220
.LBB111_302:
	s_andn2_saveexec_b32 s1, s1
	s_cbranch_execz .LBB111_304
; %bb.303:
	v_div_scale_f64 v[217:218], null, v[213:214], v[213:214], v[215:216]
	v_div_scale_f64 v[223:224], vcc_lo, v[215:216], v[213:214], v[215:216]
	v_rcp_f64_e32 v[219:220], v[217:218]
	v_fma_f64 v[221:222], -v[217:218], v[219:220], 1.0
	v_fma_f64 v[219:220], v[219:220], v[221:222], v[219:220]
	v_fma_f64 v[221:222], -v[217:218], v[219:220], 1.0
	v_fma_f64 v[219:220], v[219:220], v[221:222], v[219:220]
	v_mul_f64 v[221:222], v[223:224], v[219:220]
	v_fma_f64 v[217:218], -v[217:218], v[221:222], v[223:224]
	v_div_fmas_f64 v[217:218], v[217:218], v[219:220], v[221:222]
	v_div_fixup_f64 v[219:220], v[217:218], v[213:214], v[215:216]
	v_fma_f64 v[213:214], v[215:216], v[219:220], v[213:214]
	v_div_scale_f64 v[215:216], null, v[213:214], v[213:214], 1.0
	v_rcp_f64_e32 v[217:218], v[215:216]
	v_fma_f64 v[221:222], -v[215:216], v[217:218], 1.0
	v_fma_f64 v[217:218], v[217:218], v[221:222], v[217:218]
	v_fma_f64 v[221:222], -v[215:216], v[217:218], 1.0
	v_fma_f64 v[217:218], v[217:218], v[221:222], v[217:218]
	v_div_scale_f64 v[221:222], vcc_lo, 1.0, v[213:214], 1.0
	v_mul_f64 v[223:224], v[221:222], v[217:218]
	v_fma_f64 v[215:216], -v[215:216], v[223:224], v[221:222]
	v_div_fmas_f64 v[215:216], v[215:216], v[217:218], v[223:224]
	v_div_fixup_f64 v[217:218], v[215:216], v[213:214], 1.0
	v_mul_f64 v[219:220], v[219:220], -v[217:218]
.LBB111_304:
	s_or_b32 exec_lo, exec_lo, s1
	ds_write2_b64 v255, v[217:218], v[219:220] offset1:1
.LBB111_305:
	s_or_b32 exec_lo, exec_lo, s2
	s_waitcnt lgkmcnt(0)
	s_barrier
	buffer_gl0_inv
	ds_read2_b64 v[213:216], v255 offset1:1
	s_mov_b32 s1, exec_lo
	s_waitcnt lgkmcnt(0)
	buffer_store_dword v213, off, s[16:19], 0 offset:1048 ; 4-byte Folded Spill
	buffer_store_dword v214, off, s[16:19], 0 offset:1052 ; 4-byte Folded Spill
	;; [unrolled: 1-line block ×4, first 2 shown]
	v_cmpx_lt_u32_e32 33, v0
	s_cbranch_execz .LBB111_307
; %bb.306:
	s_clause 0x3
	buffer_load_dword v215, off, s[16:19], 0 offset:1048
	buffer_load_dword v216, off, s[16:19], 0 offset:1052
	;; [unrolled: 1-line block ×4, first 2 shown]
	s_waitcnt vmcnt(0)
	v_mul_f64 v[213:214], v[217:218], v[91:92]
	v_mul_f64 v[91:92], v[215:216], v[91:92]
	v_fma_f64 v[213:214], v[215:216], v[89:90], -v[213:214]
	v_fma_f64 v[91:92], v[217:218], v[89:90], v[91:92]
	ds_read2_b64 v[215:218], v253 offset0:68 offset1:69
	s_waitcnt lgkmcnt(0)
	v_mul_f64 v[89:90], v[217:218], v[91:92]
	v_fma_f64 v[89:90], v[215:216], v[213:214], -v[89:90]
	v_mul_f64 v[215:216], v[215:216], v[91:92]
	v_add_f64 v[85:86], v[85:86], -v[89:90]
	v_fma_f64 v[215:216], v[217:218], v[213:214], v[215:216]
	v_add_f64 v[87:88], v[87:88], -v[215:216]
	ds_read2_b64 v[215:218], v253 offset0:70 offset1:71
	s_waitcnt lgkmcnt(0)
	v_mul_f64 v[89:90], v[217:218], v[91:92]
	v_fma_f64 v[89:90], v[215:216], v[213:214], -v[89:90]
	v_mul_f64 v[215:216], v[215:216], v[91:92]
	v_add_f64 v[81:82], v[81:82], -v[89:90]
	v_fma_f64 v[215:216], v[217:218], v[213:214], v[215:216]
	v_add_f64 v[83:84], v[83:84], -v[215:216]
	;; [unrolled: 8-line block ×21, first 2 shown]
	ds_read2_b64 v[215:218], v253 offset0:110 offset1:111
	s_waitcnt lgkmcnt(0)
	v_mul_f64 v[89:90], v[217:218], v[91:92]
	v_fma_f64 v[89:90], v[215:216], v[213:214], -v[89:90]
	v_mul_f64 v[215:216], v[215:216], v[91:92]
	v_add_f64 v[1:2], v[1:2], -v[89:90]
	v_fma_f64 v[215:216], v[217:218], v[213:214], v[215:216]
	v_mov_b32_e32 v89, v213
	v_mov_b32_e32 v90, v214
	v_add_f64 v[3:4], v[3:4], -v[215:216]
.LBB111_307:
	s_or_b32 exec_lo, exec_lo, s1
	s_mov_b32 s2, exec_lo
	s_waitcnt_vscnt null, 0x0
	s_barrier
	buffer_gl0_inv
	v_cmpx_eq_u32_e32 34, v0
	s_cbranch_execz .LBB111_314
; %bb.308:
	ds_write2_b64 v255, v[85:86], v[87:88] offset1:1
	ds_write2_b64 v253, v[81:82], v[83:84] offset0:70 offset1:71
	ds_write2_b64 v253, v[77:78], v[79:80] offset0:72 offset1:73
	;; [unrolled: 1-line block ×21, first 2 shown]
	ds_read2_b64 v[213:216], v255 offset1:1
	s_waitcnt lgkmcnt(0)
	v_cmp_neq_f64_e32 vcc_lo, 0, v[213:214]
	v_cmp_neq_f64_e64 s1, 0, v[215:216]
	s_or_b32 s1, vcc_lo, s1
	s_and_b32 exec_lo, exec_lo, s1
	s_cbranch_execz .LBB111_314
; %bb.309:
	v_cmp_ngt_f64_e64 s1, |v[213:214]|, |v[215:216]|
                                        ; implicit-def: $vgpr217_vgpr218
	s_and_saveexec_b32 s3, s1
	s_xor_b32 s1, exec_lo, s3
                                        ; implicit-def: $vgpr219_vgpr220
	s_cbranch_execz .LBB111_311
; %bb.310:
	v_div_scale_f64 v[217:218], null, v[215:216], v[215:216], v[213:214]
	v_div_scale_f64 v[223:224], vcc_lo, v[213:214], v[215:216], v[213:214]
	v_rcp_f64_e32 v[219:220], v[217:218]
	v_fma_f64 v[221:222], -v[217:218], v[219:220], 1.0
	v_fma_f64 v[219:220], v[219:220], v[221:222], v[219:220]
	v_fma_f64 v[221:222], -v[217:218], v[219:220], 1.0
	v_fma_f64 v[219:220], v[219:220], v[221:222], v[219:220]
	v_mul_f64 v[221:222], v[223:224], v[219:220]
	v_fma_f64 v[217:218], -v[217:218], v[221:222], v[223:224]
	v_div_fmas_f64 v[217:218], v[217:218], v[219:220], v[221:222]
	v_div_fixup_f64 v[217:218], v[217:218], v[215:216], v[213:214]
	v_fma_f64 v[213:214], v[213:214], v[217:218], v[215:216]
	v_div_scale_f64 v[215:216], null, v[213:214], v[213:214], 1.0
	v_rcp_f64_e32 v[219:220], v[215:216]
	v_fma_f64 v[221:222], -v[215:216], v[219:220], 1.0
	v_fma_f64 v[219:220], v[219:220], v[221:222], v[219:220]
	v_fma_f64 v[221:222], -v[215:216], v[219:220], 1.0
	v_fma_f64 v[219:220], v[219:220], v[221:222], v[219:220]
	v_div_scale_f64 v[221:222], vcc_lo, 1.0, v[213:214], 1.0
	v_mul_f64 v[223:224], v[221:222], v[219:220]
	v_fma_f64 v[215:216], -v[215:216], v[223:224], v[221:222]
	v_div_fmas_f64 v[215:216], v[215:216], v[219:220], v[223:224]
	v_div_fixup_f64 v[219:220], v[215:216], v[213:214], 1.0
                                        ; implicit-def: $vgpr213_vgpr214
	v_mul_f64 v[217:218], v[217:218], v[219:220]
	v_xor_b32_e32 v220, 0x80000000, v220
.LBB111_311:
	s_andn2_saveexec_b32 s1, s1
	s_cbranch_execz .LBB111_313
; %bb.312:
	v_div_scale_f64 v[217:218], null, v[213:214], v[213:214], v[215:216]
	v_div_scale_f64 v[223:224], vcc_lo, v[215:216], v[213:214], v[215:216]
	v_rcp_f64_e32 v[219:220], v[217:218]
	v_fma_f64 v[221:222], -v[217:218], v[219:220], 1.0
	v_fma_f64 v[219:220], v[219:220], v[221:222], v[219:220]
	v_fma_f64 v[221:222], -v[217:218], v[219:220], 1.0
	v_fma_f64 v[219:220], v[219:220], v[221:222], v[219:220]
	v_mul_f64 v[221:222], v[223:224], v[219:220]
	v_fma_f64 v[217:218], -v[217:218], v[221:222], v[223:224]
	v_div_fmas_f64 v[217:218], v[217:218], v[219:220], v[221:222]
	v_div_fixup_f64 v[219:220], v[217:218], v[213:214], v[215:216]
	v_fma_f64 v[213:214], v[215:216], v[219:220], v[213:214]
	v_div_scale_f64 v[215:216], null, v[213:214], v[213:214], 1.0
	v_rcp_f64_e32 v[217:218], v[215:216]
	v_fma_f64 v[221:222], -v[215:216], v[217:218], 1.0
	v_fma_f64 v[217:218], v[217:218], v[221:222], v[217:218]
	v_fma_f64 v[221:222], -v[215:216], v[217:218], 1.0
	v_fma_f64 v[217:218], v[217:218], v[221:222], v[217:218]
	v_div_scale_f64 v[221:222], vcc_lo, 1.0, v[213:214], 1.0
	v_mul_f64 v[223:224], v[221:222], v[217:218]
	v_fma_f64 v[215:216], -v[215:216], v[223:224], v[221:222]
	v_div_fmas_f64 v[215:216], v[215:216], v[217:218], v[223:224]
	v_div_fixup_f64 v[217:218], v[215:216], v[213:214], 1.0
	v_mul_f64 v[219:220], v[219:220], -v[217:218]
.LBB111_313:
	s_or_b32 exec_lo, exec_lo, s1
	ds_write2_b64 v255, v[217:218], v[219:220] offset1:1
.LBB111_314:
	s_or_b32 exec_lo, exec_lo, s2
	s_waitcnt lgkmcnt(0)
	s_barrier
	buffer_gl0_inv
	ds_read2_b64 v[213:216], v255 offset1:1
	s_mov_b32 s1, exec_lo
	s_waitcnt lgkmcnt(0)
	buffer_store_dword v213, off, s[16:19], 0 offset:1064 ; 4-byte Folded Spill
	buffer_store_dword v214, off, s[16:19], 0 offset:1068 ; 4-byte Folded Spill
	;; [unrolled: 1-line block ×4, first 2 shown]
	v_cmpx_lt_u32_e32 34, v0
	s_cbranch_execz .LBB111_316
; %bb.315:
	s_clause 0x3
	buffer_load_dword v215, off, s[16:19], 0 offset:1064
	buffer_load_dword v216, off, s[16:19], 0 offset:1068
	;; [unrolled: 1-line block ×4, first 2 shown]
	s_waitcnt vmcnt(0)
	v_mul_f64 v[213:214], v[217:218], v[87:88]
	v_mul_f64 v[87:88], v[215:216], v[87:88]
	v_fma_f64 v[213:214], v[215:216], v[85:86], -v[213:214]
	v_fma_f64 v[87:88], v[217:218], v[85:86], v[87:88]
	ds_read2_b64 v[215:218], v253 offset0:70 offset1:71
	s_waitcnt lgkmcnt(0)
	v_mul_f64 v[85:86], v[217:218], v[87:88]
	v_fma_f64 v[85:86], v[215:216], v[213:214], -v[85:86]
	v_mul_f64 v[215:216], v[215:216], v[87:88]
	v_add_f64 v[81:82], v[81:82], -v[85:86]
	v_fma_f64 v[215:216], v[217:218], v[213:214], v[215:216]
	v_add_f64 v[83:84], v[83:84], -v[215:216]
	ds_read2_b64 v[215:218], v253 offset0:72 offset1:73
	s_waitcnt lgkmcnt(0)
	v_mul_f64 v[85:86], v[217:218], v[87:88]
	v_fma_f64 v[85:86], v[215:216], v[213:214], -v[85:86]
	v_mul_f64 v[215:216], v[215:216], v[87:88]
	v_add_f64 v[77:78], v[77:78], -v[85:86]
	v_fma_f64 v[215:216], v[217:218], v[213:214], v[215:216]
	v_add_f64 v[79:80], v[79:80], -v[215:216]
	;; [unrolled: 8-line block ×20, first 2 shown]
	ds_read2_b64 v[215:218], v253 offset0:110 offset1:111
	s_waitcnt lgkmcnt(0)
	v_mul_f64 v[85:86], v[217:218], v[87:88]
	v_fma_f64 v[85:86], v[215:216], v[213:214], -v[85:86]
	v_mul_f64 v[215:216], v[215:216], v[87:88]
	v_add_f64 v[1:2], v[1:2], -v[85:86]
	v_fma_f64 v[215:216], v[217:218], v[213:214], v[215:216]
	v_mov_b32_e32 v85, v213
	v_mov_b32_e32 v86, v214
	v_add_f64 v[3:4], v[3:4], -v[215:216]
.LBB111_316:
	s_or_b32 exec_lo, exec_lo, s1
	s_mov_b32 s2, exec_lo
	s_waitcnt_vscnt null, 0x0
	s_barrier
	buffer_gl0_inv
	v_cmpx_eq_u32_e32 35, v0
	s_cbranch_execz .LBB111_323
; %bb.317:
	ds_write2_b64 v255, v[81:82], v[83:84] offset1:1
	ds_write2_b64 v253, v[77:78], v[79:80] offset0:72 offset1:73
	ds_write2_b64 v253, v[73:74], v[75:76] offset0:74 offset1:75
	;; [unrolled: 1-line block ×20, first 2 shown]
	ds_read2_b64 v[213:216], v255 offset1:1
	s_waitcnt lgkmcnt(0)
	v_cmp_neq_f64_e32 vcc_lo, 0, v[213:214]
	v_cmp_neq_f64_e64 s1, 0, v[215:216]
	s_or_b32 s1, vcc_lo, s1
	s_and_b32 exec_lo, exec_lo, s1
	s_cbranch_execz .LBB111_323
; %bb.318:
	v_cmp_ngt_f64_e64 s1, |v[213:214]|, |v[215:216]|
                                        ; implicit-def: $vgpr217_vgpr218
	s_and_saveexec_b32 s3, s1
	s_xor_b32 s1, exec_lo, s3
                                        ; implicit-def: $vgpr219_vgpr220
	s_cbranch_execz .LBB111_320
; %bb.319:
	v_div_scale_f64 v[217:218], null, v[215:216], v[215:216], v[213:214]
	v_div_scale_f64 v[223:224], vcc_lo, v[213:214], v[215:216], v[213:214]
	v_rcp_f64_e32 v[219:220], v[217:218]
	v_fma_f64 v[221:222], -v[217:218], v[219:220], 1.0
	v_fma_f64 v[219:220], v[219:220], v[221:222], v[219:220]
	v_fma_f64 v[221:222], -v[217:218], v[219:220], 1.0
	v_fma_f64 v[219:220], v[219:220], v[221:222], v[219:220]
	v_mul_f64 v[221:222], v[223:224], v[219:220]
	v_fma_f64 v[217:218], -v[217:218], v[221:222], v[223:224]
	v_div_fmas_f64 v[217:218], v[217:218], v[219:220], v[221:222]
	v_div_fixup_f64 v[217:218], v[217:218], v[215:216], v[213:214]
	v_fma_f64 v[213:214], v[213:214], v[217:218], v[215:216]
	v_div_scale_f64 v[215:216], null, v[213:214], v[213:214], 1.0
	v_rcp_f64_e32 v[219:220], v[215:216]
	v_fma_f64 v[221:222], -v[215:216], v[219:220], 1.0
	v_fma_f64 v[219:220], v[219:220], v[221:222], v[219:220]
	v_fma_f64 v[221:222], -v[215:216], v[219:220], 1.0
	v_fma_f64 v[219:220], v[219:220], v[221:222], v[219:220]
	v_div_scale_f64 v[221:222], vcc_lo, 1.0, v[213:214], 1.0
	v_mul_f64 v[223:224], v[221:222], v[219:220]
	v_fma_f64 v[215:216], -v[215:216], v[223:224], v[221:222]
	v_div_fmas_f64 v[215:216], v[215:216], v[219:220], v[223:224]
	v_div_fixup_f64 v[219:220], v[215:216], v[213:214], 1.0
                                        ; implicit-def: $vgpr213_vgpr214
	v_mul_f64 v[217:218], v[217:218], v[219:220]
	v_xor_b32_e32 v220, 0x80000000, v220
.LBB111_320:
	s_andn2_saveexec_b32 s1, s1
	s_cbranch_execz .LBB111_322
; %bb.321:
	v_div_scale_f64 v[217:218], null, v[213:214], v[213:214], v[215:216]
	v_div_scale_f64 v[223:224], vcc_lo, v[215:216], v[213:214], v[215:216]
	v_rcp_f64_e32 v[219:220], v[217:218]
	v_fma_f64 v[221:222], -v[217:218], v[219:220], 1.0
	v_fma_f64 v[219:220], v[219:220], v[221:222], v[219:220]
	v_fma_f64 v[221:222], -v[217:218], v[219:220], 1.0
	v_fma_f64 v[219:220], v[219:220], v[221:222], v[219:220]
	v_mul_f64 v[221:222], v[223:224], v[219:220]
	v_fma_f64 v[217:218], -v[217:218], v[221:222], v[223:224]
	v_div_fmas_f64 v[217:218], v[217:218], v[219:220], v[221:222]
	v_div_fixup_f64 v[219:220], v[217:218], v[213:214], v[215:216]
	v_fma_f64 v[213:214], v[215:216], v[219:220], v[213:214]
	v_div_scale_f64 v[215:216], null, v[213:214], v[213:214], 1.0
	v_rcp_f64_e32 v[217:218], v[215:216]
	v_fma_f64 v[221:222], -v[215:216], v[217:218], 1.0
	v_fma_f64 v[217:218], v[217:218], v[221:222], v[217:218]
	v_fma_f64 v[221:222], -v[215:216], v[217:218], 1.0
	v_fma_f64 v[217:218], v[217:218], v[221:222], v[217:218]
	v_div_scale_f64 v[221:222], vcc_lo, 1.0, v[213:214], 1.0
	v_mul_f64 v[223:224], v[221:222], v[217:218]
	v_fma_f64 v[215:216], -v[215:216], v[223:224], v[221:222]
	v_div_fmas_f64 v[215:216], v[215:216], v[217:218], v[223:224]
	v_div_fixup_f64 v[217:218], v[215:216], v[213:214], 1.0
	v_mul_f64 v[219:220], v[219:220], -v[217:218]
.LBB111_322:
	s_or_b32 exec_lo, exec_lo, s1
	ds_write2_b64 v255, v[217:218], v[219:220] offset1:1
.LBB111_323:
	s_or_b32 exec_lo, exec_lo, s2
	s_waitcnt lgkmcnt(0)
	s_barrier
	buffer_gl0_inv
	ds_read2_b64 v[213:216], v255 offset1:1
	s_mov_b32 s1, exec_lo
	s_waitcnt lgkmcnt(0)
	buffer_store_dword v213, off, s[16:19], 0 offset:1080 ; 4-byte Folded Spill
	buffer_store_dword v214, off, s[16:19], 0 offset:1084 ; 4-byte Folded Spill
	;; [unrolled: 1-line block ×4, first 2 shown]
	v_cmpx_lt_u32_e32 35, v0
	s_cbranch_execz .LBB111_325
; %bb.324:
	s_clause 0x3
	buffer_load_dword v215, off, s[16:19], 0 offset:1080
	buffer_load_dword v216, off, s[16:19], 0 offset:1084
	;; [unrolled: 1-line block ×4, first 2 shown]
	s_waitcnt vmcnt(0)
	v_mul_f64 v[213:214], v[217:218], v[83:84]
	v_mul_f64 v[83:84], v[215:216], v[83:84]
	v_fma_f64 v[213:214], v[215:216], v[81:82], -v[213:214]
	v_fma_f64 v[83:84], v[217:218], v[81:82], v[83:84]
	ds_read2_b64 v[215:218], v253 offset0:72 offset1:73
	s_waitcnt lgkmcnt(0)
	v_mul_f64 v[81:82], v[217:218], v[83:84]
	v_fma_f64 v[81:82], v[215:216], v[213:214], -v[81:82]
	v_mul_f64 v[215:216], v[215:216], v[83:84]
	v_add_f64 v[77:78], v[77:78], -v[81:82]
	v_fma_f64 v[215:216], v[217:218], v[213:214], v[215:216]
	v_add_f64 v[79:80], v[79:80], -v[215:216]
	ds_read2_b64 v[215:218], v253 offset0:74 offset1:75
	s_waitcnt lgkmcnt(0)
	v_mul_f64 v[81:82], v[217:218], v[83:84]
	v_fma_f64 v[81:82], v[215:216], v[213:214], -v[81:82]
	v_mul_f64 v[215:216], v[215:216], v[83:84]
	v_add_f64 v[73:74], v[73:74], -v[81:82]
	v_fma_f64 v[215:216], v[217:218], v[213:214], v[215:216]
	v_add_f64 v[75:76], v[75:76], -v[215:216]
	ds_read2_b64 v[215:218], v253 offset0:76 offset1:77
	s_waitcnt lgkmcnt(0)
	v_mul_f64 v[81:82], v[217:218], v[83:84]
	v_fma_f64 v[81:82], v[215:216], v[213:214], -v[81:82]
	v_mul_f64 v[215:216], v[215:216], v[83:84]
	v_add_f64 v[69:70], v[69:70], -v[81:82]
	v_fma_f64 v[215:216], v[217:218], v[213:214], v[215:216]
	v_add_f64 v[71:72], v[71:72], -v[215:216]
	ds_read2_b64 v[215:218], v253 offset0:78 offset1:79
	s_waitcnt lgkmcnt(0)
	v_mul_f64 v[81:82], v[217:218], v[83:84]
	v_fma_f64 v[81:82], v[215:216], v[213:214], -v[81:82]
	v_mul_f64 v[215:216], v[215:216], v[83:84]
	v_add_f64 v[65:66], v[65:66], -v[81:82]
	v_fma_f64 v[215:216], v[217:218], v[213:214], v[215:216]
	v_add_f64 v[67:68], v[67:68], -v[215:216]
	ds_read2_b64 v[215:218], v253 offset0:80 offset1:81
	s_waitcnt lgkmcnt(0)
	v_mul_f64 v[81:82], v[217:218], v[83:84]
	v_fma_f64 v[81:82], v[215:216], v[213:214], -v[81:82]
	v_mul_f64 v[215:216], v[215:216], v[83:84]
	v_add_f64 v[61:62], v[61:62], -v[81:82]
	v_fma_f64 v[215:216], v[217:218], v[213:214], v[215:216]
	v_add_f64 v[63:64], v[63:64], -v[215:216]
	ds_read2_b64 v[215:218], v253 offset0:82 offset1:83
	s_waitcnt lgkmcnt(0)
	v_mul_f64 v[81:82], v[217:218], v[83:84]
	v_fma_f64 v[81:82], v[215:216], v[213:214], -v[81:82]
	v_mul_f64 v[215:216], v[215:216], v[83:84]
	v_add_f64 v[57:58], v[57:58], -v[81:82]
	v_fma_f64 v[215:216], v[217:218], v[213:214], v[215:216]
	v_add_f64 v[59:60], v[59:60], -v[215:216]
	ds_read2_b64 v[215:218], v253 offset0:84 offset1:85
	s_waitcnt lgkmcnt(0)
	v_mul_f64 v[81:82], v[217:218], v[83:84]
	v_fma_f64 v[81:82], v[215:216], v[213:214], -v[81:82]
	v_mul_f64 v[215:216], v[215:216], v[83:84]
	v_add_f64 v[53:54], v[53:54], -v[81:82]
	v_fma_f64 v[215:216], v[217:218], v[213:214], v[215:216]
	v_add_f64 v[55:56], v[55:56], -v[215:216]
	ds_read2_b64 v[215:218], v253 offset0:86 offset1:87
	s_waitcnt lgkmcnt(0)
	v_mul_f64 v[81:82], v[217:218], v[83:84]
	v_fma_f64 v[81:82], v[215:216], v[213:214], -v[81:82]
	v_mul_f64 v[215:216], v[215:216], v[83:84]
	v_add_f64 v[49:50], v[49:50], -v[81:82]
	v_fma_f64 v[215:216], v[217:218], v[213:214], v[215:216]
	v_add_f64 v[51:52], v[51:52], -v[215:216]
	ds_read2_b64 v[215:218], v253 offset0:88 offset1:89
	s_waitcnt lgkmcnt(0)
	v_mul_f64 v[81:82], v[217:218], v[83:84]
	v_fma_f64 v[81:82], v[215:216], v[213:214], -v[81:82]
	v_mul_f64 v[215:216], v[215:216], v[83:84]
	v_add_f64 v[45:46], v[45:46], -v[81:82]
	v_fma_f64 v[215:216], v[217:218], v[213:214], v[215:216]
	v_add_f64 v[47:48], v[47:48], -v[215:216]
	ds_read2_b64 v[215:218], v253 offset0:90 offset1:91
	s_waitcnt lgkmcnt(0)
	v_mul_f64 v[81:82], v[217:218], v[83:84]
	v_fma_f64 v[81:82], v[215:216], v[213:214], -v[81:82]
	v_mul_f64 v[215:216], v[215:216], v[83:84]
	v_add_f64 v[41:42], v[41:42], -v[81:82]
	v_fma_f64 v[215:216], v[217:218], v[213:214], v[215:216]
	v_add_f64 v[43:44], v[43:44], -v[215:216]
	ds_read2_b64 v[215:218], v253 offset0:92 offset1:93
	s_waitcnt lgkmcnt(0)
	v_mul_f64 v[81:82], v[217:218], v[83:84]
	v_fma_f64 v[81:82], v[215:216], v[213:214], -v[81:82]
	v_mul_f64 v[215:216], v[215:216], v[83:84]
	v_add_f64 v[37:38], v[37:38], -v[81:82]
	v_fma_f64 v[215:216], v[217:218], v[213:214], v[215:216]
	v_add_f64 v[39:40], v[39:40], -v[215:216]
	ds_read2_b64 v[215:218], v253 offset0:94 offset1:95
	s_waitcnt lgkmcnt(0)
	v_mul_f64 v[81:82], v[217:218], v[83:84]
	v_fma_f64 v[81:82], v[215:216], v[213:214], -v[81:82]
	v_mul_f64 v[215:216], v[215:216], v[83:84]
	v_add_f64 v[33:34], v[33:34], -v[81:82]
	v_fma_f64 v[215:216], v[217:218], v[213:214], v[215:216]
	v_add_f64 v[35:36], v[35:36], -v[215:216]
	ds_read2_b64 v[215:218], v253 offset0:96 offset1:97
	s_waitcnt lgkmcnt(0)
	v_mul_f64 v[81:82], v[217:218], v[83:84]
	v_fma_f64 v[81:82], v[215:216], v[213:214], -v[81:82]
	v_mul_f64 v[215:216], v[215:216], v[83:84]
	v_add_f64 v[29:30], v[29:30], -v[81:82]
	v_fma_f64 v[215:216], v[217:218], v[213:214], v[215:216]
	v_add_f64 v[31:32], v[31:32], -v[215:216]
	ds_read2_b64 v[215:218], v253 offset0:98 offset1:99
	s_waitcnt lgkmcnt(0)
	v_mul_f64 v[81:82], v[217:218], v[83:84]
	v_fma_f64 v[81:82], v[215:216], v[213:214], -v[81:82]
	v_mul_f64 v[215:216], v[215:216], v[83:84]
	v_add_f64 v[25:26], v[25:26], -v[81:82]
	v_fma_f64 v[215:216], v[217:218], v[213:214], v[215:216]
	v_add_f64 v[27:28], v[27:28], -v[215:216]
	ds_read2_b64 v[215:218], v253 offset0:100 offset1:101
	s_waitcnt lgkmcnt(0)
	v_mul_f64 v[81:82], v[217:218], v[83:84]
	v_fma_f64 v[81:82], v[215:216], v[213:214], -v[81:82]
	v_mul_f64 v[215:216], v[215:216], v[83:84]
	v_add_f64 v[21:22], v[21:22], -v[81:82]
	v_fma_f64 v[215:216], v[217:218], v[213:214], v[215:216]
	v_add_f64 v[23:24], v[23:24], -v[215:216]
	ds_read2_b64 v[215:218], v253 offset0:102 offset1:103
	s_waitcnt lgkmcnt(0)
	v_mul_f64 v[81:82], v[217:218], v[83:84]
	v_fma_f64 v[81:82], v[215:216], v[213:214], -v[81:82]
	v_mul_f64 v[215:216], v[215:216], v[83:84]
	v_add_f64 v[17:18], v[17:18], -v[81:82]
	v_fma_f64 v[215:216], v[217:218], v[213:214], v[215:216]
	v_add_f64 v[19:20], v[19:20], -v[215:216]
	ds_read2_b64 v[215:218], v253 offset0:104 offset1:105
	s_waitcnt lgkmcnt(0)
	v_mul_f64 v[81:82], v[217:218], v[83:84]
	v_fma_f64 v[81:82], v[215:216], v[213:214], -v[81:82]
	v_mul_f64 v[215:216], v[215:216], v[83:84]
	v_add_f64 v[13:14], v[13:14], -v[81:82]
	v_fma_f64 v[215:216], v[217:218], v[213:214], v[215:216]
	v_add_f64 v[15:16], v[15:16], -v[215:216]
	ds_read2_b64 v[215:218], v253 offset0:106 offset1:107
	s_waitcnt lgkmcnt(0)
	v_mul_f64 v[81:82], v[217:218], v[83:84]
	v_fma_f64 v[81:82], v[215:216], v[213:214], -v[81:82]
	v_mul_f64 v[215:216], v[215:216], v[83:84]
	v_add_f64 v[9:10], v[9:10], -v[81:82]
	v_fma_f64 v[215:216], v[217:218], v[213:214], v[215:216]
	v_add_f64 v[11:12], v[11:12], -v[215:216]
	ds_read2_b64 v[215:218], v253 offset0:108 offset1:109
	s_waitcnt lgkmcnt(0)
	v_mul_f64 v[81:82], v[217:218], v[83:84]
	v_fma_f64 v[81:82], v[215:216], v[213:214], -v[81:82]
	v_mul_f64 v[215:216], v[215:216], v[83:84]
	v_add_f64 v[5:6], v[5:6], -v[81:82]
	v_fma_f64 v[215:216], v[217:218], v[213:214], v[215:216]
	v_add_f64 v[7:8], v[7:8], -v[215:216]
	ds_read2_b64 v[215:218], v253 offset0:110 offset1:111
	s_waitcnt lgkmcnt(0)
	v_mul_f64 v[81:82], v[217:218], v[83:84]
	v_fma_f64 v[81:82], v[215:216], v[213:214], -v[81:82]
	v_mul_f64 v[215:216], v[215:216], v[83:84]
	v_add_f64 v[1:2], v[1:2], -v[81:82]
	v_fma_f64 v[215:216], v[217:218], v[213:214], v[215:216]
	v_mov_b32_e32 v81, v213
	v_mov_b32_e32 v82, v214
	v_add_f64 v[3:4], v[3:4], -v[215:216]
.LBB111_325:
	s_or_b32 exec_lo, exec_lo, s1
	s_mov_b32 s2, exec_lo
	s_waitcnt_vscnt null, 0x0
	s_barrier
	buffer_gl0_inv
	v_cmpx_eq_u32_e32 36, v0
	s_cbranch_execz .LBB111_332
; %bb.326:
	ds_write2_b64 v255, v[77:78], v[79:80] offset1:1
	ds_write2_b64 v253, v[73:74], v[75:76] offset0:74 offset1:75
	ds_write2_b64 v253, v[69:70], v[71:72] offset0:76 offset1:77
	;; [unrolled: 1-line block ×19, first 2 shown]
	ds_read2_b64 v[213:216], v255 offset1:1
	s_waitcnt lgkmcnt(0)
	v_cmp_neq_f64_e32 vcc_lo, 0, v[213:214]
	v_cmp_neq_f64_e64 s1, 0, v[215:216]
	s_or_b32 s1, vcc_lo, s1
	s_and_b32 exec_lo, exec_lo, s1
	s_cbranch_execz .LBB111_332
; %bb.327:
	v_cmp_ngt_f64_e64 s1, |v[213:214]|, |v[215:216]|
                                        ; implicit-def: $vgpr217_vgpr218
	s_and_saveexec_b32 s3, s1
	s_xor_b32 s1, exec_lo, s3
                                        ; implicit-def: $vgpr219_vgpr220
	s_cbranch_execz .LBB111_329
; %bb.328:
	v_div_scale_f64 v[217:218], null, v[215:216], v[215:216], v[213:214]
	v_div_scale_f64 v[223:224], vcc_lo, v[213:214], v[215:216], v[213:214]
	v_rcp_f64_e32 v[219:220], v[217:218]
	v_fma_f64 v[221:222], -v[217:218], v[219:220], 1.0
	v_fma_f64 v[219:220], v[219:220], v[221:222], v[219:220]
	v_fma_f64 v[221:222], -v[217:218], v[219:220], 1.0
	v_fma_f64 v[219:220], v[219:220], v[221:222], v[219:220]
	v_mul_f64 v[221:222], v[223:224], v[219:220]
	v_fma_f64 v[217:218], -v[217:218], v[221:222], v[223:224]
	v_div_fmas_f64 v[217:218], v[217:218], v[219:220], v[221:222]
	v_div_fixup_f64 v[217:218], v[217:218], v[215:216], v[213:214]
	v_fma_f64 v[213:214], v[213:214], v[217:218], v[215:216]
	v_div_scale_f64 v[215:216], null, v[213:214], v[213:214], 1.0
	v_rcp_f64_e32 v[219:220], v[215:216]
	v_fma_f64 v[221:222], -v[215:216], v[219:220], 1.0
	v_fma_f64 v[219:220], v[219:220], v[221:222], v[219:220]
	v_fma_f64 v[221:222], -v[215:216], v[219:220], 1.0
	v_fma_f64 v[219:220], v[219:220], v[221:222], v[219:220]
	v_div_scale_f64 v[221:222], vcc_lo, 1.0, v[213:214], 1.0
	v_mul_f64 v[223:224], v[221:222], v[219:220]
	v_fma_f64 v[215:216], -v[215:216], v[223:224], v[221:222]
	v_div_fmas_f64 v[215:216], v[215:216], v[219:220], v[223:224]
	v_div_fixup_f64 v[219:220], v[215:216], v[213:214], 1.0
                                        ; implicit-def: $vgpr213_vgpr214
	v_mul_f64 v[217:218], v[217:218], v[219:220]
	v_xor_b32_e32 v220, 0x80000000, v220
.LBB111_329:
	s_andn2_saveexec_b32 s1, s1
	s_cbranch_execz .LBB111_331
; %bb.330:
	v_div_scale_f64 v[217:218], null, v[213:214], v[213:214], v[215:216]
	v_div_scale_f64 v[223:224], vcc_lo, v[215:216], v[213:214], v[215:216]
	v_rcp_f64_e32 v[219:220], v[217:218]
	v_fma_f64 v[221:222], -v[217:218], v[219:220], 1.0
	v_fma_f64 v[219:220], v[219:220], v[221:222], v[219:220]
	v_fma_f64 v[221:222], -v[217:218], v[219:220], 1.0
	v_fma_f64 v[219:220], v[219:220], v[221:222], v[219:220]
	v_mul_f64 v[221:222], v[223:224], v[219:220]
	v_fma_f64 v[217:218], -v[217:218], v[221:222], v[223:224]
	v_div_fmas_f64 v[217:218], v[217:218], v[219:220], v[221:222]
	v_div_fixup_f64 v[219:220], v[217:218], v[213:214], v[215:216]
	v_fma_f64 v[213:214], v[215:216], v[219:220], v[213:214]
	v_div_scale_f64 v[215:216], null, v[213:214], v[213:214], 1.0
	v_rcp_f64_e32 v[217:218], v[215:216]
	v_fma_f64 v[221:222], -v[215:216], v[217:218], 1.0
	v_fma_f64 v[217:218], v[217:218], v[221:222], v[217:218]
	v_fma_f64 v[221:222], -v[215:216], v[217:218], 1.0
	v_fma_f64 v[217:218], v[217:218], v[221:222], v[217:218]
	v_div_scale_f64 v[221:222], vcc_lo, 1.0, v[213:214], 1.0
	v_mul_f64 v[223:224], v[221:222], v[217:218]
	v_fma_f64 v[215:216], -v[215:216], v[223:224], v[221:222]
	v_div_fmas_f64 v[215:216], v[215:216], v[217:218], v[223:224]
	v_div_fixup_f64 v[217:218], v[215:216], v[213:214], 1.0
	v_mul_f64 v[219:220], v[219:220], -v[217:218]
.LBB111_331:
	s_or_b32 exec_lo, exec_lo, s1
	ds_write2_b64 v255, v[217:218], v[219:220] offset1:1
.LBB111_332:
	s_or_b32 exec_lo, exec_lo, s2
	s_waitcnt lgkmcnt(0)
	s_barrier
	buffer_gl0_inv
	ds_read2_b64 v[213:216], v255 offset1:1
	s_mov_b32 s1, exec_lo
	s_waitcnt lgkmcnt(0)
	buffer_store_dword v213, off, s[16:19], 0 offset:1096 ; 4-byte Folded Spill
	buffer_store_dword v214, off, s[16:19], 0 offset:1100 ; 4-byte Folded Spill
	;; [unrolled: 1-line block ×4, first 2 shown]
	v_cmpx_lt_u32_e32 36, v0
	s_cbranch_execz .LBB111_334
; %bb.333:
	s_clause 0x3
	buffer_load_dword v215, off, s[16:19], 0 offset:1096
	buffer_load_dword v216, off, s[16:19], 0 offset:1100
	;; [unrolled: 1-line block ×4, first 2 shown]
	s_waitcnt vmcnt(0)
	v_mul_f64 v[213:214], v[217:218], v[79:80]
	v_mul_f64 v[79:80], v[215:216], v[79:80]
	v_fma_f64 v[213:214], v[215:216], v[77:78], -v[213:214]
	v_fma_f64 v[79:80], v[217:218], v[77:78], v[79:80]
	ds_read2_b64 v[215:218], v253 offset0:74 offset1:75
	s_waitcnt lgkmcnt(0)
	v_mul_f64 v[77:78], v[217:218], v[79:80]
	v_fma_f64 v[77:78], v[215:216], v[213:214], -v[77:78]
	v_mul_f64 v[215:216], v[215:216], v[79:80]
	v_add_f64 v[73:74], v[73:74], -v[77:78]
	v_fma_f64 v[215:216], v[217:218], v[213:214], v[215:216]
	v_add_f64 v[75:76], v[75:76], -v[215:216]
	ds_read2_b64 v[215:218], v253 offset0:76 offset1:77
	s_waitcnt lgkmcnt(0)
	v_mul_f64 v[77:78], v[217:218], v[79:80]
	v_fma_f64 v[77:78], v[215:216], v[213:214], -v[77:78]
	v_mul_f64 v[215:216], v[215:216], v[79:80]
	v_add_f64 v[69:70], v[69:70], -v[77:78]
	v_fma_f64 v[215:216], v[217:218], v[213:214], v[215:216]
	v_add_f64 v[71:72], v[71:72], -v[215:216]
	;; [unrolled: 8-line block ×18, first 2 shown]
	ds_read2_b64 v[215:218], v253 offset0:110 offset1:111
	s_waitcnt lgkmcnt(0)
	v_mul_f64 v[77:78], v[217:218], v[79:80]
	v_fma_f64 v[77:78], v[215:216], v[213:214], -v[77:78]
	v_mul_f64 v[215:216], v[215:216], v[79:80]
	v_add_f64 v[1:2], v[1:2], -v[77:78]
	v_fma_f64 v[215:216], v[217:218], v[213:214], v[215:216]
	v_mov_b32_e32 v77, v213
	v_mov_b32_e32 v78, v214
	v_add_f64 v[3:4], v[3:4], -v[215:216]
.LBB111_334:
	s_or_b32 exec_lo, exec_lo, s1
	s_mov_b32 s2, exec_lo
	s_waitcnt_vscnt null, 0x0
	s_barrier
	buffer_gl0_inv
	v_cmpx_eq_u32_e32 37, v0
	s_cbranch_execz .LBB111_341
; %bb.335:
	ds_write2_b64 v255, v[73:74], v[75:76] offset1:1
	ds_write2_b64 v253, v[69:70], v[71:72] offset0:76 offset1:77
	ds_write2_b64 v253, v[65:66], v[67:68] offset0:78 offset1:79
	;; [unrolled: 1-line block ×18, first 2 shown]
	ds_read2_b64 v[213:216], v255 offset1:1
	s_waitcnt lgkmcnt(0)
	v_cmp_neq_f64_e32 vcc_lo, 0, v[213:214]
	v_cmp_neq_f64_e64 s1, 0, v[215:216]
	s_or_b32 s1, vcc_lo, s1
	s_and_b32 exec_lo, exec_lo, s1
	s_cbranch_execz .LBB111_341
; %bb.336:
	v_cmp_ngt_f64_e64 s1, |v[213:214]|, |v[215:216]|
                                        ; implicit-def: $vgpr217_vgpr218
	s_and_saveexec_b32 s3, s1
	s_xor_b32 s1, exec_lo, s3
                                        ; implicit-def: $vgpr219_vgpr220
	s_cbranch_execz .LBB111_338
; %bb.337:
	v_div_scale_f64 v[217:218], null, v[215:216], v[215:216], v[213:214]
	v_div_scale_f64 v[223:224], vcc_lo, v[213:214], v[215:216], v[213:214]
	v_rcp_f64_e32 v[219:220], v[217:218]
	v_fma_f64 v[221:222], -v[217:218], v[219:220], 1.0
	v_fma_f64 v[219:220], v[219:220], v[221:222], v[219:220]
	v_fma_f64 v[221:222], -v[217:218], v[219:220], 1.0
	v_fma_f64 v[219:220], v[219:220], v[221:222], v[219:220]
	v_mul_f64 v[221:222], v[223:224], v[219:220]
	v_fma_f64 v[217:218], -v[217:218], v[221:222], v[223:224]
	v_div_fmas_f64 v[217:218], v[217:218], v[219:220], v[221:222]
	v_div_fixup_f64 v[217:218], v[217:218], v[215:216], v[213:214]
	v_fma_f64 v[213:214], v[213:214], v[217:218], v[215:216]
	v_div_scale_f64 v[215:216], null, v[213:214], v[213:214], 1.0
	v_rcp_f64_e32 v[219:220], v[215:216]
	v_fma_f64 v[221:222], -v[215:216], v[219:220], 1.0
	v_fma_f64 v[219:220], v[219:220], v[221:222], v[219:220]
	v_fma_f64 v[221:222], -v[215:216], v[219:220], 1.0
	v_fma_f64 v[219:220], v[219:220], v[221:222], v[219:220]
	v_div_scale_f64 v[221:222], vcc_lo, 1.0, v[213:214], 1.0
	v_mul_f64 v[223:224], v[221:222], v[219:220]
	v_fma_f64 v[215:216], -v[215:216], v[223:224], v[221:222]
	v_div_fmas_f64 v[215:216], v[215:216], v[219:220], v[223:224]
	v_div_fixup_f64 v[219:220], v[215:216], v[213:214], 1.0
                                        ; implicit-def: $vgpr213_vgpr214
	v_mul_f64 v[217:218], v[217:218], v[219:220]
	v_xor_b32_e32 v220, 0x80000000, v220
.LBB111_338:
	s_andn2_saveexec_b32 s1, s1
	s_cbranch_execz .LBB111_340
; %bb.339:
	v_div_scale_f64 v[217:218], null, v[213:214], v[213:214], v[215:216]
	v_div_scale_f64 v[223:224], vcc_lo, v[215:216], v[213:214], v[215:216]
	v_rcp_f64_e32 v[219:220], v[217:218]
	v_fma_f64 v[221:222], -v[217:218], v[219:220], 1.0
	v_fma_f64 v[219:220], v[219:220], v[221:222], v[219:220]
	v_fma_f64 v[221:222], -v[217:218], v[219:220], 1.0
	v_fma_f64 v[219:220], v[219:220], v[221:222], v[219:220]
	v_mul_f64 v[221:222], v[223:224], v[219:220]
	v_fma_f64 v[217:218], -v[217:218], v[221:222], v[223:224]
	v_div_fmas_f64 v[217:218], v[217:218], v[219:220], v[221:222]
	v_div_fixup_f64 v[219:220], v[217:218], v[213:214], v[215:216]
	v_fma_f64 v[213:214], v[215:216], v[219:220], v[213:214]
	v_div_scale_f64 v[215:216], null, v[213:214], v[213:214], 1.0
	v_rcp_f64_e32 v[217:218], v[215:216]
	v_fma_f64 v[221:222], -v[215:216], v[217:218], 1.0
	v_fma_f64 v[217:218], v[217:218], v[221:222], v[217:218]
	v_fma_f64 v[221:222], -v[215:216], v[217:218], 1.0
	v_fma_f64 v[217:218], v[217:218], v[221:222], v[217:218]
	v_div_scale_f64 v[221:222], vcc_lo, 1.0, v[213:214], 1.0
	v_mul_f64 v[223:224], v[221:222], v[217:218]
	v_fma_f64 v[215:216], -v[215:216], v[223:224], v[221:222]
	v_div_fmas_f64 v[215:216], v[215:216], v[217:218], v[223:224]
	v_div_fixup_f64 v[217:218], v[215:216], v[213:214], 1.0
	v_mul_f64 v[219:220], v[219:220], -v[217:218]
.LBB111_340:
	s_or_b32 exec_lo, exec_lo, s1
	ds_write2_b64 v255, v[217:218], v[219:220] offset1:1
.LBB111_341:
	s_or_b32 exec_lo, exec_lo, s2
	s_waitcnt lgkmcnt(0)
	s_barrier
	buffer_gl0_inv
	ds_read2_b64 v[213:216], v255 offset1:1
	s_mov_b32 s1, exec_lo
	s_waitcnt lgkmcnt(0)
	buffer_store_dword v213, off, s[16:19], 0 offset:1112 ; 4-byte Folded Spill
	buffer_store_dword v214, off, s[16:19], 0 offset:1116 ; 4-byte Folded Spill
	;; [unrolled: 1-line block ×4, first 2 shown]
	v_cmpx_lt_u32_e32 37, v0
	s_cbranch_execz .LBB111_343
; %bb.342:
	s_clause 0x3
	buffer_load_dword v215, off, s[16:19], 0 offset:1112
	buffer_load_dword v216, off, s[16:19], 0 offset:1116
	;; [unrolled: 1-line block ×4, first 2 shown]
	s_waitcnt vmcnt(0)
	v_mul_f64 v[213:214], v[217:218], v[75:76]
	v_mul_f64 v[75:76], v[215:216], v[75:76]
	v_fma_f64 v[213:214], v[215:216], v[73:74], -v[213:214]
	v_fma_f64 v[75:76], v[217:218], v[73:74], v[75:76]
	ds_read2_b64 v[215:218], v253 offset0:76 offset1:77
	s_waitcnt lgkmcnt(0)
	v_mul_f64 v[73:74], v[217:218], v[75:76]
	v_fma_f64 v[73:74], v[215:216], v[213:214], -v[73:74]
	v_mul_f64 v[215:216], v[215:216], v[75:76]
	v_add_f64 v[69:70], v[69:70], -v[73:74]
	v_fma_f64 v[215:216], v[217:218], v[213:214], v[215:216]
	v_add_f64 v[71:72], v[71:72], -v[215:216]
	ds_read2_b64 v[215:218], v253 offset0:78 offset1:79
	s_waitcnt lgkmcnt(0)
	v_mul_f64 v[73:74], v[217:218], v[75:76]
	v_fma_f64 v[73:74], v[215:216], v[213:214], -v[73:74]
	v_mul_f64 v[215:216], v[215:216], v[75:76]
	v_add_f64 v[65:66], v[65:66], -v[73:74]
	v_fma_f64 v[215:216], v[217:218], v[213:214], v[215:216]
	v_add_f64 v[67:68], v[67:68], -v[215:216]
	;; [unrolled: 8-line block ×17, first 2 shown]
	ds_read2_b64 v[215:218], v253 offset0:110 offset1:111
	s_waitcnt lgkmcnt(0)
	v_mul_f64 v[73:74], v[217:218], v[75:76]
	v_fma_f64 v[73:74], v[215:216], v[213:214], -v[73:74]
	v_mul_f64 v[215:216], v[215:216], v[75:76]
	v_add_f64 v[1:2], v[1:2], -v[73:74]
	v_fma_f64 v[215:216], v[217:218], v[213:214], v[215:216]
	v_mov_b32_e32 v73, v213
	v_mov_b32_e32 v74, v214
	v_add_f64 v[3:4], v[3:4], -v[215:216]
.LBB111_343:
	s_or_b32 exec_lo, exec_lo, s1
	s_mov_b32 s2, exec_lo
	s_waitcnt_vscnt null, 0x0
	s_barrier
	buffer_gl0_inv
	v_cmpx_eq_u32_e32 38, v0
	s_cbranch_execz .LBB111_350
; %bb.344:
	ds_write2_b64 v255, v[69:70], v[71:72] offset1:1
	ds_write2_b64 v253, v[65:66], v[67:68] offset0:78 offset1:79
	ds_write2_b64 v253, v[61:62], v[63:64] offset0:80 offset1:81
	;; [unrolled: 1-line block ×17, first 2 shown]
	ds_read2_b64 v[213:216], v255 offset1:1
	s_waitcnt lgkmcnt(0)
	v_cmp_neq_f64_e32 vcc_lo, 0, v[213:214]
	v_cmp_neq_f64_e64 s1, 0, v[215:216]
	s_or_b32 s1, vcc_lo, s1
	s_and_b32 exec_lo, exec_lo, s1
	s_cbranch_execz .LBB111_350
; %bb.345:
	v_cmp_ngt_f64_e64 s1, |v[213:214]|, |v[215:216]|
                                        ; implicit-def: $vgpr217_vgpr218
	s_and_saveexec_b32 s3, s1
	s_xor_b32 s1, exec_lo, s3
                                        ; implicit-def: $vgpr219_vgpr220
	s_cbranch_execz .LBB111_347
; %bb.346:
	v_div_scale_f64 v[217:218], null, v[215:216], v[215:216], v[213:214]
	v_div_scale_f64 v[223:224], vcc_lo, v[213:214], v[215:216], v[213:214]
	v_rcp_f64_e32 v[219:220], v[217:218]
	v_fma_f64 v[221:222], -v[217:218], v[219:220], 1.0
	v_fma_f64 v[219:220], v[219:220], v[221:222], v[219:220]
	v_fma_f64 v[221:222], -v[217:218], v[219:220], 1.0
	v_fma_f64 v[219:220], v[219:220], v[221:222], v[219:220]
	v_mul_f64 v[221:222], v[223:224], v[219:220]
	v_fma_f64 v[217:218], -v[217:218], v[221:222], v[223:224]
	v_div_fmas_f64 v[217:218], v[217:218], v[219:220], v[221:222]
	v_div_fixup_f64 v[217:218], v[217:218], v[215:216], v[213:214]
	v_fma_f64 v[213:214], v[213:214], v[217:218], v[215:216]
	v_div_scale_f64 v[215:216], null, v[213:214], v[213:214], 1.0
	v_rcp_f64_e32 v[219:220], v[215:216]
	v_fma_f64 v[221:222], -v[215:216], v[219:220], 1.0
	v_fma_f64 v[219:220], v[219:220], v[221:222], v[219:220]
	v_fma_f64 v[221:222], -v[215:216], v[219:220], 1.0
	v_fma_f64 v[219:220], v[219:220], v[221:222], v[219:220]
	v_div_scale_f64 v[221:222], vcc_lo, 1.0, v[213:214], 1.0
	v_mul_f64 v[223:224], v[221:222], v[219:220]
	v_fma_f64 v[215:216], -v[215:216], v[223:224], v[221:222]
	v_div_fmas_f64 v[215:216], v[215:216], v[219:220], v[223:224]
	v_div_fixup_f64 v[219:220], v[215:216], v[213:214], 1.0
                                        ; implicit-def: $vgpr213_vgpr214
	v_mul_f64 v[217:218], v[217:218], v[219:220]
	v_xor_b32_e32 v220, 0x80000000, v220
.LBB111_347:
	s_andn2_saveexec_b32 s1, s1
	s_cbranch_execz .LBB111_349
; %bb.348:
	v_div_scale_f64 v[217:218], null, v[213:214], v[213:214], v[215:216]
	v_div_scale_f64 v[223:224], vcc_lo, v[215:216], v[213:214], v[215:216]
	v_rcp_f64_e32 v[219:220], v[217:218]
	v_fma_f64 v[221:222], -v[217:218], v[219:220], 1.0
	v_fma_f64 v[219:220], v[219:220], v[221:222], v[219:220]
	v_fma_f64 v[221:222], -v[217:218], v[219:220], 1.0
	v_fma_f64 v[219:220], v[219:220], v[221:222], v[219:220]
	v_mul_f64 v[221:222], v[223:224], v[219:220]
	v_fma_f64 v[217:218], -v[217:218], v[221:222], v[223:224]
	v_div_fmas_f64 v[217:218], v[217:218], v[219:220], v[221:222]
	v_div_fixup_f64 v[219:220], v[217:218], v[213:214], v[215:216]
	v_fma_f64 v[213:214], v[215:216], v[219:220], v[213:214]
	v_div_scale_f64 v[215:216], null, v[213:214], v[213:214], 1.0
	v_rcp_f64_e32 v[217:218], v[215:216]
	v_fma_f64 v[221:222], -v[215:216], v[217:218], 1.0
	v_fma_f64 v[217:218], v[217:218], v[221:222], v[217:218]
	v_fma_f64 v[221:222], -v[215:216], v[217:218], 1.0
	v_fma_f64 v[217:218], v[217:218], v[221:222], v[217:218]
	v_div_scale_f64 v[221:222], vcc_lo, 1.0, v[213:214], 1.0
	v_mul_f64 v[223:224], v[221:222], v[217:218]
	v_fma_f64 v[215:216], -v[215:216], v[223:224], v[221:222]
	v_div_fmas_f64 v[215:216], v[215:216], v[217:218], v[223:224]
	v_div_fixup_f64 v[217:218], v[215:216], v[213:214], 1.0
	v_mul_f64 v[219:220], v[219:220], -v[217:218]
.LBB111_349:
	s_or_b32 exec_lo, exec_lo, s1
	ds_write2_b64 v255, v[217:218], v[219:220] offset1:1
.LBB111_350:
	s_or_b32 exec_lo, exec_lo, s2
	s_waitcnt lgkmcnt(0)
	s_barrier
	buffer_gl0_inv
	ds_read2_b64 v[213:216], v255 offset1:1
	s_mov_b32 s1, exec_lo
	s_waitcnt lgkmcnt(0)
	buffer_store_dword v213, off, s[16:19], 0 offset:1128 ; 4-byte Folded Spill
	buffer_store_dword v214, off, s[16:19], 0 offset:1132 ; 4-byte Folded Spill
	;; [unrolled: 1-line block ×4, first 2 shown]
	v_cmpx_lt_u32_e32 38, v0
	s_cbranch_execz .LBB111_352
; %bb.351:
	s_clause 0x3
	buffer_load_dword v215, off, s[16:19], 0 offset:1128
	buffer_load_dword v216, off, s[16:19], 0 offset:1132
	;; [unrolled: 1-line block ×4, first 2 shown]
	s_waitcnt vmcnt(0)
	v_mul_f64 v[213:214], v[217:218], v[71:72]
	v_mul_f64 v[71:72], v[215:216], v[71:72]
	v_fma_f64 v[213:214], v[215:216], v[69:70], -v[213:214]
	v_fma_f64 v[71:72], v[217:218], v[69:70], v[71:72]
	ds_read2_b64 v[215:218], v253 offset0:78 offset1:79
	s_waitcnt lgkmcnt(0)
	v_mul_f64 v[69:70], v[217:218], v[71:72]
	v_fma_f64 v[69:70], v[215:216], v[213:214], -v[69:70]
	v_mul_f64 v[215:216], v[215:216], v[71:72]
	v_add_f64 v[65:66], v[65:66], -v[69:70]
	v_fma_f64 v[215:216], v[217:218], v[213:214], v[215:216]
	v_add_f64 v[67:68], v[67:68], -v[215:216]
	ds_read2_b64 v[215:218], v253 offset0:80 offset1:81
	s_waitcnt lgkmcnt(0)
	v_mul_f64 v[69:70], v[217:218], v[71:72]
	v_fma_f64 v[69:70], v[215:216], v[213:214], -v[69:70]
	v_mul_f64 v[215:216], v[215:216], v[71:72]
	v_add_f64 v[61:62], v[61:62], -v[69:70]
	v_fma_f64 v[215:216], v[217:218], v[213:214], v[215:216]
	v_add_f64 v[63:64], v[63:64], -v[215:216]
	;; [unrolled: 8-line block ×16, first 2 shown]
	ds_read2_b64 v[215:218], v253 offset0:110 offset1:111
	s_waitcnt lgkmcnt(0)
	v_mul_f64 v[69:70], v[217:218], v[71:72]
	v_fma_f64 v[69:70], v[215:216], v[213:214], -v[69:70]
	v_mul_f64 v[215:216], v[215:216], v[71:72]
	v_add_f64 v[1:2], v[1:2], -v[69:70]
	v_fma_f64 v[215:216], v[217:218], v[213:214], v[215:216]
	v_mov_b32_e32 v69, v213
	v_mov_b32_e32 v70, v214
	v_add_f64 v[3:4], v[3:4], -v[215:216]
.LBB111_352:
	s_or_b32 exec_lo, exec_lo, s1
	s_mov_b32 s2, exec_lo
	s_waitcnt_vscnt null, 0x0
	s_barrier
	buffer_gl0_inv
	v_cmpx_eq_u32_e32 39, v0
	s_cbranch_execz .LBB111_359
; %bb.353:
	ds_write2_b64 v255, v[65:66], v[67:68] offset1:1
	ds_write2_b64 v253, v[61:62], v[63:64] offset0:80 offset1:81
	ds_write2_b64 v253, v[57:58], v[59:60] offset0:82 offset1:83
	;; [unrolled: 1-line block ×16, first 2 shown]
	ds_read2_b64 v[213:216], v255 offset1:1
	s_waitcnt lgkmcnt(0)
	v_cmp_neq_f64_e32 vcc_lo, 0, v[213:214]
	v_cmp_neq_f64_e64 s1, 0, v[215:216]
	s_or_b32 s1, vcc_lo, s1
	s_and_b32 exec_lo, exec_lo, s1
	s_cbranch_execz .LBB111_359
; %bb.354:
	v_cmp_ngt_f64_e64 s1, |v[213:214]|, |v[215:216]|
                                        ; implicit-def: $vgpr217_vgpr218
	s_and_saveexec_b32 s3, s1
	s_xor_b32 s1, exec_lo, s3
                                        ; implicit-def: $vgpr219_vgpr220
	s_cbranch_execz .LBB111_356
; %bb.355:
	v_div_scale_f64 v[217:218], null, v[215:216], v[215:216], v[213:214]
	v_div_scale_f64 v[223:224], vcc_lo, v[213:214], v[215:216], v[213:214]
	v_rcp_f64_e32 v[219:220], v[217:218]
	v_fma_f64 v[221:222], -v[217:218], v[219:220], 1.0
	v_fma_f64 v[219:220], v[219:220], v[221:222], v[219:220]
	v_fma_f64 v[221:222], -v[217:218], v[219:220], 1.0
	v_fma_f64 v[219:220], v[219:220], v[221:222], v[219:220]
	v_mul_f64 v[221:222], v[223:224], v[219:220]
	v_fma_f64 v[217:218], -v[217:218], v[221:222], v[223:224]
	v_div_fmas_f64 v[217:218], v[217:218], v[219:220], v[221:222]
	v_div_fixup_f64 v[217:218], v[217:218], v[215:216], v[213:214]
	v_fma_f64 v[213:214], v[213:214], v[217:218], v[215:216]
	v_div_scale_f64 v[215:216], null, v[213:214], v[213:214], 1.0
	v_rcp_f64_e32 v[219:220], v[215:216]
	v_fma_f64 v[221:222], -v[215:216], v[219:220], 1.0
	v_fma_f64 v[219:220], v[219:220], v[221:222], v[219:220]
	v_fma_f64 v[221:222], -v[215:216], v[219:220], 1.0
	v_fma_f64 v[219:220], v[219:220], v[221:222], v[219:220]
	v_div_scale_f64 v[221:222], vcc_lo, 1.0, v[213:214], 1.0
	v_mul_f64 v[223:224], v[221:222], v[219:220]
	v_fma_f64 v[215:216], -v[215:216], v[223:224], v[221:222]
	v_div_fmas_f64 v[215:216], v[215:216], v[219:220], v[223:224]
	v_div_fixup_f64 v[219:220], v[215:216], v[213:214], 1.0
                                        ; implicit-def: $vgpr213_vgpr214
	v_mul_f64 v[217:218], v[217:218], v[219:220]
	v_xor_b32_e32 v220, 0x80000000, v220
.LBB111_356:
	s_andn2_saveexec_b32 s1, s1
	s_cbranch_execz .LBB111_358
; %bb.357:
	v_div_scale_f64 v[217:218], null, v[213:214], v[213:214], v[215:216]
	v_div_scale_f64 v[223:224], vcc_lo, v[215:216], v[213:214], v[215:216]
	v_rcp_f64_e32 v[219:220], v[217:218]
	v_fma_f64 v[221:222], -v[217:218], v[219:220], 1.0
	v_fma_f64 v[219:220], v[219:220], v[221:222], v[219:220]
	v_fma_f64 v[221:222], -v[217:218], v[219:220], 1.0
	v_fma_f64 v[219:220], v[219:220], v[221:222], v[219:220]
	v_mul_f64 v[221:222], v[223:224], v[219:220]
	v_fma_f64 v[217:218], -v[217:218], v[221:222], v[223:224]
	v_div_fmas_f64 v[217:218], v[217:218], v[219:220], v[221:222]
	v_div_fixup_f64 v[219:220], v[217:218], v[213:214], v[215:216]
	v_fma_f64 v[213:214], v[215:216], v[219:220], v[213:214]
	v_div_scale_f64 v[215:216], null, v[213:214], v[213:214], 1.0
	v_rcp_f64_e32 v[217:218], v[215:216]
	v_fma_f64 v[221:222], -v[215:216], v[217:218], 1.0
	v_fma_f64 v[217:218], v[217:218], v[221:222], v[217:218]
	v_fma_f64 v[221:222], -v[215:216], v[217:218], 1.0
	v_fma_f64 v[217:218], v[217:218], v[221:222], v[217:218]
	v_div_scale_f64 v[221:222], vcc_lo, 1.0, v[213:214], 1.0
	v_mul_f64 v[223:224], v[221:222], v[217:218]
	v_fma_f64 v[215:216], -v[215:216], v[223:224], v[221:222]
	v_div_fmas_f64 v[215:216], v[215:216], v[217:218], v[223:224]
	v_div_fixup_f64 v[217:218], v[215:216], v[213:214], 1.0
	v_mul_f64 v[219:220], v[219:220], -v[217:218]
.LBB111_358:
	s_or_b32 exec_lo, exec_lo, s1
	ds_write2_b64 v255, v[217:218], v[219:220] offset1:1
.LBB111_359:
	s_or_b32 exec_lo, exec_lo, s2
	s_waitcnt lgkmcnt(0)
	s_barrier
	buffer_gl0_inv
	ds_read2_b64 v[213:216], v255 offset1:1
	s_mov_b32 s1, exec_lo
	s_waitcnt lgkmcnt(0)
	buffer_store_dword v213, off, s[16:19], 0 offset:1144 ; 4-byte Folded Spill
	buffer_store_dword v214, off, s[16:19], 0 offset:1148 ; 4-byte Folded Spill
	;; [unrolled: 1-line block ×4, first 2 shown]
	v_cmpx_lt_u32_e32 39, v0
	s_cbranch_execz .LBB111_361
; %bb.360:
	s_clause 0x3
	buffer_load_dword v215, off, s[16:19], 0 offset:1144
	buffer_load_dword v216, off, s[16:19], 0 offset:1148
	;; [unrolled: 1-line block ×4, first 2 shown]
	s_waitcnt vmcnt(2)
	v_mul_f64 v[213:214], v[215:216], v[67:68]
	s_waitcnt vmcnt(0)
	v_mul_f64 v[67:68], v[217:218], v[67:68]
	v_fma_f64 v[213:214], v[217:218], v[65:66], v[213:214]
	v_fma_f64 v[65:66], v[215:216], v[65:66], -v[67:68]
	ds_read2_b64 v[215:218], v253 offset0:80 offset1:81
	s_waitcnt lgkmcnt(0)
	v_mul_f64 v[67:68], v[217:218], v[213:214]
	v_fma_f64 v[67:68], v[215:216], v[65:66], -v[67:68]
	v_mul_f64 v[215:216], v[215:216], v[213:214]
	v_add_f64 v[61:62], v[61:62], -v[67:68]
	v_fma_f64 v[215:216], v[217:218], v[65:66], v[215:216]
	v_add_f64 v[63:64], v[63:64], -v[215:216]
	ds_read2_b64 v[215:218], v253 offset0:82 offset1:83
	s_waitcnt lgkmcnt(0)
	v_mul_f64 v[67:68], v[217:218], v[213:214]
	v_fma_f64 v[67:68], v[215:216], v[65:66], -v[67:68]
	v_mul_f64 v[215:216], v[215:216], v[213:214]
	v_add_f64 v[57:58], v[57:58], -v[67:68]
	v_fma_f64 v[215:216], v[217:218], v[65:66], v[215:216]
	v_add_f64 v[59:60], v[59:60], -v[215:216]
	;; [unrolled: 8-line block ×15, first 2 shown]
	ds_read2_b64 v[215:218], v253 offset0:110 offset1:111
	s_waitcnt lgkmcnt(0)
	v_mul_f64 v[67:68], v[217:218], v[213:214]
	v_fma_f64 v[67:68], v[215:216], v[65:66], -v[67:68]
	v_mul_f64 v[215:216], v[215:216], v[213:214]
	v_add_f64 v[1:2], v[1:2], -v[67:68]
	v_fma_f64 v[215:216], v[217:218], v[65:66], v[215:216]
	v_mov_b32_e32 v67, v213
	v_mov_b32_e32 v68, v214
	v_add_f64 v[3:4], v[3:4], -v[215:216]
.LBB111_361:
	s_or_b32 exec_lo, exec_lo, s1
	s_mov_b32 s2, exec_lo
	s_waitcnt_vscnt null, 0x0
	s_barrier
	buffer_gl0_inv
	v_cmpx_eq_u32_e32 40, v0
	s_cbranch_execz .LBB111_368
; %bb.362:
	ds_write2_b64 v255, v[61:62], v[63:64] offset1:1
	ds_write2_b64 v253, v[57:58], v[59:60] offset0:82 offset1:83
	ds_write2_b64 v253, v[53:54], v[55:56] offset0:84 offset1:85
	;; [unrolled: 1-line block ×15, first 2 shown]
	ds_read2_b64 v[213:216], v255 offset1:1
	s_waitcnt lgkmcnt(0)
	v_cmp_neq_f64_e32 vcc_lo, 0, v[213:214]
	v_cmp_neq_f64_e64 s1, 0, v[215:216]
	s_or_b32 s1, vcc_lo, s1
	s_and_b32 exec_lo, exec_lo, s1
	s_cbranch_execz .LBB111_368
; %bb.363:
	v_cmp_ngt_f64_e64 s1, |v[213:214]|, |v[215:216]|
                                        ; implicit-def: $vgpr217_vgpr218
	s_and_saveexec_b32 s3, s1
	s_xor_b32 s1, exec_lo, s3
                                        ; implicit-def: $vgpr219_vgpr220
	s_cbranch_execz .LBB111_365
; %bb.364:
	v_div_scale_f64 v[217:218], null, v[215:216], v[215:216], v[213:214]
	v_div_scale_f64 v[223:224], vcc_lo, v[213:214], v[215:216], v[213:214]
	v_rcp_f64_e32 v[219:220], v[217:218]
	v_fma_f64 v[221:222], -v[217:218], v[219:220], 1.0
	v_fma_f64 v[219:220], v[219:220], v[221:222], v[219:220]
	v_fma_f64 v[221:222], -v[217:218], v[219:220], 1.0
	v_fma_f64 v[219:220], v[219:220], v[221:222], v[219:220]
	v_mul_f64 v[221:222], v[223:224], v[219:220]
	v_fma_f64 v[217:218], -v[217:218], v[221:222], v[223:224]
	v_div_fmas_f64 v[217:218], v[217:218], v[219:220], v[221:222]
	v_div_fixup_f64 v[217:218], v[217:218], v[215:216], v[213:214]
	v_fma_f64 v[213:214], v[213:214], v[217:218], v[215:216]
	v_div_scale_f64 v[215:216], null, v[213:214], v[213:214], 1.0
	v_rcp_f64_e32 v[219:220], v[215:216]
	v_fma_f64 v[221:222], -v[215:216], v[219:220], 1.0
	v_fma_f64 v[219:220], v[219:220], v[221:222], v[219:220]
	v_fma_f64 v[221:222], -v[215:216], v[219:220], 1.0
	v_fma_f64 v[219:220], v[219:220], v[221:222], v[219:220]
	v_div_scale_f64 v[221:222], vcc_lo, 1.0, v[213:214], 1.0
	v_mul_f64 v[223:224], v[221:222], v[219:220]
	v_fma_f64 v[215:216], -v[215:216], v[223:224], v[221:222]
	v_div_fmas_f64 v[215:216], v[215:216], v[219:220], v[223:224]
	v_div_fixup_f64 v[219:220], v[215:216], v[213:214], 1.0
                                        ; implicit-def: $vgpr213_vgpr214
	v_mul_f64 v[217:218], v[217:218], v[219:220]
	v_xor_b32_e32 v220, 0x80000000, v220
.LBB111_365:
	s_andn2_saveexec_b32 s1, s1
	s_cbranch_execz .LBB111_367
; %bb.366:
	v_div_scale_f64 v[217:218], null, v[213:214], v[213:214], v[215:216]
	v_div_scale_f64 v[223:224], vcc_lo, v[215:216], v[213:214], v[215:216]
	v_rcp_f64_e32 v[219:220], v[217:218]
	v_fma_f64 v[221:222], -v[217:218], v[219:220], 1.0
	v_fma_f64 v[219:220], v[219:220], v[221:222], v[219:220]
	v_fma_f64 v[221:222], -v[217:218], v[219:220], 1.0
	v_fma_f64 v[219:220], v[219:220], v[221:222], v[219:220]
	v_mul_f64 v[221:222], v[223:224], v[219:220]
	v_fma_f64 v[217:218], -v[217:218], v[221:222], v[223:224]
	v_div_fmas_f64 v[217:218], v[217:218], v[219:220], v[221:222]
	v_div_fixup_f64 v[219:220], v[217:218], v[213:214], v[215:216]
	v_fma_f64 v[213:214], v[215:216], v[219:220], v[213:214]
	v_div_scale_f64 v[215:216], null, v[213:214], v[213:214], 1.0
	v_rcp_f64_e32 v[217:218], v[215:216]
	v_fma_f64 v[221:222], -v[215:216], v[217:218], 1.0
	v_fma_f64 v[217:218], v[217:218], v[221:222], v[217:218]
	v_fma_f64 v[221:222], -v[215:216], v[217:218], 1.0
	v_fma_f64 v[217:218], v[217:218], v[221:222], v[217:218]
	v_div_scale_f64 v[221:222], vcc_lo, 1.0, v[213:214], 1.0
	v_mul_f64 v[223:224], v[221:222], v[217:218]
	v_fma_f64 v[215:216], -v[215:216], v[223:224], v[221:222]
	v_div_fmas_f64 v[215:216], v[215:216], v[217:218], v[223:224]
	v_div_fixup_f64 v[217:218], v[215:216], v[213:214], 1.0
	v_mul_f64 v[219:220], v[219:220], -v[217:218]
.LBB111_367:
	s_or_b32 exec_lo, exec_lo, s1
	ds_write2_b64 v255, v[217:218], v[219:220] offset1:1
.LBB111_368:
	s_or_b32 exec_lo, exec_lo, s2
	s_waitcnt lgkmcnt(0)
	s_barrier
	buffer_gl0_inv
	ds_read2_b64 v[213:216], v255 offset1:1
	s_mov_b32 s1, exec_lo
	s_waitcnt lgkmcnt(0)
	buffer_store_dword v213, off, s[16:19], 0 offset:1160 ; 4-byte Folded Spill
	buffer_store_dword v214, off, s[16:19], 0 offset:1164 ; 4-byte Folded Spill
	;; [unrolled: 1-line block ×4, first 2 shown]
	v_cmpx_lt_u32_e32 40, v0
	s_cbranch_execz .LBB111_370
; %bb.369:
	s_clause 0x3
	buffer_load_dword v215, off, s[16:19], 0 offset:1160
	buffer_load_dword v216, off, s[16:19], 0 offset:1164
	;; [unrolled: 1-line block ×4, first 2 shown]
	s_waitcnt vmcnt(2)
	v_mul_f64 v[213:214], v[215:216], v[63:64]
	s_waitcnt vmcnt(0)
	v_mul_f64 v[63:64], v[217:218], v[63:64]
	v_fma_f64 v[213:214], v[217:218], v[61:62], v[213:214]
	v_fma_f64 v[61:62], v[215:216], v[61:62], -v[63:64]
	ds_read2_b64 v[215:218], v253 offset0:82 offset1:83
	s_waitcnt lgkmcnt(0)
	v_mul_f64 v[63:64], v[217:218], v[213:214]
	v_fma_f64 v[63:64], v[215:216], v[61:62], -v[63:64]
	v_mul_f64 v[215:216], v[215:216], v[213:214]
	v_add_f64 v[57:58], v[57:58], -v[63:64]
	v_fma_f64 v[215:216], v[217:218], v[61:62], v[215:216]
	v_add_f64 v[59:60], v[59:60], -v[215:216]
	ds_read2_b64 v[215:218], v253 offset0:84 offset1:85
	s_waitcnt lgkmcnt(0)
	v_mul_f64 v[63:64], v[217:218], v[213:214]
	v_fma_f64 v[63:64], v[215:216], v[61:62], -v[63:64]
	v_mul_f64 v[215:216], v[215:216], v[213:214]
	v_add_f64 v[53:54], v[53:54], -v[63:64]
	v_fma_f64 v[215:216], v[217:218], v[61:62], v[215:216]
	v_add_f64 v[55:56], v[55:56], -v[215:216]
	;; [unrolled: 8-line block ×14, first 2 shown]
	ds_read2_b64 v[215:218], v253 offset0:110 offset1:111
	s_waitcnt lgkmcnt(0)
	v_mul_f64 v[63:64], v[217:218], v[213:214]
	v_fma_f64 v[63:64], v[215:216], v[61:62], -v[63:64]
	v_mul_f64 v[215:216], v[215:216], v[213:214]
	v_add_f64 v[1:2], v[1:2], -v[63:64]
	v_fma_f64 v[215:216], v[217:218], v[61:62], v[215:216]
	v_mov_b32_e32 v63, v213
	v_mov_b32_e32 v64, v214
	v_add_f64 v[3:4], v[3:4], -v[215:216]
.LBB111_370:
	s_or_b32 exec_lo, exec_lo, s1
	s_mov_b32 s2, exec_lo
	s_waitcnt_vscnt null, 0x0
	s_barrier
	buffer_gl0_inv
	v_cmpx_eq_u32_e32 41, v0
	s_cbranch_execz .LBB111_377
; %bb.371:
	ds_write2_b64 v255, v[57:58], v[59:60] offset1:1
	ds_write2_b64 v253, v[53:54], v[55:56] offset0:84 offset1:85
	ds_write2_b64 v253, v[49:50], v[51:52] offset0:86 offset1:87
	;; [unrolled: 1-line block ×14, first 2 shown]
	ds_read2_b64 v[213:216], v255 offset1:1
	s_waitcnt lgkmcnt(0)
	v_cmp_neq_f64_e32 vcc_lo, 0, v[213:214]
	v_cmp_neq_f64_e64 s1, 0, v[215:216]
	s_or_b32 s1, vcc_lo, s1
	s_and_b32 exec_lo, exec_lo, s1
	s_cbranch_execz .LBB111_377
; %bb.372:
	v_cmp_ngt_f64_e64 s1, |v[213:214]|, |v[215:216]|
                                        ; implicit-def: $vgpr217_vgpr218
	s_and_saveexec_b32 s3, s1
	s_xor_b32 s1, exec_lo, s3
                                        ; implicit-def: $vgpr219_vgpr220
	s_cbranch_execz .LBB111_374
; %bb.373:
	v_div_scale_f64 v[217:218], null, v[215:216], v[215:216], v[213:214]
	v_div_scale_f64 v[223:224], vcc_lo, v[213:214], v[215:216], v[213:214]
	v_rcp_f64_e32 v[219:220], v[217:218]
	v_fma_f64 v[221:222], -v[217:218], v[219:220], 1.0
	v_fma_f64 v[219:220], v[219:220], v[221:222], v[219:220]
	v_fma_f64 v[221:222], -v[217:218], v[219:220], 1.0
	v_fma_f64 v[219:220], v[219:220], v[221:222], v[219:220]
	v_mul_f64 v[221:222], v[223:224], v[219:220]
	v_fma_f64 v[217:218], -v[217:218], v[221:222], v[223:224]
	v_div_fmas_f64 v[217:218], v[217:218], v[219:220], v[221:222]
	v_div_fixup_f64 v[217:218], v[217:218], v[215:216], v[213:214]
	v_fma_f64 v[213:214], v[213:214], v[217:218], v[215:216]
	v_div_scale_f64 v[215:216], null, v[213:214], v[213:214], 1.0
	v_rcp_f64_e32 v[219:220], v[215:216]
	v_fma_f64 v[221:222], -v[215:216], v[219:220], 1.0
	v_fma_f64 v[219:220], v[219:220], v[221:222], v[219:220]
	v_fma_f64 v[221:222], -v[215:216], v[219:220], 1.0
	v_fma_f64 v[219:220], v[219:220], v[221:222], v[219:220]
	v_div_scale_f64 v[221:222], vcc_lo, 1.0, v[213:214], 1.0
	v_mul_f64 v[223:224], v[221:222], v[219:220]
	v_fma_f64 v[215:216], -v[215:216], v[223:224], v[221:222]
	v_div_fmas_f64 v[215:216], v[215:216], v[219:220], v[223:224]
	v_div_fixup_f64 v[219:220], v[215:216], v[213:214], 1.0
                                        ; implicit-def: $vgpr213_vgpr214
	v_mul_f64 v[217:218], v[217:218], v[219:220]
	v_xor_b32_e32 v220, 0x80000000, v220
.LBB111_374:
	s_andn2_saveexec_b32 s1, s1
	s_cbranch_execz .LBB111_376
; %bb.375:
	v_div_scale_f64 v[217:218], null, v[213:214], v[213:214], v[215:216]
	v_div_scale_f64 v[223:224], vcc_lo, v[215:216], v[213:214], v[215:216]
	v_rcp_f64_e32 v[219:220], v[217:218]
	v_fma_f64 v[221:222], -v[217:218], v[219:220], 1.0
	v_fma_f64 v[219:220], v[219:220], v[221:222], v[219:220]
	v_fma_f64 v[221:222], -v[217:218], v[219:220], 1.0
	v_fma_f64 v[219:220], v[219:220], v[221:222], v[219:220]
	v_mul_f64 v[221:222], v[223:224], v[219:220]
	v_fma_f64 v[217:218], -v[217:218], v[221:222], v[223:224]
	v_div_fmas_f64 v[217:218], v[217:218], v[219:220], v[221:222]
	v_div_fixup_f64 v[219:220], v[217:218], v[213:214], v[215:216]
	v_fma_f64 v[213:214], v[215:216], v[219:220], v[213:214]
	v_div_scale_f64 v[215:216], null, v[213:214], v[213:214], 1.0
	v_rcp_f64_e32 v[217:218], v[215:216]
	v_fma_f64 v[221:222], -v[215:216], v[217:218], 1.0
	v_fma_f64 v[217:218], v[217:218], v[221:222], v[217:218]
	v_fma_f64 v[221:222], -v[215:216], v[217:218], 1.0
	v_fma_f64 v[217:218], v[217:218], v[221:222], v[217:218]
	v_div_scale_f64 v[221:222], vcc_lo, 1.0, v[213:214], 1.0
	v_mul_f64 v[223:224], v[221:222], v[217:218]
	v_fma_f64 v[215:216], -v[215:216], v[223:224], v[221:222]
	v_div_fmas_f64 v[215:216], v[215:216], v[217:218], v[223:224]
	v_div_fixup_f64 v[217:218], v[215:216], v[213:214], 1.0
	v_mul_f64 v[219:220], v[219:220], -v[217:218]
.LBB111_376:
	s_or_b32 exec_lo, exec_lo, s1
	ds_write2_b64 v255, v[217:218], v[219:220] offset1:1
.LBB111_377:
	s_or_b32 exec_lo, exec_lo, s2
	s_waitcnt lgkmcnt(0)
	s_barrier
	buffer_gl0_inv
	ds_read2_b64 v[213:216], v255 offset1:1
	s_mov_b32 s1, exec_lo
	s_waitcnt lgkmcnt(0)
	buffer_store_dword v213, off, s[16:19], 0 offset:1176 ; 4-byte Folded Spill
	buffer_store_dword v214, off, s[16:19], 0 offset:1180 ; 4-byte Folded Spill
	;; [unrolled: 1-line block ×4, first 2 shown]
	v_cmpx_lt_u32_e32 41, v0
	s_cbranch_execz .LBB111_379
; %bb.378:
	s_clause 0x3
	buffer_load_dword v215, off, s[16:19], 0 offset:1176
	buffer_load_dword v216, off, s[16:19], 0 offset:1180
	;; [unrolled: 1-line block ×4, first 2 shown]
	s_waitcnt vmcnt(2)
	v_mul_f64 v[213:214], v[215:216], v[59:60]
	s_waitcnt vmcnt(0)
	v_mul_f64 v[59:60], v[217:218], v[59:60]
	v_fma_f64 v[213:214], v[217:218], v[57:58], v[213:214]
	v_fma_f64 v[57:58], v[215:216], v[57:58], -v[59:60]
	ds_read2_b64 v[215:218], v253 offset0:84 offset1:85
	s_waitcnt lgkmcnt(0)
	v_mul_f64 v[59:60], v[217:218], v[213:214]
	v_fma_f64 v[59:60], v[215:216], v[57:58], -v[59:60]
	v_mul_f64 v[215:216], v[215:216], v[213:214]
	v_add_f64 v[53:54], v[53:54], -v[59:60]
	v_fma_f64 v[215:216], v[217:218], v[57:58], v[215:216]
	v_add_f64 v[55:56], v[55:56], -v[215:216]
	ds_read2_b64 v[215:218], v253 offset0:86 offset1:87
	s_waitcnt lgkmcnt(0)
	v_mul_f64 v[59:60], v[217:218], v[213:214]
	v_fma_f64 v[59:60], v[215:216], v[57:58], -v[59:60]
	v_mul_f64 v[215:216], v[215:216], v[213:214]
	v_add_f64 v[49:50], v[49:50], -v[59:60]
	v_fma_f64 v[215:216], v[217:218], v[57:58], v[215:216]
	v_add_f64 v[51:52], v[51:52], -v[215:216]
	;; [unrolled: 8-line block ×13, first 2 shown]
	ds_read2_b64 v[215:218], v253 offset0:110 offset1:111
	s_waitcnt lgkmcnt(0)
	v_mul_f64 v[59:60], v[217:218], v[213:214]
	v_fma_f64 v[59:60], v[215:216], v[57:58], -v[59:60]
	v_mul_f64 v[215:216], v[215:216], v[213:214]
	v_add_f64 v[1:2], v[1:2], -v[59:60]
	v_fma_f64 v[215:216], v[217:218], v[57:58], v[215:216]
	v_mov_b32_e32 v59, v213
	v_mov_b32_e32 v60, v214
	v_add_f64 v[3:4], v[3:4], -v[215:216]
.LBB111_379:
	s_or_b32 exec_lo, exec_lo, s1
	s_mov_b32 s2, exec_lo
	s_waitcnt_vscnt null, 0x0
	s_barrier
	buffer_gl0_inv
	v_cmpx_eq_u32_e32 42, v0
	s_cbranch_execz .LBB111_386
; %bb.380:
	ds_write2_b64 v255, v[53:54], v[55:56] offset1:1
	ds_write2_b64 v253, v[49:50], v[51:52] offset0:86 offset1:87
	ds_write2_b64 v253, v[45:46], v[47:48] offset0:88 offset1:89
	;; [unrolled: 1-line block ×13, first 2 shown]
	ds_read2_b64 v[213:216], v255 offset1:1
	s_waitcnt lgkmcnt(0)
	v_cmp_neq_f64_e32 vcc_lo, 0, v[213:214]
	v_cmp_neq_f64_e64 s1, 0, v[215:216]
	s_or_b32 s1, vcc_lo, s1
	s_and_b32 exec_lo, exec_lo, s1
	s_cbranch_execz .LBB111_386
; %bb.381:
	v_cmp_ngt_f64_e64 s1, |v[213:214]|, |v[215:216]|
                                        ; implicit-def: $vgpr217_vgpr218
	s_and_saveexec_b32 s3, s1
	s_xor_b32 s1, exec_lo, s3
                                        ; implicit-def: $vgpr219_vgpr220
	s_cbranch_execz .LBB111_383
; %bb.382:
	v_div_scale_f64 v[217:218], null, v[215:216], v[215:216], v[213:214]
	v_div_scale_f64 v[223:224], vcc_lo, v[213:214], v[215:216], v[213:214]
	v_rcp_f64_e32 v[219:220], v[217:218]
	v_fma_f64 v[221:222], -v[217:218], v[219:220], 1.0
	v_fma_f64 v[219:220], v[219:220], v[221:222], v[219:220]
	v_fma_f64 v[221:222], -v[217:218], v[219:220], 1.0
	v_fma_f64 v[219:220], v[219:220], v[221:222], v[219:220]
	v_mul_f64 v[221:222], v[223:224], v[219:220]
	v_fma_f64 v[217:218], -v[217:218], v[221:222], v[223:224]
	v_div_fmas_f64 v[217:218], v[217:218], v[219:220], v[221:222]
	v_div_fixup_f64 v[217:218], v[217:218], v[215:216], v[213:214]
	v_fma_f64 v[213:214], v[213:214], v[217:218], v[215:216]
	v_div_scale_f64 v[215:216], null, v[213:214], v[213:214], 1.0
	v_rcp_f64_e32 v[219:220], v[215:216]
	v_fma_f64 v[221:222], -v[215:216], v[219:220], 1.0
	v_fma_f64 v[219:220], v[219:220], v[221:222], v[219:220]
	v_fma_f64 v[221:222], -v[215:216], v[219:220], 1.0
	v_fma_f64 v[219:220], v[219:220], v[221:222], v[219:220]
	v_div_scale_f64 v[221:222], vcc_lo, 1.0, v[213:214], 1.0
	v_mul_f64 v[223:224], v[221:222], v[219:220]
	v_fma_f64 v[215:216], -v[215:216], v[223:224], v[221:222]
	v_div_fmas_f64 v[215:216], v[215:216], v[219:220], v[223:224]
	v_div_fixup_f64 v[219:220], v[215:216], v[213:214], 1.0
                                        ; implicit-def: $vgpr213_vgpr214
	v_mul_f64 v[217:218], v[217:218], v[219:220]
	v_xor_b32_e32 v220, 0x80000000, v220
.LBB111_383:
	s_andn2_saveexec_b32 s1, s1
	s_cbranch_execz .LBB111_385
; %bb.384:
	v_div_scale_f64 v[217:218], null, v[213:214], v[213:214], v[215:216]
	v_div_scale_f64 v[223:224], vcc_lo, v[215:216], v[213:214], v[215:216]
	v_rcp_f64_e32 v[219:220], v[217:218]
	v_fma_f64 v[221:222], -v[217:218], v[219:220], 1.0
	v_fma_f64 v[219:220], v[219:220], v[221:222], v[219:220]
	v_fma_f64 v[221:222], -v[217:218], v[219:220], 1.0
	v_fma_f64 v[219:220], v[219:220], v[221:222], v[219:220]
	v_mul_f64 v[221:222], v[223:224], v[219:220]
	v_fma_f64 v[217:218], -v[217:218], v[221:222], v[223:224]
	v_div_fmas_f64 v[217:218], v[217:218], v[219:220], v[221:222]
	v_div_fixup_f64 v[219:220], v[217:218], v[213:214], v[215:216]
	v_fma_f64 v[213:214], v[215:216], v[219:220], v[213:214]
	v_div_scale_f64 v[215:216], null, v[213:214], v[213:214], 1.0
	v_rcp_f64_e32 v[217:218], v[215:216]
	v_fma_f64 v[221:222], -v[215:216], v[217:218], 1.0
	v_fma_f64 v[217:218], v[217:218], v[221:222], v[217:218]
	v_fma_f64 v[221:222], -v[215:216], v[217:218], 1.0
	v_fma_f64 v[217:218], v[217:218], v[221:222], v[217:218]
	v_div_scale_f64 v[221:222], vcc_lo, 1.0, v[213:214], 1.0
	v_mul_f64 v[223:224], v[221:222], v[217:218]
	v_fma_f64 v[215:216], -v[215:216], v[223:224], v[221:222]
	v_div_fmas_f64 v[215:216], v[215:216], v[217:218], v[223:224]
	v_div_fixup_f64 v[217:218], v[215:216], v[213:214], 1.0
	v_mul_f64 v[219:220], v[219:220], -v[217:218]
.LBB111_385:
	s_or_b32 exec_lo, exec_lo, s1
	ds_write2_b64 v255, v[217:218], v[219:220] offset1:1
.LBB111_386:
	s_or_b32 exec_lo, exec_lo, s2
	s_waitcnt lgkmcnt(0)
	s_barrier
	buffer_gl0_inv
	ds_read2_b64 v[213:216], v255 offset1:1
	s_mov_b32 s1, exec_lo
	s_waitcnt lgkmcnt(0)
	buffer_store_dword v213, off, s[16:19], 0 offset:1192 ; 4-byte Folded Spill
	buffer_store_dword v214, off, s[16:19], 0 offset:1196 ; 4-byte Folded Spill
	;; [unrolled: 1-line block ×4, first 2 shown]
	v_cmpx_lt_u32_e32 42, v0
	s_cbranch_execz .LBB111_388
; %bb.387:
	s_clause 0x3
	buffer_load_dword v215, off, s[16:19], 0 offset:1192
	buffer_load_dword v216, off, s[16:19], 0 offset:1196
	;; [unrolled: 1-line block ×4, first 2 shown]
	s_waitcnt vmcnt(2)
	v_mul_f64 v[213:214], v[215:216], v[55:56]
	s_waitcnt vmcnt(0)
	v_mul_f64 v[55:56], v[217:218], v[55:56]
	v_fma_f64 v[213:214], v[217:218], v[53:54], v[213:214]
	v_fma_f64 v[53:54], v[215:216], v[53:54], -v[55:56]
	ds_read2_b64 v[215:218], v253 offset0:86 offset1:87
	s_waitcnt lgkmcnt(0)
	v_mul_f64 v[55:56], v[217:218], v[213:214]
	v_fma_f64 v[55:56], v[215:216], v[53:54], -v[55:56]
	v_mul_f64 v[215:216], v[215:216], v[213:214]
	v_add_f64 v[49:50], v[49:50], -v[55:56]
	v_fma_f64 v[215:216], v[217:218], v[53:54], v[215:216]
	v_add_f64 v[51:52], v[51:52], -v[215:216]
	ds_read2_b64 v[215:218], v253 offset0:88 offset1:89
	s_waitcnt lgkmcnt(0)
	v_mul_f64 v[55:56], v[217:218], v[213:214]
	v_fma_f64 v[55:56], v[215:216], v[53:54], -v[55:56]
	v_mul_f64 v[215:216], v[215:216], v[213:214]
	v_add_f64 v[45:46], v[45:46], -v[55:56]
	v_fma_f64 v[215:216], v[217:218], v[53:54], v[215:216]
	v_add_f64 v[47:48], v[47:48], -v[215:216]
	;; [unrolled: 8-line block ×12, first 2 shown]
	ds_read2_b64 v[215:218], v253 offset0:110 offset1:111
	s_waitcnt lgkmcnt(0)
	v_mul_f64 v[55:56], v[217:218], v[213:214]
	v_fma_f64 v[55:56], v[215:216], v[53:54], -v[55:56]
	v_mul_f64 v[215:216], v[215:216], v[213:214]
	v_add_f64 v[1:2], v[1:2], -v[55:56]
	v_fma_f64 v[215:216], v[217:218], v[53:54], v[215:216]
	v_mov_b32_e32 v55, v213
	v_mov_b32_e32 v56, v214
	v_add_f64 v[3:4], v[3:4], -v[215:216]
.LBB111_388:
	s_or_b32 exec_lo, exec_lo, s1
	s_mov_b32 s2, exec_lo
	s_waitcnt_vscnt null, 0x0
	s_barrier
	buffer_gl0_inv
	v_cmpx_eq_u32_e32 43, v0
	s_cbranch_execz .LBB111_395
; %bb.389:
	ds_write2_b64 v255, v[49:50], v[51:52] offset1:1
	ds_write2_b64 v253, v[45:46], v[47:48] offset0:88 offset1:89
	ds_write2_b64 v253, v[41:42], v[43:44] offset0:90 offset1:91
	;; [unrolled: 1-line block ×12, first 2 shown]
	ds_read2_b64 v[213:216], v255 offset1:1
	s_waitcnt lgkmcnt(0)
	v_cmp_neq_f64_e32 vcc_lo, 0, v[213:214]
	v_cmp_neq_f64_e64 s1, 0, v[215:216]
	s_or_b32 s1, vcc_lo, s1
	s_and_b32 exec_lo, exec_lo, s1
	s_cbranch_execz .LBB111_395
; %bb.390:
	v_cmp_ngt_f64_e64 s1, |v[213:214]|, |v[215:216]|
                                        ; implicit-def: $vgpr217_vgpr218
	s_and_saveexec_b32 s3, s1
	s_xor_b32 s1, exec_lo, s3
                                        ; implicit-def: $vgpr219_vgpr220
	s_cbranch_execz .LBB111_392
; %bb.391:
	v_div_scale_f64 v[217:218], null, v[215:216], v[215:216], v[213:214]
	v_div_scale_f64 v[223:224], vcc_lo, v[213:214], v[215:216], v[213:214]
	v_rcp_f64_e32 v[219:220], v[217:218]
	v_fma_f64 v[221:222], -v[217:218], v[219:220], 1.0
	v_fma_f64 v[219:220], v[219:220], v[221:222], v[219:220]
	v_fma_f64 v[221:222], -v[217:218], v[219:220], 1.0
	v_fma_f64 v[219:220], v[219:220], v[221:222], v[219:220]
	v_mul_f64 v[221:222], v[223:224], v[219:220]
	v_fma_f64 v[217:218], -v[217:218], v[221:222], v[223:224]
	v_div_fmas_f64 v[217:218], v[217:218], v[219:220], v[221:222]
	v_div_fixup_f64 v[217:218], v[217:218], v[215:216], v[213:214]
	v_fma_f64 v[213:214], v[213:214], v[217:218], v[215:216]
	v_div_scale_f64 v[215:216], null, v[213:214], v[213:214], 1.0
	v_rcp_f64_e32 v[219:220], v[215:216]
	v_fma_f64 v[221:222], -v[215:216], v[219:220], 1.0
	v_fma_f64 v[219:220], v[219:220], v[221:222], v[219:220]
	v_fma_f64 v[221:222], -v[215:216], v[219:220], 1.0
	v_fma_f64 v[219:220], v[219:220], v[221:222], v[219:220]
	v_div_scale_f64 v[221:222], vcc_lo, 1.0, v[213:214], 1.0
	v_mul_f64 v[223:224], v[221:222], v[219:220]
	v_fma_f64 v[215:216], -v[215:216], v[223:224], v[221:222]
	v_div_fmas_f64 v[215:216], v[215:216], v[219:220], v[223:224]
	v_div_fixup_f64 v[219:220], v[215:216], v[213:214], 1.0
                                        ; implicit-def: $vgpr213_vgpr214
	v_mul_f64 v[217:218], v[217:218], v[219:220]
	v_xor_b32_e32 v220, 0x80000000, v220
.LBB111_392:
	s_andn2_saveexec_b32 s1, s1
	s_cbranch_execz .LBB111_394
; %bb.393:
	v_div_scale_f64 v[217:218], null, v[213:214], v[213:214], v[215:216]
	v_div_scale_f64 v[223:224], vcc_lo, v[215:216], v[213:214], v[215:216]
	v_rcp_f64_e32 v[219:220], v[217:218]
	v_fma_f64 v[221:222], -v[217:218], v[219:220], 1.0
	v_fma_f64 v[219:220], v[219:220], v[221:222], v[219:220]
	v_fma_f64 v[221:222], -v[217:218], v[219:220], 1.0
	v_fma_f64 v[219:220], v[219:220], v[221:222], v[219:220]
	v_mul_f64 v[221:222], v[223:224], v[219:220]
	v_fma_f64 v[217:218], -v[217:218], v[221:222], v[223:224]
	v_div_fmas_f64 v[217:218], v[217:218], v[219:220], v[221:222]
	v_div_fixup_f64 v[219:220], v[217:218], v[213:214], v[215:216]
	v_fma_f64 v[213:214], v[215:216], v[219:220], v[213:214]
	v_div_scale_f64 v[215:216], null, v[213:214], v[213:214], 1.0
	v_rcp_f64_e32 v[217:218], v[215:216]
	v_fma_f64 v[221:222], -v[215:216], v[217:218], 1.0
	v_fma_f64 v[217:218], v[217:218], v[221:222], v[217:218]
	v_fma_f64 v[221:222], -v[215:216], v[217:218], 1.0
	v_fma_f64 v[217:218], v[217:218], v[221:222], v[217:218]
	v_div_scale_f64 v[221:222], vcc_lo, 1.0, v[213:214], 1.0
	v_mul_f64 v[223:224], v[221:222], v[217:218]
	v_fma_f64 v[215:216], -v[215:216], v[223:224], v[221:222]
	v_div_fmas_f64 v[215:216], v[215:216], v[217:218], v[223:224]
	v_div_fixup_f64 v[217:218], v[215:216], v[213:214], 1.0
	v_mul_f64 v[219:220], v[219:220], -v[217:218]
.LBB111_394:
	s_or_b32 exec_lo, exec_lo, s1
	ds_write2_b64 v255, v[217:218], v[219:220] offset1:1
.LBB111_395:
	s_or_b32 exec_lo, exec_lo, s2
	s_waitcnt lgkmcnt(0)
	s_barrier
	buffer_gl0_inv
	ds_read2_b64 v[213:216], v255 offset1:1
	s_mov_b32 s1, exec_lo
	s_waitcnt lgkmcnt(0)
	buffer_store_dword v213, off, s[16:19], 0 offset:1208 ; 4-byte Folded Spill
	buffer_store_dword v214, off, s[16:19], 0 offset:1212 ; 4-byte Folded Spill
	;; [unrolled: 1-line block ×4, first 2 shown]
	v_cmpx_lt_u32_e32 43, v0
	s_cbranch_execz .LBB111_397
; %bb.396:
	s_clause 0x3
	buffer_load_dword v215, off, s[16:19], 0 offset:1208
	buffer_load_dword v216, off, s[16:19], 0 offset:1212
	;; [unrolled: 1-line block ×4, first 2 shown]
	s_waitcnt vmcnt(2)
	v_mul_f64 v[213:214], v[215:216], v[51:52]
	s_waitcnt vmcnt(0)
	v_mul_f64 v[51:52], v[217:218], v[51:52]
	v_fma_f64 v[213:214], v[217:218], v[49:50], v[213:214]
	v_fma_f64 v[49:50], v[215:216], v[49:50], -v[51:52]
	ds_read2_b64 v[215:218], v253 offset0:88 offset1:89
	s_waitcnt lgkmcnt(0)
	v_mul_f64 v[51:52], v[217:218], v[213:214]
	v_fma_f64 v[51:52], v[215:216], v[49:50], -v[51:52]
	v_mul_f64 v[215:216], v[215:216], v[213:214]
	v_add_f64 v[45:46], v[45:46], -v[51:52]
	v_fma_f64 v[215:216], v[217:218], v[49:50], v[215:216]
	v_add_f64 v[47:48], v[47:48], -v[215:216]
	ds_read2_b64 v[215:218], v253 offset0:90 offset1:91
	s_waitcnt lgkmcnt(0)
	v_mul_f64 v[51:52], v[217:218], v[213:214]
	v_fma_f64 v[51:52], v[215:216], v[49:50], -v[51:52]
	v_mul_f64 v[215:216], v[215:216], v[213:214]
	v_add_f64 v[41:42], v[41:42], -v[51:52]
	v_fma_f64 v[215:216], v[217:218], v[49:50], v[215:216]
	v_add_f64 v[43:44], v[43:44], -v[215:216]
	;; [unrolled: 8-line block ×11, first 2 shown]
	ds_read2_b64 v[215:218], v253 offset0:110 offset1:111
	s_waitcnt lgkmcnt(0)
	v_mul_f64 v[51:52], v[217:218], v[213:214]
	v_fma_f64 v[51:52], v[215:216], v[49:50], -v[51:52]
	v_mul_f64 v[215:216], v[215:216], v[213:214]
	v_add_f64 v[1:2], v[1:2], -v[51:52]
	v_fma_f64 v[215:216], v[217:218], v[49:50], v[215:216]
	v_mov_b32_e32 v51, v213
	v_mov_b32_e32 v52, v214
	v_add_f64 v[3:4], v[3:4], -v[215:216]
.LBB111_397:
	s_or_b32 exec_lo, exec_lo, s1
	s_mov_b32 s2, exec_lo
	s_waitcnt_vscnt null, 0x0
	s_barrier
	buffer_gl0_inv
	v_cmpx_eq_u32_e32 44, v0
	s_cbranch_execz .LBB111_404
; %bb.398:
	ds_write2_b64 v255, v[45:46], v[47:48] offset1:1
	ds_write2_b64 v253, v[41:42], v[43:44] offset0:90 offset1:91
	ds_write2_b64 v253, v[37:38], v[39:40] offset0:92 offset1:93
	;; [unrolled: 1-line block ×11, first 2 shown]
	ds_read2_b64 v[213:216], v255 offset1:1
	s_waitcnt lgkmcnt(0)
	v_cmp_neq_f64_e32 vcc_lo, 0, v[213:214]
	v_cmp_neq_f64_e64 s1, 0, v[215:216]
	s_or_b32 s1, vcc_lo, s1
	s_and_b32 exec_lo, exec_lo, s1
	s_cbranch_execz .LBB111_404
; %bb.399:
	v_cmp_ngt_f64_e64 s1, |v[213:214]|, |v[215:216]|
                                        ; implicit-def: $vgpr217_vgpr218
	s_and_saveexec_b32 s3, s1
	s_xor_b32 s1, exec_lo, s3
                                        ; implicit-def: $vgpr219_vgpr220
	s_cbranch_execz .LBB111_401
; %bb.400:
	v_div_scale_f64 v[217:218], null, v[215:216], v[215:216], v[213:214]
	v_div_scale_f64 v[223:224], vcc_lo, v[213:214], v[215:216], v[213:214]
	v_rcp_f64_e32 v[219:220], v[217:218]
	v_fma_f64 v[221:222], -v[217:218], v[219:220], 1.0
	v_fma_f64 v[219:220], v[219:220], v[221:222], v[219:220]
	v_fma_f64 v[221:222], -v[217:218], v[219:220], 1.0
	v_fma_f64 v[219:220], v[219:220], v[221:222], v[219:220]
	v_mul_f64 v[221:222], v[223:224], v[219:220]
	v_fma_f64 v[217:218], -v[217:218], v[221:222], v[223:224]
	v_div_fmas_f64 v[217:218], v[217:218], v[219:220], v[221:222]
	v_div_fixup_f64 v[217:218], v[217:218], v[215:216], v[213:214]
	v_fma_f64 v[213:214], v[213:214], v[217:218], v[215:216]
	v_div_scale_f64 v[215:216], null, v[213:214], v[213:214], 1.0
	v_rcp_f64_e32 v[219:220], v[215:216]
	v_fma_f64 v[221:222], -v[215:216], v[219:220], 1.0
	v_fma_f64 v[219:220], v[219:220], v[221:222], v[219:220]
	v_fma_f64 v[221:222], -v[215:216], v[219:220], 1.0
	v_fma_f64 v[219:220], v[219:220], v[221:222], v[219:220]
	v_div_scale_f64 v[221:222], vcc_lo, 1.0, v[213:214], 1.0
	v_mul_f64 v[223:224], v[221:222], v[219:220]
	v_fma_f64 v[215:216], -v[215:216], v[223:224], v[221:222]
	v_div_fmas_f64 v[215:216], v[215:216], v[219:220], v[223:224]
	v_div_fixup_f64 v[219:220], v[215:216], v[213:214], 1.0
                                        ; implicit-def: $vgpr213_vgpr214
	v_mul_f64 v[217:218], v[217:218], v[219:220]
	v_xor_b32_e32 v220, 0x80000000, v220
.LBB111_401:
	s_andn2_saveexec_b32 s1, s1
	s_cbranch_execz .LBB111_403
; %bb.402:
	v_div_scale_f64 v[217:218], null, v[213:214], v[213:214], v[215:216]
	v_div_scale_f64 v[223:224], vcc_lo, v[215:216], v[213:214], v[215:216]
	v_rcp_f64_e32 v[219:220], v[217:218]
	v_fma_f64 v[221:222], -v[217:218], v[219:220], 1.0
	v_fma_f64 v[219:220], v[219:220], v[221:222], v[219:220]
	v_fma_f64 v[221:222], -v[217:218], v[219:220], 1.0
	v_fma_f64 v[219:220], v[219:220], v[221:222], v[219:220]
	v_mul_f64 v[221:222], v[223:224], v[219:220]
	v_fma_f64 v[217:218], -v[217:218], v[221:222], v[223:224]
	v_div_fmas_f64 v[217:218], v[217:218], v[219:220], v[221:222]
	v_div_fixup_f64 v[219:220], v[217:218], v[213:214], v[215:216]
	v_fma_f64 v[213:214], v[215:216], v[219:220], v[213:214]
	v_div_scale_f64 v[215:216], null, v[213:214], v[213:214], 1.0
	v_rcp_f64_e32 v[217:218], v[215:216]
	v_fma_f64 v[221:222], -v[215:216], v[217:218], 1.0
	v_fma_f64 v[217:218], v[217:218], v[221:222], v[217:218]
	v_fma_f64 v[221:222], -v[215:216], v[217:218], 1.0
	v_fma_f64 v[217:218], v[217:218], v[221:222], v[217:218]
	v_div_scale_f64 v[221:222], vcc_lo, 1.0, v[213:214], 1.0
	v_mul_f64 v[223:224], v[221:222], v[217:218]
	v_fma_f64 v[215:216], -v[215:216], v[223:224], v[221:222]
	v_div_fmas_f64 v[215:216], v[215:216], v[217:218], v[223:224]
	v_div_fixup_f64 v[217:218], v[215:216], v[213:214], 1.0
	v_mul_f64 v[219:220], v[219:220], -v[217:218]
.LBB111_403:
	s_or_b32 exec_lo, exec_lo, s1
	ds_write2_b64 v255, v[217:218], v[219:220] offset1:1
.LBB111_404:
	s_or_b32 exec_lo, exec_lo, s2
	s_waitcnt lgkmcnt(0)
	s_barrier
	buffer_gl0_inv
	ds_read2_b64 v[213:216], v255 offset1:1
	s_mov_b32 s1, exec_lo
	s_waitcnt lgkmcnt(0)
	buffer_store_dword v213, off, s[16:19], 0 offset:1224 ; 4-byte Folded Spill
	buffer_store_dword v214, off, s[16:19], 0 offset:1228 ; 4-byte Folded Spill
	;; [unrolled: 1-line block ×4, first 2 shown]
	v_cmpx_lt_u32_e32 44, v0
	s_cbranch_execz .LBB111_406
; %bb.405:
	s_clause 0x3
	buffer_load_dword v215, off, s[16:19], 0 offset:1224
	buffer_load_dword v216, off, s[16:19], 0 offset:1228
	;; [unrolled: 1-line block ×4, first 2 shown]
	s_waitcnt vmcnt(2)
	v_mul_f64 v[213:214], v[215:216], v[47:48]
	s_waitcnt vmcnt(0)
	v_mul_f64 v[47:48], v[217:218], v[47:48]
	v_fma_f64 v[213:214], v[217:218], v[45:46], v[213:214]
	v_fma_f64 v[45:46], v[215:216], v[45:46], -v[47:48]
	ds_read2_b64 v[215:218], v253 offset0:90 offset1:91
	s_waitcnt lgkmcnt(0)
	v_mul_f64 v[47:48], v[217:218], v[213:214]
	v_fma_f64 v[47:48], v[215:216], v[45:46], -v[47:48]
	v_mul_f64 v[215:216], v[215:216], v[213:214]
	v_add_f64 v[41:42], v[41:42], -v[47:48]
	v_fma_f64 v[215:216], v[217:218], v[45:46], v[215:216]
	v_add_f64 v[43:44], v[43:44], -v[215:216]
	ds_read2_b64 v[215:218], v253 offset0:92 offset1:93
	s_waitcnt lgkmcnt(0)
	v_mul_f64 v[47:48], v[217:218], v[213:214]
	v_fma_f64 v[47:48], v[215:216], v[45:46], -v[47:48]
	v_mul_f64 v[215:216], v[215:216], v[213:214]
	v_add_f64 v[37:38], v[37:38], -v[47:48]
	v_fma_f64 v[215:216], v[217:218], v[45:46], v[215:216]
	v_add_f64 v[39:40], v[39:40], -v[215:216]
	;; [unrolled: 8-line block ×10, first 2 shown]
	ds_read2_b64 v[215:218], v253 offset0:110 offset1:111
	s_waitcnt lgkmcnt(0)
	v_mul_f64 v[47:48], v[217:218], v[213:214]
	v_fma_f64 v[47:48], v[215:216], v[45:46], -v[47:48]
	v_mul_f64 v[215:216], v[215:216], v[213:214]
	v_add_f64 v[1:2], v[1:2], -v[47:48]
	v_fma_f64 v[215:216], v[217:218], v[45:46], v[215:216]
	v_mov_b32_e32 v47, v213
	v_mov_b32_e32 v48, v214
	v_add_f64 v[3:4], v[3:4], -v[215:216]
.LBB111_406:
	s_or_b32 exec_lo, exec_lo, s1
	s_mov_b32 s2, exec_lo
	s_waitcnt_vscnt null, 0x0
	s_barrier
	buffer_gl0_inv
	v_cmpx_eq_u32_e32 45, v0
	s_cbranch_execz .LBB111_413
; %bb.407:
	ds_write2_b64 v255, v[41:42], v[43:44] offset1:1
	ds_write2_b64 v253, v[37:38], v[39:40] offset0:92 offset1:93
	ds_write2_b64 v253, v[33:34], v[35:36] offset0:94 offset1:95
	;; [unrolled: 1-line block ×10, first 2 shown]
	ds_read2_b64 v[213:216], v255 offset1:1
	s_waitcnt lgkmcnt(0)
	v_cmp_neq_f64_e32 vcc_lo, 0, v[213:214]
	v_cmp_neq_f64_e64 s1, 0, v[215:216]
	s_or_b32 s1, vcc_lo, s1
	s_and_b32 exec_lo, exec_lo, s1
	s_cbranch_execz .LBB111_413
; %bb.408:
	v_cmp_ngt_f64_e64 s1, |v[213:214]|, |v[215:216]|
                                        ; implicit-def: $vgpr217_vgpr218
	s_and_saveexec_b32 s3, s1
	s_xor_b32 s1, exec_lo, s3
                                        ; implicit-def: $vgpr219_vgpr220
	s_cbranch_execz .LBB111_410
; %bb.409:
	v_div_scale_f64 v[217:218], null, v[215:216], v[215:216], v[213:214]
	v_div_scale_f64 v[223:224], vcc_lo, v[213:214], v[215:216], v[213:214]
	v_rcp_f64_e32 v[219:220], v[217:218]
	v_fma_f64 v[221:222], -v[217:218], v[219:220], 1.0
	v_fma_f64 v[219:220], v[219:220], v[221:222], v[219:220]
	v_fma_f64 v[221:222], -v[217:218], v[219:220], 1.0
	v_fma_f64 v[219:220], v[219:220], v[221:222], v[219:220]
	v_mul_f64 v[221:222], v[223:224], v[219:220]
	v_fma_f64 v[217:218], -v[217:218], v[221:222], v[223:224]
	v_div_fmas_f64 v[217:218], v[217:218], v[219:220], v[221:222]
	v_div_fixup_f64 v[217:218], v[217:218], v[215:216], v[213:214]
	v_fma_f64 v[213:214], v[213:214], v[217:218], v[215:216]
	v_div_scale_f64 v[215:216], null, v[213:214], v[213:214], 1.0
	v_rcp_f64_e32 v[219:220], v[215:216]
	v_fma_f64 v[221:222], -v[215:216], v[219:220], 1.0
	v_fma_f64 v[219:220], v[219:220], v[221:222], v[219:220]
	v_fma_f64 v[221:222], -v[215:216], v[219:220], 1.0
	v_fma_f64 v[219:220], v[219:220], v[221:222], v[219:220]
	v_div_scale_f64 v[221:222], vcc_lo, 1.0, v[213:214], 1.0
	v_mul_f64 v[223:224], v[221:222], v[219:220]
	v_fma_f64 v[215:216], -v[215:216], v[223:224], v[221:222]
	v_div_fmas_f64 v[215:216], v[215:216], v[219:220], v[223:224]
	v_div_fixup_f64 v[219:220], v[215:216], v[213:214], 1.0
                                        ; implicit-def: $vgpr213_vgpr214
	v_mul_f64 v[217:218], v[217:218], v[219:220]
	v_xor_b32_e32 v220, 0x80000000, v220
.LBB111_410:
	s_andn2_saveexec_b32 s1, s1
	s_cbranch_execz .LBB111_412
; %bb.411:
	v_div_scale_f64 v[217:218], null, v[213:214], v[213:214], v[215:216]
	v_div_scale_f64 v[223:224], vcc_lo, v[215:216], v[213:214], v[215:216]
	v_rcp_f64_e32 v[219:220], v[217:218]
	v_fma_f64 v[221:222], -v[217:218], v[219:220], 1.0
	v_fma_f64 v[219:220], v[219:220], v[221:222], v[219:220]
	v_fma_f64 v[221:222], -v[217:218], v[219:220], 1.0
	v_fma_f64 v[219:220], v[219:220], v[221:222], v[219:220]
	v_mul_f64 v[221:222], v[223:224], v[219:220]
	v_fma_f64 v[217:218], -v[217:218], v[221:222], v[223:224]
	v_div_fmas_f64 v[217:218], v[217:218], v[219:220], v[221:222]
	v_div_fixup_f64 v[219:220], v[217:218], v[213:214], v[215:216]
	v_fma_f64 v[213:214], v[215:216], v[219:220], v[213:214]
	v_div_scale_f64 v[215:216], null, v[213:214], v[213:214], 1.0
	v_rcp_f64_e32 v[217:218], v[215:216]
	v_fma_f64 v[221:222], -v[215:216], v[217:218], 1.0
	v_fma_f64 v[217:218], v[217:218], v[221:222], v[217:218]
	v_fma_f64 v[221:222], -v[215:216], v[217:218], 1.0
	v_fma_f64 v[217:218], v[217:218], v[221:222], v[217:218]
	v_div_scale_f64 v[221:222], vcc_lo, 1.0, v[213:214], 1.0
	v_mul_f64 v[223:224], v[221:222], v[217:218]
	v_fma_f64 v[215:216], -v[215:216], v[223:224], v[221:222]
	v_div_fmas_f64 v[215:216], v[215:216], v[217:218], v[223:224]
	v_div_fixup_f64 v[217:218], v[215:216], v[213:214], 1.0
	v_mul_f64 v[219:220], v[219:220], -v[217:218]
.LBB111_412:
	s_or_b32 exec_lo, exec_lo, s1
	ds_write2_b64 v255, v[217:218], v[219:220] offset1:1
.LBB111_413:
	s_or_b32 exec_lo, exec_lo, s2
	s_waitcnt lgkmcnt(0)
	s_barrier
	buffer_gl0_inv
	ds_read2_b64 v[213:216], v255 offset1:1
	s_mov_b32 s1, exec_lo
	s_waitcnt lgkmcnt(0)
	buffer_store_dword v213, off, s[16:19], 0 offset:1240 ; 4-byte Folded Spill
	buffer_store_dword v214, off, s[16:19], 0 offset:1244 ; 4-byte Folded Spill
	;; [unrolled: 1-line block ×4, first 2 shown]
	v_cmpx_lt_u32_e32 45, v0
	s_cbranch_execz .LBB111_415
; %bb.414:
	s_clause 0x3
	buffer_load_dword v219, off, s[16:19], 0 offset:1240
	buffer_load_dword v220, off, s[16:19], 0 offset:1244
	;; [unrolled: 1-line block ×4, first 2 shown]
	s_waitcnt vmcnt(2)
	v_mul_f64 v[213:214], v[219:220], v[43:44]
	s_waitcnt vmcnt(0)
	v_mul_f64 v[43:44], v[221:222], v[43:44]
	v_fma_f64 v[217:218], v[221:222], v[41:42], v[213:214]
	ds_read2_b64 v[213:216], v253 offset0:92 offset1:93
	v_fma_f64 v[41:42], v[219:220], v[41:42], -v[43:44]
	s_waitcnt lgkmcnt(0)
	v_mul_f64 v[43:44], v[215:216], v[217:218]
	v_fma_f64 v[43:44], v[213:214], v[41:42], -v[43:44]
	v_mul_f64 v[213:214], v[213:214], v[217:218]
	v_add_f64 v[37:38], v[37:38], -v[43:44]
	v_fma_f64 v[213:214], v[215:216], v[41:42], v[213:214]
	v_add_f64 v[39:40], v[39:40], -v[213:214]
	ds_read2_b64 v[213:216], v253 offset0:94 offset1:95
	s_waitcnt lgkmcnt(0)
	v_mul_f64 v[43:44], v[215:216], v[217:218]
	v_fma_f64 v[43:44], v[213:214], v[41:42], -v[43:44]
	v_mul_f64 v[213:214], v[213:214], v[217:218]
	v_add_f64 v[33:34], v[33:34], -v[43:44]
	v_fma_f64 v[213:214], v[215:216], v[41:42], v[213:214]
	v_add_f64 v[35:36], v[35:36], -v[213:214]
	ds_read2_b64 v[213:216], v253 offset0:96 offset1:97
	;; [unrolled: 8-line block ×9, first 2 shown]
	s_waitcnt lgkmcnt(0)
	v_mul_f64 v[43:44], v[215:216], v[217:218]
	v_fma_f64 v[43:44], v[213:214], v[41:42], -v[43:44]
	v_mul_f64 v[213:214], v[213:214], v[217:218]
	v_add_f64 v[1:2], v[1:2], -v[43:44]
	v_fma_f64 v[213:214], v[215:216], v[41:42], v[213:214]
	v_mov_b32_e32 v43, v217
	v_mov_b32_e32 v44, v218
	v_add_f64 v[3:4], v[3:4], -v[213:214]
.LBB111_415:
	s_or_b32 exec_lo, exec_lo, s1
	s_mov_b32 s2, exec_lo
	s_waitcnt_vscnt null, 0x0
	s_barrier
	buffer_gl0_inv
	v_cmpx_eq_u32_e32 46, v0
	s_cbranch_execz .LBB111_422
; %bb.416:
	ds_write2_b64 v255, v[37:38], v[39:40] offset1:1
	ds_write2_b64 v253, v[33:34], v[35:36] offset0:94 offset1:95
	ds_write2_b64 v253, v[29:30], v[31:32] offset0:96 offset1:97
	;; [unrolled: 1-line block ×9, first 2 shown]
	ds_read2_b64 v[213:216], v255 offset1:1
	s_waitcnt lgkmcnt(0)
	v_cmp_neq_f64_e32 vcc_lo, 0, v[213:214]
	v_cmp_neq_f64_e64 s1, 0, v[215:216]
	s_or_b32 s1, vcc_lo, s1
	s_and_b32 exec_lo, exec_lo, s1
	s_cbranch_execz .LBB111_422
; %bb.417:
	v_cmp_ngt_f64_e64 s1, |v[213:214]|, |v[215:216]|
                                        ; implicit-def: $vgpr217_vgpr218
	s_and_saveexec_b32 s3, s1
	s_xor_b32 s1, exec_lo, s3
                                        ; implicit-def: $vgpr219_vgpr220
	s_cbranch_execz .LBB111_419
; %bb.418:
	v_div_scale_f64 v[217:218], null, v[215:216], v[215:216], v[213:214]
	v_div_scale_f64 v[223:224], vcc_lo, v[213:214], v[215:216], v[213:214]
	v_rcp_f64_e32 v[219:220], v[217:218]
	v_fma_f64 v[221:222], -v[217:218], v[219:220], 1.0
	v_fma_f64 v[219:220], v[219:220], v[221:222], v[219:220]
	v_fma_f64 v[221:222], -v[217:218], v[219:220], 1.0
	v_fma_f64 v[219:220], v[219:220], v[221:222], v[219:220]
	v_mul_f64 v[221:222], v[223:224], v[219:220]
	v_fma_f64 v[217:218], -v[217:218], v[221:222], v[223:224]
	v_div_fmas_f64 v[217:218], v[217:218], v[219:220], v[221:222]
	v_div_fixup_f64 v[217:218], v[217:218], v[215:216], v[213:214]
	v_fma_f64 v[213:214], v[213:214], v[217:218], v[215:216]
	v_div_scale_f64 v[215:216], null, v[213:214], v[213:214], 1.0
	v_rcp_f64_e32 v[219:220], v[215:216]
	v_fma_f64 v[221:222], -v[215:216], v[219:220], 1.0
	v_fma_f64 v[219:220], v[219:220], v[221:222], v[219:220]
	v_fma_f64 v[221:222], -v[215:216], v[219:220], 1.0
	v_fma_f64 v[219:220], v[219:220], v[221:222], v[219:220]
	v_div_scale_f64 v[221:222], vcc_lo, 1.0, v[213:214], 1.0
	v_mul_f64 v[223:224], v[221:222], v[219:220]
	v_fma_f64 v[215:216], -v[215:216], v[223:224], v[221:222]
	v_div_fmas_f64 v[215:216], v[215:216], v[219:220], v[223:224]
	v_div_fixup_f64 v[219:220], v[215:216], v[213:214], 1.0
                                        ; implicit-def: $vgpr213_vgpr214
	v_mul_f64 v[217:218], v[217:218], v[219:220]
	v_xor_b32_e32 v220, 0x80000000, v220
.LBB111_419:
	s_andn2_saveexec_b32 s1, s1
	s_cbranch_execz .LBB111_421
; %bb.420:
	v_div_scale_f64 v[217:218], null, v[213:214], v[213:214], v[215:216]
	v_div_scale_f64 v[223:224], vcc_lo, v[215:216], v[213:214], v[215:216]
	v_rcp_f64_e32 v[219:220], v[217:218]
	v_fma_f64 v[221:222], -v[217:218], v[219:220], 1.0
	v_fma_f64 v[219:220], v[219:220], v[221:222], v[219:220]
	v_fma_f64 v[221:222], -v[217:218], v[219:220], 1.0
	v_fma_f64 v[219:220], v[219:220], v[221:222], v[219:220]
	v_mul_f64 v[221:222], v[223:224], v[219:220]
	v_fma_f64 v[217:218], -v[217:218], v[221:222], v[223:224]
	v_div_fmas_f64 v[217:218], v[217:218], v[219:220], v[221:222]
	v_div_fixup_f64 v[219:220], v[217:218], v[213:214], v[215:216]
	v_fma_f64 v[213:214], v[215:216], v[219:220], v[213:214]
	v_div_scale_f64 v[215:216], null, v[213:214], v[213:214], 1.0
	v_rcp_f64_e32 v[217:218], v[215:216]
	v_fma_f64 v[221:222], -v[215:216], v[217:218], 1.0
	v_fma_f64 v[217:218], v[217:218], v[221:222], v[217:218]
	v_fma_f64 v[221:222], -v[215:216], v[217:218], 1.0
	v_fma_f64 v[217:218], v[217:218], v[221:222], v[217:218]
	v_div_scale_f64 v[221:222], vcc_lo, 1.0, v[213:214], 1.0
	v_mul_f64 v[223:224], v[221:222], v[217:218]
	v_fma_f64 v[215:216], -v[215:216], v[223:224], v[221:222]
	v_div_fmas_f64 v[215:216], v[215:216], v[217:218], v[223:224]
	v_div_fixup_f64 v[217:218], v[215:216], v[213:214], 1.0
	v_mul_f64 v[219:220], v[219:220], -v[217:218]
.LBB111_421:
	s_or_b32 exec_lo, exec_lo, s1
	ds_write2_b64 v255, v[217:218], v[219:220] offset1:1
.LBB111_422:
	s_or_b32 exec_lo, exec_lo, s2
	s_waitcnt lgkmcnt(0)
	s_barrier
	buffer_gl0_inv
	ds_read2_b64 v[213:216], v255 offset1:1
	s_mov_b32 s1, exec_lo
	s_waitcnt lgkmcnt(0)
	buffer_store_dword v213, off, s[16:19], 0 offset:1256 ; 4-byte Folded Spill
	buffer_store_dword v214, off, s[16:19], 0 offset:1260 ; 4-byte Folded Spill
	;; [unrolled: 1-line block ×4, first 2 shown]
	v_cmpx_lt_u32_e32 46, v0
	s_cbranch_execz .LBB111_424
; %bb.423:
	s_clause 0x3
	buffer_load_dword v219, off, s[16:19], 0 offset:1256
	buffer_load_dword v220, off, s[16:19], 0 offset:1260
	;; [unrolled: 1-line block ×4, first 2 shown]
	s_waitcnt vmcnt(2)
	v_mul_f64 v[213:214], v[219:220], v[39:40]
	s_waitcnt vmcnt(0)
	v_mul_f64 v[39:40], v[221:222], v[39:40]
	v_fma_f64 v[217:218], v[221:222], v[37:38], v[213:214]
	ds_read2_b64 v[213:216], v253 offset0:94 offset1:95
	v_fma_f64 v[37:38], v[219:220], v[37:38], -v[39:40]
	s_waitcnt lgkmcnt(0)
	v_mul_f64 v[39:40], v[215:216], v[217:218]
	v_fma_f64 v[39:40], v[213:214], v[37:38], -v[39:40]
	v_mul_f64 v[213:214], v[213:214], v[217:218]
	v_add_f64 v[33:34], v[33:34], -v[39:40]
	v_fma_f64 v[213:214], v[215:216], v[37:38], v[213:214]
	v_add_f64 v[35:36], v[35:36], -v[213:214]
	ds_read2_b64 v[213:216], v253 offset0:96 offset1:97
	s_waitcnt lgkmcnt(0)
	v_mul_f64 v[39:40], v[215:216], v[217:218]
	v_fma_f64 v[39:40], v[213:214], v[37:38], -v[39:40]
	v_mul_f64 v[213:214], v[213:214], v[217:218]
	v_add_f64 v[29:30], v[29:30], -v[39:40]
	v_fma_f64 v[213:214], v[215:216], v[37:38], v[213:214]
	v_add_f64 v[31:32], v[31:32], -v[213:214]
	ds_read2_b64 v[213:216], v253 offset0:98 offset1:99
	;; [unrolled: 8-line block ×8, first 2 shown]
	s_waitcnt lgkmcnt(0)
	v_mul_f64 v[39:40], v[215:216], v[217:218]
	v_fma_f64 v[39:40], v[213:214], v[37:38], -v[39:40]
	v_mul_f64 v[213:214], v[213:214], v[217:218]
	v_add_f64 v[1:2], v[1:2], -v[39:40]
	v_fma_f64 v[213:214], v[215:216], v[37:38], v[213:214]
	v_mov_b32_e32 v39, v217
	v_mov_b32_e32 v40, v218
	v_add_f64 v[3:4], v[3:4], -v[213:214]
.LBB111_424:
	s_or_b32 exec_lo, exec_lo, s1
	s_mov_b32 s2, exec_lo
	s_waitcnt_vscnt null, 0x0
	s_barrier
	buffer_gl0_inv
	v_cmpx_eq_u32_e32 47, v0
	s_cbranch_execz .LBB111_431
; %bb.425:
	ds_write2_b64 v255, v[33:34], v[35:36] offset1:1
	ds_write2_b64 v253, v[29:30], v[31:32] offset0:96 offset1:97
	ds_write2_b64 v253, v[25:26], v[27:28] offset0:98 offset1:99
	;; [unrolled: 1-line block ×8, first 2 shown]
	ds_read2_b64 v[213:216], v255 offset1:1
	s_waitcnt lgkmcnt(0)
	v_cmp_neq_f64_e32 vcc_lo, 0, v[213:214]
	v_cmp_neq_f64_e64 s1, 0, v[215:216]
	s_or_b32 s1, vcc_lo, s1
	s_and_b32 exec_lo, exec_lo, s1
	s_cbranch_execz .LBB111_431
; %bb.426:
	v_cmp_ngt_f64_e64 s1, |v[213:214]|, |v[215:216]|
                                        ; implicit-def: $vgpr217_vgpr218
	s_and_saveexec_b32 s3, s1
	s_xor_b32 s1, exec_lo, s3
                                        ; implicit-def: $vgpr219_vgpr220
	s_cbranch_execz .LBB111_428
; %bb.427:
	v_div_scale_f64 v[217:218], null, v[215:216], v[215:216], v[213:214]
	v_div_scale_f64 v[223:224], vcc_lo, v[213:214], v[215:216], v[213:214]
	v_rcp_f64_e32 v[219:220], v[217:218]
	v_fma_f64 v[221:222], -v[217:218], v[219:220], 1.0
	v_fma_f64 v[219:220], v[219:220], v[221:222], v[219:220]
	v_fma_f64 v[221:222], -v[217:218], v[219:220], 1.0
	v_fma_f64 v[219:220], v[219:220], v[221:222], v[219:220]
	v_mul_f64 v[221:222], v[223:224], v[219:220]
	v_fma_f64 v[217:218], -v[217:218], v[221:222], v[223:224]
	v_div_fmas_f64 v[217:218], v[217:218], v[219:220], v[221:222]
	v_div_fixup_f64 v[217:218], v[217:218], v[215:216], v[213:214]
	v_fma_f64 v[213:214], v[213:214], v[217:218], v[215:216]
	v_div_scale_f64 v[215:216], null, v[213:214], v[213:214], 1.0
	v_rcp_f64_e32 v[219:220], v[215:216]
	v_fma_f64 v[221:222], -v[215:216], v[219:220], 1.0
	v_fma_f64 v[219:220], v[219:220], v[221:222], v[219:220]
	v_fma_f64 v[221:222], -v[215:216], v[219:220], 1.0
	v_fma_f64 v[219:220], v[219:220], v[221:222], v[219:220]
	v_div_scale_f64 v[221:222], vcc_lo, 1.0, v[213:214], 1.0
	v_mul_f64 v[223:224], v[221:222], v[219:220]
	v_fma_f64 v[215:216], -v[215:216], v[223:224], v[221:222]
	v_div_fmas_f64 v[215:216], v[215:216], v[219:220], v[223:224]
	v_div_fixup_f64 v[219:220], v[215:216], v[213:214], 1.0
                                        ; implicit-def: $vgpr213_vgpr214
	v_mul_f64 v[217:218], v[217:218], v[219:220]
	v_xor_b32_e32 v220, 0x80000000, v220
.LBB111_428:
	s_andn2_saveexec_b32 s1, s1
	s_cbranch_execz .LBB111_430
; %bb.429:
	v_div_scale_f64 v[217:218], null, v[213:214], v[213:214], v[215:216]
	v_div_scale_f64 v[223:224], vcc_lo, v[215:216], v[213:214], v[215:216]
	v_rcp_f64_e32 v[219:220], v[217:218]
	v_fma_f64 v[221:222], -v[217:218], v[219:220], 1.0
	v_fma_f64 v[219:220], v[219:220], v[221:222], v[219:220]
	v_fma_f64 v[221:222], -v[217:218], v[219:220], 1.0
	v_fma_f64 v[219:220], v[219:220], v[221:222], v[219:220]
	v_mul_f64 v[221:222], v[223:224], v[219:220]
	v_fma_f64 v[217:218], -v[217:218], v[221:222], v[223:224]
	v_div_fmas_f64 v[217:218], v[217:218], v[219:220], v[221:222]
	v_div_fixup_f64 v[219:220], v[217:218], v[213:214], v[215:216]
	v_fma_f64 v[213:214], v[215:216], v[219:220], v[213:214]
	v_div_scale_f64 v[215:216], null, v[213:214], v[213:214], 1.0
	v_rcp_f64_e32 v[217:218], v[215:216]
	v_fma_f64 v[221:222], -v[215:216], v[217:218], 1.0
	v_fma_f64 v[217:218], v[217:218], v[221:222], v[217:218]
	v_fma_f64 v[221:222], -v[215:216], v[217:218], 1.0
	v_fma_f64 v[217:218], v[217:218], v[221:222], v[217:218]
	v_div_scale_f64 v[221:222], vcc_lo, 1.0, v[213:214], 1.0
	v_mul_f64 v[223:224], v[221:222], v[217:218]
	v_fma_f64 v[215:216], -v[215:216], v[223:224], v[221:222]
	v_div_fmas_f64 v[215:216], v[215:216], v[217:218], v[223:224]
	v_div_fixup_f64 v[217:218], v[215:216], v[213:214], 1.0
	v_mul_f64 v[219:220], v[219:220], -v[217:218]
.LBB111_430:
	s_or_b32 exec_lo, exec_lo, s1
	ds_write2_b64 v255, v[217:218], v[219:220] offset1:1
.LBB111_431:
	s_or_b32 exec_lo, exec_lo, s2
	s_waitcnt lgkmcnt(0)
	s_barrier
	buffer_gl0_inv
	ds_read2_b64 v[213:216], v255 offset1:1
	s_mov_b32 s1, exec_lo
	s_waitcnt lgkmcnt(0)
	buffer_store_dword v213, off, s[16:19], 0 offset:1272 ; 4-byte Folded Spill
	buffer_store_dword v214, off, s[16:19], 0 offset:1276 ; 4-byte Folded Spill
	;; [unrolled: 1-line block ×4, first 2 shown]
	v_cmpx_lt_u32_e32 47, v0
	s_cbranch_execz .LBB111_433
; %bb.432:
	s_clause 0x3
	buffer_load_dword v219, off, s[16:19], 0 offset:1272
	buffer_load_dword v220, off, s[16:19], 0 offset:1276
	;; [unrolled: 1-line block ×4, first 2 shown]
	s_waitcnt vmcnt(2)
	v_mul_f64 v[213:214], v[219:220], v[35:36]
	s_waitcnt vmcnt(0)
	v_mul_f64 v[35:36], v[221:222], v[35:36]
	v_fma_f64 v[217:218], v[221:222], v[33:34], v[213:214]
	ds_read2_b64 v[213:216], v253 offset0:96 offset1:97
	v_fma_f64 v[33:34], v[219:220], v[33:34], -v[35:36]
	s_waitcnt lgkmcnt(0)
	v_mul_f64 v[35:36], v[215:216], v[217:218]
	v_fma_f64 v[35:36], v[213:214], v[33:34], -v[35:36]
	v_mul_f64 v[213:214], v[213:214], v[217:218]
	v_add_f64 v[29:30], v[29:30], -v[35:36]
	v_fma_f64 v[213:214], v[215:216], v[33:34], v[213:214]
	v_add_f64 v[31:32], v[31:32], -v[213:214]
	ds_read2_b64 v[213:216], v253 offset0:98 offset1:99
	s_waitcnt lgkmcnt(0)
	v_mul_f64 v[35:36], v[215:216], v[217:218]
	v_fma_f64 v[35:36], v[213:214], v[33:34], -v[35:36]
	v_mul_f64 v[213:214], v[213:214], v[217:218]
	v_add_f64 v[25:26], v[25:26], -v[35:36]
	v_fma_f64 v[213:214], v[215:216], v[33:34], v[213:214]
	v_add_f64 v[27:28], v[27:28], -v[213:214]
	ds_read2_b64 v[213:216], v253 offset0:100 offset1:101
	;; [unrolled: 8-line block ×7, first 2 shown]
	s_waitcnt lgkmcnt(0)
	v_mul_f64 v[35:36], v[215:216], v[217:218]
	v_fma_f64 v[35:36], v[213:214], v[33:34], -v[35:36]
	v_mul_f64 v[213:214], v[213:214], v[217:218]
	v_add_f64 v[1:2], v[1:2], -v[35:36]
	v_fma_f64 v[213:214], v[215:216], v[33:34], v[213:214]
	v_mov_b32_e32 v35, v217
	v_mov_b32_e32 v36, v218
	v_add_f64 v[3:4], v[3:4], -v[213:214]
.LBB111_433:
	s_or_b32 exec_lo, exec_lo, s1
	s_mov_b32 s2, exec_lo
	s_waitcnt_vscnt null, 0x0
	s_barrier
	buffer_gl0_inv
	v_cmpx_eq_u32_e32 48, v0
	s_cbranch_execz .LBB111_440
; %bb.434:
	ds_write2_b64 v255, v[29:30], v[31:32] offset1:1
	ds_write2_b64 v253, v[25:26], v[27:28] offset0:98 offset1:99
	ds_write2_b64 v253, v[21:22], v[23:24] offset0:100 offset1:101
	;; [unrolled: 1-line block ×7, first 2 shown]
	ds_read2_b64 v[213:216], v255 offset1:1
	s_waitcnt lgkmcnt(0)
	v_cmp_neq_f64_e32 vcc_lo, 0, v[213:214]
	v_cmp_neq_f64_e64 s1, 0, v[215:216]
	s_or_b32 s1, vcc_lo, s1
	s_and_b32 exec_lo, exec_lo, s1
	s_cbranch_execz .LBB111_440
; %bb.435:
	v_cmp_ngt_f64_e64 s1, |v[213:214]|, |v[215:216]|
                                        ; implicit-def: $vgpr217_vgpr218
	s_and_saveexec_b32 s3, s1
	s_xor_b32 s1, exec_lo, s3
                                        ; implicit-def: $vgpr219_vgpr220
	s_cbranch_execz .LBB111_437
; %bb.436:
	v_div_scale_f64 v[217:218], null, v[215:216], v[215:216], v[213:214]
	v_div_scale_f64 v[223:224], vcc_lo, v[213:214], v[215:216], v[213:214]
	v_rcp_f64_e32 v[219:220], v[217:218]
	v_fma_f64 v[221:222], -v[217:218], v[219:220], 1.0
	v_fma_f64 v[219:220], v[219:220], v[221:222], v[219:220]
	v_fma_f64 v[221:222], -v[217:218], v[219:220], 1.0
	v_fma_f64 v[219:220], v[219:220], v[221:222], v[219:220]
	v_mul_f64 v[221:222], v[223:224], v[219:220]
	v_fma_f64 v[217:218], -v[217:218], v[221:222], v[223:224]
	v_div_fmas_f64 v[217:218], v[217:218], v[219:220], v[221:222]
	v_div_fixup_f64 v[217:218], v[217:218], v[215:216], v[213:214]
	v_fma_f64 v[213:214], v[213:214], v[217:218], v[215:216]
	v_div_scale_f64 v[215:216], null, v[213:214], v[213:214], 1.0
	v_rcp_f64_e32 v[219:220], v[215:216]
	v_fma_f64 v[221:222], -v[215:216], v[219:220], 1.0
	v_fma_f64 v[219:220], v[219:220], v[221:222], v[219:220]
	v_fma_f64 v[221:222], -v[215:216], v[219:220], 1.0
	v_fma_f64 v[219:220], v[219:220], v[221:222], v[219:220]
	v_div_scale_f64 v[221:222], vcc_lo, 1.0, v[213:214], 1.0
	v_mul_f64 v[223:224], v[221:222], v[219:220]
	v_fma_f64 v[215:216], -v[215:216], v[223:224], v[221:222]
	v_div_fmas_f64 v[215:216], v[215:216], v[219:220], v[223:224]
	v_div_fixup_f64 v[219:220], v[215:216], v[213:214], 1.0
                                        ; implicit-def: $vgpr213_vgpr214
	v_mul_f64 v[217:218], v[217:218], v[219:220]
	v_xor_b32_e32 v220, 0x80000000, v220
.LBB111_437:
	s_andn2_saveexec_b32 s1, s1
	s_cbranch_execz .LBB111_439
; %bb.438:
	v_div_scale_f64 v[217:218], null, v[213:214], v[213:214], v[215:216]
	v_div_scale_f64 v[223:224], vcc_lo, v[215:216], v[213:214], v[215:216]
	v_rcp_f64_e32 v[219:220], v[217:218]
	v_fma_f64 v[221:222], -v[217:218], v[219:220], 1.0
	v_fma_f64 v[219:220], v[219:220], v[221:222], v[219:220]
	v_fma_f64 v[221:222], -v[217:218], v[219:220], 1.0
	v_fma_f64 v[219:220], v[219:220], v[221:222], v[219:220]
	v_mul_f64 v[221:222], v[223:224], v[219:220]
	v_fma_f64 v[217:218], -v[217:218], v[221:222], v[223:224]
	v_div_fmas_f64 v[217:218], v[217:218], v[219:220], v[221:222]
	v_div_fixup_f64 v[219:220], v[217:218], v[213:214], v[215:216]
	v_fma_f64 v[213:214], v[215:216], v[219:220], v[213:214]
	v_div_scale_f64 v[215:216], null, v[213:214], v[213:214], 1.0
	v_rcp_f64_e32 v[217:218], v[215:216]
	v_fma_f64 v[221:222], -v[215:216], v[217:218], 1.0
	v_fma_f64 v[217:218], v[217:218], v[221:222], v[217:218]
	v_fma_f64 v[221:222], -v[215:216], v[217:218], 1.0
	v_fma_f64 v[217:218], v[217:218], v[221:222], v[217:218]
	v_div_scale_f64 v[221:222], vcc_lo, 1.0, v[213:214], 1.0
	v_mul_f64 v[223:224], v[221:222], v[217:218]
	v_fma_f64 v[215:216], -v[215:216], v[223:224], v[221:222]
	v_div_fmas_f64 v[215:216], v[215:216], v[217:218], v[223:224]
	v_div_fixup_f64 v[217:218], v[215:216], v[213:214], 1.0
	v_mul_f64 v[219:220], v[219:220], -v[217:218]
.LBB111_439:
	s_or_b32 exec_lo, exec_lo, s1
	ds_write2_b64 v255, v[217:218], v[219:220] offset1:1
.LBB111_440:
	s_or_b32 exec_lo, exec_lo, s2
	s_waitcnt lgkmcnt(0)
	s_barrier
	buffer_gl0_inv
	ds_read2_b64 v[249:252], v255 offset1:1
	s_mov_b32 s1, exec_lo
	v_cmpx_lt_u32_e32 48, v0
	s_cbranch_execz .LBB111_442
; %bb.441:
	s_waitcnt lgkmcnt(0)
	v_mul_f64 v[213:214], v[249:250], v[31:32]
	v_mul_f64 v[31:32], v[251:252], v[31:32]
	v_fma_f64 v[217:218], v[251:252], v[29:30], v[213:214]
	ds_read2_b64 v[213:216], v253 offset0:98 offset1:99
	v_fma_f64 v[29:30], v[249:250], v[29:30], -v[31:32]
	s_waitcnt lgkmcnt(0)
	v_mul_f64 v[31:32], v[215:216], v[217:218]
	v_fma_f64 v[31:32], v[213:214], v[29:30], -v[31:32]
	v_mul_f64 v[213:214], v[213:214], v[217:218]
	v_add_f64 v[25:26], v[25:26], -v[31:32]
	v_fma_f64 v[213:214], v[215:216], v[29:30], v[213:214]
	v_add_f64 v[27:28], v[27:28], -v[213:214]
	ds_read2_b64 v[213:216], v253 offset0:100 offset1:101
	s_waitcnt lgkmcnt(0)
	v_mul_f64 v[31:32], v[215:216], v[217:218]
	v_fma_f64 v[31:32], v[213:214], v[29:30], -v[31:32]
	v_mul_f64 v[213:214], v[213:214], v[217:218]
	v_add_f64 v[21:22], v[21:22], -v[31:32]
	v_fma_f64 v[213:214], v[215:216], v[29:30], v[213:214]
	v_add_f64 v[23:24], v[23:24], -v[213:214]
	ds_read2_b64 v[213:216], v253 offset0:102 offset1:103
	s_waitcnt lgkmcnt(0)
	v_mul_f64 v[31:32], v[215:216], v[217:218]
	v_fma_f64 v[31:32], v[213:214], v[29:30], -v[31:32]
	v_mul_f64 v[213:214], v[213:214], v[217:218]
	v_add_f64 v[17:18], v[17:18], -v[31:32]
	v_fma_f64 v[213:214], v[215:216], v[29:30], v[213:214]
	v_add_f64 v[19:20], v[19:20], -v[213:214]
	ds_read2_b64 v[213:216], v253 offset0:104 offset1:105
	s_waitcnt lgkmcnt(0)
	v_mul_f64 v[31:32], v[215:216], v[217:218]
	v_fma_f64 v[31:32], v[213:214], v[29:30], -v[31:32]
	v_mul_f64 v[213:214], v[213:214], v[217:218]
	v_add_f64 v[13:14], v[13:14], -v[31:32]
	v_fma_f64 v[213:214], v[215:216], v[29:30], v[213:214]
	v_add_f64 v[15:16], v[15:16], -v[213:214]
	ds_read2_b64 v[213:216], v253 offset0:106 offset1:107
	s_waitcnt lgkmcnt(0)
	v_mul_f64 v[31:32], v[215:216], v[217:218]
	v_fma_f64 v[31:32], v[213:214], v[29:30], -v[31:32]
	v_mul_f64 v[213:214], v[213:214], v[217:218]
	v_add_f64 v[9:10], v[9:10], -v[31:32]
	v_fma_f64 v[213:214], v[215:216], v[29:30], v[213:214]
	v_add_f64 v[11:12], v[11:12], -v[213:214]
	ds_read2_b64 v[213:216], v253 offset0:108 offset1:109
	s_waitcnt lgkmcnt(0)
	v_mul_f64 v[31:32], v[215:216], v[217:218]
	v_fma_f64 v[31:32], v[213:214], v[29:30], -v[31:32]
	v_mul_f64 v[213:214], v[213:214], v[217:218]
	v_add_f64 v[5:6], v[5:6], -v[31:32]
	v_fma_f64 v[213:214], v[215:216], v[29:30], v[213:214]
	v_add_f64 v[7:8], v[7:8], -v[213:214]
	ds_read2_b64 v[213:216], v253 offset0:110 offset1:111
	s_waitcnt lgkmcnt(0)
	v_mul_f64 v[31:32], v[215:216], v[217:218]
	v_fma_f64 v[31:32], v[213:214], v[29:30], -v[31:32]
	v_mul_f64 v[213:214], v[213:214], v[217:218]
	v_add_f64 v[1:2], v[1:2], -v[31:32]
	v_fma_f64 v[213:214], v[215:216], v[29:30], v[213:214]
	v_mov_b32_e32 v31, v217
	v_mov_b32_e32 v32, v218
	v_add_f64 v[3:4], v[3:4], -v[213:214]
.LBB111_442:
	s_or_b32 exec_lo, exec_lo, s1
	s_mov_b32 s2, exec_lo
	s_waitcnt lgkmcnt(0)
	s_barrier
	buffer_gl0_inv
	v_cmpx_eq_u32_e32 49, v0
	s_cbranch_execz .LBB111_449
; %bb.443:
	ds_write2_b64 v255, v[25:26], v[27:28] offset1:1
	ds_write2_b64 v253, v[21:22], v[23:24] offset0:100 offset1:101
	ds_write2_b64 v253, v[17:18], v[19:20] offset0:102 offset1:103
	;; [unrolled: 1-line block ×6, first 2 shown]
	ds_read2_b64 v[213:216], v255 offset1:1
	s_waitcnt lgkmcnt(0)
	v_cmp_neq_f64_e32 vcc_lo, 0, v[213:214]
	v_cmp_neq_f64_e64 s1, 0, v[215:216]
	s_or_b32 s1, vcc_lo, s1
	s_and_b32 exec_lo, exec_lo, s1
	s_cbranch_execz .LBB111_449
; %bb.444:
	v_cmp_ngt_f64_e64 s1, |v[213:214]|, |v[215:216]|
                                        ; implicit-def: $vgpr217_vgpr218
	s_and_saveexec_b32 s3, s1
	s_xor_b32 s1, exec_lo, s3
                                        ; implicit-def: $vgpr219_vgpr220
	s_cbranch_execz .LBB111_446
; %bb.445:
	v_div_scale_f64 v[217:218], null, v[215:216], v[215:216], v[213:214]
	v_div_scale_f64 v[223:224], vcc_lo, v[213:214], v[215:216], v[213:214]
	v_rcp_f64_e32 v[219:220], v[217:218]
	v_fma_f64 v[221:222], -v[217:218], v[219:220], 1.0
	v_fma_f64 v[219:220], v[219:220], v[221:222], v[219:220]
	v_fma_f64 v[221:222], -v[217:218], v[219:220], 1.0
	v_fma_f64 v[219:220], v[219:220], v[221:222], v[219:220]
	v_mul_f64 v[221:222], v[223:224], v[219:220]
	v_fma_f64 v[217:218], -v[217:218], v[221:222], v[223:224]
	v_div_fmas_f64 v[217:218], v[217:218], v[219:220], v[221:222]
	v_div_fixup_f64 v[217:218], v[217:218], v[215:216], v[213:214]
	v_fma_f64 v[213:214], v[213:214], v[217:218], v[215:216]
	v_div_scale_f64 v[215:216], null, v[213:214], v[213:214], 1.0
	v_rcp_f64_e32 v[219:220], v[215:216]
	v_fma_f64 v[221:222], -v[215:216], v[219:220], 1.0
	v_fma_f64 v[219:220], v[219:220], v[221:222], v[219:220]
	v_fma_f64 v[221:222], -v[215:216], v[219:220], 1.0
	v_fma_f64 v[219:220], v[219:220], v[221:222], v[219:220]
	v_div_scale_f64 v[221:222], vcc_lo, 1.0, v[213:214], 1.0
	v_mul_f64 v[223:224], v[221:222], v[219:220]
	v_fma_f64 v[215:216], -v[215:216], v[223:224], v[221:222]
	v_div_fmas_f64 v[215:216], v[215:216], v[219:220], v[223:224]
	v_div_fixup_f64 v[219:220], v[215:216], v[213:214], 1.0
                                        ; implicit-def: $vgpr213_vgpr214
	v_mul_f64 v[217:218], v[217:218], v[219:220]
	v_xor_b32_e32 v220, 0x80000000, v220
.LBB111_446:
	s_andn2_saveexec_b32 s1, s1
	s_cbranch_execz .LBB111_448
; %bb.447:
	v_div_scale_f64 v[217:218], null, v[213:214], v[213:214], v[215:216]
	v_div_scale_f64 v[223:224], vcc_lo, v[215:216], v[213:214], v[215:216]
	v_rcp_f64_e32 v[219:220], v[217:218]
	v_fma_f64 v[221:222], -v[217:218], v[219:220], 1.0
	v_fma_f64 v[219:220], v[219:220], v[221:222], v[219:220]
	v_fma_f64 v[221:222], -v[217:218], v[219:220], 1.0
	v_fma_f64 v[219:220], v[219:220], v[221:222], v[219:220]
	v_mul_f64 v[221:222], v[223:224], v[219:220]
	v_fma_f64 v[217:218], -v[217:218], v[221:222], v[223:224]
	v_div_fmas_f64 v[217:218], v[217:218], v[219:220], v[221:222]
	v_div_fixup_f64 v[219:220], v[217:218], v[213:214], v[215:216]
	v_fma_f64 v[213:214], v[215:216], v[219:220], v[213:214]
	v_div_scale_f64 v[215:216], null, v[213:214], v[213:214], 1.0
	v_rcp_f64_e32 v[217:218], v[215:216]
	v_fma_f64 v[221:222], -v[215:216], v[217:218], 1.0
	v_fma_f64 v[217:218], v[217:218], v[221:222], v[217:218]
	v_fma_f64 v[221:222], -v[215:216], v[217:218], 1.0
	v_fma_f64 v[217:218], v[217:218], v[221:222], v[217:218]
	v_div_scale_f64 v[221:222], vcc_lo, 1.0, v[213:214], 1.0
	v_mul_f64 v[223:224], v[221:222], v[217:218]
	v_fma_f64 v[215:216], -v[215:216], v[223:224], v[221:222]
	v_div_fmas_f64 v[215:216], v[215:216], v[217:218], v[223:224]
	v_div_fixup_f64 v[217:218], v[215:216], v[213:214], 1.0
	v_mul_f64 v[219:220], v[219:220], -v[217:218]
.LBB111_448:
	s_or_b32 exec_lo, exec_lo, s1
	ds_write2_b64 v255, v[217:218], v[219:220] offset1:1
.LBB111_449:
	s_or_b32 exec_lo, exec_lo, s2
	s_waitcnt lgkmcnt(0)
	s_barrier
	buffer_gl0_inv
	ds_read2_b64 v[225:228], v255 offset1:1
	s_mov_b32 s1, exec_lo
	v_cmpx_lt_u32_e32 49, v0
	s_cbranch_execz .LBB111_451
; %bb.450:
	s_waitcnt lgkmcnt(0)
	v_mul_f64 v[213:214], v[225:226], v[27:28]
	v_mul_f64 v[27:28], v[227:228], v[27:28]
	v_fma_f64 v[217:218], v[227:228], v[25:26], v[213:214]
	ds_read2_b64 v[213:216], v253 offset0:100 offset1:101
	v_fma_f64 v[25:26], v[225:226], v[25:26], -v[27:28]
	s_waitcnt lgkmcnt(0)
	v_mul_f64 v[27:28], v[215:216], v[217:218]
	v_fma_f64 v[27:28], v[213:214], v[25:26], -v[27:28]
	v_mul_f64 v[213:214], v[213:214], v[217:218]
	v_add_f64 v[21:22], v[21:22], -v[27:28]
	v_fma_f64 v[213:214], v[215:216], v[25:26], v[213:214]
	v_add_f64 v[23:24], v[23:24], -v[213:214]
	ds_read2_b64 v[213:216], v253 offset0:102 offset1:103
	s_waitcnt lgkmcnt(0)
	v_mul_f64 v[27:28], v[215:216], v[217:218]
	v_fma_f64 v[27:28], v[213:214], v[25:26], -v[27:28]
	v_mul_f64 v[213:214], v[213:214], v[217:218]
	v_add_f64 v[17:18], v[17:18], -v[27:28]
	v_fma_f64 v[213:214], v[215:216], v[25:26], v[213:214]
	v_add_f64 v[19:20], v[19:20], -v[213:214]
	ds_read2_b64 v[213:216], v253 offset0:104 offset1:105
	;; [unrolled: 8-line block ×5, first 2 shown]
	s_waitcnt lgkmcnt(0)
	v_mul_f64 v[27:28], v[215:216], v[217:218]
	v_fma_f64 v[27:28], v[213:214], v[25:26], -v[27:28]
	v_mul_f64 v[213:214], v[213:214], v[217:218]
	v_add_f64 v[1:2], v[1:2], -v[27:28]
	v_fma_f64 v[213:214], v[215:216], v[25:26], v[213:214]
	v_mov_b32_e32 v27, v217
	v_mov_b32_e32 v28, v218
	v_add_f64 v[3:4], v[3:4], -v[213:214]
.LBB111_451:
	s_or_b32 exec_lo, exec_lo, s1
	s_mov_b32 s2, exec_lo
	s_waitcnt lgkmcnt(0)
	s_barrier
	buffer_gl0_inv
	v_cmpx_eq_u32_e32 50, v0
	s_cbranch_execz .LBB111_458
; %bb.452:
	ds_write2_b64 v255, v[21:22], v[23:24] offset1:1
	ds_write2_b64 v253, v[17:18], v[19:20] offset0:102 offset1:103
	ds_write2_b64 v253, v[13:14], v[15:16] offset0:104 offset1:105
	;; [unrolled: 1-line block ×5, first 2 shown]
	ds_read2_b64 v[213:216], v255 offset1:1
	s_waitcnt lgkmcnt(0)
	v_cmp_neq_f64_e32 vcc_lo, 0, v[213:214]
	v_cmp_neq_f64_e64 s1, 0, v[215:216]
	s_or_b32 s1, vcc_lo, s1
	s_and_b32 exec_lo, exec_lo, s1
	s_cbranch_execz .LBB111_458
; %bb.453:
	v_cmp_ngt_f64_e64 s1, |v[213:214]|, |v[215:216]|
                                        ; implicit-def: $vgpr217_vgpr218
	s_and_saveexec_b32 s3, s1
	s_xor_b32 s1, exec_lo, s3
                                        ; implicit-def: $vgpr219_vgpr220
	s_cbranch_execz .LBB111_455
; %bb.454:
	v_div_scale_f64 v[217:218], null, v[215:216], v[215:216], v[213:214]
	v_div_scale_f64 v[223:224], vcc_lo, v[213:214], v[215:216], v[213:214]
	v_rcp_f64_e32 v[219:220], v[217:218]
	v_fma_f64 v[221:222], -v[217:218], v[219:220], 1.0
	v_fma_f64 v[219:220], v[219:220], v[221:222], v[219:220]
	v_fma_f64 v[221:222], -v[217:218], v[219:220], 1.0
	v_fma_f64 v[219:220], v[219:220], v[221:222], v[219:220]
	v_mul_f64 v[221:222], v[223:224], v[219:220]
	v_fma_f64 v[217:218], -v[217:218], v[221:222], v[223:224]
	v_div_fmas_f64 v[217:218], v[217:218], v[219:220], v[221:222]
	v_div_fixup_f64 v[217:218], v[217:218], v[215:216], v[213:214]
	v_fma_f64 v[213:214], v[213:214], v[217:218], v[215:216]
	v_div_scale_f64 v[215:216], null, v[213:214], v[213:214], 1.0
	v_rcp_f64_e32 v[219:220], v[215:216]
	v_fma_f64 v[221:222], -v[215:216], v[219:220], 1.0
	v_fma_f64 v[219:220], v[219:220], v[221:222], v[219:220]
	v_fma_f64 v[221:222], -v[215:216], v[219:220], 1.0
	v_fma_f64 v[219:220], v[219:220], v[221:222], v[219:220]
	v_div_scale_f64 v[221:222], vcc_lo, 1.0, v[213:214], 1.0
	v_mul_f64 v[223:224], v[221:222], v[219:220]
	v_fma_f64 v[215:216], -v[215:216], v[223:224], v[221:222]
	v_div_fmas_f64 v[215:216], v[215:216], v[219:220], v[223:224]
	v_div_fixup_f64 v[219:220], v[215:216], v[213:214], 1.0
                                        ; implicit-def: $vgpr213_vgpr214
	v_mul_f64 v[217:218], v[217:218], v[219:220]
	v_xor_b32_e32 v220, 0x80000000, v220
.LBB111_455:
	s_andn2_saveexec_b32 s1, s1
	s_cbranch_execz .LBB111_457
; %bb.456:
	v_div_scale_f64 v[217:218], null, v[213:214], v[213:214], v[215:216]
	v_div_scale_f64 v[223:224], vcc_lo, v[215:216], v[213:214], v[215:216]
	v_rcp_f64_e32 v[219:220], v[217:218]
	v_fma_f64 v[221:222], -v[217:218], v[219:220], 1.0
	v_fma_f64 v[219:220], v[219:220], v[221:222], v[219:220]
	v_fma_f64 v[221:222], -v[217:218], v[219:220], 1.0
	v_fma_f64 v[219:220], v[219:220], v[221:222], v[219:220]
	v_mul_f64 v[221:222], v[223:224], v[219:220]
	v_fma_f64 v[217:218], -v[217:218], v[221:222], v[223:224]
	v_div_fmas_f64 v[217:218], v[217:218], v[219:220], v[221:222]
	v_div_fixup_f64 v[219:220], v[217:218], v[213:214], v[215:216]
	v_fma_f64 v[213:214], v[215:216], v[219:220], v[213:214]
	v_div_scale_f64 v[215:216], null, v[213:214], v[213:214], 1.0
	v_rcp_f64_e32 v[217:218], v[215:216]
	v_fma_f64 v[221:222], -v[215:216], v[217:218], 1.0
	v_fma_f64 v[217:218], v[217:218], v[221:222], v[217:218]
	v_fma_f64 v[221:222], -v[215:216], v[217:218], 1.0
	v_fma_f64 v[217:218], v[217:218], v[221:222], v[217:218]
	v_div_scale_f64 v[221:222], vcc_lo, 1.0, v[213:214], 1.0
	v_mul_f64 v[223:224], v[221:222], v[217:218]
	v_fma_f64 v[215:216], -v[215:216], v[223:224], v[221:222]
	v_div_fmas_f64 v[215:216], v[215:216], v[217:218], v[223:224]
	v_div_fixup_f64 v[217:218], v[215:216], v[213:214], 1.0
	v_mul_f64 v[219:220], v[219:220], -v[217:218]
.LBB111_457:
	s_or_b32 exec_lo, exec_lo, s1
	ds_write2_b64 v255, v[217:218], v[219:220] offset1:1
.LBB111_458:
	s_or_b32 exec_lo, exec_lo, s2
	s_waitcnt lgkmcnt(0)
	s_barrier
	buffer_gl0_inv
	ds_read2_b64 v[229:232], v255 offset1:1
	s_mov_b32 s1, exec_lo
	v_cmpx_lt_u32_e32 50, v0
	s_cbranch_execz .LBB111_460
; %bb.459:
	s_waitcnt lgkmcnt(0)
	v_mul_f64 v[213:214], v[229:230], v[23:24]
	v_mul_f64 v[23:24], v[231:232], v[23:24]
	v_fma_f64 v[217:218], v[231:232], v[21:22], v[213:214]
	ds_read2_b64 v[213:216], v253 offset0:102 offset1:103
	v_fma_f64 v[21:22], v[229:230], v[21:22], -v[23:24]
	s_waitcnt lgkmcnt(0)
	v_mul_f64 v[23:24], v[215:216], v[217:218]
	v_fma_f64 v[23:24], v[213:214], v[21:22], -v[23:24]
	v_mul_f64 v[213:214], v[213:214], v[217:218]
	v_add_f64 v[17:18], v[17:18], -v[23:24]
	v_fma_f64 v[213:214], v[215:216], v[21:22], v[213:214]
	v_add_f64 v[19:20], v[19:20], -v[213:214]
	ds_read2_b64 v[213:216], v253 offset0:104 offset1:105
	s_waitcnt lgkmcnt(0)
	v_mul_f64 v[23:24], v[215:216], v[217:218]
	v_fma_f64 v[23:24], v[213:214], v[21:22], -v[23:24]
	v_mul_f64 v[213:214], v[213:214], v[217:218]
	v_add_f64 v[13:14], v[13:14], -v[23:24]
	v_fma_f64 v[213:214], v[215:216], v[21:22], v[213:214]
	v_add_f64 v[15:16], v[15:16], -v[213:214]
	ds_read2_b64 v[213:216], v253 offset0:106 offset1:107
	;; [unrolled: 8-line block ×4, first 2 shown]
	s_waitcnt lgkmcnt(0)
	v_mul_f64 v[23:24], v[215:216], v[217:218]
	v_fma_f64 v[23:24], v[213:214], v[21:22], -v[23:24]
	v_mul_f64 v[213:214], v[213:214], v[217:218]
	v_add_f64 v[1:2], v[1:2], -v[23:24]
	v_fma_f64 v[213:214], v[215:216], v[21:22], v[213:214]
	v_mov_b32_e32 v23, v217
	v_mov_b32_e32 v24, v218
	v_add_f64 v[3:4], v[3:4], -v[213:214]
.LBB111_460:
	s_or_b32 exec_lo, exec_lo, s1
	s_mov_b32 s2, exec_lo
	s_waitcnt lgkmcnt(0)
	s_barrier
	buffer_gl0_inv
	v_cmpx_eq_u32_e32 51, v0
	s_cbranch_execz .LBB111_467
; %bb.461:
	ds_write2_b64 v255, v[17:18], v[19:20] offset1:1
	ds_write2_b64 v253, v[13:14], v[15:16] offset0:104 offset1:105
	ds_write2_b64 v253, v[9:10], v[11:12] offset0:106 offset1:107
	;; [unrolled: 1-line block ×4, first 2 shown]
	ds_read2_b64 v[213:216], v255 offset1:1
	s_waitcnt lgkmcnt(0)
	v_cmp_neq_f64_e32 vcc_lo, 0, v[213:214]
	v_cmp_neq_f64_e64 s1, 0, v[215:216]
	s_or_b32 s1, vcc_lo, s1
	s_and_b32 exec_lo, exec_lo, s1
	s_cbranch_execz .LBB111_467
; %bb.462:
	v_cmp_ngt_f64_e64 s1, |v[213:214]|, |v[215:216]|
                                        ; implicit-def: $vgpr217_vgpr218
	s_and_saveexec_b32 s3, s1
	s_xor_b32 s1, exec_lo, s3
                                        ; implicit-def: $vgpr219_vgpr220
	s_cbranch_execz .LBB111_464
; %bb.463:
	v_div_scale_f64 v[217:218], null, v[215:216], v[215:216], v[213:214]
	v_div_scale_f64 v[223:224], vcc_lo, v[213:214], v[215:216], v[213:214]
	v_rcp_f64_e32 v[219:220], v[217:218]
	v_fma_f64 v[221:222], -v[217:218], v[219:220], 1.0
	v_fma_f64 v[219:220], v[219:220], v[221:222], v[219:220]
	v_fma_f64 v[221:222], -v[217:218], v[219:220], 1.0
	v_fma_f64 v[219:220], v[219:220], v[221:222], v[219:220]
	v_mul_f64 v[221:222], v[223:224], v[219:220]
	v_fma_f64 v[217:218], -v[217:218], v[221:222], v[223:224]
	v_div_fmas_f64 v[217:218], v[217:218], v[219:220], v[221:222]
	v_div_fixup_f64 v[217:218], v[217:218], v[215:216], v[213:214]
	v_fma_f64 v[213:214], v[213:214], v[217:218], v[215:216]
	v_div_scale_f64 v[215:216], null, v[213:214], v[213:214], 1.0
	v_rcp_f64_e32 v[219:220], v[215:216]
	v_fma_f64 v[221:222], -v[215:216], v[219:220], 1.0
	v_fma_f64 v[219:220], v[219:220], v[221:222], v[219:220]
	v_fma_f64 v[221:222], -v[215:216], v[219:220], 1.0
	v_fma_f64 v[219:220], v[219:220], v[221:222], v[219:220]
	v_div_scale_f64 v[221:222], vcc_lo, 1.0, v[213:214], 1.0
	v_mul_f64 v[223:224], v[221:222], v[219:220]
	v_fma_f64 v[215:216], -v[215:216], v[223:224], v[221:222]
	v_div_fmas_f64 v[215:216], v[215:216], v[219:220], v[223:224]
	v_div_fixup_f64 v[219:220], v[215:216], v[213:214], 1.0
                                        ; implicit-def: $vgpr213_vgpr214
	v_mul_f64 v[217:218], v[217:218], v[219:220]
	v_xor_b32_e32 v220, 0x80000000, v220
.LBB111_464:
	s_andn2_saveexec_b32 s1, s1
	s_cbranch_execz .LBB111_466
; %bb.465:
	v_div_scale_f64 v[217:218], null, v[213:214], v[213:214], v[215:216]
	v_div_scale_f64 v[223:224], vcc_lo, v[215:216], v[213:214], v[215:216]
	v_rcp_f64_e32 v[219:220], v[217:218]
	v_fma_f64 v[221:222], -v[217:218], v[219:220], 1.0
	v_fma_f64 v[219:220], v[219:220], v[221:222], v[219:220]
	v_fma_f64 v[221:222], -v[217:218], v[219:220], 1.0
	v_fma_f64 v[219:220], v[219:220], v[221:222], v[219:220]
	v_mul_f64 v[221:222], v[223:224], v[219:220]
	v_fma_f64 v[217:218], -v[217:218], v[221:222], v[223:224]
	v_div_fmas_f64 v[217:218], v[217:218], v[219:220], v[221:222]
	v_div_fixup_f64 v[219:220], v[217:218], v[213:214], v[215:216]
	v_fma_f64 v[213:214], v[215:216], v[219:220], v[213:214]
	v_div_scale_f64 v[215:216], null, v[213:214], v[213:214], 1.0
	v_rcp_f64_e32 v[217:218], v[215:216]
	v_fma_f64 v[221:222], -v[215:216], v[217:218], 1.0
	v_fma_f64 v[217:218], v[217:218], v[221:222], v[217:218]
	v_fma_f64 v[221:222], -v[215:216], v[217:218], 1.0
	v_fma_f64 v[217:218], v[217:218], v[221:222], v[217:218]
	v_div_scale_f64 v[221:222], vcc_lo, 1.0, v[213:214], 1.0
	v_mul_f64 v[223:224], v[221:222], v[217:218]
	v_fma_f64 v[215:216], -v[215:216], v[223:224], v[221:222]
	v_div_fmas_f64 v[215:216], v[215:216], v[217:218], v[223:224]
	v_div_fixup_f64 v[217:218], v[215:216], v[213:214], 1.0
	v_mul_f64 v[219:220], v[219:220], -v[217:218]
.LBB111_466:
	s_or_b32 exec_lo, exec_lo, s1
	ds_write2_b64 v255, v[217:218], v[219:220] offset1:1
.LBB111_467:
	s_or_b32 exec_lo, exec_lo, s2
	s_waitcnt lgkmcnt(0)
	s_barrier
	buffer_gl0_inv
	ds_read2_b64 v[233:236], v255 offset1:1
	s_mov_b32 s1, exec_lo
	v_cmpx_lt_u32_e32 51, v0
	s_cbranch_execz .LBB111_469
; %bb.468:
	s_waitcnt lgkmcnt(0)
	v_mul_f64 v[213:214], v[233:234], v[19:20]
	v_mul_f64 v[19:20], v[235:236], v[19:20]
	v_fma_f64 v[217:218], v[235:236], v[17:18], v[213:214]
	ds_read2_b64 v[213:216], v253 offset0:104 offset1:105
	v_fma_f64 v[17:18], v[233:234], v[17:18], -v[19:20]
	s_waitcnt lgkmcnt(0)
	v_mul_f64 v[19:20], v[215:216], v[217:218]
	v_fma_f64 v[19:20], v[213:214], v[17:18], -v[19:20]
	v_mul_f64 v[213:214], v[213:214], v[217:218]
	v_add_f64 v[13:14], v[13:14], -v[19:20]
	v_fma_f64 v[213:214], v[215:216], v[17:18], v[213:214]
	v_add_f64 v[15:16], v[15:16], -v[213:214]
	ds_read2_b64 v[213:216], v253 offset0:106 offset1:107
	s_waitcnt lgkmcnt(0)
	v_mul_f64 v[19:20], v[215:216], v[217:218]
	v_fma_f64 v[19:20], v[213:214], v[17:18], -v[19:20]
	v_mul_f64 v[213:214], v[213:214], v[217:218]
	v_add_f64 v[9:10], v[9:10], -v[19:20]
	v_fma_f64 v[213:214], v[215:216], v[17:18], v[213:214]
	v_add_f64 v[11:12], v[11:12], -v[213:214]
	ds_read2_b64 v[213:216], v253 offset0:108 offset1:109
	;; [unrolled: 8-line block ×3, first 2 shown]
	s_waitcnt lgkmcnt(0)
	v_mul_f64 v[19:20], v[215:216], v[217:218]
	v_fma_f64 v[19:20], v[213:214], v[17:18], -v[19:20]
	v_mul_f64 v[213:214], v[213:214], v[217:218]
	v_add_f64 v[1:2], v[1:2], -v[19:20]
	v_fma_f64 v[213:214], v[215:216], v[17:18], v[213:214]
	v_mov_b32_e32 v19, v217
	v_mov_b32_e32 v20, v218
	v_add_f64 v[3:4], v[3:4], -v[213:214]
.LBB111_469:
	s_or_b32 exec_lo, exec_lo, s1
	s_mov_b32 s2, exec_lo
	s_waitcnt lgkmcnt(0)
	s_barrier
	buffer_gl0_inv
	v_cmpx_eq_u32_e32 52, v0
	s_cbranch_execz .LBB111_476
; %bb.470:
	ds_write2_b64 v255, v[13:14], v[15:16] offset1:1
	ds_write2_b64 v253, v[9:10], v[11:12] offset0:106 offset1:107
	ds_write2_b64 v253, v[5:6], v[7:8] offset0:108 offset1:109
	;; [unrolled: 1-line block ×3, first 2 shown]
	ds_read2_b64 v[213:216], v255 offset1:1
	s_waitcnt lgkmcnt(0)
	v_cmp_neq_f64_e32 vcc_lo, 0, v[213:214]
	v_cmp_neq_f64_e64 s1, 0, v[215:216]
	s_or_b32 s1, vcc_lo, s1
	s_and_b32 exec_lo, exec_lo, s1
	s_cbranch_execz .LBB111_476
; %bb.471:
	v_cmp_ngt_f64_e64 s1, |v[213:214]|, |v[215:216]|
                                        ; implicit-def: $vgpr217_vgpr218
	s_and_saveexec_b32 s3, s1
	s_xor_b32 s1, exec_lo, s3
                                        ; implicit-def: $vgpr219_vgpr220
	s_cbranch_execz .LBB111_473
; %bb.472:
	v_div_scale_f64 v[217:218], null, v[215:216], v[215:216], v[213:214]
	v_div_scale_f64 v[223:224], vcc_lo, v[213:214], v[215:216], v[213:214]
	v_rcp_f64_e32 v[219:220], v[217:218]
	v_fma_f64 v[221:222], -v[217:218], v[219:220], 1.0
	v_fma_f64 v[219:220], v[219:220], v[221:222], v[219:220]
	v_fma_f64 v[221:222], -v[217:218], v[219:220], 1.0
	v_fma_f64 v[219:220], v[219:220], v[221:222], v[219:220]
	v_mul_f64 v[221:222], v[223:224], v[219:220]
	v_fma_f64 v[217:218], -v[217:218], v[221:222], v[223:224]
	v_div_fmas_f64 v[217:218], v[217:218], v[219:220], v[221:222]
	v_div_fixup_f64 v[217:218], v[217:218], v[215:216], v[213:214]
	v_fma_f64 v[213:214], v[213:214], v[217:218], v[215:216]
	v_div_scale_f64 v[215:216], null, v[213:214], v[213:214], 1.0
	v_rcp_f64_e32 v[219:220], v[215:216]
	v_fma_f64 v[221:222], -v[215:216], v[219:220], 1.0
	v_fma_f64 v[219:220], v[219:220], v[221:222], v[219:220]
	v_fma_f64 v[221:222], -v[215:216], v[219:220], 1.0
	v_fma_f64 v[219:220], v[219:220], v[221:222], v[219:220]
	v_div_scale_f64 v[221:222], vcc_lo, 1.0, v[213:214], 1.0
	v_mul_f64 v[223:224], v[221:222], v[219:220]
	v_fma_f64 v[215:216], -v[215:216], v[223:224], v[221:222]
	v_div_fmas_f64 v[215:216], v[215:216], v[219:220], v[223:224]
	v_div_fixup_f64 v[219:220], v[215:216], v[213:214], 1.0
                                        ; implicit-def: $vgpr213_vgpr214
	v_mul_f64 v[217:218], v[217:218], v[219:220]
	v_xor_b32_e32 v220, 0x80000000, v220
.LBB111_473:
	s_andn2_saveexec_b32 s1, s1
	s_cbranch_execz .LBB111_475
; %bb.474:
	v_div_scale_f64 v[217:218], null, v[213:214], v[213:214], v[215:216]
	v_div_scale_f64 v[223:224], vcc_lo, v[215:216], v[213:214], v[215:216]
	v_rcp_f64_e32 v[219:220], v[217:218]
	v_fma_f64 v[221:222], -v[217:218], v[219:220], 1.0
	v_fma_f64 v[219:220], v[219:220], v[221:222], v[219:220]
	v_fma_f64 v[221:222], -v[217:218], v[219:220], 1.0
	v_fma_f64 v[219:220], v[219:220], v[221:222], v[219:220]
	v_mul_f64 v[221:222], v[223:224], v[219:220]
	v_fma_f64 v[217:218], -v[217:218], v[221:222], v[223:224]
	v_div_fmas_f64 v[217:218], v[217:218], v[219:220], v[221:222]
	v_div_fixup_f64 v[219:220], v[217:218], v[213:214], v[215:216]
	v_fma_f64 v[213:214], v[215:216], v[219:220], v[213:214]
	v_div_scale_f64 v[215:216], null, v[213:214], v[213:214], 1.0
	v_rcp_f64_e32 v[217:218], v[215:216]
	v_fma_f64 v[221:222], -v[215:216], v[217:218], 1.0
	v_fma_f64 v[217:218], v[217:218], v[221:222], v[217:218]
	v_fma_f64 v[221:222], -v[215:216], v[217:218], 1.0
	v_fma_f64 v[217:218], v[217:218], v[221:222], v[217:218]
	v_div_scale_f64 v[221:222], vcc_lo, 1.0, v[213:214], 1.0
	v_mul_f64 v[223:224], v[221:222], v[217:218]
	v_fma_f64 v[215:216], -v[215:216], v[223:224], v[221:222]
	v_div_fmas_f64 v[215:216], v[215:216], v[217:218], v[223:224]
	v_div_fixup_f64 v[217:218], v[215:216], v[213:214], 1.0
	v_mul_f64 v[219:220], v[219:220], -v[217:218]
.LBB111_475:
	s_or_b32 exec_lo, exec_lo, s1
	ds_write2_b64 v255, v[217:218], v[219:220] offset1:1
.LBB111_476:
	s_or_b32 exec_lo, exec_lo, s2
	s_waitcnt lgkmcnt(0)
	s_barrier
	buffer_gl0_inv
	ds_read2_b64 v[221:224], v255 offset1:1
	s_mov_b32 s1, exec_lo
	v_cmpx_lt_u32_e32 52, v0
	s_cbranch_execz .LBB111_478
; %bb.477:
	s_waitcnt lgkmcnt(0)
	v_mul_f64 v[213:214], v[221:222], v[15:16]
	v_mul_f64 v[15:16], v[223:224], v[15:16]
	v_fma_f64 v[217:218], v[223:224], v[13:14], v[213:214]
	ds_read2_b64 v[213:216], v253 offset0:106 offset1:107
	v_fma_f64 v[13:14], v[221:222], v[13:14], -v[15:16]
	s_waitcnt lgkmcnt(0)
	v_mul_f64 v[15:16], v[215:216], v[217:218]
	v_fma_f64 v[15:16], v[213:214], v[13:14], -v[15:16]
	v_mul_f64 v[213:214], v[213:214], v[217:218]
	v_add_f64 v[9:10], v[9:10], -v[15:16]
	v_fma_f64 v[213:214], v[215:216], v[13:14], v[213:214]
	v_add_f64 v[11:12], v[11:12], -v[213:214]
	ds_read2_b64 v[213:216], v253 offset0:108 offset1:109
	s_waitcnt lgkmcnt(0)
	v_mul_f64 v[15:16], v[215:216], v[217:218]
	v_fma_f64 v[15:16], v[213:214], v[13:14], -v[15:16]
	v_mul_f64 v[213:214], v[213:214], v[217:218]
	v_add_f64 v[5:6], v[5:6], -v[15:16]
	v_fma_f64 v[213:214], v[215:216], v[13:14], v[213:214]
	v_add_f64 v[7:8], v[7:8], -v[213:214]
	ds_read2_b64 v[213:216], v253 offset0:110 offset1:111
	s_waitcnt lgkmcnt(0)
	v_mul_f64 v[15:16], v[215:216], v[217:218]
	v_fma_f64 v[15:16], v[213:214], v[13:14], -v[15:16]
	v_mul_f64 v[213:214], v[213:214], v[217:218]
	v_add_f64 v[1:2], v[1:2], -v[15:16]
	v_fma_f64 v[213:214], v[215:216], v[13:14], v[213:214]
	v_mov_b32_e32 v15, v217
	v_mov_b32_e32 v16, v218
	v_add_f64 v[3:4], v[3:4], -v[213:214]
.LBB111_478:
	s_or_b32 exec_lo, exec_lo, s1
	s_mov_b32 s2, exec_lo
	s_waitcnt lgkmcnt(0)
	s_barrier
	buffer_gl0_inv
	v_cmpx_eq_u32_e32 53, v0
	s_cbranch_execz .LBB111_485
; %bb.479:
	ds_write2_b64 v255, v[9:10], v[11:12] offset1:1
	ds_write2_b64 v253, v[5:6], v[7:8] offset0:108 offset1:109
	ds_write2_b64 v253, v[1:2], v[3:4] offset0:110 offset1:111
	ds_read2_b64 v[213:216], v255 offset1:1
	s_waitcnt lgkmcnt(0)
	v_cmp_neq_f64_e32 vcc_lo, 0, v[213:214]
	v_cmp_neq_f64_e64 s1, 0, v[215:216]
	s_or_b32 s1, vcc_lo, s1
	s_and_b32 exec_lo, exec_lo, s1
	s_cbranch_execz .LBB111_485
; %bb.480:
	v_cmp_ngt_f64_e64 s1, |v[213:214]|, |v[215:216]|
                                        ; implicit-def: $vgpr217_vgpr218
	s_and_saveexec_b32 s3, s1
	s_xor_b32 s1, exec_lo, s3
                                        ; implicit-def: $vgpr219_vgpr220
	s_cbranch_execz .LBB111_482
; %bb.481:
	v_div_scale_f64 v[217:218], null, v[215:216], v[215:216], v[213:214]
	v_div_scale_f64 v[239:240], vcc_lo, v[213:214], v[215:216], v[213:214]
	v_rcp_f64_e32 v[219:220], v[217:218]
	v_fma_f64 v[237:238], -v[217:218], v[219:220], 1.0
	v_fma_f64 v[219:220], v[219:220], v[237:238], v[219:220]
	v_fma_f64 v[237:238], -v[217:218], v[219:220], 1.0
	v_fma_f64 v[219:220], v[219:220], v[237:238], v[219:220]
	v_mul_f64 v[237:238], v[239:240], v[219:220]
	v_fma_f64 v[217:218], -v[217:218], v[237:238], v[239:240]
	v_div_fmas_f64 v[217:218], v[217:218], v[219:220], v[237:238]
	v_div_fixup_f64 v[217:218], v[217:218], v[215:216], v[213:214]
	v_fma_f64 v[213:214], v[213:214], v[217:218], v[215:216]
	v_div_scale_f64 v[215:216], null, v[213:214], v[213:214], 1.0
	v_rcp_f64_e32 v[219:220], v[215:216]
	v_fma_f64 v[237:238], -v[215:216], v[219:220], 1.0
	v_fma_f64 v[219:220], v[219:220], v[237:238], v[219:220]
	v_fma_f64 v[237:238], -v[215:216], v[219:220], 1.0
	v_fma_f64 v[219:220], v[219:220], v[237:238], v[219:220]
	v_div_scale_f64 v[237:238], vcc_lo, 1.0, v[213:214], 1.0
	v_mul_f64 v[239:240], v[237:238], v[219:220]
	v_fma_f64 v[215:216], -v[215:216], v[239:240], v[237:238]
	v_div_fmas_f64 v[215:216], v[215:216], v[219:220], v[239:240]
	v_div_fixup_f64 v[219:220], v[215:216], v[213:214], 1.0
                                        ; implicit-def: $vgpr213_vgpr214
	v_mul_f64 v[217:218], v[217:218], v[219:220]
	v_xor_b32_e32 v220, 0x80000000, v220
.LBB111_482:
	s_andn2_saveexec_b32 s1, s1
	s_cbranch_execz .LBB111_484
; %bb.483:
	v_div_scale_f64 v[217:218], null, v[213:214], v[213:214], v[215:216]
	v_div_scale_f64 v[239:240], vcc_lo, v[215:216], v[213:214], v[215:216]
	v_rcp_f64_e32 v[219:220], v[217:218]
	v_fma_f64 v[237:238], -v[217:218], v[219:220], 1.0
	v_fma_f64 v[219:220], v[219:220], v[237:238], v[219:220]
	v_fma_f64 v[237:238], -v[217:218], v[219:220], 1.0
	v_fma_f64 v[219:220], v[219:220], v[237:238], v[219:220]
	v_mul_f64 v[237:238], v[239:240], v[219:220]
	v_fma_f64 v[217:218], -v[217:218], v[237:238], v[239:240]
	v_div_fmas_f64 v[217:218], v[217:218], v[219:220], v[237:238]
	v_div_fixup_f64 v[219:220], v[217:218], v[213:214], v[215:216]
	v_fma_f64 v[213:214], v[215:216], v[219:220], v[213:214]
	v_div_scale_f64 v[215:216], null, v[213:214], v[213:214], 1.0
	v_rcp_f64_e32 v[217:218], v[215:216]
	v_fma_f64 v[237:238], -v[215:216], v[217:218], 1.0
	v_fma_f64 v[217:218], v[217:218], v[237:238], v[217:218]
	v_fma_f64 v[237:238], -v[215:216], v[217:218], 1.0
	v_fma_f64 v[217:218], v[217:218], v[237:238], v[217:218]
	v_div_scale_f64 v[237:238], vcc_lo, 1.0, v[213:214], 1.0
	v_mul_f64 v[239:240], v[237:238], v[217:218]
	v_fma_f64 v[215:216], -v[215:216], v[239:240], v[237:238]
	v_div_fmas_f64 v[215:216], v[215:216], v[217:218], v[239:240]
	v_div_fixup_f64 v[217:218], v[215:216], v[213:214], 1.0
	v_mul_f64 v[219:220], v[219:220], -v[217:218]
.LBB111_484:
	s_or_b32 exec_lo, exec_lo, s1
	ds_write2_b64 v255, v[217:218], v[219:220] offset1:1
.LBB111_485:
	s_or_b32 exec_lo, exec_lo, s2
	s_waitcnt lgkmcnt(0)
	s_barrier
	buffer_gl0_inv
	ds_read2_b64 v[217:220], v255 offset1:1
	s_mov_b32 s1, exec_lo
	v_cmpx_lt_u32_e32 53, v0
	s_cbranch_execz .LBB111_487
; %bb.486:
	s_waitcnt lgkmcnt(0)
	v_mul_f64 v[213:214], v[217:218], v[11:12]
	v_mul_f64 v[11:12], v[219:220], v[11:12]
	v_fma_f64 v[237:238], v[219:220], v[9:10], v[213:214]
	ds_read2_b64 v[213:216], v253 offset0:108 offset1:109
	v_fma_f64 v[9:10], v[217:218], v[9:10], -v[11:12]
	s_waitcnt lgkmcnt(0)
	v_mul_f64 v[11:12], v[215:216], v[237:238]
	v_fma_f64 v[11:12], v[213:214], v[9:10], -v[11:12]
	v_mul_f64 v[213:214], v[213:214], v[237:238]
	v_add_f64 v[5:6], v[5:6], -v[11:12]
	v_fma_f64 v[213:214], v[215:216], v[9:10], v[213:214]
	v_add_f64 v[7:8], v[7:8], -v[213:214]
	ds_read2_b64 v[213:216], v253 offset0:110 offset1:111
	s_waitcnt lgkmcnt(0)
	v_mul_f64 v[11:12], v[215:216], v[237:238]
	v_fma_f64 v[11:12], v[213:214], v[9:10], -v[11:12]
	v_mul_f64 v[213:214], v[213:214], v[237:238]
	v_add_f64 v[1:2], v[1:2], -v[11:12]
	v_fma_f64 v[213:214], v[215:216], v[9:10], v[213:214]
	v_mov_b32_e32 v11, v237
	v_mov_b32_e32 v12, v238
	v_add_f64 v[3:4], v[3:4], -v[213:214]
.LBB111_487:
	s_or_b32 exec_lo, exec_lo, s1
	s_mov_b32 s2, exec_lo
	s_waitcnt lgkmcnt(0)
	s_barrier
	buffer_gl0_inv
	v_cmpx_eq_u32_e32 54, v0
	s_cbranch_execz .LBB111_494
; %bb.488:
	ds_write2_b64 v255, v[5:6], v[7:8] offset1:1
	ds_write2_b64 v253, v[1:2], v[3:4] offset0:110 offset1:111
	ds_read2_b64 v[213:216], v255 offset1:1
	s_waitcnt lgkmcnt(0)
	v_cmp_neq_f64_e32 vcc_lo, 0, v[213:214]
	v_cmp_neq_f64_e64 s1, 0, v[215:216]
	s_or_b32 s1, vcc_lo, s1
	s_and_b32 exec_lo, exec_lo, s1
	s_cbranch_execz .LBB111_494
; %bb.489:
	v_cmp_ngt_f64_e64 s1, |v[213:214]|, |v[215:216]|
                                        ; implicit-def: $vgpr237_vgpr238
	s_and_saveexec_b32 s3, s1
	s_xor_b32 s1, exec_lo, s3
                                        ; implicit-def: $vgpr239_vgpr240
	s_cbranch_execz .LBB111_491
; %bb.490:
	v_div_scale_f64 v[237:238], null, v[215:216], v[215:216], v[213:214]
	v_mov_b32_e32 v196, v192
	v_mov_b32_e32 v195, v191
	;; [unrolled: 1-line block ×8, first 2 shown]
	v_rcp_f64_e32 v[239:240], v[237:238]
	v_fma_f64 v[209:210], -v[237:238], v[239:240], 1.0
	v_fma_f64 v[209:210], v[239:240], v[209:210], v[239:240]
	v_div_scale_f64 v[239:240], vcc_lo, v[213:214], v[215:216], v[213:214]
	v_fma_f64 v[211:212], -v[237:238], v[209:210], 1.0
	v_fma_f64 v[209:210], v[209:210], v[211:212], v[209:210]
	v_mul_f64 v[211:212], v[239:240], v[209:210]
	v_fma_f64 v[237:238], -v[237:238], v[211:212], v[239:240]
	v_div_fmas_f64 v[209:210], v[237:238], v[209:210], v[211:212]
	v_div_fixup_f64 v[209:210], v[209:210], v[215:216], v[213:214]
	v_fma_f64 v[211:212], v[213:214], v[209:210], v[215:216]
	v_div_scale_f64 v[213:214], null, v[211:212], v[211:212], 1.0
	v_rcp_f64_e32 v[215:216], v[213:214]
	v_fma_f64 v[237:238], -v[213:214], v[215:216], 1.0
	v_fma_f64 v[215:216], v[215:216], v[237:238], v[215:216]
	v_fma_f64 v[237:238], -v[213:214], v[215:216], 1.0
	v_fma_f64 v[215:216], v[215:216], v[237:238], v[215:216]
	v_div_scale_f64 v[237:238], vcc_lo, 1.0, v[211:212], 1.0
	v_mul_f64 v[239:240], v[237:238], v[215:216]
	v_fma_f64 v[213:214], -v[213:214], v[239:240], v[237:238]
	v_div_fmas_f64 v[213:214], v[213:214], v[215:216], v[239:240]
	v_div_fixup_f64 v[239:240], v[213:214], v[211:212], 1.0
                                        ; implicit-def: $vgpr213_vgpr214
	v_mul_f64 v[237:238], v[209:210], v[239:240]
	v_mov_b32_e32 v212, v192
	v_mov_b32_e32 v211, v191
	;; [unrolled: 1-line block ×8, first 2 shown]
	s_clause 0x3
	buffer_load_dword v193, off, s[16:19], 0 offset:96
	buffer_load_dword v194, off, s[16:19], 0 offset:100
	;; [unrolled: 1-line block ×4, first 2 shown]
	v_xor_b32_e32 v240, 0x80000000, v240
.LBB111_491:
	s_andn2_saveexec_b32 s1, s1
	s_cbranch_execz .LBB111_493
; %bb.492:
	s_waitcnt vmcnt(0)
	v_mov_b32_e32 v196, v192
	v_mov_b32_e32 v195, v191
	;; [unrolled: 1-line block ×8, first 2 shown]
	v_div_scale_f64 v[209:210], null, v[213:214], v[213:214], v[215:216]
	v_div_scale_f64 v[239:240], vcc_lo, v[215:216], v[213:214], v[215:216]
	v_rcp_f64_e32 v[211:212], v[209:210]
	v_fma_f64 v[237:238], -v[209:210], v[211:212], 1.0
	v_fma_f64 v[211:212], v[211:212], v[237:238], v[211:212]
	v_fma_f64 v[237:238], -v[209:210], v[211:212], 1.0
	v_fma_f64 v[211:212], v[211:212], v[237:238], v[211:212]
	v_mul_f64 v[237:238], v[239:240], v[211:212]
	v_fma_f64 v[209:210], -v[209:210], v[237:238], v[239:240]
	v_div_fmas_f64 v[209:210], v[209:210], v[211:212], v[237:238]
	v_div_fixup_f64 v[209:210], v[209:210], v[213:214], v[215:216]
	v_fma_f64 v[211:212], v[215:216], v[209:210], v[213:214]
	v_div_scale_f64 v[213:214], null, v[211:212], v[211:212], 1.0
	v_rcp_f64_e32 v[215:216], v[213:214]
	v_fma_f64 v[237:238], -v[213:214], v[215:216], 1.0
	v_fma_f64 v[215:216], v[215:216], v[237:238], v[215:216]
	v_fma_f64 v[237:238], -v[213:214], v[215:216], 1.0
	v_fma_f64 v[215:216], v[215:216], v[237:238], v[215:216]
	v_div_scale_f64 v[237:238], vcc_lo, 1.0, v[211:212], 1.0
	v_mul_f64 v[239:240], v[237:238], v[215:216]
	v_fma_f64 v[213:214], -v[213:214], v[239:240], v[237:238]
	v_div_fmas_f64 v[213:214], v[213:214], v[215:216], v[239:240]
	v_div_fixup_f64 v[237:238], v[213:214], v[211:212], 1.0
	v_mul_f64 v[239:240], v[209:210], -v[237:238]
	v_mov_b32_e32 v212, v192
	v_mov_b32_e32 v211, v191
	;; [unrolled: 1-line block ×8, first 2 shown]
	s_clause 0x3
	buffer_load_dword v193, off, s[16:19], 0 offset:96
	buffer_load_dword v194, off, s[16:19], 0 offset:100
	buffer_load_dword v195, off, s[16:19], 0 offset:104
	buffer_load_dword v196, off, s[16:19], 0 offset:108
.LBB111_493:
	s_or_b32 exec_lo, exec_lo, s1
	ds_write2_b64 v255, v[237:238], v[239:240] offset1:1
.LBB111_494:
	s_or_b32 exec_lo, exec_lo, s2
	s_waitcnt vmcnt(0) lgkmcnt(0)
	s_barrier
	buffer_gl0_inv
	ds_read2_b64 v[213:216], v255 offset1:1
	s_mov_b32 s1, exec_lo
	v_cmpx_lt_u32_e32 54, v0
	s_cbranch_execz .LBB111_496
; %bb.495:
	v_mov_b32_e32 v193, v209
	v_mov_b32_e32 v194, v210
	;; [unrolled: 1-line block ×4, first 2 shown]
	s_waitcnt lgkmcnt(0)
	v_mul_f64 v[209:210], v[213:214], v[7:8]
	v_mul_f64 v[7:8], v[215:216], v[7:8]
	ds_read2_b64 v[237:240], v253 offset0:110 offset1:111
	v_fma_f64 v[209:210], v[215:216], v[5:6], v[209:210]
	v_fma_f64 v[5:6], v[213:214], v[5:6], -v[7:8]
	s_waitcnt lgkmcnt(0)
	v_mul_f64 v[7:8], v[239:240], v[209:210]
	v_mul_f64 v[211:212], v[237:238], v[209:210]
	v_fma_f64 v[7:8], v[237:238], v[5:6], -v[7:8]
	v_fma_f64 v[211:212], v[239:240], v[5:6], v[211:212]
	v_add_f64 v[1:2], v[1:2], -v[7:8]
	v_mov_b32_e32 v7, v209
	v_add_f64 v[3:4], v[3:4], -v[211:212]
	v_mov_b32_e32 v8, v210
	v_mov_b32_e32 v212, v196
	;; [unrolled: 1-line block ×5, first 2 shown]
	s_clause 0x3
	buffer_load_dword v193, off, s[16:19], 0 offset:96
	buffer_load_dword v194, off, s[16:19], 0 offset:100
	;; [unrolled: 1-line block ×4, first 2 shown]
.LBB111_496:
	s_or_b32 exec_lo, exec_lo, s1
	s_mov_b32 s2, exec_lo
	s_waitcnt vmcnt(0) lgkmcnt(0)
	s_barrier
	buffer_gl0_inv
	v_cmpx_eq_u32_e32 55, v0
	s_cbranch_execz .LBB111_503
; %bb.497:
	v_cmp_neq_f64_e32 vcc_lo, 0, v[1:2]
	v_cmp_neq_f64_e64 s1, 0, v[3:4]
	ds_write2_b64 v255, v[1:2], v[3:4] offset1:1
	s_or_b32 s1, vcc_lo, s1
	s_and_b32 exec_lo, exec_lo, s1
	s_cbranch_execz .LBB111_503
; %bb.498:
	v_cmp_ngt_f64_e64 s1, |v[1:2]|, |v[3:4]|
                                        ; implicit-def: $vgpr237_vgpr238
	s_and_saveexec_b32 s3, s1
	s_xor_b32 s1, exec_lo, s3
                                        ; implicit-def: $vgpr239_vgpr240
	s_cbranch_execz .LBB111_500
; %bb.499:
	v_mov_b32_e32 v244, v192
	v_mov_b32_e32 v243, v191
	;; [unrolled: 1-line block ×8, first 2 shown]
	v_div_scale_f64 v[209:210], null, v[3:4], v[3:4], v[1:2]
	v_div_scale_f64 v[239:240], vcc_lo, v[1:2], v[3:4], v[1:2]
	v_mov_b32_e32 v195, v245
	v_mov_b32_e32 v196, v246
	;; [unrolled: 1-line block ×18, first 2 shown]
	v_rcp_f64_e32 v[211:212], v[209:210]
	v_mov_b32_e32 v167, v171
	v_mov_b32_e32 v168, v172
	;; [unrolled: 1-line block ×23, first 2 shown]
	v_fma_f64 v[237:238], -v[209:210], v[211:212], 1.0
	v_mov_b32_e32 v154, v202
	v_mov_b32_e32 v155, v203
	;; [unrolled: 1-line block ×5, first 2 shown]
	v_fma_f64 v[211:212], v[211:212], v[237:238], v[211:212]
	v_fma_f64 v[237:238], -v[209:210], v[211:212], 1.0
	v_fma_f64 v[211:212], v[211:212], v[237:238], v[211:212]
	v_mul_f64 v[237:238], v[239:240], v[211:212]
	v_fma_f64 v[209:210], -v[209:210], v[237:238], v[239:240]
	v_div_fmas_f64 v[209:210], v[209:210], v[211:212], v[237:238]
	v_div_fixup_f64 v[209:210], v[209:210], v[3:4], v[1:2]
	v_fma_f64 v[211:212], v[1:2], v[209:210], v[3:4]
	v_div_scale_f64 v[237:238], null, v[211:212], v[211:212], 1.0
	v_rcp_f64_e32 v[239:240], v[237:238]
	v_fma_f64 v[253:254], -v[237:238], v[239:240], 1.0
	v_fma_f64 v[239:240], v[239:240], v[253:254], v[239:240]
	v_fma_f64 v[253:254], -v[237:238], v[239:240], 1.0
	v_fma_f64 v[239:240], v[239:240], v[253:254], v[239:240]
	v_div_scale_f64 v[253:254], vcc_lo, 1.0, v[211:212], 1.0
	v_mul_f64 v[205:206], v[253:254], v[239:240]
	v_fma_f64 v[207:208], -v[237:238], v[205:206], v[253:254]
	v_div_fmas_f64 v[205:206], v[207:208], v[239:240], v[205:206]
	v_mov_b32_e32 v208, v202
	v_mov_b32_e32 v207, v201
	;; [unrolled: 1-line block ×46, first 2 shown]
	s_clause 0x3
	buffer_load_dword v193, off, s[16:19], 0 offset:96
	buffer_load_dword v194, off, s[16:19], 0 offset:100
	;; [unrolled: 1-line block ×4, first 2 shown]
	v_div_fixup_f64 v[239:240], v[205:206], v[211:212], 1.0
	v_mul_f64 v[237:238], v[209:210], v[239:240]
	v_mov_b32_e32 v212, v192
	v_mov_b32_e32 v211, v191
	;; [unrolled: 1-line block ×8, first 2 shown]
	v_xor_b32_e32 v240, 0x80000000, v240
.LBB111_500:
	s_andn2_saveexec_b32 s1, s1
	s_cbranch_execz .LBB111_502
; %bb.501:
	v_div_scale_f64 v[205:206], null, v[1:2], v[1:2], v[3:4]
	v_mov_b32_e32 v254, v208
	v_mov_b32_e32 v253, v207
	s_waitcnt vmcnt(0)
	v_mov_b32_e32 v196, v192
	v_mov_b32_e32 v195, v191
	;; [unrolled: 1-line block ×8, first 2 shown]
	v_div_scale_f64 v[211:212], vcc_lo, v[3:4], v[1:2], v[3:4]
	v_rcp_f64_e32 v[207:208], v[205:206]
	v_fma_f64 v[209:210], -v[205:206], v[207:208], 1.0
	v_fma_f64 v[207:208], v[207:208], v[209:210], v[207:208]
	v_fma_f64 v[209:210], -v[205:206], v[207:208], 1.0
	v_fma_f64 v[207:208], v[207:208], v[209:210], v[207:208]
	v_mul_f64 v[209:210], v[211:212], v[207:208]
	v_fma_f64 v[205:206], -v[205:206], v[209:210], v[211:212]
	v_div_fmas_f64 v[205:206], v[205:206], v[207:208], v[209:210]
	v_div_fixup_f64 v[205:206], v[205:206], v[1:2], v[3:4]
	v_fma_f64 v[207:208], v[3:4], v[205:206], v[1:2]
	v_div_scale_f64 v[209:210], null, v[207:208], v[207:208], 1.0
	v_rcp_f64_e32 v[211:212], v[209:210]
	v_fma_f64 v[237:238], -v[209:210], v[211:212], 1.0
	v_fma_f64 v[211:212], v[211:212], v[237:238], v[211:212]
	v_fma_f64 v[237:238], -v[209:210], v[211:212], 1.0
	v_fma_f64 v[211:212], v[211:212], v[237:238], v[211:212]
	v_div_scale_f64 v[237:238], vcc_lo, 1.0, v[207:208], 1.0
	v_mul_f64 v[239:240], v[237:238], v[211:212]
	v_fma_f64 v[209:210], -v[209:210], v[239:240], v[237:238]
	v_div_fmas_f64 v[209:210], v[209:210], v[211:212], v[239:240]
	v_div_fixup_f64 v[237:238], v[209:210], v[207:208], 1.0
	v_mov_b32_e32 v212, v192
	v_mov_b32_e32 v211, v191
	;; [unrolled: 1-line block ×8, first 2 shown]
	s_clause 0x3
	buffer_load_dword v193, off, s[16:19], 0 offset:96
	buffer_load_dword v194, off, s[16:19], 0 offset:100
	;; [unrolled: 1-line block ×4, first 2 shown]
	v_mov_b32_e32 v207, v253
	v_mov_b32_e32 v208, v254
	v_mul_f64 v[239:240], v[205:206], -v[237:238]
.LBB111_502:
	s_or_b32 exec_lo, exec_lo, s1
	ds_write2_b64 v255, v[237:238], v[239:240] offset1:1
.LBB111_503:
	s_or_b32 exec_lo, exec_lo, s2
	s_waitcnt vmcnt(0) lgkmcnt(0)
	s_barrier
	buffer_gl0_inv
	ds_read2_b64 v[237:240], v255 offset1:1
	s_mov_b32 s1, exec_lo
	v_cmpx_lt_u32_e32 55, v0
	s_cbranch_execz .LBB111_505
; %bb.504:
	s_waitcnt lgkmcnt(0)
	v_mul_f64 v[205:206], v[239:240], v[3:4]
	v_mul_f64 v[3:4], v[237:238], v[3:4]
	v_fma_f64 v[205:206], v[237:238], v[1:2], -v[205:206]
	v_fma_f64 v[3:4], v[239:240], v[1:2], v[3:4]
	v_mov_b32_e32 v1, v205
	v_mov_b32_e32 v2, v206
.LBB111_505:
	s_or_b32 exec_lo, exec_lo, s1
	v_mov_b32_e32 v244, v156
	v_mov_b32_e32 v243, v155
	;; [unrolled: 1-line block ×4, first 2 shown]
	s_waitcnt lgkmcnt(0)
	s_barrier
	buffer_gl0_inv
	s_and_saveexec_b32 s8, s0
	s_cbranch_execz .LBB111_508
; %bb.506:
	v_mov_b32_e32 v153, v245
	v_mov_b32_e32 v154, v246
	;; [unrolled: 1-line block ×8, first 2 shown]
	s_clause 0x3
	buffer_load_dword v203, off, s[16:19], 0 offset:520
	buffer_load_dword v204, off, s[16:19], 0 offset:524
	;; [unrolled: 1-line block ×4, first 2 shown]
	s_waitcnt vmcnt(2)
	v_cmp_eq_f64_e32 vcc_lo, 0, v[203:204]
	s_waitcnt vmcnt(0)
	v_cmp_eq_f64_e64 s0, 0, v[205:206]
	s_clause 0x3
	buffer_load_dword v203, off, s[16:19], 0 offset:544
	buffer_load_dword v204, off, s[16:19], 0 offset:548
	;; [unrolled: 1-line block ×4, first 2 shown]
	s_and_b32 s0, vcc_lo, s0
	v_cndmask_b32_e64 v0, 0, 1, s0
	s_waitcnt vmcnt(2)
	v_cmp_neq_f64_e64 s1, 0, v[203:204]
	s_waitcnt vmcnt(0)
	v_cmp_neq_f64_e64 s2, 0, v[205:206]
	s_clause 0x3
	buffer_load_dword v203, off, s[16:19], 0 offset:560
	buffer_load_dword v204, off, s[16:19], 0 offset:564
	;; [unrolled: 1-line block ×4, first 2 shown]
	s_or_b32 s1, s1, s2
	s_or_b32 s0, s1, s0
	v_cndmask_b32_e64 v0, 2, v0, s0
	v_cmp_eq_u32_e64 s0, 0, v0
	s_waitcnt vmcnt(2)
	v_cmp_eq_f64_e64 s3, 0, v[203:204]
	s_waitcnt vmcnt(0)
	v_cmp_eq_f64_e64 s4, 0, v[205:206]
	s_clause 0x3
	buffer_load_dword v203, off, s[16:19], 0 offset:576
	buffer_load_dword v204, off, s[16:19], 0 offset:580
	;; [unrolled: 1-line block ×4, first 2 shown]
	s_and_b32 s3, s3, s4
	s_and_b32 s0, s3, s0
	v_cndmask_b32_e64 v0, v0, 3, s0
	v_cmp_eq_u32_e64 s0, 0, v0
	s_waitcnt vmcnt(2)
	v_cmp_eq_f64_e64 s5, 0, v[203:204]
	s_waitcnt vmcnt(0)
	v_cmp_eq_f64_e32 vcc_lo, 0, v[205:206]
	s_clause 0x3
	buffer_load_dword v203, off, s[16:19], 0 offset:592
	buffer_load_dword v204, off, s[16:19], 0 offset:596
	;; [unrolled: 1-line block ×4, first 2 shown]
	s_and_b32 s5, s5, vcc_lo
	s_and_b32 s0, s5, s0
	v_cndmask_b32_e64 v0, v0, 4, s0
	v_cmp_eq_u32_e32 vcc_lo, 0, v0
	s_waitcnt vmcnt(2)
	v_cmp_eq_f64_e64 s1, 0, v[203:204]
	s_waitcnt vmcnt(0)
	v_cmp_eq_f64_e64 s2, 0, v[205:206]
	s_clause 0x3
	buffer_load_dword v203, off, s[16:19], 0 offset:608
	buffer_load_dword v204, off, s[16:19], 0 offset:612
	buffer_load_dword v205, off, s[16:19], 0 offset:616
	buffer_load_dword v206, off, s[16:19], 0 offset:620
	s_and_b32 s1, s1, s2
	s_and_b32 s1, s1, vcc_lo
	v_cndmask_b32_e64 v0, v0, 5, s1
	v_cmp_eq_u32_e32 vcc_lo, 0, v0
	s_waitcnt vmcnt(2)
	v_cmp_eq_f64_e64 s3, 0, v[203:204]
	s_waitcnt vmcnt(0)
	v_cmp_eq_f64_e64 s4, 0, v[205:206]
	s_clause 0x3
	buffer_load_dword v203, off, s[16:19], 0 offset:624
	buffer_load_dword v204, off, s[16:19], 0 offset:628
	buffer_load_dword v205, off, s[16:19], 0 offset:632
	buffer_load_dword v206, off, s[16:19], 0 offset:636
	s_and_b32 s3, s3, s4
	s_and_b32 s3, s3, vcc_lo
	;; [unrolled: 13-line block ×22, first 2 shown]
	v_cndmask_b32_e64 v0, v0, 26, s0
	s_waitcnt vmcnt(2)
	v_cmp_eq_f64_e64 s3, 0, v[203:204]
	s_waitcnt vmcnt(0)
	v_cmp_eq_f64_e64 s4, 0, v[205:206]
	s_clause 0x3
	buffer_load_dword v203, off, s[16:19], 0 offset:960
	buffer_load_dword v204, off, s[16:19], 0 offset:964
	;; [unrolled: 1-line block ×4, first 2 shown]
	s_and_b32 s5, s3, s4
	v_cmp_eq_u32_e64 s3, 0, v0
	s_and_b32 s3, s5, s3
	v_cmp_eq_f64_e64 s5, 0, v[247:248]
	v_cndmask_b32_e64 v0, v0, 27, s3
	v_cmp_eq_u32_e64 s3, 0, v0
	s_waitcnt vmcnt(2)
	v_cmp_eq_f64_e64 s1, 0, v[203:204]
	s_waitcnt vmcnt(0)
	v_cmp_eq_f64_e64 s2, 0, v[205:206]
	v_lshlrev_b64 v[205:206], 2, v[199:200]
	s_clause 0x3
	buffer_load_dword v199, off, s[16:19], 0 offset:976
	buffer_load_dword v200, off, s[16:19], 0 offset:980
	;; [unrolled: 1-line block ×4, first 2 shown]
	v_add_co_u32 v253, s4, s10, v205
	v_add_co_ci_u32_e64 v254, null, s11, v206, s4
	v_cmp_eq_f64_e64 s4, 0, v[245:246]
	global_load_dword v205, v[253:254], off
	s_and_b32 s1, s1, s2
	v_cmp_eq_f64_e64 s2, 0, v[153:154]
	s_and_b32 s1, s1, s3
	v_cmp_eq_f64_e64 s3, 0, v[155:156]
	s_clause 0x3
	buffer_load_dword v153, off, s[16:19], 0 offset:1016
	buffer_load_dword v154, off, s[16:19], 0 offset:1020
	;; [unrolled: 1-line block ×4, first 2 shown]
	v_cndmask_b32_e64 v0, v0, 28, s1
	v_cmp_eq_u32_e64 s1, 0, v0
	s_and_b32 s4, s4, s5
	s_and_b32 s2, s2, s3
	s_waitcnt vmcnt(7)
	v_cmp_eq_f64_e32 vcc_lo, 0, v[199:200]
	s_waitcnt vmcnt(5)
	v_cmp_eq_f64_e64 s0, 0, v[201:202]
	s_and_b32 s0, vcc_lo, s0
	s_and_b32 s0, s0, s1
	s_waitcnt vmcnt(0)
	v_cmp_eq_f64_e64 s1, 0, v[155:156]
	v_cndmask_b32_e64 v0, v0, 29, s0
	v_cmp_eq_f64_e64 s0, 0, v[153:154]
	s_clause 0x3
	buffer_load_dword v153, off, s[16:19], 0 offset:1032
	buffer_load_dword v154, off, s[16:19], 0 offset:1036
	;; [unrolled: 1-line block ×4, first 2 shown]
	v_cmp_eq_u32_e32 vcc_lo, 0, v0
	s_and_b32 s4, s4, vcc_lo
	v_cndmask_b32_e64 v0, v0, 30, s4
	v_cmp_eq_u32_e32 vcc_lo, 0, v0
	s_and_b32 s2, s2, vcc_lo
	s_and_b32 s0, s0, s1
	v_cndmask_b32_e64 v0, v0, 31, s2
	v_cmp_eq_u32_e32 vcc_lo, 0, v0
	s_and_b32 s0, s0, vcc_lo
	v_cndmask_b32_e64 v0, v0, 32, s0
	v_cmp_eq_u32_e32 vcc_lo, 0, v0
	s_waitcnt vmcnt(2)
	v_cmp_eq_f64_e64 s4, 0, v[153:154]
	s_waitcnt vmcnt(0)
	v_cmp_eq_f64_e64 s5, 0, v[155:156]
	s_clause 0x3
	buffer_load_dword v153, off, s[16:19], 0 offset:1048
	buffer_load_dword v154, off, s[16:19], 0 offset:1052
	buffer_load_dword v155, off, s[16:19], 0 offset:1056
	buffer_load_dword v156, off, s[16:19], 0 offset:1060
	s_and_b32 s4, s4, s5
	s_and_b32 s4, s4, vcc_lo
	v_cndmask_b32_e64 v0, v0, 33, s4
	v_cmp_eq_u32_e32 vcc_lo, 0, v0
	s_waitcnt vmcnt(2)
	v_cmp_eq_f64_e64 s2, 0, v[153:154]
	s_waitcnt vmcnt(0)
	v_cmp_eq_f64_e64 s3, 0, v[155:156]
	s_clause 0x3
	buffer_load_dword v153, off, s[16:19], 0 offset:1064
	buffer_load_dword v154, off, s[16:19], 0 offset:1068
	buffer_load_dword v155, off, s[16:19], 0 offset:1072
	buffer_load_dword v156, off, s[16:19], 0 offset:1076
	s_and_b32 s2, s2, s3
	;; [unrolled: 13-line block ×14, first 2 shown]
	v_cmp_eq_f64_e64 s3, 0, v[251:252]
	s_and_b32 s2, s2, vcc_lo
	v_cndmask_b32_e64 v0, v0, 46, s2
	v_cmp_eq_f64_e64 s2, 0, v[249:250]
	v_cmp_eq_u32_e32 vcc_lo, 0, v0
	s_and_b32 s2, s2, s3
	v_cmp_eq_f64_e64 s3, 0, v[235:236]
	s_waitcnt vmcnt(2)
	v_cmp_eq_f64_e64 s0, 0, v[153:154]
	s_waitcnt vmcnt(0)
	v_cmp_eq_f64_e64 s1, 0, v[155:156]
	s_clause 0x3
	buffer_load_dword v153, off, s[16:19], 0 offset:1272
	buffer_load_dword v154, off, s[16:19], 0 offset:1276
	;; [unrolled: 1-line block ×4, first 2 shown]
	s_and_b32 s0, s0, s1
	v_cmp_eq_f64_e64 s1, 0, v[227:228]
	s_and_b32 s0, s0, vcc_lo
	v_cndmask_b32_e64 v0, v0, 47, s0
	v_cmp_eq_f64_e64 s0, 0, v[225:226]
	v_cmp_eq_u32_e32 vcc_lo, 0, v0
	s_and_b32 s0, s0, s1
	v_cmp_eq_f64_e64 s1, 0, v[223:224]
	s_waitcnt vmcnt(2)
	v_cmp_eq_f64_e64 s4, 0, v[153:154]
	s_waitcnt vmcnt(0)
	v_cmp_eq_f64_e64 s5, 0, v[155:156]
	s_and_b32 s4, s4, s5
	v_cmp_eq_f64_e64 s5, 0, v[231:232]
	s_and_b32 s4, s4, vcc_lo
	v_cndmask_b32_e64 v0, v0, 48, s4
	v_cmp_eq_f64_e64 s4, 0, v[229:230]
	v_cmp_eq_u32_e32 vcc_lo, 0, v0
	s_and_b32 s2, s2, vcc_lo
	v_cndmask_b32_e64 v0, v0, 49, s2
	v_cmp_eq_f64_e64 s2, 0, v[233:234]
	v_cmp_eq_u32_e32 vcc_lo, 0, v0
	s_and_b32 s0, s0, vcc_lo
	s_and_b32 s4, s4, s5
	v_cndmask_b32_e64 v0, v0, 50, s0
	v_cmp_eq_f64_e64 s0, 0, v[221:222]
	v_cmp_eq_f64_e64 s5, 0, v[219:220]
	v_cmp_eq_u32_e32 vcc_lo, 0, v0
	s_and_b32 s4, s4, vcc_lo
	s_and_b32 s2, s2, s3
	v_cndmask_b32_e64 v0, v0, 51, s4
	v_cmp_eq_f64_e64 s4, 0, v[217:218]
	;; [unrolled: 6-line block ×4, first 2 shown]
	v_cmp_eq_u32_e32 vcc_lo, 0, v0
	s_and_b32 s4, s4, vcc_lo
	s_and_b32 s2, s2, s3
	v_cndmask_b32_e64 v0, v0, 54, s4
	v_cmp_eq_u32_e32 vcc_lo, 0, v0
	s_and_b32 s2, s2, vcc_lo
	s_and_b32 s0, s0, s1
	v_cndmask_b32_e64 v0, v0, 55, s2
	v_cmp_eq_u32_e32 vcc_lo, 0, v0
	s_and_b32 s0, s0, vcc_lo
	v_cmp_eq_u32_e32 vcc_lo, 0, v205
	v_cndmask_b32_e64 v0, v0, 56, s0
	v_cmp_ne_u32_e64 s0, 0, v0
	s_and_b32 s0, vcc_lo, s0
	s_and_b32 exec_lo, exec_lo, s0
	s_cbranch_execz .LBB111_508
; %bb.507:
	v_add_nc_u32_e32 v0, s13, v0
	global_store_dword v[253:254], v0, off
.LBB111_508:
	s_or_b32 exec_lo, exec_lo, s8
	s_clause 0x5
	buffer_load_dword v213, off, s[16:19], 0 offset:80
	buffer_load_dword v214, off, s[16:19], 0 offset:84
	buffer_load_dword v215, off, s[16:19], 0 offset:88
	buffer_load_dword v216, off, s[16:19], 0 offset:92
	buffer_load_dword v153, off, s[16:19], 0 offset:1000
	buffer_load_dword v154, off, s[16:19], 0 offset:1004
	s_waitcnt vmcnt(0)
	global_store_dwordx4 v[153:154], v[213:216], off
	s_clause 0x5
	buffer_load_dword v199, off, s[16:19], 0 offset:512
	buffer_load_dword v200, off, s[16:19], 0 offset:516
	buffer_load_dword v213, off, s[16:19], 0 offset:64
	buffer_load_dword v214, off, s[16:19], 0 offset:68
	buffer_load_dword v215, off, s[16:19], 0 offset:72
	buffer_load_dword v216, off, s[16:19], 0 offset:76
	s_waitcnt vmcnt(0)
	global_store_dwordx4 v[199:200], v[213:216], off
	;; [unrolled: 9-line block ×4, first 2 shown]
	s_clause 0x3
	buffer_load_dword v199, off, s[16:19], 0 offset:16
	buffer_load_dword v200, off, s[16:19], 0 offset:20
	buffer_load_dword v201, off, s[16:19], 0 offset:24
	buffer_load_dword v202, off, s[16:19], 0 offset:28
	s_waitcnt vmcnt(0)
	global_store_dwordx4 v[207:208], v[199:202], off
	s_clause 0x1
	buffer_load_dword v199, off, s[16:19], 0 offset:536
	buffer_load_dword v200, off, s[16:19], 0 offset:540
	s_waitcnt vmcnt(0)
	global_store_dwordx4 v[199:200], v[193:196], off
	s_clause 0x5
	buffer_load_dword v199, off, s[16:19], 0 offset:120
	buffer_load_dword v200, off, s[16:19], 0 offset:124
	buffer_load_dword v153, off, s[16:19], 0
	buffer_load_dword v154, off, s[16:19], 0 offset:4
	buffer_load_dword v155, off, s[16:19], 0 offset:8
	;; [unrolled: 1-line block ×3, first 2 shown]
	s_waitcnt vmcnt(0)
	global_store_dwordx4 v[199:200], v[153:156], off
	s_clause 0x1
	buffer_load_dword v153, off, s[16:19], 0 offset:1008
	buffer_load_dword v154, off, s[16:19], 0 offset:1012
	s_waitcnt vmcnt(0)
	global_store_dwordx4 v[153:154], v[209:212], off
	s_clause 0x1
	buffer_load_dword v193, off, s[16:19], 0 offset:128
	buffer_load_dword v194, off, s[16:19], 0 offset:132
	;; [unrolled: 5-line block ×49, first 2 shown]
	s_waitcnt vmcnt(0)
	global_store_dwordx4 v[5:6], v[1:4], off
.LBB111_509:
	s_endpgm
	.section	.rodata,"a",@progbits
	.p2align	6, 0x0
	.amdhsa_kernel _ZN9rocsolver6v33100L23getf2_npvt_small_kernelILi56E19rocblas_complex_numIdEiiPS3_EEvT1_T3_lS5_lPT2_S5_S5_
		.amdhsa_group_segment_fixed_size 0
		.amdhsa_private_segment_fixed_size 1292
		.amdhsa_kernarg_size 312
		.amdhsa_user_sgpr_count 6
		.amdhsa_user_sgpr_private_segment_buffer 1
		.amdhsa_user_sgpr_dispatch_ptr 0
		.amdhsa_user_sgpr_queue_ptr 0
		.amdhsa_user_sgpr_kernarg_segment_ptr 1
		.amdhsa_user_sgpr_dispatch_id 0
		.amdhsa_user_sgpr_flat_scratch_init 0
		.amdhsa_user_sgpr_private_segment_size 0
		.amdhsa_wavefront_size32 1
		.amdhsa_uses_dynamic_stack 0
		.amdhsa_system_sgpr_private_segment_wavefront_offset 1
		.amdhsa_system_sgpr_workgroup_id_x 1
		.amdhsa_system_sgpr_workgroup_id_y 1
		.amdhsa_system_sgpr_workgroup_id_z 0
		.amdhsa_system_sgpr_workgroup_info 0
		.amdhsa_system_vgpr_workitem_id 1
		.amdhsa_next_free_vgpr 256
		.amdhsa_next_free_sgpr 22
		.amdhsa_reserve_vcc 1
		.amdhsa_reserve_flat_scratch 0
		.amdhsa_float_round_mode_32 0
		.amdhsa_float_round_mode_16_64 0
		.amdhsa_float_denorm_mode_32 3
		.amdhsa_float_denorm_mode_16_64 3
		.amdhsa_dx10_clamp 1
		.amdhsa_ieee_mode 1
		.amdhsa_fp16_overflow 0
		.amdhsa_workgroup_processor_mode 1
		.amdhsa_memory_ordered 1
		.amdhsa_forward_progress 1
		.amdhsa_shared_vgpr_count 0
		.amdhsa_exception_fp_ieee_invalid_op 0
		.amdhsa_exception_fp_denorm_src 0
		.amdhsa_exception_fp_ieee_div_zero 0
		.amdhsa_exception_fp_ieee_overflow 0
		.amdhsa_exception_fp_ieee_underflow 0
		.amdhsa_exception_fp_ieee_inexact 0
		.amdhsa_exception_int_div_zero 0
	.end_amdhsa_kernel
	.section	.text._ZN9rocsolver6v33100L23getf2_npvt_small_kernelILi56E19rocblas_complex_numIdEiiPS3_EEvT1_T3_lS5_lPT2_S5_S5_,"axG",@progbits,_ZN9rocsolver6v33100L23getf2_npvt_small_kernelILi56E19rocblas_complex_numIdEiiPS3_EEvT1_T3_lS5_lPT2_S5_S5_,comdat
.Lfunc_end111:
	.size	_ZN9rocsolver6v33100L23getf2_npvt_small_kernelILi56E19rocblas_complex_numIdEiiPS3_EEvT1_T3_lS5_lPT2_S5_S5_, .Lfunc_end111-_ZN9rocsolver6v33100L23getf2_npvt_small_kernelILi56E19rocblas_complex_numIdEiiPS3_EEvT1_T3_lS5_lPT2_S5_S5_
                                        ; -- End function
	.set _ZN9rocsolver6v33100L23getf2_npvt_small_kernelILi56E19rocblas_complex_numIdEiiPS3_EEvT1_T3_lS5_lPT2_S5_S5_.num_vgpr, 256
	.set _ZN9rocsolver6v33100L23getf2_npvt_small_kernelILi56E19rocblas_complex_numIdEiiPS3_EEvT1_T3_lS5_lPT2_S5_S5_.num_agpr, 0
	.set _ZN9rocsolver6v33100L23getf2_npvt_small_kernelILi56E19rocblas_complex_numIdEiiPS3_EEvT1_T3_lS5_lPT2_S5_S5_.numbered_sgpr, 22
	.set _ZN9rocsolver6v33100L23getf2_npvt_small_kernelILi56E19rocblas_complex_numIdEiiPS3_EEvT1_T3_lS5_lPT2_S5_S5_.num_named_barrier, 0
	.set _ZN9rocsolver6v33100L23getf2_npvt_small_kernelILi56E19rocblas_complex_numIdEiiPS3_EEvT1_T3_lS5_lPT2_S5_S5_.private_seg_size, 1292
	.set _ZN9rocsolver6v33100L23getf2_npvt_small_kernelILi56E19rocblas_complex_numIdEiiPS3_EEvT1_T3_lS5_lPT2_S5_S5_.uses_vcc, 1
	.set _ZN9rocsolver6v33100L23getf2_npvt_small_kernelILi56E19rocblas_complex_numIdEiiPS3_EEvT1_T3_lS5_lPT2_S5_S5_.uses_flat_scratch, 0
	.set _ZN9rocsolver6v33100L23getf2_npvt_small_kernelILi56E19rocblas_complex_numIdEiiPS3_EEvT1_T3_lS5_lPT2_S5_S5_.has_dyn_sized_stack, 0
	.set _ZN9rocsolver6v33100L23getf2_npvt_small_kernelILi56E19rocblas_complex_numIdEiiPS3_EEvT1_T3_lS5_lPT2_S5_S5_.has_recursion, 0
	.set _ZN9rocsolver6v33100L23getf2_npvt_small_kernelILi56E19rocblas_complex_numIdEiiPS3_EEvT1_T3_lS5_lPT2_S5_S5_.has_indirect_call, 0
	.section	.AMDGPU.csdata,"",@progbits
; Kernel info:
; codeLenInByte = 153552
; TotalNumSgprs: 24
; NumVgprs: 256
; ScratchSize: 1292
; MemoryBound: 1
; FloatMode: 240
; IeeeMode: 1
; LDSByteSize: 0 bytes/workgroup (compile time only)
; SGPRBlocks: 0
; VGPRBlocks: 31
; NumSGPRsForWavesPerEU: 24
; NumVGPRsForWavesPerEU: 256
; Occupancy: 4
; WaveLimiterHint : 0
; COMPUTE_PGM_RSRC2:SCRATCH_EN: 1
; COMPUTE_PGM_RSRC2:USER_SGPR: 6
; COMPUTE_PGM_RSRC2:TRAP_HANDLER: 0
; COMPUTE_PGM_RSRC2:TGID_X_EN: 1
; COMPUTE_PGM_RSRC2:TGID_Y_EN: 1
; COMPUTE_PGM_RSRC2:TGID_Z_EN: 0
; COMPUTE_PGM_RSRC2:TIDIG_COMP_CNT: 1
	.section	.text._ZN9rocsolver6v33100L18getf2_small_kernelILi57E19rocblas_complex_numIdEiiPS3_EEvT1_T3_lS5_lPS5_llPT2_S5_S5_S7_l,"axG",@progbits,_ZN9rocsolver6v33100L18getf2_small_kernelILi57E19rocblas_complex_numIdEiiPS3_EEvT1_T3_lS5_lPS5_llPT2_S5_S5_S7_l,comdat
	.globl	_ZN9rocsolver6v33100L18getf2_small_kernelILi57E19rocblas_complex_numIdEiiPS3_EEvT1_T3_lS5_lPS5_llPT2_S5_S5_S7_l ; -- Begin function _ZN9rocsolver6v33100L18getf2_small_kernelILi57E19rocblas_complex_numIdEiiPS3_EEvT1_T3_lS5_lPS5_llPT2_S5_S5_S7_l
	.p2align	8
	.type	_ZN9rocsolver6v33100L18getf2_small_kernelILi57E19rocblas_complex_numIdEiiPS3_EEvT1_T3_lS5_lPS5_llPT2_S5_S5_S7_l,@function
_ZN9rocsolver6v33100L18getf2_small_kernelILi57E19rocblas_complex_numIdEiiPS3_EEvT1_T3_lS5_lPS5_llPT2_S5_S5_S7_l: ; @_ZN9rocsolver6v33100L18getf2_small_kernelILi57E19rocblas_complex_numIdEiiPS3_EEvT1_T3_lS5_lPS5_llPT2_S5_S5_S7_l
; %bb.0:
	s_mov_b64 s[22:23], s[2:3]
	s_mov_b64 s[20:21], s[0:1]
	s_clause 0x1
	s_load_dword s0, s[4:5], 0x6c
	s_load_dwordx2 s[16:17], s[4:5], 0x48
	s_add_u32 s20, s20, s8
	s_addc_u32 s21, s21, 0
	s_waitcnt lgkmcnt(0)
	s_lshr_b32 s0, s0, 16
	v_mad_u64_u32 v[8:9], null, s7, s0, v[1:2]
	s_mov_b32 s0, exec_lo
	v_cmpx_gt_i32_e64 s16, v8
	s_cbranch_execnz .LBB112_1
; %bb.1201:
	s_getpc_b64 s[18:19]
.Lpost_getpc14:
	s_add_u32 s18, s18, (.LBB112_1200-.Lpost_getpc14)&4294967295
	s_addc_u32 s19, s19, (.LBB112_1200-.Lpost_getpc14)>>32
	s_setpc_b64 s[18:19]
.LBB112_1:
	s_load_dwordx4 s[0:3], s[4:5], 0x50
	v_mov_b32_e32 v2, 0
	v_ashrrev_i32_e32 v9, 31, v8
	v_mov_b32_e32 v3, 0
	buffer_store_dword v2, off, s[20:23], 0 ; 4-byte Folded Spill
	buffer_store_dword v3, off, s[20:23], 0 offset:4 ; 4-byte Folded Spill
	s_waitcnt lgkmcnt(0)
	s_cmp_eq_u64 s[0:1], 0
	s_cselect_b32 s16, -1, 0
	s_and_b32 vcc_lo, exec_lo, s16
	s_cbranch_vccnz .LBB112_3
; %bb.2:
	v_mul_lo_u32 v4, s3, v8
	v_mul_lo_u32 v5, s2, v9
	v_mad_u64_u32 v[2:3], null, s2, v8, 0
	v_add3_u32 v3, v3, v5, v4
	v_lshlrev_b64 v[2:3], 2, v[2:3]
	v_add_co_u32 v2, vcc_lo, s0, v2
	v_add_co_ci_u32_e64 v3, null, s1, v3, vcc_lo
	buffer_store_dword v2, off, s[20:23], 0 ; 4-byte Folded Spill
	buffer_store_dword v3, off, s[20:23], 0 offset:4 ; 4-byte Folded Spill
.LBB112_3:
	s_clause 0x2
	s_load_dwordx8 s[8:15], s[4:5], 0x20
	s_load_dword s6, s[4:5], 0x18
	s_load_dwordx4 s[0:3], s[4:5], 0x8
	v_mov_b32_e32 v241, v9
	v_mov_b32_e32 v240, v8
	v_lshlrev_b32_e32 v216, 4, v0
	s_waitcnt lgkmcnt(0)
	v_mul_lo_u32 v5, s9, v8
	v_mul_lo_u32 v7, s8, v9
	v_mad_u64_u32 v[2:3], null, s8, v8, 0
	v_add3_u32 v4, s6, s6, v0
	s_lshl_b64 s[2:3], s[2:3], 4
	s_ashr_i32 s7, s6, 31
	s_clause 0x1
	s_load_dword s8, s[4:5], 0x0
	s_load_dwordx2 s[4:5], s[4:5], 0x40
	v_add_nc_u32_e32 v6, s6, v4
	v_add3_u32 v3, v3, v7, v5
	v_ashrrev_i32_e32 v5, 31, v4
	v_add_nc_u32_e32 v8, s6, v6
	v_lshlrev_b64 v[2:3], 4, v[2:3]
	v_ashrrev_i32_e32 v7, 31, v6
	v_lshlrev_b64 v[4:5], 4, v[4:5]
	v_ashrrev_i32_e32 v9, 31, v8
	v_add_nc_u32_e32 v10, s6, v8
	v_add_co_u32 v12, vcc_lo, s0, v2
	v_add_co_ci_u32_e64 v13, null, s1, v3, vcc_lo
	v_lshlrev_b64 v[2:3], 4, v[8:9]
	v_add_nc_u32_e32 v8, s6, v10
	v_add_co_u32 v255, vcc_lo, v12, s2
	v_ashrrev_i32_e32 v11, 31, v10
	v_lshlrev_b64 v[6:7], 4, v[6:7]
	v_add_nc_u32_e32 v12, s6, v8
	v_add_co_ci_u32_e64 v242, null, s3, v13, vcc_lo
	v_ashrrev_i32_e32 v9, 31, v8
	v_lshlrev_b64 v[10:11], 4, v[10:11]
	v_add_nc_u32_e32 v14, s6, v12
	v_ashrrev_i32_e32 v13, 31, v12
	v_add_co_u32 v4, vcc_lo, v255, v4
	v_add_co_ci_u32_e64 v5, null, v242, v5, vcc_lo
	v_add_nc_u32_e32 v16, s6, v14
	v_ashrrev_i32_e32 v15, 31, v14
	v_add_co_u32 v6, vcc_lo, v255, v6
	v_lshlrev_b64 v[8:9], 4, v[8:9]
	v_add_nc_u32_e32 v18, s6, v16
	v_ashrrev_i32_e32 v17, 31, v16
	v_add_co_ci_u32_e64 v7, null, v242, v7, vcc_lo
	v_add_co_u32 v2, vcc_lo, v255, v2
	v_add_nc_u32_e32 v20, s6, v18
	v_lshlrev_b64 v[12:13], 4, v[12:13]
	v_ashrrev_i32_e32 v19, 31, v18
	v_add_co_ci_u32_e64 v3, null, v242, v3, vcc_lo
	v_add_nc_u32_e32 v22, s6, v20
	v_add_co_u32 v10, vcc_lo, v255, v10
	v_lshlrev_b64 v[14:15], 4, v[14:15]
	v_ashrrev_i32_e32 v21, 31, v20
	v_add_nc_u32_e32 v24, s6, v22
	v_add_co_ci_u32_e64 v11, null, v242, v11, vcc_lo
	v_add_co_u32 v8, vcc_lo, v255, v8
	v_add_nc_u32_e32 v26, s6, v24
	v_lshlrev_b64 v[16:17], 4, v[16:17]
	v_ashrrev_i32_e32 v23, 31, v22
	v_add_co_ci_u32_e64 v9, null, v242, v9, vcc_lo
	v_add_nc_u32_e32 v28, s6, v26
	v_add_co_u32 v12, vcc_lo, v255, v12
	v_lshlrev_b64 v[18:19], 4, v[18:19]
	v_ashrrev_i32_e32 v25, 31, v24
	v_add_nc_u32_e32 v30, s6, v28
	;; [unrolled: 11-line block ×8, first 2 shown]
	v_add_co_ci_u32_e64 v37, null, v242, v37, vcc_lo
	v_add_co_u32 v38, vcc_lo, v255, v38
	v_lshlrev_b64 v[44:45], 4, v[44:45]
	v_add_nc_u32_e32 v68, s6, v66
	v_ashrrev_i32_e32 v51, 31, v50
	v_add_co_ci_u32_e64 v39, null, v242, v39, vcc_lo
	v_add_co_u32 v40, vcc_lo, v255, v40
	v_lshlrev_b64 v[46:47], 4, v[46:47]
	v_ashrrev_i32_e32 v53, 31, v52
	v_add_co_ci_u32_e64 v41, null, v242, v41, vcc_lo
	v_add_co_u32 v42, vcc_lo, v255, v42
	v_lshlrev_b64 v[48:49], 4, v[48:49]
	v_ashrrev_i32_e32 v55, 31, v54
	v_add_nc_u32_e32 v70, s6, v68
	v_add_co_ci_u32_e64 v43, null, v242, v43, vcc_lo
	v_add_co_u32 v44, vcc_lo, v255, v44
	v_lshlrev_b64 v[50:51], 4, v[50:51]
	v_ashrrev_i32_e32 v57, 31, v56
	v_add_co_ci_u32_e64 v45, null, v242, v45, vcc_lo
	v_add_co_u32 v46, vcc_lo, v255, v46
	v_lshlrev_b64 v[52:53], 4, v[52:53]
	v_ashrrev_i32_e32 v59, 31, v58
	v_add_co_ci_u32_e64 v47, null, v242, v47, vcc_lo
	v_add_co_u32 v48, vcc_lo, v255, v48
	v_lshlrev_b64 v[54:55], 4, v[54:55]
	v_add_nc_u32_e32 v72, s6, v70
	v_ashrrev_i32_e32 v61, 31, v60
	v_add_co_ci_u32_e64 v49, null, v242, v49, vcc_lo
	v_add_co_u32 v50, vcc_lo, v255, v50
	v_lshlrev_b64 v[56:57], 4, v[56:57]
	v_ashrrev_i32_e32 v63, 31, v62
	v_add_co_ci_u32_e64 v51, null, v242, v51, vcc_lo
	v_add_co_u32 v52, vcc_lo, v255, v52
	v_lshlrev_b64 v[58:59], 4, v[58:59]
	v_ashrrev_i32_e32 v65, 31, v64
	v_add_nc_u32_e32 v74, s6, v72
	v_add_co_ci_u32_e64 v53, null, v242, v53, vcc_lo
	v_add_co_u32 v54, vcc_lo, v255, v54
	v_lshlrev_b64 v[60:61], 4, v[60:61]
	v_ashrrev_i32_e32 v67, 31, v66
	v_add_co_ci_u32_e64 v55, null, v242, v55, vcc_lo
	v_add_co_u32 v56, vcc_lo, v255, v56
	v_lshlrev_b64 v[62:63], 4, v[62:63]
	v_ashrrev_i32_e32 v69, 31, v68
	v_add_co_ci_u32_e64 v57, null, v242, v57, vcc_lo
	v_add_co_u32 v58, vcc_lo, v255, v58
	v_lshlrev_b64 v[64:65], 4, v[64:65]
	v_add_nc_u32_e32 v76, s6, v74
	v_ashrrev_i32_e32 v71, 31, v70
	v_add_co_ci_u32_e64 v59, null, v242, v59, vcc_lo
	v_add_co_u32 v60, vcc_lo, v255, v60
	v_lshlrev_b64 v[66:67], 4, v[66:67]
	v_ashrrev_i32_e32 v73, 31, v72
	v_add_co_ci_u32_e64 v61, null, v242, v61, vcc_lo
	v_add_co_u32 v62, vcc_lo, v255, v62
	v_lshlrev_b64 v[68:69], 4, v[68:69]
	v_ashrrev_i32_e32 v75, 31, v74
	v_add_nc_u32_e32 v78, s6, v76
	v_add_co_ci_u32_e64 v63, null, v242, v63, vcc_lo
	v_add_co_u32 v64, vcc_lo, v255, v64
	v_lshlrev_b64 v[70:71], 4, v[70:71]
	v_ashrrev_i32_e32 v77, 31, v76
	v_add_co_ci_u32_e64 v65, null, v242, v65, vcc_lo
	v_add_co_u32 v66, vcc_lo, v255, v66
	v_lshlrev_b64 v[72:73], 4, v[72:73]
	v_add_co_ci_u32_e64 v67, null, v242, v67, vcc_lo
	v_add_co_u32 v68, vcc_lo, v255, v68
	v_lshlrev_b64 v[74:75], 4, v[74:75]
	v_add_nc_u32_e32 v80, s6, v78
	v_add_co_ci_u32_e64 v69, null, v242, v69, vcc_lo
	v_add_co_u32 v70, vcc_lo, v255, v70
	v_lshlrev_b64 v[76:77], 4, v[76:77]
	v_ashrrev_i32_e32 v79, 31, v78
	v_add_co_ci_u32_e64 v71, null, v242, v71, vcc_lo
	v_add_co_u32 v72, vcc_lo, v255, v72
	v_ashrrev_i32_e32 v81, 31, v80
	v_add_nc_u32_e32 v82, s6, v80
	v_add_co_ci_u32_e64 v73, null, v242, v73, vcc_lo
	v_add_co_u32 v74, vcc_lo, v255, v74
	v_lshlrev_b64 v[78:79], 4, v[78:79]
	v_add_co_ci_u32_e64 v75, null, v242, v75, vcc_lo
	v_add_co_u32 v230, vcc_lo, v255, v76
	v_add_co_ci_u32_e64 v231, null, v242, v77, vcc_lo
	v_lshlrev_b64 v[76:77], 4, v[80:81]
	v_ashrrev_i32_e32 v83, 31, v82
	v_add_nc_u32_e32 v80, s6, v82
	v_add_co_u32 v232, vcc_lo, v255, v78
	v_add_co_ci_u32_e64 v233, null, v242, v79, vcc_lo
	v_lshlrev_b64 v[78:79], 4, v[82:83]
	v_ashrrev_i32_e32 v81, 31, v80
	v_add_nc_u32_e32 v82, s6, v80
	;; [unrolled: 5-line block ×12, first 2 shown]
	v_add_co_u32 v224, vcc_lo, v255, v76
	v_add_co_ci_u32_e64 v225, null, v242, v77, vcc_lo
	v_lshlrev_b64 v[76:77], 4, v[80:81]
	v_add_nc_u32_e32 v80, s6, v82
	v_ashrrev_i32_e32 v83, 31, v82
	v_add_co_u32 v226, vcc_lo, v255, v78
	v_add_co_ci_u32_e64 v227, null, v242, v79, vcc_lo
	v_ashrrev_i32_e32 v81, 31, v80
	v_lshlrev_b64 v[78:79], 4, v[82:83]
	v_add_co_u32 v228, vcc_lo, v255, v76
	v_add_co_ci_u32_e64 v229, null, v242, v77, vcc_lo
	v_lshlrev_b64 v[76:77], 4, v[80:81]
	v_add_nc_u32_e32 v80, s6, v80
	v_add_co_u32 v218, vcc_lo, v255, v78
	v_add_co_ci_u32_e64 v219, null, v242, v79, vcc_lo
	v_ashrrev_i32_e32 v81, 31, v80
	v_add_co_u32 v220, vcc_lo, v255, v76
	v_add_co_ci_u32_e64 v221, null, v242, v77, vcc_lo
	v_add_co_u32 v78, vcc_lo, v255, v216
	v_add_co_ci_u32_e64 v79, null, 0, v242, vcc_lo
	v_lshlrev_b64 v[76:77], 4, v[80:81]
	s_lshl_b64 s[2:3], s[6:7], 4
	s_waitcnt lgkmcnt(0)
	s_max_i32 s0, s8, 57
	v_add_co_u32 v80, vcc_lo, v78, s2
	v_add_co_ci_u32_e64 v81, null, s3, v79, vcc_lo
	v_add_co_u32 v214, vcc_lo, v255, v76
	v_add_co_ci_u32_e64 v215, null, v242, v77, vcc_lo
	s_clause 0x1
	global_load_dwordx4 v[210:213], v[78:79], off
	global_load_dwordx4 v[76:79], v[80:81], off
	s_cmp_lt_i32 s8, 2
	s_waitcnt vmcnt(0)
	buffer_store_dword v76, off, s[20:23], 0 offset:24 ; 4-byte Folded Spill
	buffer_store_dword v77, off, s[20:23], 0 offset:28 ; 4-byte Folded Spill
	;; [unrolled: 1-line block ×4, first 2 shown]
	global_load_dwordx4 v[76:79], v[4:5], off
	s_waitcnt vmcnt(0)
	buffer_store_dword v76, off, s[20:23], 0 offset:8 ; 4-byte Folded Spill
	buffer_store_dword v77, off, s[20:23], 0 offset:12 ; 4-byte Folded Spill
	buffer_store_dword v78, off, s[20:23], 0 offset:16 ; 4-byte Folded Spill
	buffer_store_dword v79, off, s[20:23], 0 offset:20 ; 4-byte Folded Spill
	global_load_dwordx4 v[4:7], v[6:7], off
	s_waitcnt vmcnt(0)
	buffer_store_dword v4, off, s[20:23], 0 offset:56 ; 4-byte Folded Spill
	buffer_store_dword v5, off, s[20:23], 0 offset:60 ; 4-byte Folded Spill
	;; [unrolled: 1-line block ×4, first 2 shown]
	s_clause 0x34
	global_load_dwordx4 v[206:209], v[2:3], off
	global_load_dwordx4 v[2:5], v[10:11], off
	;; [unrolled: 1-line block ×53, first 2 shown]
	buffer_store_dword v210, off, s[20:23], 0 offset:40 ; 4-byte Folded Spill
	buffer_store_dword v211, off, s[20:23], 0 offset:44 ; 4-byte Folded Spill
	;; [unrolled: 1-line block ×4, first 2 shown]
	v_mul_lo_u32 v214, s0, v1
	v_mov_b32_e32 v238, 0
	v_lshl_add_u32 v1, v214, 4, 0
	v_lshlrev_b32_e32 v228, 4, v214
	v_add_nc_u32_e32 v215, v1, v216
	ds_write2_b64 v215, v[210:211], v[212:213] offset1:1
	s_waitcnt vmcnt(0) lgkmcnt(0)
	s_waitcnt_vscnt null, 0x0
	s_barrier
	buffer_gl0_inv
	ds_read2_b64 v[230:233], v1 offset1:1
	s_cbranch_scc1 .LBB112_6
; %bb.4:
	v_add3_u32 v239, v228, 0, 16
	v_mov_b32_e32 v238, 0
	s_mov_b32 s1, 1
	s_inst_prefetch 0x1
	.p2align	6
.LBB112_5:                              ; =>This Inner Loop Header: Depth=1
	s_waitcnt lgkmcnt(0)
	v_cmp_gt_f64_e32 vcc_lo, 0, v[232:233]
	v_cmp_gt_f64_e64 s0, 0, v[230:231]
	ds_read2_b64 v[243:246], v239 offset1:1
	v_xor_b32_e32 v215, 0x80000000, v231
	v_xor_b32_e32 v217, 0x80000000, v233
	v_mov_b32_e32 v214, v230
	v_mov_b32_e32 v216, v232
	v_add_nc_u32_e32 v239, 16, v239
	s_waitcnt lgkmcnt(0)
	v_xor_b32_e32 v219, 0x80000000, v246
	v_cndmask_b32_e64 v215, v231, v215, s0
	v_cndmask_b32_e32 v217, v233, v217, vcc_lo
	v_cmp_gt_f64_e32 vcc_lo, 0, v[245:246]
	v_cmp_gt_f64_e64 s0, 0, v[243:244]
	v_mov_b32_e32 v218, v245
	v_add_f64 v[214:215], v[214:215], v[216:217]
	v_xor_b32_e32 v217, 0x80000000, v244
	v_mov_b32_e32 v216, v243
	v_cndmask_b32_e32 v219, v246, v219, vcc_lo
	v_cndmask_b32_e64 v217, v244, v217, s0
	v_add_f64 v[216:217], v[216:217], v[218:219]
	v_cmp_lt_f64_e32 vcc_lo, v[214:215], v[216:217]
	v_cndmask_b32_e32 v231, v231, v244, vcc_lo
	v_cndmask_b32_e32 v230, v230, v243, vcc_lo
	;; [unrolled: 1-line block ×4, first 2 shown]
	v_cndmask_b32_e64 v238, v238, s1, vcc_lo
	s_add_i32 s1, s1, 1
	s_cmp_eq_u32 s8, s1
	s_cbranch_scc0 .LBB112_5
.LBB112_6:
	s_inst_prefetch 0x2
	v_mov_b32_e32 v237, v209
	v_mov_b32_e32 v236, v208
	;; [unrolled: 1-line block ×8, first 2 shown]
	s_clause 0x3
	buffer_load_dword v2, off, s[20:23], 0 offset:56
	buffer_load_dword v3, off, s[20:23], 0 offset:60
	;; [unrolled: 1-line block ×4, first 2 shown]
	s_waitcnt lgkmcnt(0)
	v_cmp_neq_f64_e32 vcc_lo, 0, v[230:231]
	v_cmp_neq_f64_e64 s0, 0, v[232:233]
	v_mov_b32_e32 v226, v240
	v_mov_b32_e32 v227, v241
	;; [unrolled: 1-line block ×4, first 2 shown]
	s_or_b32 s1, vcc_lo, s0
	s_and_saveexec_b32 s0, s1
	s_cbranch_execz .LBB112_12
; %bb.7:
	v_cmp_ngt_f64_e64 s1, |v[230:231]|, |v[232:233]|
	s_and_saveexec_b32 s7, s1
	s_xor_b32 s1, exec_lo, s7
	s_cbranch_execz .LBB112_9
; %bb.8:
	v_div_scale_f64 v[214:215], null, v[232:233], v[232:233], v[230:231]
	v_div_scale_f64 v[220:221], vcc_lo, v[230:231], v[232:233], v[230:231]
	v_rcp_f64_e32 v[216:217], v[214:215]
	v_fma_f64 v[218:219], -v[214:215], v[216:217], 1.0
	v_fma_f64 v[216:217], v[216:217], v[218:219], v[216:217]
	v_fma_f64 v[218:219], -v[214:215], v[216:217], 1.0
	v_fma_f64 v[216:217], v[216:217], v[218:219], v[216:217]
	v_mul_f64 v[218:219], v[220:221], v[216:217]
	v_fma_f64 v[214:215], -v[214:215], v[218:219], v[220:221]
	v_div_fmas_f64 v[214:215], v[214:215], v[216:217], v[218:219]
	v_div_fixup_f64 v[214:215], v[214:215], v[232:233], v[230:231]
	v_fma_f64 v[216:217], v[230:231], v[214:215], v[232:233]
	v_div_scale_f64 v[218:219], null, v[216:217], v[216:217], 1.0
	v_rcp_f64_e32 v[220:221], v[218:219]
	v_fma_f64 v[222:223], -v[218:219], v[220:221], 1.0
	v_fma_f64 v[220:221], v[220:221], v[222:223], v[220:221]
	v_fma_f64 v[222:223], -v[218:219], v[220:221], 1.0
	v_fma_f64 v[220:221], v[220:221], v[222:223], v[220:221]
	v_div_scale_f64 v[222:223], vcc_lo, 1.0, v[216:217], 1.0
	v_mul_f64 v[224:225], v[222:223], v[220:221]
	v_fma_f64 v[218:219], -v[218:219], v[224:225], v[222:223]
	v_div_fmas_f64 v[218:219], v[218:219], v[220:221], v[224:225]
	v_div_fixup_f64 v[232:233], v[218:219], v[216:217], 1.0
	v_mul_f64 v[230:231], v[214:215], v[232:233]
	v_xor_b32_e32 v233, 0x80000000, v233
.LBB112_9:
	s_andn2_saveexec_b32 s1, s1
	s_cbranch_execz .LBB112_11
; %bb.10:
	v_div_scale_f64 v[214:215], null, v[230:231], v[230:231], v[232:233]
	v_div_scale_f64 v[220:221], vcc_lo, v[232:233], v[230:231], v[232:233]
	v_rcp_f64_e32 v[216:217], v[214:215]
	v_fma_f64 v[218:219], -v[214:215], v[216:217], 1.0
	v_fma_f64 v[216:217], v[216:217], v[218:219], v[216:217]
	v_fma_f64 v[218:219], -v[214:215], v[216:217], 1.0
	v_fma_f64 v[216:217], v[216:217], v[218:219], v[216:217]
	v_mul_f64 v[218:219], v[220:221], v[216:217]
	v_fma_f64 v[214:215], -v[214:215], v[218:219], v[220:221]
	v_div_fmas_f64 v[214:215], v[214:215], v[216:217], v[218:219]
	v_div_fixup_f64 v[214:215], v[214:215], v[230:231], v[232:233]
	v_fma_f64 v[216:217], v[232:233], v[214:215], v[230:231]
	v_div_scale_f64 v[218:219], null, v[216:217], v[216:217], 1.0
	v_rcp_f64_e32 v[220:221], v[218:219]
	v_fma_f64 v[222:223], -v[218:219], v[220:221], 1.0
	v_fma_f64 v[220:221], v[220:221], v[222:223], v[220:221]
	v_fma_f64 v[222:223], -v[218:219], v[220:221], 1.0
	v_fma_f64 v[220:221], v[220:221], v[222:223], v[220:221]
	v_div_scale_f64 v[222:223], vcc_lo, 1.0, v[216:217], 1.0
	v_mul_f64 v[224:225], v[222:223], v[220:221]
	v_fma_f64 v[218:219], -v[218:219], v[224:225], v[222:223]
	v_div_fmas_f64 v[218:219], v[218:219], v[220:221], v[224:225]
	v_div_fixup_f64 v[230:231], v[218:219], v[216:217], 1.0
	v_mul_f64 v[232:233], v[214:215], -v[230:231]
.LBB112_11:
	s_or_b32 exec_lo, exec_lo, s1
	v_mov_b32_e32 v245, 0
	v_mov_b32_e32 v243, 2
.LBB112_12:
	s_or_b32 exec_lo, exec_lo, s0
	s_mov_b32 s0, exec_lo
	v_cmpx_ne_u32_e64 v0, v238
	s_xor_b32 s0, exec_lo, s0
	s_cbranch_execz .LBB112_18
; %bb.13:
	s_mov_b32 s1, exec_lo
	v_cmpx_eq_u32_e32 0, v0
	s_cbranch_execz .LBB112_17
; %bb.14:
	v_cmp_ne_u32_e32 vcc_lo, 0, v238
	s_xor_b32 s7, s16, -1
	s_and_b32 s9, s7, vcc_lo
	s_and_saveexec_b32 s7, s9
	s_cbranch_execz .LBB112_16
; %bb.15:
	s_clause 0x1
	buffer_load_dword v210, off, s[20:23], 0
	buffer_load_dword v211, off, s[20:23], 0 offset:4
	v_ashrrev_i32_e32 v239, 31, v238
	v_lshlrev_b64 v[214:215], 2, v[238:239]
	s_waitcnt vmcnt(1)
	v_add_co_u32 v214, vcc_lo, v210, v214
	s_waitcnt vmcnt(0)
	v_add_co_ci_u32_e64 v215, null, v211, v215, vcc_lo
	s_clause 0x1
	global_load_dword v0, v[214:215], off
	global_load_dword v216, v[210:211], off
	s_waitcnt vmcnt(1)
	global_store_dword v[210:211], v0, off
	s_waitcnt vmcnt(0)
	global_store_dword v[214:215], v216, off
.LBB112_16:
	s_or_b32 exec_lo, exec_lo, s7
	v_mov_b32_e32 v0, v238
.LBB112_17:
	s_or_b32 exec_lo, exec_lo, s1
.LBB112_18:
	s_or_saveexec_b32 s0, s0
	v_mov_b32_e32 v244, v0
	s_xor_b32 exec_lo, exec_lo, s0
	s_cbranch_execz .LBB112_20
; %bb.19:
	s_clause 0x3
	buffer_load_dword v210, off, s[20:23], 0 offset:24
	buffer_load_dword v211, off, s[20:23], 0 offset:28
	;; [unrolled: 1-line block ×4, first 2 shown]
	v_mov_b32_e32 v244, 0
	s_waitcnt vmcnt(0)
	ds_write2_b64 v1, v[210:211], v[212:213] offset0:2 offset1:3
	s_clause 0x3
	buffer_load_dword v210, off, s[20:23], 0 offset:8
	buffer_load_dword v211, off, s[20:23], 0 offset:12
	buffer_load_dword v212, off, s[20:23], 0 offset:16
	buffer_load_dword v213, off, s[20:23], 0 offset:20
	s_waitcnt vmcnt(0)
	ds_write2_b64 v1, v[210:211], v[212:213] offset0:4 offset1:5
	ds_write2_b64 v1, v[2:3], v[4:5] offset0:6 offset1:7
	;; [unrolled: 1-line block ×55, first 2 shown]
.LBB112_20:
	s_or_b32 exec_lo, exec_lo, s0
	s_mov_b32 s0, exec_lo
	s_waitcnt vmcnt(0) lgkmcnt(0)
	s_waitcnt_vscnt null, 0x0
	s_barrier
	buffer_gl0_inv
	v_cmpx_lt_i32_e32 0, v244
	s_cbranch_execz .LBB112_22
; %bb.21:
	s_clause 0x3
	buffer_load_dword v216, off, s[20:23], 0 offset:40
	buffer_load_dword v217, off, s[20:23], 0 offset:44
	;; [unrolled: 1-line block ×4, first 2 shown]
	s_waitcnt vmcnt(0)
	v_mul_f64 v[214:215], v[232:233], v[218:219]
	v_fma_f64 v[238:239], v[230:231], v[216:217], -v[214:215]
	v_mul_f64 v[214:215], v[230:231], v[218:219]
	v_fma_f64 v[218:219], v[232:233], v[216:217], v[214:215]
	ds_read2_b64 v[230:233], v1 offset0:2 offset1:3
	s_clause 0x3
	buffer_load_dword v210, off, s[20:23], 0 offset:24
	buffer_load_dword v211, off, s[20:23], 0 offset:28
	;; [unrolled: 1-line block ×4, first 2 shown]
	s_waitcnt lgkmcnt(0)
	v_mul_f64 v[214:215], v[232:233], v[218:219]
	v_mul_f64 v[216:217], v[230:231], v[218:219]
	v_fma_f64 v[214:215], v[230:231], v[238:239], -v[214:215]
	v_fma_f64 v[216:217], v[232:233], v[238:239], v[216:217]
	s_waitcnt vmcnt(2)
	v_add_f64 v[210:211], v[210:211], -v[214:215]
	s_waitcnt vmcnt(0)
	v_add_f64 v[212:213], v[212:213], -v[216:217]
	buffer_store_dword v210, off, s[20:23], 0 offset:24 ; 4-byte Folded Spill
	buffer_store_dword v211, off, s[20:23], 0 offset:28 ; 4-byte Folded Spill
	;; [unrolled: 1-line block ×4, first 2 shown]
	ds_read2_b64 v[230:233], v1 offset0:4 offset1:5
	s_clause 0x3
	buffer_load_dword v210, off, s[20:23], 0 offset:8
	buffer_load_dword v211, off, s[20:23], 0 offset:12
	;; [unrolled: 1-line block ×4, first 2 shown]
	s_waitcnt lgkmcnt(0)
	v_mul_f64 v[214:215], v[232:233], v[218:219]
	v_mul_f64 v[216:217], v[230:231], v[218:219]
	v_fma_f64 v[214:215], v[230:231], v[238:239], -v[214:215]
	v_fma_f64 v[216:217], v[232:233], v[238:239], v[216:217]
	s_waitcnt vmcnt(2)
	v_add_f64 v[210:211], v[210:211], -v[214:215]
	s_waitcnt vmcnt(0)
	v_add_f64 v[212:213], v[212:213], -v[216:217]
	buffer_store_dword v210, off, s[20:23], 0 offset:8 ; 4-byte Folded Spill
	buffer_store_dword v211, off, s[20:23], 0 offset:12 ; 4-byte Folded Spill
	;; [unrolled: 1-line block ×4, first 2 shown]
	ds_read2_b64 v[230:233], v1 offset0:6 offset1:7
	s_waitcnt lgkmcnt(0)
	v_mul_f64 v[214:215], v[232:233], v[218:219]
	v_mul_f64 v[216:217], v[230:231], v[218:219]
	v_fma_f64 v[214:215], v[230:231], v[238:239], -v[214:215]
	v_fma_f64 v[216:217], v[232:233], v[238:239], v[216:217]
	ds_read2_b64 v[230:233], v1 offset0:8 offset1:9
	v_add_f64 v[2:3], v[2:3], -v[214:215]
	v_add_f64 v[4:5], v[4:5], -v[216:217]
	s_waitcnt lgkmcnt(0)
	v_mul_f64 v[214:215], v[232:233], v[218:219]
	v_mul_f64 v[216:217], v[230:231], v[218:219]
	v_fma_f64 v[214:215], v[230:231], v[238:239], -v[214:215]
	v_fma_f64 v[216:217], v[232:233], v[238:239], v[216:217]
	ds_read2_b64 v[230:233], v1 offset0:10 offset1:11
	v_add_f64 v[234:235], v[234:235], -v[214:215]
	v_add_f64 v[236:237], v[236:237], -v[216:217]
	;; [unrolled: 8-line block ×53, first 2 shown]
	s_waitcnt lgkmcnt(0)
	v_mul_f64 v[214:215], v[232:233], v[218:219]
	v_mul_f64 v[216:217], v[230:231], v[218:219]
	v_fma_f64 v[214:215], v[230:231], v[238:239], -v[214:215]
	v_fma_f64 v[216:217], v[232:233], v[238:239], v[216:217]
	v_add_f64 v[250:251], v[250:251], -v[214:215]
	v_add_f64 v[252:253], v[252:253], -v[216:217]
	v_mov_b32_e32 v216, v238
	v_mov_b32_e32 v217, v239
	buffer_store_dword v216, off, s[20:23], 0 offset:40 ; 4-byte Folded Spill
	buffer_store_dword v217, off, s[20:23], 0 offset:44 ; 4-byte Folded Spill
	;; [unrolled: 1-line block ×4, first 2 shown]
.LBB112_22:
	s_or_b32 exec_lo, exec_lo, s0
	s_waitcnt_vscnt null, 0x0
	s_barrier
	buffer_gl0_inv
	s_clause 0x3
	buffer_load_dword v210, off, s[20:23], 0 offset:24
	buffer_load_dword v211, off, s[20:23], 0 offset:28
	;; [unrolled: 1-line block ×4, first 2 shown]
	v_lshl_add_u32 v214, v244, 4, v1
	v_mov_b32_e32 v238, 1
	s_cmp_lt_i32 s8, 3
	s_waitcnt vmcnt(0)
	ds_write2_b64 v214, v[210:211], v[212:213] offset1:1
	s_waitcnt lgkmcnt(0)
	s_barrier
	buffer_gl0_inv
	ds_read2_b64 v[230:233], v1 offset0:2 offset1:3
	s_cbranch_scc1 .LBB112_25
; %bb.23:
	v_add3_u32 v239, v228, 0, 32
	v_mov_b32_e32 v238, 1
	s_mov_b32 s0, 2
	s_inst_prefetch 0x1
	.p2align	6
.LBB112_24:                             ; =>This Inner Loop Header: Depth=1
	s_waitcnt lgkmcnt(0)
	v_cmp_gt_f64_e32 vcc_lo, 0, v[230:231]
	v_xor_b32_e32 v214, 0x80000000, v231
	ds_read2_b64 v[246:249], v239 offset1:1
	v_xor_b32_e32 v216, 0x80000000, v233
	v_add_nc_u32_e32 v239, 16, v239
	s_waitcnt lgkmcnt(0)
	v_xor_b32_e32 v218, 0x80000000, v249
	v_cndmask_b32_e32 v215, v231, v214, vcc_lo
	v_cmp_gt_f64_e32 vcc_lo, 0, v[232:233]
	v_mov_b32_e32 v214, v230
	v_cndmask_b32_e32 v217, v233, v216, vcc_lo
	v_cmp_gt_f64_e32 vcc_lo, 0, v[246:247]
	v_mov_b32_e32 v216, v232
	v_add_f64 v[214:215], v[214:215], v[216:217]
	v_xor_b32_e32 v216, 0x80000000, v247
	v_cndmask_b32_e32 v217, v247, v216, vcc_lo
	v_cmp_gt_f64_e32 vcc_lo, 0, v[248:249]
	v_mov_b32_e32 v216, v246
	v_cndmask_b32_e32 v219, v249, v218, vcc_lo
	v_mov_b32_e32 v218, v248
	v_add_f64 v[216:217], v[216:217], v[218:219]
	v_cmp_lt_f64_e32 vcc_lo, v[214:215], v[216:217]
	v_cndmask_b32_e32 v231, v231, v247, vcc_lo
	v_cndmask_b32_e32 v230, v230, v246, vcc_lo
	;; [unrolled: 1-line block ×4, first 2 shown]
	v_cndmask_b32_e64 v238, v238, s0, vcc_lo
	s_add_i32 s0, s0, 1
	s_cmp_lg_u32 s8, s0
	s_cbranch_scc1 .LBB112_24
.LBB112_25:
	s_inst_prefetch 0x2
	s_waitcnt lgkmcnt(0)
	v_cmp_neq_f64_e32 vcc_lo, 0, v[230:231]
	v_cmp_neq_f64_e64 s0, 0, v[232:233]
	s_or_b32 s1, vcc_lo, s0
	s_and_saveexec_b32 s0, s1
	s_cbranch_execz .LBB112_31
; %bb.26:
	v_cmp_ngt_f64_e64 s1, |v[230:231]|, |v[232:233]|
	s_and_saveexec_b32 s7, s1
	s_xor_b32 s1, exec_lo, s7
	s_cbranch_execz .LBB112_28
; %bb.27:
	v_div_scale_f64 v[214:215], null, v[232:233], v[232:233], v[230:231]
	v_div_scale_f64 v[220:221], vcc_lo, v[230:231], v[232:233], v[230:231]
	v_rcp_f64_e32 v[216:217], v[214:215]
	v_fma_f64 v[218:219], -v[214:215], v[216:217], 1.0
	v_fma_f64 v[216:217], v[216:217], v[218:219], v[216:217]
	v_fma_f64 v[218:219], -v[214:215], v[216:217], 1.0
	v_fma_f64 v[216:217], v[216:217], v[218:219], v[216:217]
	v_mul_f64 v[218:219], v[220:221], v[216:217]
	v_fma_f64 v[214:215], -v[214:215], v[218:219], v[220:221]
	v_div_fmas_f64 v[214:215], v[214:215], v[216:217], v[218:219]
	v_div_fixup_f64 v[214:215], v[214:215], v[232:233], v[230:231]
	v_fma_f64 v[216:217], v[230:231], v[214:215], v[232:233]
	v_div_scale_f64 v[218:219], null, v[216:217], v[216:217], 1.0
	v_rcp_f64_e32 v[220:221], v[218:219]
	v_fma_f64 v[222:223], -v[218:219], v[220:221], 1.0
	v_fma_f64 v[220:221], v[220:221], v[222:223], v[220:221]
	v_fma_f64 v[222:223], -v[218:219], v[220:221], 1.0
	v_fma_f64 v[220:221], v[220:221], v[222:223], v[220:221]
	v_div_scale_f64 v[222:223], vcc_lo, 1.0, v[216:217], 1.0
	v_mul_f64 v[224:225], v[222:223], v[220:221]
	v_fma_f64 v[218:219], -v[218:219], v[224:225], v[222:223]
	v_div_fmas_f64 v[218:219], v[218:219], v[220:221], v[224:225]
	v_div_fixup_f64 v[232:233], v[218:219], v[216:217], 1.0
	v_mul_f64 v[230:231], v[214:215], v[232:233]
	v_xor_b32_e32 v233, 0x80000000, v233
.LBB112_28:
	s_andn2_saveexec_b32 s1, s1
	s_cbranch_execz .LBB112_30
; %bb.29:
	v_div_scale_f64 v[214:215], null, v[230:231], v[230:231], v[232:233]
	v_div_scale_f64 v[220:221], vcc_lo, v[232:233], v[230:231], v[232:233]
	v_rcp_f64_e32 v[216:217], v[214:215]
	v_fma_f64 v[218:219], -v[214:215], v[216:217], 1.0
	v_fma_f64 v[216:217], v[216:217], v[218:219], v[216:217]
	v_fma_f64 v[218:219], -v[214:215], v[216:217], 1.0
	v_fma_f64 v[216:217], v[216:217], v[218:219], v[216:217]
	v_mul_f64 v[218:219], v[220:221], v[216:217]
	v_fma_f64 v[214:215], -v[214:215], v[218:219], v[220:221]
	v_div_fmas_f64 v[214:215], v[214:215], v[216:217], v[218:219]
	v_div_fixup_f64 v[214:215], v[214:215], v[230:231], v[232:233]
	v_fma_f64 v[216:217], v[232:233], v[214:215], v[230:231]
	v_div_scale_f64 v[218:219], null, v[216:217], v[216:217], 1.0
	v_rcp_f64_e32 v[220:221], v[218:219]
	v_fma_f64 v[222:223], -v[218:219], v[220:221], 1.0
	v_fma_f64 v[220:221], v[220:221], v[222:223], v[220:221]
	v_fma_f64 v[222:223], -v[218:219], v[220:221], 1.0
	v_fma_f64 v[220:221], v[220:221], v[222:223], v[220:221]
	v_div_scale_f64 v[222:223], vcc_lo, 1.0, v[216:217], 1.0
	v_mul_f64 v[224:225], v[222:223], v[220:221]
	v_fma_f64 v[218:219], -v[218:219], v[224:225], v[222:223]
	v_div_fmas_f64 v[218:219], v[218:219], v[220:221], v[224:225]
	v_div_fixup_f64 v[230:231], v[218:219], v[216:217], 1.0
	v_mul_f64 v[232:233], v[214:215], -v[230:231]
.LBB112_30:
	s_or_b32 exec_lo, exec_lo, s1
	v_mov_b32_e32 v243, v245
.LBB112_31:
	s_or_b32 exec_lo, exec_lo, s0
	s_mov_b32 s0, exec_lo
	v_cmpx_ne_u32_e64 v244, v238
	s_xor_b32 s0, exec_lo, s0
	s_cbranch_execz .LBB112_37
; %bb.32:
	s_mov_b32 s1, exec_lo
	v_cmpx_eq_u32_e32 1, v244
	s_cbranch_execz .LBB112_36
; %bb.33:
	v_cmp_ne_u32_e32 vcc_lo, 1, v238
	s_xor_b32 s7, s16, -1
	s_and_b32 s9, s7, vcc_lo
	s_and_saveexec_b32 s7, s9
	s_cbranch_execz .LBB112_35
; %bb.34:
	s_clause 0x1
	buffer_load_dword v210, off, s[20:23], 0
	buffer_load_dword v211, off, s[20:23], 0 offset:4
	v_ashrrev_i32_e32 v239, 31, v238
	v_lshlrev_b64 v[214:215], 2, v[238:239]
	s_waitcnt vmcnt(1)
	v_add_co_u32 v214, vcc_lo, v210, v214
	s_waitcnt vmcnt(0)
	v_add_co_ci_u32_e64 v215, null, v211, v215, vcc_lo
	s_clause 0x1
	global_load_dword v0, v[214:215], off
	global_load_dword v216, v[210:211], off offset:4
	s_waitcnt vmcnt(1)
	global_store_dword v[210:211], v0, off offset:4
	s_waitcnt vmcnt(0)
	global_store_dword v[214:215], v216, off
.LBB112_35:
	s_or_b32 exec_lo, exec_lo, s7
	v_mov_b32_e32 v244, v238
	v_mov_b32_e32 v0, v238
.LBB112_36:
	s_or_b32 exec_lo, exec_lo, s1
.LBB112_37:
	s_andn2_saveexec_b32 s0, s0
	s_cbranch_execz .LBB112_39
; %bb.38:
	s_clause 0x3
	buffer_load_dword v210, off, s[20:23], 0 offset:8
	buffer_load_dword v211, off, s[20:23], 0 offset:12
	;; [unrolled: 1-line block ×4, first 2 shown]
	v_mov_b32_e32 v244, 1
	s_waitcnt vmcnt(0)
	ds_write2_b64 v1, v[210:211], v[212:213] offset0:4 offset1:5
	ds_write2_b64 v1, v[2:3], v[4:5] offset0:6 offset1:7
	;; [unrolled: 1-line block ×55, first 2 shown]
.LBB112_39:
	s_or_b32 exec_lo, exec_lo, s0
	s_mov_b32 s0, exec_lo
	s_waitcnt lgkmcnt(0)
	s_waitcnt_vscnt null, 0x0
	s_barrier
	buffer_gl0_inv
	v_cmpx_lt_i32_e32 1, v244
	s_cbranch_execz .LBB112_41
; %bb.40:
	s_clause 0x3
	buffer_load_dword v216, off, s[20:23], 0 offset:24
	buffer_load_dword v217, off, s[20:23], 0 offset:28
	;; [unrolled: 1-line block ×4, first 2 shown]
	s_waitcnt vmcnt(0)
	v_mul_f64 v[214:215], v[232:233], v[218:219]
	v_fma_f64 v[238:239], v[230:231], v[216:217], -v[214:215]
	v_mul_f64 v[214:215], v[230:231], v[218:219]
	v_fma_f64 v[218:219], v[232:233], v[216:217], v[214:215]
	ds_read2_b64 v[230:233], v1 offset0:4 offset1:5
	s_clause 0x3
	buffer_load_dword v210, off, s[20:23], 0 offset:8
	buffer_load_dword v211, off, s[20:23], 0 offset:12
	;; [unrolled: 1-line block ×4, first 2 shown]
	s_waitcnt lgkmcnt(0)
	v_mul_f64 v[214:215], v[232:233], v[218:219]
	v_mul_f64 v[216:217], v[230:231], v[218:219]
	v_fma_f64 v[214:215], v[230:231], v[238:239], -v[214:215]
	v_fma_f64 v[216:217], v[232:233], v[238:239], v[216:217]
	s_waitcnt vmcnt(2)
	v_add_f64 v[210:211], v[210:211], -v[214:215]
	s_waitcnt vmcnt(0)
	v_add_f64 v[212:213], v[212:213], -v[216:217]
	buffer_store_dword v210, off, s[20:23], 0 offset:8 ; 4-byte Folded Spill
	buffer_store_dword v211, off, s[20:23], 0 offset:12 ; 4-byte Folded Spill
	;; [unrolled: 1-line block ×4, first 2 shown]
	ds_read2_b64 v[230:233], v1 offset0:6 offset1:7
	s_waitcnt lgkmcnt(0)
	v_mul_f64 v[214:215], v[232:233], v[218:219]
	v_mul_f64 v[216:217], v[230:231], v[218:219]
	v_fma_f64 v[214:215], v[230:231], v[238:239], -v[214:215]
	v_fma_f64 v[216:217], v[232:233], v[238:239], v[216:217]
	ds_read2_b64 v[230:233], v1 offset0:8 offset1:9
	v_add_f64 v[2:3], v[2:3], -v[214:215]
	v_add_f64 v[4:5], v[4:5], -v[216:217]
	s_waitcnt lgkmcnt(0)
	v_mul_f64 v[214:215], v[232:233], v[218:219]
	v_mul_f64 v[216:217], v[230:231], v[218:219]
	v_fma_f64 v[214:215], v[230:231], v[238:239], -v[214:215]
	v_fma_f64 v[216:217], v[232:233], v[238:239], v[216:217]
	ds_read2_b64 v[230:233], v1 offset0:10 offset1:11
	v_add_f64 v[234:235], v[234:235], -v[214:215]
	v_add_f64 v[236:237], v[236:237], -v[216:217]
	;; [unrolled: 8-line block ×53, first 2 shown]
	s_waitcnt lgkmcnt(0)
	v_mul_f64 v[214:215], v[232:233], v[218:219]
	v_mul_f64 v[216:217], v[230:231], v[218:219]
	v_fma_f64 v[214:215], v[230:231], v[238:239], -v[214:215]
	v_fma_f64 v[216:217], v[232:233], v[238:239], v[216:217]
	v_add_f64 v[250:251], v[250:251], -v[214:215]
	v_add_f64 v[252:253], v[252:253], -v[216:217]
	v_mov_b32_e32 v216, v238
	v_mov_b32_e32 v217, v239
	buffer_store_dword v216, off, s[20:23], 0 offset:24 ; 4-byte Folded Spill
	buffer_store_dword v217, off, s[20:23], 0 offset:28 ; 4-byte Folded Spill
	;; [unrolled: 1-line block ×4, first 2 shown]
.LBB112_41:
	s_or_b32 exec_lo, exec_lo, s0
	s_waitcnt_vscnt null, 0x0
	s_barrier
	buffer_gl0_inv
	s_clause 0x3
	buffer_load_dword v210, off, s[20:23], 0 offset:8
	buffer_load_dword v211, off, s[20:23], 0 offset:12
	;; [unrolled: 1-line block ×4, first 2 shown]
	v_lshl_add_u32 v214, v244, 4, v1
	v_mov_b32_e32 v238, 2
	s_cmp_lt_i32 s8, 4
	s_waitcnt vmcnt(0)
	ds_write2_b64 v214, v[210:211], v[212:213] offset1:1
	s_waitcnt lgkmcnt(0)
	s_barrier
	buffer_gl0_inv
	ds_read2_b64 v[230:233], v1 offset0:4 offset1:5
	s_cbranch_scc1 .LBB112_44
; %bb.42:
	v_add3_u32 v239, v228, 0, 48
	v_mov_b32_e32 v238, 2
	s_mov_b32 s0, 3
	s_inst_prefetch 0x1
	.p2align	6
.LBB112_43:                             ; =>This Inner Loop Header: Depth=1
	s_waitcnt lgkmcnt(0)
	v_cmp_gt_f64_e32 vcc_lo, 0, v[230:231]
	v_xor_b32_e32 v214, 0x80000000, v231
	ds_read2_b64 v[245:248], v239 offset1:1
	v_xor_b32_e32 v216, 0x80000000, v233
	v_add_nc_u32_e32 v239, 16, v239
	s_waitcnt lgkmcnt(0)
	v_xor_b32_e32 v218, 0x80000000, v248
	v_cndmask_b32_e32 v215, v231, v214, vcc_lo
	v_cmp_gt_f64_e32 vcc_lo, 0, v[232:233]
	v_mov_b32_e32 v214, v230
	v_cndmask_b32_e32 v217, v233, v216, vcc_lo
	v_cmp_gt_f64_e32 vcc_lo, 0, v[245:246]
	v_mov_b32_e32 v216, v232
	v_add_f64 v[214:215], v[214:215], v[216:217]
	v_xor_b32_e32 v216, 0x80000000, v246
	v_cndmask_b32_e32 v217, v246, v216, vcc_lo
	v_cmp_gt_f64_e32 vcc_lo, 0, v[247:248]
	v_mov_b32_e32 v216, v245
	v_cndmask_b32_e32 v219, v248, v218, vcc_lo
	v_mov_b32_e32 v218, v247
	v_add_f64 v[216:217], v[216:217], v[218:219]
	v_cmp_lt_f64_e32 vcc_lo, v[214:215], v[216:217]
	v_cndmask_b32_e32 v231, v231, v246, vcc_lo
	v_cndmask_b32_e32 v230, v230, v245, vcc_lo
	;; [unrolled: 1-line block ×4, first 2 shown]
	v_cndmask_b32_e64 v238, v238, s0, vcc_lo
	s_add_i32 s0, s0, 1
	s_cmp_lg_u32 s8, s0
	s_cbranch_scc1 .LBB112_43
.LBB112_44:
	s_inst_prefetch 0x2
	s_waitcnt lgkmcnt(0)
	v_cmp_eq_f64_e32 vcc_lo, 0, v[230:231]
	v_cmp_eq_f64_e64 s0, 0, v[232:233]
	s_and_b32 s0, vcc_lo, s0
	s_and_saveexec_b32 s1, s0
	s_xor_b32 s0, exec_lo, s1
; %bb.45:
	v_cmp_ne_u32_e32 vcc_lo, 0, v243
	v_cndmask_b32_e32 v243, 3, v243, vcc_lo
; %bb.46:
	s_andn2_saveexec_b32 s0, s0
	s_cbranch_execz .LBB112_52
; %bb.47:
	v_cmp_ngt_f64_e64 s1, |v[230:231]|, |v[232:233]|
	s_and_saveexec_b32 s7, s1
	s_xor_b32 s1, exec_lo, s7
	s_cbranch_execz .LBB112_49
; %bb.48:
	v_div_scale_f64 v[214:215], null, v[232:233], v[232:233], v[230:231]
	v_div_scale_f64 v[220:221], vcc_lo, v[230:231], v[232:233], v[230:231]
	v_rcp_f64_e32 v[216:217], v[214:215]
	v_fma_f64 v[218:219], -v[214:215], v[216:217], 1.0
	v_fma_f64 v[216:217], v[216:217], v[218:219], v[216:217]
	v_fma_f64 v[218:219], -v[214:215], v[216:217], 1.0
	v_fma_f64 v[216:217], v[216:217], v[218:219], v[216:217]
	v_mul_f64 v[218:219], v[220:221], v[216:217]
	v_fma_f64 v[214:215], -v[214:215], v[218:219], v[220:221]
	v_div_fmas_f64 v[214:215], v[214:215], v[216:217], v[218:219]
	v_div_fixup_f64 v[214:215], v[214:215], v[232:233], v[230:231]
	v_fma_f64 v[216:217], v[230:231], v[214:215], v[232:233]
	v_div_scale_f64 v[218:219], null, v[216:217], v[216:217], 1.0
	v_rcp_f64_e32 v[220:221], v[218:219]
	v_fma_f64 v[222:223], -v[218:219], v[220:221], 1.0
	v_fma_f64 v[220:221], v[220:221], v[222:223], v[220:221]
	v_fma_f64 v[222:223], -v[218:219], v[220:221], 1.0
	v_fma_f64 v[220:221], v[220:221], v[222:223], v[220:221]
	v_div_scale_f64 v[222:223], vcc_lo, 1.0, v[216:217], 1.0
	v_mul_f64 v[224:225], v[222:223], v[220:221]
	v_fma_f64 v[218:219], -v[218:219], v[224:225], v[222:223]
	v_div_fmas_f64 v[218:219], v[218:219], v[220:221], v[224:225]
	v_div_fixup_f64 v[232:233], v[218:219], v[216:217], 1.0
	v_mul_f64 v[230:231], v[214:215], v[232:233]
	v_xor_b32_e32 v233, 0x80000000, v233
.LBB112_49:
	s_andn2_saveexec_b32 s1, s1
	s_cbranch_execz .LBB112_51
; %bb.50:
	v_div_scale_f64 v[214:215], null, v[230:231], v[230:231], v[232:233]
	v_div_scale_f64 v[220:221], vcc_lo, v[232:233], v[230:231], v[232:233]
	v_rcp_f64_e32 v[216:217], v[214:215]
	v_fma_f64 v[218:219], -v[214:215], v[216:217], 1.0
	v_fma_f64 v[216:217], v[216:217], v[218:219], v[216:217]
	v_fma_f64 v[218:219], -v[214:215], v[216:217], 1.0
	v_fma_f64 v[216:217], v[216:217], v[218:219], v[216:217]
	v_mul_f64 v[218:219], v[220:221], v[216:217]
	v_fma_f64 v[214:215], -v[214:215], v[218:219], v[220:221]
	v_div_fmas_f64 v[214:215], v[214:215], v[216:217], v[218:219]
	v_div_fixup_f64 v[214:215], v[214:215], v[230:231], v[232:233]
	v_fma_f64 v[216:217], v[232:233], v[214:215], v[230:231]
	v_div_scale_f64 v[218:219], null, v[216:217], v[216:217], 1.0
	v_rcp_f64_e32 v[220:221], v[218:219]
	v_fma_f64 v[222:223], -v[218:219], v[220:221], 1.0
	v_fma_f64 v[220:221], v[220:221], v[222:223], v[220:221]
	v_fma_f64 v[222:223], -v[218:219], v[220:221], 1.0
	v_fma_f64 v[220:221], v[220:221], v[222:223], v[220:221]
	v_div_scale_f64 v[222:223], vcc_lo, 1.0, v[216:217], 1.0
	v_mul_f64 v[224:225], v[222:223], v[220:221]
	v_fma_f64 v[218:219], -v[218:219], v[224:225], v[222:223]
	v_div_fmas_f64 v[218:219], v[218:219], v[220:221], v[224:225]
	v_div_fixup_f64 v[230:231], v[218:219], v[216:217], 1.0
	v_mul_f64 v[232:233], v[214:215], -v[230:231]
.LBB112_51:
	s_or_b32 exec_lo, exec_lo, s1
.LBB112_52:
	s_or_b32 exec_lo, exec_lo, s0
	s_mov_b32 s0, exec_lo
	v_cmpx_ne_u32_e64 v244, v238
	s_xor_b32 s0, exec_lo, s0
	s_cbranch_execz .LBB112_58
; %bb.53:
	s_mov_b32 s1, exec_lo
	v_cmpx_eq_u32_e32 2, v244
	s_cbranch_execz .LBB112_57
; %bb.54:
	v_cmp_ne_u32_e32 vcc_lo, 2, v238
	s_xor_b32 s7, s16, -1
	s_and_b32 s9, s7, vcc_lo
	s_and_saveexec_b32 s7, s9
	s_cbranch_execz .LBB112_56
; %bb.55:
	s_clause 0x1
	buffer_load_dword v210, off, s[20:23], 0
	buffer_load_dword v211, off, s[20:23], 0 offset:4
	v_ashrrev_i32_e32 v239, 31, v238
	v_lshlrev_b64 v[214:215], 2, v[238:239]
	s_waitcnt vmcnt(1)
	v_add_co_u32 v214, vcc_lo, v210, v214
	s_waitcnt vmcnt(0)
	v_add_co_ci_u32_e64 v215, null, v211, v215, vcc_lo
	s_clause 0x1
	global_load_dword v0, v[214:215], off
	global_load_dword v216, v[210:211], off offset:8
	s_waitcnt vmcnt(1)
	global_store_dword v[210:211], v0, off offset:8
	s_waitcnt vmcnt(0)
	global_store_dword v[214:215], v216, off
.LBB112_56:
	s_or_b32 exec_lo, exec_lo, s7
	v_mov_b32_e32 v244, v238
	v_mov_b32_e32 v0, v238
.LBB112_57:
	s_or_b32 exec_lo, exec_lo, s1
.LBB112_58:
	s_andn2_saveexec_b32 s0, s0
	s_cbranch_execz .LBB112_60
; %bb.59:
	v_mov_b32_e32 v244, 2
	ds_write2_b64 v1, v[2:3], v[4:5] offset0:6 offset1:7
	ds_write2_b64 v1, v[234:235], v[236:237] offset0:8 offset1:9
	;; [unrolled: 1-line block ×54, first 2 shown]
.LBB112_60:
	s_or_b32 exec_lo, exec_lo, s0
	s_mov_b32 s0, exec_lo
	s_waitcnt lgkmcnt(0)
	s_waitcnt_vscnt null, 0x0
	s_barrier
	buffer_gl0_inv
	v_cmpx_lt_i32_e32 2, v244
	s_cbranch_execz .LBB112_62
; %bb.61:
	s_clause 0x3
	buffer_load_dword v210, off, s[20:23], 0 offset:8
	buffer_load_dword v211, off, s[20:23], 0 offset:12
	;; [unrolled: 1-line block ×4, first 2 shown]
	s_waitcnt vmcnt(0)
	v_mul_f64 v[214:215], v[232:233], v[212:213]
	v_fma_f64 v[238:239], v[230:231], v[210:211], -v[214:215]
	v_mul_f64 v[214:215], v[230:231], v[212:213]
	v_fma_f64 v[212:213], v[232:233], v[210:211], v[214:215]
	ds_read2_b64 v[230:233], v1 offset0:6 offset1:7
	v_mov_b32_e32 v210, v238
	v_mov_b32_e32 v211, v239
	s_waitcnt lgkmcnt(0)
	v_mul_f64 v[214:215], v[232:233], v[212:213]
	v_mul_f64 v[216:217], v[230:231], v[212:213]
	v_fma_f64 v[214:215], v[230:231], v[238:239], -v[214:215]
	v_fma_f64 v[216:217], v[232:233], v[238:239], v[216:217]
	ds_read2_b64 v[230:233], v1 offset0:8 offset1:9
	v_add_f64 v[2:3], v[2:3], -v[214:215]
	v_add_f64 v[4:5], v[4:5], -v[216:217]
	s_waitcnt lgkmcnt(0)
	v_mul_f64 v[214:215], v[232:233], v[212:213]
	v_mul_f64 v[216:217], v[230:231], v[212:213]
	v_fma_f64 v[214:215], v[230:231], v[238:239], -v[214:215]
	v_fma_f64 v[216:217], v[232:233], v[238:239], v[216:217]
	ds_read2_b64 v[230:233], v1 offset0:10 offset1:11
	v_add_f64 v[234:235], v[234:235], -v[214:215]
	v_add_f64 v[236:237], v[236:237], -v[216:217]
	;; [unrolled: 8-line block ×53, first 2 shown]
	s_waitcnt lgkmcnt(0)
	v_mul_f64 v[214:215], v[232:233], v[212:213]
	v_mul_f64 v[216:217], v[230:231], v[212:213]
	buffer_store_dword v210, off, s[20:23], 0 offset:8 ; 4-byte Folded Spill
	buffer_store_dword v211, off, s[20:23], 0 offset:12 ; 4-byte Folded Spill
	;; [unrolled: 1-line block ×4, first 2 shown]
	v_fma_f64 v[214:215], v[230:231], v[238:239], -v[214:215]
	v_fma_f64 v[216:217], v[232:233], v[238:239], v[216:217]
	v_add_f64 v[250:251], v[250:251], -v[214:215]
	v_add_f64 v[252:253], v[252:253], -v[216:217]
.LBB112_62:
	s_or_b32 exec_lo, exec_lo, s0
	v_lshl_add_u32 v214, v244, 4, v1
	s_waitcnt_vscnt null, 0x0
	s_barrier
	buffer_gl0_inv
	v_mov_b32_e32 v238, 3
	ds_write2_b64 v214, v[2:3], v[4:5] offset1:1
	s_waitcnt lgkmcnt(0)
	s_barrier
	buffer_gl0_inv
	ds_read2_b64 v[230:233], v1 offset0:6 offset1:7
	s_cmp_lt_i32 s8, 5
	s_mov_b32 s0, 4
	s_cbranch_scc1 .LBB112_65
; %bb.63:
	v_add3_u32 v239, v228, 0, 64
	v_mov_b32_e32 v238, 3
	s_inst_prefetch 0x1
	.p2align	6
.LBB112_64:                             ; =>This Inner Loop Header: Depth=1
	s_waitcnt lgkmcnt(0)
	v_cmp_gt_f64_e32 vcc_lo, 0, v[230:231]
	v_xor_b32_e32 v214, 0x80000000, v231
	ds_read2_b64 v[245:248], v239 offset1:1
	v_xor_b32_e32 v216, 0x80000000, v233
	v_add_nc_u32_e32 v239, 16, v239
	s_waitcnt lgkmcnt(0)
	v_xor_b32_e32 v218, 0x80000000, v248
	v_cndmask_b32_e32 v215, v231, v214, vcc_lo
	v_cmp_gt_f64_e32 vcc_lo, 0, v[232:233]
	v_mov_b32_e32 v214, v230
	v_cndmask_b32_e32 v217, v233, v216, vcc_lo
	v_cmp_gt_f64_e32 vcc_lo, 0, v[245:246]
	v_mov_b32_e32 v216, v232
	v_add_f64 v[214:215], v[214:215], v[216:217]
	v_xor_b32_e32 v216, 0x80000000, v246
	v_cndmask_b32_e32 v217, v246, v216, vcc_lo
	v_cmp_gt_f64_e32 vcc_lo, 0, v[247:248]
	v_mov_b32_e32 v216, v245
	v_cndmask_b32_e32 v219, v248, v218, vcc_lo
	v_mov_b32_e32 v218, v247
	v_add_f64 v[216:217], v[216:217], v[218:219]
	v_cmp_lt_f64_e32 vcc_lo, v[214:215], v[216:217]
	v_cndmask_b32_e32 v231, v231, v246, vcc_lo
	v_cndmask_b32_e32 v230, v230, v245, vcc_lo
	;; [unrolled: 1-line block ×4, first 2 shown]
	v_cndmask_b32_e64 v238, v238, s0, vcc_lo
	s_add_i32 s0, s0, 1
	s_cmp_lg_u32 s8, s0
	s_cbranch_scc1 .LBB112_64
.LBB112_65:
	s_inst_prefetch 0x2
	s_waitcnt lgkmcnt(0)
	v_cmp_eq_f64_e32 vcc_lo, 0, v[230:231]
	v_cmp_eq_f64_e64 s0, 0, v[232:233]
	s_and_b32 s0, vcc_lo, s0
	s_and_saveexec_b32 s1, s0
	s_xor_b32 s0, exec_lo, s1
; %bb.66:
	v_cmp_ne_u32_e32 vcc_lo, 0, v243
	v_cndmask_b32_e32 v243, 4, v243, vcc_lo
; %bb.67:
	s_andn2_saveexec_b32 s0, s0
	s_cbranch_execz .LBB112_73
; %bb.68:
	v_cmp_ngt_f64_e64 s1, |v[230:231]|, |v[232:233]|
	s_and_saveexec_b32 s7, s1
	s_xor_b32 s1, exec_lo, s7
	s_cbranch_execz .LBB112_70
; %bb.69:
	v_div_scale_f64 v[214:215], null, v[232:233], v[232:233], v[230:231]
	v_div_scale_f64 v[220:221], vcc_lo, v[230:231], v[232:233], v[230:231]
	v_rcp_f64_e32 v[216:217], v[214:215]
	v_fma_f64 v[218:219], -v[214:215], v[216:217], 1.0
	v_fma_f64 v[216:217], v[216:217], v[218:219], v[216:217]
	v_fma_f64 v[218:219], -v[214:215], v[216:217], 1.0
	v_fma_f64 v[216:217], v[216:217], v[218:219], v[216:217]
	v_mul_f64 v[218:219], v[220:221], v[216:217]
	v_fma_f64 v[214:215], -v[214:215], v[218:219], v[220:221]
	v_div_fmas_f64 v[214:215], v[214:215], v[216:217], v[218:219]
	v_div_fixup_f64 v[214:215], v[214:215], v[232:233], v[230:231]
	v_fma_f64 v[216:217], v[230:231], v[214:215], v[232:233]
	v_div_scale_f64 v[218:219], null, v[216:217], v[216:217], 1.0
	v_rcp_f64_e32 v[220:221], v[218:219]
	v_fma_f64 v[222:223], -v[218:219], v[220:221], 1.0
	v_fma_f64 v[220:221], v[220:221], v[222:223], v[220:221]
	v_fma_f64 v[222:223], -v[218:219], v[220:221], 1.0
	v_fma_f64 v[220:221], v[220:221], v[222:223], v[220:221]
	v_div_scale_f64 v[222:223], vcc_lo, 1.0, v[216:217], 1.0
	v_mul_f64 v[224:225], v[222:223], v[220:221]
	v_fma_f64 v[218:219], -v[218:219], v[224:225], v[222:223]
	v_div_fmas_f64 v[218:219], v[218:219], v[220:221], v[224:225]
	v_div_fixup_f64 v[232:233], v[218:219], v[216:217], 1.0
	v_mul_f64 v[230:231], v[214:215], v[232:233]
	v_xor_b32_e32 v233, 0x80000000, v233
.LBB112_70:
	s_andn2_saveexec_b32 s1, s1
	s_cbranch_execz .LBB112_72
; %bb.71:
	v_div_scale_f64 v[214:215], null, v[230:231], v[230:231], v[232:233]
	v_div_scale_f64 v[220:221], vcc_lo, v[232:233], v[230:231], v[232:233]
	v_rcp_f64_e32 v[216:217], v[214:215]
	v_fma_f64 v[218:219], -v[214:215], v[216:217], 1.0
	v_fma_f64 v[216:217], v[216:217], v[218:219], v[216:217]
	v_fma_f64 v[218:219], -v[214:215], v[216:217], 1.0
	v_fma_f64 v[216:217], v[216:217], v[218:219], v[216:217]
	v_mul_f64 v[218:219], v[220:221], v[216:217]
	v_fma_f64 v[214:215], -v[214:215], v[218:219], v[220:221]
	v_div_fmas_f64 v[214:215], v[214:215], v[216:217], v[218:219]
	v_div_fixup_f64 v[214:215], v[214:215], v[230:231], v[232:233]
	v_fma_f64 v[216:217], v[232:233], v[214:215], v[230:231]
	v_div_scale_f64 v[218:219], null, v[216:217], v[216:217], 1.0
	v_rcp_f64_e32 v[220:221], v[218:219]
	v_fma_f64 v[222:223], -v[218:219], v[220:221], 1.0
	v_fma_f64 v[220:221], v[220:221], v[222:223], v[220:221]
	v_fma_f64 v[222:223], -v[218:219], v[220:221], 1.0
	v_fma_f64 v[220:221], v[220:221], v[222:223], v[220:221]
	v_div_scale_f64 v[222:223], vcc_lo, 1.0, v[216:217], 1.0
	v_mul_f64 v[224:225], v[222:223], v[220:221]
	v_fma_f64 v[218:219], -v[218:219], v[224:225], v[222:223]
	v_div_fmas_f64 v[218:219], v[218:219], v[220:221], v[224:225]
	v_div_fixup_f64 v[230:231], v[218:219], v[216:217], 1.0
	v_mul_f64 v[232:233], v[214:215], -v[230:231]
.LBB112_72:
	s_or_b32 exec_lo, exec_lo, s1
.LBB112_73:
	s_or_b32 exec_lo, exec_lo, s0
	s_mov_b32 s0, exec_lo
	v_cmpx_ne_u32_e64 v244, v238
	s_xor_b32 s0, exec_lo, s0
	s_cbranch_execz .LBB112_79
; %bb.74:
	s_mov_b32 s1, exec_lo
	v_cmpx_eq_u32_e32 3, v244
	s_cbranch_execz .LBB112_78
; %bb.75:
	v_cmp_ne_u32_e32 vcc_lo, 3, v238
	s_xor_b32 s7, s16, -1
	s_and_b32 s9, s7, vcc_lo
	s_and_saveexec_b32 s7, s9
	s_cbranch_execz .LBB112_77
; %bb.76:
	s_clause 0x1
	buffer_load_dword v210, off, s[20:23], 0
	buffer_load_dword v211, off, s[20:23], 0 offset:4
	v_ashrrev_i32_e32 v239, 31, v238
	v_lshlrev_b64 v[214:215], 2, v[238:239]
	s_waitcnt vmcnt(1)
	v_add_co_u32 v214, vcc_lo, v210, v214
	s_waitcnt vmcnt(0)
	v_add_co_ci_u32_e64 v215, null, v211, v215, vcc_lo
	s_clause 0x1
	global_load_dword v0, v[214:215], off
	global_load_dword v216, v[210:211], off offset:12
	s_waitcnt vmcnt(1)
	global_store_dword v[210:211], v0, off offset:12
	s_waitcnt vmcnt(0)
	global_store_dword v[214:215], v216, off
.LBB112_77:
	s_or_b32 exec_lo, exec_lo, s7
	v_mov_b32_e32 v244, v238
	v_mov_b32_e32 v0, v238
.LBB112_78:
	s_or_b32 exec_lo, exec_lo, s1
.LBB112_79:
	s_andn2_saveexec_b32 s0, s0
	s_cbranch_execz .LBB112_81
; %bb.80:
	v_mov_b32_e32 v244, 3
	ds_write2_b64 v1, v[234:235], v[236:237] offset0:8 offset1:9
	ds_write2_b64 v1, v[206:207], v[208:209] offset0:10 offset1:11
	;; [unrolled: 1-line block ×53, first 2 shown]
.LBB112_81:
	s_or_b32 exec_lo, exec_lo, s0
	s_mov_b32 s0, exec_lo
	s_waitcnt lgkmcnt(0)
	s_waitcnt_vscnt null, 0x0
	s_barrier
	buffer_gl0_inv
	v_cmpx_lt_i32_e32 3, v244
	s_cbranch_execz .LBB112_83
; %bb.82:
	v_mul_f64 v[214:215], v[232:233], v[4:5]
	v_fma_f64 v[238:239], v[230:231], v[2:3], -v[214:215]
	v_mul_f64 v[214:215], v[230:231], v[4:5]
	v_fma_f64 v[4:5], v[232:233], v[2:3], v[214:215]
	ds_read2_b64 v[230:233], v1 offset0:8 offset1:9
	v_mov_b32_e32 v2, v238
	v_mov_b32_e32 v3, v239
	s_waitcnt lgkmcnt(0)
	v_mul_f64 v[214:215], v[232:233], v[4:5]
	v_mul_f64 v[216:217], v[230:231], v[4:5]
	v_fma_f64 v[214:215], v[230:231], v[238:239], -v[214:215]
	v_fma_f64 v[216:217], v[232:233], v[238:239], v[216:217]
	ds_read2_b64 v[230:233], v1 offset0:10 offset1:11
	v_add_f64 v[234:235], v[234:235], -v[214:215]
	v_add_f64 v[236:237], v[236:237], -v[216:217]
	s_waitcnt lgkmcnt(0)
	v_mul_f64 v[214:215], v[232:233], v[4:5]
	v_mul_f64 v[216:217], v[230:231], v[4:5]
	v_fma_f64 v[214:215], v[230:231], v[238:239], -v[214:215]
	v_fma_f64 v[216:217], v[232:233], v[238:239], v[216:217]
	ds_read2_b64 v[230:233], v1 offset0:12 offset1:13
	v_add_f64 v[206:207], v[206:207], -v[214:215]
	v_add_f64 v[208:209], v[208:209], -v[216:217]
	s_waitcnt lgkmcnt(0)
	v_mul_f64 v[214:215], v[232:233], v[4:5]
	v_mul_f64 v[216:217], v[230:231], v[4:5]
	v_fma_f64 v[214:215], v[230:231], v[238:239], -v[214:215]
	v_fma_f64 v[216:217], v[232:233], v[238:239], v[216:217]
	ds_read2_b64 v[230:233], v1 offset0:14 offset1:15
	v_add_f64 v[202:203], v[202:203], -v[214:215]
	v_add_f64 v[204:205], v[204:205], -v[216:217]
	s_waitcnt lgkmcnt(0)
	v_mul_f64 v[214:215], v[232:233], v[4:5]
	v_mul_f64 v[216:217], v[230:231], v[4:5]
	v_fma_f64 v[214:215], v[230:231], v[238:239], -v[214:215]
	v_fma_f64 v[216:217], v[232:233], v[238:239], v[216:217]
	ds_read2_b64 v[230:233], v1 offset0:16 offset1:17
	v_add_f64 v[198:199], v[198:199], -v[214:215]
	v_add_f64 v[200:201], v[200:201], -v[216:217]
	s_waitcnt lgkmcnt(0)
	v_mul_f64 v[214:215], v[232:233], v[4:5]
	v_mul_f64 v[216:217], v[230:231], v[4:5]
	v_fma_f64 v[214:215], v[230:231], v[238:239], -v[214:215]
	v_fma_f64 v[216:217], v[232:233], v[238:239], v[216:217]
	ds_read2_b64 v[230:233], v1 offset0:18 offset1:19
	v_add_f64 v[194:195], v[194:195], -v[214:215]
	v_add_f64 v[196:197], v[196:197], -v[216:217]
	s_waitcnt lgkmcnt(0)
	v_mul_f64 v[214:215], v[232:233], v[4:5]
	v_mul_f64 v[216:217], v[230:231], v[4:5]
	v_fma_f64 v[214:215], v[230:231], v[238:239], -v[214:215]
	v_fma_f64 v[216:217], v[232:233], v[238:239], v[216:217]
	ds_read2_b64 v[230:233], v1 offset0:20 offset1:21
	v_add_f64 v[190:191], v[190:191], -v[214:215]
	v_add_f64 v[192:193], v[192:193], -v[216:217]
	s_waitcnt lgkmcnt(0)
	v_mul_f64 v[214:215], v[232:233], v[4:5]
	v_mul_f64 v[216:217], v[230:231], v[4:5]
	v_fma_f64 v[214:215], v[230:231], v[238:239], -v[214:215]
	v_fma_f64 v[216:217], v[232:233], v[238:239], v[216:217]
	ds_read2_b64 v[230:233], v1 offset0:22 offset1:23
	v_add_f64 v[186:187], v[186:187], -v[214:215]
	v_add_f64 v[188:189], v[188:189], -v[216:217]
	s_waitcnt lgkmcnt(0)
	v_mul_f64 v[214:215], v[232:233], v[4:5]
	v_mul_f64 v[216:217], v[230:231], v[4:5]
	v_fma_f64 v[214:215], v[230:231], v[238:239], -v[214:215]
	v_fma_f64 v[216:217], v[232:233], v[238:239], v[216:217]
	ds_read2_b64 v[230:233], v1 offset0:24 offset1:25
	v_add_f64 v[182:183], v[182:183], -v[214:215]
	v_add_f64 v[184:185], v[184:185], -v[216:217]
	s_waitcnt lgkmcnt(0)
	v_mul_f64 v[214:215], v[232:233], v[4:5]
	v_mul_f64 v[216:217], v[230:231], v[4:5]
	v_fma_f64 v[214:215], v[230:231], v[238:239], -v[214:215]
	v_fma_f64 v[216:217], v[232:233], v[238:239], v[216:217]
	ds_read2_b64 v[230:233], v1 offset0:26 offset1:27
	v_add_f64 v[178:179], v[178:179], -v[214:215]
	v_add_f64 v[180:181], v[180:181], -v[216:217]
	s_waitcnt lgkmcnt(0)
	v_mul_f64 v[214:215], v[232:233], v[4:5]
	v_mul_f64 v[216:217], v[230:231], v[4:5]
	v_fma_f64 v[214:215], v[230:231], v[238:239], -v[214:215]
	v_fma_f64 v[216:217], v[232:233], v[238:239], v[216:217]
	ds_read2_b64 v[230:233], v1 offset0:28 offset1:29
	v_add_f64 v[174:175], v[174:175], -v[214:215]
	v_add_f64 v[176:177], v[176:177], -v[216:217]
	s_waitcnt lgkmcnt(0)
	v_mul_f64 v[214:215], v[232:233], v[4:5]
	v_mul_f64 v[216:217], v[230:231], v[4:5]
	v_fma_f64 v[214:215], v[230:231], v[238:239], -v[214:215]
	v_fma_f64 v[216:217], v[232:233], v[238:239], v[216:217]
	ds_read2_b64 v[230:233], v1 offset0:30 offset1:31
	v_add_f64 v[170:171], v[170:171], -v[214:215]
	v_add_f64 v[172:173], v[172:173], -v[216:217]
	s_waitcnt lgkmcnt(0)
	v_mul_f64 v[214:215], v[232:233], v[4:5]
	v_mul_f64 v[216:217], v[230:231], v[4:5]
	v_fma_f64 v[214:215], v[230:231], v[238:239], -v[214:215]
	v_fma_f64 v[216:217], v[232:233], v[238:239], v[216:217]
	ds_read2_b64 v[230:233], v1 offset0:32 offset1:33
	v_add_f64 v[166:167], v[166:167], -v[214:215]
	v_add_f64 v[168:169], v[168:169], -v[216:217]
	s_waitcnt lgkmcnt(0)
	v_mul_f64 v[214:215], v[232:233], v[4:5]
	v_mul_f64 v[216:217], v[230:231], v[4:5]
	v_fma_f64 v[214:215], v[230:231], v[238:239], -v[214:215]
	v_fma_f64 v[216:217], v[232:233], v[238:239], v[216:217]
	ds_read2_b64 v[230:233], v1 offset0:34 offset1:35
	v_add_f64 v[162:163], v[162:163], -v[214:215]
	v_add_f64 v[164:165], v[164:165], -v[216:217]
	s_waitcnt lgkmcnt(0)
	v_mul_f64 v[214:215], v[232:233], v[4:5]
	v_mul_f64 v[216:217], v[230:231], v[4:5]
	v_fma_f64 v[214:215], v[230:231], v[238:239], -v[214:215]
	v_fma_f64 v[216:217], v[232:233], v[238:239], v[216:217]
	ds_read2_b64 v[230:233], v1 offset0:36 offset1:37
	v_add_f64 v[158:159], v[158:159], -v[214:215]
	v_add_f64 v[160:161], v[160:161], -v[216:217]
	s_waitcnt lgkmcnt(0)
	v_mul_f64 v[214:215], v[232:233], v[4:5]
	v_mul_f64 v[216:217], v[230:231], v[4:5]
	v_fma_f64 v[214:215], v[230:231], v[238:239], -v[214:215]
	v_fma_f64 v[216:217], v[232:233], v[238:239], v[216:217]
	ds_read2_b64 v[230:233], v1 offset0:38 offset1:39
	v_add_f64 v[154:155], v[154:155], -v[214:215]
	v_add_f64 v[156:157], v[156:157], -v[216:217]
	s_waitcnt lgkmcnt(0)
	v_mul_f64 v[214:215], v[232:233], v[4:5]
	v_mul_f64 v[216:217], v[230:231], v[4:5]
	v_fma_f64 v[214:215], v[230:231], v[238:239], -v[214:215]
	v_fma_f64 v[216:217], v[232:233], v[238:239], v[216:217]
	ds_read2_b64 v[230:233], v1 offset0:40 offset1:41
	v_add_f64 v[150:151], v[150:151], -v[214:215]
	v_add_f64 v[152:153], v[152:153], -v[216:217]
	s_waitcnt lgkmcnt(0)
	v_mul_f64 v[214:215], v[232:233], v[4:5]
	v_mul_f64 v[216:217], v[230:231], v[4:5]
	v_fma_f64 v[214:215], v[230:231], v[238:239], -v[214:215]
	v_fma_f64 v[216:217], v[232:233], v[238:239], v[216:217]
	ds_read2_b64 v[230:233], v1 offset0:42 offset1:43
	v_add_f64 v[146:147], v[146:147], -v[214:215]
	v_add_f64 v[148:149], v[148:149], -v[216:217]
	s_waitcnt lgkmcnt(0)
	v_mul_f64 v[214:215], v[232:233], v[4:5]
	v_mul_f64 v[216:217], v[230:231], v[4:5]
	v_fma_f64 v[214:215], v[230:231], v[238:239], -v[214:215]
	v_fma_f64 v[216:217], v[232:233], v[238:239], v[216:217]
	ds_read2_b64 v[230:233], v1 offset0:44 offset1:45
	v_add_f64 v[142:143], v[142:143], -v[214:215]
	v_add_f64 v[144:145], v[144:145], -v[216:217]
	s_waitcnt lgkmcnt(0)
	v_mul_f64 v[214:215], v[232:233], v[4:5]
	v_mul_f64 v[216:217], v[230:231], v[4:5]
	v_fma_f64 v[214:215], v[230:231], v[238:239], -v[214:215]
	v_fma_f64 v[216:217], v[232:233], v[238:239], v[216:217]
	ds_read2_b64 v[230:233], v1 offset0:46 offset1:47
	v_add_f64 v[138:139], v[138:139], -v[214:215]
	v_add_f64 v[140:141], v[140:141], -v[216:217]
	s_waitcnt lgkmcnt(0)
	v_mul_f64 v[214:215], v[232:233], v[4:5]
	v_mul_f64 v[216:217], v[230:231], v[4:5]
	v_fma_f64 v[214:215], v[230:231], v[238:239], -v[214:215]
	v_fma_f64 v[216:217], v[232:233], v[238:239], v[216:217]
	ds_read2_b64 v[230:233], v1 offset0:48 offset1:49
	v_add_f64 v[134:135], v[134:135], -v[214:215]
	v_add_f64 v[136:137], v[136:137], -v[216:217]
	s_waitcnt lgkmcnt(0)
	v_mul_f64 v[214:215], v[232:233], v[4:5]
	v_mul_f64 v[216:217], v[230:231], v[4:5]
	v_fma_f64 v[214:215], v[230:231], v[238:239], -v[214:215]
	v_fma_f64 v[216:217], v[232:233], v[238:239], v[216:217]
	ds_read2_b64 v[230:233], v1 offset0:50 offset1:51
	v_add_f64 v[130:131], v[130:131], -v[214:215]
	v_add_f64 v[132:133], v[132:133], -v[216:217]
	s_waitcnt lgkmcnt(0)
	v_mul_f64 v[214:215], v[232:233], v[4:5]
	v_mul_f64 v[216:217], v[230:231], v[4:5]
	v_fma_f64 v[214:215], v[230:231], v[238:239], -v[214:215]
	v_fma_f64 v[216:217], v[232:233], v[238:239], v[216:217]
	ds_read2_b64 v[230:233], v1 offset0:52 offset1:53
	v_add_f64 v[126:127], v[126:127], -v[214:215]
	v_add_f64 v[128:129], v[128:129], -v[216:217]
	s_waitcnt lgkmcnt(0)
	v_mul_f64 v[214:215], v[232:233], v[4:5]
	v_mul_f64 v[216:217], v[230:231], v[4:5]
	v_fma_f64 v[214:215], v[230:231], v[238:239], -v[214:215]
	v_fma_f64 v[216:217], v[232:233], v[238:239], v[216:217]
	ds_read2_b64 v[230:233], v1 offset0:54 offset1:55
	v_add_f64 v[122:123], v[122:123], -v[214:215]
	v_add_f64 v[124:125], v[124:125], -v[216:217]
	s_waitcnt lgkmcnt(0)
	v_mul_f64 v[214:215], v[232:233], v[4:5]
	v_mul_f64 v[216:217], v[230:231], v[4:5]
	v_fma_f64 v[214:215], v[230:231], v[238:239], -v[214:215]
	v_fma_f64 v[216:217], v[232:233], v[238:239], v[216:217]
	ds_read2_b64 v[230:233], v1 offset0:56 offset1:57
	v_add_f64 v[118:119], v[118:119], -v[214:215]
	v_add_f64 v[120:121], v[120:121], -v[216:217]
	s_waitcnt lgkmcnt(0)
	v_mul_f64 v[214:215], v[232:233], v[4:5]
	v_mul_f64 v[216:217], v[230:231], v[4:5]
	v_fma_f64 v[214:215], v[230:231], v[238:239], -v[214:215]
	v_fma_f64 v[216:217], v[232:233], v[238:239], v[216:217]
	ds_read2_b64 v[230:233], v1 offset0:58 offset1:59
	v_add_f64 v[114:115], v[114:115], -v[214:215]
	v_add_f64 v[116:117], v[116:117], -v[216:217]
	s_waitcnt lgkmcnt(0)
	v_mul_f64 v[214:215], v[232:233], v[4:5]
	v_mul_f64 v[216:217], v[230:231], v[4:5]
	v_fma_f64 v[214:215], v[230:231], v[238:239], -v[214:215]
	v_fma_f64 v[216:217], v[232:233], v[238:239], v[216:217]
	ds_read2_b64 v[230:233], v1 offset0:60 offset1:61
	v_add_f64 v[110:111], v[110:111], -v[214:215]
	v_add_f64 v[112:113], v[112:113], -v[216:217]
	s_waitcnt lgkmcnt(0)
	v_mul_f64 v[214:215], v[232:233], v[4:5]
	v_mul_f64 v[216:217], v[230:231], v[4:5]
	v_fma_f64 v[214:215], v[230:231], v[238:239], -v[214:215]
	v_fma_f64 v[216:217], v[232:233], v[238:239], v[216:217]
	ds_read2_b64 v[230:233], v1 offset0:62 offset1:63
	v_add_f64 v[106:107], v[106:107], -v[214:215]
	v_add_f64 v[108:109], v[108:109], -v[216:217]
	s_waitcnt lgkmcnt(0)
	v_mul_f64 v[214:215], v[232:233], v[4:5]
	v_mul_f64 v[216:217], v[230:231], v[4:5]
	v_fma_f64 v[214:215], v[230:231], v[238:239], -v[214:215]
	v_fma_f64 v[216:217], v[232:233], v[238:239], v[216:217]
	ds_read2_b64 v[230:233], v1 offset0:64 offset1:65
	v_add_f64 v[102:103], v[102:103], -v[214:215]
	v_add_f64 v[104:105], v[104:105], -v[216:217]
	s_waitcnt lgkmcnt(0)
	v_mul_f64 v[214:215], v[232:233], v[4:5]
	v_mul_f64 v[216:217], v[230:231], v[4:5]
	v_fma_f64 v[214:215], v[230:231], v[238:239], -v[214:215]
	v_fma_f64 v[216:217], v[232:233], v[238:239], v[216:217]
	ds_read2_b64 v[230:233], v1 offset0:66 offset1:67
	v_add_f64 v[98:99], v[98:99], -v[214:215]
	v_add_f64 v[100:101], v[100:101], -v[216:217]
	s_waitcnt lgkmcnt(0)
	v_mul_f64 v[214:215], v[232:233], v[4:5]
	v_mul_f64 v[216:217], v[230:231], v[4:5]
	v_fma_f64 v[214:215], v[230:231], v[238:239], -v[214:215]
	v_fma_f64 v[216:217], v[232:233], v[238:239], v[216:217]
	ds_read2_b64 v[230:233], v1 offset0:68 offset1:69
	v_add_f64 v[94:95], v[94:95], -v[214:215]
	v_add_f64 v[96:97], v[96:97], -v[216:217]
	s_waitcnt lgkmcnt(0)
	v_mul_f64 v[214:215], v[232:233], v[4:5]
	v_mul_f64 v[216:217], v[230:231], v[4:5]
	v_fma_f64 v[214:215], v[230:231], v[238:239], -v[214:215]
	v_fma_f64 v[216:217], v[232:233], v[238:239], v[216:217]
	ds_read2_b64 v[230:233], v1 offset0:70 offset1:71
	v_add_f64 v[90:91], v[90:91], -v[214:215]
	v_add_f64 v[92:93], v[92:93], -v[216:217]
	s_waitcnt lgkmcnt(0)
	v_mul_f64 v[214:215], v[232:233], v[4:5]
	v_mul_f64 v[216:217], v[230:231], v[4:5]
	v_fma_f64 v[214:215], v[230:231], v[238:239], -v[214:215]
	v_fma_f64 v[216:217], v[232:233], v[238:239], v[216:217]
	ds_read2_b64 v[230:233], v1 offset0:72 offset1:73
	v_add_f64 v[86:87], v[86:87], -v[214:215]
	v_add_f64 v[88:89], v[88:89], -v[216:217]
	s_waitcnt lgkmcnt(0)
	v_mul_f64 v[214:215], v[232:233], v[4:5]
	v_mul_f64 v[216:217], v[230:231], v[4:5]
	v_fma_f64 v[214:215], v[230:231], v[238:239], -v[214:215]
	v_fma_f64 v[216:217], v[232:233], v[238:239], v[216:217]
	ds_read2_b64 v[230:233], v1 offset0:74 offset1:75
	v_add_f64 v[82:83], v[82:83], -v[214:215]
	v_add_f64 v[84:85], v[84:85], -v[216:217]
	s_waitcnt lgkmcnt(0)
	v_mul_f64 v[214:215], v[232:233], v[4:5]
	v_mul_f64 v[216:217], v[230:231], v[4:5]
	v_fma_f64 v[214:215], v[230:231], v[238:239], -v[214:215]
	v_fma_f64 v[216:217], v[232:233], v[238:239], v[216:217]
	ds_read2_b64 v[230:233], v1 offset0:76 offset1:77
	v_add_f64 v[78:79], v[78:79], -v[214:215]
	v_add_f64 v[80:81], v[80:81], -v[216:217]
	s_waitcnt lgkmcnt(0)
	v_mul_f64 v[214:215], v[232:233], v[4:5]
	v_mul_f64 v[216:217], v[230:231], v[4:5]
	v_fma_f64 v[214:215], v[230:231], v[238:239], -v[214:215]
	v_fma_f64 v[216:217], v[232:233], v[238:239], v[216:217]
	ds_read2_b64 v[230:233], v1 offset0:78 offset1:79
	v_add_f64 v[74:75], v[74:75], -v[214:215]
	v_add_f64 v[76:77], v[76:77], -v[216:217]
	s_waitcnt lgkmcnt(0)
	v_mul_f64 v[214:215], v[232:233], v[4:5]
	v_mul_f64 v[216:217], v[230:231], v[4:5]
	v_fma_f64 v[214:215], v[230:231], v[238:239], -v[214:215]
	v_fma_f64 v[216:217], v[232:233], v[238:239], v[216:217]
	ds_read2_b64 v[230:233], v1 offset0:80 offset1:81
	v_add_f64 v[70:71], v[70:71], -v[214:215]
	v_add_f64 v[72:73], v[72:73], -v[216:217]
	s_waitcnt lgkmcnt(0)
	v_mul_f64 v[214:215], v[232:233], v[4:5]
	v_mul_f64 v[216:217], v[230:231], v[4:5]
	v_fma_f64 v[214:215], v[230:231], v[238:239], -v[214:215]
	v_fma_f64 v[216:217], v[232:233], v[238:239], v[216:217]
	ds_read2_b64 v[230:233], v1 offset0:82 offset1:83
	v_add_f64 v[66:67], v[66:67], -v[214:215]
	v_add_f64 v[68:69], v[68:69], -v[216:217]
	s_waitcnt lgkmcnt(0)
	v_mul_f64 v[214:215], v[232:233], v[4:5]
	v_mul_f64 v[216:217], v[230:231], v[4:5]
	v_fma_f64 v[214:215], v[230:231], v[238:239], -v[214:215]
	v_fma_f64 v[216:217], v[232:233], v[238:239], v[216:217]
	ds_read2_b64 v[230:233], v1 offset0:84 offset1:85
	v_add_f64 v[62:63], v[62:63], -v[214:215]
	v_add_f64 v[64:65], v[64:65], -v[216:217]
	s_waitcnt lgkmcnt(0)
	v_mul_f64 v[214:215], v[232:233], v[4:5]
	v_mul_f64 v[216:217], v[230:231], v[4:5]
	v_fma_f64 v[214:215], v[230:231], v[238:239], -v[214:215]
	v_fma_f64 v[216:217], v[232:233], v[238:239], v[216:217]
	ds_read2_b64 v[230:233], v1 offset0:86 offset1:87
	v_add_f64 v[58:59], v[58:59], -v[214:215]
	v_add_f64 v[60:61], v[60:61], -v[216:217]
	s_waitcnt lgkmcnt(0)
	v_mul_f64 v[214:215], v[232:233], v[4:5]
	v_mul_f64 v[216:217], v[230:231], v[4:5]
	v_fma_f64 v[214:215], v[230:231], v[238:239], -v[214:215]
	v_fma_f64 v[216:217], v[232:233], v[238:239], v[216:217]
	ds_read2_b64 v[230:233], v1 offset0:88 offset1:89
	v_add_f64 v[54:55], v[54:55], -v[214:215]
	v_add_f64 v[56:57], v[56:57], -v[216:217]
	s_waitcnt lgkmcnt(0)
	v_mul_f64 v[214:215], v[232:233], v[4:5]
	v_mul_f64 v[216:217], v[230:231], v[4:5]
	v_fma_f64 v[214:215], v[230:231], v[238:239], -v[214:215]
	v_fma_f64 v[216:217], v[232:233], v[238:239], v[216:217]
	ds_read2_b64 v[230:233], v1 offset0:90 offset1:91
	v_add_f64 v[50:51], v[50:51], -v[214:215]
	v_add_f64 v[52:53], v[52:53], -v[216:217]
	s_waitcnt lgkmcnt(0)
	v_mul_f64 v[214:215], v[232:233], v[4:5]
	v_mul_f64 v[216:217], v[230:231], v[4:5]
	v_fma_f64 v[214:215], v[230:231], v[238:239], -v[214:215]
	v_fma_f64 v[216:217], v[232:233], v[238:239], v[216:217]
	ds_read2_b64 v[230:233], v1 offset0:92 offset1:93
	v_add_f64 v[46:47], v[46:47], -v[214:215]
	v_add_f64 v[48:49], v[48:49], -v[216:217]
	s_waitcnt lgkmcnt(0)
	v_mul_f64 v[214:215], v[232:233], v[4:5]
	v_mul_f64 v[216:217], v[230:231], v[4:5]
	v_fma_f64 v[214:215], v[230:231], v[238:239], -v[214:215]
	v_fma_f64 v[216:217], v[232:233], v[238:239], v[216:217]
	ds_read2_b64 v[230:233], v1 offset0:94 offset1:95
	v_add_f64 v[42:43], v[42:43], -v[214:215]
	v_add_f64 v[44:45], v[44:45], -v[216:217]
	s_waitcnt lgkmcnt(0)
	v_mul_f64 v[214:215], v[232:233], v[4:5]
	v_mul_f64 v[216:217], v[230:231], v[4:5]
	v_fma_f64 v[214:215], v[230:231], v[238:239], -v[214:215]
	v_fma_f64 v[216:217], v[232:233], v[238:239], v[216:217]
	ds_read2_b64 v[230:233], v1 offset0:96 offset1:97
	v_add_f64 v[38:39], v[38:39], -v[214:215]
	v_add_f64 v[40:41], v[40:41], -v[216:217]
	s_waitcnt lgkmcnt(0)
	v_mul_f64 v[214:215], v[232:233], v[4:5]
	v_mul_f64 v[216:217], v[230:231], v[4:5]
	v_fma_f64 v[214:215], v[230:231], v[238:239], -v[214:215]
	v_fma_f64 v[216:217], v[232:233], v[238:239], v[216:217]
	ds_read2_b64 v[230:233], v1 offset0:98 offset1:99
	v_add_f64 v[34:35], v[34:35], -v[214:215]
	v_add_f64 v[36:37], v[36:37], -v[216:217]
	s_waitcnt lgkmcnt(0)
	v_mul_f64 v[214:215], v[232:233], v[4:5]
	v_mul_f64 v[216:217], v[230:231], v[4:5]
	v_fma_f64 v[214:215], v[230:231], v[238:239], -v[214:215]
	v_fma_f64 v[216:217], v[232:233], v[238:239], v[216:217]
	ds_read2_b64 v[230:233], v1 offset0:100 offset1:101
	v_add_f64 v[30:31], v[30:31], -v[214:215]
	v_add_f64 v[32:33], v[32:33], -v[216:217]
	s_waitcnt lgkmcnt(0)
	v_mul_f64 v[214:215], v[232:233], v[4:5]
	v_mul_f64 v[216:217], v[230:231], v[4:5]
	v_fma_f64 v[214:215], v[230:231], v[238:239], -v[214:215]
	v_fma_f64 v[216:217], v[232:233], v[238:239], v[216:217]
	ds_read2_b64 v[230:233], v1 offset0:102 offset1:103
	v_add_f64 v[26:27], v[26:27], -v[214:215]
	v_add_f64 v[28:29], v[28:29], -v[216:217]
	s_waitcnt lgkmcnt(0)
	v_mul_f64 v[214:215], v[232:233], v[4:5]
	v_mul_f64 v[216:217], v[230:231], v[4:5]
	v_fma_f64 v[214:215], v[230:231], v[238:239], -v[214:215]
	v_fma_f64 v[216:217], v[232:233], v[238:239], v[216:217]
	ds_read2_b64 v[230:233], v1 offset0:104 offset1:105
	v_add_f64 v[22:23], v[22:23], -v[214:215]
	v_add_f64 v[24:25], v[24:25], -v[216:217]
	s_waitcnt lgkmcnt(0)
	v_mul_f64 v[214:215], v[232:233], v[4:5]
	v_mul_f64 v[216:217], v[230:231], v[4:5]
	v_fma_f64 v[214:215], v[230:231], v[238:239], -v[214:215]
	v_fma_f64 v[216:217], v[232:233], v[238:239], v[216:217]
	ds_read2_b64 v[230:233], v1 offset0:106 offset1:107
	v_add_f64 v[18:19], v[18:19], -v[214:215]
	v_add_f64 v[20:21], v[20:21], -v[216:217]
	s_waitcnt lgkmcnt(0)
	v_mul_f64 v[214:215], v[232:233], v[4:5]
	v_mul_f64 v[216:217], v[230:231], v[4:5]
	v_fma_f64 v[214:215], v[230:231], v[238:239], -v[214:215]
	v_fma_f64 v[216:217], v[232:233], v[238:239], v[216:217]
	ds_read2_b64 v[230:233], v1 offset0:108 offset1:109
	v_add_f64 v[14:15], v[14:15], -v[214:215]
	v_add_f64 v[16:17], v[16:17], -v[216:217]
	s_waitcnt lgkmcnt(0)
	v_mul_f64 v[214:215], v[232:233], v[4:5]
	v_mul_f64 v[216:217], v[230:231], v[4:5]
	v_fma_f64 v[214:215], v[230:231], v[238:239], -v[214:215]
	v_fma_f64 v[216:217], v[232:233], v[238:239], v[216:217]
	ds_read2_b64 v[230:233], v1 offset0:110 offset1:111
	v_add_f64 v[10:11], v[10:11], -v[214:215]
	v_add_f64 v[12:13], v[12:13], -v[216:217]
	s_waitcnt lgkmcnt(0)
	v_mul_f64 v[214:215], v[232:233], v[4:5]
	v_mul_f64 v[216:217], v[230:231], v[4:5]
	v_fma_f64 v[214:215], v[230:231], v[238:239], -v[214:215]
	v_fma_f64 v[216:217], v[232:233], v[238:239], v[216:217]
	ds_read2_b64 v[230:233], v1 offset0:112 offset1:113
	v_add_f64 v[6:7], v[6:7], -v[214:215]
	v_add_f64 v[8:9], v[8:9], -v[216:217]
	s_waitcnt lgkmcnt(0)
	v_mul_f64 v[214:215], v[232:233], v[4:5]
	v_mul_f64 v[216:217], v[230:231], v[4:5]
	v_fma_f64 v[214:215], v[230:231], v[238:239], -v[214:215]
	v_fma_f64 v[216:217], v[232:233], v[238:239], v[216:217]
	v_add_f64 v[250:251], v[250:251], -v[214:215]
	v_add_f64 v[252:253], v[252:253], -v[216:217]
.LBB112_83:
	s_or_b32 exec_lo, exec_lo, s0
	v_lshl_add_u32 v214, v244, 4, v1
	s_barrier
	buffer_gl0_inv
	v_mov_b32_e32 v238, 4
	ds_write2_b64 v214, v[234:235], v[236:237] offset1:1
	s_waitcnt lgkmcnt(0)
	s_barrier
	buffer_gl0_inv
	ds_read2_b64 v[230:233], v1 offset0:8 offset1:9
	s_cmp_lt_i32 s8, 6
	s_cbranch_scc1 .LBB112_86
; %bb.84:
	v_mov_b32_e32 v238, 4
	v_add3_u32 v239, v228, 0, 0x50
	s_mov_b32 s0, 5
	s_inst_prefetch 0x1
	.p2align	6
.LBB112_85:                             ; =>This Inner Loop Header: Depth=1
	s_waitcnt lgkmcnt(0)
	v_cmp_gt_f64_e32 vcc_lo, 0, v[230:231]
	v_xor_b32_e32 v214, 0x80000000, v231
	ds_read2_b64 v[245:248], v239 offset1:1
	v_xor_b32_e32 v216, 0x80000000, v233
	v_add_nc_u32_e32 v239, 16, v239
	s_waitcnt lgkmcnt(0)
	v_xor_b32_e32 v218, 0x80000000, v248
	v_cndmask_b32_e32 v215, v231, v214, vcc_lo
	v_cmp_gt_f64_e32 vcc_lo, 0, v[232:233]
	v_mov_b32_e32 v214, v230
	v_cndmask_b32_e32 v217, v233, v216, vcc_lo
	v_cmp_gt_f64_e32 vcc_lo, 0, v[245:246]
	v_mov_b32_e32 v216, v232
	v_add_f64 v[214:215], v[214:215], v[216:217]
	v_xor_b32_e32 v216, 0x80000000, v246
	v_cndmask_b32_e32 v217, v246, v216, vcc_lo
	v_cmp_gt_f64_e32 vcc_lo, 0, v[247:248]
	v_mov_b32_e32 v216, v245
	v_cndmask_b32_e32 v219, v248, v218, vcc_lo
	v_mov_b32_e32 v218, v247
	v_add_f64 v[216:217], v[216:217], v[218:219]
	v_cmp_lt_f64_e32 vcc_lo, v[214:215], v[216:217]
	v_cndmask_b32_e32 v231, v231, v246, vcc_lo
	v_cndmask_b32_e32 v230, v230, v245, vcc_lo
	;; [unrolled: 1-line block ×4, first 2 shown]
	v_cndmask_b32_e64 v238, v238, s0, vcc_lo
	s_add_i32 s0, s0, 1
	s_cmp_lg_u32 s8, s0
	s_cbranch_scc1 .LBB112_85
.LBB112_86:
	s_inst_prefetch 0x2
	s_waitcnt lgkmcnt(0)
	v_cmp_eq_f64_e32 vcc_lo, 0, v[230:231]
	v_cmp_eq_f64_e64 s0, 0, v[232:233]
	s_and_b32 s0, vcc_lo, s0
	s_and_saveexec_b32 s1, s0
	s_xor_b32 s0, exec_lo, s1
; %bb.87:
	v_cmp_ne_u32_e32 vcc_lo, 0, v243
	v_cndmask_b32_e32 v243, 5, v243, vcc_lo
; %bb.88:
	s_andn2_saveexec_b32 s0, s0
	s_cbranch_execz .LBB112_94
; %bb.89:
	v_cmp_ngt_f64_e64 s1, |v[230:231]|, |v[232:233]|
	s_and_saveexec_b32 s7, s1
	s_xor_b32 s1, exec_lo, s7
	s_cbranch_execz .LBB112_91
; %bb.90:
	v_div_scale_f64 v[214:215], null, v[232:233], v[232:233], v[230:231]
	v_div_scale_f64 v[220:221], vcc_lo, v[230:231], v[232:233], v[230:231]
	v_rcp_f64_e32 v[216:217], v[214:215]
	v_fma_f64 v[218:219], -v[214:215], v[216:217], 1.0
	v_fma_f64 v[216:217], v[216:217], v[218:219], v[216:217]
	v_fma_f64 v[218:219], -v[214:215], v[216:217], 1.0
	v_fma_f64 v[216:217], v[216:217], v[218:219], v[216:217]
	v_mul_f64 v[218:219], v[220:221], v[216:217]
	v_fma_f64 v[214:215], -v[214:215], v[218:219], v[220:221]
	v_div_fmas_f64 v[214:215], v[214:215], v[216:217], v[218:219]
	v_div_fixup_f64 v[214:215], v[214:215], v[232:233], v[230:231]
	v_fma_f64 v[216:217], v[230:231], v[214:215], v[232:233]
	v_div_scale_f64 v[218:219], null, v[216:217], v[216:217], 1.0
	v_rcp_f64_e32 v[220:221], v[218:219]
	v_fma_f64 v[222:223], -v[218:219], v[220:221], 1.0
	v_fma_f64 v[220:221], v[220:221], v[222:223], v[220:221]
	v_fma_f64 v[222:223], -v[218:219], v[220:221], 1.0
	v_fma_f64 v[220:221], v[220:221], v[222:223], v[220:221]
	v_div_scale_f64 v[222:223], vcc_lo, 1.0, v[216:217], 1.0
	v_mul_f64 v[224:225], v[222:223], v[220:221]
	v_fma_f64 v[218:219], -v[218:219], v[224:225], v[222:223]
	v_div_fmas_f64 v[218:219], v[218:219], v[220:221], v[224:225]
	v_div_fixup_f64 v[232:233], v[218:219], v[216:217], 1.0
	v_mul_f64 v[230:231], v[214:215], v[232:233]
	v_xor_b32_e32 v233, 0x80000000, v233
.LBB112_91:
	s_andn2_saveexec_b32 s1, s1
	s_cbranch_execz .LBB112_93
; %bb.92:
	v_div_scale_f64 v[214:215], null, v[230:231], v[230:231], v[232:233]
	v_div_scale_f64 v[220:221], vcc_lo, v[232:233], v[230:231], v[232:233]
	v_rcp_f64_e32 v[216:217], v[214:215]
	v_fma_f64 v[218:219], -v[214:215], v[216:217], 1.0
	v_fma_f64 v[216:217], v[216:217], v[218:219], v[216:217]
	v_fma_f64 v[218:219], -v[214:215], v[216:217], 1.0
	v_fma_f64 v[216:217], v[216:217], v[218:219], v[216:217]
	v_mul_f64 v[218:219], v[220:221], v[216:217]
	v_fma_f64 v[214:215], -v[214:215], v[218:219], v[220:221]
	v_div_fmas_f64 v[214:215], v[214:215], v[216:217], v[218:219]
	v_div_fixup_f64 v[214:215], v[214:215], v[230:231], v[232:233]
	v_fma_f64 v[216:217], v[232:233], v[214:215], v[230:231]
	v_div_scale_f64 v[218:219], null, v[216:217], v[216:217], 1.0
	v_rcp_f64_e32 v[220:221], v[218:219]
	v_fma_f64 v[222:223], -v[218:219], v[220:221], 1.0
	v_fma_f64 v[220:221], v[220:221], v[222:223], v[220:221]
	v_fma_f64 v[222:223], -v[218:219], v[220:221], 1.0
	v_fma_f64 v[220:221], v[220:221], v[222:223], v[220:221]
	v_div_scale_f64 v[222:223], vcc_lo, 1.0, v[216:217], 1.0
	v_mul_f64 v[224:225], v[222:223], v[220:221]
	v_fma_f64 v[218:219], -v[218:219], v[224:225], v[222:223]
	v_div_fmas_f64 v[218:219], v[218:219], v[220:221], v[224:225]
	v_div_fixup_f64 v[230:231], v[218:219], v[216:217], 1.0
	v_mul_f64 v[232:233], v[214:215], -v[230:231]
.LBB112_93:
	s_or_b32 exec_lo, exec_lo, s1
.LBB112_94:
	s_or_b32 exec_lo, exec_lo, s0
	s_mov_b32 s0, exec_lo
	v_cmpx_ne_u32_e64 v244, v238
	s_xor_b32 s0, exec_lo, s0
	s_cbranch_execz .LBB112_100
; %bb.95:
	s_mov_b32 s1, exec_lo
	v_cmpx_eq_u32_e32 4, v244
	s_cbranch_execz .LBB112_99
; %bb.96:
	v_cmp_ne_u32_e32 vcc_lo, 4, v238
	s_xor_b32 s7, s16, -1
	s_and_b32 s9, s7, vcc_lo
	s_and_saveexec_b32 s7, s9
	s_cbranch_execz .LBB112_98
; %bb.97:
	s_clause 0x1
	buffer_load_dword v210, off, s[20:23], 0
	buffer_load_dword v211, off, s[20:23], 0 offset:4
	v_ashrrev_i32_e32 v239, 31, v238
	v_lshlrev_b64 v[214:215], 2, v[238:239]
	s_waitcnt vmcnt(1)
	v_add_co_u32 v214, vcc_lo, v210, v214
	s_waitcnt vmcnt(0)
	v_add_co_ci_u32_e64 v215, null, v211, v215, vcc_lo
	s_clause 0x1
	global_load_dword v0, v[214:215], off
	global_load_dword v216, v[210:211], off offset:16
	s_waitcnt vmcnt(1)
	global_store_dword v[210:211], v0, off offset:16
	s_waitcnt vmcnt(0)
	global_store_dword v[214:215], v216, off
.LBB112_98:
	s_or_b32 exec_lo, exec_lo, s7
	v_mov_b32_e32 v244, v238
	v_mov_b32_e32 v0, v238
.LBB112_99:
	s_or_b32 exec_lo, exec_lo, s1
.LBB112_100:
	s_andn2_saveexec_b32 s0, s0
	s_cbranch_execz .LBB112_102
; %bb.101:
	v_mov_b32_e32 v244, 4
	ds_write2_b64 v1, v[206:207], v[208:209] offset0:10 offset1:11
	ds_write2_b64 v1, v[202:203], v[204:205] offset0:12 offset1:13
	;; [unrolled: 1-line block ×52, first 2 shown]
.LBB112_102:
	s_or_b32 exec_lo, exec_lo, s0
	s_mov_b32 s0, exec_lo
	s_waitcnt lgkmcnt(0)
	s_waitcnt_vscnt null, 0x0
	s_barrier
	buffer_gl0_inv
	v_cmpx_lt_i32_e32 4, v244
	s_cbranch_execz .LBB112_104
; %bb.103:
	v_mul_f64 v[212:213], v[230:231], v[236:237]
	v_mul_f64 v[214:215], v[232:233], v[236:237]
	v_fma_f64 v[236:237], v[232:233], v[234:235], v[212:213]
	v_fma_f64 v[238:239], v[230:231], v[234:235], -v[214:215]
	ds_read2_b64 v[230:233], v1 offset0:10 offset1:11
	s_waitcnt lgkmcnt(0)
	v_mul_f64 v[210:211], v[232:233], v[236:237]
	v_mul_f64 v[214:215], v[230:231], v[236:237]
	v_mov_b32_e32 v234, v238
	v_mov_b32_e32 v235, v239
	v_fma_f64 v[210:211], v[230:231], v[238:239], -v[210:211]
	v_fma_f64 v[214:215], v[232:233], v[238:239], v[214:215]
	ds_read2_b64 v[230:233], v1 offset0:12 offset1:13
	v_add_f64 v[206:207], v[206:207], -v[210:211]
	v_add_f64 v[208:209], v[208:209], -v[214:215]
	s_waitcnt lgkmcnt(0)
	v_mul_f64 v[210:211], v[232:233], v[236:237]
	v_mul_f64 v[214:215], v[230:231], v[236:237]
	v_fma_f64 v[210:211], v[230:231], v[238:239], -v[210:211]
	v_fma_f64 v[214:215], v[232:233], v[238:239], v[214:215]
	ds_read2_b64 v[230:233], v1 offset0:14 offset1:15
	v_add_f64 v[202:203], v[202:203], -v[210:211]
	v_add_f64 v[204:205], v[204:205], -v[214:215]
	s_waitcnt lgkmcnt(0)
	v_mul_f64 v[210:211], v[232:233], v[236:237]
	v_mul_f64 v[214:215], v[230:231], v[236:237]
	;; [unrolled: 8-line block ×51, first 2 shown]
	v_fma_f64 v[210:211], v[230:231], v[238:239], -v[210:211]
	v_fma_f64 v[214:215], v[232:233], v[238:239], v[214:215]
	v_add_f64 v[250:251], v[250:251], -v[210:211]
	v_add_f64 v[252:253], v[252:253], -v[214:215]
.LBB112_104:
	s_or_b32 exec_lo, exec_lo, s0
	v_lshl_add_u32 v214, v244, 4, v1
	s_barrier
	buffer_gl0_inv
	v_mov_b32_e32 v238, 5
	ds_write2_b64 v214, v[206:207], v[208:209] offset1:1
	s_waitcnt lgkmcnt(0)
	s_barrier
	buffer_gl0_inv
	ds_read2_b64 v[230:233], v1 offset0:10 offset1:11
	s_cmp_lt_i32 s8, 7
	s_cbranch_scc1 .LBB112_107
; %bb.105:
	v_add3_u32 v239, v228, 0, 0x60
	v_mov_b32_e32 v238, 5
	s_mov_b32 s0, 6
	s_inst_prefetch 0x1
	.p2align	6
.LBB112_106:                            ; =>This Inner Loop Header: Depth=1
	s_waitcnt lgkmcnt(0)
	v_cmp_gt_f64_e32 vcc_lo, 0, v[230:231]
	v_xor_b32_e32 v214, 0x80000000, v231
	ds_read2_b64 v[245:248], v239 offset1:1
	v_xor_b32_e32 v216, 0x80000000, v233
	v_add_nc_u32_e32 v239, 16, v239
	s_waitcnt lgkmcnt(0)
	v_xor_b32_e32 v218, 0x80000000, v248
	v_cndmask_b32_e32 v215, v231, v214, vcc_lo
	v_cmp_gt_f64_e32 vcc_lo, 0, v[232:233]
	v_mov_b32_e32 v214, v230
	v_cndmask_b32_e32 v217, v233, v216, vcc_lo
	v_cmp_gt_f64_e32 vcc_lo, 0, v[245:246]
	v_mov_b32_e32 v216, v232
	v_add_f64 v[214:215], v[214:215], v[216:217]
	v_xor_b32_e32 v216, 0x80000000, v246
	v_cndmask_b32_e32 v217, v246, v216, vcc_lo
	v_cmp_gt_f64_e32 vcc_lo, 0, v[247:248]
	v_mov_b32_e32 v216, v245
	v_cndmask_b32_e32 v219, v248, v218, vcc_lo
	v_mov_b32_e32 v218, v247
	v_add_f64 v[216:217], v[216:217], v[218:219]
	v_cmp_lt_f64_e32 vcc_lo, v[214:215], v[216:217]
	v_cndmask_b32_e32 v231, v231, v246, vcc_lo
	v_cndmask_b32_e32 v230, v230, v245, vcc_lo
	;; [unrolled: 1-line block ×4, first 2 shown]
	v_cndmask_b32_e64 v238, v238, s0, vcc_lo
	s_add_i32 s0, s0, 1
	s_cmp_lg_u32 s8, s0
	s_cbranch_scc1 .LBB112_106
.LBB112_107:
	s_inst_prefetch 0x2
	s_waitcnt lgkmcnt(0)
	v_cmp_eq_f64_e32 vcc_lo, 0, v[230:231]
	v_cmp_eq_f64_e64 s0, 0, v[232:233]
	s_and_b32 s0, vcc_lo, s0
	s_and_saveexec_b32 s1, s0
	s_xor_b32 s0, exec_lo, s1
; %bb.108:
	v_cmp_ne_u32_e32 vcc_lo, 0, v243
	v_cndmask_b32_e32 v243, 6, v243, vcc_lo
; %bb.109:
	s_andn2_saveexec_b32 s0, s0
	s_cbranch_execz .LBB112_115
; %bb.110:
	v_cmp_ngt_f64_e64 s1, |v[230:231]|, |v[232:233]|
	s_and_saveexec_b32 s7, s1
	s_xor_b32 s1, exec_lo, s7
	s_cbranch_execz .LBB112_112
; %bb.111:
	v_div_scale_f64 v[214:215], null, v[232:233], v[232:233], v[230:231]
	v_div_scale_f64 v[220:221], vcc_lo, v[230:231], v[232:233], v[230:231]
	v_rcp_f64_e32 v[216:217], v[214:215]
	v_fma_f64 v[218:219], -v[214:215], v[216:217], 1.0
	v_fma_f64 v[216:217], v[216:217], v[218:219], v[216:217]
	v_fma_f64 v[218:219], -v[214:215], v[216:217], 1.0
	v_fma_f64 v[216:217], v[216:217], v[218:219], v[216:217]
	v_mul_f64 v[218:219], v[220:221], v[216:217]
	v_fma_f64 v[214:215], -v[214:215], v[218:219], v[220:221]
	v_div_fmas_f64 v[214:215], v[214:215], v[216:217], v[218:219]
	v_div_fixup_f64 v[214:215], v[214:215], v[232:233], v[230:231]
	v_fma_f64 v[216:217], v[230:231], v[214:215], v[232:233]
	v_div_scale_f64 v[218:219], null, v[216:217], v[216:217], 1.0
	v_rcp_f64_e32 v[220:221], v[218:219]
	v_fma_f64 v[222:223], -v[218:219], v[220:221], 1.0
	v_fma_f64 v[220:221], v[220:221], v[222:223], v[220:221]
	v_fma_f64 v[222:223], -v[218:219], v[220:221], 1.0
	v_fma_f64 v[220:221], v[220:221], v[222:223], v[220:221]
	v_div_scale_f64 v[222:223], vcc_lo, 1.0, v[216:217], 1.0
	v_mul_f64 v[224:225], v[222:223], v[220:221]
	v_fma_f64 v[218:219], -v[218:219], v[224:225], v[222:223]
	v_div_fmas_f64 v[218:219], v[218:219], v[220:221], v[224:225]
	v_div_fixup_f64 v[232:233], v[218:219], v[216:217], 1.0
	v_mul_f64 v[230:231], v[214:215], v[232:233]
	v_xor_b32_e32 v233, 0x80000000, v233
.LBB112_112:
	s_andn2_saveexec_b32 s1, s1
	s_cbranch_execz .LBB112_114
; %bb.113:
	v_div_scale_f64 v[214:215], null, v[230:231], v[230:231], v[232:233]
	v_div_scale_f64 v[220:221], vcc_lo, v[232:233], v[230:231], v[232:233]
	v_rcp_f64_e32 v[216:217], v[214:215]
	v_fma_f64 v[218:219], -v[214:215], v[216:217], 1.0
	v_fma_f64 v[216:217], v[216:217], v[218:219], v[216:217]
	v_fma_f64 v[218:219], -v[214:215], v[216:217], 1.0
	v_fma_f64 v[216:217], v[216:217], v[218:219], v[216:217]
	v_mul_f64 v[218:219], v[220:221], v[216:217]
	v_fma_f64 v[214:215], -v[214:215], v[218:219], v[220:221]
	v_div_fmas_f64 v[214:215], v[214:215], v[216:217], v[218:219]
	v_div_fixup_f64 v[214:215], v[214:215], v[230:231], v[232:233]
	v_fma_f64 v[216:217], v[232:233], v[214:215], v[230:231]
	v_div_scale_f64 v[218:219], null, v[216:217], v[216:217], 1.0
	v_rcp_f64_e32 v[220:221], v[218:219]
	v_fma_f64 v[222:223], -v[218:219], v[220:221], 1.0
	v_fma_f64 v[220:221], v[220:221], v[222:223], v[220:221]
	v_fma_f64 v[222:223], -v[218:219], v[220:221], 1.0
	v_fma_f64 v[220:221], v[220:221], v[222:223], v[220:221]
	v_div_scale_f64 v[222:223], vcc_lo, 1.0, v[216:217], 1.0
	v_mul_f64 v[224:225], v[222:223], v[220:221]
	v_fma_f64 v[218:219], -v[218:219], v[224:225], v[222:223]
	v_div_fmas_f64 v[218:219], v[218:219], v[220:221], v[224:225]
	v_div_fixup_f64 v[230:231], v[218:219], v[216:217], 1.0
	v_mul_f64 v[232:233], v[214:215], -v[230:231]
.LBB112_114:
	s_or_b32 exec_lo, exec_lo, s1
.LBB112_115:
	s_or_b32 exec_lo, exec_lo, s0
	s_mov_b32 s0, exec_lo
	v_cmpx_ne_u32_e64 v244, v238
	s_xor_b32 s0, exec_lo, s0
	s_cbranch_execz .LBB112_121
; %bb.116:
	s_mov_b32 s1, exec_lo
	v_cmpx_eq_u32_e32 5, v244
	s_cbranch_execz .LBB112_120
; %bb.117:
	v_cmp_ne_u32_e32 vcc_lo, 5, v238
	s_xor_b32 s7, s16, -1
	s_and_b32 s9, s7, vcc_lo
	s_and_saveexec_b32 s7, s9
	s_cbranch_execz .LBB112_119
; %bb.118:
	s_clause 0x1
	buffer_load_dword v210, off, s[20:23], 0
	buffer_load_dword v211, off, s[20:23], 0 offset:4
	v_ashrrev_i32_e32 v239, 31, v238
	v_lshlrev_b64 v[214:215], 2, v[238:239]
	s_waitcnt vmcnt(1)
	v_add_co_u32 v214, vcc_lo, v210, v214
	s_waitcnt vmcnt(0)
	v_add_co_ci_u32_e64 v215, null, v211, v215, vcc_lo
	s_clause 0x1
	global_load_dword v0, v[214:215], off
	global_load_dword v216, v[210:211], off offset:20
	s_waitcnt vmcnt(1)
	global_store_dword v[210:211], v0, off offset:20
	s_waitcnt vmcnt(0)
	global_store_dword v[214:215], v216, off
.LBB112_119:
	s_or_b32 exec_lo, exec_lo, s7
	v_mov_b32_e32 v244, v238
	v_mov_b32_e32 v0, v238
.LBB112_120:
	s_or_b32 exec_lo, exec_lo, s1
.LBB112_121:
	s_andn2_saveexec_b32 s0, s0
	s_cbranch_execz .LBB112_123
; %bb.122:
	v_mov_b32_e32 v244, 5
	ds_write2_b64 v1, v[202:203], v[204:205] offset0:12 offset1:13
	ds_write2_b64 v1, v[198:199], v[200:201] offset0:14 offset1:15
	;; [unrolled: 1-line block ×51, first 2 shown]
.LBB112_123:
	s_or_b32 exec_lo, exec_lo, s0
	s_mov_b32 s0, exec_lo
	s_waitcnt lgkmcnt(0)
	s_waitcnt_vscnt null, 0x0
	s_barrier
	buffer_gl0_inv
	v_cmpx_lt_i32_e32 5, v244
	s_cbranch_execz .LBB112_125
; %bb.124:
	v_mul_f64 v[214:215], v[232:233], v[208:209]
	v_mul_f64 v[208:209], v[230:231], v[208:209]
	v_fma_f64 v[238:239], v[230:231], v[206:207], -v[214:215]
	v_fma_f64 v[208:209], v[232:233], v[206:207], v[208:209]
	ds_read2_b64 v[230:233], v1 offset0:12 offset1:13
	s_waitcnt lgkmcnt(0)
	v_mul_f64 v[206:207], v[232:233], v[208:209]
	v_mul_f64 v[214:215], v[230:231], v[208:209]
	v_fma_f64 v[206:207], v[230:231], v[238:239], -v[206:207]
	v_fma_f64 v[214:215], v[232:233], v[238:239], v[214:215]
	ds_read2_b64 v[230:233], v1 offset0:14 offset1:15
	v_add_f64 v[202:203], v[202:203], -v[206:207]
	v_add_f64 v[204:205], v[204:205], -v[214:215]
	s_waitcnt lgkmcnt(0)
	v_mul_f64 v[206:207], v[232:233], v[208:209]
	v_mul_f64 v[214:215], v[230:231], v[208:209]
	v_fma_f64 v[206:207], v[230:231], v[238:239], -v[206:207]
	v_fma_f64 v[214:215], v[232:233], v[238:239], v[214:215]
	ds_read2_b64 v[230:233], v1 offset0:16 offset1:17
	v_add_f64 v[198:199], v[198:199], -v[206:207]
	v_add_f64 v[200:201], v[200:201], -v[214:215]
	;; [unrolled: 8-line block ×50, first 2 shown]
	s_waitcnt lgkmcnt(0)
	v_mul_f64 v[206:207], v[232:233], v[208:209]
	v_mul_f64 v[214:215], v[230:231], v[208:209]
	v_fma_f64 v[206:207], v[230:231], v[238:239], -v[206:207]
	v_fma_f64 v[214:215], v[232:233], v[238:239], v[214:215]
	v_add_f64 v[250:251], v[250:251], -v[206:207]
	v_add_f64 v[252:253], v[252:253], -v[214:215]
	v_mov_b32_e32 v206, v238
	v_mov_b32_e32 v207, v239
.LBB112_125:
	s_or_b32 exec_lo, exec_lo, s0
	v_lshl_add_u32 v214, v244, 4, v1
	s_barrier
	buffer_gl0_inv
	v_mov_b32_e32 v238, 6
	ds_write2_b64 v214, v[202:203], v[204:205] offset1:1
	s_waitcnt lgkmcnt(0)
	s_barrier
	buffer_gl0_inv
	ds_read2_b64 v[230:233], v1 offset0:12 offset1:13
	s_cmp_lt_i32 s8, 8
	s_cbranch_scc1 .LBB112_128
; %bb.126:
	v_add3_u32 v239, v228, 0, 0x70
	v_mov_b32_e32 v238, 6
	s_mov_b32 s0, 7
	s_inst_prefetch 0x1
	.p2align	6
.LBB112_127:                            ; =>This Inner Loop Header: Depth=1
	s_waitcnt lgkmcnt(0)
	v_cmp_gt_f64_e32 vcc_lo, 0, v[230:231]
	v_xor_b32_e32 v214, 0x80000000, v231
	ds_read2_b64 v[245:248], v239 offset1:1
	v_xor_b32_e32 v216, 0x80000000, v233
	v_add_nc_u32_e32 v239, 16, v239
	s_waitcnt lgkmcnt(0)
	v_xor_b32_e32 v218, 0x80000000, v248
	v_cndmask_b32_e32 v215, v231, v214, vcc_lo
	v_cmp_gt_f64_e32 vcc_lo, 0, v[232:233]
	v_mov_b32_e32 v214, v230
	v_cndmask_b32_e32 v217, v233, v216, vcc_lo
	v_cmp_gt_f64_e32 vcc_lo, 0, v[245:246]
	v_mov_b32_e32 v216, v232
	v_add_f64 v[214:215], v[214:215], v[216:217]
	v_xor_b32_e32 v216, 0x80000000, v246
	v_cndmask_b32_e32 v217, v246, v216, vcc_lo
	v_cmp_gt_f64_e32 vcc_lo, 0, v[247:248]
	v_mov_b32_e32 v216, v245
	v_cndmask_b32_e32 v219, v248, v218, vcc_lo
	v_mov_b32_e32 v218, v247
	v_add_f64 v[216:217], v[216:217], v[218:219]
	v_cmp_lt_f64_e32 vcc_lo, v[214:215], v[216:217]
	v_cndmask_b32_e32 v231, v231, v246, vcc_lo
	v_cndmask_b32_e32 v230, v230, v245, vcc_lo
	;; [unrolled: 1-line block ×4, first 2 shown]
	v_cndmask_b32_e64 v238, v238, s0, vcc_lo
	s_add_i32 s0, s0, 1
	s_cmp_lg_u32 s8, s0
	s_cbranch_scc1 .LBB112_127
.LBB112_128:
	s_inst_prefetch 0x2
	s_waitcnt lgkmcnt(0)
	v_cmp_eq_f64_e32 vcc_lo, 0, v[230:231]
	v_cmp_eq_f64_e64 s0, 0, v[232:233]
	s_and_b32 s0, vcc_lo, s0
	s_and_saveexec_b32 s1, s0
	s_xor_b32 s0, exec_lo, s1
; %bb.129:
	v_cmp_ne_u32_e32 vcc_lo, 0, v243
	v_cndmask_b32_e32 v243, 7, v243, vcc_lo
; %bb.130:
	s_andn2_saveexec_b32 s0, s0
	s_cbranch_execz .LBB112_136
; %bb.131:
	v_cmp_ngt_f64_e64 s1, |v[230:231]|, |v[232:233]|
	s_and_saveexec_b32 s7, s1
	s_xor_b32 s1, exec_lo, s7
	s_cbranch_execz .LBB112_133
; %bb.132:
	v_div_scale_f64 v[214:215], null, v[232:233], v[232:233], v[230:231]
	v_div_scale_f64 v[220:221], vcc_lo, v[230:231], v[232:233], v[230:231]
	v_rcp_f64_e32 v[216:217], v[214:215]
	v_fma_f64 v[218:219], -v[214:215], v[216:217], 1.0
	v_fma_f64 v[216:217], v[216:217], v[218:219], v[216:217]
	v_fma_f64 v[218:219], -v[214:215], v[216:217], 1.0
	v_fma_f64 v[216:217], v[216:217], v[218:219], v[216:217]
	v_mul_f64 v[218:219], v[220:221], v[216:217]
	v_fma_f64 v[214:215], -v[214:215], v[218:219], v[220:221]
	v_div_fmas_f64 v[214:215], v[214:215], v[216:217], v[218:219]
	v_div_fixup_f64 v[214:215], v[214:215], v[232:233], v[230:231]
	v_fma_f64 v[216:217], v[230:231], v[214:215], v[232:233]
	v_div_scale_f64 v[218:219], null, v[216:217], v[216:217], 1.0
	v_rcp_f64_e32 v[220:221], v[218:219]
	v_fma_f64 v[222:223], -v[218:219], v[220:221], 1.0
	v_fma_f64 v[220:221], v[220:221], v[222:223], v[220:221]
	v_fma_f64 v[222:223], -v[218:219], v[220:221], 1.0
	v_fma_f64 v[220:221], v[220:221], v[222:223], v[220:221]
	v_div_scale_f64 v[222:223], vcc_lo, 1.0, v[216:217], 1.0
	v_mul_f64 v[224:225], v[222:223], v[220:221]
	v_fma_f64 v[218:219], -v[218:219], v[224:225], v[222:223]
	v_div_fmas_f64 v[218:219], v[218:219], v[220:221], v[224:225]
	v_div_fixup_f64 v[232:233], v[218:219], v[216:217], 1.0
	v_mul_f64 v[230:231], v[214:215], v[232:233]
	v_xor_b32_e32 v233, 0x80000000, v233
.LBB112_133:
	s_andn2_saveexec_b32 s1, s1
	s_cbranch_execz .LBB112_135
; %bb.134:
	v_div_scale_f64 v[214:215], null, v[230:231], v[230:231], v[232:233]
	v_div_scale_f64 v[220:221], vcc_lo, v[232:233], v[230:231], v[232:233]
	v_rcp_f64_e32 v[216:217], v[214:215]
	v_fma_f64 v[218:219], -v[214:215], v[216:217], 1.0
	v_fma_f64 v[216:217], v[216:217], v[218:219], v[216:217]
	v_fma_f64 v[218:219], -v[214:215], v[216:217], 1.0
	v_fma_f64 v[216:217], v[216:217], v[218:219], v[216:217]
	v_mul_f64 v[218:219], v[220:221], v[216:217]
	v_fma_f64 v[214:215], -v[214:215], v[218:219], v[220:221]
	v_div_fmas_f64 v[214:215], v[214:215], v[216:217], v[218:219]
	v_div_fixup_f64 v[214:215], v[214:215], v[230:231], v[232:233]
	v_fma_f64 v[216:217], v[232:233], v[214:215], v[230:231]
	v_div_scale_f64 v[218:219], null, v[216:217], v[216:217], 1.0
	v_rcp_f64_e32 v[220:221], v[218:219]
	v_fma_f64 v[222:223], -v[218:219], v[220:221], 1.0
	v_fma_f64 v[220:221], v[220:221], v[222:223], v[220:221]
	v_fma_f64 v[222:223], -v[218:219], v[220:221], 1.0
	v_fma_f64 v[220:221], v[220:221], v[222:223], v[220:221]
	v_div_scale_f64 v[222:223], vcc_lo, 1.0, v[216:217], 1.0
	v_mul_f64 v[224:225], v[222:223], v[220:221]
	v_fma_f64 v[218:219], -v[218:219], v[224:225], v[222:223]
	v_div_fmas_f64 v[218:219], v[218:219], v[220:221], v[224:225]
	v_div_fixup_f64 v[230:231], v[218:219], v[216:217], 1.0
	v_mul_f64 v[232:233], v[214:215], -v[230:231]
.LBB112_135:
	s_or_b32 exec_lo, exec_lo, s1
.LBB112_136:
	s_or_b32 exec_lo, exec_lo, s0
	s_mov_b32 s0, exec_lo
	v_cmpx_ne_u32_e64 v244, v238
	s_xor_b32 s0, exec_lo, s0
	s_cbranch_execz .LBB112_142
; %bb.137:
	s_mov_b32 s1, exec_lo
	v_cmpx_eq_u32_e32 6, v244
	s_cbranch_execz .LBB112_141
; %bb.138:
	v_cmp_ne_u32_e32 vcc_lo, 6, v238
	s_xor_b32 s7, s16, -1
	s_and_b32 s9, s7, vcc_lo
	s_and_saveexec_b32 s7, s9
	s_cbranch_execz .LBB112_140
; %bb.139:
	s_clause 0x1
	buffer_load_dword v210, off, s[20:23], 0
	buffer_load_dword v211, off, s[20:23], 0 offset:4
	v_ashrrev_i32_e32 v239, 31, v238
	v_lshlrev_b64 v[214:215], 2, v[238:239]
	s_waitcnt vmcnt(1)
	v_add_co_u32 v214, vcc_lo, v210, v214
	s_waitcnt vmcnt(0)
	v_add_co_ci_u32_e64 v215, null, v211, v215, vcc_lo
	s_clause 0x1
	global_load_dword v0, v[214:215], off
	global_load_dword v216, v[210:211], off offset:24
	s_waitcnt vmcnt(1)
	global_store_dword v[210:211], v0, off offset:24
	s_waitcnt vmcnt(0)
	global_store_dword v[214:215], v216, off
.LBB112_140:
	s_or_b32 exec_lo, exec_lo, s7
	v_mov_b32_e32 v244, v238
	v_mov_b32_e32 v0, v238
.LBB112_141:
	s_or_b32 exec_lo, exec_lo, s1
.LBB112_142:
	s_andn2_saveexec_b32 s0, s0
	s_cbranch_execz .LBB112_144
; %bb.143:
	v_mov_b32_e32 v244, 6
	ds_write2_b64 v1, v[198:199], v[200:201] offset0:14 offset1:15
	ds_write2_b64 v1, v[194:195], v[196:197] offset0:16 offset1:17
	;; [unrolled: 1-line block ×50, first 2 shown]
.LBB112_144:
	s_or_b32 exec_lo, exec_lo, s0
	s_mov_b32 s0, exec_lo
	s_waitcnt lgkmcnt(0)
	s_waitcnt_vscnt null, 0x0
	s_barrier
	buffer_gl0_inv
	v_cmpx_lt_i32_e32 6, v244
	s_cbranch_execz .LBB112_146
; %bb.145:
	v_mul_f64 v[214:215], v[232:233], v[204:205]
	v_mul_f64 v[204:205], v[230:231], v[204:205]
	v_fma_f64 v[238:239], v[230:231], v[202:203], -v[214:215]
	v_fma_f64 v[204:205], v[232:233], v[202:203], v[204:205]
	ds_read2_b64 v[230:233], v1 offset0:14 offset1:15
	s_waitcnt lgkmcnt(0)
	v_mul_f64 v[202:203], v[232:233], v[204:205]
	v_mul_f64 v[214:215], v[230:231], v[204:205]
	v_fma_f64 v[202:203], v[230:231], v[238:239], -v[202:203]
	v_fma_f64 v[214:215], v[232:233], v[238:239], v[214:215]
	ds_read2_b64 v[230:233], v1 offset0:16 offset1:17
	v_add_f64 v[198:199], v[198:199], -v[202:203]
	v_add_f64 v[200:201], v[200:201], -v[214:215]
	s_waitcnt lgkmcnt(0)
	v_mul_f64 v[202:203], v[232:233], v[204:205]
	v_mul_f64 v[214:215], v[230:231], v[204:205]
	v_fma_f64 v[202:203], v[230:231], v[238:239], -v[202:203]
	v_fma_f64 v[214:215], v[232:233], v[238:239], v[214:215]
	ds_read2_b64 v[230:233], v1 offset0:18 offset1:19
	v_add_f64 v[194:195], v[194:195], -v[202:203]
	v_add_f64 v[196:197], v[196:197], -v[214:215]
	;; [unrolled: 8-line block ×49, first 2 shown]
	s_waitcnt lgkmcnt(0)
	v_mul_f64 v[202:203], v[232:233], v[204:205]
	v_mul_f64 v[214:215], v[230:231], v[204:205]
	v_fma_f64 v[202:203], v[230:231], v[238:239], -v[202:203]
	v_fma_f64 v[214:215], v[232:233], v[238:239], v[214:215]
	v_add_f64 v[250:251], v[250:251], -v[202:203]
	v_add_f64 v[252:253], v[252:253], -v[214:215]
	v_mov_b32_e32 v202, v238
	v_mov_b32_e32 v203, v239
.LBB112_146:
	s_or_b32 exec_lo, exec_lo, s0
	v_lshl_add_u32 v214, v244, 4, v1
	s_barrier
	buffer_gl0_inv
	v_mov_b32_e32 v238, 7
	ds_write2_b64 v214, v[198:199], v[200:201] offset1:1
	s_waitcnt lgkmcnt(0)
	s_barrier
	buffer_gl0_inv
	ds_read2_b64 v[230:233], v1 offset0:14 offset1:15
	s_cmp_lt_i32 s8, 9
	s_cbranch_scc1 .LBB112_149
; %bb.147:
	v_add3_u32 v239, v228, 0, 0x80
	v_mov_b32_e32 v238, 7
	s_mov_b32 s0, 8
	s_inst_prefetch 0x1
	.p2align	6
.LBB112_148:                            ; =>This Inner Loop Header: Depth=1
	s_waitcnt lgkmcnt(0)
	v_cmp_gt_f64_e32 vcc_lo, 0, v[230:231]
	v_xor_b32_e32 v214, 0x80000000, v231
	ds_read2_b64 v[245:248], v239 offset1:1
	v_xor_b32_e32 v216, 0x80000000, v233
	v_add_nc_u32_e32 v239, 16, v239
	s_waitcnt lgkmcnt(0)
	v_xor_b32_e32 v218, 0x80000000, v248
	v_cndmask_b32_e32 v215, v231, v214, vcc_lo
	v_cmp_gt_f64_e32 vcc_lo, 0, v[232:233]
	v_mov_b32_e32 v214, v230
	v_cndmask_b32_e32 v217, v233, v216, vcc_lo
	v_cmp_gt_f64_e32 vcc_lo, 0, v[245:246]
	v_mov_b32_e32 v216, v232
	v_add_f64 v[214:215], v[214:215], v[216:217]
	v_xor_b32_e32 v216, 0x80000000, v246
	v_cndmask_b32_e32 v217, v246, v216, vcc_lo
	v_cmp_gt_f64_e32 vcc_lo, 0, v[247:248]
	v_mov_b32_e32 v216, v245
	v_cndmask_b32_e32 v219, v248, v218, vcc_lo
	v_mov_b32_e32 v218, v247
	v_add_f64 v[216:217], v[216:217], v[218:219]
	v_cmp_lt_f64_e32 vcc_lo, v[214:215], v[216:217]
	v_cndmask_b32_e32 v231, v231, v246, vcc_lo
	v_cndmask_b32_e32 v230, v230, v245, vcc_lo
	;; [unrolled: 1-line block ×4, first 2 shown]
	v_cndmask_b32_e64 v238, v238, s0, vcc_lo
	s_add_i32 s0, s0, 1
	s_cmp_lg_u32 s8, s0
	s_cbranch_scc1 .LBB112_148
.LBB112_149:
	s_inst_prefetch 0x2
	s_waitcnt lgkmcnt(0)
	v_cmp_eq_f64_e32 vcc_lo, 0, v[230:231]
	v_cmp_eq_f64_e64 s0, 0, v[232:233]
	s_and_b32 s0, vcc_lo, s0
	s_and_saveexec_b32 s1, s0
	s_xor_b32 s0, exec_lo, s1
; %bb.150:
	v_cmp_ne_u32_e32 vcc_lo, 0, v243
	v_cndmask_b32_e32 v243, 8, v243, vcc_lo
; %bb.151:
	s_andn2_saveexec_b32 s0, s0
	s_cbranch_execz .LBB112_157
; %bb.152:
	v_cmp_ngt_f64_e64 s1, |v[230:231]|, |v[232:233]|
	s_and_saveexec_b32 s7, s1
	s_xor_b32 s1, exec_lo, s7
	s_cbranch_execz .LBB112_154
; %bb.153:
	v_div_scale_f64 v[214:215], null, v[232:233], v[232:233], v[230:231]
	v_div_scale_f64 v[220:221], vcc_lo, v[230:231], v[232:233], v[230:231]
	v_rcp_f64_e32 v[216:217], v[214:215]
	v_fma_f64 v[218:219], -v[214:215], v[216:217], 1.0
	v_fma_f64 v[216:217], v[216:217], v[218:219], v[216:217]
	v_fma_f64 v[218:219], -v[214:215], v[216:217], 1.0
	v_fma_f64 v[216:217], v[216:217], v[218:219], v[216:217]
	v_mul_f64 v[218:219], v[220:221], v[216:217]
	v_fma_f64 v[214:215], -v[214:215], v[218:219], v[220:221]
	v_div_fmas_f64 v[214:215], v[214:215], v[216:217], v[218:219]
	v_div_fixup_f64 v[214:215], v[214:215], v[232:233], v[230:231]
	v_fma_f64 v[216:217], v[230:231], v[214:215], v[232:233]
	v_div_scale_f64 v[218:219], null, v[216:217], v[216:217], 1.0
	v_rcp_f64_e32 v[220:221], v[218:219]
	v_fma_f64 v[222:223], -v[218:219], v[220:221], 1.0
	v_fma_f64 v[220:221], v[220:221], v[222:223], v[220:221]
	v_fma_f64 v[222:223], -v[218:219], v[220:221], 1.0
	v_fma_f64 v[220:221], v[220:221], v[222:223], v[220:221]
	v_div_scale_f64 v[222:223], vcc_lo, 1.0, v[216:217], 1.0
	v_mul_f64 v[224:225], v[222:223], v[220:221]
	v_fma_f64 v[218:219], -v[218:219], v[224:225], v[222:223]
	v_div_fmas_f64 v[218:219], v[218:219], v[220:221], v[224:225]
	v_div_fixup_f64 v[232:233], v[218:219], v[216:217], 1.0
	v_mul_f64 v[230:231], v[214:215], v[232:233]
	v_xor_b32_e32 v233, 0x80000000, v233
.LBB112_154:
	s_andn2_saveexec_b32 s1, s1
	s_cbranch_execz .LBB112_156
; %bb.155:
	v_div_scale_f64 v[214:215], null, v[230:231], v[230:231], v[232:233]
	v_div_scale_f64 v[220:221], vcc_lo, v[232:233], v[230:231], v[232:233]
	v_rcp_f64_e32 v[216:217], v[214:215]
	v_fma_f64 v[218:219], -v[214:215], v[216:217], 1.0
	v_fma_f64 v[216:217], v[216:217], v[218:219], v[216:217]
	v_fma_f64 v[218:219], -v[214:215], v[216:217], 1.0
	v_fma_f64 v[216:217], v[216:217], v[218:219], v[216:217]
	v_mul_f64 v[218:219], v[220:221], v[216:217]
	v_fma_f64 v[214:215], -v[214:215], v[218:219], v[220:221]
	v_div_fmas_f64 v[214:215], v[214:215], v[216:217], v[218:219]
	v_div_fixup_f64 v[214:215], v[214:215], v[230:231], v[232:233]
	v_fma_f64 v[216:217], v[232:233], v[214:215], v[230:231]
	v_div_scale_f64 v[218:219], null, v[216:217], v[216:217], 1.0
	v_rcp_f64_e32 v[220:221], v[218:219]
	v_fma_f64 v[222:223], -v[218:219], v[220:221], 1.0
	v_fma_f64 v[220:221], v[220:221], v[222:223], v[220:221]
	v_fma_f64 v[222:223], -v[218:219], v[220:221], 1.0
	v_fma_f64 v[220:221], v[220:221], v[222:223], v[220:221]
	v_div_scale_f64 v[222:223], vcc_lo, 1.0, v[216:217], 1.0
	v_mul_f64 v[224:225], v[222:223], v[220:221]
	v_fma_f64 v[218:219], -v[218:219], v[224:225], v[222:223]
	v_div_fmas_f64 v[218:219], v[218:219], v[220:221], v[224:225]
	v_div_fixup_f64 v[230:231], v[218:219], v[216:217], 1.0
	v_mul_f64 v[232:233], v[214:215], -v[230:231]
.LBB112_156:
	s_or_b32 exec_lo, exec_lo, s1
.LBB112_157:
	s_or_b32 exec_lo, exec_lo, s0
	s_mov_b32 s0, exec_lo
	v_cmpx_ne_u32_e64 v244, v238
	s_xor_b32 s0, exec_lo, s0
	s_cbranch_execz .LBB112_163
; %bb.158:
	s_mov_b32 s1, exec_lo
	v_cmpx_eq_u32_e32 7, v244
	s_cbranch_execz .LBB112_162
; %bb.159:
	v_cmp_ne_u32_e32 vcc_lo, 7, v238
	s_xor_b32 s7, s16, -1
	s_and_b32 s9, s7, vcc_lo
	s_and_saveexec_b32 s7, s9
	s_cbranch_execz .LBB112_161
; %bb.160:
	s_clause 0x1
	buffer_load_dword v210, off, s[20:23], 0
	buffer_load_dword v211, off, s[20:23], 0 offset:4
	v_ashrrev_i32_e32 v239, 31, v238
	v_lshlrev_b64 v[214:215], 2, v[238:239]
	s_waitcnt vmcnt(1)
	v_add_co_u32 v214, vcc_lo, v210, v214
	s_waitcnt vmcnt(0)
	v_add_co_ci_u32_e64 v215, null, v211, v215, vcc_lo
	s_clause 0x1
	global_load_dword v0, v[214:215], off
	global_load_dword v216, v[210:211], off offset:28
	s_waitcnt vmcnt(1)
	global_store_dword v[210:211], v0, off offset:28
	s_waitcnt vmcnt(0)
	global_store_dword v[214:215], v216, off
.LBB112_161:
	s_or_b32 exec_lo, exec_lo, s7
	v_mov_b32_e32 v244, v238
	v_mov_b32_e32 v0, v238
.LBB112_162:
	s_or_b32 exec_lo, exec_lo, s1
.LBB112_163:
	s_andn2_saveexec_b32 s0, s0
	s_cbranch_execz .LBB112_165
; %bb.164:
	v_mov_b32_e32 v244, 7
	ds_write2_b64 v1, v[194:195], v[196:197] offset0:16 offset1:17
	ds_write2_b64 v1, v[190:191], v[192:193] offset0:18 offset1:19
	;; [unrolled: 1-line block ×49, first 2 shown]
.LBB112_165:
	s_or_b32 exec_lo, exec_lo, s0
	s_mov_b32 s0, exec_lo
	s_waitcnt lgkmcnt(0)
	s_waitcnt_vscnt null, 0x0
	s_barrier
	buffer_gl0_inv
	v_cmpx_lt_i32_e32 7, v244
	s_cbranch_execz .LBB112_167
; %bb.166:
	v_mul_f64 v[214:215], v[232:233], v[200:201]
	v_mul_f64 v[200:201], v[230:231], v[200:201]
	v_fma_f64 v[238:239], v[230:231], v[198:199], -v[214:215]
	v_fma_f64 v[200:201], v[232:233], v[198:199], v[200:201]
	ds_read2_b64 v[230:233], v1 offset0:16 offset1:17
	s_waitcnt lgkmcnt(0)
	v_mul_f64 v[198:199], v[232:233], v[200:201]
	v_mul_f64 v[214:215], v[230:231], v[200:201]
	v_fma_f64 v[198:199], v[230:231], v[238:239], -v[198:199]
	v_fma_f64 v[214:215], v[232:233], v[238:239], v[214:215]
	ds_read2_b64 v[230:233], v1 offset0:18 offset1:19
	v_add_f64 v[194:195], v[194:195], -v[198:199]
	v_add_f64 v[196:197], v[196:197], -v[214:215]
	s_waitcnt lgkmcnt(0)
	v_mul_f64 v[198:199], v[232:233], v[200:201]
	v_mul_f64 v[214:215], v[230:231], v[200:201]
	v_fma_f64 v[198:199], v[230:231], v[238:239], -v[198:199]
	v_fma_f64 v[214:215], v[232:233], v[238:239], v[214:215]
	ds_read2_b64 v[230:233], v1 offset0:20 offset1:21
	v_add_f64 v[190:191], v[190:191], -v[198:199]
	v_add_f64 v[192:193], v[192:193], -v[214:215]
	;; [unrolled: 8-line block ×48, first 2 shown]
	s_waitcnt lgkmcnt(0)
	v_mul_f64 v[198:199], v[232:233], v[200:201]
	v_mul_f64 v[214:215], v[230:231], v[200:201]
	v_fma_f64 v[198:199], v[230:231], v[238:239], -v[198:199]
	v_fma_f64 v[214:215], v[232:233], v[238:239], v[214:215]
	v_add_f64 v[250:251], v[250:251], -v[198:199]
	v_add_f64 v[252:253], v[252:253], -v[214:215]
	v_mov_b32_e32 v198, v238
	v_mov_b32_e32 v199, v239
.LBB112_167:
	s_or_b32 exec_lo, exec_lo, s0
	v_lshl_add_u32 v214, v244, 4, v1
	s_barrier
	buffer_gl0_inv
	v_mov_b32_e32 v238, 8
	ds_write2_b64 v214, v[194:195], v[196:197] offset1:1
	s_waitcnt lgkmcnt(0)
	s_barrier
	buffer_gl0_inv
	ds_read2_b64 v[230:233], v1 offset0:16 offset1:17
	s_cmp_lt_i32 s8, 10
	s_cbranch_scc1 .LBB112_170
; %bb.168:
	v_add3_u32 v239, v228, 0, 0x90
	v_mov_b32_e32 v238, 8
	s_mov_b32 s0, 9
	s_inst_prefetch 0x1
	.p2align	6
.LBB112_169:                            ; =>This Inner Loop Header: Depth=1
	s_waitcnt lgkmcnt(0)
	v_cmp_gt_f64_e32 vcc_lo, 0, v[230:231]
	v_xor_b32_e32 v214, 0x80000000, v231
	ds_read2_b64 v[245:248], v239 offset1:1
	v_xor_b32_e32 v216, 0x80000000, v233
	v_add_nc_u32_e32 v239, 16, v239
	s_waitcnt lgkmcnt(0)
	v_xor_b32_e32 v218, 0x80000000, v248
	v_cndmask_b32_e32 v215, v231, v214, vcc_lo
	v_cmp_gt_f64_e32 vcc_lo, 0, v[232:233]
	v_mov_b32_e32 v214, v230
	v_cndmask_b32_e32 v217, v233, v216, vcc_lo
	v_cmp_gt_f64_e32 vcc_lo, 0, v[245:246]
	v_mov_b32_e32 v216, v232
	v_add_f64 v[214:215], v[214:215], v[216:217]
	v_xor_b32_e32 v216, 0x80000000, v246
	v_cndmask_b32_e32 v217, v246, v216, vcc_lo
	v_cmp_gt_f64_e32 vcc_lo, 0, v[247:248]
	v_mov_b32_e32 v216, v245
	v_cndmask_b32_e32 v219, v248, v218, vcc_lo
	v_mov_b32_e32 v218, v247
	v_add_f64 v[216:217], v[216:217], v[218:219]
	v_cmp_lt_f64_e32 vcc_lo, v[214:215], v[216:217]
	v_cndmask_b32_e32 v231, v231, v246, vcc_lo
	v_cndmask_b32_e32 v230, v230, v245, vcc_lo
	;; [unrolled: 1-line block ×4, first 2 shown]
	v_cndmask_b32_e64 v238, v238, s0, vcc_lo
	s_add_i32 s0, s0, 1
	s_cmp_lg_u32 s8, s0
	s_cbranch_scc1 .LBB112_169
.LBB112_170:
	s_inst_prefetch 0x2
	s_waitcnt lgkmcnt(0)
	v_cmp_eq_f64_e32 vcc_lo, 0, v[230:231]
	v_cmp_eq_f64_e64 s0, 0, v[232:233]
	s_and_b32 s0, vcc_lo, s0
	s_and_saveexec_b32 s1, s0
	s_xor_b32 s0, exec_lo, s1
; %bb.171:
	v_cmp_ne_u32_e32 vcc_lo, 0, v243
	v_cndmask_b32_e32 v243, 9, v243, vcc_lo
; %bb.172:
	s_andn2_saveexec_b32 s0, s0
	s_cbranch_execz .LBB112_178
; %bb.173:
	v_cmp_ngt_f64_e64 s1, |v[230:231]|, |v[232:233]|
	s_and_saveexec_b32 s7, s1
	s_xor_b32 s1, exec_lo, s7
	s_cbranch_execz .LBB112_175
; %bb.174:
	v_div_scale_f64 v[214:215], null, v[232:233], v[232:233], v[230:231]
	v_div_scale_f64 v[220:221], vcc_lo, v[230:231], v[232:233], v[230:231]
	v_rcp_f64_e32 v[216:217], v[214:215]
	v_fma_f64 v[218:219], -v[214:215], v[216:217], 1.0
	v_fma_f64 v[216:217], v[216:217], v[218:219], v[216:217]
	v_fma_f64 v[218:219], -v[214:215], v[216:217], 1.0
	v_fma_f64 v[216:217], v[216:217], v[218:219], v[216:217]
	v_mul_f64 v[218:219], v[220:221], v[216:217]
	v_fma_f64 v[214:215], -v[214:215], v[218:219], v[220:221]
	v_div_fmas_f64 v[214:215], v[214:215], v[216:217], v[218:219]
	v_div_fixup_f64 v[214:215], v[214:215], v[232:233], v[230:231]
	v_fma_f64 v[216:217], v[230:231], v[214:215], v[232:233]
	v_div_scale_f64 v[218:219], null, v[216:217], v[216:217], 1.0
	v_rcp_f64_e32 v[220:221], v[218:219]
	v_fma_f64 v[222:223], -v[218:219], v[220:221], 1.0
	v_fma_f64 v[220:221], v[220:221], v[222:223], v[220:221]
	v_fma_f64 v[222:223], -v[218:219], v[220:221], 1.0
	v_fma_f64 v[220:221], v[220:221], v[222:223], v[220:221]
	v_div_scale_f64 v[222:223], vcc_lo, 1.0, v[216:217], 1.0
	v_mul_f64 v[224:225], v[222:223], v[220:221]
	v_fma_f64 v[218:219], -v[218:219], v[224:225], v[222:223]
	v_div_fmas_f64 v[218:219], v[218:219], v[220:221], v[224:225]
	v_div_fixup_f64 v[232:233], v[218:219], v[216:217], 1.0
	v_mul_f64 v[230:231], v[214:215], v[232:233]
	v_xor_b32_e32 v233, 0x80000000, v233
.LBB112_175:
	s_andn2_saveexec_b32 s1, s1
	s_cbranch_execz .LBB112_177
; %bb.176:
	v_div_scale_f64 v[214:215], null, v[230:231], v[230:231], v[232:233]
	v_div_scale_f64 v[220:221], vcc_lo, v[232:233], v[230:231], v[232:233]
	v_rcp_f64_e32 v[216:217], v[214:215]
	v_fma_f64 v[218:219], -v[214:215], v[216:217], 1.0
	v_fma_f64 v[216:217], v[216:217], v[218:219], v[216:217]
	v_fma_f64 v[218:219], -v[214:215], v[216:217], 1.0
	v_fma_f64 v[216:217], v[216:217], v[218:219], v[216:217]
	v_mul_f64 v[218:219], v[220:221], v[216:217]
	v_fma_f64 v[214:215], -v[214:215], v[218:219], v[220:221]
	v_div_fmas_f64 v[214:215], v[214:215], v[216:217], v[218:219]
	v_div_fixup_f64 v[214:215], v[214:215], v[230:231], v[232:233]
	v_fma_f64 v[216:217], v[232:233], v[214:215], v[230:231]
	v_div_scale_f64 v[218:219], null, v[216:217], v[216:217], 1.0
	v_rcp_f64_e32 v[220:221], v[218:219]
	v_fma_f64 v[222:223], -v[218:219], v[220:221], 1.0
	v_fma_f64 v[220:221], v[220:221], v[222:223], v[220:221]
	v_fma_f64 v[222:223], -v[218:219], v[220:221], 1.0
	v_fma_f64 v[220:221], v[220:221], v[222:223], v[220:221]
	v_div_scale_f64 v[222:223], vcc_lo, 1.0, v[216:217], 1.0
	v_mul_f64 v[224:225], v[222:223], v[220:221]
	v_fma_f64 v[218:219], -v[218:219], v[224:225], v[222:223]
	v_div_fmas_f64 v[218:219], v[218:219], v[220:221], v[224:225]
	v_div_fixup_f64 v[230:231], v[218:219], v[216:217], 1.0
	v_mul_f64 v[232:233], v[214:215], -v[230:231]
.LBB112_177:
	s_or_b32 exec_lo, exec_lo, s1
.LBB112_178:
	s_or_b32 exec_lo, exec_lo, s0
	s_mov_b32 s0, exec_lo
	v_cmpx_ne_u32_e64 v244, v238
	s_xor_b32 s0, exec_lo, s0
	s_cbranch_execz .LBB112_184
; %bb.179:
	s_mov_b32 s1, exec_lo
	v_cmpx_eq_u32_e32 8, v244
	s_cbranch_execz .LBB112_183
; %bb.180:
	v_cmp_ne_u32_e32 vcc_lo, 8, v238
	s_xor_b32 s7, s16, -1
	s_and_b32 s9, s7, vcc_lo
	s_and_saveexec_b32 s7, s9
	s_cbranch_execz .LBB112_182
; %bb.181:
	s_clause 0x1
	buffer_load_dword v210, off, s[20:23], 0
	buffer_load_dword v211, off, s[20:23], 0 offset:4
	v_ashrrev_i32_e32 v239, 31, v238
	v_lshlrev_b64 v[214:215], 2, v[238:239]
	s_waitcnt vmcnt(1)
	v_add_co_u32 v214, vcc_lo, v210, v214
	s_waitcnt vmcnt(0)
	v_add_co_ci_u32_e64 v215, null, v211, v215, vcc_lo
	s_clause 0x1
	global_load_dword v0, v[214:215], off
	global_load_dword v216, v[210:211], off offset:32
	s_waitcnt vmcnt(1)
	global_store_dword v[210:211], v0, off offset:32
	s_waitcnt vmcnt(0)
	global_store_dword v[214:215], v216, off
.LBB112_182:
	s_or_b32 exec_lo, exec_lo, s7
	v_mov_b32_e32 v244, v238
	v_mov_b32_e32 v0, v238
.LBB112_183:
	s_or_b32 exec_lo, exec_lo, s1
.LBB112_184:
	s_andn2_saveexec_b32 s0, s0
	s_cbranch_execz .LBB112_186
; %bb.185:
	v_mov_b32_e32 v244, 8
	ds_write2_b64 v1, v[190:191], v[192:193] offset0:18 offset1:19
	ds_write2_b64 v1, v[186:187], v[188:189] offset0:20 offset1:21
	;; [unrolled: 1-line block ×48, first 2 shown]
.LBB112_186:
	s_or_b32 exec_lo, exec_lo, s0
	s_mov_b32 s0, exec_lo
	s_waitcnt lgkmcnt(0)
	s_waitcnt_vscnt null, 0x0
	s_barrier
	buffer_gl0_inv
	v_cmpx_lt_i32_e32 8, v244
	s_cbranch_execz .LBB112_188
; %bb.187:
	v_mul_f64 v[214:215], v[232:233], v[196:197]
	v_mul_f64 v[196:197], v[230:231], v[196:197]
	v_fma_f64 v[238:239], v[230:231], v[194:195], -v[214:215]
	v_fma_f64 v[196:197], v[232:233], v[194:195], v[196:197]
	ds_read2_b64 v[230:233], v1 offset0:18 offset1:19
	s_waitcnt lgkmcnt(0)
	v_mul_f64 v[194:195], v[232:233], v[196:197]
	v_mul_f64 v[214:215], v[230:231], v[196:197]
	v_fma_f64 v[194:195], v[230:231], v[238:239], -v[194:195]
	v_fma_f64 v[214:215], v[232:233], v[238:239], v[214:215]
	ds_read2_b64 v[230:233], v1 offset0:20 offset1:21
	v_add_f64 v[190:191], v[190:191], -v[194:195]
	v_add_f64 v[192:193], v[192:193], -v[214:215]
	s_waitcnt lgkmcnt(0)
	v_mul_f64 v[194:195], v[232:233], v[196:197]
	v_mul_f64 v[214:215], v[230:231], v[196:197]
	v_fma_f64 v[194:195], v[230:231], v[238:239], -v[194:195]
	v_fma_f64 v[214:215], v[232:233], v[238:239], v[214:215]
	ds_read2_b64 v[230:233], v1 offset0:22 offset1:23
	v_add_f64 v[186:187], v[186:187], -v[194:195]
	v_add_f64 v[188:189], v[188:189], -v[214:215]
	;; [unrolled: 8-line block ×47, first 2 shown]
	s_waitcnt lgkmcnt(0)
	v_mul_f64 v[194:195], v[232:233], v[196:197]
	v_mul_f64 v[214:215], v[230:231], v[196:197]
	v_fma_f64 v[194:195], v[230:231], v[238:239], -v[194:195]
	v_fma_f64 v[214:215], v[232:233], v[238:239], v[214:215]
	v_add_f64 v[250:251], v[250:251], -v[194:195]
	v_add_f64 v[252:253], v[252:253], -v[214:215]
	v_mov_b32_e32 v194, v238
	v_mov_b32_e32 v195, v239
.LBB112_188:
	s_or_b32 exec_lo, exec_lo, s0
	v_lshl_add_u32 v214, v244, 4, v1
	s_barrier
	buffer_gl0_inv
	v_mov_b32_e32 v238, 9
	ds_write2_b64 v214, v[190:191], v[192:193] offset1:1
	s_waitcnt lgkmcnt(0)
	s_barrier
	buffer_gl0_inv
	ds_read2_b64 v[230:233], v1 offset0:18 offset1:19
	s_cmp_lt_i32 s8, 11
	s_cbranch_scc1 .LBB112_191
; %bb.189:
	v_add3_u32 v239, v228, 0, 0xa0
	v_mov_b32_e32 v238, 9
	s_mov_b32 s0, 10
	s_inst_prefetch 0x1
	.p2align	6
.LBB112_190:                            ; =>This Inner Loop Header: Depth=1
	s_waitcnt lgkmcnt(0)
	v_cmp_gt_f64_e32 vcc_lo, 0, v[230:231]
	v_xor_b32_e32 v214, 0x80000000, v231
	ds_read2_b64 v[245:248], v239 offset1:1
	v_xor_b32_e32 v216, 0x80000000, v233
	v_add_nc_u32_e32 v239, 16, v239
	s_waitcnt lgkmcnt(0)
	v_xor_b32_e32 v218, 0x80000000, v248
	v_cndmask_b32_e32 v215, v231, v214, vcc_lo
	v_cmp_gt_f64_e32 vcc_lo, 0, v[232:233]
	v_mov_b32_e32 v214, v230
	v_cndmask_b32_e32 v217, v233, v216, vcc_lo
	v_cmp_gt_f64_e32 vcc_lo, 0, v[245:246]
	v_mov_b32_e32 v216, v232
	v_add_f64 v[214:215], v[214:215], v[216:217]
	v_xor_b32_e32 v216, 0x80000000, v246
	v_cndmask_b32_e32 v217, v246, v216, vcc_lo
	v_cmp_gt_f64_e32 vcc_lo, 0, v[247:248]
	v_mov_b32_e32 v216, v245
	v_cndmask_b32_e32 v219, v248, v218, vcc_lo
	v_mov_b32_e32 v218, v247
	v_add_f64 v[216:217], v[216:217], v[218:219]
	v_cmp_lt_f64_e32 vcc_lo, v[214:215], v[216:217]
	v_cndmask_b32_e32 v231, v231, v246, vcc_lo
	v_cndmask_b32_e32 v230, v230, v245, vcc_lo
	;; [unrolled: 1-line block ×4, first 2 shown]
	v_cndmask_b32_e64 v238, v238, s0, vcc_lo
	s_add_i32 s0, s0, 1
	s_cmp_lg_u32 s8, s0
	s_cbranch_scc1 .LBB112_190
.LBB112_191:
	s_inst_prefetch 0x2
	s_waitcnt lgkmcnt(0)
	v_cmp_eq_f64_e32 vcc_lo, 0, v[230:231]
	v_cmp_eq_f64_e64 s0, 0, v[232:233]
	s_and_b32 s0, vcc_lo, s0
	s_and_saveexec_b32 s1, s0
	s_xor_b32 s0, exec_lo, s1
; %bb.192:
	v_cmp_ne_u32_e32 vcc_lo, 0, v243
	v_cndmask_b32_e32 v243, 10, v243, vcc_lo
; %bb.193:
	s_andn2_saveexec_b32 s0, s0
	s_cbranch_execz .LBB112_199
; %bb.194:
	v_cmp_ngt_f64_e64 s1, |v[230:231]|, |v[232:233]|
	s_and_saveexec_b32 s7, s1
	s_xor_b32 s1, exec_lo, s7
	s_cbranch_execz .LBB112_196
; %bb.195:
	v_div_scale_f64 v[214:215], null, v[232:233], v[232:233], v[230:231]
	v_div_scale_f64 v[220:221], vcc_lo, v[230:231], v[232:233], v[230:231]
	v_rcp_f64_e32 v[216:217], v[214:215]
	v_fma_f64 v[218:219], -v[214:215], v[216:217], 1.0
	v_fma_f64 v[216:217], v[216:217], v[218:219], v[216:217]
	v_fma_f64 v[218:219], -v[214:215], v[216:217], 1.0
	v_fma_f64 v[216:217], v[216:217], v[218:219], v[216:217]
	v_mul_f64 v[218:219], v[220:221], v[216:217]
	v_fma_f64 v[214:215], -v[214:215], v[218:219], v[220:221]
	v_div_fmas_f64 v[214:215], v[214:215], v[216:217], v[218:219]
	v_div_fixup_f64 v[214:215], v[214:215], v[232:233], v[230:231]
	v_fma_f64 v[216:217], v[230:231], v[214:215], v[232:233]
	v_div_scale_f64 v[218:219], null, v[216:217], v[216:217], 1.0
	v_rcp_f64_e32 v[220:221], v[218:219]
	v_fma_f64 v[222:223], -v[218:219], v[220:221], 1.0
	v_fma_f64 v[220:221], v[220:221], v[222:223], v[220:221]
	v_fma_f64 v[222:223], -v[218:219], v[220:221], 1.0
	v_fma_f64 v[220:221], v[220:221], v[222:223], v[220:221]
	v_div_scale_f64 v[222:223], vcc_lo, 1.0, v[216:217], 1.0
	v_mul_f64 v[224:225], v[222:223], v[220:221]
	v_fma_f64 v[218:219], -v[218:219], v[224:225], v[222:223]
	v_div_fmas_f64 v[218:219], v[218:219], v[220:221], v[224:225]
	v_div_fixup_f64 v[232:233], v[218:219], v[216:217], 1.0
	v_mul_f64 v[230:231], v[214:215], v[232:233]
	v_xor_b32_e32 v233, 0x80000000, v233
.LBB112_196:
	s_andn2_saveexec_b32 s1, s1
	s_cbranch_execz .LBB112_198
; %bb.197:
	v_div_scale_f64 v[214:215], null, v[230:231], v[230:231], v[232:233]
	v_div_scale_f64 v[220:221], vcc_lo, v[232:233], v[230:231], v[232:233]
	v_rcp_f64_e32 v[216:217], v[214:215]
	v_fma_f64 v[218:219], -v[214:215], v[216:217], 1.0
	v_fma_f64 v[216:217], v[216:217], v[218:219], v[216:217]
	v_fma_f64 v[218:219], -v[214:215], v[216:217], 1.0
	v_fma_f64 v[216:217], v[216:217], v[218:219], v[216:217]
	v_mul_f64 v[218:219], v[220:221], v[216:217]
	v_fma_f64 v[214:215], -v[214:215], v[218:219], v[220:221]
	v_div_fmas_f64 v[214:215], v[214:215], v[216:217], v[218:219]
	v_div_fixup_f64 v[214:215], v[214:215], v[230:231], v[232:233]
	v_fma_f64 v[216:217], v[232:233], v[214:215], v[230:231]
	v_div_scale_f64 v[218:219], null, v[216:217], v[216:217], 1.0
	v_rcp_f64_e32 v[220:221], v[218:219]
	v_fma_f64 v[222:223], -v[218:219], v[220:221], 1.0
	v_fma_f64 v[220:221], v[220:221], v[222:223], v[220:221]
	v_fma_f64 v[222:223], -v[218:219], v[220:221], 1.0
	v_fma_f64 v[220:221], v[220:221], v[222:223], v[220:221]
	v_div_scale_f64 v[222:223], vcc_lo, 1.0, v[216:217], 1.0
	v_mul_f64 v[224:225], v[222:223], v[220:221]
	v_fma_f64 v[218:219], -v[218:219], v[224:225], v[222:223]
	v_div_fmas_f64 v[218:219], v[218:219], v[220:221], v[224:225]
	v_div_fixup_f64 v[230:231], v[218:219], v[216:217], 1.0
	v_mul_f64 v[232:233], v[214:215], -v[230:231]
.LBB112_198:
	s_or_b32 exec_lo, exec_lo, s1
.LBB112_199:
	s_or_b32 exec_lo, exec_lo, s0
	s_mov_b32 s0, exec_lo
	v_cmpx_ne_u32_e64 v244, v238
	s_xor_b32 s0, exec_lo, s0
	s_cbranch_execz .LBB112_205
; %bb.200:
	s_mov_b32 s1, exec_lo
	v_cmpx_eq_u32_e32 9, v244
	s_cbranch_execz .LBB112_204
; %bb.201:
	v_cmp_ne_u32_e32 vcc_lo, 9, v238
	s_xor_b32 s7, s16, -1
	s_and_b32 s9, s7, vcc_lo
	s_and_saveexec_b32 s7, s9
	s_cbranch_execz .LBB112_203
; %bb.202:
	s_clause 0x1
	buffer_load_dword v210, off, s[20:23], 0
	buffer_load_dword v211, off, s[20:23], 0 offset:4
	v_ashrrev_i32_e32 v239, 31, v238
	v_lshlrev_b64 v[214:215], 2, v[238:239]
	s_waitcnt vmcnt(1)
	v_add_co_u32 v214, vcc_lo, v210, v214
	s_waitcnt vmcnt(0)
	v_add_co_ci_u32_e64 v215, null, v211, v215, vcc_lo
	s_clause 0x1
	global_load_dword v0, v[214:215], off
	global_load_dword v216, v[210:211], off offset:36
	s_waitcnt vmcnt(1)
	global_store_dword v[210:211], v0, off offset:36
	s_waitcnt vmcnt(0)
	global_store_dword v[214:215], v216, off
.LBB112_203:
	s_or_b32 exec_lo, exec_lo, s7
	v_mov_b32_e32 v244, v238
	v_mov_b32_e32 v0, v238
.LBB112_204:
	s_or_b32 exec_lo, exec_lo, s1
.LBB112_205:
	s_andn2_saveexec_b32 s0, s0
	s_cbranch_execz .LBB112_207
; %bb.206:
	v_mov_b32_e32 v244, 9
	ds_write2_b64 v1, v[186:187], v[188:189] offset0:20 offset1:21
	ds_write2_b64 v1, v[182:183], v[184:185] offset0:22 offset1:23
	;; [unrolled: 1-line block ×47, first 2 shown]
.LBB112_207:
	s_or_b32 exec_lo, exec_lo, s0
	s_mov_b32 s0, exec_lo
	s_waitcnt lgkmcnt(0)
	s_waitcnt_vscnt null, 0x0
	s_barrier
	buffer_gl0_inv
	v_cmpx_lt_i32_e32 9, v244
	s_cbranch_execz .LBB112_209
; %bb.208:
	v_mul_f64 v[214:215], v[232:233], v[192:193]
	v_mul_f64 v[192:193], v[230:231], v[192:193]
	v_fma_f64 v[238:239], v[230:231], v[190:191], -v[214:215]
	v_fma_f64 v[192:193], v[232:233], v[190:191], v[192:193]
	ds_read2_b64 v[230:233], v1 offset0:20 offset1:21
	s_waitcnt lgkmcnt(0)
	v_mul_f64 v[190:191], v[232:233], v[192:193]
	v_mul_f64 v[214:215], v[230:231], v[192:193]
	v_fma_f64 v[190:191], v[230:231], v[238:239], -v[190:191]
	v_fma_f64 v[214:215], v[232:233], v[238:239], v[214:215]
	ds_read2_b64 v[230:233], v1 offset0:22 offset1:23
	v_add_f64 v[186:187], v[186:187], -v[190:191]
	v_add_f64 v[188:189], v[188:189], -v[214:215]
	s_waitcnt lgkmcnt(0)
	v_mul_f64 v[190:191], v[232:233], v[192:193]
	v_mul_f64 v[214:215], v[230:231], v[192:193]
	v_fma_f64 v[190:191], v[230:231], v[238:239], -v[190:191]
	v_fma_f64 v[214:215], v[232:233], v[238:239], v[214:215]
	ds_read2_b64 v[230:233], v1 offset0:24 offset1:25
	v_add_f64 v[182:183], v[182:183], -v[190:191]
	v_add_f64 v[184:185], v[184:185], -v[214:215]
	;; [unrolled: 8-line block ×46, first 2 shown]
	s_waitcnt lgkmcnt(0)
	v_mul_f64 v[190:191], v[232:233], v[192:193]
	v_mul_f64 v[214:215], v[230:231], v[192:193]
	v_fma_f64 v[190:191], v[230:231], v[238:239], -v[190:191]
	v_fma_f64 v[214:215], v[232:233], v[238:239], v[214:215]
	v_add_f64 v[250:251], v[250:251], -v[190:191]
	v_add_f64 v[252:253], v[252:253], -v[214:215]
	v_mov_b32_e32 v190, v238
	v_mov_b32_e32 v191, v239
.LBB112_209:
	s_or_b32 exec_lo, exec_lo, s0
	v_lshl_add_u32 v214, v244, 4, v1
	s_barrier
	buffer_gl0_inv
	v_mov_b32_e32 v238, 10
	ds_write2_b64 v214, v[186:187], v[188:189] offset1:1
	s_waitcnt lgkmcnt(0)
	s_barrier
	buffer_gl0_inv
	ds_read2_b64 v[230:233], v1 offset0:20 offset1:21
	s_cmp_lt_i32 s8, 12
	s_cbranch_scc1 .LBB112_212
; %bb.210:
	v_add3_u32 v239, v228, 0, 0xb0
	v_mov_b32_e32 v238, 10
	s_mov_b32 s0, 11
	s_inst_prefetch 0x1
	.p2align	6
.LBB112_211:                            ; =>This Inner Loop Header: Depth=1
	s_waitcnt lgkmcnt(0)
	v_cmp_gt_f64_e32 vcc_lo, 0, v[230:231]
	v_xor_b32_e32 v214, 0x80000000, v231
	ds_read2_b64 v[245:248], v239 offset1:1
	v_xor_b32_e32 v216, 0x80000000, v233
	v_add_nc_u32_e32 v239, 16, v239
	s_waitcnt lgkmcnt(0)
	v_xor_b32_e32 v218, 0x80000000, v248
	v_cndmask_b32_e32 v215, v231, v214, vcc_lo
	v_cmp_gt_f64_e32 vcc_lo, 0, v[232:233]
	v_mov_b32_e32 v214, v230
	v_cndmask_b32_e32 v217, v233, v216, vcc_lo
	v_cmp_gt_f64_e32 vcc_lo, 0, v[245:246]
	v_mov_b32_e32 v216, v232
	v_add_f64 v[214:215], v[214:215], v[216:217]
	v_xor_b32_e32 v216, 0x80000000, v246
	v_cndmask_b32_e32 v217, v246, v216, vcc_lo
	v_cmp_gt_f64_e32 vcc_lo, 0, v[247:248]
	v_mov_b32_e32 v216, v245
	v_cndmask_b32_e32 v219, v248, v218, vcc_lo
	v_mov_b32_e32 v218, v247
	v_add_f64 v[216:217], v[216:217], v[218:219]
	v_cmp_lt_f64_e32 vcc_lo, v[214:215], v[216:217]
	v_cndmask_b32_e32 v231, v231, v246, vcc_lo
	v_cndmask_b32_e32 v230, v230, v245, vcc_lo
	;; [unrolled: 1-line block ×4, first 2 shown]
	v_cndmask_b32_e64 v238, v238, s0, vcc_lo
	s_add_i32 s0, s0, 1
	s_cmp_lg_u32 s8, s0
	s_cbranch_scc1 .LBB112_211
.LBB112_212:
	s_inst_prefetch 0x2
	s_waitcnt lgkmcnt(0)
	v_cmp_eq_f64_e32 vcc_lo, 0, v[230:231]
	v_cmp_eq_f64_e64 s0, 0, v[232:233]
	s_and_b32 s0, vcc_lo, s0
	s_and_saveexec_b32 s1, s0
	s_xor_b32 s0, exec_lo, s1
; %bb.213:
	v_cmp_ne_u32_e32 vcc_lo, 0, v243
	v_cndmask_b32_e32 v243, 11, v243, vcc_lo
; %bb.214:
	s_andn2_saveexec_b32 s0, s0
	s_cbranch_execz .LBB112_220
; %bb.215:
	v_cmp_ngt_f64_e64 s1, |v[230:231]|, |v[232:233]|
	s_and_saveexec_b32 s7, s1
	s_xor_b32 s1, exec_lo, s7
	s_cbranch_execz .LBB112_217
; %bb.216:
	v_div_scale_f64 v[214:215], null, v[232:233], v[232:233], v[230:231]
	v_div_scale_f64 v[220:221], vcc_lo, v[230:231], v[232:233], v[230:231]
	v_rcp_f64_e32 v[216:217], v[214:215]
	v_fma_f64 v[218:219], -v[214:215], v[216:217], 1.0
	v_fma_f64 v[216:217], v[216:217], v[218:219], v[216:217]
	v_fma_f64 v[218:219], -v[214:215], v[216:217], 1.0
	v_fma_f64 v[216:217], v[216:217], v[218:219], v[216:217]
	v_mul_f64 v[218:219], v[220:221], v[216:217]
	v_fma_f64 v[214:215], -v[214:215], v[218:219], v[220:221]
	v_div_fmas_f64 v[214:215], v[214:215], v[216:217], v[218:219]
	v_div_fixup_f64 v[214:215], v[214:215], v[232:233], v[230:231]
	v_fma_f64 v[216:217], v[230:231], v[214:215], v[232:233]
	v_div_scale_f64 v[218:219], null, v[216:217], v[216:217], 1.0
	v_rcp_f64_e32 v[220:221], v[218:219]
	v_fma_f64 v[222:223], -v[218:219], v[220:221], 1.0
	v_fma_f64 v[220:221], v[220:221], v[222:223], v[220:221]
	v_fma_f64 v[222:223], -v[218:219], v[220:221], 1.0
	v_fma_f64 v[220:221], v[220:221], v[222:223], v[220:221]
	v_div_scale_f64 v[222:223], vcc_lo, 1.0, v[216:217], 1.0
	v_mul_f64 v[224:225], v[222:223], v[220:221]
	v_fma_f64 v[218:219], -v[218:219], v[224:225], v[222:223]
	v_div_fmas_f64 v[218:219], v[218:219], v[220:221], v[224:225]
	v_div_fixup_f64 v[232:233], v[218:219], v[216:217], 1.0
	v_mul_f64 v[230:231], v[214:215], v[232:233]
	v_xor_b32_e32 v233, 0x80000000, v233
.LBB112_217:
	s_andn2_saveexec_b32 s1, s1
	s_cbranch_execz .LBB112_219
; %bb.218:
	v_div_scale_f64 v[214:215], null, v[230:231], v[230:231], v[232:233]
	v_div_scale_f64 v[220:221], vcc_lo, v[232:233], v[230:231], v[232:233]
	v_rcp_f64_e32 v[216:217], v[214:215]
	v_fma_f64 v[218:219], -v[214:215], v[216:217], 1.0
	v_fma_f64 v[216:217], v[216:217], v[218:219], v[216:217]
	v_fma_f64 v[218:219], -v[214:215], v[216:217], 1.0
	v_fma_f64 v[216:217], v[216:217], v[218:219], v[216:217]
	v_mul_f64 v[218:219], v[220:221], v[216:217]
	v_fma_f64 v[214:215], -v[214:215], v[218:219], v[220:221]
	v_div_fmas_f64 v[214:215], v[214:215], v[216:217], v[218:219]
	v_div_fixup_f64 v[214:215], v[214:215], v[230:231], v[232:233]
	v_fma_f64 v[216:217], v[232:233], v[214:215], v[230:231]
	v_div_scale_f64 v[218:219], null, v[216:217], v[216:217], 1.0
	v_rcp_f64_e32 v[220:221], v[218:219]
	v_fma_f64 v[222:223], -v[218:219], v[220:221], 1.0
	v_fma_f64 v[220:221], v[220:221], v[222:223], v[220:221]
	v_fma_f64 v[222:223], -v[218:219], v[220:221], 1.0
	v_fma_f64 v[220:221], v[220:221], v[222:223], v[220:221]
	v_div_scale_f64 v[222:223], vcc_lo, 1.0, v[216:217], 1.0
	v_mul_f64 v[224:225], v[222:223], v[220:221]
	v_fma_f64 v[218:219], -v[218:219], v[224:225], v[222:223]
	v_div_fmas_f64 v[218:219], v[218:219], v[220:221], v[224:225]
	v_div_fixup_f64 v[230:231], v[218:219], v[216:217], 1.0
	v_mul_f64 v[232:233], v[214:215], -v[230:231]
.LBB112_219:
	s_or_b32 exec_lo, exec_lo, s1
.LBB112_220:
	s_or_b32 exec_lo, exec_lo, s0
	s_mov_b32 s0, exec_lo
	v_cmpx_ne_u32_e64 v244, v238
	s_xor_b32 s0, exec_lo, s0
	s_cbranch_execz .LBB112_226
; %bb.221:
	s_mov_b32 s1, exec_lo
	v_cmpx_eq_u32_e32 10, v244
	s_cbranch_execz .LBB112_225
; %bb.222:
	v_cmp_ne_u32_e32 vcc_lo, 10, v238
	s_xor_b32 s7, s16, -1
	s_and_b32 s9, s7, vcc_lo
	s_and_saveexec_b32 s7, s9
	s_cbranch_execz .LBB112_224
; %bb.223:
	s_clause 0x1
	buffer_load_dword v210, off, s[20:23], 0
	buffer_load_dword v211, off, s[20:23], 0 offset:4
	v_ashrrev_i32_e32 v239, 31, v238
	v_lshlrev_b64 v[214:215], 2, v[238:239]
	s_waitcnt vmcnt(1)
	v_add_co_u32 v214, vcc_lo, v210, v214
	s_waitcnt vmcnt(0)
	v_add_co_ci_u32_e64 v215, null, v211, v215, vcc_lo
	s_clause 0x1
	global_load_dword v0, v[214:215], off
	global_load_dword v216, v[210:211], off offset:40
	s_waitcnt vmcnt(1)
	global_store_dword v[210:211], v0, off offset:40
	s_waitcnt vmcnt(0)
	global_store_dword v[214:215], v216, off
.LBB112_224:
	s_or_b32 exec_lo, exec_lo, s7
	v_mov_b32_e32 v244, v238
	v_mov_b32_e32 v0, v238
.LBB112_225:
	s_or_b32 exec_lo, exec_lo, s1
.LBB112_226:
	s_andn2_saveexec_b32 s0, s0
	s_cbranch_execz .LBB112_228
; %bb.227:
	v_mov_b32_e32 v244, 10
	ds_write2_b64 v1, v[182:183], v[184:185] offset0:22 offset1:23
	ds_write2_b64 v1, v[178:179], v[180:181] offset0:24 offset1:25
	;; [unrolled: 1-line block ×46, first 2 shown]
.LBB112_228:
	s_or_b32 exec_lo, exec_lo, s0
	s_mov_b32 s0, exec_lo
	s_waitcnt lgkmcnt(0)
	s_waitcnt_vscnt null, 0x0
	s_barrier
	buffer_gl0_inv
	v_cmpx_lt_i32_e32 10, v244
	s_cbranch_execz .LBB112_230
; %bb.229:
	v_mul_f64 v[214:215], v[232:233], v[188:189]
	v_mul_f64 v[188:189], v[230:231], v[188:189]
	v_fma_f64 v[238:239], v[230:231], v[186:187], -v[214:215]
	v_fma_f64 v[188:189], v[232:233], v[186:187], v[188:189]
	ds_read2_b64 v[230:233], v1 offset0:22 offset1:23
	s_waitcnt lgkmcnt(0)
	v_mul_f64 v[186:187], v[232:233], v[188:189]
	v_mul_f64 v[214:215], v[230:231], v[188:189]
	v_fma_f64 v[186:187], v[230:231], v[238:239], -v[186:187]
	v_fma_f64 v[214:215], v[232:233], v[238:239], v[214:215]
	ds_read2_b64 v[230:233], v1 offset0:24 offset1:25
	v_add_f64 v[182:183], v[182:183], -v[186:187]
	v_add_f64 v[184:185], v[184:185], -v[214:215]
	s_waitcnt lgkmcnt(0)
	v_mul_f64 v[186:187], v[232:233], v[188:189]
	v_mul_f64 v[214:215], v[230:231], v[188:189]
	v_fma_f64 v[186:187], v[230:231], v[238:239], -v[186:187]
	v_fma_f64 v[214:215], v[232:233], v[238:239], v[214:215]
	ds_read2_b64 v[230:233], v1 offset0:26 offset1:27
	v_add_f64 v[178:179], v[178:179], -v[186:187]
	v_add_f64 v[180:181], v[180:181], -v[214:215]
	;; [unrolled: 8-line block ×45, first 2 shown]
	s_waitcnt lgkmcnt(0)
	v_mul_f64 v[186:187], v[232:233], v[188:189]
	v_mul_f64 v[214:215], v[230:231], v[188:189]
	v_fma_f64 v[186:187], v[230:231], v[238:239], -v[186:187]
	v_fma_f64 v[214:215], v[232:233], v[238:239], v[214:215]
	v_add_f64 v[250:251], v[250:251], -v[186:187]
	v_add_f64 v[252:253], v[252:253], -v[214:215]
	v_mov_b32_e32 v186, v238
	v_mov_b32_e32 v187, v239
.LBB112_230:
	s_or_b32 exec_lo, exec_lo, s0
	v_lshl_add_u32 v214, v244, 4, v1
	s_barrier
	buffer_gl0_inv
	v_mov_b32_e32 v238, 11
	ds_write2_b64 v214, v[182:183], v[184:185] offset1:1
	s_waitcnt lgkmcnt(0)
	s_barrier
	buffer_gl0_inv
	ds_read2_b64 v[230:233], v1 offset0:22 offset1:23
	s_cmp_lt_i32 s8, 13
	s_cbranch_scc1 .LBB112_233
; %bb.231:
	v_add3_u32 v239, v228, 0, 0xc0
	v_mov_b32_e32 v238, 11
	s_mov_b32 s0, 12
	s_inst_prefetch 0x1
	.p2align	6
.LBB112_232:                            ; =>This Inner Loop Header: Depth=1
	s_waitcnt lgkmcnt(0)
	v_cmp_gt_f64_e32 vcc_lo, 0, v[230:231]
	v_xor_b32_e32 v214, 0x80000000, v231
	ds_read2_b64 v[245:248], v239 offset1:1
	v_xor_b32_e32 v216, 0x80000000, v233
	v_add_nc_u32_e32 v239, 16, v239
	s_waitcnt lgkmcnt(0)
	v_xor_b32_e32 v218, 0x80000000, v248
	v_cndmask_b32_e32 v215, v231, v214, vcc_lo
	v_cmp_gt_f64_e32 vcc_lo, 0, v[232:233]
	v_mov_b32_e32 v214, v230
	v_cndmask_b32_e32 v217, v233, v216, vcc_lo
	v_cmp_gt_f64_e32 vcc_lo, 0, v[245:246]
	v_mov_b32_e32 v216, v232
	v_add_f64 v[214:215], v[214:215], v[216:217]
	v_xor_b32_e32 v216, 0x80000000, v246
	v_cndmask_b32_e32 v217, v246, v216, vcc_lo
	v_cmp_gt_f64_e32 vcc_lo, 0, v[247:248]
	v_mov_b32_e32 v216, v245
	v_cndmask_b32_e32 v219, v248, v218, vcc_lo
	v_mov_b32_e32 v218, v247
	v_add_f64 v[216:217], v[216:217], v[218:219]
	v_cmp_lt_f64_e32 vcc_lo, v[214:215], v[216:217]
	v_cndmask_b32_e32 v231, v231, v246, vcc_lo
	v_cndmask_b32_e32 v230, v230, v245, vcc_lo
	;; [unrolled: 1-line block ×4, first 2 shown]
	v_cndmask_b32_e64 v238, v238, s0, vcc_lo
	s_add_i32 s0, s0, 1
	s_cmp_lg_u32 s8, s0
	s_cbranch_scc1 .LBB112_232
.LBB112_233:
	s_inst_prefetch 0x2
	s_waitcnt lgkmcnt(0)
	v_cmp_eq_f64_e32 vcc_lo, 0, v[230:231]
	v_cmp_eq_f64_e64 s0, 0, v[232:233]
	s_and_b32 s0, vcc_lo, s0
	s_and_saveexec_b32 s1, s0
	s_xor_b32 s0, exec_lo, s1
; %bb.234:
	v_cmp_ne_u32_e32 vcc_lo, 0, v243
	v_cndmask_b32_e32 v243, 12, v243, vcc_lo
; %bb.235:
	s_andn2_saveexec_b32 s0, s0
	s_cbranch_execz .LBB112_241
; %bb.236:
	v_cmp_ngt_f64_e64 s1, |v[230:231]|, |v[232:233]|
	s_and_saveexec_b32 s7, s1
	s_xor_b32 s1, exec_lo, s7
	s_cbranch_execz .LBB112_238
; %bb.237:
	v_div_scale_f64 v[214:215], null, v[232:233], v[232:233], v[230:231]
	v_div_scale_f64 v[220:221], vcc_lo, v[230:231], v[232:233], v[230:231]
	v_rcp_f64_e32 v[216:217], v[214:215]
	v_fma_f64 v[218:219], -v[214:215], v[216:217], 1.0
	v_fma_f64 v[216:217], v[216:217], v[218:219], v[216:217]
	v_fma_f64 v[218:219], -v[214:215], v[216:217], 1.0
	v_fma_f64 v[216:217], v[216:217], v[218:219], v[216:217]
	v_mul_f64 v[218:219], v[220:221], v[216:217]
	v_fma_f64 v[214:215], -v[214:215], v[218:219], v[220:221]
	v_div_fmas_f64 v[214:215], v[214:215], v[216:217], v[218:219]
	v_div_fixup_f64 v[214:215], v[214:215], v[232:233], v[230:231]
	v_fma_f64 v[216:217], v[230:231], v[214:215], v[232:233]
	v_div_scale_f64 v[218:219], null, v[216:217], v[216:217], 1.0
	v_rcp_f64_e32 v[220:221], v[218:219]
	v_fma_f64 v[222:223], -v[218:219], v[220:221], 1.0
	v_fma_f64 v[220:221], v[220:221], v[222:223], v[220:221]
	v_fma_f64 v[222:223], -v[218:219], v[220:221], 1.0
	v_fma_f64 v[220:221], v[220:221], v[222:223], v[220:221]
	v_div_scale_f64 v[222:223], vcc_lo, 1.0, v[216:217], 1.0
	v_mul_f64 v[224:225], v[222:223], v[220:221]
	v_fma_f64 v[218:219], -v[218:219], v[224:225], v[222:223]
	v_div_fmas_f64 v[218:219], v[218:219], v[220:221], v[224:225]
	v_div_fixup_f64 v[232:233], v[218:219], v[216:217], 1.0
	v_mul_f64 v[230:231], v[214:215], v[232:233]
	v_xor_b32_e32 v233, 0x80000000, v233
.LBB112_238:
	s_andn2_saveexec_b32 s1, s1
	s_cbranch_execz .LBB112_240
; %bb.239:
	v_div_scale_f64 v[214:215], null, v[230:231], v[230:231], v[232:233]
	v_div_scale_f64 v[220:221], vcc_lo, v[232:233], v[230:231], v[232:233]
	v_rcp_f64_e32 v[216:217], v[214:215]
	v_fma_f64 v[218:219], -v[214:215], v[216:217], 1.0
	v_fma_f64 v[216:217], v[216:217], v[218:219], v[216:217]
	v_fma_f64 v[218:219], -v[214:215], v[216:217], 1.0
	v_fma_f64 v[216:217], v[216:217], v[218:219], v[216:217]
	v_mul_f64 v[218:219], v[220:221], v[216:217]
	v_fma_f64 v[214:215], -v[214:215], v[218:219], v[220:221]
	v_div_fmas_f64 v[214:215], v[214:215], v[216:217], v[218:219]
	v_div_fixup_f64 v[214:215], v[214:215], v[230:231], v[232:233]
	v_fma_f64 v[216:217], v[232:233], v[214:215], v[230:231]
	v_div_scale_f64 v[218:219], null, v[216:217], v[216:217], 1.0
	v_rcp_f64_e32 v[220:221], v[218:219]
	v_fma_f64 v[222:223], -v[218:219], v[220:221], 1.0
	v_fma_f64 v[220:221], v[220:221], v[222:223], v[220:221]
	v_fma_f64 v[222:223], -v[218:219], v[220:221], 1.0
	v_fma_f64 v[220:221], v[220:221], v[222:223], v[220:221]
	v_div_scale_f64 v[222:223], vcc_lo, 1.0, v[216:217], 1.0
	v_mul_f64 v[224:225], v[222:223], v[220:221]
	v_fma_f64 v[218:219], -v[218:219], v[224:225], v[222:223]
	v_div_fmas_f64 v[218:219], v[218:219], v[220:221], v[224:225]
	v_div_fixup_f64 v[230:231], v[218:219], v[216:217], 1.0
	v_mul_f64 v[232:233], v[214:215], -v[230:231]
.LBB112_240:
	s_or_b32 exec_lo, exec_lo, s1
.LBB112_241:
	s_or_b32 exec_lo, exec_lo, s0
	s_mov_b32 s0, exec_lo
	v_cmpx_ne_u32_e64 v244, v238
	s_xor_b32 s0, exec_lo, s0
	s_cbranch_execz .LBB112_247
; %bb.242:
	s_mov_b32 s1, exec_lo
	v_cmpx_eq_u32_e32 11, v244
	s_cbranch_execz .LBB112_246
; %bb.243:
	v_cmp_ne_u32_e32 vcc_lo, 11, v238
	s_xor_b32 s7, s16, -1
	s_and_b32 s9, s7, vcc_lo
	s_and_saveexec_b32 s7, s9
	s_cbranch_execz .LBB112_245
; %bb.244:
	s_clause 0x1
	buffer_load_dword v210, off, s[20:23], 0
	buffer_load_dword v211, off, s[20:23], 0 offset:4
	v_ashrrev_i32_e32 v239, 31, v238
	v_lshlrev_b64 v[214:215], 2, v[238:239]
	s_waitcnt vmcnt(1)
	v_add_co_u32 v214, vcc_lo, v210, v214
	s_waitcnt vmcnt(0)
	v_add_co_ci_u32_e64 v215, null, v211, v215, vcc_lo
	s_clause 0x1
	global_load_dword v0, v[214:215], off
	global_load_dword v216, v[210:211], off offset:44
	s_waitcnt vmcnt(1)
	global_store_dword v[210:211], v0, off offset:44
	s_waitcnt vmcnt(0)
	global_store_dword v[214:215], v216, off
.LBB112_245:
	s_or_b32 exec_lo, exec_lo, s7
	v_mov_b32_e32 v244, v238
	v_mov_b32_e32 v0, v238
.LBB112_246:
	s_or_b32 exec_lo, exec_lo, s1
.LBB112_247:
	s_andn2_saveexec_b32 s0, s0
	s_cbranch_execz .LBB112_249
; %bb.248:
	v_mov_b32_e32 v244, 11
	ds_write2_b64 v1, v[178:179], v[180:181] offset0:24 offset1:25
	ds_write2_b64 v1, v[174:175], v[176:177] offset0:26 offset1:27
	;; [unrolled: 1-line block ×45, first 2 shown]
.LBB112_249:
	s_or_b32 exec_lo, exec_lo, s0
	s_mov_b32 s0, exec_lo
	s_waitcnt lgkmcnt(0)
	s_waitcnt_vscnt null, 0x0
	s_barrier
	buffer_gl0_inv
	v_cmpx_lt_i32_e32 11, v244
	s_cbranch_execz .LBB112_251
; %bb.250:
	v_mul_f64 v[214:215], v[232:233], v[184:185]
	v_mul_f64 v[184:185], v[230:231], v[184:185]
	v_fma_f64 v[238:239], v[230:231], v[182:183], -v[214:215]
	v_fma_f64 v[184:185], v[232:233], v[182:183], v[184:185]
	ds_read2_b64 v[230:233], v1 offset0:24 offset1:25
	s_waitcnt lgkmcnt(0)
	v_mul_f64 v[182:183], v[232:233], v[184:185]
	v_mul_f64 v[214:215], v[230:231], v[184:185]
	v_fma_f64 v[182:183], v[230:231], v[238:239], -v[182:183]
	v_fma_f64 v[214:215], v[232:233], v[238:239], v[214:215]
	ds_read2_b64 v[230:233], v1 offset0:26 offset1:27
	v_add_f64 v[178:179], v[178:179], -v[182:183]
	v_add_f64 v[180:181], v[180:181], -v[214:215]
	s_waitcnt lgkmcnt(0)
	v_mul_f64 v[182:183], v[232:233], v[184:185]
	v_mul_f64 v[214:215], v[230:231], v[184:185]
	v_fma_f64 v[182:183], v[230:231], v[238:239], -v[182:183]
	v_fma_f64 v[214:215], v[232:233], v[238:239], v[214:215]
	ds_read2_b64 v[230:233], v1 offset0:28 offset1:29
	v_add_f64 v[174:175], v[174:175], -v[182:183]
	v_add_f64 v[176:177], v[176:177], -v[214:215]
	;; [unrolled: 8-line block ×44, first 2 shown]
	s_waitcnt lgkmcnt(0)
	v_mul_f64 v[182:183], v[232:233], v[184:185]
	v_mul_f64 v[214:215], v[230:231], v[184:185]
	v_fma_f64 v[182:183], v[230:231], v[238:239], -v[182:183]
	v_fma_f64 v[214:215], v[232:233], v[238:239], v[214:215]
	v_add_f64 v[250:251], v[250:251], -v[182:183]
	v_add_f64 v[252:253], v[252:253], -v[214:215]
	v_mov_b32_e32 v182, v238
	v_mov_b32_e32 v183, v239
.LBB112_251:
	s_or_b32 exec_lo, exec_lo, s0
	v_lshl_add_u32 v214, v244, 4, v1
	s_barrier
	buffer_gl0_inv
	v_mov_b32_e32 v238, 12
	ds_write2_b64 v214, v[178:179], v[180:181] offset1:1
	s_waitcnt lgkmcnt(0)
	s_barrier
	buffer_gl0_inv
	ds_read2_b64 v[230:233], v1 offset0:24 offset1:25
	s_cmp_lt_i32 s8, 14
	s_cbranch_scc1 .LBB112_254
; %bb.252:
	v_add3_u32 v239, v228, 0, 0xd0
	v_mov_b32_e32 v238, 12
	s_mov_b32 s0, 13
	s_inst_prefetch 0x1
	.p2align	6
.LBB112_253:                            ; =>This Inner Loop Header: Depth=1
	s_waitcnt lgkmcnt(0)
	v_cmp_gt_f64_e32 vcc_lo, 0, v[230:231]
	v_xor_b32_e32 v214, 0x80000000, v231
	ds_read2_b64 v[245:248], v239 offset1:1
	v_xor_b32_e32 v216, 0x80000000, v233
	v_add_nc_u32_e32 v239, 16, v239
	s_waitcnt lgkmcnt(0)
	v_xor_b32_e32 v218, 0x80000000, v248
	v_cndmask_b32_e32 v215, v231, v214, vcc_lo
	v_cmp_gt_f64_e32 vcc_lo, 0, v[232:233]
	v_mov_b32_e32 v214, v230
	v_cndmask_b32_e32 v217, v233, v216, vcc_lo
	v_cmp_gt_f64_e32 vcc_lo, 0, v[245:246]
	v_mov_b32_e32 v216, v232
	v_add_f64 v[214:215], v[214:215], v[216:217]
	v_xor_b32_e32 v216, 0x80000000, v246
	v_cndmask_b32_e32 v217, v246, v216, vcc_lo
	v_cmp_gt_f64_e32 vcc_lo, 0, v[247:248]
	v_mov_b32_e32 v216, v245
	v_cndmask_b32_e32 v219, v248, v218, vcc_lo
	v_mov_b32_e32 v218, v247
	v_add_f64 v[216:217], v[216:217], v[218:219]
	v_cmp_lt_f64_e32 vcc_lo, v[214:215], v[216:217]
	v_cndmask_b32_e32 v231, v231, v246, vcc_lo
	v_cndmask_b32_e32 v230, v230, v245, vcc_lo
	;; [unrolled: 1-line block ×4, first 2 shown]
	v_cndmask_b32_e64 v238, v238, s0, vcc_lo
	s_add_i32 s0, s0, 1
	s_cmp_lg_u32 s8, s0
	s_cbranch_scc1 .LBB112_253
.LBB112_254:
	s_inst_prefetch 0x2
	s_waitcnt lgkmcnt(0)
	v_cmp_eq_f64_e32 vcc_lo, 0, v[230:231]
	v_cmp_eq_f64_e64 s0, 0, v[232:233]
	s_and_b32 s0, vcc_lo, s0
	s_and_saveexec_b32 s1, s0
	s_xor_b32 s0, exec_lo, s1
; %bb.255:
	v_cmp_ne_u32_e32 vcc_lo, 0, v243
	v_cndmask_b32_e32 v243, 13, v243, vcc_lo
; %bb.256:
	s_andn2_saveexec_b32 s0, s0
	s_cbranch_execz .LBB112_262
; %bb.257:
	v_cmp_ngt_f64_e64 s1, |v[230:231]|, |v[232:233]|
	s_and_saveexec_b32 s7, s1
	s_xor_b32 s1, exec_lo, s7
	s_cbranch_execz .LBB112_259
; %bb.258:
	v_div_scale_f64 v[214:215], null, v[232:233], v[232:233], v[230:231]
	v_div_scale_f64 v[220:221], vcc_lo, v[230:231], v[232:233], v[230:231]
	v_rcp_f64_e32 v[216:217], v[214:215]
	v_fma_f64 v[218:219], -v[214:215], v[216:217], 1.0
	v_fma_f64 v[216:217], v[216:217], v[218:219], v[216:217]
	v_fma_f64 v[218:219], -v[214:215], v[216:217], 1.0
	v_fma_f64 v[216:217], v[216:217], v[218:219], v[216:217]
	v_mul_f64 v[218:219], v[220:221], v[216:217]
	v_fma_f64 v[214:215], -v[214:215], v[218:219], v[220:221]
	v_div_fmas_f64 v[214:215], v[214:215], v[216:217], v[218:219]
	v_div_fixup_f64 v[214:215], v[214:215], v[232:233], v[230:231]
	v_fma_f64 v[216:217], v[230:231], v[214:215], v[232:233]
	v_div_scale_f64 v[218:219], null, v[216:217], v[216:217], 1.0
	v_rcp_f64_e32 v[220:221], v[218:219]
	v_fma_f64 v[222:223], -v[218:219], v[220:221], 1.0
	v_fma_f64 v[220:221], v[220:221], v[222:223], v[220:221]
	v_fma_f64 v[222:223], -v[218:219], v[220:221], 1.0
	v_fma_f64 v[220:221], v[220:221], v[222:223], v[220:221]
	v_div_scale_f64 v[222:223], vcc_lo, 1.0, v[216:217], 1.0
	v_mul_f64 v[224:225], v[222:223], v[220:221]
	v_fma_f64 v[218:219], -v[218:219], v[224:225], v[222:223]
	v_div_fmas_f64 v[218:219], v[218:219], v[220:221], v[224:225]
	v_div_fixup_f64 v[232:233], v[218:219], v[216:217], 1.0
	v_mul_f64 v[230:231], v[214:215], v[232:233]
	v_xor_b32_e32 v233, 0x80000000, v233
.LBB112_259:
	s_andn2_saveexec_b32 s1, s1
	s_cbranch_execz .LBB112_261
; %bb.260:
	v_div_scale_f64 v[214:215], null, v[230:231], v[230:231], v[232:233]
	v_div_scale_f64 v[220:221], vcc_lo, v[232:233], v[230:231], v[232:233]
	v_rcp_f64_e32 v[216:217], v[214:215]
	v_fma_f64 v[218:219], -v[214:215], v[216:217], 1.0
	v_fma_f64 v[216:217], v[216:217], v[218:219], v[216:217]
	v_fma_f64 v[218:219], -v[214:215], v[216:217], 1.0
	v_fma_f64 v[216:217], v[216:217], v[218:219], v[216:217]
	v_mul_f64 v[218:219], v[220:221], v[216:217]
	v_fma_f64 v[214:215], -v[214:215], v[218:219], v[220:221]
	v_div_fmas_f64 v[214:215], v[214:215], v[216:217], v[218:219]
	v_div_fixup_f64 v[214:215], v[214:215], v[230:231], v[232:233]
	v_fma_f64 v[216:217], v[232:233], v[214:215], v[230:231]
	v_div_scale_f64 v[218:219], null, v[216:217], v[216:217], 1.0
	v_rcp_f64_e32 v[220:221], v[218:219]
	v_fma_f64 v[222:223], -v[218:219], v[220:221], 1.0
	v_fma_f64 v[220:221], v[220:221], v[222:223], v[220:221]
	v_fma_f64 v[222:223], -v[218:219], v[220:221], 1.0
	v_fma_f64 v[220:221], v[220:221], v[222:223], v[220:221]
	v_div_scale_f64 v[222:223], vcc_lo, 1.0, v[216:217], 1.0
	v_mul_f64 v[224:225], v[222:223], v[220:221]
	v_fma_f64 v[218:219], -v[218:219], v[224:225], v[222:223]
	v_div_fmas_f64 v[218:219], v[218:219], v[220:221], v[224:225]
	v_div_fixup_f64 v[230:231], v[218:219], v[216:217], 1.0
	v_mul_f64 v[232:233], v[214:215], -v[230:231]
.LBB112_261:
	s_or_b32 exec_lo, exec_lo, s1
.LBB112_262:
	s_or_b32 exec_lo, exec_lo, s0
	s_mov_b32 s0, exec_lo
	v_cmpx_ne_u32_e64 v244, v238
	s_xor_b32 s0, exec_lo, s0
	s_cbranch_execz .LBB112_268
; %bb.263:
	s_mov_b32 s1, exec_lo
	v_cmpx_eq_u32_e32 12, v244
	s_cbranch_execz .LBB112_267
; %bb.264:
	v_cmp_ne_u32_e32 vcc_lo, 12, v238
	s_xor_b32 s7, s16, -1
	s_and_b32 s9, s7, vcc_lo
	s_and_saveexec_b32 s7, s9
	s_cbranch_execz .LBB112_266
; %bb.265:
	s_clause 0x1
	buffer_load_dword v210, off, s[20:23], 0
	buffer_load_dword v211, off, s[20:23], 0 offset:4
	v_ashrrev_i32_e32 v239, 31, v238
	v_lshlrev_b64 v[214:215], 2, v[238:239]
	s_waitcnt vmcnt(1)
	v_add_co_u32 v214, vcc_lo, v210, v214
	s_waitcnt vmcnt(0)
	v_add_co_ci_u32_e64 v215, null, v211, v215, vcc_lo
	s_clause 0x1
	global_load_dword v0, v[214:215], off
	global_load_dword v216, v[210:211], off offset:48
	s_waitcnt vmcnt(1)
	global_store_dword v[210:211], v0, off offset:48
	s_waitcnt vmcnt(0)
	global_store_dword v[214:215], v216, off
.LBB112_266:
	s_or_b32 exec_lo, exec_lo, s7
	v_mov_b32_e32 v244, v238
	v_mov_b32_e32 v0, v238
.LBB112_267:
	s_or_b32 exec_lo, exec_lo, s1
.LBB112_268:
	s_andn2_saveexec_b32 s0, s0
	s_cbranch_execz .LBB112_270
; %bb.269:
	v_mov_b32_e32 v244, 12
	ds_write2_b64 v1, v[174:175], v[176:177] offset0:26 offset1:27
	ds_write2_b64 v1, v[170:171], v[172:173] offset0:28 offset1:29
	;; [unrolled: 1-line block ×44, first 2 shown]
.LBB112_270:
	s_or_b32 exec_lo, exec_lo, s0
	s_mov_b32 s0, exec_lo
	s_waitcnt lgkmcnt(0)
	s_waitcnt_vscnt null, 0x0
	s_barrier
	buffer_gl0_inv
	v_cmpx_lt_i32_e32 12, v244
	s_cbranch_execz .LBB112_272
; %bb.271:
	v_mul_f64 v[214:215], v[232:233], v[180:181]
	v_mul_f64 v[180:181], v[230:231], v[180:181]
	v_fma_f64 v[238:239], v[230:231], v[178:179], -v[214:215]
	v_fma_f64 v[180:181], v[232:233], v[178:179], v[180:181]
	ds_read2_b64 v[230:233], v1 offset0:26 offset1:27
	s_waitcnt lgkmcnt(0)
	v_mul_f64 v[178:179], v[232:233], v[180:181]
	v_mul_f64 v[214:215], v[230:231], v[180:181]
	v_fma_f64 v[178:179], v[230:231], v[238:239], -v[178:179]
	v_fma_f64 v[214:215], v[232:233], v[238:239], v[214:215]
	ds_read2_b64 v[230:233], v1 offset0:28 offset1:29
	v_add_f64 v[174:175], v[174:175], -v[178:179]
	v_add_f64 v[176:177], v[176:177], -v[214:215]
	s_waitcnt lgkmcnt(0)
	v_mul_f64 v[178:179], v[232:233], v[180:181]
	v_mul_f64 v[214:215], v[230:231], v[180:181]
	v_fma_f64 v[178:179], v[230:231], v[238:239], -v[178:179]
	v_fma_f64 v[214:215], v[232:233], v[238:239], v[214:215]
	ds_read2_b64 v[230:233], v1 offset0:30 offset1:31
	v_add_f64 v[170:171], v[170:171], -v[178:179]
	v_add_f64 v[172:173], v[172:173], -v[214:215]
	;; [unrolled: 8-line block ×43, first 2 shown]
	s_waitcnt lgkmcnt(0)
	v_mul_f64 v[178:179], v[232:233], v[180:181]
	v_mul_f64 v[214:215], v[230:231], v[180:181]
	v_fma_f64 v[178:179], v[230:231], v[238:239], -v[178:179]
	v_fma_f64 v[214:215], v[232:233], v[238:239], v[214:215]
	v_add_f64 v[250:251], v[250:251], -v[178:179]
	v_add_f64 v[252:253], v[252:253], -v[214:215]
	v_mov_b32_e32 v178, v238
	v_mov_b32_e32 v179, v239
.LBB112_272:
	s_or_b32 exec_lo, exec_lo, s0
	v_lshl_add_u32 v214, v244, 4, v1
	s_barrier
	buffer_gl0_inv
	v_mov_b32_e32 v238, 13
	ds_write2_b64 v214, v[174:175], v[176:177] offset1:1
	s_waitcnt lgkmcnt(0)
	s_barrier
	buffer_gl0_inv
	ds_read2_b64 v[230:233], v1 offset0:26 offset1:27
	s_cmp_lt_i32 s8, 15
	s_cbranch_scc1 .LBB112_275
; %bb.273:
	v_add3_u32 v239, v228, 0, 0xe0
	v_mov_b32_e32 v238, 13
	s_mov_b32 s0, 14
	s_inst_prefetch 0x1
	.p2align	6
.LBB112_274:                            ; =>This Inner Loop Header: Depth=1
	s_waitcnt lgkmcnt(0)
	v_cmp_gt_f64_e32 vcc_lo, 0, v[230:231]
	v_xor_b32_e32 v214, 0x80000000, v231
	ds_read2_b64 v[245:248], v239 offset1:1
	v_xor_b32_e32 v216, 0x80000000, v233
	v_add_nc_u32_e32 v239, 16, v239
	s_waitcnt lgkmcnt(0)
	v_xor_b32_e32 v218, 0x80000000, v248
	v_cndmask_b32_e32 v215, v231, v214, vcc_lo
	v_cmp_gt_f64_e32 vcc_lo, 0, v[232:233]
	v_mov_b32_e32 v214, v230
	v_cndmask_b32_e32 v217, v233, v216, vcc_lo
	v_cmp_gt_f64_e32 vcc_lo, 0, v[245:246]
	v_mov_b32_e32 v216, v232
	v_add_f64 v[214:215], v[214:215], v[216:217]
	v_xor_b32_e32 v216, 0x80000000, v246
	v_cndmask_b32_e32 v217, v246, v216, vcc_lo
	v_cmp_gt_f64_e32 vcc_lo, 0, v[247:248]
	v_mov_b32_e32 v216, v245
	v_cndmask_b32_e32 v219, v248, v218, vcc_lo
	v_mov_b32_e32 v218, v247
	v_add_f64 v[216:217], v[216:217], v[218:219]
	v_cmp_lt_f64_e32 vcc_lo, v[214:215], v[216:217]
	v_cndmask_b32_e32 v231, v231, v246, vcc_lo
	v_cndmask_b32_e32 v230, v230, v245, vcc_lo
	;; [unrolled: 1-line block ×4, first 2 shown]
	v_cndmask_b32_e64 v238, v238, s0, vcc_lo
	s_add_i32 s0, s0, 1
	s_cmp_lg_u32 s8, s0
	s_cbranch_scc1 .LBB112_274
.LBB112_275:
	s_inst_prefetch 0x2
	s_waitcnt lgkmcnt(0)
	v_cmp_eq_f64_e32 vcc_lo, 0, v[230:231]
	v_cmp_eq_f64_e64 s0, 0, v[232:233]
	s_and_b32 s0, vcc_lo, s0
	s_and_saveexec_b32 s1, s0
	s_xor_b32 s0, exec_lo, s1
; %bb.276:
	v_cmp_ne_u32_e32 vcc_lo, 0, v243
	v_cndmask_b32_e32 v243, 14, v243, vcc_lo
; %bb.277:
	s_andn2_saveexec_b32 s0, s0
	s_cbranch_execz .LBB112_283
; %bb.278:
	v_cmp_ngt_f64_e64 s1, |v[230:231]|, |v[232:233]|
	s_and_saveexec_b32 s7, s1
	s_xor_b32 s1, exec_lo, s7
	s_cbranch_execz .LBB112_280
; %bb.279:
	v_div_scale_f64 v[214:215], null, v[232:233], v[232:233], v[230:231]
	v_div_scale_f64 v[220:221], vcc_lo, v[230:231], v[232:233], v[230:231]
	v_rcp_f64_e32 v[216:217], v[214:215]
	v_fma_f64 v[218:219], -v[214:215], v[216:217], 1.0
	v_fma_f64 v[216:217], v[216:217], v[218:219], v[216:217]
	v_fma_f64 v[218:219], -v[214:215], v[216:217], 1.0
	v_fma_f64 v[216:217], v[216:217], v[218:219], v[216:217]
	v_mul_f64 v[218:219], v[220:221], v[216:217]
	v_fma_f64 v[214:215], -v[214:215], v[218:219], v[220:221]
	v_div_fmas_f64 v[214:215], v[214:215], v[216:217], v[218:219]
	v_div_fixup_f64 v[214:215], v[214:215], v[232:233], v[230:231]
	v_fma_f64 v[216:217], v[230:231], v[214:215], v[232:233]
	v_div_scale_f64 v[218:219], null, v[216:217], v[216:217], 1.0
	v_rcp_f64_e32 v[220:221], v[218:219]
	v_fma_f64 v[222:223], -v[218:219], v[220:221], 1.0
	v_fma_f64 v[220:221], v[220:221], v[222:223], v[220:221]
	v_fma_f64 v[222:223], -v[218:219], v[220:221], 1.0
	v_fma_f64 v[220:221], v[220:221], v[222:223], v[220:221]
	v_div_scale_f64 v[222:223], vcc_lo, 1.0, v[216:217], 1.0
	v_mul_f64 v[224:225], v[222:223], v[220:221]
	v_fma_f64 v[218:219], -v[218:219], v[224:225], v[222:223]
	v_div_fmas_f64 v[218:219], v[218:219], v[220:221], v[224:225]
	v_div_fixup_f64 v[232:233], v[218:219], v[216:217], 1.0
	v_mul_f64 v[230:231], v[214:215], v[232:233]
	v_xor_b32_e32 v233, 0x80000000, v233
.LBB112_280:
	s_andn2_saveexec_b32 s1, s1
	s_cbranch_execz .LBB112_282
; %bb.281:
	v_div_scale_f64 v[214:215], null, v[230:231], v[230:231], v[232:233]
	v_div_scale_f64 v[220:221], vcc_lo, v[232:233], v[230:231], v[232:233]
	v_rcp_f64_e32 v[216:217], v[214:215]
	v_fma_f64 v[218:219], -v[214:215], v[216:217], 1.0
	v_fma_f64 v[216:217], v[216:217], v[218:219], v[216:217]
	v_fma_f64 v[218:219], -v[214:215], v[216:217], 1.0
	v_fma_f64 v[216:217], v[216:217], v[218:219], v[216:217]
	v_mul_f64 v[218:219], v[220:221], v[216:217]
	v_fma_f64 v[214:215], -v[214:215], v[218:219], v[220:221]
	v_div_fmas_f64 v[214:215], v[214:215], v[216:217], v[218:219]
	v_div_fixup_f64 v[214:215], v[214:215], v[230:231], v[232:233]
	v_fma_f64 v[216:217], v[232:233], v[214:215], v[230:231]
	v_div_scale_f64 v[218:219], null, v[216:217], v[216:217], 1.0
	v_rcp_f64_e32 v[220:221], v[218:219]
	v_fma_f64 v[222:223], -v[218:219], v[220:221], 1.0
	v_fma_f64 v[220:221], v[220:221], v[222:223], v[220:221]
	v_fma_f64 v[222:223], -v[218:219], v[220:221], 1.0
	v_fma_f64 v[220:221], v[220:221], v[222:223], v[220:221]
	v_div_scale_f64 v[222:223], vcc_lo, 1.0, v[216:217], 1.0
	v_mul_f64 v[224:225], v[222:223], v[220:221]
	v_fma_f64 v[218:219], -v[218:219], v[224:225], v[222:223]
	v_div_fmas_f64 v[218:219], v[218:219], v[220:221], v[224:225]
	v_div_fixup_f64 v[230:231], v[218:219], v[216:217], 1.0
	v_mul_f64 v[232:233], v[214:215], -v[230:231]
.LBB112_282:
	s_or_b32 exec_lo, exec_lo, s1
.LBB112_283:
	s_or_b32 exec_lo, exec_lo, s0
	s_mov_b32 s0, exec_lo
	v_cmpx_ne_u32_e64 v244, v238
	s_xor_b32 s0, exec_lo, s0
	s_cbranch_execz .LBB112_289
; %bb.284:
	s_mov_b32 s1, exec_lo
	v_cmpx_eq_u32_e32 13, v244
	s_cbranch_execz .LBB112_288
; %bb.285:
	v_cmp_ne_u32_e32 vcc_lo, 13, v238
	s_xor_b32 s7, s16, -1
	s_and_b32 s9, s7, vcc_lo
	s_and_saveexec_b32 s7, s9
	s_cbranch_execz .LBB112_287
; %bb.286:
	s_clause 0x1
	buffer_load_dword v210, off, s[20:23], 0
	buffer_load_dword v211, off, s[20:23], 0 offset:4
	v_ashrrev_i32_e32 v239, 31, v238
	v_lshlrev_b64 v[214:215], 2, v[238:239]
	s_waitcnt vmcnt(1)
	v_add_co_u32 v214, vcc_lo, v210, v214
	s_waitcnt vmcnt(0)
	v_add_co_ci_u32_e64 v215, null, v211, v215, vcc_lo
	s_clause 0x1
	global_load_dword v0, v[214:215], off
	global_load_dword v216, v[210:211], off offset:52
	s_waitcnt vmcnt(1)
	global_store_dword v[210:211], v0, off offset:52
	s_waitcnt vmcnt(0)
	global_store_dword v[214:215], v216, off
.LBB112_287:
	s_or_b32 exec_lo, exec_lo, s7
	v_mov_b32_e32 v244, v238
	v_mov_b32_e32 v0, v238
.LBB112_288:
	s_or_b32 exec_lo, exec_lo, s1
.LBB112_289:
	s_andn2_saveexec_b32 s0, s0
	s_cbranch_execz .LBB112_291
; %bb.290:
	v_mov_b32_e32 v244, 13
	ds_write2_b64 v1, v[170:171], v[172:173] offset0:28 offset1:29
	ds_write2_b64 v1, v[166:167], v[168:169] offset0:30 offset1:31
	;; [unrolled: 1-line block ×43, first 2 shown]
.LBB112_291:
	s_or_b32 exec_lo, exec_lo, s0
	s_mov_b32 s0, exec_lo
	s_waitcnt lgkmcnt(0)
	s_waitcnt_vscnt null, 0x0
	s_barrier
	buffer_gl0_inv
	v_cmpx_lt_i32_e32 13, v244
	s_cbranch_execz .LBB112_293
; %bb.292:
	v_mul_f64 v[214:215], v[232:233], v[176:177]
	v_mul_f64 v[176:177], v[230:231], v[176:177]
	v_fma_f64 v[238:239], v[230:231], v[174:175], -v[214:215]
	v_fma_f64 v[176:177], v[232:233], v[174:175], v[176:177]
	ds_read2_b64 v[230:233], v1 offset0:28 offset1:29
	s_waitcnt lgkmcnt(0)
	v_mul_f64 v[174:175], v[232:233], v[176:177]
	v_mul_f64 v[214:215], v[230:231], v[176:177]
	v_fma_f64 v[174:175], v[230:231], v[238:239], -v[174:175]
	v_fma_f64 v[214:215], v[232:233], v[238:239], v[214:215]
	ds_read2_b64 v[230:233], v1 offset0:30 offset1:31
	v_add_f64 v[170:171], v[170:171], -v[174:175]
	v_add_f64 v[172:173], v[172:173], -v[214:215]
	s_waitcnt lgkmcnt(0)
	v_mul_f64 v[174:175], v[232:233], v[176:177]
	v_mul_f64 v[214:215], v[230:231], v[176:177]
	v_fma_f64 v[174:175], v[230:231], v[238:239], -v[174:175]
	v_fma_f64 v[214:215], v[232:233], v[238:239], v[214:215]
	ds_read2_b64 v[230:233], v1 offset0:32 offset1:33
	v_add_f64 v[166:167], v[166:167], -v[174:175]
	v_add_f64 v[168:169], v[168:169], -v[214:215]
	;; [unrolled: 8-line block ×42, first 2 shown]
	s_waitcnt lgkmcnt(0)
	v_mul_f64 v[174:175], v[232:233], v[176:177]
	v_mul_f64 v[214:215], v[230:231], v[176:177]
	v_fma_f64 v[174:175], v[230:231], v[238:239], -v[174:175]
	v_fma_f64 v[214:215], v[232:233], v[238:239], v[214:215]
	v_add_f64 v[250:251], v[250:251], -v[174:175]
	v_add_f64 v[252:253], v[252:253], -v[214:215]
	v_mov_b32_e32 v174, v238
	v_mov_b32_e32 v175, v239
.LBB112_293:
	s_or_b32 exec_lo, exec_lo, s0
	v_lshl_add_u32 v214, v244, 4, v1
	s_barrier
	buffer_gl0_inv
	v_mov_b32_e32 v238, 14
	ds_write2_b64 v214, v[170:171], v[172:173] offset1:1
	s_waitcnt lgkmcnt(0)
	s_barrier
	buffer_gl0_inv
	ds_read2_b64 v[230:233], v1 offset0:28 offset1:29
	s_cmp_lt_i32 s8, 16
	s_cbranch_scc1 .LBB112_296
; %bb.294:
	v_add3_u32 v239, v228, 0, 0xf0
	v_mov_b32_e32 v238, 14
	s_mov_b32 s0, 15
	s_inst_prefetch 0x1
	.p2align	6
.LBB112_295:                            ; =>This Inner Loop Header: Depth=1
	s_waitcnt lgkmcnt(0)
	v_cmp_gt_f64_e32 vcc_lo, 0, v[230:231]
	v_xor_b32_e32 v214, 0x80000000, v231
	ds_read2_b64 v[245:248], v239 offset1:1
	v_xor_b32_e32 v216, 0x80000000, v233
	v_add_nc_u32_e32 v239, 16, v239
	s_waitcnt lgkmcnt(0)
	v_xor_b32_e32 v218, 0x80000000, v248
	v_cndmask_b32_e32 v215, v231, v214, vcc_lo
	v_cmp_gt_f64_e32 vcc_lo, 0, v[232:233]
	v_mov_b32_e32 v214, v230
	v_cndmask_b32_e32 v217, v233, v216, vcc_lo
	v_cmp_gt_f64_e32 vcc_lo, 0, v[245:246]
	v_mov_b32_e32 v216, v232
	v_add_f64 v[214:215], v[214:215], v[216:217]
	v_xor_b32_e32 v216, 0x80000000, v246
	v_cndmask_b32_e32 v217, v246, v216, vcc_lo
	v_cmp_gt_f64_e32 vcc_lo, 0, v[247:248]
	v_mov_b32_e32 v216, v245
	v_cndmask_b32_e32 v219, v248, v218, vcc_lo
	v_mov_b32_e32 v218, v247
	v_add_f64 v[216:217], v[216:217], v[218:219]
	v_cmp_lt_f64_e32 vcc_lo, v[214:215], v[216:217]
	v_cndmask_b32_e32 v231, v231, v246, vcc_lo
	v_cndmask_b32_e32 v230, v230, v245, vcc_lo
	;; [unrolled: 1-line block ×4, first 2 shown]
	v_cndmask_b32_e64 v238, v238, s0, vcc_lo
	s_add_i32 s0, s0, 1
	s_cmp_lg_u32 s8, s0
	s_cbranch_scc1 .LBB112_295
.LBB112_296:
	s_inst_prefetch 0x2
	s_waitcnt lgkmcnt(0)
	v_cmp_eq_f64_e32 vcc_lo, 0, v[230:231]
	v_cmp_eq_f64_e64 s0, 0, v[232:233]
	s_and_b32 s0, vcc_lo, s0
	s_and_saveexec_b32 s1, s0
	s_xor_b32 s0, exec_lo, s1
; %bb.297:
	v_cmp_ne_u32_e32 vcc_lo, 0, v243
	v_cndmask_b32_e32 v243, 15, v243, vcc_lo
; %bb.298:
	s_andn2_saveexec_b32 s0, s0
	s_cbranch_execz .LBB112_304
; %bb.299:
	v_cmp_ngt_f64_e64 s1, |v[230:231]|, |v[232:233]|
	s_and_saveexec_b32 s7, s1
	s_xor_b32 s1, exec_lo, s7
	s_cbranch_execz .LBB112_301
; %bb.300:
	v_div_scale_f64 v[214:215], null, v[232:233], v[232:233], v[230:231]
	v_div_scale_f64 v[220:221], vcc_lo, v[230:231], v[232:233], v[230:231]
	v_rcp_f64_e32 v[216:217], v[214:215]
	v_fma_f64 v[218:219], -v[214:215], v[216:217], 1.0
	v_fma_f64 v[216:217], v[216:217], v[218:219], v[216:217]
	v_fma_f64 v[218:219], -v[214:215], v[216:217], 1.0
	v_fma_f64 v[216:217], v[216:217], v[218:219], v[216:217]
	v_mul_f64 v[218:219], v[220:221], v[216:217]
	v_fma_f64 v[214:215], -v[214:215], v[218:219], v[220:221]
	v_div_fmas_f64 v[214:215], v[214:215], v[216:217], v[218:219]
	v_div_fixup_f64 v[214:215], v[214:215], v[232:233], v[230:231]
	v_fma_f64 v[216:217], v[230:231], v[214:215], v[232:233]
	v_div_scale_f64 v[218:219], null, v[216:217], v[216:217], 1.0
	v_rcp_f64_e32 v[220:221], v[218:219]
	v_fma_f64 v[222:223], -v[218:219], v[220:221], 1.0
	v_fma_f64 v[220:221], v[220:221], v[222:223], v[220:221]
	v_fma_f64 v[222:223], -v[218:219], v[220:221], 1.0
	v_fma_f64 v[220:221], v[220:221], v[222:223], v[220:221]
	v_div_scale_f64 v[222:223], vcc_lo, 1.0, v[216:217], 1.0
	v_mul_f64 v[224:225], v[222:223], v[220:221]
	v_fma_f64 v[218:219], -v[218:219], v[224:225], v[222:223]
	v_div_fmas_f64 v[218:219], v[218:219], v[220:221], v[224:225]
	v_div_fixup_f64 v[232:233], v[218:219], v[216:217], 1.0
	v_mul_f64 v[230:231], v[214:215], v[232:233]
	v_xor_b32_e32 v233, 0x80000000, v233
.LBB112_301:
	s_andn2_saveexec_b32 s1, s1
	s_cbranch_execz .LBB112_303
; %bb.302:
	v_div_scale_f64 v[214:215], null, v[230:231], v[230:231], v[232:233]
	v_div_scale_f64 v[220:221], vcc_lo, v[232:233], v[230:231], v[232:233]
	v_rcp_f64_e32 v[216:217], v[214:215]
	v_fma_f64 v[218:219], -v[214:215], v[216:217], 1.0
	v_fma_f64 v[216:217], v[216:217], v[218:219], v[216:217]
	v_fma_f64 v[218:219], -v[214:215], v[216:217], 1.0
	v_fma_f64 v[216:217], v[216:217], v[218:219], v[216:217]
	v_mul_f64 v[218:219], v[220:221], v[216:217]
	v_fma_f64 v[214:215], -v[214:215], v[218:219], v[220:221]
	v_div_fmas_f64 v[214:215], v[214:215], v[216:217], v[218:219]
	v_div_fixup_f64 v[214:215], v[214:215], v[230:231], v[232:233]
	v_fma_f64 v[216:217], v[232:233], v[214:215], v[230:231]
	v_div_scale_f64 v[218:219], null, v[216:217], v[216:217], 1.0
	v_rcp_f64_e32 v[220:221], v[218:219]
	v_fma_f64 v[222:223], -v[218:219], v[220:221], 1.0
	v_fma_f64 v[220:221], v[220:221], v[222:223], v[220:221]
	v_fma_f64 v[222:223], -v[218:219], v[220:221], 1.0
	v_fma_f64 v[220:221], v[220:221], v[222:223], v[220:221]
	v_div_scale_f64 v[222:223], vcc_lo, 1.0, v[216:217], 1.0
	v_mul_f64 v[224:225], v[222:223], v[220:221]
	v_fma_f64 v[218:219], -v[218:219], v[224:225], v[222:223]
	v_div_fmas_f64 v[218:219], v[218:219], v[220:221], v[224:225]
	v_div_fixup_f64 v[230:231], v[218:219], v[216:217], 1.0
	v_mul_f64 v[232:233], v[214:215], -v[230:231]
.LBB112_303:
	s_or_b32 exec_lo, exec_lo, s1
.LBB112_304:
	s_or_b32 exec_lo, exec_lo, s0
	s_mov_b32 s0, exec_lo
	v_cmpx_ne_u32_e64 v244, v238
	s_xor_b32 s0, exec_lo, s0
	s_cbranch_execz .LBB112_310
; %bb.305:
	s_mov_b32 s1, exec_lo
	v_cmpx_eq_u32_e32 14, v244
	s_cbranch_execz .LBB112_309
; %bb.306:
	v_cmp_ne_u32_e32 vcc_lo, 14, v238
	s_xor_b32 s7, s16, -1
	s_and_b32 s9, s7, vcc_lo
	s_and_saveexec_b32 s7, s9
	s_cbranch_execz .LBB112_308
; %bb.307:
	s_clause 0x1
	buffer_load_dword v210, off, s[20:23], 0
	buffer_load_dword v211, off, s[20:23], 0 offset:4
	v_ashrrev_i32_e32 v239, 31, v238
	v_lshlrev_b64 v[214:215], 2, v[238:239]
	s_waitcnt vmcnt(1)
	v_add_co_u32 v214, vcc_lo, v210, v214
	s_waitcnt vmcnt(0)
	v_add_co_ci_u32_e64 v215, null, v211, v215, vcc_lo
	s_clause 0x1
	global_load_dword v0, v[214:215], off
	global_load_dword v216, v[210:211], off offset:56
	s_waitcnt vmcnt(1)
	global_store_dword v[210:211], v0, off offset:56
	s_waitcnt vmcnt(0)
	global_store_dword v[214:215], v216, off
.LBB112_308:
	s_or_b32 exec_lo, exec_lo, s7
	v_mov_b32_e32 v244, v238
	v_mov_b32_e32 v0, v238
.LBB112_309:
	s_or_b32 exec_lo, exec_lo, s1
.LBB112_310:
	s_andn2_saveexec_b32 s0, s0
	s_cbranch_execz .LBB112_312
; %bb.311:
	v_mov_b32_e32 v244, 14
	ds_write2_b64 v1, v[166:167], v[168:169] offset0:30 offset1:31
	ds_write2_b64 v1, v[162:163], v[164:165] offset0:32 offset1:33
	ds_write2_b64 v1, v[158:159], v[160:161] offset0:34 offset1:35
	ds_write2_b64 v1, v[154:155], v[156:157] offset0:36 offset1:37
	ds_write2_b64 v1, v[150:151], v[152:153] offset0:38 offset1:39
	ds_write2_b64 v1, v[146:147], v[148:149] offset0:40 offset1:41
	ds_write2_b64 v1, v[142:143], v[144:145] offset0:42 offset1:43
	ds_write2_b64 v1, v[138:139], v[140:141] offset0:44 offset1:45
	ds_write2_b64 v1, v[134:135], v[136:137] offset0:46 offset1:47
	ds_write2_b64 v1, v[130:131], v[132:133] offset0:48 offset1:49
	ds_write2_b64 v1, v[126:127], v[128:129] offset0:50 offset1:51
	ds_write2_b64 v1, v[122:123], v[124:125] offset0:52 offset1:53
	ds_write2_b64 v1, v[118:119], v[120:121] offset0:54 offset1:55
	ds_write2_b64 v1, v[114:115], v[116:117] offset0:56 offset1:57
	ds_write2_b64 v1, v[110:111], v[112:113] offset0:58 offset1:59
	ds_write2_b64 v1, v[106:107], v[108:109] offset0:60 offset1:61
	ds_write2_b64 v1, v[102:103], v[104:105] offset0:62 offset1:63
	ds_write2_b64 v1, v[98:99], v[100:101] offset0:64 offset1:65
	ds_write2_b64 v1, v[94:95], v[96:97] offset0:66 offset1:67
	ds_write2_b64 v1, v[90:91], v[92:93] offset0:68 offset1:69
	ds_write2_b64 v1, v[86:87], v[88:89] offset0:70 offset1:71
	ds_write2_b64 v1, v[82:83], v[84:85] offset0:72 offset1:73
	ds_write2_b64 v1, v[78:79], v[80:81] offset0:74 offset1:75
	ds_write2_b64 v1, v[74:75], v[76:77] offset0:76 offset1:77
	ds_write2_b64 v1, v[70:71], v[72:73] offset0:78 offset1:79
	ds_write2_b64 v1, v[66:67], v[68:69] offset0:80 offset1:81
	ds_write2_b64 v1, v[62:63], v[64:65] offset0:82 offset1:83
	ds_write2_b64 v1, v[58:59], v[60:61] offset0:84 offset1:85
	ds_write2_b64 v1, v[54:55], v[56:57] offset0:86 offset1:87
	ds_write2_b64 v1, v[50:51], v[52:53] offset0:88 offset1:89
	ds_write2_b64 v1, v[46:47], v[48:49] offset0:90 offset1:91
	ds_write2_b64 v1, v[42:43], v[44:45] offset0:92 offset1:93
	ds_write2_b64 v1, v[38:39], v[40:41] offset0:94 offset1:95
	ds_write2_b64 v1, v[34:35], v[36:37] offset0:96 offset1:97
	ds_write2_b64 v1, v[30:31], v[32:33] offset0:98 offset1:99
	ds_write2_b64 v1, v[26:27], v[28:29] offset0:100 offset1:101
	ds_write2_b64 v1, v[22:23], v[24:25] offset0:102 offset1:103
	ds_write2_b64 v1, v[18:19], v[20:21] offset0:104 offset1:105
	ds_write2_b64 v1, v[14:15], v[16:17] offset0:106 offset1:107
	ds_write2_b64 v1, v[10:11], v[12:13] offset0:108 offset1:109
	ds_write2_b64 v1, v[6:7], v[8:9] offset0:110 offset1:111
	ds_write2_b64 v1, v[250:251], v[252:253] offset0:112 offset1:113
.LBB112_312:
	s_or_b32 exec_lo, exec_lo, s0
	s_mov_b32 s0, exec_lo
	s_waitcnt lgkmcnt(0)
	s_waitcnt_vscnt null, 0x0
	s_barrier
	buffer_gl0_inv
	v_cmpx_lt_i32_e32 14, v244
	s_cbranch_execz .LBB112_314
; %bb.313:
	v_mul_f64 v[214:215], v[232:233], v[172:173]
	v_mul_f64 v[172:173], v[230:231], v[172:173]
	v_fma_f64 v[238:239], v[230:231], v[170:171], -v[214:215]
	v_fma_f64 v[172:173], v[232:233], v[170:171], v[172:173]
	ds_read2_b64 v[230:233], v1 offset0:30 offset1:31
	s_waitcnt lgkmcnt(0)
	v_mul_f64 v[170:171], v[232:233], v[172:173]
	v_mul_f64 v[214:215], v[230:231], v[172:173]
	v_fma_f64 v[170:171], v[230:231], v[238:239], -v[170:171]
	v_fma_f64 v[214:215], v[232:233], v[238:239], v[214:215]
	ds_read2_b64 v[230:233], v1 offset0:32 offset1:33
	v_add_f64 v[166:167], v[166:167], -v[170:171]
	v_add_f64 v[168:169], v[168:169], -v[214:215]
	s_waitcnt lgkmcnt(0)
	v_mul_f64 v[170:171], v[232:233], v[172:173]
	v_mul_f64 v[214:215], v[230:231], v[172:173]
	v_fma_f64 v[170:171], v[230:231], v[238:239], -v[170:171]
	v_fma_f64 v[214:215], v[232:233], v[238:239], v[214:215]
	ds_read2_b64 v[230:233], v1 offset0:34 offset1:35
	v_add_f64 v[162:163], v[162:163], -v[170:171]
	v_add_f64 v[164:165], v[164:165], -v[214:215]
	;; [unrolled: 8-line block ×41, first 2 shown]
	s_waitcnt lgkmcnt(0)
	v_mul_f64 v[170:171], v[232:233], v[172:173]
	v_mul_f64 v[214:215], v[230:231], v[172:173]
	v_fma_f64 v[170:171], v[230:231], v[238:239], -v[170:171]
	v_fma_f64 v[214:215], v[232:233], v[238:239], v[214:215]
	v_add_f64 v[250:251], v[250:251], -v[170:171]
	v_add_f64 v[252:253], v[252:253], -v[214:215]
	v_mov_b32_e32 v170, v238
	v_mov_b32_e32 v171, v239
.LBB112_314:
	s_or_b32 exec_lo, exec_lo, s0
	v_lshl_add_u32 v214, v244, 4, v1
	s_barrier
	buffer_gl0_inv
	v_mov_b32_e32 v238, 15
	ds_write2_b64 v214, v[166:167], v[168:169] offset1:1
	s_waitcnt lgkmcnt(0)
	s_barrier
	buffer_gl0_inv
	ds_read2_b64 v[230:233], v1 offset0:30 offset1:31
	s_cmp_lt_i32 s8, 17
	s_cbranch_scc1 .LBB112_317
; %bb.315:
	v_add3_u32 v239, v228, 0, 0x100
	v_mov_b32_e32 v238, 15
	s_mov_b32 s0, 16
	s_inst_prefetch 0x1
	.p2align	6
.LBB112_316:                            ; =>This Inner Loop Header: Depth=1
	s_waitcnt lgkmcnt(0)
	v_cmp_gt_f64_e32 vcc_lo, 0, v[230:231]
	v_xor_b32_e32 v214, 0x80000000, v231
	ds_read2_b64 v[245:248], v239 offset1:1
	v_xor_b32_e32 v216, 0x80000000, v233
	v_add_nc_u32_e32 v239, 16, v239
	s_waitcnt lgkmcnt(0)
	v_xor_b32_e32 v218, 0x80000000, v248
	v_cndmask_b32_e32 v215, v231, v214, vcc_lo
	v_cmp_gt_f64_e32 vcc_lo, 0, v[232:233]
	v_mov_b32_e32 v214, v230
	v_cndmask_b32_e32 v217, v233, v216, vcc_lo
	v_cmp_gt_f64_e32 vcc_lo, 0, v[245:246]
	v_mov_b32_e32 v216, v232
	v_add_f64 v[214:215], v[214:215], v[216:217]
	v_xor_b32_e32 v216, 0x80000000, v246
	v_cndmask_b32_e32 v217, v246, v216, vcc_lo
	v_cmp_gt_f64_e32 vcc_lo, 0, v[247:248]
	v_mov_b32_e32 v216, v245
	v_cndmask_b32_e32 v219, v248, v218, vcc_lo
	v_mov_b32_e32 v218, v247
	v_add_f64 v[216:217], v[216:217], v[218:219]
	v_cmp_lt_f64_e32 vcc_lo, v[214:215], v[216:217]
	v_cndmask_b32_e32 v231, v231, v246, vcc_lo
	v_cndmask_b32_e32 v230, v230, v245, vcc_lo
	;; [unrolled: 1-line block ×4, first 2 shown]
	v_cndmask_b32_e64 v238, v238, s0, vcc_lo
	s_add_i32 s0, s0, 1
	s_cmp_lg_u32 s8, s0
	s_cbranch_scc1 .LBB112_316
.LBB112_317:
	s_inst_prefetch 0x2
	s_waitcnt lgkmcnt(0)
	v_cmp_eq_f64_e32 vcc_lo, 0, v[230:231]
	v_cmp_eq_f64_e64 s0, 0, v[232:233]
	s_and_b32 s0, vcc_lo, s0
	s_and_saveexec_b32 s1, s0
	s_xor_b32 s0, exec_lo, s1
; %bb.318:
	v_cmp_ne_u32_e32 vcc_lo, 0, v243
	v_cndmask_b32_e32 v243, 16, v243, vcc_lo
; %bb.319:
	s_andn2_saveexec_b32 s0, s0
	s_cbranch_execz .LBB112_325
; %bb.320:
	v_cmp_ngt_f64_e64 s1, |v[230:231]|, |v[232:233]|
	s_and_saveexec_b32 s7, s1
	s_xor_b32 s1, exec_lo, s7
	s_cbranch_execz .LBB112_322
; %bb.321:
	v_div_scale_f64 v[214:215], null, v[232:233], v[232:233], v[230:231]
	v_div_scale_f64 v[220:221], vcc_lo, v[230:231], v[232:233], v[230:231]
	v_rcp_f64_e32 v[216:217], v[214:215]
	v_fma_f64 v[218:219], -v[214:215], v[216:217], 1.0
	v_fma_f64 v[216:217], v[216:217], v[218:219], v[216:217]
	v_fma_f64 v[218:219], -v[214:215], v[216:217], 1.0
	v_fma_f64 v[216:217], v[216:217], v[218:219], v[216:217]
	v_mul_f64 v[218:219], v[220:221], v[216:217]
	v_fma_f64 v[214:215], -v[214:215], v[218:219], v[220:221]
	v_div_fmas_f64 v[214:215], v[214:215], v[216:217], v[218:219]
	v_div_fixup_f64 v[214:215], v[214:215], v[232:233], v[230:231]
	v_fma_f64 v[216:217], v[230:231], v[214:215], v[232:233]
	v_div_scale_f64 v[218:219], null, v[216:217], v[216:217], 1.0
	v_rcp_f64_e32 v[220:221], v[218:219]
	v_fma_f64 v[222:223], -v[218:219], v[220:221], 1.0
	v_fma_f64 v[220:221], v[220:221], v[222:223], v[220:221]
	v_fma_f64 v[222:223], -v[218:219], v[220:221], 1.0
	v_fma_f64 v[220:221], v[220:221], v[222:223], v[220:221]
	v_div_scale_f64 v[222:223], vcc_lo, 1.0, v[216:217], 1.0
	v_mul_f64 v[224:225], v[222:223], v[220:221]
	v_fma_f64 v[218:219], -v[218:219], v[224:225], v[222:223]
	v_div_fmas_f64 v[218:219], v[218:219], v[220:221], v[224:225]
	v_div_fixup_f64 v[232:233], v[218:219], v[216:217], 1.0
	v_mul_f64 v[230:231], v[214:215], v[232:233]
	v_xor_b32_e32 v233, 0x80000000, v233
.LBB112_322:
	s_andn2_saveexec_b32 s1, s1
	s_cbranch_execz .LBB112_324
; %bb.323:
	v_div_scale_f64 v[214:215], null, v[230:231], v[230:231], v[232:233]
	v_div_scale_f64 v[220:221], vcc_lo, v[232:233], v[230:231], v[232:233]
	v_rcp_f64_e32 v[216:217], v[214:215]
	v_fma_f64 v[218:219], -v[214:215], v[216:217], 1.0
	v_fma_f64 v[216:217], v[216:217], v[218:219], v[216:217]
	v_fma_f64 v[218:219], -v[214:215], v[216:217], 1.0
	v_fma_f64 v[216:217], v[216:217], v[218:219], v[216:217]
	v_mul_f64 v[218:219], v[220:221], v[216:217]
	v_fma_f64 v[214:215], -v[214:215], v[218:219], v[220:221]
	v_div_fmas_f64 v[214:215], v[214:215], v[216:217], v[218:219]
	v_div_fixup_f64 v[214:215], v[214:215], v[230:231], v[232:233]
	v_fma_f64 v[216:217], v[232:233], v[214:215], v[230:231]
	v_div_scale_f64 v[218:219], null, v[216:217], v[216:217], 1.0
	v_rcp_f64_e32 v[220:221], v[218:219]
	v_fma_f64 v[222:223], -v[218:219], v[220:221], 1.0
	v_fma_f64 v[220:221], v[220:221], v[222:223], v[220:221]
	v_fma_f64 v[222:223], -v[218:219], v[220:221], 1.0
	v_fma_f64 v[220:221], v[220:221], v[222:223], v[220:221]
	v_div_scale_f64 v[222:223], vcc_lo, 1.0, v[216:217], 1.0
	v_mul_f64 v[224:225], v[222:223], v[220:221]
	v_fma_f64 v[218:219], -v[218:219], v[224:225], v[222:223]
	v_div_fmas_f64 v[218:219], v[218:219], v[220:221], v[224:225]
	v_div_fixup_f64 v[230:231], v[218:219], v[216:217], 1.0
	v_mul_f64 v[232:233], v[214:215], -v[230:231]
.LBB112_324:
	s_or_b32 exec_lo, exec_lo, s1
.LBB112_325:
	s_or_b32 exec_lo, exec_lo, s0
	s_mov_b32 s0, exec_lo
	v_cmpx_ne_u32_e64 v244, v238
	s_xor_b32 s0, exec_lo, s0
	s_cbranch_execz .LBB112_331
; %bb.326:
	s_mov_b32 s1, exec_lo
	v_cmpx_eq_u32_e32 15, v244
	s_cbranch_execz .LBB112_330
; %bb.327:
	v_cmp_ne_u32_e32 vcc_lo, 15, v238
	s_xor_b32 s7, s16, -1
	s_and_b32 s9, s7, vcc_lo
	s_and_saveexec_b32 s7, s9
	s_cbranch_execz .LBB112_329
; %bb.328:
	s_clause 0x1
	buffer_load_dword v210, off, s[20:23], 0
	buffer_load_dword v211, off, s[20:23], 0 offset:4
	v_ashrrev_i32_e32 v239, 31, v238
	v_lshlrev_b64 v[214:215], 2, v[238:239]
	s_waitcnt vmcnt(1)
	v_add_co_u32 v214, vcc_lo, v210, v214
	s_waitcnt vmcnt(0)
	v_add_co_ci_u32_e64 v215, null, v211, v215, vcc_lo
	s_clause 0x1
	global_load_dword v0, v[214:215], off
	global_load_dword v216, v[210:211], off offset:60
	s_waitcnt vmcnt(1)
	global_store_dword v[210:211], v0, off offset:60
	s_waitcnt vmcnt(0)
	global_store_dword v[214:215], v216, off
.LBB112_329:
	s_or_b32 exec_lo, exec_lo, s7
	v_mov_b32_e32 v244, v238
	v_mov_b32_e32 v0, v238
.LBB112_330:
	s_or_b32 exec_lo, exec_lo, s1
.LBB112_331:
	s_andn2_saveexec_b32 s0, s0
	s_cbranch_execz .LBB112_333
; %bb.332:
	v_mov_b32_e32 v244, 15
	ds_write2_b64 v1, v[162:163], v[164:165] offset0:32 offset1:33
	ds_write2_b64 v1, v[158:159], v[160:161] offset0:34 offset1:35
	;; [unrolled: 1-line block ×41, first 2 shown]
.LBB112_333:
	s_or_b32 exec_lo, exec_lo, s0
	s_mov_b32 s0, exec_lo
	s_waitcnt lgkmcnt(0)
	s_waitcnt_vscnt null, 0x0
	s_barrier
	buffer_gl0_inv
	v_cmpx_lt_i32_e32 15, v244
	s_cbranch_execz .LBB112_335
; %bb.334:
	v_mul_f64 v[214:215], v[232:233], v[168:169]
	v_mul_f64 v[168:169], v[230:231], v[168:169]
	v_fma_f64 v[238:239], v[230:231], v[166:167], -v[214:215]
	v_fma_f64 v[168:169], v[232:233], v[166:167], v[168:169]
	ds_read2_b64 v[230:233], v1 offset0:32 offset1:33
	s_waitcnt lgkmcnt(0)
	v_mul_f64 v[166:167], v[232:233], v[168:169]
	v_mul_f64 v[214:215], v[230:231], v[168:169]
	v_fma_f64 v[166:167], v[230:231], v[238:239], -v[166:167]
	v_fma_f64 v[214:215], v[232:233], v[238:239], v[214:215]
	ds_read2_b64 v[230:233], v1 offset0:34 offset1:35
	v_add_f64 v[162:163], v[162:163], -v[166:167]
	v_add_f64 v[164:165], v[164:165], -v[214:215]
	s_waitcnt lgkmcnt(0)
	v_mul_f64 v[166:167], v[232:233], v[168:169]
	v_mul_f64 v[214:215], v[230:231], v[168:169]
	v_fma_f64 v[166:167], v[230:231], v[238:239], -v[166:167]
	v_fma_f64 v[214:215], v[232:233], v[238:239], v[214:215]
	ds_read2_b64 v[230:233], v1 offset0:36 offset1:37
	v_add_f64 v[158:159], v[158:159], -v[166:167]
	v_add_f64 v[160:161], v[160:161], -v[214:215]
	;; [unrolled: 8-line block ×40, first 2 shown]
	s_waitcnt lgkmcnt(0)
	v_mul_f64 v[166:167], v[232:233], v[168:169]
	v_mul_f64 v[214:215], v[230:231], v[168:169]
	v_fma_f64 v[166:167], v[230:231], v[238:239], -v[166:167]
	v_fma_f64 v[214:215], v[232:233], v[238:239], v[214:215]
	v_add_f64 v[250:251], v[250:251], -v[166:167]
	v_add_f64 v[252:253], v[252:253], -v[214:215]
	v_mov_b32_e32 v166, v238
	v_mov_b32_e32 v167, v239
.LBB112_335:
	s_or_b32 exec_lo, exec_lo, s0
	v_lshl_add_u32 v214, v244, 4, v1
	s_barrier
	buffer_gl0_inv
	v_mov_b32_e32 v238, 16
	ds_write2_b64 v214, v[162:163], v[164:165] offset1:1
	s_waitcnt lgkmcnt(0)
	s_barrier
	buffer_gl0_inv
	ds_read2_b64 v[230:233], v1 offset0:32 offset1:33
	s_cmp_lt_i32 s8, 18
	s_cbranch_scc1 .LBB112_338
; %bb.336:
	v_add3_u32 v239, v228, 0, 0x110
	v_mov_b32_e32 v238, 16
	s_mov_b32 s0, 17
	s_inst_prefetch 0x1
	.p2align	6
.LBB112_337:                            ; =>This Inner Loop Header: Depth=1
	s_waitcnt lgkmcnt(0)
	v_cmp_gt_f64_e32 vcc_lo, 0, v[230:231]
	v_xor_b32_e32 v214, 0x80000000, v231
	ds_read2_b64 v[245:248], v239 offset1:1
	v_xor_b32_e32 v216, 0x80000000, v233
	v_add_nc_u32_e32 v239, 16, v239
	s_waitcnt lgkmcnt(0)
	v_xor_b32_e32 v218, 0x80000000, v248
	v_cndmask_b32_e32 v215, v231, v214, vcc_lo
	v_cmp_gt_f64_e32 vcc_lo, 0, v[232:233]
	v_mov_b32_e32 v214, v230
	v_cndmask_b32_e32 v217, v233, v216, vcc_lo
	v_cmp_gt_f64_e32 vcc_lo, 0, v[245:246]
	v_mov_b32_e32 v216, v232
	v_add_f64 v[214:215], v[214:215], v[216:217]
	v_xor_b32_e32 v216, 0x80000000, v246
	v_cndmask_b32_e32 v217, v246, v216, vcc_lo
	v_cmp_gt_f64_e32 vcc_lo, 0, v[247:248]
	v_mov_b32_e32 v216, v245
	v_cndmask_b32_e32 v219, v248, v218, vcc_lo
	v_mov_b32_e32 v218, v247
	v_add_f64 v[216:217], v[216:217], v[218:219]
	v_cmp_lt_f64_e32 vcc_lo, v[214:215], v[216:217]
	v_cndmask_b32_e32 v231, v231, v246, vcc_lo
	v_cndmask_b32_e32 v230, v230, v245, vcc_lo
	v_cndmask_b32_e32 v233, v233, v248, vcc_lo
	v_cndmask_b32_e32 v232, v232, v247, vcc_lo
	v_cndmask_b32_e64 v238, v238, s0, vcc_lo
	s_add_i32 s0, s0, 1
	s_cmp_lg_u32 s8, s0
	s_cbranch_scc1 .LBB112_337
.LBB112_338:
	s_inst_prefetch 0x2
	s_waitcnt lgkmcnt(0)
	v_cmp_eq_f64_e32 vcc_lo, 0, v[230:231]
	v_cmp_eq_f64_e64 s0, 0, v[232:233]
	s_and_b32 s0, vcc_lo, s0
	s_and_saveexec_b32 s1, s0
	s_xor_b32 s0, exec_lo, s1
; %bb.339:
	v_cmp_ne_u32_e32 vcc_lo, 0, v243
	v_cndmask_b32_e32 v243, 17, v243, vcc_lo
; %bb.340:
	s_andn2_saveexec_b32 s0, s0
	s_cbranch_execz .LBB112_346
; %bb.341:
	v_cmp_ngt_f64_e64 s1, |v[230:231]|, |v[232:233]|
	s_and_saveexec_b32 s7, s1
	s_xor_b32 s1, exec_lo, s7
	s_cbranch_execz .LBB112_343
; %bb.342:
	v_div_scale_f64 v[214:215], null, v[232:233], v[232:233], v[230:231]
	v_div_scale_f64 v[220:221], vcc_lo, v[230:231], v[232:233], v[230:231]
	v_rcp_f64_e32 v[216:217], v[214:215]
	v_fma_f64 v[218:219], -v[214:215], v[216:217], 1.0
	v_fma_f64 v[216:217], v[216:217], v[218:219], v[216:217]
	v_fma_f64 v[218:219], -v[214:215], v[216:217], 1.0
	v_fma_f64 v[216:217], v[216:217], v[218:219], v[216:217]
	v_mul_f64 v[218:219], v[220:221], v[216:217]
	v_fma_f64 v[214:215], -v[214:215], v[218:219], v[220:221]
	v_div_fmas_f64 v[214:215], v[214:215], v[216:217], v[218:219]
	v_div_fixup_f64 v[214:215], v[214:215], v[232:233], v[230:231]
	v_fma_f64 v[216:217], v[230:231], v[214:215], v[232:233]
	v_div_scale_f64 v[218:219], null, v[216:217], v[216:217], 1.0
	v_rcp_f64_e32 v[220:221], v[218:219]
	v_fma_f64 v[222:223], -v[218:219], v[220:221], 1.0
	v_fma_f64 v[220:221], v[220:221], v[222:223], v[220:221]
	v_fma_f64 v[222:223], -v[218:219], v[220:221], 1.0
	v_fma_f64 v[220:221], v[220:221], v[222:223], v[220:221]
	v_div_scale_f64 v[222:223], vcc_lo, 1.0, v[216:217], 1.0
	v_mul_f64 v[224:225], v[222:223], v[220:221]
	v_fma_f64 v[218:219], -v[218:219], v[224:225], v[222:223]
	v_div_fmas_f64 v[218:219], v[218:219], v[220:221], v[224:225]
	v_div_fixup_f64 v[232:233], v[218:219], v[216:217], 1.0
	v_mul_f64 v[230:231], v[214:215], v[232:233]
	v_xor_b32_e32 v233, 0x80000000, v233
.LBB112_343:
	s_andn2_saveexec_b32 s1, s1
	s_cbranch_execz .LBB112_345
; %bb.344:
	v_div_scale_f64 v[214:215], null, v[230:231], v[230:231], v[232:233]
	v_div_scale_f64 v[220:221], vcc_lo, v[232:233], v[230:231], v[232:233]
	v_rcp_f64_e32 v[216:217], v[214:215]
	v_fma_f64 v[218:219], -v[214:215], v[216:217], 1.0
	v_fma_f64 v[216:217], v[216:217], v[218:219], v[216:217]
	v_fma_f64 v[218:219], -v[214:215], v[216:217], 1.0
	v_fma_f64 v[216:217], v[216:217], v[218:219], v[216:217]
	v_mul_f64 v[218:219], v[220:221], v[216:217]
	v_fma_f64 v[214:215], -v[214:215], v[218:219], v[220:221]
	v_div_fmas_f64 v[214:215], v[214:215], v[216:217], v[218:219]
	v_div_fixup_f64 v[214:215], v[214:215], v[230:231], v[232:233]
	v_fma_f64 v[216:217], v[232:233], v[214:215], v[230:231]
	v_div_scale_f64 v[218:219], null, v[216:217], v[216:217], 1.0
	v_rcp_f64_e32 v[220:221], v[218:219]
	v_fma_f64 v[222:223], -v[218:219], v[220:221], 1.0
	v_fma_f64 v[220:221], v[220:221], v[222:223], v[220:221]
	v_fma_f64 v[222:223], -v[218:219], v[220:221], 1.0
	v_fma_f64 v[220:221], v[220:221], v[222:223], v[220:221]
	v_div_scale_f64 v[222:223], vcc_lo, 1.0, v[216:217], 1.0
	v_mul_f64 v[224:225], v[222:223], v[220:221]
	v_fma_f64 v[218:219], -v[218:219], v[224:225], v[222:223]
	v_div_fmas_f64 v[218:219], v[218:219], v[220:221], v[224:225]
	v_div_fixup_f64 v[230:231], v[218:219], v[216:217], 1.0
	v_mul_f64 v[232:233], v[214:215], -v[230:231]
.LBB112_345:
	s_or_b32 exec_lo, exec_lo, s1
.LBB112_346:
	s_or_b32 exec_lo, exec_lo, s0
	s_mov_b32 s0, exec_lo
	v_cmpx_ne_u32_e64 v244, v238
	s_xor_b32 s0, exec_lo, s0
	s_cbranch_execz .LBB112_352
; %bb.347:
	s_mov_b32 s1, exec_lo
	v_cmpx_eq_u32_e32 16, v244
	s_cbranch_execz .LBB112_351
; %bb.348:
	v_cmp_ne_u32_e32 vcc_lo, 16, v238
	s_xor_b32 s7, s16, -1
	s_and_b32 s9, s7, vcc_lo
	s_and_saveexec_b32 s7, s9
	s_cbranch_execz .LBB112_350
; %bb.349:
	s_clause 0x1
	buffer_load_dword v210, off, s[20:23], 0
	buffer_load_dword v211, off, s[20:23], 0 offset:4
	v_ashrrev_i32_e32 v239, 31, v238
	v_lshlrev_b64 v[214:215], 2, v[238:239]
	s_waitcnt vmcnt(1)
	v_add_co_u32 v214, vcc_lo, v210, v214
	s_waitcnt vmcnt(0)
	v_add_co_ci_u32_e64 v215, null, v211, v215, vcc_lo
	s_clause 0x1
	global_load_dword v0, v[214:215], off
	global_load_dword v216, v[210:211], off offset:64
	s_waitcnt vmcnt(1)
	global_store_dword v[210:211], v0, off offset:64
	s_waitcnt vmcnt(0)
	global_store_dword v[214:215], v216, off
.LBB112_350:
	s_or_b32 exec_lo, exec_lo, s7
	v_mov_b32_e32 v244, v238
	v_mov_b32_e32 v0, v238
.LBB112_351:
	s_or_b32 exec_lo, exec_lo, s1
.LBB112_352:
	s_andn2_saveexec_b32 s0, s0
	s_cbranch_execz .LBB112_354
; %bb.353:
	v_mov_b32_e32 v244, 16
	ds_write2_b64 v1, v[158:159], v[160:161] offset0:34 offset1:35
	ds_write2_b64 v1, v[154:155], v[156:157] offset0:36 offset1:37
	;; [unrolled: 1-line block ×40, first 2 shown]
.LBB112_354:
	s_or_b32 exec_lo, exec_lo, s0
	s_mov_b32 s0, exec_lo
	s_waitcnt lgkmcnt(0)
	s_waitcnt_vscnt null, 0x0
	s_barrier
	buffer_gl0_inv
	v_cmpx_lt_i32_e32 16, v244
	s_cbranch_execz .LBB112_356
; %bb.355:
	v_mul_f64 v[214:215], v[232:233], v[164:165]
	v_mul_f64 v[164:165], v[230:231], v[164:165]
	v_fma_f64 v[238:239], v[230:231], v[162:163], -v[214:215]
	v_fma_f64 v[164:165], v[232:233], v[162:163], v[164:165]
	ds_read2_b64 v[230:233], v1 offset0:34 offset1:35
	s_waitcnt lgkmcnt(0)
	v_mul_f64 v[162:163], v[232:233], v[164:165]
	v_mul_f64 v[214:215], v[230:231], v[164:165]
	v_fma_f64 v[162:163], v[230:231], v[238:239], -v[162:163]
	v_fma_f64 v[214:215], v[232:233], v[238:239], v[214:215]
	ds_read2_b64 v[230:233], v1 offset0:36 offset1:37
	v_add_f64 v[158:159], v[158:159], -v[162:163]
	v_add_f64 v[160:161], v[160:161], -v[214:215]
	s_waitcnt lgkmcnt(0)
	v_mul_f64 v[162:163], v[232:233], v[164:165]
	v_mul_f64 v[214:215], v[230:231], v[164:165]
	v_fma_f64 v[162:163], v[230:231], v[238:239], -v[162:163]
	v_fma_f64 v[214:215], v[232:233], v[238:239], v[214:215]
	ds_read2_b64 v[230:233], v1 offset0:38 offset1:39
	v_add_f64 v[154:155], v[154:155], -v[162:163]
	v_add_f64 v[156:157], v[156:157], -v[214:215]
	;; [unrolled: 8-line block ×39, first 2 shown]
	s_waitcnt lgkmcnt(0)
	v_mul_f64 v[162:163], v[232:233], v[164:165]
	v_mul_f64 v[214:215], v[230:231], v[164:165]
	v_fma_f64 v[162:163], v[230:231], v[238:239], -v[162:163]
	v_fma_f64 v[214:215], v[232:233], v[238:239], v[214:215]
	v_add_f64 v[250:251], v[250:251], -v[162:163]
	v_add_f64 v[252:253], v[252:253], -v[214:215]
	v_mov_b32_e32 v162, v238
	v_mov_b32_e32 v163, v239
.LBB112_356:
	s_or_b32 exec_lo, exec_lo, s0
	v_lshl_add_u32 v214, v244, 4, v1
	s_barrier
	buffer_gl0_inv
	v_mov_b32_e32 v238, 17
	ds_write2_b64 v214, v[158:159], v[160:161] offset1:1
	s_waitcnt lgkmcnt(0)
	s_barrier
	buffer_gl0_inv
	ds_read2_b64 v[230:233], v1 offset0:34 offset1:35
	s_cmp_lt_i32 s8, 19
	s_cbranch_scc1 .LBB112_359
; %bb.357:
	v_add3_u32 v239, v228, 0, 0x120
	v_mov_b32_e32 v238, 17
	s_mov_b32 s0, 18
	s_inst_prefetch 0x1
	.p2align	6
.LBB112_358:                            ; =>This Inner Loop Header: Depth=1
	s_waitcnt lgkmcnt(0)
	v_cmp_gt_f64_e32 vcc_lo, 0, v[230:231]
	v_xor_b32_e32 v214, 0x80000000, v231
	ds_read2_b64 v[245:248], v239 offset1:1
	v_xor_b32_e32 v216, 0x80000000, v233
	v_add_nc_u32_e32 v239, 16, v239
	s_waitcnt lgkmcnt(0)
	v_xor_b32_e32 v218, 0x80000000, v248
	v_cndmask_b32_e32 v215, v231, v214, vcc_lo
	v_cmp_gt_f64_e32 vcc_lo, 0, v[232:233]
	v_mov_b32_e32 v214, v230
	v_cndmask_b32_e32 v217, v233, v216, vcc_lo
	v_cmp_gt_f64_e32 vcc_lo, 0, v[245:246]
	v_mov_b32_e32 v216, v232
	v_add_f64 v[214:215], v[214:215], v[216:217]
	v_xor_b32_e32 v216, 0x80000000, v246
	v_cndmask_b32_e32 v217, v246, v216, vcc_lo
	v_cmp_gt_f64_e32 vcc_lo, 0, v[247:248]
	v_mov_b32_e32 v216, v245
	v_cndmask_b32_e32 v219, v248, v218, vcc_lo
	v_mov_b32_e32 v218, v247
	v_add_f64 v[216:217], v[216:217], v[218:219]
	v_cmp_lt_f64_e32 vcc_lo, v[214:215], v[216:217]
	v_cndmask_b32_e32 v231, v231, v246, vcc_lo
	v_cndmask_b32_e32 v230, v230, v245, vcc_lo
	;; [unrolled: 1-line block ×4, first 2 shown]
	v_cndmask_b32_e64 v238, v238, s0, vcc_lo
	s_add_i32 s0, s0, 1
	s_cmp_lg_u32 s8, s0
	s_cbranch_scc1 .LBB112_358
.LBB112_359:
	s_inst_prefetch 0x2
	s_waitcnt lgkmcnt(0)
	v_cmp_eq_f64_e32 vcc_lo, 0, v[230:231]
	v_cmp_eq_f64_e64 s0, 0, v[232:233]
	s_and_b32 s0, vcc_lo, s0
	s_and_saveexec_b32 s1, s0
	s_xor_b32 s0, exec_lo, s1
; %bb.360:
	v_cmp_ne_u32_e32 vcc_lo, 0, v243
	v_cndmask_b32_e32 v243, 18, v243, vcc_lo
; %bb.361:
	s_andn2_saveexec_b32 s0, s0
	s_cbranch_execz .LBB112_367
; %bb.362:
	v_cmp_ngt_f64_e64 s1, |v[230:231]|, |v[232:233]|
	s_and_saveexec_b32 s7, s1
	s_xor_b32 s1, exec_lo, s7
	s_cbranch_execz .LBB112_364
; %bb.363:
	v_div_scale_f64 v[214:215], null, v[232:233], v[232:233], v[230:231]
	v_div_scale_f64 v[220:221], vcc_lo, v[230:231], v[232:233], v[230:231]
	v_rcp_f64_e32 v[216:217], v[214:215]
	v_fma_f64 v[218:219], -v[214:215], v[216:217], 1.0
	v_fma_f64 v[216:217], v[216:217], v[218:219], v[216:217]
	v_fma_f64 v[218:219], -v[214:215], v[216:217], 1.0
	v_fma_f64 v[216:217], v[216:217], v[218:219], v[216:217]
	v_mul_f64 v[218:219], v[220:221], v[216:217]
	v_fma_f64 v[214:215], -v[214:215], v[218:219], v[220:221]
	v_div_fmas_f64 v[214:215], v[214:215], v[216:217], v[218:219]
	v_div_fixup_f64 v[214:215], v[214:215], v[232:233], v[230:231]
	v_fma_f64 v[216:217], v[230:231], v[214:215], v[232:233]
	v_div_scale_f64 v[218:219], null, v[216:217], v[216:217], 1.0
	v_rcp_f64_e32 v[220:221], v[218:219]
	v_fma_f64 v[222:223], -v[218:219], v[220:221], 1.0
	v_fma_f64 v[220:221], v[220:221], v[222:223], v[220:221]
	v_fma_f64 v[222:223], -v[218:219], v[220:221], 1.0
	v_fma_f64 v[220:221], v[220:221], v[222:223], v[220:221]
	v_div_scale_f64 v[222:223], vcc_lo, 1.0, v[216:217], 1.0
	v_mul_f64 v[224:225], v[222:223], v[220:221]
	v_fma_f64 v[218:219], -v[218:219], v[224:225], v[222:223]
	v_div_fmas_f64 v[218:219], v[218:219], v[220:221], v[224:225]
	v_div_fixup_f64 v[232:233], v[218:219], v[216:217], 1.0
	v_mul_f64 v[230:231], v[214:215], v[232:233]
	v_xor_b32_e32 v233, 0x80000000, v233
.LBB112_364:
	s_andn2_saveexec_b32 s1, s1
	s_cbranch_execz .LBB112_366
; %bb.365:
	v_div_scale_f64 v[214:215], null, v[230:231], v[230:231], v[232:233]
	v_div_scale_f64 v[220:221], vcc_lo, v[232:233], v[230:231], v[232:233]
	v_rcp_f64_e32 v[216:217], v[214:215]
	v_fma_f64 v[218:219], -v[214:215], v[216:217], 1.0
	v_fma_f64 v[216:217], v[216:217], v[218:219], v[216:217]
	v_fma_f64 v[218:219], -v[214:215], v[216:217], 1.0
	v_fma_f64 v[216:217], v[216:217], v[218:219], v[216:217]
	v_mul_f64 v[218:219], v[220:221], v[216:217]
	v_fma_f64 v[214:215], -v[214:215], v[218:219], v[220:221]
	v_div_fmas_f64 v[214:215], v[214:215], v[216:217], v[218:219]
	v_div_fixup_f64 v[214:215], v[214:215], v[230:231], v[232:233]
	v_fma_f64 v[216:217], v[232:233], v[214:215], v[230:231]
	v_div_scale_f64 v[218:219], null, v[216:217], v[216:217], 1.0
	v_rcp_f64_e32 v[220:221], v[218:219]
	v_fma_f64 v[222:223], -v[218:219], v[220:221], 1.0
	v_fma_f64 v[220:221], v[220:221], v[222:223], v[220:221]
	v_fma_f64 v[222:223], -v[218:219], v[220:221], 1.0
	v_fma_f64 v[220:221], v[220:221], v[222:223], v[220:221]
	v_div_scale_f64 v[222:223], vcc_lo, 1.0, v[216:217], 1.0
	v_mul_f64 v[224:225], v[222:223], v[220:221]
	v_fma_f64 v[218:219], -v[218:219], v[224:225], v[222:223]
	v_div_fmas_f64 v[218:219], v[218:219], v[220:221], v[224:225]
	v_div_fixup_f64 v[230:231], v[218:219], v[216:217], 1.0
	v_mul_f64 v[232:233], v[214:215], -v[230:231]
.LBB112_366:
	s_or_b32 exec_lo, exec_lo, s1
.LBB112_367:
	s_or_b32 exec_lo, exec_lo, s0
	s_mov_b32 s0, exec_lo
	v_cmpx_ne_u32_e64 v244, v238
	s_xor_b32 s0, exec_lo, s0
	s_cbranch_execz .LBB112_373
; %bb.368:
	s_mov_b32 s1, exec_lo
	v_cmpx_eq_u32_e32 17, v244
	s_cbranch_execz .LBB112_372
; %bb.369:
	v_cmp_ne_u32_e32 vcc_lo, 17, v238
	s_xor_b32 s7, s16, -1
	s_and_b32 s9, s7, vcc_lo
	s_and_saveexec_b32 s7, s9
	s_cbranch_execz .LBB112_371
; %bb.370:
	s_clause 0x1
	buffer_load_dword v210, off, s[20:23], 0
	buffer_load_dword v211, off, s[20:23], 0 offset:4
	v_ashrrev_i32_e32 v239, 31, v238
	v_lshlrev_b64 v[214:215], 2, v[238:239]
	s_waitcnt vmcnt(1)
	v_add_co_u32 v214, vcc_lo, v210, v214
	s_waitcnt vmcnt(0)
	v_add_co_ci_u32_e64 v215, null, v211, v215, vcc_lo
	s_clause 0x1
	global_load_dword v0, v[214:215], off
	global_load_dword v216, v[210:211], off offset:68
	s_waitcnt vmcnt(1)
	global_store_dword v[210:211], v0, off offset:68
	s_waitcnt vmcnt(0)
	global_store_dword v[214:215], v216, off
.LBB112_371:
	s_or_b32 exec_lo, exec_lo, s7
	v_mov_b32_e32 v244, v238
	v_mov_b32_e32 v0, v238
.LBB112_372:
	s_or_b32 exec_lo, exec_lo, s1
.LBB112_373:
	s_andn2_saveexec_b32 s0, s0
	s_cbranch_execz .LBB112_375
; %bb.374:
	v_mov_b32_e32 v244, 17
	ds_write2_b64 v1, v[154:155], v[156:157] offset0:36 offset1:37
	ds_write2_b64 v1, v[150:151], v[152:153] offset0:38 offset1:39
	;; [unrolled: 1-line block ×39, first 2 shown]
.LBB112_375:
	s_or_b32 exec_lo, exec_lo, s0
	s_mov_b32 s0, exec_lo
	s_waitcnt lgkmcnt(0)
	s_waitcnt_vscnt null, 0x0
	s_barrier
	buffer_gl0_inv
	v_cmpx_lt_i32_e32 17, v244
	s_cbranch_execz .LBB112_377
; %bb.376:
	v_mul_f64 v[214:215], v[232:233], v[160:161]
	v_mul_f64 v[160:161], v[230:231], v[160:161]
	v_fma_f64 v[238:239], v[230:231], v[158:159], -v[214:215]
	v_fma_f64 v[160:161], v[232:233], v[158:159], v[160:161]
	ds_read2_b64 v[230:233], v1 offset0:36 offset1:37
	s_waitcnt lgkmcnt(0)
	v_mul_f64 v[158:159], v[232:233], v[160:161]
	v_mul_f64 v[214:215], v[230:231], v[160:161]
	v_fma_f64 v[158:159], v[230:231], v[238:239], -v[158:159]
	v_fma_f64 v[214:215], v[232:233], v[238:239], v[214:215]
	ds_read2_b64 v[230:233], v1 offset0:38 offset1:39
	v_add_f64 v[154:155], v[154:155], -v[158:159]
	v_add_f64 v[156:157], v[156:157], -v[214:215]
	s_waitcnt lgkmcnt(0)
	v_mul_f64 v[158:159], v[232:233], v[160:161]
	v_mul_f64 v[214:215], v[230:231], v[160:161]
	v_fma_f64 v[158:159], v[230:231], v[238:239], -v[158:159]
	v_fma_f64 v[214:215], v[232:233], v[238:239], v[214:215]
	ds_read2_b64 v[230:233], v1 offset0:40 offset1:41
	v_add_f64 v[150:151], v[150:151], -v[158:159]
	v_add_f64 v[152:153], v[152:153], -v[214:215]
	;; [unrolled: 8-line block ×38, first 2 shown]
	s_waitcnt lgkmcnt(0)
	v_mul_f64 v[158:159], v[232:233], v[160:161]
	v_mul_f64 v[214:215], v[230:231], v[160:161]
	v_fma_f64 v[158:159], v[230:231], v[238:239], -v[158:159]
	v_fma_f64 v[214:215], v[232:233], v[238:239], v[214:215]
	v_add_f64 v[250:251], v[250:251], -v[158:159]
	v_add_f64 v[252:253], v[252:253], -v[214:215]
	v_mov_b32_e32 v158, v238
	v_mov_b32_e32 v159, v239
.LBB112_377:
	s_or_b32 exec_lo, exec_lo, s0
	v_lshl_add_u32 v214, v244, 4, v1
	s_barrier
	buffer_gl0_inv
	v_mov_b32_e32 v238, 18
	ds_write2_b64 v214, v[154:155], v[156:157] offset1:1
	s_waitcnt lgkmcnt(0)
	s_barrier
	buffer_gl0_inv
	ds_read2_b64 v[230:233], v1 offset0:36 offset1:37
	s_cmp_lt_i32 s8, 20
	s_cbranch_scc1 .LBB112_380
; %bb.378:
	v_add3_u32 v239, v228, 0, 0x130
	v_mov_b32_e32 v238, 18
	s_mov_b32 s0, 19
	s_inst_prefetch 0x1
	.p2align	6
.LBB112_379:                            ; =>This Inner Loop Header: Depth=1
	s_waitcnt lgkmcnt(0)
	v_cmp_gt_f64_e32 vcc_lo, 0, v[230:231]
	v_xor_b32_e32 v214, 0x80000000, v231
	ds_read2_b64 v[245:248], v239 offset1:1
	v_xor_b32_e32 v216, 0x80000000, v233
	v_add_nc_u32_e32 v239, 16, v239
	s_waitcnt lgkmcnt(0)
	v_xor_b32_e32 v218, 0x80000000, v248
	v_cndmask_b32_e32 v215, v231, v214, vcc_lo
	v_cmp_gt_f64_e32 vcc_lo, 0, v[232:233]
	v_mov_b32_e32 v214, v230
	v_cndmask_b32_e32 v217, v233, v216, vcc_lo
	v_cmp_gt_f64_e32 vcc_lo, 0, v[245:246]
	v_mov_b32_e32 v216, v232
	v_add_f64 v[214:215], v[214:215], v[216:217]
	v_xor_b32_e32 v216, 0x80000000, v246
	v_cndmask_b32_e32 v217, v246, v216, vcc_lo
	v_cmp_gt_f64_e32 vcc_lo, 0, v[247:248]
	v_mov_b32_e32 v216, v245
	v_cndmask_b32_e32 v219, v248, v218, vcc_lo
	v_mov_b32_e32 v218, v247
	v_add_f64 v[216:217], v[216:217], v[218:219]
	v_cmp_lt_f64_e32 vcc_lo, v[214:215], v[216:217]
	v_cndmask_b32_e32 v231, v231, v246, vcc_lo
	v_cndmask_b32_e32 v230, v230, v245, vcc_lo
	;; [unrolled: 1-line block ×4, first 2 shown]
	v_cndmask_b32_e64 v238, v238, s0, vcc_lo
	s_add_i32 s0, s0, 1
	s_cmp_lg_u32 s8, s0
	s_cbranch_scc1 .LBB112_379
.LBB112_380:
	s_inst_prefetch 0x2
	s_waitcnt lgkmcnt(0)
	v_cmp_eq_f64_e32 vcc_lo, 0, v[230:231]
	v_cmp_eq_f64_e64 s0, 0, v[232:233]
	s_and_b32 s0, vcc_lo, s0
	s_and_saveexec_b32 s1, s0
	s_xor_b32 s0, exec_lo, s1
; %bb.381:
	v_cmp_ne_u32_e32 vcc_lo, 0, v243
	v_cndmask_b32_e32 v243, 19, v243, vcc_lo
; %bb.382:
	s_andn2_saveexec_b32 s0, s0
	s_cbranch_execz .LBB112_388
; %bb.383:
	v_cmp_ngt_f64_e64 s1, |v[230:231]|, |v[232:233]|
	s_and_saveexec_b32 s7, s1
	s_xor_b32 s1, exec_lo, s7
	s_cbranch_execz .LBB112_385
; %bb.384:
	v_div_scale_f64 v[214:215], null, v[232:233], v[232:233], v[230:231]
	v_div_scale_f64 v[220:221], vcc_lo, v[230:231], v[232:233], v[230:231]
	v_rcp_f64_e32 v[216:217], v[214:215]
	v_fma_f64 v[218:219], -v[214:215], v[216:217], 1.0
	v_fma_f64 v[216:217], v[216:217], v[218:219], v[216:217]
	v_fma_f64 v[218:219], -v[214:215], v[216:217], 1.0
	v_fma_f64 v[216:217], v[216:217], v[218:219], v[216:217]
	v_mul_f64 v[218:219], v[220:221], v[216:217]
	v_fma_f64 v[214:215], -v[214:215], v[218:219], v[220:221]
	v_div_fmas_f64 v[214:215], v[214:215], v[216:217], v[218:219]
	v_div_fixup_f64 v[214:215], v[214:215], v[232:233], v[230:231]
	v_fma_f64 v[216:217], v[230:231], v[214:215], v[232:233]
	v_div_scale_f64 v[218:219], null, v[216:217], v[216:217], 1.0
	v_rcp_f64_e32 v[220:221], v[218:219]
	v_fma_f64 v[222:223], -v[218:219], v[220:221], 1.0
	v_fma_f64 v[220:221], v[220:221], v[222:223], v[220:221]
	v_fma_f64 v[222:223], -v[218:219], v[220:221], 1.0
	v_fma_f64 v[220:221], v[220:221], v[222:223], v[220:221]
	v_div_scale_f64 v[222:223], vcc_lo, 1.0, v[216:217], 1.0
	v_mul_f64 v[224:225], v[222:223], v[220:221]
	v_fma_f64 v[218:219], -v[218:219], v[224:225], v[222:223]
	v_div_fmas_f64 v[218:219], v[218:219], v[220:221], v[224:225]
	v_div_fixup_f64 v[232:233], v[218:219], v[216:217], 1.0
	v_mul_f64 v[230:231], v[214:215], v[232:233]
	v_xor_b32_e32 v233, 0x80000000, v233
.LBB112_385:
	s_andn2_saveexec_b32 s1, s1
	s_cbranch_execz .LBB112_387
; %bb.386:
	v_div_scale_f64 v[214:215], null, v[230:231], v[230:231], v[232:233]
	v_div_scale_f64 v[220:221], vcc_lo, v[232:233], v[230:231], v[232:233]
	v_rcp_f64_e32 v[216:217], v[214:215]
	v_fma_f64 v[218:219], -v[214:215], v[216:217], 1.0
	v_fma_f64 v[216:217], v[216:217], v[218:219], v[216:217]
	v_fma_f64 v[218:219], -v[214:215], v[216:217], 1.0
	v_fma_f64 v[216:217], v[216:217], v[218:219], v[216:217]
	v_mul_f64 v[218:219], v[220:221], v[216:217]
	v_fma_f64 v[214:215], -v[214:215], v[218:219], v[220:221]
	v_div_fmas_f64 v[214:215], v[214:215], v[216:217], v[218:219]
	v_div_fixup_f64 v[214:215], v[214:215], v[230:231], v[232:233]
	v_fma_f64 v[216:217], v[232:233], v[214:215], v[230:231]
	v_div_scale_f64 v[218:219], null, v[216:217], v[216:217], 1.0
	v_rcp_f64_e32 v[220:221], v[218:219]
	v_fma_f64 v[222:223], -v[218:219], v[220:221], 1.0
	v_fma_f64 v[220:221], v[220:221], v[222:223], v[220:221]
	v_fma_f64 v[222:223], -v[218:219], v[220:221], 1.0
	v_fma_f64 v[220:221], v[220:221], v[222:223], v[220:221]
	v_div_scale_f64 v[222:223], vcc_lo, 1.0, v[216:217], 1.0
	v_mul_f64 v[224:225], v[222:223], v[220:221]
	v_fma_f64 v[218:219], -v[218:219], v[224:225], v[222:223]
	v_div_fmas_f64 v[218:219], v[218:219], v[220:221], v[224:225]
	v_div_fixup_f64 v[230:231], v[218:219], v[216:217], 1.0
	v_mul_f64 v[232:233], v[214:215], -v[230:231]
.LBB112_387:
	s_or_b32 exec_lo, exec_lo, s1
.LBB112_388:
	s_or_b32 exec_lo, exec_lo, s0
	s_mov_b32 s0, exec_lo
	v_cmpx_ne_u32_e64 v244, v238
	s_xor_b32 s0, exec_lo, s0
	s_cbranch_execz .LBB112_394
; %bb.389:
	s_mov_b32 s1, exec_lo
	v_cmpx_eq_u32_e32 18, v244
	s_cbranch_execz .LBB112_393
; %bb.390:
	v_cmp_ne_u32_e32 vcc_lo, 18, v238
	s_xor_b32 s7, s16, -1
	s_and_b32 s9, s7, vcc_lo
	s_and_saveexec_b32 s7, s9
	s_cbranch_execz .LBB112_392
; %bb.391:
	s_clause 0x1
	buffer_load_dword v210, off, s[20:23], 0
	buffer_load_dword v211, off, s[20:23], 0 offset:4
	v_ashrrev_i32_e32 v239, 31, v238
	v_lshlrev_b64 v[214:215], 2, v[238:239]
	s_waitcnt vmcnt(1)
	v_add_co_u32 v214, vcc_lo, v210, v214
	s_waitcnt vmcnt(0)
	v_add_co_ci_u32_e64 v215, null, v211, v215, vcc_lo
	s_clause 0x1
	global_load_dword v0, v[214:215], off
	global_load_dword v216, v[210:211], off offset:72
	s_waitcnt vmcnt(1)
	global_store_dword v[210:211], v0, off offset:72
	s_waitcnt vmcnt(0)
	global_store_dword v[214:215], v216, off
.LBB112_392:
	s_or_b32 exec_lo, exec_lo, s7
	v_mov_b32_e32 v244, v238
	v_mov_b32_e32 v0, v238
.LBB112_393:
	s_or_b32 exec_lo, exec_lo, s1
.LBB112_394:
	s_andn2_saveexec_b32 s0, s0
	s_cbranch_execz .LBB112_396
; %bb.395:
	v_mov_b32_e32 v244, 18
	ds_write2_b64 v1, v[150:151], v[152:153] offset0:38 offset1:39
	ds_write2_b64 v1, v[146:147], v[148:149] offset0:40 offset1:41
	;; [unrolled: 1-line block ×38, first 2 shown]
.LBB112_396:
	s_or_b32 exec_lo, exec_lo, s0
	s_mov_b32 s0, exec_lo
	s_waitcnt lgkmcnt(0)
	s_waitcnt_vscnt null, 0x0
	s_barrier
	buffer_gl0_inv
	v_cmpx_lt_i32_e32 18, v244
	s_cbranch_execz .LBB112_398
; %bb.397:
	v_mul_f64 v[214:215], v[232:233], v[156:157]
	v_mul_f64 v[156:157], v[230:231], v[156:157]
	v_fma_f64 v[238:239], v[230:231], v[154:155], -v[214:215]
	v_fma_f64 v[156:157], v[232:233], v[154:155], v[156:157]
	ds_read2_b64 v[230:233], v1 offset0:38 offset1:39
	s_waitcnt lgkmcnt(0)
	v_mul_f64 v[154:155], v[232:233], v[156:157]
	v_mul_f64 v[214:215], v[230:231], v[156:157]
	v_fma_f64 v[154:155], v[230:231], v[238:239], -v[154:155]
	v_fma_f64 v[214:215], v[232:233], v[238:239], v[214:215]
	ds_read2_b64 v[230:233], v1 offset0:40 offset1:41
	v_add_f64 v[150:151], v[150:151], -v[154:155]
	v_add_f64 v[152:153], v[152:153], -v[214:215]
	s_waitcnt lgkmcnt(0)
	v_mul_f64 v[154:155], v[232:233], v[156:157]
	v_mul_f64 v[214:215], v[230:231], v[156:157]
	v_fma_f64 v[154:155], v[230:231], v[238:239], -v[154:155]
	v_fma_f64 v[214:215], v[232:233], v[238:239], v[214:215]
	ds_read2_b64 v[230:233], v1 offset0:42 offset1:43
	v_add_f64 v[146:147], v[146:147], -v[154:155]
	v_add_f64 v[148:149], v[148:149], -v[214:215]
	;; [unrolled: 8-line block ×37, first 2 shown]
	s_waitcnt lgkmcnt(0)
	v_mul_f64 v[154:155], v[232:233], v[156:157]
	v_mul_f64 v[214:215], v[230:231], v[156:157]
	v_fma_f64 v[154:155], v[230:231], v[238:239], -v[154:155]
	v_fma_f64 v[214:215], v[232:233], v[238:239], v[214:215]
	v_add_f64 v[250:251], v[250:251], -v[154:155]
	v_add_f64 v[252:253], v[252:253], -v[214:215]
	v_mov_b32_e32 v154, v238
	v_mov_b32_e32 v155, v239
.LBB112_398:
	s_or_b32 exec_lo, exec_lo, s0
	v_lshl_add_u32 v214, v244, 4, v1
	s_barrier
	buffer_gl0_inv
	v_mov_b32_e32 v238, 19
	ds_write2_b64 v214, v[150:151], v[152:153] offset1:1
	s_waitcnt lgkmcnt(0)
	s_barrier
	buffer_gl0_inv
	ds_read2_b64 v[230:233], v1 offset0:38 offset1:39
	s_cmp_lt_i32 s8, 21
	s_cbranch_scc1 .LBB112_401
; %bb.399:
	v_add3_u32 v239, v228, 0, 0x140
	v_mov_b32_e32 v238, 19
	s_mov_b32 s0, 20
	s_inst_prefetch 0x1
	.p2align	6
.LBB112_400:                            ; =>This Inner Loop Header: Depth=1
	s_waitcnt lgkmcnt(0)
	v_cmp_gt_f64_e32 vcc_lo, 0, v[230:231]
	v_xor_b32_e32 v214, 0x80000000, v231
	ds_read2_b64 v[245:248], v239 offset1:1
	v_xor_b32_e32 v216, 0x80000000, v233
	v_add_nc_u32_e32 v239, 16, v239
	s_waitcnt lgkmcnt(0)
	v_xor_b32_e32 v218, 0x80000000, v248
	v_cndmask_b32_e32 v215, v231, v214, vcc_lo
	v_cmp_gt_f64_e32 vcc_lo, 0, v[232:233]
	v_mov_b32_e32 v214, v230
	v_cndmask_b32_e32 v217, v233, v216, vcc_lo
	v_cmp_gt_f64_e32 vcc_lo, 0, v[245:246]
	v_mov_b32_e32 v216, v232
	v_add_f64 v[214:215], v[214:215], v[216:217]
	v_xor_b32_e32 v216, 0x80000000, v246
	v_cndmask_b32_e32 v217, v246, v216, vcc_lo
	v_cmp_gt_f64_e32 vcc_lo, 0, v[247:248]
	v_mov_b32_e32 v216, v245
	v_cndmask_b32_e32 v219, v248, v218, vcc_lo
	v_mov_b32_e32 v218, v247
	v_add_f64 v[216:217], v[216:217], v[218:219]
	v_cmp_lt_f64_e32 vcc_lo, v[214:215], v[216:217]
	v_cndmask_b32_e32 v231, v231, v246, vcc_lo
	v_cndmask_b32_e32 v230, v230, v245, vcc_lo
	;; [unrolled: 1-line block ×4, first 2 shown]
	v_cndmask_b32_e64 v238, v238, s0, vcc_lo
	s_add_i32 s0, s0, 1
	s_cmp_lg_u32 s8, s0
	s_cbranch_scc1 .LBB112_400
.LBB112_401:
	s_inst_prefetch 0x2
	s_waitcnt lgkmcnt(0)
	v_cmp_eq_f64_e32 vcc_lo, 0, v[230:231]
	v_cmp_eq_f64_e64 s0, 0, v[232:233]
	s_and_b32 s0, vcc_lo, s0
	s_and_saveexec_b32 s1, s0
	s_xor_b32 s0, exec_lo, s1
; %bb.402:
	v_cmp_ne_u32_e32 vcc_lo, 0, v243
	v_cndmask_b32_e32 v243, 20, v243, vcc_lo
; %bb.403:
	s_andn2_saveexec_b32 s0, s0
	s_cbranch_execz .LBB112_409
; %bb.404:
	v_cmp_ngt_f64_e64 s1, |v[230:231]|, |v[232:233]|
	s_and_saveexec_b32 s7, s1
	s_xor_b32 s1, exec_lo, s7
	s_cbranch_execz .LBB112_406
; %bb.405:
	v_div_scale_f64 v[214:215], null, v[232:233], v[232:233], v[230:231]
	v_div_scale_f64 v[220:221], vcc_lo, v[230:231], v[232:233], v[230:231]
	v_rcp_f64_e32 v[216:217], v[214:215]
	v_fma_f64 v[218:219], -v[214:215], v[216:217], 1.0
	v_fma_f64 v[216:217], v[216:217], v[218:219], v[216:217]
	v_fma_f64 v[218:219], -v[214:215], v[216:217], 1.0
	v_fma_f64 v[216:217], v[216:217], v[218:219], v[216:217]
	v_mul_f64 v[218:219], v[220:221], v[216:217]
	v_fma_f64 v[214:215], -v[214:215], v[218:219], v[220:221]
	v_div_fmas_f64 v[214:215], v[214:215], v[216:217], v[218:219]
	v_div_fixup_f64 v[214:215], v[214:215], v[232:233], v[230:231]
	v_fma_f64 v[216:217], v[230:231], v[214:215], v[232:233]
	v_div_scale_f64 v[218:219], null, v[216:217], v[216:217], 1.0
	v_rcp_f64_e32 v[220:221], v[218:219]
	v_fma_f64 v[222:223], -v[218:219], v[220:221], 1.0
	v_fma_f64 v[220:221], v[220:221], v[222:223], v[220:221]
	v_fma_f64 v[222:223], -v[218:219], v[220:221], 1.0
	v_fma_f64 v[220:221], v[220:221], v[222:223], v[220:221]
	v_div_scale_f64 v[222:223], vcc_lo, 1.0, v[216:217], 1.0
	v_mul_f64 v[224:225], v[222:223], v[220:221]
	v_fma_f64 v[218:219], -v[218:219], v[224:225], v[222:223]
	v_div_fmas_f64 v[218:219], v[218:219], v[220:221], v[224:225]
	v_div_fixup_f64 v[232:233], v[218:219], v[216:217], 1.0
	v_mul_f64 v[230:231], v[214:215], v[232:233]
	v_xor_b32_e32 v233, 0x80000000, v233
.LBB112_406:
	s_andn2_saveexec_b32 s1, s1
	s_cbranch_execz .LBB112_408
; %bb.407:
	v_div_scale_f64 v[214:215], null, v[230:231], v[230:231], v[232:233]
	v_div_scale_f64 v[220:221], vcc_lo, v[232:233], v[230:231], v[232:233]
	v_rcp_f64_e32 v[216:217], v[214:215]
	v_fma_f64 v[218:219], -v[214:215], v[216:217], 1.0
	v_fma_f64 v[216:217], v[216:217], v[218:219], v[216:217]
	v_fma_f64 v[218:219], -v[214:215], v[216:217], 1.0
	v_fma_f64 v[216:217], v[216:217], v[218:219], v[216:217]
	v_mul_f64 v[218:219], v[220:221], v[216:217]
	v_fma_f64 v[214:215], -v[214:215], v[218:219], v[220:221]
	v_div_fmas_f64 v[214:215], v[214:215], v[216:217], v[218:219]
	v_div_fixup_f64 v[214:215], v[214:215], v[230:231], v[232:233]
	v_fma_f64 v[216:217], v[232:233], v[214:215], v[230:231]
	v_div_scale_f64 v[218:219], null, v[216:217], v[216:217], 1.0
	v_rcp_f64_e32 v[220:221], v[218:219]
	v_fma_f64 v[222:223], -v[218:219], v[220:221], 1.0
	v_fma_f64 v[220:221], v[220:221], v[222:223], v[220:221]
	v_fma_f64 v[222:223], -v[218:219], v[220:221], 1.0
	v_fma_f64 v[220:221], v[220:221], v[222:223], v[220:221]
	v_div_scale_f64 v[222:223], vcc_lo, 1.0, v[216:217], 1.0
	v_mul_f64 v[224:225], v[222:223], v[220:221]
	v_fma_f64 v[218:219], -v[218:219], v[224:225], v[222:223]
	v_div_fmas_f64 v[218:219], v[218:219], v[220:221], v[224:225]
	v_div_fixup_f64 v[230:231], v[218:219], v[216:217], 1.0
	v_mul_f64 v[232:233], v[214:215], -v[230:231]
.LBB112_408:
	s_or_b32 exec_lo, exec_lo, s1
.LBB112_409:
	s_or_b32 exec_lo, exec_lo, s0
	s_mov_b32 s0, exec_lo
	v_cmpx_ne_u32_e64 v244, v238
	s_xor_b32 s0, exec_lo, s0
	s_cbranch_execz .LBB112_415
; %bb.410:
	s_mov_b32 s1, exec_lo
	v_cmpx_eq_u32_e32 19, v244
	s_cbranch_execz .LBB112_414
; %bb.411:
	v_cmp_ne_u32_e32 vcc_lo, 19, v238
	s_xor_b32 s7, s16, -1
	s_and_b32 s9, s7, vcc_lo
	s_and_saveexec_b32 s7, s9
	s_cbranch_execz .LBB112_413
; %bb.412:
	s_clause 0x1
	buffer_load_dword v210, off, s[20:23], 0
	buffer_load_dword v211, off, s[20:23], 0 offset:4
	v_ashrrev_i32_e32 v239, 31, v238
	v_lshlrev_b64 v[214:215], 2, v[238:239]
	s_waitcnt vmcnt(1)
	v_add_co_u32 v214, vcc_lo, v210, v214
	s_waitcnt vmcnt(0)
	v_add_co_ci_u32_e64 v215, null, v211, v215, vcc_lo
	s_clause 0x1
	global_load_dword v0, v[214:215], off
	global_load_dword v216, v[210:211], off offset:76
	s_waitcnt vmcnt(1)
	global_store_dword v[210:211], v0, off offset:76
	s_waitcnt vmcnt(0)
	global_store_dword v[214:215], v216, off
.LBB112_413:
	s_or_b32 exec_lo, exec_lo, s7
	v_mov_b32_e32 v244, v238
	v_mov_b32_e32 v0, v238
.LBB112_414:
	s_or_b32 exec_lo, exec_lo, s1
.LBB112_415:
	s_andn2_saveexec_b32 s0, s0
	s_cbranch_execz .LBB112_417
; %bb.416:
	v_mov_b32_e32 v244, 19
	ds_write2_b64 v1, v[146:147], v[148:149] offset0:40 offset1:41
	ds_write2_b64 v1, v[142:143], v[144:145] offset0:42 offset1:43
	;; [unrolled: 1-line block ×37, first 2 shown]
.LBB112_417:
	s_or_b32 exec_lo, exec_lo, s0
	s_mov_b32 s0, exec_lo
	s_waitcnt lgkmcnt(0)
	s_waitcnt_vscnt null, 0x0
	s_barrier
	buffer_gl0_inv
	v_cmpx_lt_i32_e32 19, v244
	s_cbranch_execz .LBB112_419
; %bb.418:
	v_mul_f64 v[214:215], v[232:233], v[152:153]
	v_mul_f64 v[152:153], v[230:231], v[152:153]
	v_fma_f64 v[238:239], v[230:231], v[150:151], -v[214:215]
	v_fma_f64 v[152:153], v[232:233], v[150:151], v[152:153]
	ds_read2_b64 v[230:233], v1 offset0:40 offset1:41
	s_waitcnt lgkmcnt(0)
	v_mul_f64 v[150:151], v[232:233], v[152:153]
	v_mul_f64 v[214:215], v[230:231], v[152:153]
	v_fma_f64 v[150:151], v[230:231], v[238:239], -v[150:151]
	v_fma_f64 v[214:215], v[232:233], v[238:239], v[214:215]
	ds_read2_b64 v[230:233], v1 offset0:42 offset1:43
	v_add_f64 v[146:147], v[146:147], -v[150:151]
	v_add_f64 v[148:149], v[148:149], -v[214:215]
	s_waitcnt lgkmcnt(0)
	v_mul_f64 v[150:151], v[232:233], v[152:153]
	v_mul_f64 v[214:215], v[230:231], v[152:153]
	v_fma_f64 v[150:151], v[230:231], v[238:239], -v[150:151]
	v_fma_f64 v[214:215], v[232:233], v[238:239], v[214:215]
	ds_read2_b64 v[230:233], v1 offset0:44 offset1:45
	v_add_f64 v[142:143], v[142:143], -v[150:151]
	v_add_f64 v[144:145], v[144:145], -v[214:215]
	;; [unrolled: 8-line block ×36, first 2 shown]
	s_waitcnt lgkmcnt(0)
	v_mul_f64 v[150:151], v[232:233], v[152:153]
	v_mul_f64 v[214:215], v[230:231], v[152:153]
	v_fma_f64 v[150:151], v[230:231], v[238:239], -v[150:151]
	v_fma_f64 v[214:215], v[232:233], v[238:239], v[214:215]
	v_add_f64 v[250:251], v[250:251], -v[150:151]
	v_add_f64 v[252:253], v[252:253], -v[214:215]
	v_mov_b32_e32 v150, v238
	v_mov_b32_e32 v151, v239
.LBB112_419:
	s_or_b32 exec_lo, exec_lo, s0
	v_lshl_add_u32 v214, v244, 4, v1
	s_barrier
	buffer_gl0_inv
	v_mov_b32_e32 v238, 20
	ds_write2_b64 v214, v[146:147], v[148:149] offset1:1
	s_waitcnt lgkmcnt(0)
	s_barrier
	buffer_gl0_inv
	ds_read2_b64 v[230:233], v1 offset0:40 offset1:41
	s_cmp_lt_i32 s8, 22
	s_cbranch_scc1 .LBB112_422
; %bb.420:
	v_add3_u32 v239, v228, 0, 0x150
	v_mov_b32_e32 v238, 20
	s_mov_b32 s0, 21
	s_inst_prefetch 0x1
	.p2align	6
.LBB112_421:                            ; =>This Inner Loop Header: Depth=1
	s_waitcnt lgkmcnt(0)
	v_cmp_gt_f64_e32 vcc_lo, 0, v[230:231]
	v_xor_b32_e32 v214, 0x80000000, v231
	ds_read2_b64 v[245:248], v239 offset1:1
	v_xor_b32_e32 v216, 0x80000000, v233
	v_add_nc_u32_e32 v239, 16, v239
	s_waitcnt lgkmcnt(0)
	v_xor_b32_e32 v218, 0x80000000, v248
	v_cndmask_b32_e32 v215, v231, v214, vcc_lo
	v_cmp_gt_f64_e32 vcc_lo, 0, v[232:233]
	v_mov_b32_e32 v214, v230
	v_cndmask_b32_e32 v217, v233, v216, vcc_lo
	v_cmp_gt_f64_e32 vcc_lo, 0, v[245:246]
	v_mov_b32_e32 v216, v232
	v_add_f64 v[214:215], v[214:215], v[216:217]
	v_xor_b32_e32 v216, 0x80000000, v246
	v_cndmask_b32_e32 v217, v246, v216, vcc_lo
	v_cmp_gt_f64_e32 vcc_lo, 0, v[247:248]
	v_mov_b32_e32 v216, v245
	v_cndmask_b32_e32 v219, v248, v218, vcc_lo
	v_mov_b32_e32 v218, v247
	v_add_f64 v[216:217], v[216:217], v[218:219]
	v_cmp_lt_f64_e32 vcc_lo, v[214:215], v[216:217]
	v_cndmask_b32_e32 v231, v231, v246, vcc_lo
	v_cndmask_b32_e32 v230, v230, v245, vcc_lo
	;; [unrolled: 1-line block ×4, first 2 shown]
	v_cndmask_b32_e64 v238, v238, s0, vcc_lo
	s_add_i32 s0, s0, 1
	s_cmp_lg_u32 s8, s0
	s_cbranch_scc1 .LBB112_421
.LBB112_422:
	s_inst_prefetch 0x2
	s_waitcnt lgkmcnt(0)
	v_cmp_eq_f64_e32 vcc_lo, 0, v[230:231]
	v_cmp_eq_f64_e64 s0, 0, v[232:233]
	s_and_b32 s0, vcc_lo, s0
	s_and_saveexec_b32 s1, s0
	s_xor_b32 s0, exec_lo, s1
; %bb.423:
	v_cmp_ne_u32_e32 vcc_lo, 0, v243
	v_cndmask_b32_e32 v243, 21, v243, vcc_lo
; %bb.424:
	s_andn2_saveexec_b32 s0, s0
	s_cbranch_execz .LBB112_430
; %bb.425:
	v_cmp_ngt_f64_e64 s1, |v[230:231]|, |v[232:233]|
	s_and_saveexec_b32 s7, s1
	s_xor_b32 s1, exec_lo, s7
	s_cbranch_execz .LBB112_427
; %bb.426:
	v_div_scale_f64 v[214:215], null, v[232:233], v[232:233], v[230:231]
	v_div_scale_f64 v[220:221], vcc_lo, v[230:231], v[232:233], v[230:231]
	v_rcp_f64_e32 v[216:217], v[214:215]
	v_fma_f64 v[218:219], -v[214:215], v[216:217], 1.0
	v_fma_f64 v[216:217], v[216:217], v[218:219], v[216:217]
	v_fma_f64 v[218:219], -v[214:215], v[216:217], 1.0
	v_fma_f64 v[216:217], v[216:217], v[218:219], v[216:217]
	v_mul_f64 v[218:219], v[220:221], v[216:217]
	v_fma_f64 v[214:215], -v[214:215], v[218:219], v[220:221]
	v_div_fmas_f64 v[214:215], v[214:215], v[216:217], v[218:219]
	v_div_fixup_f64 v[214:215], v[214:215], v[232:233], v[230:231]
	v_fma_f64 v[216:217], v[230:231], v[214:215], v[232:233]
	v_div_scale_f64 v[218:219], null, v[216:217], v[216:217], 1.0
	v_rcp_f64_e32 v[220:221], v[218:219]
	v_fma_f64 v[222:223], -v[218:219], v[220:221], 1.0
	v_fma_f64 v[220:221], v[220:221], v[222:223], v[220:221]
	v_fma_f64 v[222:223], -v[218:219], v[220:221], 1.0
	v_fma_f64 v[220:221], v[220:221], v[222:223], v[220:221]
	v_div_scale_f64 v[222:223], vcc_lo, 1.0, v[216:217], 1.0
	v_mul_f64 v[224:225], v[222:223], v[220:221]
	v_fma_f64 v[218:219], -v[218:219], v[224:225], v[222:223]
	v_div_fmas_f64 v[218:219], v[218:219], v[220:221], v[224:225]
	v_div_fixup_f64 v[232:233], v[218:219], v[216:217], 1.0
	v_mul_f64 v[230:231], v[214:215], v[232:233]
	v_xor_b32_e32 v233, 0x80000000, v233
.LBB112_427:
	s_andn2_saveexec_b32 s1, s1
	s_cbranch_execz .LBB112_429
; %bb.428:
	v_div_scale_f64 v[214:215], null, v[230:231], v[230:231], v[232:233]
	v_div_scale_f64 v[220:221], vcc_lo, v[232:233], v[230:231], v[232:233]
	v_rcp_f64_e32 v[216:217], v[214:215]
	v_fma_f64 v[218:219], -v[214:215], v[216:217], 1.0
	v_fma_f64 v[216:217], v[216:217], v[218:219], v[216:217]
	v_fma_f64 v[218:219], -v[214:215], v[216:217], 1.0
	v_fma_f64 v[216:217], v[216:217], v[218:219], v[216:217]
	v_mul_f64 v[218:219], v[220:221], v[216:217]
	v_fma_f64 v[214:215], -v[214:215], v[218:219], v[220:221]
	v_div_fmas_f64 v[214:215], v[214:215], v[216:217], v[218:219]
	v_div_fixup_f64 v[214:215], v[214:215], v[230:231], v[232:233]
	v_fma_f64 v[216:217], v[232:233], v[214:215], v[230:231]
	v_div_scale_f64 v[218:219], null, v[216:217], v[216:217], 1.0
	v_rcp_f64_e32 v[220:221], v[218:219]
	v_fma_f64 v[222:223], -v[218:219], v[220:221], 1.0
	v_fma_f64 v[220:221], v[220:221], v[222:223], v[220:221]
	v_fma_f64 v[222:223], -v[218:219], v[220:221], 1.0
	v_fma_f64 v[220:221], v[220:221], v[222:223], v[220:221]
	v_div_scale_f64 v[222:223], vcc_lo, 1.0, v[216:217], 1.0
	v_mul_f64 v[224:225], v[222:223], v[220:221]
	v_fma_f64 v[218:219], -v[218:219], v[224:225], v[222:223]
	v_div_fmas_f64 v[218:219], v[218:219], v[220:221], v[224:225]
	v_div_fixup_f64 v[230:231], v[218:219], v[216:217], 1.0
	v_mul_f64 v[232:233], v[214:215], -v[230:231]
.LBB112_429:
	s_or_b32 exec_lo, exec_lo, s1
.LBB112_430:
	s_or_b32 exec_lo, exec_lo, s0
	s_mov_b32 s0, exec_lo
	v_cmpx_ne_u32_e64 v244, v238
	s_xor_b32 s0, exec_lo, s0
	s_cbranch_execz .LBB112_436
; %bb.431:
	s_mov_b32 s1, exec_lo
	v_cmpx_eq_u32_e32 20, v244
	s_cbranch_execz .LBB112_435
; %bb.432:
	v_cmp_ne_u32_e32 vcc_lo, 20, v238
	s_xor_b32 s7, s16, -1
	s_and_b32 s9, s7, vcc_lo
	s_and_saveexec_b32 s7, s9
	s_cbranch_execz .LBB112_434
; %bb.433:
	s_clause 0x1
	buffer_load_dword v210, off, s[20:23], 0
	buffer_load_dword v211, off, s[20:23], 0 offset:4
	v_ashrrev_i32_e32 v239, 31, v238
	v_lshlrev_b64 v[214:215], 2, v[238:239]
	s_waitcnt vmcnt(1)
	v_add_co_u32 v214, vcc_lo, v210, v214
	s_waitcnt vmcnt(0)
	v_add_co_ci_u32_e64 v215, null, v211, v215, vcc_lo
	s_clause 0x1
	global_load_dword v0, v[214:215], off
	global_load_dword v216, v[210:211], off offset:80
	s_waitcnt vmcnt(1)
	global_store_dword v[210:211], v0, off offset:80
	s_waitcnt vmcnt(0)
	global_store_dword v[214:215], v216, off
.LBB112_434:
	s_or_b32 exec_lo, exec_lo, s7
	v_mov_b32_e32 v244, v238
	v_mov_b32_e32 v0, v238
.LBB112_435:
	s_or_b32 exec_lo, exec_lo, s1
.LBB112_436:
	s_andn2_saveexec_b32 s0, s0
	s_cbranch_execz .LBB112_438
; %bb.437:
	v_mov_b32_e32 v244, 20
	ds_write2_b64 v1, v[142:143], v[144:145] offset0:42 offset1:43
	ds_write2_b64 v1, v[138:139], v[140:141] offset0:44 offset1:45
	;; [unrolled: 1-line block ×36, first 2 shown]
.LBB112_438:
	s_or_b32 exec_lo, exec_lo, s0
	s_mov_b32 s0, exec_lo
	s_waitcnt lgkmcnt(0)
	s_waitcnt_vscnt null, 0x0
	s_barrier
	buffer_gl0_inv
	v_cmpx_lt_i32_e32 20, v244
	s_cbranch_execz .LBB112_440
; %bb.439:
	v_mul_f64 v[214:215], v[232:233], v[148:149]
	v_mul_f64 v[148:149], v[230:231], v[148:149]
	v_fma_f64 v[238:239], v[230:231], v[146:147], -v[214:215]
	v_fma_f64 v[148:149], v[232:233], v[146:147], v[148:149]
	ds_read2_b64 v[230:233], v1 offset0:42 offset1:43
	s_waitcnt lgkmcnt(0)
	v_mul_f64 v[146:147], v[232:233], v[148:149]
	v_mul_f64 v[214:215], v[230:231], v[148:149]
	v_fma_f64 v[146:147], v[230:231], v[238:239], -v[146:147]
	v_fma_f64 v[214:215], v[232:233], v[238:239], v[214:215]
	ds_read2_b64 v[230:233], v1 offset0:44 offset1:45
	v_add_f64 v[142:143], v[142:143], -v[146:147]
	v_add_f64 v[144:145], v[144:145], -v[214:215]
	s_waitcnt lgkmcnt(0)
	v_mul_f64 v[146:147], v[232:233], v[148:149]
	v_mul_f64 v[214:215], v[230:231], v[148:149]
	v_fma_f64 v[146:147], v[230:231], v[238:239], -v[146:147]
	v_fma_f64 v[214:215], v[232:233], v[238:239], v[214:215]
	ds_read2_b64 v[230:233], v1 offset0:46 offset1:47
	v_add_f64 v[138:139], v[138:139], -v[146:147]
	v_add_f64 v[140:141], v[140:141], -v[214:215]
	;; [unrolled: 8-line block ×35, first 2 shown]
	s_waitcnt lgkmcnt(0)
	v_mul_f64 v[146:147], v[232:233], v[148:149]
	v_mul_f64 v[214:215], v[230:231], v[148:149]
	v_fma_f64 v[146:147], v[230:231], v[238:239], -v[146:147]
	v_fma_f64 v[214:215], v[232:233], v[238:239], v[214:215]
	v_add_f64 v[250:251], v[250:251], -v[146:147]
	v_add_f64 v[252:253], v[252:253], -v[214:215]
	v_mov_b32_e32 v146, v238
	v_mov_b32_e32 v147, v239
.LBB112_440:
	s_or_b32 exec_lo, exec_lo, s0
	v_lshl_add_u32 v214, v244, 4, v1
	s_barrier
	buffer_gl0_inv
	v_mov_b32_e32 v238, 21
	ds_write2_b64 v214, v[142:143], v[144:145] offset1:1
	s_waitcnt lgkmcnt(0)
	s_barrier
	buffer_gl0_inv
	ds_read2_b64 v[230:233], v1 offset0:42 offset1:43
	s_cmp_lt_i32 s8, 23
	s_cbranch_scc1 .LBB112_443
; %bb.441:
	v_add3_u32 v239, v228, 0, 0x160
	v_mov_b32_e32 v238, 21
	s_mov_b32 s0, 22
	s_inst_prefetch 0x1
	.p2align	6
.LBB112_442:                            ; =>This Inner Loop Header: Depth=1
	s_waitcnt lgkmcnt(0)
	v_cmp_gt_f64_e32 vcc_lo, 0, v[230:231]
	v_xor_b32_e32 v214, 0x80000000, v231
	ds_read2_b64 v[245:248], v239 offset1:1
	v_xor_b32_e32 v216, 0x80000000, v233
	v_add_nc_u32_e32 v239, 16, v239
	s_waitcnt lgkmcnt(0)
	v_xor_b32_e32 v218, 0x80000000, v248
	v_cndmask_b32_e32 v215, v231, v214, vcc_lo
	v_cmp_gt_f64_e32 vcc_lo, 0, v[232:233]
	v_mov_b32_e32 v214, v230
	v_cndmask_b32_e32 v217, v233, v216, vcc_lo
	v_cmp_gt_f64_e32 vcc_lo, 0, v[245:246]
	v_mov_b32_e32 v216, v232
	v_add_f64 v[214:215], v[214:215], v[216:217]
	v_xor_b32_e32 v216, 0x80000000, v246
	v_cndmask_b32_e32 v217, v246, v216, vcc_lo
	v_cmp_gt_f64_e32 vcc_lo, 0, v[247:248]
	v_mov_b32_e32 v216, v245
	v_cndmask_b32_e32 v219, v248, v218, vcc_lo
	v_mov_b32_e32 v218, v247
	v_add_f64 v[216:217], v[216:217], v[218:219]
	v_cmp_lt_f64_e32 vcc_lo, v[214:215], v[216:217]
	v_cndmask_b32_e32 v231, v231, v246, vcc_lo
	v_cndmask_b32_e32 v230, v230, v245, vcc_lo
	;; [unrolled: 1-line block ×4, first 2 shown]
	v_cndmask_b32_e64 v238, v238, s0, vcc_lo
	s_add_i32 s0, s0, 1
	s_cmp_lg_u32 s8, s0
	s_cbranch_scc1 .LBB112_442
.LBB112_443:
	s_inst_prefetch 0x2
	s_waitcnt lgkmcnt(0)
	v_cmp_eq_f64_e32 vcc_lo, 0, v[230:231]
	v_cmp_eq_f64_e64 s0, 0, v[232:233]
	s_and_b32 s0, vcc_lo, s0
	s_and_saveexec_b32 s1, s0
	s_xor_b32 s0, exec_lo, s1
; %bb.444:
	v_cmp_ne_u32_e32 vcc_lo, 0, v243
	v_cndmask_b32_e32 v243, 22, v243, vcc_lo
; %bb.445:
	s_andn2_saveexec_b32 s0, s0
	s_cbranch_execz .LBB112_451
; %bb.446:
	v_cmp_ngt_f64_e64 s1, |v[230:231]|, |v[232:233]|
	s_and_saveexec_b32 s7, s1
	s_xor_b32 s1, exec_lo, s7
	s_cbranch_execz .LBB112_448
; %bb.447:
	v_div_scale_f64 v[214:215], null, v[232:233], v[232:233], v[230:231]
	v_div_scale_f64 v[220:221], vcc_lo, v[230:231], v[232:233], v[230:231]
	v_rcp_f64_e32 v[216:217], v[214:215]
	v_fma_f64 v[218:219], -v[214:215], v[216:217], 1.0
	v_fma_f64 v[216:217], v[216:217], v[218:219], v[216:217]
	v_fma_f64 v[218:219], -v[214:215], v[216:217], 1.0
	v_fma_f64 v[216:217], v[216:217], v[218:219], v[216:217]
	v_mul_f64 v[218:219], v[220:221], v[216:217]
	v_fma_f64 v[214:215], -v[214:215], v[218:219], v[220:221]
	v_div_fmas_f64 v[214:215], v[214:215], v[216:217], v[218:219]
	v_div_fixup_f64 v[214:215], v[214:215], v[232:233], v[230:231]
	v_fma_f64 v[216:217], v[230:231], v[214:215], v[232:233]
	v_div_scale_f64 v[218:219], null, v[216:217], v[216:217], 1.0
	v_rcp_f64_e32 v[220:221], v[218:219]
	v_fma_f64 v[222:223], -v[218:219], v[220:221], 1.0
	v_fma_f64 v[220:221], v[220:221], v[222:223], v[220:221]
	v_fma_f64 v[222:223], -v[218:219], v[220:221], 1.0
	v_fma_f64 v[220:221], v[220:221], v[222:223], v[220:221]
	v_div_scale_f64 v[222:223], vcc_lo, 1.0, v[216:217], 1.0
	v_mul_f64 v[224:225], v[222:223], v[220:221]
	v_fma_f64 v[218:219], -v[218:219], v[224:225], v[222:223]
	v_div_fmas_f64 v[218:219], v[218:219], v[220:221], v[224:225]
	v_div_fixup_f64 v[232:233], v[218:219], v[216:217], 1.0
	v_mul_f64 v[230:231], v[214:215], v[232:233]
	v_xor_b32_e32 v233, 0x80000000, v233
.LBB112_448:
	s_andn2_saveexec_b32 s1, s1
	s_cbranch_execz .LBB112_450
; %bb.449:
	v_div_scale_f64 v[214:215], null, v[230:231], v[230:231], v[232:233]
	v_div_scale_f64 v[220:221], vcc_lo, v[232:233], v[230:231], v[232:233]
	v_rcp_f64_e32 v[216:217], v[214:215]
	v_fma_f64 v[218:219], -v[214:215], v[216:217], 1.0
	v_fma_f64 v[216:217], v[216:217], v[218:219], v[216:217]
	v_fma_f64 v[218:219], -v[214:215], v[216:217], 1.0
	v_fma_f64 v[216:217], v[216:217], v[218:219], v[216:217]
	v_mul_f64 v[218:219], v[220:221], v[216:217]
	v_fma_f64 v[214:215], -v[214:215], v[218:219], v[220:221]
	v_div_fmas_f64 v[214:215], v[214:215], v[216:217], v[218:219]
	v_div_fixup_f64 v[214:215], v[214:215], v[230:231], v[232:233]
	v_fma_f64 v[216:217], v[232:233], v[214:215], v[230:231]
	v_div_scale_f64 v[218:219], null, v[216:217], v[216:217], 1.0
	v_rcp_f64_e32 v[220:221], v[218:219]
	v_fma_f64 v[222:223], -v[218:219], v[220:221], 1.0
	v_fma_f64 v[220:221], v[220:221], v[222:223], v[220:221]
	v_fma_f64 v[222:223], -v[218:219], v[220:221], 1.0
	v_fma_f64 v[220:221], v[220:221], v[222:223], v[220:221]
	v_div_scale_f64 v[222:223], vcc_lo, 1.0, v[216:217], 1.0
	v_mul_f64 v[224:225], v[222:223], v[220:221]
	v_fma_f64 v[218:219], -v[218:219], v[224:225], v[222:223]
	v_div_fmas_f64 v[218:219], v[218:219], v[220:221], v[224:225]
	v_div_fixup_f64 v[230:231], v[218:219], v[216:217], 1.0
	v_mul_f64 v[232:233], v[214:215], -v[230:231]
.LBB112_450:
	s_or_b32 exec_lo, exec_lo, s1
.LBB112_451:
	s_or_b32 exec_lo, exec_lo, s0
	s_mov_b32 s0, exec_lo
	v_cmpx_ne_u32_e64 v244, v238
	s_xor_b32 s0, exec_lo, s0
	s_cbranch_execz .LBB112_457
; %bb.452:
	s_mov_b32 s1, exec_lo
	v_cmpx_eq_u32_e32 21, v244
	s_cbranch_execz .LBB112_456
; %bb.453:
	v_cmp_ne_u32_e32 vcc_lo, 21, v238
	s_xor_b32 s7, s16, -1
	s_and_b32 s9, s7, vcc_lo
	s_and_saveexec_b32 s7, s9
	s_cbranch_execz .LBB112_455
; %bb.454:
	s_clause 0x1
	buffer_load_dword v210, off, s[20:23], 0
	buffer_load_dword v211, off, s[20:23], 0 offset:4
	v_ashrrev_i32_e32 v239, 31, v238
	v_lshlrev_b64 v[214:215], 2, v[238:239]
	s_waitcnt vmcnt(1)
	v_add_co_u32 v214, vcc_lo, v210, v214
	s_waitcnt vmcnt(0)
	v_add_co_ci_u32_e64 v215, null, v211, v215, vcc_lo
	s_clause 0x1
	global_load_dword v0, v[214:215], off
	global_load_dword v216, v[210:211], off offset:84
	s_waitcnt vmcnt(1)
	global_store_dword v[210:211], v0, off offset:84
	s_waitcnt vmcnt(0)
	global_store_dword v[214:215], v216, off
.LBB112_455:
	s_or_b32 exec_lo, exec_lo, s7
	v_mov_b32_e32 v244, v238
	v_mov_b32_e32 v0, v238
.LBB112_456:
	s_or_b32 exec_lo, exec_lo, s1
.LBB112_457:
	s_andn2_saveexec_b32 s0, s0
	s_cbranch_execz .LBB112_459
; %bb.458:
	v_mov_b32_e32 v244, 21
	ds_write2_b64 v1, v[138:139], v[140:141] offset0:44 offset1:45
	ds_write2_b64 v1, v[134:135], v[136:137] offset0:46 offset1:47
	;; [unrolled: 1-line block ×35, first 2 shown]
.LBB112_459:
	s_or_b32 exec_lo, exec_lo, s0
	s_mov_b32 s0, exec_lo
	s_waitcnt lgkmcnt(0)
	s_waitcnt_vscnt null, 0x0
	s_barrier
	buffer_gl0_inv
	v_cmpx_lt_i32_e32 21, v244
	s_cbranch_execz .LBB112_461
; %bb.460:
	v_mul_f64 v[214:215], v[232:233], v[144:145]
	v_mul_f64 v[144:145], v[230:231], v[144:145]
	v_fma_f64 v[238:239], v[230:231], v[142:143], -v[214:215]
	v_fma_f64 v[144:145], v[232:233], v[142:143], v[144:145]
	ds_read2_b64 v[230:233], v1 offset0:44 offset1:45
	s_waitcnt lgkmcnt(0)
	v_mul_f64 v[142:143], v[232:233], v[144:145]
	v_mul_f64 v[214:215], v[230:231], v[144:145]
	v_fma_f64 v[142:143], v[230:231], v[238:239], -v[142:143]
	v_fma_f64 v[214:215], v[232:233], v[238:239], v[214:215]
	ds_read2_b64 v[230:233], v1 offset0:46 offset1:47
	v_add_f64 v[138:139], v[138:139], -v[142:143]
	v_add_f64 v[140:141], v[140:141], -v[214:215]
	s_waitcnt lgkmcnt(0)
	v_mul_f64 v[142:143], v[232:233], v[144:145]
	v_mul_f64 v[214:215], v[230:231], v[144:145]
	v_fma_f64 v[142:143], v[230:231], v[238:239], -v[142:143]
	v_fma_f64 v[214:215], v[232:233], v[238:239], v[214:215]
	ds_read2_b64 v[230:233], v1 offset0:48 offset1:49
	v_add_f64 v[134:135], v[134:135], -v[142:143]
	v_add_f64 v[136:137], v[136:137], -v[214:215]
	;; [unrolled: 8-line block ×34, first 2 shown]
	s_waitcnt lgkmcnt(0)
	v_mul_f64 v[142:143], v[232:233], v[144:145]
	v_mul_f64 v[214:215], v[230:231], v[144:145]
	v_fma_f64 v[142:143], v[230:231], v[238:239], -v[142:143]
	v_fma_f64 v[214:215], v[232:233], v[238:239], v[214:215]
	v_add_f64 v[250:251], v[250:251], -v[142:143]
	v_add_f64 v[252:253], v[252:253], -v[214:215]
	v_mov_b32_e32 v142, v238
	v_mov_b32_e32 v143, v239
.LBB112_461:
	s_or_b32 exec_lo, exec_lo, s0
	v_lshl_add_u32 v214, v244, 4, v1
	s_barrier
	buffer_gl0_inv
	v_mov_b32_e32 v238, 22
	ds_write2_b64 v214, v[138:139], v[140:141] offset1:1
	s_waitcnt lgkmcnt(0)
	s_barrier
	buffer_gl0_inv
	ds_read2_b64 v[230:233], v1 offset0:44 offset1:45
	s_cmp_lt_i32 s8, 24
	s_cbranch_scc1 .LBB112_464
; %bb.462:
	v_add3_u32 v239, v228, 0, 0x170
	v_mov_b32_e32 v238, 22
	s_mov_b32 s0, 23
	s_inst_prefetch 0x1
	.p2align	6
.LBB112_463:                            ; =>This Inner Loop Header: Depth=1
	s_waitcnt lgkmcnt(0)
	v_cmp_gt_f64_e32 vcc_lo, 0, v[230:231]
	v_xor_b32_e32 v214, 0x80000000, v231
	ds_read2_b64 v[245:248], v239 offset1:1
	v_xor_b32_e32 v216, 0x80000000, v233
	v_add_nc_u32_e32 v239, 16, v239
	s_waitcnt lgkmcnt(0)
	v_xor_b32_e32 v218, 0x80000000, v248
	v_cndmask_b32_e32 v215, v231, v214, vcc_lo
	v_cmp_gt_f64_e32 vcc_lo, 0, v[232:233]
	v_mov_b32_e32 v214, v230
	v_cndmask_b32_e32 v217, v233, v216, vcc_lo
	v_cmp_gt_f64_e32 vcc_lo, 0, v[245:246]
	v_mov_b32_e32 v216, v232
	v_add_f64 v[214:215], v[214:215], v[216:217]
	v_xor_b32_e32 v216, 0x80000000, v246
	v_cndmask_b32_e32 v217, v246, v216, vcc_lo
	v_cmp_gt_f64_e32 vcc_lo, 0, v[247:248]
	v_mov_b32_e32 v216, v245
	v_cndmask_b32_e32 v219, v248, v218, vcc_lo
	v_mov_b32_e32 v218, v247
	v_add_f64 v[216:217], v[216:217], v[218:219]
	v_cmp_lt_f64_e32 vcc_lo, v[214:215], v[216:217]
	v_cndmask_b32_e32 v231, v231, v246, vcc_lo
	v_cndmask_b32_e32 v230, v230, v245, vcc_lo
	;; [unrolled: 1-line block ×4, first 2 shown]
	v_cndmask_b32_e64 v238, v238, s0, vcc_lo
	s_add_i32 s0, s0, 1
	s_cmp_lg_u32 s8, s0
	s_cbranch_scc1 .LBB112_463
.LBB112_464:
	s_inst_prefetch 0x2
	s_waitcnt lgkmcnt(0)
	v_cmp_eq_f64_e32 vcc_lo, 0, v[230:231]
	v_cmp_eq_f64_e64 s0, 0, v[232:233]
	s_and_b32 s0, vcc_lo, s0
	s_and_saveexec_b32 s1, s0
	s_xor_b32 s0, exec_lo, s1
; %bb.465:
	v_cmp_ne_u32_e32 vcc_lo, 0, v243
	v_cndmask_b32_e32 v243, 23, v243, vcc_lo
; %bb.466:
	s_andn2_saveexec_b32 s0, s0
	s_cbranch_execz .LBB112_472
; %bb.467:
	v_cmp_ngt_f64_e64 s1, |v[230:231]|, |v[232:233]|
	s_and_saveexec_b32 s7, s1
	s_xor_b32 s1, exec_lo, s7
	s_cbranch_execz .LBB112_469
; %bb.468:
	v_div_scale_f64 v[214:215], null, v[232:233], v[232:233], v[230:231]
	v_div_scale_f64 v[220:221], vcc_lo, v[230:231], v[232:233], v[230:231]
	v_rcp_f64_e32 v[216:217], v[214:215]
	v_fma_f64 v[218:219], -v[214:215], v[216:217], 1.0
	v_fma_f64 v[216:217], v[216:217], v[218:219], v[216:217]
	v_fma_f64 v[218:219], -v[214:215], v[216:217], 1.0
	v_fma_f64 v[216:217], v[216:217], v[218:219], v[216:217]
	v_mul_f64 v[218:219], v[220:221], v[216:217]
	v_fma_f64 v[214:215], -v[214:215], v[218:219], v[220:221]
	v_div_fmas_f64 v[214:215], v[214:215], v[216:217], v[218:219]
	v_div_fixup_f64 v[214:215], v[214:215], v[232:233], v[230:231]
	v_fma_f64 v[216:217], v[230:231], v[214:215], v[232:233]
	v_div_scale_f64 v[218:219], null, v[216:217], v[216:217], 1.0
	v_rcp_f64_e32 v[220:221], v[218:219]
	v_fma_f64 v[222:223], -v[218:219], v[220:221], 1.0
	v_fma_f64 v[220:221], v[220:221], v[222:223], v[220:221]
	v_fma_f64 v[222:223], -v[218:219], v[220:221], 1.0
	v_fma_f64 v[220:221], v[220:221], v[222:223], v[220:221]
	v_div_scale_f64 v[222:223], vcc_lo, 1.0, v[216:217], 1.0
	v_mul_f64 v[224:225], v[222:223], v[220:221]
	v_fma_f64 v[218:219], -v[218:219], v[224:225], v[222:223]
	v_div_fmas_f64 v[218:219], v[218:219], v[220:221], v[224:225]
	v_div_fixup_f64 v[232:233], v[218:219], v[216:217], 1.0
	v_mul_f64 v[230:231], v[214:215], v[232:233]
	v_xor_b32_e32 v233, 0x80000000, v233
.LBB112_469:
	s_andn2_saveexec_b32 s1, s1
	s_cbranch_execz .LBB112_471
; %bb.470:
	v_div_scale_f64 v[214:215], null, v[230:231], v[230:231], v[232:233]
	v_div_scale_f64 v[220:221], vcc_lo, v[232:233], v[230:231], v[232:233]
	v_rcp_f64_e32 v[216:217], v[214:215]
	v_fma_f64 v[218:219], -v[214:215], v[216:217], 1.0
	v_fma_f64 v[216:217], v[216:217], v[218:219], v[216:217]
	v_fma_f64 v[218:219], -v[214:215], v[216:217], 1.0
	v_fma_f64 v[216:217], v[216:217], v[218:219], v[216:217]
	v_mul_f64 v[218:219], v[220:221], v[216:217]
	v_fma_f64 v[214:215], -v[214:215], v[218:219], v[220:221]
	v_div_fmas_f64 v[214:215], v[214:215], v[216:217], v[218:219]
	v_div_fixup_f64 v[214:215], v[214:215], v[230:231], v[232:233]
	v_fma_f64 v[216:217], v[232:233], v[214:215], v[230:231]
	v_div_scale_f64 v[218:219], null, v[216:217], v[216:217], 1.0
	v_rcp_f64_e32 v[220:221], v[218:219]
	v_fma_f64 v[222:223], -v[218:219], v[220:221], 1.0
	v_fma_f64 v[220:221], v[220:221], v[222:223], v[220:221]
	v_fma_f64 v[222:223], -v[218:219], v[220:221], 1.0
	v_fma_f64 v[220:221], v[220:221], v[222:223], v[220:221]
	v_div_scale_f64 v[222:223], vcc_lo, 1.0, v[216:217], 1.0
	v_mul_f64 v[224:225], v[222:223], v[220:221]
	v_fma_f64 v[218:219], -v[218:219], v[224:225], v[222:223]
	v_div_fmas_f64 v[218:219], v[218:219], v[220:221], v[224:225]
	v_div_fixup_f64 v[230:231], v[218:219], v[216:217], 1.0
	v_mul_f64 v[232:233], v[214:215], -v[230:231]
.LBB112_471:
	s_or_b32 exec_lo, exec_lo, s1
.LBB112_472:
	s_or_b32 exec_lo, exec_lo, s0
	s_mov_b32 s0, exec_lo
	v_cmpx_ne_u32_e64 v244, v238
	s_xor_b32 s0, exec_lo, s0
	s_cbranch_execz .LBB112_478
; %bb.473:
	s_mov_b32 s1, exec_lo
	v_cmpx_eq_u32_e32 22, v244
	s_cbranch_execz .LBB112_477
; %bb.474:
	v_cmp_ne_u32_e32 vcc_lo, 22, v238
	s_xor_b32 s7, s16, -1
	s_and_b32 s9, s7, vcc_lo
	s_and_saveexec_b32 s7, s9
	s_cbranch_execz .LBB112_476
; %bb.475:
	s_clause 0x1
	buffer_load_dword v210, off, s[20:23], 0
	buffer_load_dword v211, off, s[20:23], 0 offset:4
	v_ashrrev_i32_e32 v239, 31, v238
	v_lshlrev_b64 v[214:215], 2, v[238:239]
	s_waitcnt vmcnt(1)
	v_add_co_u32 v214, vcc_lo, v210, v214
	s_waitcnt vmcnt(0)
	v_add_co_ci_u32_e64 v215, null, v211, v215, vcc_lo
	s_clause 0x1
	global_load_dword v0, v[214:215], off
	global_load_dword v216, v[210:211], off offset:88
	s_waitcnt vmcnt(1)
	global_store_dword v[210:211], v0, off offset:88
	s_waitcnt vmcnt(0)
	global_store_dword v[214:215], v216, off
.LBB112_476:
	s_or_b32 exec_lo, exec_lo, s7
	v_mov_b32_e32 v244, v238
	v_mov_b32_e32 v0, v238
.LBB112_477:
	s_or_b32 exec_lo, exec_lo, s1
.LBB112_478:
	s_andn2_saveexec_b32 s0, s0
	s_cbranch_execz .LBB112_480
; %bb.479:
	v_mov_b32_e32 v244, 22
	ds_write2_b64 v1, v[134:135], v[136:137] offset0:46 offset1:47
	ds_write2_b64 v1, v[130:131], v[132:133] offset0:48 offset1:49
	;; [unrolled: 1-line block ×34, first 2 shown]
.LBB112_480:
	s_or_b32 exec_lo, exec_lo, s0
	s_mov_b32 s0, exec_lo
	s_waitcnt lgkmcnt(0)
	s_waitcnt_vscnt null, 0x0
	s_barrier
	buffer_gl0_inv
	v_cmpx_lt_i32_e32 22, v244
	s_cbranch_execz .LBB112_482
; %bb.481:
	v_mul_f64 v[214:215], v[232:233], v[140:141]
	v_mul_f64 v[140:141], v[230:231], v[140:141]
	v_fma_f64 v[238:239], v[230:231], v[138:139], -v[214:215]
	v_fma_f64 v[140:141], v[232:233], v[138:139], v[140:141]
	ds_read2_b64 v[230:233], v1 offset0:46 offset1:47
	s_waitcnt lgkmcnt(0)
	v_mul_f64 v[138:139], v[232:233], v[140:141]
	v_mul_f64 v[214:215], v[230:231], v[140:141]
	v_fma_f64 v[138:139], v[230:231], v[238:239], -v[138:139]
	v_fma_f64 v[214:215], v[232:233], v[238:239], v[214:215]
	ds_read2_b64 v[230:233], v1 offset0:48 offset1:49
	v_add_f64 v[134:135], v[134:135], -v[138:139]
	v_add_f64 v[136:137], v[136:137], -v[214:215]
	s_waitcnt lgkmcnt(0)
	v_mul_f64 v[138:139], v[232:233], v[140:141]
	v_mul_f64 v[214:215], v[230:231], v[140:141]
	v_fma_f64 v[138:139], v[230:231], v[238:239], -v[138:139]
	v_fma_f64 v[214:215], v[232:233], v[238:239], v[214:215]
	ds_read2_b64 v[230:233], v1 offset0:50 offset1:51
	v_add_f64 v[130:131], v[130:131], -v[138:139]
	v_add_f64 v[132:133], v[132:133], -v[214:215]
	;; [unrolled: 8-line block ×33, first 2 shown]
	s_waitcnt lgkmcnt(0)
	v_mul_f64 v[138:139], v[232:233], v[140:141]
	v_mul_f64 v[214:215], v[230:231], v[140:141]
	v_fma_f64 v[138:139], v[230:231], v[238:239], -v[138:139]
	v_fma_f64 v[214:215], v[232:233], v[238:239], v[214:215]
	v_add_f64 v[250:251], v[250:251], -v[138:139]
	v_add_f64 v[252:253], v[252:253], -v[214:215]
	v_mov_b32_e32 v138, v238
	v_mov_b32_e32 v139, v239
.LBB112_482:
	s_or_b32 exec_lo, exec_lo, s0
	v_lshl_add_u32 v214, v244, 4, v1
	s_barrier
	buffer_gl0_inv
	v_mov_b32_e32 v238, 23
	ds_write2_b64 v214, v[134:135], v[136:137] offset1:1
	s_waitcnt lgkmcnt(0)
	s_barrier
	buffer_gl0_inv
	ds_read2_b64 v[230:233], v1 offset0:46 offset1:47
	s_cmp_lt_i32 s8, 25
	s_cbranch_scc1 .LBB112_485
; %bb.483:
	v_add3_u32 v239, v228, 0, 0x180
	v_mov_b32_e32 v238, 23
	s_mov_b32 s0, 24
	s_inst_prefetch 0x1
	.p2align	6
.LBB112_484:                            ; =>This Inner Loop Header: Depth=1
	s_waitcnt lgkmcnt(0)
	v_cmp_gt_f64_e32 vcc_lo, 0, v[230:231]
	v_xor_b32_e32 v214, 0x80000000, v231
	ds_read2_b64 v[245:248], v239 offset1:1
	v_xor_b32_e32 v216, 0x80000000, v233
	v_add_nc_u32_e32 v239, 16, v239
	s_waitcnt lgkmcnt(0)
	v_xor_b32_e32 v218, 0x80000000, v248
	v_cndmask_b32_e32 v215, v231, v214, vcc_lo
	v_cmp_gt_f64_e32 vcc_lo, 0, v[232:233]
	v_mov_b32_e32 v214, v230
	v_cndmask_b32_e32 v217, v233, v216, vcc_lo
	v_cmp_gt_f64_e32 vcc_lo, 0, v[245:246]
	v_mov_b32_e32 v216, v232
	v_add_f64 v[214:215], v[214:215], v[216:217]
	v_xor_b32_e32 v216, 0x80000000, v246
	v_cndmask_b32_e32 v217, v246, v216, vcc_lo
	v_cmp_gt_f64_e32 vcc_lo, 0, v[247:248]
	v_mov_b32_e32 v216, v245
	v_cndmask_b32_e32 v219, v248, v218, vcc_lo
	v_mov_b32_e32 v218, v247
	v_add_f64 v[216:217], v[216:217], v[218:219]
	v_cmp_lt_f64_e32 vcc_lo, v[214:215], v[216:217]
	v_cndmask_b32_e32 v231, v231, v246, vcc_lo
	v_cndmask_b32_e32 v230, v230, v245, vcc_lo
	;; [unrolled: 1-line block ×4, first 2 shown]
	v_cndmask_b32_e64 v238, v238, s0, vcc_lo
	s_add_i32 s0, s0, 1
	s_cmp_lg_u32 s8, s0
	s_cbranch_scc1 .LBB112_484
.LBB112_485:
	s_inst_prefetch 0x2
	s_waitcnt lgkmcnt(0)
	v_cmp_eq_f64_e32 vcc_lo, 0, v[230:231]
	v_cmp_eq_f64_e64 s0, 0, v[232:233]
	s_and_b32 s0, vcc_lo, s0
	s_and_saveexec_b32 s1, s0
	s_xor_b32 s0, exec_lo, s1
; %bb.486:
	v_cmp_ne_u32_e32 vcc_lo, 0, v243
	v_cndmask_b32_e32 v243, 24, v243, vcc_lo
; %bb.487:
	s_andn2_saveexec_b32 s0, s0
	s_cbranch_execz .LBB112_493
; %bb.488:
	v_cmp_ngt_f64_e64 s1, |v[230:231]|, |v[232:233]|
	s_and_saveexec_b32 s7, s1
	s_xor_b32 s1, exec_lo, s7
	s_cbranch_execz .LBB112_490
; %bb.489:
	v_div_scale_f64 v[214:215], null, v[232:233], v[232:233], v[230:231]
	v_div_scale_f64 v[220:221], vcc_lo, v[230:231], v[232:233], v[230:231]
	v_rcp_f64_e32 v[216:217], v[214:215]
	v_fma_f64 v[218:219], -v[214:215], v[216:217], 1.0
	v_fma_f64 v[216:217], v[216:217], v[218:219], v[216:217]
	v_fma_f64 v[218:219], -v[214:215], v[216:217], 1.0
	v_fma_f64 v[216:217], v[216:217], v[218:219], v[216:217]
	v_mul_f64 v[218:219], v[220:221], v[216:217]
	v_fma_f64 v[214:215], -v[214:215], v[218:219], v[220:221]
	v_div_fmas_f64 v[214:215], v[214:215], v[216:217], v[218:219]
	v_div_fixup_f64 v[214:215], v[214:215], v[232:233], v[230:231]
	v_fma_f64 v[216:217], v[230:231], v[214:215], v[232:233]
	v_div_scale_f64 v[218:219], null, v[216:217], v[216:217], 1.0
	v_rcp_f64_e32 v[220:221], v[218:219]
	v_fma_f64 v[222:223], -v[218:219], v[220:221], 1.0
	v_fma_f64 v[220:221], v[220:221], v[222:223], v[220:221]
	v_fma_f64 v[222:223], -v[218:219], v[220:221], 1.0
	v_fma_f64 v[220:221], v[220:221], v[222:223], v[220:221]
	v_div_scale_f64 v[222:223], vcc_lo, 1.0, v[216:217], 1.0
	v_mul_f64 v[224:225], v[222:223], v[220:221]
	v_fma_f64 v[218:219], -v[218:219], v[224:225], v[222:223]
	v_div_fmas_f64 v[218:219], v[218:219], v[220:221], v[224:225]
	v_div_fixup_f64 v[232:233], v[218:219], v[216:217], 1.0
	v_mul_f64 v[230:231], v[214:215], v[232:233]
	v_xor_b32_e32 v233, 0x80000000, v233
.LBB112_490:
	s_andn2_saveexec_b32 s1, s1
	s_cbranch_execz .LBB112_492
; %bb.491:
	v_div_scale_f64 v[214:215], null, v[230:231], v[230:231], v[232:233]
	v_div_scale_f64 v[220:221], vcc_lo, v[232:233], v[230:231], v[232:233]
	v_rcp_f64_e32 v[216:217], v[214:215]
	v_fma_f64 v[218:219], -v[214:215], v[216:217], 1.0
	v_fma_f64 v[216:217], v[216:217], v[218:219], v[216:217]
	v_fma_f64 v[218:219], -v[214:215], v[216:217], 1.0
	v_fma_f64 v[216:217], v[216:217], v[218:219], v[216:217]
	v_mul_f64 v[218:219], v[220:221], v[216:217]
	v_fma_f64 v[214:215], -v[214:215], v[218:219], v[220:221]
	v_div_fmas_f64 v[214:215], v[214:215], v[216:217], v[218:219]
	v_div_fixup_f64 v[214:215], v[214:215], v[230:231], v[232:233]
	v_fma_f64 v[216:217], v[232:233], v[214:215], v[230:231]
	v_div_scale_f64 v[218:219], null, v[216:217], v[216:217], 1.0
	v_rcp_f64_e32 v[220:221], v[218:219]
	v_fma_f64 v[222:223], -v[218:219], v[220:221], 1.0
	v_fma_f64 v[220:221], v[220:221], v[222:223], v[220:221]
	v_fma_f64 v[222:223], -v[218:219], v[220:221], 1.0
	v_fma_f64 v[220:221], v[220:221], v[222:223], v[220:221]
	v_div_scale_f64 v[222:223], vcc_lo, 1.0, v[216:217], 1.0
	v_mul_f64 v[224:225], v[222:223], v[220:221]
	v_fma_f64 v[218:219], -v[218:219], v[224:225], v[222:223]
	v_div_fmas_f64 v[218:219], v[218:219], v[220:221], v[224:225]
	v_div_fixup_f64 v[230:231], v[218:219], v[216:217], 1.0
	v_mul_f64 v[232:233], v[214:215], -v[230:231]
.LBB112_492:
	s_or_b32 exec_lo, exec_lo, s1
.LBB112_493:
	s_or_b32 exec_lo, exec_lo, s0
	s_mov_b32 s0, exec_lo
	v_cmpx_ne_u32_e64 v244, v238
	s_xor_b32 s0, exec_lo, s0
	s_cbranch_execz .LBB112_499
; %bb.494:
	s_mov_b32 s1, exec_lo
	v_cmpx_eq_u32_e32 23, v244
	s_cbranch_execz .LBB112_498
; %bb.495:
	v_cmp_ne_u32_e32 vcc_lo, 23, v238
	s_xor_b32 s7, s16, -1
	s_and_b32 s9, s7, vcc_lo
	s_and_saveexec_b32 s7, s9
	s_cbranch_execz .LBB112_497
; %bb.496:
	s_clause 0x1
	buffer_load_dword v210, off, s[20:23], 0
	buffer_load_dword v211, off, s[20:23], 0 offset:4
	v_ashrrev_i32_e32 v239, 31, v238
	v_lshlrev_b64 v[214:215], 2, v[238:239]
	s_waitcnt vmcnt(1)
	v_add_co_u32 v214, vcc_lo, v210, v214
	s_waitcnt vmcnt(0)
	v_add_co_ci_u32_e64 v215, null, v211, v215, vcc_lo
	s_clause 0x1
	global_load_dword v0, v[214:215], off
	global_load_dword v216, v[210:211], off offset:92
	s_waitcnt vmcnt(1)
	global_store_dword v[210:211], v0, off offset:92
	s_waitcnt vmcnt(0)
	global_store_dword v[214:215], v216, off
.LBB112_497:
	s_or_b32 exec_lo, exec_lo, s7
	v_mov_b32_e32 v244, v238
	v_mov_b32_e32 v0, v238
.LBB112_498:
	s_or_b32 exec_lo, exec_lo, s1
.LBB112_499:
	s_andn2_saveexec_b32 s0, s0
	s_cbranch_execz .LBB112_501
; %bb.500:
	v_mov_b32_e32 v244, 23
	ds_write2_b64 v1, v[130:131], v[132:133] offset0:48 offset1:49
	ds_write2_b64 v1, v[126:127], v[128:129] offset0:50 offset1:51
	;; [unrolled: 1-line block ×33, first 2 shown]
.LBB112_501:
	s_or_b32 exec_lo, exec_lo, s0
	s_mov_b32 s0, exec_lo
	s_waitcnt lgkmcnt(0)
	s_waitcnt_vscnt null, 0x0
	s_barrier
	buffer_gl0_inv
	v_cmpx_lt_i32_e32 23, v244
	s_cbranch_execz .LBB112_503
; %bb.502:
	v_mul_f64 v[214:215], v[232:233], v[136:137]
	v_mul_f64 v[136:137], v[230:231], v[136:137]
	v_fma_f64 v[238:239], v[230:231], v[134:135], -v[214:215]
	v_fma_f64 v[136:137], v[232:233], v[134:135], v[136:137]
	ds_read2_b64 v[230:233], v1 offset0:48 offset1:49
	s_waitcnt lgkmcnt(0)
	v_mul_f64 v[134:135], v[232:233], v[136:137]
	v_mul_f64 v[214:215], v[230:231], v[136:137]
	v_fma_f64 v[134:135], v[230:231], v[238:239], -v[134:135]
	v_fma_f64 v[214:215], v[232:233], v[238:239], v[214:215]
	ds_read2_b64 v[230:233], v1 offset0:50 offset1:51
	v_add_f64 v[130:131], v[130:131], -v[134:135]
	v_add_f64 v[132:133], v[132:133], -v[214:215]
	s_waitcnt lgkmcnt(0)
	v_mul_f64 v[134:135], v[232:233], v[136:137]
	v_mul_f64 v[214:215], v[230:231], v[136:137]
	v_fma_f64 v[134:135], v[230:231], v[238:239], -v[134:135]
	v_fma_f64 v[214:215], v[232:233], v[238:239], v[214:215]
	ds_read2_b64 v[230:233], v1 offset0:52 offset1:53
	v_add_f64 v[126:127], v[126:127], -v[134:135]
	v_add_f64 v[128:129], v[128:129], -v[214:215]
	;; [unrolled: 8-line block ×32, first 2 shown]
	s_waitcnt lgkmcnt(0)
	v_mul_f64 v[134:135], v[232:233], v[136:137]
	v_mul_f64 v[214:215], v[230:231], v[136:137]
	v_fma_f64 v[134:135], v[230:231], v[238:239], -v[134:135]
	v_fma_f64 v[214:215], v[232:233], v[238:239], v[214:215]
	v_add_f64 v[250:251], v[250:251], -v[134:135]
	v_add_f64 v[252:253], v[252:253], -v[214:215]
	v_mov_b32_e32 v134, v238
	v_mov_b32_e32 v135, v239
.LBB112_503:
	s_or_b32 exec_lo, exec_lo, s0
	v_lshl_add_u32 v214, v244, 4, v1
	s_barrier
	buffer_gl0_inv
	v_mov_b32_e32 v238, 24
	ds_write2_b64 v214, v[130:131], v[132:133] offset1:1
	s_waitcnt lgkmcnt(0)
	s_barrier
	buffer_gl0_inv
	ds_read2_b64 v[230:233], v1 offset0:48 offset1:49
	s_cmp_lt_i32 s8, 26
	s_cbranch_scc1 .LBB112_506
; %bb.504:
	v_add3_u32 v239, v228, 0, 0x190
	v_mov_b32_e32 v238, 24
	s_mov_b32 s0, 25
	s_inst_prefetch 0x1
	.p2align	6
.LBB112_505:                            ; =>This Inner Loop Header: Depth=1
	s_waitcnt lgkmcnt(0)
	v_cmp_gt_f64_e32 vcc_lo, 0, v[230:231]
	v_xor_b32_e32 v214, 0x80000000, v231
	ds_read2_b64 v[245:248], v239 offset1:1
	v_xor_b32_e32 v216, 0x80000000, v233
	v_add_nc_u32_e32 v239, 16, v239
	s_waitcnt lgkmcnt(0)
	v_xor_b32_e32 v218, 0x80000000, v248
	v_cndmask_b32_e32 v215, v231, v214, vcc_lo
	v_cmp_gt_f64_e32 vcc_lo, 0, v[232:233]
	v_mov_b32_e32 v214, v230
	v_cndmask_b32_e32 v217, v233, v216, vcc_lo
	v_cmp_gt_f64_e32 vcc_lo, 0, v[245:246]
	v_mov_b32_e32 v216, v232
	v_add_f64 v[214:215], v[214:215], v[216:217]
	v_xor_b32_e32 v216, 0x80000000, v246
	v_cndmask_b32_e32 v217, v246, v216, vcc_lo
	v_cmp_gt_f64_e32 vcc_lo, 0, v[247:248]
	v_mov_b32_e32 v216, v245
	v_cndmask_b32_e32 v219, v248, v218, vcc_lo
	v_mov_b32_e32 v218, v247
	v_add_f64 v[216:217], v[216:217], v[218:219]
	v_cmp_lt_f64_e32 vcc_lo, v[214:215], v[216:217]
	v_cndmask_b32_e32 v231, v231, v246, vcc_lo
	v_cndmask_b32_e32 v230, v230, v245, vcc_lo
	;; [unrolled: 1-line block ×4, first 2 shown]
	v_cndmask_b32_e64 v238, v238, s0, vcc_lo
	s_add_i32 s0, s0, 1
	s_cmp_lg_u32 s8, s0
	s_cbranch_scc1 .LBB112_505
.LBB112_506:
	s_inst_prefetch 0x2
	s_waitcnt lgkmcnt(0)
	v_cmp_eq_f64_e32 vcc_lo, 0, v[230:231]
	v_cmp_eq_f64_e64 s0, 0, v[232:233]
	s_and_b32 s0, vcc_lo, s0
	s_and_saveexec_b32 s1, s0
	s_xor_b32 s0, exec_lo, s1
; %bb.507:
	v_cmp_ne_u32_e32 vcc_lo, 0, v243
	v_cndmask_b32_e32 v243, 25, v243, vcc_lo
; %bb.508:
	s_andn2_saveexec_b32 s0, s0
	s_cbranch_execz .LBB112_514
; %bb.509:
	v_cmp_ngt_f64_e64 s1, |v[230:231]|, |v[232:233]|
	s_and_saveexec_b32 s7, s1
	s_xor_b32 s1, exec_lo, s7
	s_cbranch_execz .LBB112_511
; %bb.510:
	v_div_scale_f64 v[214:215], null, v[232:233], v[232:233], v[230:231]
	v_div_scale_f64 v[220:221], vcc_lo, v[230:231], v[232:233], v[230:231]
	v_rcp_f64_e32 v[216:217], v[214:215]
	v_fma_f64 v[218:219], -v[214:215], v[216:217], 1.0
	v_fma_f64 v[216:217], v[216:217], v[218:219], v[216:217]
	v_fma_f64 v[218:219], -v[214:215], v[216:217], 1.0
	v_fma_f64 v[216:217], v[216:217], v[218:219], v[216:217]
	v_mul_f64 v[218:219], v[220:221], v[216:217]
	v_fma_f64 v[214:215], -v[214:215], v[218:219], v[220:221]
	v_div_fmas_f64 v[214:215], v[214:215], v[216:217], v[218:219]
	v_div_fixup_f64 v[214:215], v[214:215], v[232:233], v[230:231]
	v_fma_f64 v[216:217], v[230:231], v[214:215], v[232:233]
	v_div_scale_f64 v[218:219], null, v[216:217], v[216:217], 1.0
	v_rcp_f64_e32 v[220:221], v[218:219]
	v_fma_f64 v[222:223], -v[218:219], v[220:221], 1.0
	v_fma_f64 v[220:221], v[220:221], v[222:223], v[220:221]
	v_fma_f64 v[222:223], -v[218:219], v[220:221], 1.0
	v_fma_f64 v[220:221], v[220:221], v[222:223], v[220:221]
	v_div_scale_f64 v[222:223], vcc_lo, 1.0, v[216:217], 1.0
	v_mul_f64 v[224:225], v[222:223], v[220:221]
	v_fma_f64 v[218:219], -v[218:219], v[224:225], v[222:223]
	v_div_fmas_f64 v[218:219], v[218:219], v[220:221], v[224:225]
	v_div_fixup_f64 v[232:233], v[218:219], v[216:217], 1.0
	v_mul_f64 v[230:231], v[214:215], v[232:233]
	v_xor_b32_e32 v233, 0x80000000, v233
.LBB112_511:
	s_andn2_saveexec_b32 s1, s1
	s_cbranch_execz .LBB112_513
; %bb.512:
	v_div_scale_f64 v[214:215], null, v[230:231], v[230:231], v[232:233]
	v_div_scale_f64 v[220:221], vcc_lo, v[232:233], v[230:231], v[232:233]
	v_rcp_f64_e32 v[216:217], v[214:215]
	v_fma_f64 v[218:219], -v[214:215], v[216:217], 1.0
	v_fma_f64 v[216:217], v[216:217], v[218:219], v[216:217]
	v_fma_f64 v[218:219], -v[214:215], v[216:217], 1.0
	v_fma_f64 v[216:217], v[216:217], v[218:219], v[216:217]
	v_mul_f64 v[218:219], v[220:221], v[216:217]
	v_fma_f64 v[214:215], -v[214:215], v[218:219], v[220:221]
	v_div_fmas_f64 v[214:215], v[214:215], v[216:217], v[218:219]
	v_div_fixup_f64 v[214:215], v[214:215], v[230:231], v[232:233]
	v_fma_f64 v[216:217], v[232:233], v[214:215], v[230:231]
	v_div_scale_f64 v[218:219], null, v[216:217], v[216:217], 1.0
	v_rcp_f64_e32 v[220:221], v[218:219]
	v_fma_f64 v[222:223], -v[218:219], v[220:221], 1.0
	v_fma_f64 v[220:221], v[220:221], v[222:223], v[220:221]
	v_fma_f64 v[222:223], -v[218:219], v[220:221], 1.0
	v_fma_f64 v[220:221], v[220:221], v[222:223], v[220:221]
	v_div_scale_f64 v[222:223], vcc_lo, 1.0, v[216:217], 1.0
	v_mul_f64 v[224:225], v[222:223], v[220:221]
	v_fma_f64 v[218:219], -v[218:219], v[224:225], v[222:223]
	v_div_fmas_f64 v[218:219], v[218:219], v[220:221], v[224:225]
	v_div_fixup_f64 v[230:231], v[218:219], v[216:217], 1.0
	v_mul_f64 v[232:233], v[214:215], -v[230:231]
.LBB112_513:
	s_or_b32 exec_lo, exec_lo, s1
.LBB112_514:
	s_or_b32 exec_lo, exec_lo, s0
	s_mov_b32 s0, exec_lo
	v_cmpx_ne_u32_e64 v244, v238
	s_xor_b32 s0, exec_lo, s0
	s_cbranch_execz .LBB112_520
; %bb.515:
	s_mov_b32 s1, exec_lo
	v_cmpx_eq_u32_e32 24, v244
	s_cbranch_execz .LBB112_519
; %bb.516:
	v_cmp_ne_u32_e32 vcc_lo, 24, v238
	s_xor_b32 s7, s16, -1
	s_and_b32 s9, s7, vcc_lo
	s_and_saveexec_b32 s7, s9
	s_cbranch_execz .LBB112_518
; %bb.517:
	s_clause 0x1
	buffer_load_dword v210, off, s[20:23], 0
	buffer_load_dword v211, off, s[20:23], 0 offset:4
	v_ashrrev_i32_e32 v239, 31, v238
	v_lshlrev_b64 v[214:215], 2, v[238:239]
	s_waitcnt vmcnt(1)
	v_add_co_u32 v214, vcc_lo, v210, v214
	s_waitcnt vmcnt(0)
	v_add_co_ci_u32_e64 v215, null, v211, v215, vcc_lo
	s_clause 0x1
	global_load_dword v0, v[214:215], off
	global_load_dword v216, v[210:211], off offset:96
	s_waitcnt vmcnt(1)
	global_store_dword v[210:211], v0, off offset:96
	s_waitcnt vmcnt(0)
	global_store_dword v[214:215], v216, off
.LBB112_518:
	s_or_b32 exec_lo, exec_lo, s7
	v_mov_b32_e32 v244, v238
	v_mov_b32_e32 v0, v238
.LBB112_519:
	s_or_b32 exec_lo, exec_lo, s1
.LBB112_520:
	s_andn2_saveexec_b32 s0, s0
	s_cbranch_execz .LBB112_522
; %bb.521:
	v_mov_b32_e32 v244, 24
	ds_write2_b64 v1, v[126:127], v[128:129] offset0:50 offset1:51
	ds_write2_b64 v1, v[122:123], v[124:125] offset0:52 offset1:53
	;; [unrolled: 1-line block ×32, first 2 shown]
.LBB112_522:
	s_or_b32 exec_lo, exec_lo, s0
	s_mov_b32 s0, exec_lo
	s_waitcnt lgkmcnt(0)
	s_waitcnt_vscnt null, 0x0
	s_barrier
	buffer_gl0_inv
	v_cmpx_lt_i32_e32 24, v244
	s_cbranch_execz .LBB112_524
; %bb.523:
	v_mul_f64 v[214:215], v[232:233], v[132:133]
	v_mul_f64 v[132:133], v[230:231], v[132:133]
	v_fma_f64 v[238:239], v[230:231], v[130:131], -v[214:215]
	v_fma_f64 v[132:133], v[232:233], v[130:131], v[132:133]
	ds_read2_b64 v[230:233], v1 offset0:50 offset1:51
	s_waitcnt lgkmcnt(0)
	v_mul_f64 v[130:131], v[232:233], v[132:133]
	v_mul_f64 v[214:215], v[230:231], v[132:133]
	v_fma_f64 v[130:131], v[230:231], v[238:239], -v[130:131]
	v_fma_f64 v[214:215], v[232:233], v[238:239], v[214:215]
	ds_read2_b64 v[230:233], v1 offset0:52 offset1:53
	v_add_f64 v[126:127], v[126:127], -v[130:131]
	v_add_f64 v[128:129], v[128:129], -v[214:215]
	s_waitcnt lgkmcnt(0)
	v_mul_f64 v[130:131], v[232:233], v[132:133]
	v_mul_f64 v[214:215], v[230:231], v[132:133]
	v_fma_f64 v[130:131], v[230:231], v[238:239], -v[130:131]
	v_fma_f64 v[214:215], v[232:233], v[238:239], v[214:215]
	ds_read2_b64 v[230:233], v1 offset0:54 offset1:55
	v_add_f64 v[122:123], v[122:123], -v[130:131]
	v_add_f64 v[124:125], v[124:125], -v[214:215]
	;; [unrolled: 8-line block ×31, first 2 shown]
	s_waitcnt lgkmcnt(0)
	v_mul_f64 v[130:131], v[232:233], v[132:133]
	v_mul_f64 v[214:215], v[230:231], v[132:133]
	v_fma_f64 v[130:131], v[230:231], v[238:239], -v[130:131]
	v_fma_f64 v[214:215], v[232:233], v[238:239], v[214:215]
	v_add_f64 v[250:251], v[250:251], -v[130:131]
	v_add_f64 v[252:253], v[252:253], -v[214:215]
	v_mov_b32_e32 v130, v238
	v_mov_b32_e32 v131, v239
.LBB112_524:
	s_or_b32 exec_lo, exec_lo, s0
	v_lshl_add_u32 v214, v244, 4, v1
	s_barrier
	buffer_gl0_inv
	v_mov_b32_e32 v238, 25
	ds_write2_b64 v214, v[126:127], v[128:129] offset1:1
	s_waitcnt lgkmcnt(0)
	s_barrier
	buffer_gl0_inv
	ds_read2_b64 v[230:233], v1 offset0:50 offset1:51
	s_cmp_lt_i32 s8, 27
	s_cbranch_scc1 .LBB112_527
; %bb.525:
	v_add3_u32 v239, v228, 0, 0x1a0
	v_mov_b32_e32 v238, 25
	s_mov_b32 s0, 26
	s_inst_prefetch 0x1
	.p2align	6
.LBB112_526:                            ; =>This Inner Loop Header: Depth=1
	s_waitcnt lgkmcnt(0)
	v_cmp_gt_f64_e32 vcc_lo, 0, v[230:231]
	v_xor_b32_e32 v214, 0x80000000, v231
	ds_read2_b64 v[245:248], v239 offset1:1
	v_xor_b32_e32 v216, 0x80000000, v233
	v_add_nc_u32_e32 v239, 16, v239
	s_waitcnt lgkmcnt(0)
	v_xor_b32_e32 v218, 0x80000000, v248
	v_cndmask_b32_e32 v215, v231, v214, vcc_lo
	v_cmp_gt_f64_e32 vcc_lo, 0, v[232:233]
	v_mov_b32_e32 v214, v230
	v_cndmask_b32_e32 v217, v233, v216, vcc_lo
	v_cmp_gt_f64_e32 vcc_lo, 0, v[245:246]
	v_mov_b32_e32 v216, v232
	v_add_f64 v[214:215], v[214:215], v[216:217]
	v_xor_b32_e32 v216, 0x80000000, v246
	v_cndmask_b32_e32 v217, v246, v216, vcc_lo
	v_cmp_gt_f64_e32 vcc_lo, 0, v[247:248]
	v_mov_b32_e32 v216, v245
	v_cndmask_b32_e32 v219, v248, v218, vcc_lo
	v_mov_b32_e32 v218, v247
	v_add_f64 v[216:217], v[216:217], v[218:219]
	v_cmp_lt_f64_e32 vcc_lo, v[214:215], v[216:217]
	v_cndmask_b32_e32 v231, v231, v246, vcc_lo
	v_cndmask_b32_e32 v230, v230, v245, vcc_lo
	;; [unrolled: 1-line block ×4, first 2 shown]
	v_cndmask_b32_e64 v238, v238, s0, vcc_lo
	s_add_i32 s0, s0, 1
	s_cmp_lg_u32 s8, s0
	s_cbranch_scc1 .LBB112_526
.LBB112_527:
	s_inst_prefetch 0x2
	s_waitcnt lgkmcnt(0)
	v_cmp_eq_f64_e32 vcc_lo, 0, v[230:231]
	v_cmp_eq_f64_e64 s0, 0, v[232:233]
	s_and_b32 s0, vcc_lo, s0
	s_and_saveexec_b32 s1, s0
	s_xor_b32 s0, exec_lo, s1
; %bb.528:
	v_cmp_ne_u32_e32 vcc_lo, 0, v243
	v_cndmask_b32_e32 v243, 26, v243, vcc_lo
; %bb.529:
	s_andn2_saveexec_b32 s0, s0
	s_cbranch_execz .LBB112_535
; %bb.530:
	v_cmp_ngt_f64_e64 s1, |v[230:231]|, |v[232:233]|
	s_and_saveexec_b32 s7, s1
	s_xor_b32 s1, exec_lo, s7
	s_cbranch_execz .LBB112_532
; %bb.531:
	v_div_scale_f64 v[214:215], null, v[232:233], v[232:233], v[230:231]
	v_div_scale_f64 v[220:221], vcc_lo, v[230:231], v[232:233], v[230:231]
	v_rcp_f64_e32 v[216:217], v[214:215]
	v_fma_f64 v[218:219], -v[214:215], v[216:217], 1.0
	v_fma_f64 v[216:217], v[216:217], v[218:219], v[216:217]
	v_fma_f64 v[218:219], -v[214:215], v[216:217], 1.0
	v_fma_f64 v[216:217], v[216:217], v[218:219], v[216:217]
	v_mul_f64 v[218:219], v[220:221], v[216:217]
	v_fma_f64 v[214:215], -v[214:215], v[218:219], v[220:221]
	v_div_fmas_f64 v[214:215], v[214:215], v[216:217], v[218:219]
	v_div_fixup_f64 v[214:215], v[214:215], v[232:233], v[230:231]
	v_fma_f64 v[216:217], v[230:231], v[214:215], v[232:233]
	v_div_scale_f64 v[218:219], null, v[216:217], v[216:217], 1.0
	v_rcp_f64_e32 v[220:221], v[218:219]
	v_fma_f64 v[222:223], -v[218:219], v[220:221], 1.0
	v_fma_f64 v[220:221], v[220:221], v[222:223], v[220:221]
	v_fma_f64 v[222:223], -v[218:219], v[220:221], 1.0
	v_fma_f64 v[220:221], v[220:221], v[222:223], v[220:221]
	v_div_scale_f64 v[222:223], vcc_lo, 1.0, v[216:217], 1.0
	v_mul_f64 v[224:225], v[222:223], v[220:221]
	v_fma_f64 v[218:219], -v[218:219], v[224:225], v[222:223]
	v_div_fmas_f64 v[218:219], v[218:219], v[220:221], v[224:225]
	v_div_fixup_f64 v[232:233], v[218:219], v[216:217], 1.0
	v_mul_f64 v[230:231], v[214:215], v[232:233]
	v_xor_b32_e32 v233, 0x80000000, v233
.LBB112_532:
	s_andn2_saveexec_b32 s1, s1
	s_cbranch_execz .LBB112_534
; %bb.533:
	v_div_scale_f64 v[214:215], null, v[230:231], v[230:231], v[232:233]
	v_div_scale_f64 v[220:221], vcc_lo, v[232:233], v[230:231], v[232:233]
	v_rcp_f64_e32 v[216:217], v[214:215]
	v_fma_f64 v[218:219], -v[214:215], v[216:217], 1.0
	v_fma_f64 v[216:217], v[216:217], v[218:219], v[216:217]
	v_fma_f64 v[218:219], -v[214:215], v[216:217], 1.0
	v_fma_f64 v[216:217], v[216:217], v[218:219], v[216:217]
	v_mul_f64 v[218:219], v[220:221], v[216:217]
	v_fma_f64 v[214:215], -v[214:215], v[218:219], v[220:221]
	v_div_fmas_f64 v[214:215], v[214:215], v[216:217], v[218:219]
	v_div_fixup_f64 v[214:215], v[214:215], v[230:231], v[232:233]
	v_fma_f64 v[216:217], v[232:233], v[214:215], v[230:231]
	v_div_scale_f64 v[218:219], null, v[216:217], v[216:217], 1.0
	v_rcp_f64_e32 v[220:221], v[218:219]
	v_fma_f64 v[222:223], -v[218:219], v[220:221], 1.0
	v_fma_f64 v[220:221], v[220:221], v[222:223], v[220:221]
	v_fma_f64 v[222:223], -v[218:219], v[220:221], 1.0
	v_fma_f64 v[220:221], v[220:221], v[222:223], v[220:221]
	v_div_scale_f64 v[222:223], vcc_lo, 1.0, v[216:217], 1.0
	v_mul_f64 v[224:225], v[222:223], v[220:221]
	v_fma_f64 v[218:219], -v[218:219], v[224:225], v[222:223]
	v_div_fmas_f64 v[218:219], v[218:219], v[220:221], v[224:225]
	v_div_fixup_f64 v[230:231], v[218:219], v[216:217], 1.0
	v_mul_f64 v[232:233], v[214:215], -v[230:231]
.LBB112_534:
	s_or_b32 exec_lo, exec_lo, s1
.LBB112_535:
	s_or_b32 exec_lo, exec_lo, s0
	s_mov_b32 s0, exec_lo
	v_cmpx_ne_u32_e64 v244, v238
	s_xor_b32 s0, exec_lo, s0
	s_cbranch_execz .LBB112_541
; %bb.536:
	s_mov_b32 s1, exec_lo
	v_cmpx_eq_u32_e32 25, v244
	s_cbranch_execz .LBB112_540
; %bb.537:
	v_cmp_ne_u32_e32 vcc_lo, 25, v238
	s_xor_b32 s7, s16, -1
	s_and_b32 s9, s7, vcc_lo
	s_and_saveexec_b32 s7, s9
	s_cbranch_execz .LBB112_539
; %bb.538:
	s_clause 0x1
	buffer_load_dword v210, off, s[20:23], 0
	buffer_load_dword v211, off, s[20:23], 0 offset:4
	v_ashrrev_i32_e32 v239, 31, v238
	v_lshlrev_b64 v[214:215], 2, v[238:239]
	s_waitcnt vmcnt(1)
	v_add_co_u32 v214, vcc_lo, v210, v214
	s_waitcnt vmcnt(0)
	v_add_co_ci_u32_e64 v215, null, v211, v215, vcc_lo
	s_clause 0x1
	global_load_dword v0, v[214:215], off
	global_load_dword v216, v[210:211], off offset:100
	s_waitcnt vmcnt(1)
	global_store_dword v[210:211], v0, off offset:100
	s_waitcnt vmcnt(0)
	global_store_dword v[214:215], v216, off
.LBB112_539:
	s_or_b32 exec_lo, exec_lo, s7
	v_mov_b32_e32 v244, v238
	v_mov_b32_e32 v0, v238
.LBB112_540:
	s_or_b32 exec_lo, exec_lo, s1
.LBB112_541:
	s_andn2_saveexec_b32 s0, s0
	s_cbranch_execz .LBB112_543
; %bb.542:
	v_mov_b32_e32 v244, 25
	ds_write2_b64 v1, v[122:123], v[124:125] offset0:52 offset1:53
	ds_write2_b64 v1, v[118:119], v[120:121] offset0:54 offset1:55
	ds_write2_b64 v1, v[114:115], v[116:117] offset0:56 offset1:57
	ds_write2_b64 v1, v[110:111], v[112:113] offset0:58 offset1:59
	ds_write2_b64 v1, v[106:107], v[108:109] offset0:60 offset1:61
	ds_write2_b64 v1, v[102:103], v[104:105] offset0:62 offset1:63
	ds_write2_b64 v1, v[98:99], v[100:101] offset0:64 offset1:65
	ds_write2_b64 v1, v[94:95], v[96:97] offset0:66 offset1:67
	ds_write2_b64 v1, v[90:91], v[92:93] offset0:68 offset1:69
	ds_write2_b64 v1, v[86:87], v[88:89] offset0:70 offset1:71
	ds_write2_b64 v1, v[82:83], v[84:85] offset0:72 offset1:73
	ds_write2_b64 v1, v[78:79], v[80:81] offset0:74 offset1:75
	ds_write2_b64 v1, v[74:75], v[76:77] offset0:76 offset1:77
	ds_write2_b64 v1, v[70:71], v[72:73] offset0:78 offset1:79
	ds_write2_b64 v1, v[66:67], v[68:69] offset0:80 offset1:81
	ds_write2_b64 v1, v[62:63], v[64:65] offset0:82 offset1:83
	ds_write2_b64 v1, v[58:59], v[60:61] offset0:84 offset1:85
	ds_write2_b64 v1, v[54:55], v[56:57] offset0:86 offset1:87
	ds_write2_b64 v1, v[50:51], v[52:53] offset0:88 offset1:89
	ds_write2_b64 v1, v[46:47], v[48:49] offset0:90 offset1:91
	ds_write2_b64 v1, v[42:43], v[44:45] offset0:92 offset1:93
	ds_write2_b64 v1, v[38:39], v[40:41] offset0:94 offset1:95
	ds_write2_b64 v1, v[34:35], v[36:37] offset0:96 offset1:97
	ds_write2_b64 v1, v[30:31], v[32:33] offset0:98 offset1:99
	ds_write2_b64 v1, v[26:27], v[28:29] offset0:100 offset1:101
	ds_write2_b64 v1, v[22:23], v[24:25] offset0:102 offset1:103
	ds_write2_b64 v1, v[18:19], v[20:21] offset0:104 offset1:105
	ds_write2_b64 v1, v[14:15], v[16:17] offset0:106 offset1:107
	ds_write2_b64 v1, v[10:11], v[12:13] offset0:108 offset1:109
	ds_write2_b64 v1, v[6:7], v[8:9] offset0:110 offset1:111
	ds_write2_b64 v1, v[250:251], v[252:253] offset0:112 offset1:113
.LBB112_543:
	s_or_b32 exec_lo, exec_lo, s0
	s_mov_b32 s0, exec_lo
	s_waitcnt lgkmcnt(0)
	s_waitcnt_vscnt null, 0x0
	s_barrier
	buffer_gl0_inv
	v_cmpx_lt_i32_e32 25, v244
	s_cbranch_execz .LBB112_545
; %bb.544:
	v_mul_f64 v[214:215], v[232:233], v[128:129]
	v_mul_f64 v[128:129], v[230:231], v[128:129]
	v_fma_f64 v[238:239], v[230:231], v[126:127], -v[214:215]
	v_fma_f64 v[128:129], v[232:233], v[126:127], v[128:129]
	ds_read2_b64 v[230:233], v1 offset0:52 offset1:53
	s_waitcnt lgkmcnt(0)
	v_mul_f64 v[126:127], v[232:233], v[128:129]
	v_mul_f64 v[214:215], v[230:231], v[128:129]
	v_fma_f64 v[126:127], v[230:231], v[238:239], -v[126:127]
	v_fma_f64 v[214:215], v[232:233], v[238:239], v[214:215]
	ds_read2_b64 v[230:233], v1 offset0:54 offset1:55
	v_add_f64 v[122:123], v[122:123], -v[126:127]
	v_add_f64 v[124:125], v[124:125], -v[214:215]
	s_waitcnt lgkmcnt(0)
	v_mul_f64 v[126:127], v[232:233], v[128:129]
	v_mul_f64 v[214:215], v[230:231], v[128:129]
	v_fma_f64 v[126:127], v[230:231], v[238:239], -v[126:127]
	v_fma_f64 v[214:215], v[232:233], v[238:239], v[214:215]
	ds_read2_b64 v[230:233], v1 offset0:56 offset1:57
	v_add_f64 v[118:119], v[118:119], -v[126:127]
	v_add_f64 v[120:121], v[120:121], -v[214:215]
	;; [unrolled: 8-line block ×30, first 2 shown]
	s_waitcnt lgkmcnt(0)
	v_mul_f64 v[126:127], v[232:233], v[128:129]
	v_mul_f64 v[214:215], v[230:231], v[128:129]
	v_fma_f64 v[126:127], v[230:231], v[238:239], -v[126:127]
	v_fma_f64 v[214:215], v[232:233], v[238:239], v[214:215]
	v_add_f64 v[250:251], v[250:251], -v[126:127]
	v_add_f64 v[252:253], v[252:253], -v[214:215]
	v_mov_b32_e32 v126, v238
	v_mov_b32_e32 v127, v239
.LBB112_545:
	s_or_b32 exec_lo, exec_lo, s0
	v_lshl_add_u32 v214, v244, 4, v1
	s_barrier
	buffer_gl0_inv
	v_mov_b32_e32 v238, 26
	ds_write2_b64 v214, v[122:123], v[124:125] offset1:1
	s_waitcnt lgkmcnt(0)
	s_barrier
	buffer_gl0_inv
	ds_read2_b64 v[230:233], v1 offset0:52 offset1:53
	s_cmp_lt_i32 s8, 28
	s_cbranch_scc1 .LBB112_548
; %bb.546:
	v_add3_u32 v239, v228, 0, 0x1b0
	v_mov_b32_e32 v238, 26
	s_mov_b32 s0, 27
	s_inst_prefetch 0x1
	.p2align	6
.LBB112_547:                            ; =>This Inner Loop Header: Depth=1
	s_waitcnt lgkmcnt(0)
	v_cmp_gt_f64_e32 vcc_lo, 0, v[230:231]
	v_xor_b32_e32 v214, 0x80000000, v231
	ds_read2_b64 v[245:248], v239 offset1:1
	v_xor_b32_e32 v216, 0x80000000, v233
	v_add_nc_u32_e32 v239, 16, v239
	s_waitcnt lgkmcnt(0)
	v_xor_b32_e32 v218, 0x80000000, v248
	v_cndmask_b32_e32 v215, v231, v214, vcc_lo
	v_cmp_gt_f64_e32 vcc_lo, 0, v[232:233]
	v_mov_b32_e32 v214, v230
	v_cndmask_b32_e32 v217, v233, v216, vcc_lo
	v_cmp_gt_f64_e32 vcc_lo, 0, v[245:246]
	v_mov_b32_e32 v216, v232
	v_add_f64 v[214:215], v[214:215], v[216:217]
	v_xor_b32_e32 v216, 0x80000000, v246
	v_cndmask_b32_e32 v217, v246, v216, vcc_lo
	v_cmp_gt_f64_e32 vcc_lo, 0, v[247:248]
	v_mov_b32_e32 v216, v245
	v_cndmask_b32_e32 v219, v248, v218, vcc_lo
	v_mov_b32_e32 v218, v247
	v_add_f64 v[216:217], v[216:217], v[218:219]
	v_cmp_lt_f64_e32 vcc_lo, v[214:215], v[216:217]
	v_cndmask_b32_e32 v231, v231, v246, vcc_lo
	v_cndmask_b32_e32 v230, v230, v245, vcc_lo
	;; [unrolled: 1-line block ×4, first 2 shown]
	v_cndmask_b32_e64 v238, v238, s0, vcc_lo
	s_add_i32 s0, s0, 1
	s_cmp_lg_u32 s8, s0
	s_cbranch_scc1 .LBB112_547
.LBB112_548:
	s_inst_prefetch 0x2
	s_waitcnt lgkmcnt(0)
	v_cmp_eq_f64_e32 vcc_lo, 0, v[230:231]
	v_cmp_eq_f64_e64 s0, 0, v[232:233]
	s_and_b32 s0, vcc_lo, s0
	s_and_saveexec_b32 s1, s0
	s_xor_b32 s0, exec_lo, s1
; %bb.549:
	v_cmp_ne_u32_e32 vcc_lo, 0, v243
	v_cndmask_b32_e32 v243, 27, v243, vcc_lo
; %bb.550:
	s_andn2_saveexec_b32 s0, s0
	s_cbranch_execz .LBB112_556
; %bb.551:
	v_cmp_ngt_f64_e64 s1, |v[230:231]|, |v[232:233]|
	s_and_saveexec_b32 s7, s1
	s_xor_b32 s1, exec_lo, s7
	s_cbranch_execz .LBB112_553
; %bb.552:
	v_div_scale_f64 v[214:215], null, v[232:233], v[232:233], v[230:231]
	v_div_scale_f64 v[220:221], vcc_lo, v[230:231], v[232:233], v[230:231]
	v_rcp_f64_e32 v[216:217], v[214:215]
	v_fma_f64 v[218:219], -v[214:215], v[216:217], 1.0
	v_fma_f64 v[216:217], v[216:217], v[218:219], v[216:217]
	v_fma_f64 v[218:219], -v[214:215], v[216:217], 1.0
	v_fma_f64 v[216:217], v[216:217], v[218:219], v[216:217]
	v_mul_f64 v[218:219], v[220:221], v[216:217]
	v_fma_f64 v[214:215], -v[214:215], v[218:219], v[220:221]
	v_div_fmas_f64 v[214:215], v[214:215], v[216:217], v[218:219]
	v_div_fixup_f64 v[214:215], v[214:215], v[232:233], v[230:231]
	v_fma_f64 v[216:217], v[230:231], v[214:215], v[232:233]
	v_div_scale_f64 v[218:219], null, v[216:217], v[216:217], 1.0
	v_rcp_f64_e32 v[220:221], v[218:219]
	v_fma_f64 v[222:223], -v[218:219], v[220:221], 1.0
	v_fma_f64 v[220:221], v[220:221], v[222:223], v[220:221]
	v_fma_f64 v[222:223], -v[218:219], v[220:221], 1.0
	v_fma_f64 v[220:221], v[220:221], v[222:223], v[220:221]
	v_div_scale_f64 v[222:223], vcc_lo, 1.0, v[216:217], 1.0
	v_mul_f64 v[224:225], v[222:223], v[220:221]
	v_fma_f64 v[218:219], -v[218:219], v[224:225], v[222:223]
	v_div_fmas_f64 v[218:219], v[218:219], v[220:221], v[224:225]
	v_div_fixup_f64 v[232:233], v[218:219], v[216:217], 1.0
	v_mul_f64 v[230:231], v[214:215], v[232:233]
	v_xor_b32_e32 v233, 0x80000000, v233
.LBB112_553:
	s_andn2_saveexec_b32 s1, s1
	s_cbranch_execz .LBB112_555
; %bb.554:
	v_div_scale_f64 v[214:215], null, v[230:231], v[230:231], v[232:233]
	v_div_scale_f64 v[220:221], vcc_lo, v[232:233], v[230:231], v[232:233]
	v_rcp_f64_e32 v[216:217], v[214:215]
	v_fma_f64 v[218:219], -v[214:215], v[216:217], 1.0
	v_fma_f64 v[216:217], v[216:217], v[218:219], v[216:217]
	v_fma_f64 v[218:219], -v[214:215], v[216:217], 1.0
	v_fma_f64 v[216:217], v[216:217], v[218:219], v[216:217]
	v_mul_f64 v[218:219], v[220:221], v[216:217]
	v_fma_f64 v[214:215], -v[214:215], v[218:219], v[220:221]
	v_div_fmas_f64 v[214:215], v[214:215], v[216:217], v[218:219]
	v_div_fixup_f64 v[214:215], v[214:215], v[230:231], v[232:233]
	v_fma_f64 v[216:217], v[232:233], v[214:215], v[230:231]
	v_div_scale_f64 v[218:219], null, v[216:217], v[216:217], 1.0
	v_rcp_f64_e32 v[220:221], v[218:219]
	v_fma_f64 v[222:223], -v[218:219], v[220:221], 1.0
	v_fma_f64 v[220:221], v[220:221], v[222:223], v[220:221]
	v_fma_f64 v[222:223], -v[218:219], v[220:221], 1.0
	v_fma_f64 v[220:221], v[220:221], v[222:223], v[220:221]
	v_div_scale_f64 v[222:223], vcc_lo, 1.0, v[216:217], 1.0
	v_mul_f64 v[224:225], v[222:223], v[220:221]
	v_fma_f64 v[218:219], -v[218:219], v[224:225], v[222:223]
	v_div_fmas_f64 v[218:219], v[218:219], v[220:221], v[224:225]
	v_div_fixup_f64 v[230:231], v[218:219], v[216:217], 1.0
	v_mul_f64 v[232:233], v[214:215], -v[230:231]
.LBB112_555:
	s_or_b32 exec_lo, exec_lo, s1
.LBB112_556:
	s_or_b32 exec_lo, exec_lo, s0
	s_mov_b32 s0, exec_lo
	v_cmpx_ne_u32_e64 v244, v238
	s_xor_b32 s0, exec_lo, s0
	s_cbranch_execz .LBB112_562
; %bb.557:
	s_mov_b32 s1, exec_lo
	v_cmpx_eq_u32_e32 26, v244
	s_cbranch_execz .LBB112_561
; %bb.558:
	v_cmp_ne_u32_e32 vcc_lo, 26, v238
	s_xor_b32 s7, s16, -1
	s_and_b32 s9, s7, vcc_lo
	s_and_saveexec_b32 s7, s9
	s_cbranch_execz .LBB112_560
; %bb.559:
	s_clause 0x1
	buffer_load_dword v210, off, s[20:23], 0
	buffer_load_dword v211, off, s[20:23], 0 offset:4
	v_ashrrev_i32_e32 v239, 31, v238
	v_lshlrev_b64 v[214:215], 2, v[238:239]
	s_waitcnt vmcnt(1)
	v_add_co_u32 v214, vcc_lo, v210, v214
	s_waitcnt vmcnt(0)
	v_add_co_ci_u32_e64 v215, null, v211, v215, vcc_lo
	s_clause 0x1
	global_load_dword v0, v[214:215], off
	global_load_dword v216, v[210:211], off offset:104
	s_waitcnt vmcnt(1)
	global_store_dword v[210:211], v0, off offset:104
	s_waitcnt vmcnt(0)
	global_store_dword v[214:215], v216, off
.LBB112_560:
	s_or_b32 exec_lo, exec_lo, s7
	v_mov_b32_e32 v244, v238
	v_mov_b32_e32 v0, v238
.LBB112_561:
	s_or_b32 exec_lo, exec_lo, s1
.LBB112_562:
	s_andn2_saveexec_b32 s0, s0
	s_cbranch_execz .LBB112_564
; %bb.563:
	v_mov_b32_e32 v244, 26
	ds_write2_b64 v1, v[118:119], v[120:121] offset0:54 offset1:55
	ds_write2_b64 v1, v[114:115], v[116:117] offset0:56 offset1:57
	;; [unrolled: 1-line block ×30, first 2 shown]
.LBB112_564:
	s_or_b32 exec_lo, exec_lo, s0
	s_mov_b32 s0, exec_lo
	s_waitcnt lgkmcnt(0)
	s_waitcnt_vscnt null, 0x0
	s_barrier
	buffer_gl0_inv
	v_cmpx_lt_i32_e32 26, v244
	s_cbranch_execz .LBB112_566
; %bb.565:
	v_mul_f64 v[214:215], v[232:233], v[124:125]
	v_mul_f64 v[124:125], v[230:231], v[124:125]
	v_fma_f64 v[238:239], v[230:231], v[122:123], -v[214:215]
	v_fma_f64 v[124:125], v[232:233], v[122:123], v[124:125]
	ds_read2_b64 v[230:233], v1 offset0:54 offset1:55
	s_waitcnt lgkmcnt(0)
	v_mul_f64 v[122:123], v[232:233], v[124:125]
	v_mul_f64 v[214:215], v[230:231], v[124:125]
	v_fma_f64 v[122:123], v[230:231], v[238:239], -v[122:123]
	v_fma_f64 v[214:215], v[232:233], v[238:239], v[214:215]
	ds_read2_b64 v[230:233], v1 offset0:56 offset1:57
	v_add_f64 v[118:119], v[118:119], -v[122:123]
	v_add_f64 v[120:121], v[120:121], -v[214:215]
	s_waitcnt lgkmcnt(0)
	v_mul_f64 v[122:123], v[232:233], v[124:125]
	v_mul_f64 v[214:215], v[230:231], v[124:125]
	v_fma_f64 v[122:123], v[230:231], v[238:239], -v[122:123]
	v_fma_f64 v[214:215], v[232:233], v[238:239], v[214:215]
	ds_read2_b64 v[230:233], v1 offset0:58 offset1:59
	v_add_f64 v[114:115], v[114:115], -v[122:123]
	v_add_f64 v[116:117], v[116:117], -v[214:215]
	;; [unrolled: 8-line block ×29, first 2 shown]
	s_waitcnt lgkmcnt(0)
	v_mul_f64 v[122:123], v[232:233], v[124:125]
	v_mul_f64 v[214:215], v[230:231], v[124:125]
	v_fma_f64 v[122:123], v[230:231], v[238:239], -v[122:123]
	v_fma_f64 v[214:215], v[232:233], v[238:239], v[214:215]
	v_add_f64 v[250:251], v[250:251], -v[122:123]
	v_add_f64 v[252:253], v[252:253], -v[214:215]
	v_mov_b32_e32 v122, v238
	v_mov_b32_e32 v123, v239
.LBB112_566:
	s_or_b32 exec_lo, exec_lo, s0
	v_lshl_add_u32 v214, v244, 4, v1
	s_barrier
	buffer_gl0_inv
	v_mov_b32_e32 v238, 27
	ds_write2_b64 v214, v[118:119], v[120:121] offset1:1
	s_waitcnt lgkmcnt(0)
	s_barrier
	buffer_gl0_inv
	ds_read2_b64 v[230:233], v1 offset0:54 offset1:55
	s_cmp_lt_i32 s8, 29
	s_cbranch_scc1 .LBB112_569
; %bb.567:
	v_add3_u32 v239, v228, 0, 0x1c0
	v_mov_b32_e32 v238, 27
	s_mov_b32 s0, 28
	s_inst_prefetch 0x1
	.p2align	6
.LBB112_568:                            ; =>This Inner Loop Header: Depth=1
	s_waitcnt lgkmcnt(0)
	v_cmp_gt_f64_e32 vcc_lo, 0, v[230:231]
	v_xor_b32_e32 v214, 0x80000000, v231
	ds_read2_b64 v[245:248], v239 offset1:1
	v_xor_b32_e32 v216, 0x80000000, v233
	v_add_nc_u32_e32 v239, 16, v239
	s_waitcnt lgkmcnt(0)
	v_xor_b32_e32 v218, 0x80000000, v248
	v_cndmask_b32_e32 v215, v231, v214, vcc_lo
	v_cmp_gt_f64_e32 vcc_lo, 0, v[232:233]
	v_mov_b32_e32 v214, v230
	v_cndmask_b32_e32 v217, v233, v216, vcc_lo
	v_cmp_gt_f64_e32 vcc_lo, 0, v[245:246]
	v_mov_b32_e32 v216, v232
	v_add_f64 v[214:215], v[214:215], v[216:217]
	v_xor_b32_e32 v216, 0x80000000, v246
	v_cndmask_b32_e32 v217, v246, v216, vcc_lo
	v_cmp_gt_f64_e32 vcc_lo, 0, v[247:248]
	v_mov_b32_e32 v216, v245
	v_cndmask_b32_e32 v219, v248, v218, vcc_lo
	v_mov_b32_e32 v218, v247
	v_add_f64 v[216:217], v[216:217], v[218:219]
	v_cmp_lt_f64_e32 vcc_lo, v[214:215], v[216:217]
	v_cndmask_b32_e32 v231, v231, v246, vcc_lo
	v_cndmask_b32_e32 v230, v230, v245, vcc_lo
	;; [unrolled: 1-line block ×4, first 2 shown]
	v_cndmask_b32_e64 v238, v238, s0, vcc_lo
	s_add_i32 s0, s0, 1
	s_cmp_lg_u32 s8, s0
	s_cbranch_scc1 .LBB112_568
.LBB112_569:
	s_inst_prefetch 0x2
	s_waitcnt lgkmcnt(0)
	v_cmp_eq_f64_e32 vcc_lo, 0, v[230:231]
	v_cmp_eq_f64_e64 s0, 0, v[232:233]
	s_and_b32 s0, vcc_lo, s0
	s_and_saveexec_b32 s1, s0
	s_xor_b32 s0, exec_lo, s1
; %bb.570:
	v_cmp_ne_u32_e32 vcc_lo, 0, v243
	v_cndmask_b32_e32 v243, 28, v243, vcc_lo
; %bb.571:
	s_andn2_saveexec_b32 s0, s0
	s_cbranch_execz .LBB112_577
; %bb.572:
	v_cmp_ngt_f64_e64 s1, |v[230:231]|, |v[232:233]|
	s_and_saveexec_b32 s7, s1
	s_xor_b32 s1, exec_lo, s7
	s_cbranch_execz .LBB112_574
; %bb.573:
	v_div_scale_f64 v[214:215], null, v[232:233], v[232:233], v[230:231]
	v_div_scale_f64 v[220:221], vcc_lo, v[230:231], v[232:233], v[230:231]
	v_rcp_f64_e32 v[216:217], v[214:215]
	v_fma_f64 v[218:219], -v[214:215], v[216:217], 1.0
	v_fma_f64 v[216:217], v[216:217], v[218:219], v[216:217]
	v_fma_f64 v[218:219], -v[214:215], v[216:217], 1.0
	v_fma_f64 v[216:217], v[216:217], v[218:219], v[216:217]
	v_mul_f64 v[218:219], v[220:221], v[216:217]
	v_fma_f64 v[214:215], -v[214:215], v[218:219], v[220:221]
	v_div_fmas_f64 v[214:215], v[214:215], v[216:217], v[218:219]
	v_div_fixup_f64 v[214:215], v[214:215], v[232:233], v[230:231]
	v_fma_f64 v[216:217], v[230:231], v[214:215], v[232:233]
	v_div_scale_f64 v[218:219], null, v[216:217], v[216:217], 1.0
	v_rcp_f64_e32 v[220:221], v[218:219]
	v_fma_f64 v[222:223], -v[218:219], v[220:221], 1.0
	v_fma_f64 v[220:221], v[220:221], v[222:223], v[220:221]
	v_fma_f64 v[222:223], -v[218:219], v[220:221], 1.0
	v_fma_f64 v[220:221], v[220:221], v[222:223], v[220:221]
	v_div_scale_f64 v[222:223], vcc_lo, 1.0, v[216:217], 1.0
	v_mul_f64 v[224:225], v[222:223], v[220:221]
	v_fma_f64 v[218:219], -v[218:219], v[224:225], v[222:223]
	v_div_fmas_f64 v[218:219], v[218:219], v[220:221], v[224:225]
	v_div_fixup_f64 v[232:233], v[218:219], v[216:217], 1.0
	v_mul_f64 v[230:231], v[214:215], v[232:233]
	v_xor_b32_e32 v233, 0x80000000, v233
.LBB112_574:
	s_andn2_saveexec_b32 s1, s1
	s_cbranch_execz .LBB112_576
; %bb.575:
	v_div_scale_f64 v[214:215], null, v[230:231], v[230:231], v[232:233]
	v_div_scale_f64 v[220:221], vcc_lo, v[232:233], v[230:231], v[232:233]
	v_rcp_f64_e32 v[216:217], v[214:215]
	v_fma_f64 v[218:219], -v[214:215], v[216:217], 1.0
	v_fma_f64 v[216:217], v[216:217], v[218:219], v[216:217]
	v_fma_f64 v[218:219], -v[214:215], v[216:217], 1.0
	v_fma_f64 v[216:217], v[216:217], v[218:219], v[216:217]
	v_mul_f64 v[218:219], v[220:221], v[216:217]
	v_fma_f64 v[214:215], -v[214:215], v[218:219], v[220:221]
	v_div_fmas_f64 v[214:215], v[214:215], v[216:217], v[218:219]
	v_div_fixup_f64 v[214:215], v[214:215], v[230:231], v[232:233]
	v_fma_f64 v[216:217], v[232:233], v[214:215], v[230:231]
	v_div_scale_f64 v[218:219], null, v[216:217], v[216:217], 1.0
	v_rcp_f64_e32 v[220:221], v[218:219]
	v_fma_f64 v[222:223], -v[218:219], v[220:221], 1.0
	v_fma_f64 v[220:221], v[220:221], v[222:223], v[220:221]
	v_fma_f64 v[222:223], -v[218:219], v[220:221], 1.0
	v_fma_f64 v[220:221], v[220:221], v[222:223], v[220:221]
	v_div_scale_f64 v[222:223], vcc_lo, 1.0, v[216:217], 1.0
	v_mul_f64 v[224:225], v[222:223], v[220:221]
	v_fma_f64 v[218:219], -v[218:219], v[224:225], v[222:223]
	v_div_fmas_f64 v[218:219], v[218:219], v[220:221], v[224:225]
	v_div_fixup_f64 v[230:231], v[218:219], v[216:217], 1.0
	v_mul_f64 v[232:233], v[214:215], -v[230:231]
.LBB112_576:
	s_or_b32 exec_lo, exec_lo, s1
.LBB112_577:
	s_or_b32 exec_lo, exec_lo, s0
	s_mov_b32 s0, exec_lo
	v_cmpx_ne_u32_e64 v244, v238
	s_xor_b32 s0, exec_lo, s0
	s_cbranch_execz .LBB112_583
; %bb.578:
	s_mov_b32 s1, exec_lo
	v_cmpx_eq_u32_e32 27, v244
	s_cbranch_execz .LBB112_582
; %bb.579:
	v_cmp_ne_u32_e32 vcc_lo, 27, v238
	s_xor_b32 s7, s16, -1
	s_and_b32 s9, s7, vcc_lo
	s_and_saveexec_b32 s7, s9
	s_cbranch_execz .LBB112_581
; %bb.580:
	s_clause 0x1
	buffer_load_dword v210, off, s[20:23], 0
	buffer_load_dword v211, off, s[20:23], 0 offset:4
	v_ashrrev_i32_e32 v239, 31, v238
	v_lshlrev_b64 v[214:215], 2, v[238:239]
	s_waitcnt vmcnt(1)
	v_add_co_u32 v214, vcc_lo, v210, v214
	s_waitcnt vmcnt(0)
	v_add_co_ci_u32_e64 v215, null, v211, v215, vcc_lo
	s_clause 0x1
	global_load_dword v0, v[214:215], off
	global_load_dword v216, v[210:211], off offset:108
	s_waitcnt vmcnt(1)
	global_store_dword v[210:211], v0, off offset:108
	s_waitcnt vmcnt(0)
	global_store_dword v[214:215], v216, off
.LBB112_581:
	s_or_b32 exec_lo, exec_lo, s7
	v_mov_b32_e32 v244, v238
	v_mov_b32_e32 v0, v238
.LBB112_582:
	s_or_b32 exec_lo, exec_lo, s1
.LBB112_583:
	s_andn2_saveexec_b32 s0, s0
	s_cbranch_execz .LBB112_585
; %bb.584:
	v_mov_b32_e32 v244, 27
	ds_write2_b64 v1, v[114:115], v[116:117] offset0:56 offset1:57
	ds_write2_b64 v1, v[110:111], v[112:113] offset0:58 offset1:59
	;; [unrolled: 1-line block ×29, first 2 shown]
.LBB112_585:
	s_or_b32 exec_lo, exec_lo, s0
	s_mov_b32 s0, exec_lo
	s_waitcnt lgkmcnt(0)
	s_waitcnt_vscnt null, 0x0
	s_barrier
	buffer_gl0_inv
	v_cmpx_lt_i32_e32 27, v244
	s_cbranch_execz .LBB112_587
; %bb.586:
	v_mul_f64 v[214:215], v[232:233], v[120:121]
	v_mul_f64 v[120:121], v[230:231], v[120:121]
	v_fma_f64 v[238:239], v[230:231], v[118:119], -v[214:215]
	v_fma_f64 v[120:121], v[232:233], v[118:119], v[120:121]
	ds_read2_b64 v[230:233], v1 offset0:56 offset1:57
	s_waitcnt lgkmcnt(0)
	v_mul_f64 v[118:119], v[232:233], v[120:121]
	v_mul_f64 v[214:215], v[230:231], v[120:121]
	v_fma_f64 v[118:119], v[230:231], v[238:239], -v[118:119]
	v_fma_f64 v[214:215], v[232:233], v[238:239], v[214:215]
	ds_read2_b64 v[230:233], v1 offset0:58 offset1:59
	v_add_f64 v[114:115], v[114:115], -v[118:119]
	v_add_f64 v[116:117], v[116:117], -v[214:215]
	s_waitcnt lgkmcnt(0)
	v_mul_f64 v[118:119], v[232:233], v[120:121]
	v_mul_f64 v[214:215], v[230:231], v[120:121]
	v_fma_f64 v[118:119], v[230:231], v[238:239], -v[118:119]
	v_fma_f64 v[214:215], v[232:233], v[238:239], v[214:215]
	ds_read2_b64 v[230:233], v1 offset0:60 offset1:61
	v_add_f64 v[110:111], v[110:111], -v[118:119]
	v_add_f64 v[112:113], v[112:113], -v[214:215]
	;; [unrolled: 8-line block ×28, first 2 shown]
	s_waitcnt lgkmcnt(0)
	v_mul_f64 v[118:119], v[232:233], v[120:121]
	v_mul_f64 v[214:215], v[230:231], v[120:121]
	v_fma_f64 v[118:119], v[230:231], v[238:239], -v[118:119]
	v_fma_f64 v[214:215], v[232:233], v[238:239], v[214:215]
	v_add_f64 v[250:251], v[250:251], -v[118:119]
	v_add_f64 v[252:253], v[252:253], -v[214:215]
	v_mov_b32_e32 v118, v238
	v_mov_b32_e32 v119, v239
.LBB112_587:
	s_or_b32 exec_lo, exec_lo, s0
	v_lshl_add_u32 v214, v244, 4, v1
	s_barrier
	buffer_gl0_inv
	v_mov_b32_e32 v238, 28
	ds_write2_b64 v214, v[114:115], v[116:117] offset1:1
	s_waitcnt lgkmcnt(0)
	s_barrier
	buffer_gl0_inv
	ds_read2_b64 v[230:233], v1 offset0:56 offset1:57
	s_cmp_lt_i32 s8, 30
	s_cbranch_scc1 .LBB112_590
; %bb.588:
	v_add3_u32 v239, v228, 0, 0x1d0
	v_mov_b32_e32 v238, 28
	s_mov_b32 s0, 29
	s_inst_prefetch 0x1
	.p2align	6
.LBB112_589:                            ; =>This Inner Loop Header: Depth=1
	s_waitcnt lgkmcnt(0)
	v_cmp_gt_f64_e32 vcc_lo, 0, v[230:231]
	v_xor_b32_e32 v214, 0x80000000, v231
	ds_read2_b64 v[245:248], v239 offset1:1
	v_xor_b32_e32 v216, 0x80000000, v233
	v_add_nc_u32_e32 v239, 16, v239
	s_waitcnt lgkmcnt(0)
	v_xor_b32_e32 v218, 0x80000000, v248
	v_cndmask_b32_e32 v215, v231, v214, vcc_lo
	v_cmp_gt_f64_e32 vcc_lo, 0, v[232:233]
	v_mov_b32_e32 v214, v230
	v_cndmask_b32_e32 v217, v233, v216, vcc_lo
	v_cmp_gt_f64_e32 vcc_lo, 0, v[245:246]
	v_mov_b32_e32 v216, v232
	v_add_f64 v[214:215], v[214:215], v[216:217]
	v_xor_b32_e32 v216, 0x80000000, v246
	v_cndmask_b32_e32 v217, v246, v216, vcc_lo
	v_cmp_gt_f64_e32 vcc_lo, 0, v[247:248]
	v_mov_b32_e32 v216, v245
	v_cndmask_b32_e32 v219, v248, v218, vcc_lo
	v_mov_b32_e32 v218, v247
	v_add_f64 v[216:217], v[216:217], v[218:219]
	v_cmp_lt_f64_e32 vcc_lo, v[214:215], v[216:217]
	v_cndmask_b32_e32 v231, v231, v246, vcc_lo
	v_cndmask_b32_e32 v230, v230, v245, vcc_lo
	;; [unrolled: 1-line block ×4, first 2 shown]
	v_cndmask_b32_e64 v238, v238, s0, vcc_lo
	s_add_i32 s0, s0, 1
	s_cmp_lg_u32 s8, s0
	s_cbranch_scc1 .LBB112_589
.LBB112_590:
	s_inst_prefetch 0x2
	s_waitcnt lgkmcnt(0)
	v_cmp_eq_f64_e32 vcc_lo, 0, v[230:231]
	v_cmp_eq_f64_e64 s0, 0, v[232:233]
	s_and_b32 s0, vcc_lo, s0
	s_and_saveexec_b32 s1, s0
	s_xor_b32 s0, exec_lo, s1
; %bb.591:
	v_cmp_ne_u32_e32 vcc_lo, 0, v243
	v_cndmask_b32_e32 v243, 29, v243, vcc_lo
; %bb.592:
	s_andn2_saveexec_b32 s0, s0
	s_cbranch_execz .LBB112_598
; %bb.593:
	v_cmp_ngt_f64_e64 s1, |v[230:231]|, |v[232:233]|
	s_and_saveexec_b32 s7, s1
	s_xor_b32 s1, exec_lo, s7
	s_cbranch_execz .LBB112_595
; %bb.594:
	v_div_scale_f64 v[214:215], null, v[232:233], v[232:233], v[230:231]
	v_div_scale_f64 v[220:221], vcc_lo, v[230:231], v[232:233], v[230:231]
	v_rcp_f64_e32 v[216:217], v[214:215]
	v_fma_f64 v[218:219], -v[214:215], v[216:217], 1.0
	v_fma_f64 v[216:217], v[216:217], v[218:219], v[216:217]
	v_fma_f64 v[218:219], -v[214:215], v[216:217], 1.0
	v_fma_f64 v[216:217], v[216:217], v[218:219], v[216:217]
	v_mul_f64 v[218:219], v[220:221], v[216:217]
	v_fma_f64 v[214:215], -v[214:215], v[218:219], v[220:221]
	v_div_fmas_f64 v[214:215], v[214:215], v[216:217], v[218:219]
	v_div_fixup_f64 v[214:215], v[214:215], v[232:233], v[230:231]
	v_fma_f64 v[216:217], v[230:231], v[214:215], v[232:233]
	v_div_scale_f64 v[218:219], null, v[216:217], v[216:217], 1.0
	v_rcp_f64_e32 v[220:221], v[218:219]
	v_fma_f64 v[222:223], -v[218:219], v[220:221], 1.0
	v_fma_f64 v[220:221], v[220:221], v[222:223], v[220:221]
	v_fma_f64 v[222:223], -v[218:219], v[220:221], 1.0
	v_fma_f64 v[220:221], v[220:221], v[222:223], v[220:221]
	v_div_scale_f64 v[222:223], vcc_lo, 1.0, v[216:217], 1.0
	v_mul_f64 v[224:225], v[222:223], v[220:221]
	v_fma_f64 v[218:219], -v[218:219], v[224:225], v[222:223]
	v_div_fmas_f64 v[218:219], v[218:219], v[220:221], v[224:225]
	v_div_fixup_f64 v[232:233], v[218:219], v[216:217], 1.0
	v_mul_f64 v[230:231], v[214:215], v[232:233]
	v_xor_b32_e32 v233, 0x80000000, v233
.LBB112_595:
	s_andn2_saveexec_b32 s1, s1
	s_cbranch_execz .LBB112_597
; %bb.596:
	v_div_scale_f64 v[214:215], null, v[230:231], v[230:231], v[232:233]
	v_div_scale_f64 v[220:221], vcc_lo, v[232:233], v[230:231], v[232:233]
	v_rcp_f64_e32 v[216:217], v[214:215]
	v_fma_f64 v[218:219], -v[214:215], v[216:217], 1.0
	v_fma_f64 v[216:217], v[216:217], v[218:219], v[216:217]
	v_fma_f64 v[218:219], -v[214:215], v[216:217], 1.0
	v_fma_f64 v[216:217], v[216:217], v[218:219], v[216:217]
	v_mul_f64 v[218:219], v[220:221], v[216:217]
	v_fma_f64 v[214:215], -v[214:215], v[218:219], v[220:221]
	v_div_fmas_f64 v[214:215], v[214:215], v[216:217], v[218:219]
	v_div_fixup_f64 v[214:215], v[214:215], v[230:231], v[232:233]
	v_fma_f64 v[216:217], v[232:233], v[214:215], v[230:231]
	v_div_scale_f64 v[218:219], null, v[216:217], v[216:217], 1.0
	v_rcp_f64_e32 v[220:221], v[218:219]
	v_fma_f64 v[222:223], -v[218:219], v[220:221], 1.0
	v_fma_f64 v[220:221], v[220:221], v[222:223], v[220:221]
	v_fma_f64 v[222:223], -v[218:219], v[220:221], 1.0
	v_fma_f64 v[220:221], v[220:221], v[222:223], v[220:221]
	v_div_scale_f64 v[222:223], vcc_lo, 1.0, v[216:217], 1.0
	v_mul_f64 v[224:225], v[222:223], v[220:221]
	v_fma_f64 v[218:219], -v[218:219], v[224:225], v[222:223]
	v_div_fmas_f64 v[218:219], v[218:219], v[220:221], v[224:225]
	v_div_fixup_f64 v[230:231], v[218:219], v[216:217], 1.0
	v_mul_f64 v[232:233], v[214:215], -v[230:231]
.LBB112_597:
	s_or_b32 exec_lo, exec_lo, s1
.LBB112_598:
	s_or_b32 exec_lo, exec_lo, s0
	s_mov_b32 s0, exec_lo
	v_cmpx_ne_u32_e64 v244, v238
	s_xor_b32 s0, exec_lo, s0
	s_cbranch_execz .LBB112_604
; %bb.599:
	s_mov_b32 s1, exec_lo
	v_cmpx_eq_u32_e32 28, v244
	s_cbranch_execz .LBB112_603
; %bb.600:
	v_cmp_ne_u32_e32 vcc_lo, 28, v238
	s_xor_b32 s7, s16, -1
	s_and_b32 s9, s7, vcc_lo
	s_and_saveexec_b32 s7, s9
	s_cbranch_execz .LBB112_602
; %bb.601:
	s_clause 0x1
	buffer_load_dword v210, off, s[20:23], 0
	buffer_load_dword v211, off, s[20:23], 0 offset:4
	v_ashrrev_i32_e32 v239, 31, v238
	v_lshlrev_b64 v[214:215], 2, v[238:239]
	s_waitcnt vmcnt(1)
	v_add_co_u32 v214, vcc_lo, v210, v214
	s_waitcnt vmcnt(0)
	v_add_co_ci_u32_e64 v215, null, v211, v215, vcc_lo
	s_clause 0x1
	global_load_dword v0, v[214:215], off
	global_load_dword v216, v[210:211], off offset:112
	s_waitcnt vmcnt(1)
	global_store_dword v[210:211], v0, off offset:112
	s_waitcnt vmcnt(0)
	global_store_dword v[214:215], v216, off
.LBB112_602:
	s_or_b32 exec_lo, exec_lo, s7
	v_mov_b32_e32 v244, v238
	v_mov_b32_e32 v0, v238
.LBB112_603:
	s_or_b32 exec_lo, exec_lo, s1
.LBB112_604:
	s_andn2_saveexec_b32 s0, s0
	s_cbranch_execz .LBB112_606
; %bb.605:
	v_mov_b32_e32 v244, 28
	ds_write2_b64 v1, v[110:111], v[112:113] offset0:58 offset1:59
	ds_write2_b64 v1, v[106:107], v[108:109] offset0:60 offset1:61
	;; [unrolled: 1-line block ×28, first 2 shown]
.LBB112_606:
	s_or_b32 exec_lo, exec_lo, s0
	s_mov_b32 s0, exec_lo
	s_waitcnt lgkmcnt(0)
	s_waitcnt_vscnt null, 0x0
	s_barrier
	buffer_gl0_inv
	v_cmpx_lt_i32_e32 28, v244
	s_cbranch_execz .LBB112_608
; %bb.607:
	v_mul_f64 v[214:215], v[232:233], v[116:117]
	v_mul_f64 v[116:117], v[230:231], v[116:117]
	v_fma_f64 v[238:239], v[230:231], v[114:115], -v[214:215]
	v_fma_f64 v[116:117], v[232:233], v[114:115], v[116:117]
	ds_read2_b64 v[230:233], v1 offset0:58 offset1:59
	s_waitcnt lgkmcnt(0)
	v_mul_f64 v[114:115], v[232:233], v[116:117]
	v_mul_f64 v[214:215], v[230:231], v[116:117]
	v_fma_f64 v[114:115], v[230:231], v[238:239], -v[114:115]
	v_fma_f64 v[214:215], v[232:233], v[238:239], v[214:215]
	ds_read2_b64 v[230:233], v1 offset0:60 offset1:61
	v_add_f64 v[110:111], v[110:111], -v[114:115]
	v_add_f64 v[112:113], v[112:113], -v[214:215]
	s_waitcnt lgkmcnt(0)
	v_mul_f64 v[114:115], v[232:233], v[116:117]
	v_mul_f64 v[214:215], v[230:231], v[116:117]
	v_fma_f64 v[114:115], v[230:231], v[238:239], -v[114:115]
	v_fma_f64 v[214:215], v[232:233], v[238:239], v[214:215]
	ds_read2_b64 v[230:233], v1 offset0:62 offset1:63
	v_add_f64 v[106:107], v[106:107], -v[114:115]
	v_add_f64 v[108:109], v[108:109], -v[214:215]
	;; [unrolled: 8-line block ×27, first 2 shown]
	s_waitcnt lgkmcnt(0)
	v_mul_f64 v[114:115], v[232:233], v[116:117]
	v_mul_f64 v[214:215], v[230:231], v[116:117]
	v_fma_f64 v[114:115], v[230:231], v[238:239], -v[114:115]
	v_fma_f64 v[214:215], v[232:233], v[238:239], v[214:215]
	v_add_f64 v[250:251], v[250:251], -v[114:115]
	v_add_f64 v[252:253], v[252:253], -v[214:215]
	v_mov_b32_e32 v114, v238
	v_mov_b32_e32 v115, v239
.LBB112_608:
	s_or_b32 exec_lo, exec_lo, s0
	v_lshl_add_u32 v214, v244, 4, v1
	s_barrier
	buffer_gl0_inv
	v_mov_b32_e32 v238, 29
	ds_write2_b64 v214, v[110:111], v[112:113] offset1:1
	s_waitcnt lgkmcnt(0)
	s_barrier
	buffer_gl0_inv
	ds_read2_b64 v[230:233], v1 offset0:58 offset1:59
	s_cmp_lt_i32 s8, 31
	s_cbranch_scc1 .LBB112_611
; %bb.609:
	v_add3_u32 v239, v228, 0, 0x1e0
	v_mov_b32_e32 v238, 29
	s_mov_b32 s0, 30
	s_inst_prefetch 0x1
	.p2align	6
.LBB112_610:                            ; =>This Inner Loop Header: Depth=1
	s_waitcnt lgkmcnt(0)
	v_cmp_gt_f64_e32 vcc_lo, 0, v[230:231]
	v_xor_b32_e32 v214, 0x80000000, v231
	ds_read2_b64 v[245:248], v239 offset1:1
	v_xor_b32_e32 v216, 0x80000000, v233
	v_add_nc_u32_e32 v239, 16, v239
	s_waitcnt lgkmcnt(0)
	v_xor_b32_e32 v218, 0x80000000, v248
	v_cndmask_b32_e32 v215, v231, v214, vcc_lo
	v_cmp_gt_f64_e32 vcc_lo, 0, v[232:233]
	v_mov_b32_e32 v214, v230
	v_cndmask_b32_e32 v217, v233, v216, vcc_lo
	v_cmp_gt_f64_e32 vcc_lo, 0, v[245:246]
	v_mov_b32_e32 v216, v232
	v_add_f64 v[214:215], v[214:215], v[216:217]
	v_xor_b32_e32 v216, 0x80000000, v246
	v_cndmask_b32_e32 v217, v246, v216, vcc_lo
	v_cmp_gt_f64_e32 vcc_lo, 0, v[247:248]
	v_mov_b32_e32 v216, v245
	v_cndmask_b32_e32 v219, v248, v218, vcc_lo
	v_mov_b32_e32 v218, v247
	v_add_f64 v[216:217], v[216:217], v[218:219]
	v_cmp_lt_f64_e32 vcc_lo, v[214:215], v[216:217]
	v_cndmask_b32_e32 v231, v231, v246, vcc_lo
	v_cndmask_b32_e32 v230, v230, v245, vcc_lo
	;; [unrolled: 1-line block ×4, first 2 shown]
	v_cndmask_b32_e64 v238, v238, s0, vcc_lo
	s_add_i32 s0, s0, 1
	s_cmp_lg_u32 s8, s0
	s_cbranch_scc1 .LBB112_610
.LBB112_611:
	s_inst_prefetch 0x2
	s_waitcnt lgkmcnt(0)
	v_cmp_eq_f64_e32 vcc_lo, 0, v[230:231]
	v_cmp_eq_f64_e64 s0, 0, v[232:233]
	s_and_b32 s0, vcc_lo, s0
	s_and_saveexec_b32 s1, s0
	s_xor_b32 s0, exec_lo, s1
; %bb.612:
	v_cmp_ne_u32_e32 vcc_lo, 0, v243
	v_cndmask_b32_e32 v243, 30, v243, vcc_lo
; %bb.613:
	s_andn2_saveexec_b32 s0, s0
	s_cbranch_execz .LBB112_619
; %bb.614:
	v_cmp_ngt_f64_e64 s1, |v[230:231]|, |v[232:233]|
	s_and_saveexec_b32 s7, s1
	s_xor_b32 s1, exec_lo, s7
	s_cbranch_execz .LBB112_616
; %bb.615:
	v_div_scale_f64 v[214:215], null, v[232:233], v[232:233], v[230:231]
	v_div_scale_f64 v[220:221], vcc_lo, v[230:231], v[232:233], v[230:231]
	v_rcp_f64_e32 v[216:217], v[214:215]
	v_fma_f64 v[218:219], -v[214:215], v[216:217], 1.0
	v_fma_f64 v[216:217], v[216:217], v[218:219], v[216:217]
	v_fma_f64 v[218:219], -v[214:215], v[216:217], 1.0
	v_fma_f64 v[216:217], v[216:217], v[218:219], v[216:217]
	v_mul_f64 v[218:219], v[220:221], v[216:217]
	v_fma_f64 v[214:215], -v[214:215], v[218:219], v[220:221]
	v_div_fmas_f64 v[214:215], v[214:215], v[216:217], v[218:219]
	v_div_fixup_f64 v[214:215], v[214:215], v[232:233], v[230:231]
	v_fma_f64 v[216:217], v[230:231], v[214:215], v[232:233]
	v_div_scale_f64 v[218:219], null, v[216:217], v[216:217], 1.0
	v_rcp_f64_e32 v[220:221], v[218:219]
	v_fma_f64 v[222:223], -v[218:219], v[220:221], 1.0
	v_fma_f64 v[220:221], v[220:221], v[222:223], v[220:221]
	v_fma_f64 v[222:223], -v[218:219], v[220:221], 1.0
	v_fma_f64 v[220:221], v[220:221], v[222:223], v[220:221]
	v_div_scale_f64 v[222:223], vcc_lo, 1.0, v[216:217], 1.0
	v_mul_f64 v[224:225], v[222:223], v[220:221]
	v_fma_f64 v[218:219], -v[218:219], v[224:225], v[222:223]
	v_div_fmas_f64 v[218:219], v[218:219], v[220:221], v[224:225]
	v_div_fixup_f64 v[232:233], v[218:219], v[216:217], 1.0
	v_mul_f64 v[230:231], v[214:215], v[232:233]
	v_xor_b32_e32 v233, 0x80000000, v233
.LBB112_616:
	s_andn2_saveexec_b32 s1, s1
	s_cbranch_execz .LBB112_618
; %bb.617:
	v_div_scale_f64 v[214:215], null, v[230:231], v[230:231], v[232:233]
	v_div_scale_f64 v[220:221], vcc_lo, v[232:233], v[230:231], v[232:233]
	v_rcp_f64_e32 v[216:217], v[214:215]
	v_fma_f64 v[218:219], -v[214:215], v[216:217], 1.0
	v_fma_f64 v[216:217], v[216:217], v[218:219], v[216:217]
	v_fma_f64 v[218:219], -v[214:215], v[216:217], 1.0
	v_fma_f64 v[216:217], v[216:217], v[218:219], v[216:217]
	v_mul_f64 v[218:219], v[220:221], v[216:217]
	v_fma_f64 v[214:215], -v[214:215], v[218:219], v[220:221]
	v_div_fmas_f64 v[214:215], v[214:215], v[216:217], v[218:219]
	v_div_fixup_f64 v[214:215], v[214:215], v[230:231], v[232:233]
	v_fma_f64 v[216:217], v[232:233], v[214:215], v[230:231]
	v_div_scale_f64 v[218:219], null, v[216:217], v[216:217], 1.0
	v_rcp_f64_e32 v[220:221], v[218:219]
	v_fma_f64 v[222:223], -v[218:219], v[220:221], 1.0
	v_fma_f64 v[220:221], v[220:221], v[222:223], v[220:221]
	v_fma_f64 v[222:223], -v[218:219], v[220:221], 1.0
	v_fma_f64 v[220:221], v[220:221], v[222:223], v[220:221]
	v_div_scale_f64 v[222:223], vcc_lo, 1.0, v[216:217], 1.0
	v_mul_f64 v[224:225], v[222:223], v[220:221]
	v_fma_f64 v[218:219], -v[218:219], v[224:225], v[222:223]
	v_div_fmas_f64 v[218:219], v[218:219], v[220:221], v[224:225]
	v_div_fixup_f64 v[230:231], v[218:219], v[216:217], 1.0
	v_mul_f64 v[232:233], v[214:215], -v[230:231]
.LBB112_618:
	s_or_b32 exec_lo, exec_lo, s1
.LBB112_619:
	s_or_b32 exec_lo, exec_lo, s0
	s_mov_b32 s0, exec_lo
	v_cmpx_ne_u32_e64 v244, v238
	s_xor_b32 s0, exec_lo, s0
	s_cbranch_execz .LBB112_625
; %bb.620:
	s_mov_b32 s1, exec_lo
	v_cmpx_eq_u32_e32 29, v244
	s_cbranch_execz .LBB112_624
; %bb.621:
	v_cmp_ne_u32_e32 vcc_lo, 29, v238
	s_xor_b32 s7, s16, -1
	s_and_b32 s9, s7, vcc_lo
	s_and_saveexec_b32 s7, s9
	s_cbranch_execz .LBB112_623
; %bb.622:
	s_clause 0x1
	buffer_load_dword v210, off, s[20:23], 0
	buffer_load_dword v211, off, s[20:23], 0 offset:4
	v_ashrrev_i32_e32 v239, 31, v238
	v_lshlrev_b64 v[214:215], 2, v[238:239]
	s_waitcnt vmcnt(1)
	v_add_co_u32 v214, vcc_lo, v210, v214
	s_waitcnt vmcnt(0)
	v_add_co_ci_u32_e64 v215, null, v211, v215, vcc_lo
	s_clause 0x1
	global_load_dword v0, v[214:215], off
	global_load_dword v216, v[210:211], off offset:116
	s_waitcnt vmcnt(1)
	global_store_dword v[210:211], v0, off offset:116
	s_waitcnt vmcnt(0)
	global_store_dword v[214:215], v216, off
.LBB112_623:
	s_or_b32 exec_lo, exec_lo, s7
	v_mov_b32_e32 v244, v238
	v_mov_b32_e32 v0, v238
.LBB112_624:
	s_or_b32 exec_lo, exec_lo, s1
.LBB112_625:
	s_andn2_saveexec_b32 s0, s0
	s_cbranch_execz .LBB112_627
; %bb.626:
	v_mov_b32_e32 v244, 29
	ds_write2_b64 v1, v[106:107], v[108:109] offset0:60 offset1:61
	ds_write2_b64 v1, v[102:103], v[104:105] offset0:62 offset1:63
	ds_write2_b64 v1, v[98:99], v[100:101] offset0:64 offset1:65
	ds_write2_b64 v1, v[94:95], v[96:97] offset0:66 offset1:67
	ds_write2_b64 v1, v[90:91], v[92:93] offset0:68 offset1:69
	ds_write2_b64 v1, v[86:87], v[88:89] offset0:70 offset1:71
	ds_write2_b64 v1, v[82:83], v[84:85] offset0:72 offset1:73
	ds_write2_b64 v1, v[78:79], v[80:81] offset0:74 offset1:75
	ds_write2_b64 v1, v[74:75], v[76:77] offset0:76 offset1:77
	ds_write2_b64 v1, v[70:71], v[72:73] offset0:78 offset1:79
	ds_write2_b64 v1, v[66:67], v[68:69] offset0:80 offset1:81
	ds_write2_b64 v1, v[62:63], v[64:65] offset0:82 offset1:83
	ds_write2_b64 v1, v[58:59], v[60:61] offset0:84 offset1:85
	ds_write2_b64 v1, v[54:55], v[56:57] offset0:86 offset1:87
	ds_write2_b64 v1, v[50:51], v[52:53] offset0:88 offset1:89
	ds_write2_b64 v1, v[46:47], v[48:49] offset0:90 offset1:91
	ds_write2_b64 v1, v[42:43], v[44:45] offset0:92 offset1:93
	ds_write2_b64 v1, v[38:39], v[40:41] offset0:94 offset1:95
	ds_write2_b64 v1, v[34:35], v[36:37] offset0:96 offset1:97
	ds_write2_b64 v1, v[30:31], v[32:33] offset0:98 offset1:99
	ds_write2_b64 v1, v[26:27], v[28:29] offset0:100 offset1:101
	ds_write2_b64 v1, v[22:23], v[24:25] offset0:102 offset1:103
	ds_write2_b64 v1, v[18:19], v[20:21] offset0:104 offset1:105
	ds_write2_b64 v1, v[14:15], v[16:17] offset0:106 offset1:107
	ds_write2_b64 v1, v[10:11], v[12:13] offset0:108 offset1:109
	ds_write2_b64 v1, v[6:7], v[8:9] offset0:110 offset1:111
	ds_write2_b64 v1, v[250:251], v[252:253] offset0:112 offset1:113
.LBB112_627:
	s_or_b32 exec_lo, exec_lo, s0
	s_mov_b32 s0, exec_lo
	s_waitcnt lgkmcnt(0)
	s_waitcnt_vscnt null, 0x0
	s_barrier
	buffer_gl0_inv
	v_cmpx_lt_i32_e32 29, v244
	s_cbranch_execz .LBB112_629
; %bb.628:
	v_mul_f64 v[214:215], v[232:233], v[112:113]
	v_mul_f64 v[112:113], v[230:231], v[112:113]
	v_fma_f64 v[238:239], v[230:231], v[110:111], -v[214:215]
	v_fma_f64 v[112:113], v[232:233], v[110:111], v[112:113]
	ds_read2_b64 v[230:233], v1 offset0:60 offset1:61
	s_waitcnt lgkmcnt(0)
	v_mul_f64 v[110:111], v[232:233], v[112:113]
	v_mul_f64 v[214:215], v[230:231], v[112:113]
	v_fma_f64 v[110:111], v[230:231], v[238:239], -v[110:111]
	v_fma_f64 v[214:215], v[232:233], v[238:239], v[214:215]
	ds_read2_b64 v[230:233], v1 offset0:62 offset1:63
	v_add_f64 v[106:107], v[106:107], -v[110:111]
	v_add_f64 v[108:109], v[108:109], -v[214:215]
	s_waitcnt lgkmcnt(0)
	v_mul_f64 v[110:111], v[232:233], v[112:113]
	v_mul_f64 v[214:215], v[230:231], v[112:113]
	v_fma_f64 v[110:111], v[230:231], v[238:239], -v[110:111]
	v_fma_f64 v[214:215], v[232:233], v[238:239], v[214:215]
	ds_read2_b64 v[230:233], v1 offset0:64 offset1:65
	v_add_f64 v[102:103], v[102:103], -v[110:111]
	v_add_f64 v[104:105], v[104:105], -v[214:215]
	;; [unrolled: 8-line block ×26, first 2 shown]
	s_waitcnt lgkmcnt(0)
	v_mul_f64 v[110:111], v[232:233], v[112:113]
	v_mul_f64 v[214:215], v[230:231], v[112:113]
	v_fma_f64 v[110:111], v[230:231], v[238:239], -v[110:111]
	v_fma_f64 v[214:215], v[232:233], v[238:239], v[214:215]
	v_add_f64 v[250:251], v[250:251], -v[110:111]
	v_add_f64 v[252:253], v[252:253], -v[214:215]
	v_mov_b32_e32 v110, v238
	v_mov_b32_e32 v111, v239
.LBB112_629:
	s_or_b32 exec_lo, exec_lo, s0
	v_lshl_add_u32 v214, v244, 4, v1
	s_barrier
	buffer_gl0_inv
	v_mov_b32_e32 v238, 30
	ds_write2_b64 v214, v[106:107], v[108:109] offset1:1
	s_waitcnt lgkmcnt(0)
	s_barrier
	buffer_gl0_inv
	ds_read2_b64 v[230:233], v1 offset0:60 offset1:61
	s_cmp_lt_i32 s8, 32
	s_cbranch_scc1 .LBB112_632
; %bb.630:
	v_add3_u32 v239, v228, 0, 0x1f0
	v_mov_b32_e32 v238, 30
	s_mov_b32 s0, 31
	s_inst_prefetch 0x1
	.p2align	6
.LBB112_631:                            ; =>This Inner Loop Header: Depth=1
	s_waitcnt lgkmcnt(0)
	v_cmp_gt_f64_e32 vcc_lo, 0, v[230:231]
	v_xor_b32_e32 v214, 0x80000000, v231
	ds_read2_b64 v[245:248], v239 offset1:1
	v_xor_b32_e32 v216, 0x80000000, v233
	v_add_nc_u32_e32 v239, 16, v239
	s_waitcnt lgkmcnt(0)
	v_xor_b32_e32 v218, 0x80000000, v248
	v_cndmask_b32_e32 v215, v231, v214, vcc_lo
	v_cmp_gt_f64_e32 vcc_lo, 0, v[232:233]
	v_mov_b32_e32 v214, v230
	v_cndmask_b32_e32 v217, v233, v216, vcc_lo
	v_cmp_gt_f64_e32 vcc_lo, 0, v[245:246]
	v_mov_b32_e32 v216, v232
	v_add_f64 v[214:215], v[214:215], v[216:217]
	v_xor_b32_e32 v216, 0x80000000, v246
	v_cndmask_b32_e32 v217, v246, v216, vcc_lo
	v_cmp_gt_f64_e32 vcc_lo, 0, v[247:248]
	v_mov_b32_e32 v216, v245
	v_cndmask_b32_e32 v219, v248, v218, vcc_lo
	v_mov_b32_e32 v218, v247
	v_add_f64 v[216:217], v[216:217], v[218:219]
	v_cmp_lt_f64_e32 vcc_lo, v[214:215], v[216:217]
	v_cndmask_b32_e32 v231, v231, v246, vcc_lo
	v_cndmask_b32_e32 v230, v230, v245, vcc_lo
	;; [unrolled: 1-line block ×4, first 2 shown]
	v_cndmask_b32_e64 v238, v238, s0, vcc_lo
	s_add_i32 s0, s0, 1
	s_cmp_lg_u32 s8, s0
	s_cbranch_scc1 .LBB112_631
.LBB112_632:
	s_inst_prefetch 0x2
	s_waitcnt lgkmcnt(0)
	v_cmp_eq_f64_e32 vcc_lo, 0, v[230:231]
	v_cmp_eq_f64_e64 s0, 0, v[232:233]
	s_and_b32 s0, vcc_lo, s0
	s_and_saveexec_b32 s1, s0
	s_xor_b32 s0, exec_lo, s1
; %bb.633:
	v_cmp_ne_u32_e32 vcc_lo, 0, v243
	v_cndmask_b32_e32 v243, 31, v243, vcc_lo
; %bb.634:
	s_andn2_saveexec_b32 s0, s0
	s_cbranch_execz .LBB112_640
; %bb.635:
	v_cmp_ngt_f64_e64 s1, |v[230:231]|, |v[232:233]|
	s_and_saveexec_b32 s7, s1
	s_xor_b32 s1, exec_lo, s7
	s_cbranch_execz .LBB112_637
; %bb.636:
	v_div_scale_f64 v[214:215], null, v[232:233], v[232:233], v[230:231]
	v_div_scale_f64 v[220:221], vcc_lo, v[230:231], v[232:233], v[230:231]
	v_rcp_f64_e32 v[216:217], v[214:215]
	v_fma_f64 v[218:219], -v[214:215], v[216:217], 1.0
	v_fma_f64 v[216:217], v[216:217], v[218:219], v[216:217]
	v_fma_f64 v[218:219], -v[214:215], v[216:217], 1.0
	v_fma_f64 v[216:217], v[216:217], v[218:219], v[216:217]
	v_mul_f64 v[218:219], v[220:221], v[216:217]
	v_fma_f64 v[214:215], -v[214:215], v[218:219], v[220:221]
	v_div_fmas_f64 v[214:215], v[214:215], v[216:217], v[218:219]
	v_div_fixup_f64 v[214:215], v[214:215], v[232:233], v[230:231]
	v_fma_f64 v[216:217], v[230:231], v[214:215], v[232:233]
	v_div_scale_f64 v[218:219], null, v[216:217], v[216:217], 1.0
	v_rcp_f64_e32 v[220:221], v[218:219]
	v_fma_f64 v[222:223], -v[218:219], v[220:221], 1.0
	v_fma_f64 v[220:221], v[220:221], v[222:223], v[220:221]
	v_fma_f64 v[222:223], -v[218:219], v[220:221], 1.0
	v_fma_f64 v[220:221], v[220:221], v[222:223], v[220:221]
	v_div_scale_f64 v[222:223], vcc_lo, 1.0, v[216:217], 1.0
	v_mul_f64 v[224:225], v[222:223], v[220:221]
	v_fma_f64 v[218:219], -v[218:219], v[224:225], v[222:223]
	v_div_fmas_f64 v[218:219], v[218:219], v[220:221], v[224:225]
	v_div_fixup_f64 v[232:233], v[218:219], v[216:217], 1.0
	v_mul_f64 v[230:231], v[214:215], v[232:233]
	v_xor_b32_e32 v233, 0x80000000, v233
.LBB112_637:
	s_andn2_saveexec_b32 s1, s1
	s_cbranch_execz .LBB112_639
; %bb.638:
	v_div_scale_f64 v[214:215], null, v[230:231], v[230:231], v[232:233]
	v_div_scale_f64 v[220:221], vcc_lo, v[232:233], v[230:231], v[232:233]
	v_rcp_f64_e32 v[216:217], v[214:215]
	v_fma_f64 v[218:219], -v[214:215], v[216:217], 1.0
	v_fma_f64 v[216:217], v[216:217], v[218:219], v[216:217]
	v_fma_f64 v[218:219], -v[214:215], v[216:217], 1.0
	v_fma_f64 v[216:217], v[216:217], v[218:219], v[216:217]
	v_mul_f64 v[218:219], v[220:221], v[216:217]
	v_fma_f64 v[214:215], -v[214:215], v[218:219], v[220:221]
	v_div_fmas_f64 v[214:215], v[214:215], v[216:217], v[218:219]
	v_div_fixup_f64 v[214:215], v[214:215], v[230:231], v[232:233]
	v_fma_f64 v[216:217], v[232:233], v[214:215], v[230:231]
	v_div_scale_f64 v[218:219], null, v[216:217], v[216:217], 1.0
	v_rcp_f64_e32 v[220:221], v[218:219]
	v_fma_f64 v[222:223], -v[218:219], v[220:221], 1.0
	v_fma_f64 v[220:221], v[220:221], v[222:223], v[220:221]
	v_fma_f64 v[222:223], -v[218:219], v[220:221], 1.0
	v_fma_f64 v[220:221], v[220:221], v[222:223], v[220:221]
	v_div_scale_f64 v[222:223], vcc_lo, 1.0, v[216:217], 1.0
	v_mul_f64 v[224:225], v[222:223], v[220:221]
	v_fma_f64 v[218:219], -v[218:219], v[224:225], v[222:223]
	v_div_fmas_f64 v[218:219], v[218:219], v[220:221], v[224:225]
	v_div_fixup_f64 v[230:231], v[218:219], v[216:217], 1.0
	v_mul_f64 v[232:233], v[214:215], -v[230:231]
.LBB112_639:
	s_or_b32 exec_lo, exec_lo, s1
.LBB112_640:
	s_or_b32 exec_lo, exec_lo, s0
	s_mov_b32 s0, exec_lo
	v_cmpx_ne_u32_e64 v244, v238
	s_xor_b32 s0, exec_lo, s0
	s_cbranch_execz .LBB112_646
; %bb.641:
	s_mov_b32 s1, exec_lo
	v_cmpx_eq_u32_e32 30, v244
	s_cbranch_execz .LBB112_645
; %bb.642:
	v_cmp_ne_u32_e32 vcc_lo, 30, v238
	s_xor_b32 s7, s16, -1
	s_and_b32 s9, s7, vcc_lo
	s_and_saveexec_b32 s7, s9
	s_cbranch_execz .LBB112_644
; %bb.643:
	s_clause 0x1
	buffer_load_dword v210, off, s[20:23], 0
	buffer_load_dword v211, off, s[20:23], 0 offset:4
	v_ashrrev_i32_e32 v239, 31, v238
	v_lshlrev_b64 v[214:215], 2, v[238:239]
	s_waitcnt vmcnt(1)
	v_add_co_u32 v214, vcc_lo, v210, v214
	s_waitcnt vmcnt(0)
	v_add_co_ci_u32_e64 v215, null, v211, v215, vcc_lo
	s_clause 0x1
	global_load_dword v0, v[214:215], off
	global_load_dword v216, v[210:211], off offset:120
	s_waitcnt vmcnt(1)
	global_store_dword v[210:211], v0, off offset:120
	s_waitcnt vmcnt(0)
	global_store_dword v[214:215], v216, off
.LBB112_644:
	s_or_b32 exec_lo, exec_lo, s7
	v_mov_b32_e32 v244, v238
	v_mov_b32_e32 v0, v238
.LBB112_645:
	s_or_b32 exec_lo, exec_lo, s1
.LBB112_646:
	s_andn2_saveexec_b32 s0, s0
	s_cbranch_execz .LBB112_648
; %bb.647:
	v_mov_b32_e32 v244, 30
	ds_write2_b64 v1, v[102:103], v[104:105] offset0:62 offset1:63
	ds_write2_b64 v1, v[98:99], v[100:101] offset0:64 offset1:65
	;; [unrolled: 1-line block ×26, first 2 shown]
.LBB112_648:
	s_or_b32 exec_lo, exec_lo, s0
	s_mov_b32 s0, exec_lo
	s_waitcnt lgkmcnt(0)
	s_waitcnt_vscnt null, 0x0
	s_barrier
	buffer_gl0_inv
	v_cmpx_lt_i32_e32 30, v244
	s_cbranch_execz .LBB112_650
; %bb.649:
	v_mul_f64 v[214:215], v[232:233], v[108:109]
	v_mul_f64 v[108:109], v[230:231], v[108:109]
	v_fma_f64 v[238:239], v[230:231], v[106:107], -v[214:215]
	v_fma_f64 v[108:109], v[232:233], v[106:107], v[108:109]
	ds_read2_b64 v[230:233], v1 offset0:62 offset1:63
	s_waitcnt lgkmcnt(0)
	v_mul_f64 v[106:107], v[232:233], v[108:109]
	v_mul_f64 v[214:215], v[230:231], v[108:109]
	v_fma_f64 v[106:107], v[230:231], v[238:239], -v[106:107]
	v_fma_f64 v[214:215], v[232:233], v[238:239], v[214:215]
	ds_read2_b64 v[230:233], v1 offset0:64 offset1:65
	v_add_f64 v[102:103], v[102:103], -v[106:107]
	v_add_f64 v[104:105], v[104:105], -v[214:215]
	s_waitcnt lgkmcnt(0)
	v_mul_f64 v[106:107], v[232:233], v[108:109]
	v_mul_f64 v[214:215], v[230:231], v[108:109]
	v_fma_f64 v[106:107], v[230:231], v[238:239], -v[106:107]
	v_fma_f64 v[214:215], v[232:233], v[238:239], v[214:215]
	ds_read2_b64 v[230:233], v1 offset0:66 offset1:67
	v_add_f64 v[98:99], v[98:99], -v[106:107]
	v_add_f64 v[100:101], v[100:101], -v[214:215]
	;; [unrolled: 8-line block ×25, first 2 shown]
	s_waitcnt lgkmcnt(0)
	v_mul_f64 v[106:107], v[232:233], v[108:109]
	v_mul_f64 v[214:215], v[230:231], v[108:109]
	v_fma_f64 v[106:107], v[230:231], v[238:239], -v[106:107]
	v_fma_f64 v[214:215], v[232:233], v[238:239], v[214:215]
	v_add_f64 v[250:251], v[250:251], -v[106:107]
	v_add_f64 v[252:253], v[252:253], -v[214:215]
	v_mov_b32_e32 v106, v238
	v_mov_b32_e32 v107, v239
.LBB112_650:
	s_or_b32 exec_lo, exec_lo, s0
	v_lshl_add_u32 v214, v244, 4, v1
	s_barrier
	buffer_gl0_inv
	v_mov_b32_e32 v238, 31
	ds_write2_b64 v214, v[102:103], v[104:105] offset1:1
	s_waitcnt lgkmcnt(0)
	s_barrier
	buffer_gl0_inv
	ds_read2_b64 v[230:233], v1 offset0:62 offset1:63
	s_cmp_lt_i32 s8, 33
	s_cbranch_scc1 .LBB112_653
; %bb.651:
	v_add3_u32 v239, v228, 0, 0x200
	v_mov_b32_e32 v238, 31
	s_mov_b32 s0, 32
	s_inst_prefetch 0x1
	.p2align	6
.LBB112_652:                            ; =>This Inner Loop Header: Depth=1
	s_waitcnt lgkmcnt(0)
	v_cmp_gt_f64_e32 vcc_lo, 0, v[230:231]
	v_xor_b32_e32 v214, 0x80000000, v231
	ds_read2_b64 v[245:248], v239 offset1:1
	v_xor_b32_e32 v216, 0x80000000, v233
	v_add_nc_u32_e32 v239, 16, v239
	s_waitcnt lgkmcnt(0)
	v_xor_b32_e32 v218, 0x80000000, v248
	v_cndmask_b32_e32 v215, v231, v214, vcc_lo
	v_cmp_gt_f64_e32 vcc_lo, 0, v[232:233]
	v_mov_b32_e32 v214, v230
	v_cndmask_b32_e32 v217, v233, v216, vcc_lo
	v_cmp_gt_f64_e32 vcc_lo, 0, v[245:246]
	v_mov_b32_e32 v216, v232
	v_add_f64 v[214:215], v[214:215], v[216:217]
	v_xor_b32_e32 v216, 0x80000000, v246
	v_cndmask_b32_e32 v217, v246, v216, vcc_lo
	v_cmp_gt_f64_e32 vcc_lo, 0, v[247:248]
	v_mov_b32_e32 v216, v245
	v_cndmask_b32_e32 v219, v248, v218, vcc_lo
	v_mov_b32_e32 v218, v247
	v_add_f64 v[216:217], v[216:217], v[218:219]
	v_cmp_lt_f64_e32 vcc_lo, v[214:215], v[216:217]
	v_cndmask_b32_e32 v231, v231, v246, vcc_lo
	v_cndmask_b32_e32 v230, v230, v245, vcc_lo
	;; [unrolled: 1-line block ×4, first 2 shown]
	v_cndmask_b32_e64 v238, v238, s0, vcc_lo
	s_add_i32 s0, s0, 1
	s_cmp_lg_u32 s8, s0
	s_cbranch_scc1 .LBB112_652
.LBB112_653:
	s_inst_prefetch 0x2
	s_waitcnt lgkmcnt(0)
	v_cmp_eq_f64_e32 vcc_lo, 0, v[230:231]
	v_cmp_eq_f64_e64 s0, 0, v[232:233]
	s_and_b32 s0, vcc_lo, s0
	s_and_saveexec_b32 s1, s0
	s_xor_b32 s0, exec_lo, s1
; %bb.654:
	v_cmp_ne_u32_e32 vcc_lo, 0, v243
	v_cndmask_b32_e32 v243, 32, v243, vcc_lo
; %bb.655:
	s_andn2_saveexec_b32 s0, s0
	s_cbranch_execz .LBB112_661
; %bb.656:
	v_cmp_ngt_f64_e64 s1, |v[230:231]|, |v[232:233]|
	s_and_saveexec_b32 s7, s1
	s_xor_b32 s1, exec_lo, s7
	s_cbranch_execz .LBB112_658
; %bb.657:
	v_div_scale_f64 v[214:215], null, v[232:233], v[232:233], v[230:231]
	v_div_scale_f64 v[220:221], vcc_lo, v[230:231], v[232:233], v[230:231]
	v_rcp_f64_e32 v[216:217], v[214:215]
	v_fma_f64 v[218:219], -v[214:215], v[216:217], 1.0
	v_fma_f64 v[216:217], v[216:217], v[218:219], v[216:217]
	v_fma_f64 v[218:219], -v[214:215], v[216:217], 1.0
	v_fma_f64 v[216:217], v[216:217], v[218:219], v[216:217]
	v_mul_f64 v[218:219], v[220:221], v[216:217]
	v_fma_f64 v[214:215], -v[214:215], v[218:219], v[220:221]
	v_div_fmas_f64 v[214:215], v[214:215], v[216:217], v[218:219]
	v_div_fixup_f64 v[214:215], v[214:215], v[232:233], v[230:231]
	v_fma_f64 v[216:217], v[230:231], v[214:215], v[232:233]
	v_div_scale_f64 v[218:219], null, v[216:217], v[216:217], 1.0
	v_rcp_f64_e32 v[220:221], v[218:219]
	v_fma_f64 v[222:223], -v[218:219], v[220:221], 1.0
	v_fma_f64 v[220:221], v[220:221], v[222:223], v[220:221]
	v_fma_f64 v[222:223], -v[218:219], v[220:221], 1.0
	v_fma_f64 v[220:221], v[220:221], v[222:223], v[220:221]
	v_div_scale_f64 v[222:223], vcc_lo, 1.0, v[216:217], 1.0
	v_mul_f64 v[224:225], v[222:223], v[220:221]
	v_fma_f64 v[218:219], -v[218:219], v[224:225], v[222:223]
	v_div_fmas_f64 v[218:219], v[218:219], v[220:221], v[224:225]
	v_div_fixup_f64 v[232:233], v[218:219], v[216:217], 1.0
	v_mul_f64 v[230:231], v[214:215], v[232:233]
	v_xor_b32_e32 v233, 0x80000000, v233
.LBB112_658:
	s_andn2_saveexec_b32 s1, s1
	s_cbranch_execz .LBB112_660
; %bb.659:
	v_div_scale_f64 v[214:215], null, v[230:231], v[230:231], v[232:233]
	v_div_scale_f64 v[220:221], vcc_lo, v[232:233], v[230:231], v[232:233]
	v_rcp_f64_e32 v[216:217], v[214:215]
	v_fma_f64 v[218:219], -v[214:215], v[216:217], 1.0
	v_fma_f64 v[216:217], v[216:217], v[218:219], v[216:217]
	v_fma_f64 v[218:219], -v[214:215], v[216:217], 1.0
	v_fma_f64 v[216:217], v[216:217], v[218:219], v[216:217]
	v_mul_f64 v[218:219], v[220:221], v[216:217]
	v_fma_f64 v[214:215], -v[214:215], v[218:219], v[220:221]
	v_div_fmas_f64 v[214:215], v[214:215], v[216:217], v[218:219]
	v_div_fixup_f64 v[214:215], v[214:215], v[230:231], v[232:233]
	v_fma_f64 v[216:217], v[232:233], v[214:215], v[230:231]
	v_div_scale_f64 v[218:219], null, v[216:217], v[216:217], 1.0
	v_rcp_f64_e32 v[220:221], v[218:219]
	v_fma_f64 v[222:223], -v[218:219], v[220:221], 1.0
	v_fma_f64 v[220:221], v[220:221], v[222:223], v[220:221]
	v_fma_f64 v[222:223], -v[218:219], v[220:221], 1.0
	v_fma_f64 v[220:221], v[220:221], v[222:223], v[220:221]
	v_div_scale_f64 v[222:223], vcc_lo, 1.0, v[216:217], 1.0
	v_mul_f64 v[224:225], v[222:223], v[220:221]
	v_fma_f64 v[218:219], -v[218:219], v[224:225], v[222:223]
	v_div_fmas_f64 v[218:219], v[218:219], v[220:221], v[224:225]
	v_div_fixup_f64 v[230:231], v[218:219], v[216:217], 1.0
	v_mul_f64 v[232:233], v[214:215], -v[230:231]
.LBB112_660:
	s_or_b32 exec_lo, exec_lo, s1
.LBB112_661:
	s_or_b32 exec_lo, exec_lo, s0
	s_mov_b32 s0, exec_lo
	v_cmpx_ne_u32_e64 v244, v238
	s_xor_b32 s0, exec_lo, s0
	s_cbranch_execz .LBB112_667
; %bb.662:
	s_mov_b32 s1, exec_lo
	v_cmpx_eq_u32_e32 31, v244
	s_cbranch_execz .LBB112_666
; %bb.663:
	v_cmp_ne_u32_e32 vcc_lo, 31, v238
	s_xor_b32 s7, s16, -1
	s_and_b32 s9, s7, vcc_lo
	s_and_saveexec_b32 s7, s9
	s_cbranch_execz .LBB112_665
; %bb.664:
	s_clause 0x1
	buffer_load_dword v210, off, s[20:23], 0
	buffer_load_dword v211, off, s[20:23], 0 offset:4
	v_ashrrev_i32_e32 v239, 31, v238
	v_lshlrev_b64 v[214:215], 2, v[238:239]
	s_waitcnt vmcnt(1)
	v_add_co_u32 v214, vcc_lo, v210, v214
	s_waitcnt vmcnt(0)
	v_add_co_ci_u32_e64 v215, null, v211, v215, vcc_lo
	s_clause 0x1
	global_load_dword v0, v[214:215], off
	global_load_dword v216, v[210:211], off offset:124
	s_waitcnt vmcnt(1)
	global_store_dword v[210:211], v0, off offset:124
	s_waitcnt vmcnt(0)
	global_store_dword v[214:215], v216, off
.LBB112_665:
	s_or_b32 exec_lo, exec_lo, s7
	v_mov_b32_e32 v244, v238
	v_mov_b32_e32 v0, v238
.LBB112_666:
	s_or_b32 exec_lo, exec_lo, s1
.LBB112_667:
	s_andn2_saveexec_b32 s0, s0
	s_cbranch_execz .LBB112_669
; %bb.668:
	v_mov_b32_e32 v244, 31
	ds_write2_b64 v1, v[98:99], v[100:101] offset0:64 offset1:65
	ds_write2_b64 v1, v[94:95], v[96:97] offset0:66 offset1:67
	;; [unrolled: 1-line block ×25, first 2 shown]
.LBB112_669:
	s_or_b32 exec_lo, exec_lo, s0
	s_mov_b32 s0, exec_lo
	s_waitcnt lgkmcnt(0)
	s_waitcnt_vscnt null, 0x0
	s_barrier
	buffer_gl0_inv
	v_cmpx_lt_i32_e32 31, v244
	s_cbranch_execz .LBB112_671
; %bb.670:
	v_mul_f64 v[214:215], v[232:233], v[104:105]
	v_mul_f64 v[104:105], v[230:231], v[104:105]
	v_fma_f64 v[238:239], v[230:231], v[102:103], -v[214:215]
	v_fma_f64 v[104:105], v[232:233], v[102:103], v[104:105]
	ds_read2_b64 v[230:233], v1 offset0:64 offset1:65
	s_waitcnt lgkmcnt(0)
	v_mul_f64 v[102:103], v[232:233], v[104:105]
	v_mul_f64 v[214:215], v[230:231], v[104:105]
	v_fma_f64 v[102:103], v[230:231], v[238:239], -v[102:103]
	v_fma_f64 v[214:215], v[232:233], v[238:239], v[214:215]
	ds_read2_b64 v[230:233], v1 offset0:66 offset1:67
	v_add_f64 v[98:99], v[98:99], -v[102:103]
	v_add_f64 v[100:101], v[100:101], -v[214:215]
	s_waitcnt lgkmcnt(0)
	v_mul_f64 v[102:103], v[232:233], v[104:105]
	v_mul_f64 v[214:215], v[230:231], v[104:105]
	v_fma_f64 v[102:103], v[230:231], v[238:239], -v[102:103]
	v_fma_f64 v[214:215], v[232:233], v[238:239], v[214:215]
	ds_read2_b64 v[230:233], v1 offset0:68 offset1:69
	v_add_f64 v[94:95], v[94:95], -v[102:103]
	v_add_f64 v[96:97], v[96:97], -v[214:215]
	s_waitcnt lgkmcnt(0)
	v_mul_f64 v[102:103], v[232:233], v[104:105]
	v_mul_f64 v[214:215], v[230:231], v[104:105]
	v_fma_f64 v[102:103], v[230:231], v[238:239], -v[102:103]
	v_fma_f64 v[214:215], v[232:233], v[238:239], v[214:215]
	ds_read2_b64 v[230:233], v1 offset0:70 offset1:71
	v_add_f64 v[90:91], v[90:91], -v[102:103]
	v_add_f64 v[92:93], v[92:93], -v[214:215]
	s_waitcnt lgkmcnt(0)
	v_mul_f64 v[102:103], v[232:233], v[104:105]
	v_mul_f64 v[214:215], v[230:231], v[104:105]
	v_fma_f64 v[102:103], v[230:231], v[238:239], -v[102:103]
	v_fma_f64 v[214:215], v[232:233], v[238:239], v[214:215]
	ds_read2_b64 v[230:233], v1 offset0:72 offset1:73
	v_add_f64 v[86:87], v[86:87], -v[102:103]
	v_add_f64 v[88:89], v[88:89], -v[214:215]
	s_waitcnt lgkmcnt(0)
	v_mul_f64 v[102:103], v[232:233], v[104:105]
	v_mul_f64 v[214:215], v[230:231], v[104:105]
	v_fma_f64 v[102:103], v[230:231], v[238:239], -v[102:103]
	v_fma_f64 v[214:215], v[232:233], v[238:239], v[214:215]
	ds_read2_b64 v[230:233], v1 offset0:74 offset1:75
	v_add_f64 v[82:83], v[82:83], -v[102:103]
	v_add_f64 v[84:85], v[84:85], -v[214:215]
	s_waitcnt lgkmcnt(0)
	v_mul_f64 v[102:103], v[232:233], v[104:105]
	v_mul_f64 v[214:215], v[230:231], v[104:105]
	v_fma_f64 v[102:103], v[230:231], v[238:239], -v[102:103]
	v_fma_f64 v[214:215], v[232:233], v[238:239], v[214:215]
	ds_read2_b64 v[230:233], v1 offset0:76 offset1:77
	v_add_f64 v[78:79], v[78:79], -v[102:103]
	v_add_f64 v[80:81], v[80:81], -v[214:215]
	s_waitcnt lgkmcnt(0)
	v_mul_f64 v[102:103], v[232:233], v[104:105]
	v_mul_f64 v[214:215], v[230:231], v[104:105]
	v_fma_f64 v[102:103], v[230:231], v[238:239], -v[102:103]
	v_fma_f64 v[214:215], v[232:233], v[238:239], v[214:215]
	ds_read2_b64 v[230:233], v1 offset0:78 offset1:79
	v_add_f64 v[74:75], v[74:75], -v[102:103]
	v_add_f64 v[76:77], v[76:77], -v[214:215]
	s_waitcnt lgkmcnt(0)
	v_mul_f64 v[102:103], v[232:233], v[104:105]
	v_mul_f64 v[214:215], v[230:231], v[104:105]
	v_fma_f64 v[102:103], v[230:231], v[238:239], -v[102:103]
	v_fma_f64 v[214:215], v[232:233], v[238:239], v[214:215]
	ds_read2_b64 v[230:233], v1 offset0:80 offset1:81
	v_add_f64 v[70:71], v[70:71], -v[102:103]
	v_add_f64 v[72:73], v[72:73], -v[214:215]
	s_waitcnt lgkmcnt(0)
	v_mul_f64 v[102:103], v[232:233], v[104:105]
	v_mul_f64 v[214:215], v[230:231], v[104:105]
	v_fma_f64 v[102:103], v[230:231], v[238:239], -v[102:103]
	v_fma_f64 v[214:215], v[232:233], v[238:239], v[214:215]
	ds_read2_b64 v[230:233], v1 offset0:82 offset1:83
	v_add_f64 v[66:67], v[66:67], -v[102:103]
	v_add_f64 v[68:69], v[68:69], -v[214:215]
	s_waitcnt lgkmcnt(0)
	v_mul_f64 v[102:103], v[232:233], v[104:105]
	v_mul_f64 v[214:215], v[230:231], v[104:105]
	v_fma_f64 v[102:103], v[230:231], v[238:239], -v[102:103]
	v_fma_f64 v[214:215], v[232:233], v[238:239], v[214:215]
	ds_read2_b64 v[230:233], v1 offset0:84 offset1:85
	v_add_f64 v[62:63], v[62:63], -v[102:103]
	v_add_f64 v[64:65], v[64:65], -v[214:215]
	s_waitcnt lgkmcnt(0)
	v_mul_f64 v[102:103], v[232:233], v[104:105]
	v_mul_f64 v[214:215], v[230:231], v[104:105]
	v_fma_f64 v[102:103], v[230:231], v[238:239], -v[102:103]
	v_fma_f64 v[214:215], v[232:233], v[238:239], v[214:215]
	ds_read2_b64 v[230:233], v1 offset0:86 offset1:87
	v_add_f64 v[58:59], v[58:59], -v[102:103]
	v_add_f64 v[60:61], v[60:61], -v[214:215]
	s_waitcnt lgkmcnt(0)
	v_mul_f64 v[102:103], v[232:233], v[104:105]
	v_mul_f64 v[214:215], v[230:231], v[104:105]
	v_fma_f64 v[102:103], v[230:231], v[238:239], -v[102:103]
	v_fma_f64 v[214:215], v[232:233], v[238:239], v[214:215]
	ds_read2_b64 v[230:233], v1 offset0:88 offset1:89
	v_add_f64 v[54:55], v[54:55], -v[102:103]
	v_add_f64 v[56:57], v[56:57], -v[214:215]
	s_waitcnt lgkmcnt(0)
	v_mul_f64 v[102:103], v[232:233], v[104:105]
	v_mul_f64 v[214:215], v[230:231], v[104:105]
	v_fma_f64 v[102:103], v[230:231], v[238:239], -v[102:103]
	v_fma_f64 v[214:215], v[232:233], v[238:239], v[214:215]
	ds_read2_b64 v[230:233], v1 offset0:90 offset1:91
	v_add_f64 v[50:51], v[50:51], -v[102:103]
	v_add_f64 v[52:53], v[52:53], -v[214:215]
	s_waitcnt lgkmcnt(0)
	v_mul_f64 v[102:103], v[232:233], v[104:105]
	v_mul_f64 v[214:215], v[230:231], v[104:105]
	v_fma_f64 v[102:103], v[230:231], v[238:239], -v[102:103]
	v_fma_f64 v[214:215], v[232:233], v[238:239], v[214:215]
	ds_read2_b64 v[230:233], v1 offset0:92 offset1:93
	v_add_f64 v[46:47], v[46:47], -v[102:103]
	v_add_f64 v[48:49], v[48:49], -v[214:215]
	s_waitcnt lgkmcnt(0)
	v_mul_f64 v[102:103], v[232:233], v[104:105]
	v_mul_f64 v[214:215], v[230:231], v[104:105]
	v_fma_f64 v[102:103], v[230:231], v[238:239], -v[102:103]
	v_fma_f64 v[214:215], v[232:233], v[238:239], v[214:215]
	ds_read2_b64 v[230:233], v1 offset0:94 offset1:95
	v_add_f64 v[42:43], v[42:43], -v[102:103]
	v_add_f64 v[44:45], v[44:45], -v[214:215]
	s_waitcnt lgkmcnt(0)
	v_mul_f64 v[102:103], v[232:233], v[104:105]
	v_mul_f64 v[214:215], v[230:231], v[104:105]
	v_fma_f64 v[102:103], v[230:231], v[238:239], -v[102:103]
	v_fma_f64 v[214:215], v[232:233], v[238:239], v[214:215]
	ds_read2_b64 v[230:233], v1 offset0:96 offset1:97
	v_add_f64 v[38:39], v[38:39], -v[102:103]
	v_add_f64 v[40:41], v[40:41], -v[214:215]
	s_waitcnt lgkmcnt(0)
	v_mul_f64 v[102:103], v[232:233], v[104:105]
	v_mul_f64 v[214:215], v[230:231], v[104:105]
	v_fma_f64 v[102:103], v[230:231], v[238:239], -v[102:103]
	v_fma_f64 v[214:215], v[232:233], v[238:239], v[214:215]
	ds_read2_b64 v[230:233], v1 offset0:98 offset1:99
	v_add_f64 v[34:35], v[34:35], -v[102:103]
	v_add_f64 v[36:37], v[36:37], -v[214:215]
	s_waitcnt lgkmcnt(0)
	v_mul_f64 v[102:103], v[232:233], v[104:105]
	v_mul_f64 v[214:215], v[230:231], v[104:105]
	v_fma_f64 v[102:103], v[230:231], v[238:239], -v[102:103]
	v_fma_f64 v[214:215], v[232:233], v[238:239], v[214:215]
	ds_read2_b64 v[230:233], v1 offset0:100 offset1:101
	v_add_f64 v[30:31], v[30:31], -v[102:103]
	v_add_f64 v[32:33], v[32:33], -v[214:215]
	s_waitcnt lgkmcnt(0)
	v_mul_f64 v[102:103], v[232:233], v[104:105]
	v_mul_f64 v[214:215], v[230:231], v[104:105]
	v_fma_f64 v[102:103], v[230:231], v[238:239], -v[102:103]
	v_fma_f64 v[214:215], v[232:233], v[238:239], v[214:215]
	ds_read2_b64 v[230:233], v1 offset0:102 offset1:103
	v_add_f64 v[26:27], v[26:27], -v[102:103]
	v_add_f64 v[28:29], v[28:29], -v[214:215]
	s_waitcnt lgkmcnt(0)
	v_mul_f64 v[102:103], v[232:233], v[104:105]
	v_mul_f64 v[214:215], v[230:231], v[104:105]
	v_fma_f64 v[102:103], v[230:231], v[238:239], -v[102:103]
	v_fma_f64 v[214:215], v[232:233], v[238:239], v[214:215]
	ds_read2_b64 v[230:233], v1 offset0:104 offset1:105
	v_add_f64 v[22:23], v[22:23], -v[102:103]
	v_add_f64 v[24:25], v[24:25], -v[214:215]
	s_waitcnt lgkmcnt(0)
	v_mul_f64 v[102:103], v[232:233], v[104:105]
	v_mul_f64 v[214:215], v[230:231], v[104:105]
	v_fma_f64 v[102:103], v[230:231], v[238:239], -v[102:103]
	v_fma_f64 v[214:215], v[232:233], v[238:239], v[214:215]
	ds_read2_b64 v[230:233], v1 offset0:106 offset1:107
	v_add_f64 v[18:19], v[18:19], -v[102:103]
	v_add_f64 v[20:21], v[20:21], -v[214:215]
	s_waitcnt lgkmcnt(0)
	v_mul_f64 v[102:103], v[232:233], v[104:105]
	v_mul_f64 v[214:215], v[230:231], v[104:105]
	v_fma_f64 v[102:103], v[230:231], v[238:239], -v[102:103]
	v_fma_f64 v[214:215], v[232:233], v[238:239], v[214:215]
	ds_read2_b64 v[230:233], v1 offset0:108 offset1:109
	v_add_f64 v[14:15], v[14:15], -v[102:103]
	v_add_f64 v[16:17], v[16:17], -v[214:215]
	s_waitcnt lgkmcnt(0)
	v_mul_f64 v[102:103], v[232:233], v[104:105]
	v_mul_f64 v[214:215], v[230:231], v[104:105]
	v_fma_f64 v[102:103], v[230:231], v[238:239], -v[102:103]
	v_fma_f64 v[214:215], v[232:233], v[238:239], v[214:215]
	ds_read2_b64 v[230:233], v1 offset0:110 offset1:111
	v_add_f64 v[10:11], v[10:11], -v[102:103]
	v_add_f64 v[12:13], v[12:13], -v[214:215]
	s_waitcnt lgkmcnt(0)
	v_mul_f64 v[102:103], v[232:233], v[104:105]
	v_mul_f64 v[214:215], v[230:231], v[104:105]
	v_fma_f64 v[102:103], v[230:231], v[238:239], -v[102:103]
	v_fma_f64 v[214:215], v[232:233], v[238:239], v[214:215]
	ds_read2_b64 v[230:233], v1 offset0:112 offset1:113
	v_add_f64 v[6:7], v[6:7], -v[102:103]
	v_add_f64 v[8:9], v[8:9], -v[214:215]
	s_waitcnt lgkmcnt(0)
	v_mul_f64 v[102:103], v[232:233], v[104:105]
	v_mul_f64 v[214:215], v[230:231], v[104:105]
	v_fma_f64 v[102:103], v[230:231], v[238:239], -v[102:103]
	v_fma_f64 v[214:215], v[232:233], v[238:239], v[214:215]
	v_add_f64 v[250:251], v[250:251], -v[102:103]
	v_add_f64 v[252:253], v[252:253], -v[214:215]
	v_mov_b32_e32 v102, v238
	v_mov_b32_e32 v103, v239
.LBB112_671:
	s_or_b32 exec_lo, exec_lo, s0
	v_lshl_add_u32 v214, v244, 4, v1
	s_barrier
	buffer_gl0_inv
	v_mov_b32_e32 v238, 32
	ds_write2_b64 v214, v[98:99], v[100:101] offset1:1
	s_waitcnt lgkmcnt(0)
	s_barrier
	buffer_gl0_inv
	ds_read2_b64 v[230:233], v1 offset0:64 offset1:65
	s_cmp_lt_i32 s8, 34
	s_cbranch_scc1 .LBB112_674
; %bb.672:
	v_add3_u32 v239, v228, 0, 0x210
	v_mov_b32_e32 v238, 32
	s_mov_b32 s0, 33
	s_inst_prefetch 0x1
	.p2align	6
.LBB112_673:                            ; =>This Inner Loop Header: Depth=1
	s_waitcnt lgkmcnt(0)
	v_cmp_gt_f64_e32 vcc_lo, 0, v[230:231]
	v_xor_b32_e32 v214, 0x80000000, v231
	ds_read2_b64 v[245:248], v239 offset1:1
	v_xor_b32_e32 v216, 0x80000000, v233
	v_add_nc_u32_e32 v239, 16, v239
	s_waitcnt lgkmcnt(0)
	v_xor_b32_e32 v218, 0x80000000, v248
	v_cndmask_b32_e32 v215, v231, v214, vcc_lo
	v_cmp_gt_f64_e32 vcc_lo, 0, v[232:233]
	v_mov_b32_e32 v214, v230
	v_cndmask_b32_e32 v217, v233, v216, vcc_lo
	v_cmp_gt_f64_e32 vcc_lo, 0, v[245:246]
	v_mov_b32_e32 v216, v232
	v_add_f64 v[214:215], v[214:215], v[216:217]
	v_xor_b32_e32 v216, 0x80000000, v246
	v_cndmask_b32_e32 v217, v246, v216, vcc_lo
	v_cmp_gt_f64_e32 vcc_lo, 0, v[247:248]
	v_mov_b32_e32 v216, v245
	v_cndmask_b32_e32 v219, v248, v218, vcc_lo
	v_mov_b32_e32 v218, v247
	v_add_f64 v[216:217], v[216:217], v[218:219]
	v_cmp_lt_f64_e32 vcc_lo, v[214:215], v[216:217]
	v_cndmask_b32_e32 v231, v231, v246, vcc_lo
	v_cndmask_b32_e32 v230, v230, v245, vcc_lo
	;; [unrolled: 1-line block ×4, first 2 shown]
	v_cndmask_b32_e64 v238, v238, s0, vcc_lo
	s_add_i32 s0, s0, 1
	s_cmp_lg_u32 s8, s0
	s_cbranch_scc1 .LBB112_673
.LBB112_674:
	s_inst_prefetch 0x2
	s_waitcnt lgkmcnt(0)
	v_cmp_eq_f64_e32 vcc_lo, 0, v[230:231]
	v_cmp_eq_f64_e64 s0, 0, v[232:233]
	s_and_b32 s0, vcc_lo, s0
	s_and_saveexec_b32 s1, s0
	s_xor_b32 s0, exec_lo, s1
; %bb.675:
	v_cmp_ne_u32_e32 vcc_lo, 0, v243
	v_cndmask_b32_e32 v243, 33, v243, vcc_lo
; %bb.676:
	s_andn2_saveexec_b32 s0, s0
	s_cbranch_execz .LBB112_682
; %bb.677:
	v_cmp_ngt_f64_e64 s1, |v[230:231]|, |v[232:233]|
	s_and_saveexec_b32 s7, s1
	s_xor_b32 s1, exec_lo, s7
	s_cbranch_execz .LBB112_679
; %bb.678:
	v_div_scale_f64 v[214:215], null, v[232:233], v[232:233], v[230:231]
	v_div_scale_f64 v[220:221], vcc_lo, v[230:231], v[232:233], v[230:231]
	v_rcp_f64_e32 v[216:217], v[214:215]
	v_fma_f64 v[218:219], -v[214:215], v[216:217], 1.0
	v_fma_f64 v[216:217], v[216:217], v[218:219], v[216:217]
	v_fma_f64 v[218:219], -v[214:215], v[216:217], 1.0
	v_fma_f64 v[216:217], v[216:217], v[218:219], v[216:217]
	v_mul_f64 v[218:219], v[220:221], v[216:217]
	v_fma_f64 v[214:215], -v[214:215], v[218:219], v[220:221]
	v_div_fmas_f64 v[214:215], v[214:215], v[216:217], v[218:219]
	v_div_fixup_f64 v[214:215], v[214:215], v[232:233], v[230:231]
	v_fma_f64 v[216:217], v[230:231], v[214:215], v[232:233]
	v_div_scale_f64 v[218:219], null, v[216:217], v[216:217], 1.0
	v_rcp_f64_e32 v[220:221], v[218:219]
	v_fma_f64 v[222:223], -v[218:219], v[220:221], 1.0
	v_fma_f64 v[220:221], v[220:221], v[222:223], v[220:221]
	v_fma_f64 v[222:223], -v[218:219], v[220:221], 1.0
	v_fma_f64 v[220:221], v[220:221], v[222:223], v[220:221]
	v_div_scale_f64 v[222:223], vcc_lo, 1.0, v[216:217], 1.0
	v_mul_f64 v[224:225], v[222:223], v[220:221]
	v_fma_f64 v[218:219], -v[218:219], v[224:225], v[222:223]
	v_div_fmas_f64 v[218:219], v[218:219], v[220:221], v[224:225]
	v_div_fixup_f64 v[232:233], v[218:219], v[216:217], 1.0
	v_mul_f64 v[230:231], v[214:215], v[232:233]
	v_xor_b32_e32 v233, 0x80000000, v233
.LBB112_679:
	s_andn2_saveexec_b32 s1, s1
	s_cbranch_execz .LBB112_681
; %bb.680:
	v_div_scale_f64 v[214:215], null, v[230:231], v[230:231], v[232:233]
	v_div_scale_f64 v[220:221], vcc_lo, v[232:233], v[230:231], v[232:233]
	v_rcp_f64_e32 v[216:217], v[214:215]
	v_fma_f64 v[218:219], -v[214:215], v[216:217], 1.0
	v_fma_f64 v[216:217], v[216:217], v[218:219], v[216:217]
	v_fma_f64 v[218:219], -v[214:215], v[216:217], 1.0
	v_fma_f64 v[216:217], v[216:217], v[218:219], v[216:217]
	v_mul_f64 v[218:219], v[220:221], v[216:217]
	v_fma_f64 v[214:215], -v[214:215], v[218:219], v[220:221]
	v_div_fmas_f64 v[214:215], v[214:215], v[216:217], v[218:219]
	v_div_fixup_f64 v[214:215], v[214:215], v[230:231], v[232:233]
	v_fma_f64 v[216:217], v[232:233], v[214:215], v[230:231]
	v_div_scale_f64 v[218:219], null, v[216:217], v[216:217], 1.0
	v_rcp_f64_e32 v[220:221], v[218:219]
	v_fma_f64 v[222:223], -v[218:219], v[220:221], 1.0
	v_fma_f64 v[220:221], v[220:221], v[222:223], v[220:221]
	v_fma_f64 v[222:223], -v[218:219], v[220:221], 1.0
	v_fma_f64 v[220:221], v[220:221], v[222:223], v[220:221]
	v_div_scale_f64 v[222:223], vcc_lo, 1.0, v[216:217], 1.0
	v_mul_f64 v[224:225], v[222:223], v[220:221]
	v_fma_f64 v[218:219], -v[218:219], v[224:225], v[222:223]
	v_div_fmas_f64 v[218:219], v[218:219], v[220:221], v[224:225]
	v_div_fixup_f64 v[230:231], v[218:219], v[216:217], 1.0
	v_mul_f64 v[232:233], v[214:215], -v[230:231]
.LBB112_681:
	s_or_b32 exec_lo, exec_lo, s1
.LBB112_682:
	s_or_b32 exec_lo, exec_lo, s0
	s_mov_b32 s0, exec_lo
	v_cmpx_ne_u32_e64 v244, v238
	s_xor_b32 s0, exec_lo, s0
	s_cbranch_execz .LBB112_688
; %bb.683:
	s_mov_b32 s1, exec_lo
	v_cmpx_eq_u32_e32 32, v244
	s_cbranch_execz .LBB112_687
; %bb.684:
	v_cmp_ne_u32_e32 vcc_lo, 32, v238
	s_xor_b32 s7, s16, -1
	s_and_b32 s9, s7, vcc_lo
	s_and_saveexec_b32 s7, s9
	s_cbranch_execz .LBB112_686
; %bb.685:
	s_clause 0x1
	buffer_load_dword v210, off, s[20:23], 0
	buffer_load_dword v211, off, s[20:23], 0 offset:4
	v_ashrrev_i32_e32 v239, 31, v238
	v_lshlrev_b64 v[214:215], 2, v[238:239]
	s_waitcnt vmcnt(1)
	v_add_co_u32 v214, vcc_lo, v210, v214
	s_waitcnt vmcnt(0)
	v_add_co_ci_u32_e64 v215, null, v211, v215, vcc_lo
	s_clause 0x1
	global_load_dword v0, v[214:215], off
	global_load_dword v216, v[210:211], off offset:128
	s_waitcnt vmcnt(1)
	global_store_dword v[210:211], v0, off offset:128
	s_waitcnt vmcnt(0)
	global_store_dword v[214:215], v216, off
.LBB112_686:
	s_or_b32 exec_lo, exec_lo, s7
	v_mov_b32_e32 v244, v238
	v_mov_b32_e32 v0, v238
.LBB112_687:
	s_or_b32 exec_lo, exec_lo, s1
.LBB112_688:
	s_andn2_saveexec_b32 s0, s0
	s_cbranch_execz .LBB112_690
; %bb.689:
	v_mov_b32_e32 v244, 32
	ds_write2_b64 v1, v[94:95], v[96:97] offset0:66 offset1:67
	ds_write2_b64 v1, v[90:91], v[92:93] offset0:68 offset1:69
	;; [unrolled: 1-line block ×24, first 2 shown]
.LBB112_690:
	s_or_b32 exec_lo, exec_lo, s0
	s_mov_b32 s0, exec_lo
	s_waitcnt lgkmcnt(0)
	s_waitcnt_vscnt null, 0x0
	s_barrier
	buffer_gl0_inv
	v_cmpx_lt_i32_e32 32, v244
	s_cbranch_execz .LBB112_692
; %bb.691:
	v_mul_f64 v[214:215], v[232:233], v[100:101]
	v_mul_f64 v[100:101], v[230:231], v[100:101]
	v_fma_f64 v[238:239], v[230:231], v[98:99], -v[214:215]
	v_fma_f64 v[100:101], v[232:233], v[98:99], v[100:101]
	ds_read2_b64 v[230:233], v1 offset0:66 offset1:67
	s_waitcnt lgkmcnt(0)
	v_mul_f64 v[98:99], v[232:233], v[100:101]
	v_mul_f64 v[214:215], v[230:231], v[100:101]
	v_fma_f64 v[98:99], v[230:231], v[238:239], -v[98:99]
	v_fma_f64 v[214:215], v[232:233], v[238:239], v[214:215]
	ds_read2_b64 v[230:233], v1 offset0:68 offset1:69
	v_add_f64 v[94:95], v[94:95], -v[98:99]
	v_add_f64 v[96:97], v[96:97], -v[214:215]
	s_waitcnt lgkmcnt(0)
	v_mul_f64 v[98:99], v[232:233], v[100:101]
	v_mul_f64 v[214:215], v[230:231], v[100:101]
	v_fma_f64 v[98:99], v[230:231], v[238:239], -v[98:99]
	v_fma_f64 v[214:215], v[232:233], v[238:239], v[214:215]
	ds_read2_b64 v[230:233], v1 offset0:70 offset1:71
	v_add_f64 v[90:91], v[90:91], -v[98:99]
	v_add_f64 v[92:93], v[92:93], -v[214:215]
	;; [unrolled: 8-line block ×23, first 2 shown]
	s_waitcnt lgkmcnt(0)
	v_mul_f64 v[98:99], v[232:233], v[100:101]
	v_mul_f64 v[214:215], v[230:231], v[100:101]
	v_fma_f64 v[98:99], v[230:231], v[238:239], -v[98:99]
	v_fma_f64 v[214:215], v[232:233], v[238:239], v[214:215]
	v_add_f64 v[250:251], v[250:251], -v[98:99]
	v_add_f64 v[252:253], v[252:253], -v[214:215]
	v_mov_b32_e32 v98, v238
	v_mov_b32_e32 v99, v239
.LBB112_692:
	s_or_b32 exec_lo, exec_lo, s0
	v_lshl_add_u32 v214, v244, 4, v1
	s_barrier
	buffer_gl0_inv
	v_mov_b32_e32 v238, 33
	ds_write2_b64 v214, v[94:95], v[96:97] offset1:1
	s_waitcnt lgkmcnt(0)
	s_barrier
	buffer_gl0_inv
	ds_read2_b64 v[230:233], v1 offset0:66 offset1:67
	s_cmp_lt_i32 s8, 35
	s_cbranch_scc1 .LBB112_695
; %bb.693:
	v_add3_u32 v239, v228, 0, 0x220
	v_mov_b32_e32 v238, 33
	s_mov_b32 s0, 34
	s_inst_prefetch 0x1
	.p2align	6
.LBB112_694:                            ; =>This Inner Loop Header: Depth=1
	s_waitcnt lgkmcnt(0)
	v_cmp_gt_f64_e32 vcc_lo, 0, v[230:231]
	v_xor_b32_e32 v214, 0x80000000, v231
	ds_read2_b64 v[245:248], v239 offset1:1
	v_xor_b32_e32 v216, 0x80000000, v233
	v_add_nc_u32_e32 v239, 16, v239
	s_waitcnt lgkmcnt(0)
	v_xor_b32_e32 v218, 0x80000000, v248
	v_cndmask_b32_e32 v215, v231, v214, vcc_lo
	v_cmp_gt_f64_e32 vcc_lo, 0, v[232:233]
	v_mov_b32_e32 v214, v230
	v_cndmask_b32_e32 v217, v233, v216, vcc_lo
	v_cmp_gt_f64_e32 vcc_lo, 0, v[245:246]
	v_mov_b32_e32 v216, v232
	v_add_f64 v[214:215], v[214:215], v[216:217]
	v_xor_b32_e32 v216, 0x80000000, v246
	v_cndmask_b32_e32 v217, v246, v216, vcc_lo
	v_cmp_gt_f64_e32 vcc_lo, 0, v[247:248]
	v_mov_b32_e32 v216, v245
	v_cndmask_b32_e32 v219, v248, v218, vcc_lo
	v_mov_b32_e32 v218, v247
	v_add_f64 v[216:217], v[216:217], v[218:219]
	v_cmp_lt_f64_e32 vcc_lo, v[214:215], v[216:217]
	v_cndmask_b32_e32 v231, v231, v246, vcc_lo
	v_cndmask_b32_e32 v230, v230, v245, vcc_lo
	;; [unrolled: 1-line block ×4, first 2 shown]
	v_cndmask_b32_e64 v238, v238, s0, vcc_lo
	s_add_i32 s0, s0, 1
	s_cmp_lg_u32 s8, s0
	s_cbranch_scc1 .LBB112_694
.LBB112_695:
	s_inst_prefetch 0x2
	s_waitcnt lgkmcnt(0)
	v_cmp_eq_f64_e32 vcc_lo, 0, v[230:231]
	v_cmp_eq_f64_e64 s0, 0, v[232:233]
	s_and_b32 s0, vcc_lo, s0
	s_and_saveexec_b32 s1, s0
	s_xor_b32 s0, exec_lo, s1
; %bb.696:
	v_cmp_ne_u32_e32 vcc_lo, 0, v243
	v_cndmask_b32_e32 v243, 34, v243, vcc_lo
; %bb.697:
	s_andn2_saveexec_b32 s0, s0
	s_cbranch_execz .LBB112_703
; %bb.698:
	v_cmp_ngt_f64_e64 s1, |v[230:231]|, |v[232:233]|
	s_and_saveexec_b32 s7, s1
	s_xor_b32 s1, exec_lo, s7
	s_cbranch_execz .LBB112_700
; %bb.699:
	v_div_scale_f64 v[214:215], null, v[232:233], v[232:233], v[230:231]
	v_div_scale_f64 v[220:221], vcc_lo, v[230:231], v[232:233], v[230:231]
	v_rcp_f64_e32 v[216:217], v[214:215]
	v_fma_f64 v[218:219], -v[214:215], v[216:217], 1.0
	v_fma_f64 v[216:217], v[216:217], v[218:219], v[216:217]
	v_fma_f64 v[218:219], -v[214:215], v[216:217], 1.0
	v_fma_f64 v[216:217], v[216:217], v[218:219], v[216:217]
	v_mul_f64 v[218:219], v[220:221], v[216:217]
	v_fma_f64 v[214:215], -v[214:215], v[218:219], v[220:221]
	v_div_fmas_f64 v[214:215], v[214:215], v[216:217], v[218:219]
	v_div_fixup_f64 v[214:215], v[214:215], v[232:233], v[230:231]
	v_fma_f64 v[216:217], v[230:231], v[214:215], v[232:233]
	v_div_scale_f64 v[218:219], null, v[216:217], v[216:217], 1.0
	v_rcp_f64_e32 v[220:221], v[218:219]
	v_fma_f64 v[222:223], -v[218:219], v[220:221], 1.0
	v_fma_f64 v[220:221], v[220:221], v[222:223], v[220:221]
	v_fma_f64 v[222:223], -v[218:219], v[220:221], 1.0
	v_fma_f64 v[220:221], v[220:221], v[222:223], v[220:221]
	v_div_scale_f64 v[222:223], vcc_lo, 1.0, v[216:217], 1.0
	v_mul_f64 v[224:225], v[222:223], v[220:221]
	v_fma_f64 v[218:219], -v[218:219], v[224:225], v[222:223]
	v_div_fmas_f64 v[218:219], v[218:219], v[220:221], v[224:225]
	v_div_fixup_f64 v[232:233], v[218:219], v[216:217], 1.0
	v_mul_f64 v[230:231], v[214:215], v[232:233]
	v_xor_b32_e32 v233, 0x80000000, v233
.LBB112_700:
	s_andn2_saveexec_b32 s1, s1
	s_cbranch_execz .LBB112_702
; %bb.701:
	v_div_scale_f64 v[214:215], null, v[230:231], v[230:231], v[232:233]
	v_div_scale_f64 v[220:221], vcc_lo, v[232:233], v[230:231], v[232:233]
	v_rcp_f64_e32 v[216:217], v[214:215]
	v_fma_f64 v[218:219], -v[214:215], v[216:217], 1.0
	v_fma_f64 v[216:217], v[216:217], v[218:219], v[216:217]
	v_fma_f64 v[218:219], -v[214:215], v[216:217], 1.0
	v_fma_f64 v[216:217], v[216:217], v[218:219], v[216:217]
	v_mul_f64 v[218:219], v[220:221], v[216:217]
	v_fma_f64 v[214:215], -v[214:215], v[218:219], v[220:221]
	v_div_fmas_f64 v[214:215], v[214:215], v[216:217], v[218:219]
	v_div_fixup_f64 v[214:215], v[214:215], v[230:231], v[232:233]
	v_fma_f64 v[216:217], v[232:233], v[214:215], v[230:231]
	v_div_scale_f64 v[218:219], null, v[216:217], v[216:217], 1.0
	v_rcp_f64_e32 v[220:221], v[218:219]
	v_fma_f64 v[222:223], -v[218:219], v[220:221], 1.0
	v_fma_f64 v[220:221], v[220:221], v[222:223], v[220:221]
	v_fma_f64 v[222:223], -v[218:219], v[220:221], 1.0
	v_fma_f64 v[220:221], v[220:221], v[222:223], v[220:221]
	v_div_scale_f64 v[222:223], vcc_lo, 1.0, v[216:217], 1.0
	v_mul_f64 v[224:225], v[222:223], v[220:221]
	v_fma_f64 v[218:219], -v[218:219], v[224:225], v[222:223]
	v_div_fmas_f64 v[218:219], v[218:219], v[220:221], v[224:225]
	v_div_fixup_f64 v[230:231], v[218:219], v[216:217], 1.0
	v_mul_f64 v[232:233], v[214:215], -v[230:231]
.LBB112_702:
	s_or_b32 exec_lo, exec_lo, s1
.LBB112_703:
	s_or_b32 exec_lo, exec_lo, s0
	s_mov_b32 s0, exec_lo
	v_cmpx_ne_u32_e64 v244, v238
	s_xor_b32 s0, exec_lo, s0
	s_cbranch_execz .LBB112_709
; %bb.704:
	s_mov_b32 s1, exec_lo
	v_cmpx_eq_u32_e32 33, v244
	s_cbranch_execz .LBB112_708
; %bb.705:
	v_cmp_ne_u32_e32 vcc_lo, 33, v238
	s_xor_b32 s7, s16, -1
	s_and_b32 s9, s7, vcc_lo
	s_and_saveexec_b32 s7, s9
	s_cbranch_execz .LBB112_707
; %bb.706:
	s_clause 0x1
	buffer_load_dword v210, off, s[20:23], 0
	buffer_load_dword v211, off, s[20:23], 0 offset:4
	v_ashrrev_i32_e32 v239, 31, v238
	v_lshlrev_b64 v[214:215], 2, v[238:239]
	s_waitcnt vmcnt(1)
	v_add_co_u32 v214, vcc_lo, v210, v214
	s_waitcnt vmcnt(0)
	v_add_co_ci_u32_e64 v215, null, v211, v215, vcc_lo
	s_clause 0x1
	global_load_dword v0, v[214:215], off
	global_load_dword v216, v[210:211], off offset:132
	s_waitcnt vmcnt(1)
	global_store_dword v[210:211], v0, off offset:132
	s_waitcnt vmcnt(0)
	global_store_dword v[214:215], v216, off
.LBB112_707:
	s_or_b32 exec_lo, exec_lo, s7
	v_mov_b32_e32 v244, v238
	v_mov_b32_e32 v0, v238
.LBB112_708:
	s_or_b32 exec_lo, exec_lo, s1
.LBB112_709:
	s_andn2_saveexec_b32 s0, s0
	s_cbranch_execz .LBB112_711
; %bb.710:
	v_mov_b32_e32 v244, 33
	ds_write2_b64 v1, v[90:91], v[92:93] offset0:68 offset1:69
	ds_write2_b64 v1, v[86:87], v[88:89] offset0:70 offset1:71
	ds_write2_b64 v1, v[82:83], v[84:85] offset0:72 offset1:73
	ds_write2_b64 v1, v[78:79], v[80:81] offset0:74 offset1:75
	ds_write2_b64 v1, v[74:75], v[76:77] offset0:76 offset1:77
	ds_write2_b64 v1, v[70:71], v[72:73] offset0:78 offset1:79
	ds_write2_b64 v1, v[66:67], v[68:69] offset0:80 offset1:81
	ds_write2_b64 v1, v[62:63], v[64:65] offset0:82 offset1:83
	ds_write2_b64 v1, v[58:59], v[60:61] offset0:84 offset1:85
	ds_write2_b64 v1, v[54:55], v[56:57] offset0:86 offset1:87
	ds_write2_b64 v1, v[50:51], v[52:53] offset0:88 offset1:89
	ds_write2_b64 v1, v[46:47], v[48:49] offset0:90 offset1:91
	ds_write2_b64 v1, v[42:43], v[44:45] offset0:92 offset1:93
	ds_write2_b64 v1, v[38:39], v[40:41] offset0:94 offset1:95
	ds_write2_b64 v1, v[34:35], v[36:37] offset0:96 offset1:97
	ds_write2_b64 v1, v[30:31], v[32:33] offset0:98 offset1:99
	ds_write2_b64 v1, v[26:27], v[28:29] offset0:100 offset1:101
	ds_write2_b64 v1, v[22:23], v[24:25] offset0:102 offset1:103
	ds_write2_b64 v1, v[18:19], v[20:21] offset0:104 offset1:105
	ds_write2_b64 v1, v[14:15], v[16:17] offset0:106 offset1:107
	ds_write2_b64 v1, v[10:11], v[12:13] offset0:108 offset1:109
	ds_write2_b64 v1, v[6:7], v[8:9] offset0:110 offset1:111
	ds_write2_b64 v1, v[250:251], v[252:253] offset0:112 offset1:113
.LBB112_711:
	s_or_b32 exec_lo, exec_lo, s0
	s_mov_b32 s0, exec_lo
	s_waitcnt lgkmcnt(0)
	s_waitcnt_vscnt null, 0x0
	s_barrier
	buffer_gl0_inv
	v_cmpx_lt_i32_e32 33, v244
	s_cbranch_execz .LBB112_713
; %bb.712:
	v_mul_f64 v[214:215], v[232:233], v[96:97]
	v_mul_f64 v[96:97], v[230:231], v[96:97]
	v_fma_f64 v[238:239], v[230:231], v[94:95], -v[214:215]
	v_fma_f64 v[96:97], v[232:233], v[94:95], v[96:97]
	ds_read2_b64 v[230:233], v1 offset0:68 offset1:69
	s_waitcnt lgkmcnt(0)
	v_mul_f64 v[94:95], v[232:233], v[96:97]
	v_mul_f64 v[214:215], v[230:231], v[96:97]
	v_fma_f64 v[94:95], v[230:231], v[238:239], -v[94:95]
	v_fma_f64 v[214:215], v[232:233], v[238:239], v[214:215]
	ds_read2_b64 v[230:233], v1 offset0:70 offset1:71
	v_add_f64 v[90:91], v[90:91], -v[94:95]
	v_add_f64 v[92:93], v[92:93], -v[214:215]
	s_waitcnt lgkmcnt(0)
	v_mul_f64 v[94:95], v[232:233], v[96:97]
	v_mul_f64 v[214:215], v[230:231], v[96:97]
	v_fma_f64 v[94:95], v[230:231], v[238:239], -v[94:95]
	v_fma_f64 v[214:215], v[232:233], v[238:239], v[214:215]
	ds_read2_b64 v[230:233], v1 offset0:72 offset1:73
	v_add_f64 v[86:87], v[86:87], -v[94:95]
	v_add_f64 v[88:89], v[88:89], -v[214:215]
	;; [unrolled: 8-line block ×22, first 2 shown]
	s_waitcnt lgkmcnt(0)
	v_mul_f64 v[94:95], v[232:233], v[96:97]
	v_mul_f64 v[214:215], v[230:231], v[96:97]
	v_fma_f64 v[94:95], v[230:231], v[238:239], -v[94:95]
	v_fma_f64 v[214:215], v[232:233], v[238:239], v[214:215]
	v_add_f64 v[250:251], v[250:251], -v[94:95]
	v_add_f64 v[252:253], v[252:253], -v[214:215]
	v_mov_b32_e32 v94, v238
	v_mov_b32_e32 v95, v239
.LBB112_713:
	s_or_b32 exec_lo, exec_lo, s0
	v_lshl_add_u32 v214, v244, 4, v1
	s_barrier
	buffer_gl0_inv
	v_mov_b32_e32 v238, 34
	ds_write2_b64 v214, v[90:91], v[92:93] offset1:1
	s_waitcnt lgkmcnt(0)
	s_barrier
	buffer_gl0_inv
	ds_read2_b64 v[230:233], v1 offset0:68 offset1:69
	s_cmp_lt_i32 s8, 36
	s_cbranch_scc1 .LBB112_716
; %bb.714:
	v_add3_u32 v239, v228, 0, 0x230
	v_mov_b32_e32 v238, 34
	s_mov_b32 s0, 35
	s_inst_prefetch 0x1
	.p2align	6
.LBB112_715:                            ; =>This Inner Loop Header: Depth=1
	s_waitcnt lgkmcnt(0)
	v_cmp_gt_f64_e32 vcc_lo, 0, v[230:231]
	v_xor_b32_e32 v214, 0x80000000, v231
	ds_read2_b64 v[245:248], v239 offset1:1
	v_xor_b32_e32 v216, 0x80000000, v233
	v_add_nc_u32_e32 v239, 16, v239
	s_waitcnt lgkmcnt(0)
	v_xor_b32_e32 v218, 0x80000000, v248
	v_cndmask_b32_e32 v215, v231, v214, vcc_lo
	v_cmp_gt_f64_e32 vcc_lo, 0, v[232:233]
	v_mov_b32_e32 v214, v230
	v_cndmask_b32_e32 v217, v233, v216, vcc_lo
	v_cmp_gt_f64_e32 vcc_lo, 0, v[245:246]
	v_mov_b32_e32 v216, v232
	v_add_f64 v[214:215], v[214:215], v[216:217]
	v_xor_b32_e32 v216, 0x80000000, v246
	v_cndmask_b32_e32 v217, v246, v216, vcc_lo
	v_cmp_gt_f64_e32 vcc_lo, 0, v[247:248]
	v_mov_b32_e32 v216, v245
	v_cndmask_b32_e32 v219, v248, v218, vcc_lo
	v_mov_b32_e32 v218, v247
	v_add_f64 v[216:217], v[216:217], v[218:219]
	v_cmp_lt_f64_e32 vcc_lo, v[214:215], v[216:217]
	v_cndmask_b32_e32 v231, v231, v246, vcc_lo
	v_cndmask_b32_e32 v230, v230, v245, vcc_lo
	;; [unrolled: 1-line block ×4, first 2 shown]
	v_cndmask_b32_e64 v238, v238, s0, vcc_lo
	s_add_i32 s0, s0, 1
	s_cmp_lg_u32 s8, s0
	s_cbranch_scc1 .LBB112_715
.LBB112_716:
	s_inst_prefetch 0x2
	s_waitcnt lgkmcnt(0)
	v_cmp_eq_f64_e32 vcc_lo, 0, v[230:231]
	v_cmp_eq_f64_e64 s0, 0, v[232:233]
	s_and_b32 s0, vcc_lo, s0
	s_and_saveexec_b32 s1, s0
	s_xor_b32 s0, exec_lo, s1
; %bb.717:
	v_cmp_ne_u32_e32 vcc_lo, 0, v243
	v_cndmask_b32_e32 v243, 35, v243, vcc_lo
; %bb.718:
	s_andn2_saveexec_b32 s0, s0
	s_cbranch_execz .LBB112_724
; %bb.719:
	v_cmp_ngt_f64_e64 s1, |v[230:231]|, |v[232:233]|
	s_and_saveexec_b32 s7, s1
	s_xor_b32 s1, exec_lo, s7
	s_cbranch_execz .LBB112_721
; %bb.720:
	v_div_scale_f64 v[214:215], null, v[232:233], v[232:233], v[230:231]
	v_div_scale_f64 v[220:221], vcc_lo, v[230:231], v[232:233], v[230:231]
	v_rcp_f64_e32 v[216:217], v[214:215]
	v_fma_f64 v[218:219], -v[214:215], v[216:217], 1.0
	v_fma_f64 v[216:217], v[216:217], v[218:219], v[216:217]
	v_fma_f64 v[218:219], -v[214:215], v[216:217], 1.0
	v_fma_f64 v[216:217], v[216:217], v[218:219], v[216:217]
	v_mul_f64 v[218:219], v[220:221], v[216:217]
	v_fma_f64 v[214:215], -v[214:215], v[218:219], v[220:221]
	v_div_fmas_f64 v[214:215], v[214:215], v[216:217], v[218:219]
	v_div_fixup_f64 v[214:215], v[214:215], v[232:233], v[230:231]
	v_fma_f64 v[216:217], v[230:231], v[214:215], v[232:233]
	v_div_scale_f64 v[218:219], null, v[216:217], v[216:217], 1.0
	v_rcp_f64_e32 v[220:221], v[218:219]
	v_fma_f64 v[222:223], -v[218:219], v[220:221], 1.0
	v_fma_f64 v[220:221], v[220:221], v[222:223], v[220:221]
	v_fma_f64 v[222:223], -v[218:219], v[220:221], 1.0
	v_fma_f64 v[220:221], v[220:221], v[222:223], v[220:221]
	v_div_scale_f64 v[222:223], vcc_lo, 1.0, v[216:217], 1.0
	v_mul_f64 v[224:225], v[222:223], v[220:221]
	v_fma_f64 v[218:219], -v[218:219], v[224:225], v[222:223]
	v_div_fmas_f64 v[218:219], v[218:219], v[220:221], v[224:225]
	v_div_fixup_f64 v[232:233], v[218:219], v[216:217], 1.0
	v_mul_f64 v[230:231], v[214:215], v[232:233]
	v_xor_b32_e32 v233, 0x80000000, v233
.LBB112_721:
	s_andn2_saveexec_b32 s1, s1
	s_cbranch_execz .LBB112_723
; %bb.722:
	v_div_scale_f64 v[214:215], null, v[230:231], v[230:231], v[232:233]
	v_div_scale_f64 v[220:221], vcc_lo, v[232:233], v[230:231], v[232:233]
	v_rcp_f64_e32 v[216:217], v[214:215]
	v_fma_f64 v[218:219], -v[214:215], v[216:217], 1.0
	v_fma_f64 v[216:217], v[216:217], v[218:219], v[216:217]
	v_fma_f64 v[218:219], -v[214:215], v[216:217], 1.0
	v_fma_f64 v[216:217], v[216:217], v[218:219], v[216:217]
	v_mul_f64 v[218:219], v[220:221], v[216:217]
	v_fma_f64 v[214:215], -v[214:215], v[218:219], v[220:221]
	v_div_fmas_f64 v[214:215], v[214:215], v[216:217], v[218:219]
	v_div_fixup_f64 v[214:215], v[214:215], v[230:231], v[232:233]
	v_fma_f64 v[216:217], v[232:233], v[214:215], v[230:231]
	v_div_scale_f64 v[218:219], null, v[216:217], v[216:217], 1.0
	v_rcp_f64_e32 v[220:221], v[218:219]
	v_fma_f64 v[222:223], -v[218:219], v[220:221], 1.0
	v_fma_f64 v[220:221], v[220:221], v[222:223], v[220:221]
	v_fma_f64 v[222:223], -v[218:219], v[220:221], 1.0
	v_fma_f64 v[220:221], v[220:221], v[222:223], v[220:221]
	v_div_scale_f64 v[222:223], vcc_lo, 1.0, v[216:217], 1.0
	v_mul_f64 v[224:225], v[222:223], v[220:221]
	v_fma_f64 v[218:219], -v[218:219], v[224:225], v[222:223]
	v_div_fmas_f64 v[218:219], v[218:219], v[220:221], v[224:225]
	v_div_fixup_f64 v[230:231], v[218:219], v[216:217], 1.0
	v_mul_f64 v[232:233], v[214:215], -v[230:231]
.LBB112_723:
	s_or_b32 exec_lo, exec_lo, s1
.LBB112_724:
	s_or_b32 exec_lo, exec_lo, s0
	s_mov_b32 s0, exec_lo
	v_cmpx_ne_u32_e64 v244, v238
	s_xor_b32 s0, exec_lo, s0
	s_cbranch_execz .LBB112_730
; %bb.725:
	s_mov_b32 s1, exec_lo
	v_cmpx_eq_u32_e32 34, v244
	s_cbranch_execz .LBB112_729
; %bb.726:
	v_cmp_ne_u32_e32 vcc_lo, 34, v238
	s_xor_b32 s7, s16, -1
	s_and_b32 s9, s7, vcc_lo
	s_and_saveexec_b32 s7, s9
	s_cbranch_execz .LBB112_728
; %bb.727:
	s_clause 0x1
	buffer_load_dword v210, off, s[20:23], 0
	buffer_load_dword v211, off, s[20:23], 0 offset:4
	v_ashrrev_i32_e32 v239, 31, v238
	v_lshlrev_b64 v[214:215], 2, v[238:239]
	s_waitcnt vmcnt(1)
	v_add_co_u32 v214, vcc_lo, v210, v214
	s_waitcnt vmcnt(0)
	v_add_co_ci_u32_e64 v215, null, v211, v215, vcc_lo
	s_clause 0x1
	global_load_dword v0, v[214:215], off
	global_load_dword v216, v[210:211], off offset:136
	s_waitcnt vmcnt(1)
	global_store_dword v[210:211], v0, off offset:136
	s_waitcnt vmcnt(0)
	global_store_dword v[214:215], v216, off
.LBB112_728:
	s_or_b32 exec_lo, exec_lo, s7
	v_mov_b32_e32 v244, v238
	v_mov_b32_e32 v0, v238
.LBB112_729:
	s_or_b32 exec_lo, exec_lo, s1
.LBB112_730:
	s_andn2_saveexec_b32 s0, s0
	s_cbranch_execz .LBB112_732
; %bb.731:
	v_mov_b32_e32 v244, 34
	ds_write2_b64 v1, v[86:87], v[88:89] offset0:70 offset1:71
	ds_write2_b64 v1, v[82:83], v[84:85] offset0:72 offset1:73
	;; [unrolled: 1-line block ×22, first 2 shown]
.LBB112_732:
	s_or_b32 exec_lo, exec_lo, s0
	s_mov_b32 s0, exec_lo
	s_waitcnt lgkmcnt(0)
	s_waitcnt_vscnt null, 0x0
	s_barrier
	buffer_gl0_inv
	v_cmpx_lt_i32_e32 34, v244
	s_cbranch_execz .LBB112_734
; %bb.733:
	v_mul_f64 v[214:215], v[232:233], v[92:93]
	v_mul_f64 v[92:93], v[230:231], v[92:93]
	v_fma_f64 v[238:239], v[230:231], v[90:91], -v[214:215]
	v_fma_f64 v[92:93], v[232:233], v[90:91], v[92:93]
	ds_read2_b64 v[230:233], v1 offset0:70 offset1:71
	s_waitcnt lgkmcnt(0)
	v_mul_f64 v[90:91], v[232:233], v[92:93]
	v_mul_f64 v[214:215], v[230:231], v[92:93]
	v_fma_f64 v[90:91], v[230:231], v[238:239], -v[90:91]
	v_fma_f64 v[214:215], v[232:233], v[238:239], v[214:215]
	ds_read2_b64 v[230:233], v1 offset0:72 offset1:73
	v_add_f64 v[86:87], v[86:87], -v[90:91]
	v_add_f64 v[88:89], v[88:89], -v[214:215]
	s_waitcnt lgkmcnt(0)
	v_mul_f64 v[90:91], v[232:233], v[92:93]
	v_mul_f64 v[214:215], v[230:231], v[92:93]
	v_fma_f64 v[90:91], v[230:231], v[238:239], -v[90:91]
	v_fma_f64 v[214:215], v[232:233], v[238:239], v[214:215]
	ds_read2_b64 v[230:233], v1 offset0:74 offset1:75
	v_add_f64 v[82:83], v[82:83], -v[90:91]
	v_add_f64 v[84:85], v[84:85], -v[214:215]
	;; [unrolled: 8-line block ×21, first 2 shown]
	s_waitcnt lgkmcnt(0)
	v_mul_f64 v[90:91], v[232:233], v[92:93]
	v_mul_f64 v[214:215], v[230:231], v[92:93]
	v_fma_f64 v[90:91], v[230:231], v[238:239], -v[90:91]
	v_fma_f64 v[214:215], v[232:233], v[238:239], v[214:215]
	v_add_f64 v[250:251], v[250:251], -v[90:91]
	v_add_f64 v[252:253], v[252:253], -v[214:215]
	v_mov_b32_e32 v90, v238
	v_mov_b32_e32 v91, v239
.LBB112_734:
	s_or_b32 exec_lo, exec_lo, s0
	v_lshl_add_u32 v214, v244, 4, v1
	s_barrier
	buffer_gl0_inv
	v_mov_b32_e32 v238, 35
	ds_write2_b64 v214, v[86:87], v[88:89] offset1:1
	s_waitcnt lgkmcnt(0)
	s_barrier
	buffer_gl0_inv
	ds_read2_b64 v[230:233], v1 offset0:70 offset1:71
	s_cmp_lt_i32 s8, 37
	s_cbranch_scc1 .LBB112_737
; %bb.735:
	v_add3_u32 v239, v228, 0, 0x240
	v_mov_b32_e32 v238, 35
	s_mov_b32 s0, 36
	s_inst_prefetch 0x1
	.p2align	6
.LBB112_736:                            ; =>This Inner Loop Header: Depth=1
	s_waitcnt lgkmcnt(0)
	v_cmp_gt_f64_e32 vcc_lo, 0, v[230:231]
	v_xor_b32_e32 v214, 0x80000000, v231
	ds_read2_b64 v[245:248], v239 offset1:1
	v_xor_b32_e32 v216, 0x80000000, v233
	v_add_nc_u32_e32 v239, 16, v239
	s_waitcnt lgkmcnt(0)
	v_xor_b32_e32 v218, 0x80000000, v248
	v_cndmask_b32_e32 v215, v231, v214, vcc_lo
	v_cmp_gt_f64_e32 vcc_lo, 0, v[232:233]
	v_mov_b32_e32 v214, v230
	v_cndmask_b32_e32 v217, v233, v216, vcc_lo
	v_cmp_gt_f64_e32 vcc_lo, 0, v[245:246]
	v_mov_b32_e32 v216, v232
	v_add_f64 v[214:215], v[214:215], v[216:217]
	v_xor_b32_e32 v216, 0x80000000, v246
	v_cndmask_b32_e32 v217, v246, v216, vcc_lo
	v_cmp_gt_f64_e32 vcc_lo, 0, v[247:248]
	v_mov_b32_e32 v216, v245
	v_cndmask_b32_e32 v219, v248, v218, vcc_lo
	v_mov_b32_e32 v218, v247
	v_add_f64 v[216:217], v[216:217], v[218:219]
	v_cmp_lt_f64_e32 vcc_lo, v[214:215], v[216:217]
	v_cndmask_b32_e32 v231, v231, v246, vcc_lo
	v_cndmask_b32_e32 v230, v230, v245, vcc_lo
	;; [unrolled: 1-line block ×4, first 2 shown]
	v_cndmask_b32_e64 v238, v238, s0, vcc_lo
	s_add_i32 s0, s0, 1
	s_cmp_lg_u32 s8, s0
	s_cbranch_scc1 .LBB112_736
.LBB112_737:
	s_inst_prefetch 0x2
	s_waitcnt lgkmcnt(0)
	v_cmp_eq_f64_e32 vcc_lo, 0, v[230:231]
	v_cmp_eq_f64_e64 s0, 0, v[232:233]
	s_and_b32 s0, vcc_lo, s0
	s_and_saveexec_b32 s1, s0
	s_xor_b32 s0, exec_lo, s1
; %bb.738:
	v_cmp_ne_u32_e32 vcc_lo, 0, v243
	v_cndmask_b32_e32 v243, 36, v243, vcc_lo
; %bb.739:
	s_andn2_saveexec_b32 s0, s0
	s_cbranch_execz .LBB112_745
; %bb.740:
	v_cmp_ngt_f64_e64 s1, |v[230:231]|, |v[232:233]|
	s_and_saveexec_b32 s7, s1
	s_xor_b32 s1, exec_lo, s7
	s_cbranch_execz .LBB112_742
; %bb.741:
	v_div_scale_f64 v[214:215], null, v[232:233], v[232:233], v[230:231]
	v_div_scale_f64 v[220:221], vcc_lo, v[230:231], v[232:233], v[230:231]
	v_rcp_f64_e32 v[216:217], v[214:215]
	v_fma_f64 v[218:219], -v[214:215], v[216:217], 1.0
	v_fma_f64 v[216:217], v[216:217], v[218:219], v[216:217]
	v_fma_f64 v[218:219], -v[214:215], v[216:217], 1.0
	v_fma_f64 v[216:217], v[216:217], v[218:219], v[216:217]
	v_mul_f64 v[218:219], v[220:221], v[216:217]
	v_fma_f64 v[214:215], -v[214:215], v[218:219], v[220:221]
	v_div_fmas_f64 v[214:215], v[214:215], v[216:217], v[218:219]
	v_div_fixup_f64 v[214:215], v[214:215], v[232:233], v[230:231]
	v_fma_f64 v[216:217], v[230:231], v[214:215], v[232:233]
	v_div_scale_f64 v[218:219], null, v[216:217], v[216:217], 1.0
	v_rcp_f64_e32 v[220:221], v[218:219]
	v_fma_f64 v[222:223], -v[218:219], v[220:221], 1.0
	v_fma_f64 v[220:221], v[220:221], v[222:223], v[220:221]
	v_fma_f64 v[222:223], -v[218:219], v[220:221], 1.0
	v_fma_f64 v[220:221], v[220:221], v[222:223], v[220:221]
	v_div_scale_f64 v[222:223], vcc_lo, 1.0, v[216:217], 1.0
	v_mul_f64 v[224:225], v[222:223], v[220:221]
	v_fma_f64 v[218:219], -v[218:219], v[224:225], v[222:223]
	v_div_fmas_f64 v[218:219], v[218:219], v[220:221], v[224:225]
	v_div_fixup_f64 v[232:233], v[218:219], v[216:217], 1.0
	v_mul_f64 v[230:231], v[214:215], v[232:233]
	v_xor_b32_e32 v233, 0x80000000, v233
.LBB112_742:
	s_andn2_saveexec_b32 s1, s1
	s_cbranch_execz .LBB112_744
; %bb.743:
	v_div_scale_f64 v[214:215], null, v[230:231], v[230:231], v[232:233]
	v_div_scale_f64 v[220:221], vcc_lo, v[232:233], v[230:231], v[232:233]
	v_rcp_f64_e32 v[216:217], v[214:215]
	v_fma_f64 v[218:219], -v[214:215], v[216:217], 1.0
	v_fma_f64 v[216:217], v[216:217], v[218:219], v[216:217]
	v_fma_f64 v[218:219], -v[214:215], v[216:217], 1.0
	v_fma_f64 v[216:217], v[216:217], v[218:219], v[216:217]
	v_mul_f64 v[218:219], v[220:221], v[216:217]
	v_fma_f64 v[214:215], -v[214:215], v[218:219], v[220:221]
	v_div_fmas_f64 v[214:215], v[214:215], v[216:217], v[218:219]
	v_div_fixup_f64 v[214:215], v[214:215], v[230:231], v[232:233]
	v_fma_f64 v[216:217], v[232:233], v[214:215], v[230:231]
	v_div_scale_f64 v[218:219], null, v[216:217], v[216:217], 1.0
	v_rcp_f64_e32 v[220:221], v[218:219]
	v_fma_f64 v[222:223], -v[218:219], v[220:221], 1.0
	v_fma_f64 v[220:221], v[220:221], v[222:223], v[220:221]
	v_fma_f64 v[222:223], -v[218:219], v[220:221], 1.0
	v_fma_f64 v[220:221], v[220:221], v[222:223], v[220:221]
	v_div_scale_f64 v[222:223], vcc_lo, 1.0, v[216:217], 1.0
	v_mul_f64 v[224:225], v[222:223], v[220:221]
	v_fma_f64 v[218:219], -v[218:219], v[224:225], v[222:223]
	v_div_fmas_f64 v[218:219], v[218:219], v[220:221], v[224:225]
	v_div_fixup_f64 v[230:231], v[218:219], v[216:217], 1.0
	v_mul_f64 v[232:233], v[214:215], -v[230:231]
.LBB112_744:
	s_or_b32 exec_lo, exec_lo, s1
.LBB112_745:
	s_or_b32 exec_lo, exec_lo, s0
	s_mov_b32 s0, exec_lo
	v_cmpx_ne_u32_e64 v244, v238
	s_xor_b32 s0, exec_lo, s0
	s_cbranch_execz .LBB112_751
; %bb.746:
	s_mov_b32 s1, exec_lo
	v_cmpx_eq_u32_e32 35, v244
	s_cbranch_execz .LBB112_750
; %bb.747:
	v_cmp_ne_u32_e32 vcc_lo, 35, v238
	s_xor_b32 s7, s16, -1
	s_and_b32 s9, s7, vcc_lo
	s_and_saveexec_b32 s7, s9
	s_cbranch_execz .LBB112_749
; %bb.748:
	s_clause 0x1
	buffer_load_dword v210, off, s[20:23], 0
	buffer_load_dword v211, off, s[20:23], 0 offset:4
	v_ashrrev_i32_e32 v239, 31, v238
	v_lshlrev_b64 v[214:215], 2, v[238:239]
	s_waitcnt vmcnt(1)
	v_add_co_u32 v214, vcc_lo, v210, v214
	s_waitcnt vmcnt(0)
	v_add_co_ci_u32_e64 v215, null, v211, v215, vcc_lo
	s_clause 0x1
	global_load_dword v0, v[214:215], off
	global_load_dword v216, v[210:211], off offset:140
	s_waitcnt vmcnt(1)
	global_store_dword v[210:211], v0, off offset:140
	s_waitcnt vmcnt(0)
	global_store_dword v[214:215], v216, off
.LBB112_749:
	s_or_b32 exec_lo, exec_lo, s7
	v_mov_b32_e32 v244, v238
	v_mov_b32_e32 v0, v238
.LBB112_750:
	s_or_b32 exec_lo, exec_lo, s1
.LBB112_751:
	s_andn2_saveexec_b32 s0, s0
	s_cbranch_execz .LBB112_753
; %bb.752:
	v_mov_b32_e32 v244, 35
	ds_write2_b64 v1, v[82:83], v[84:85] offset0:72 offset1:73
	ds_write2_b64 v1, v[78:79], v[80:81] offset0:74 offset1:75
	;; [unrolled: 1-line block ×21, first 2 shown]
.LBB112_753:
	s_or_b32 exec_lo, exec_lo, s0
	s_mov_b32 s0, exec_lo
	s_waitcnt lgkmcnt(0)
	s_waitcnt_vscnt null, 0x0
	s_barrier
	buffer_gl0_inv
	v_cmpx_lt_i32_e32 35, v244
	s_cbranch_execz .LBB112_755
; %bb.754:
	v_mul_f64 v[214:215], v[232:233], v[88:89]
	v_mul_f64 v[88:89], v[230:231], v[88:89]
	v_fma_f64 v[238:239], v[230:231], v[86:87], -v[214:215]
	v_fma_f64 v[88:89], v[232:233], v[86:87], v[88:89]
	ds_read2_b64 v[230:233], v1 offset0:72 offset1:73
	s_waitcnt lgkmcnt(0)
	v_mul_f64 v[86:87], v[232:233], v[88:89]
	v_mul_f64 v[214:215], v[230:231], v[88:89]
	v_fma_f64 v[86:87], v[230:231], v[238:239], -v[86:87]
	v_fma_f64 v[214:215], v[232:233], v[238:239], v[214:215]
	ds_read2_b64 v[230:233], v1 offset0:74 offset1:75
	v_add_f64 v[82:83], v[82:83], -v[86:87]
	v_add_f64 v[84:85], v[84:85], -v[214:215]
	s_waitcnt lgkmcnt(0)
	v_mul_f64 v[86:87], v[232:233], v[88:89]
	v_mul_f64 v[214:215], v[230:231], v[88:89]
	v_fma_f64 v[86:87], v[230:231], v[238:239], -v[86:87]
	v_fma_f64 v[214:215], v[232:233], v[238:239], v[214:215]
	ds_read2_b64 v[230:233], v1 offset0:76 offset1:77
	v_add_f64 v[78:79], v[78:79], -v[86:87]
	v_add_f64 v[80:81], v[80:81], -v[214:215]
	;; [unrolled: 8-line block ×20, first 2 shown]
	s_waitcnt lgkmcnt(0)
	v_mul_f64 v[86:87], v[232:233], v[88:89]
	v_mul_f64 v[214:215], v[230:231], v[88:89]
	v_fma_f64 v[86:87], v[230:231], v[238:239], -v[86:87]
	v_fma_f64 v[214:215], v[232:233], v[238:239], v[214:215]
	v_add_f64 v[250:251], v[250:251], -v[86:87]
	v_add_f64 v[252:253], v[252:253], -v[214:215]
	v_mov_b32_e32 v86, v238
	v_mov_b32_e32 v87, v239
.LBB112_755:
	s_or_b32 exec_lo, exec_lo, s0
	v_lshl_add_u32 v214, v244, 4, v1
	s_barrier
	buffer_gl0_inv
	v_mov_b32_e32 v238, 36
	ds_write2_b64 v214, v[82:83], v[84:85] offset1:1
	s_waitcnt lgkmcnt(0)
	s_barrier
	buffer_gl0_inv
	ds_read2_b64 v[230:233], v1 offset0:72 offset1:73
	s_cmp_lt_i32 s8, 38
	s_cbranch_scc1 .LBB112_758
; %bb.756:
	v_add3_u32 v239, v228, 0, 0x250
	v_mov_b32_e32 v238, 36
	s_mov_b32 s0, 37
	s_inst_prefetch 0x1
	.p2align	6
.LBB112_757:                            ; =>This Inner Loop Header: Depth=1
	s_waitcnt lgkmcnt(0)
	v_cmp_gt_f64_e32 vcc_lo, 0, v[230:231]
	v_xor_b32_e32 v214, 0x80000000, v231
	ds_read2_b64 v[245:248], v239 offset1:1
	v_xor_b32_e32 v216, 0x80000000, v233
	v_add_nc_u32_e32 v239, 16, v239
	s_waitcnt lgkmcnt(0)
	v_xor_b32_e32 v218, 0x80000000, v248
	v_cndmask_b32_e32 v215, v231, v214, vcc_lo
	v_cmp_gt_f64_e32 vcc_lo, 0, v[232:233]
	v_mov_b32_e32 v214, v230
	v_cndmask_b32_e32 v217, v233, v216, vcc_lo
	v_cmp_gt_f64_e32 vcc_lo, 0, v[245:246]
	v_mov_b32_e32 v216, v232
	v_add_f64 v[214:215], v[214:215], v[216:217]
	v_xor_b32_e32 v216, 0x80000000, v246
	v_cndmask_b32_e32 v217, v246, v216, vcc_lo
	v_cmp_gt_f64_e32 vcc_lo, 0, v[247:248]
	v_mov_b32_e32 v216, v245
	v_cndmask_b32_e32 v219, v248, v218, vcc_lo
	v_mov_b32_e32 v218, v247
	v_add_f64 v[216:217], v[216:217], v[218:219]
	v_cmp_lt_f64_e32 vcc_lo, v[214:215], v[216:217]
	v_cndmask_b32_e32 v231, v231, v246, vcc_lo
	v_cndmask_b32_e32 v230, v230, v245, vcc_lo
	;; [unrolled: 1-line block ×4, first 2 shown]
	v_cndmask_b32_e64 v238, v238, s0, vcc_lo
	s_add_i32 s0, s0, 1
	s_cmp_lg_u32 s8, s0
	s_cbranch_scc1 .LBB112_757
.LBB112_758:
	s_inst_prefetch 0x2
	s_waitcnt lgkmcnt(0)
	v_cmp_eq_f64_e32 vcc_lo, 0, v[230:231]
	v_cmp_eq_f64_e64 s0, 0, v[232:233]
	s_and_b32 s0, vcc_lo, s0
	s_and_saveexec_b32 s1, s0
	s_xor_b32 s0, exec_lo, s1
; %bb.759:
	v_cmp_ne_u32_e32 vcc_lo, 0, v243
	v_cndmask_b32_e32 v243, 37, v243, vcc_lo
; %bb.760:
	s_andn2_saveexec_b32 s0, s0
	s_cbranch_execz .LBB112_766
; %bb.761:
	v_cmp_ngt_f64_e64 s1, |v[230:231]|, |v[232:233]|
	s_and_saveexec_b32 s7, s1
	s_xor_b32 s1, exec_lo, s7
	s_cbranch_execz .LBB112_763
; %bb.762:
	v_div_scale_f64 v[214:215], null, v[232:233], v[232:233], v[230:231]
	v_div_scale_f64 v[220:221], vcc_lo, v[230:231], v[232:233], v[230:231]
	v_rcp_f64_e32 v[216:217], v[214:215]
	v_fma_f64 v[218:219], -v[214:215], v[216:217], 1.0
	v_fma_f64 v[216:217], v[216:217], v[218:219], v[216:217]
	v_fma_f64 v[218:219], -v[214:215], v[216:217], 1.0
	v_fma_f64 v[216:217], v[216:217], v[218:219], v[216:217]
	v_mul_f64 v[218:219], v[220:221], v[216:217]
	v_fma_f64 v[214:215], -v[214:215], v[218:219], v[220:221]
	v_div_fmas_f64 v[214:215], v[214:215], v[216:217], v[218:219]
	v_div_fixup_f64 v[214:215], v[214:215], v[232:233], v[230:231]
	v_fma_f64 v[216:217], v[230:231], v[214:215], v[232:233]
	v_div_scale_f64 v[218:219], null, v[216:217], v[216:217], 1.0
	v_rcp_f64_e32 v[220:221], v[218:219]
	v_fma_f64 v[222:223], -v[218:219], v[220:221], 1.0
	v_fma_f64 v[220:221], v[220:221], v[222:223], v[220:221]
	v_fma_f64 v[222:223], -v[218:219], v[220:221], 1.0
	v_fma_f64 v[220:221], v[220:221], v[222:223], v[220:221]
	v_div_scale_f64 v[222:223], vcc_lo, 1.0, v[216:217], 1.0
	v_mul_f64 v[224:225], v[222:223], v[220:221]
	v_fma_f64 v[218:219], -v[218:219], v[224:225], v[222:223]
	v_div_fmas_f64 v[218:219], v[218:219], v[220:221], v[224:225]
	v_div_fixup_f64 v[232:233], v[218:219], v[216:217], 1.0
	v_mul_f64 v[230:231], v[214:215], v[232:233]
	v_xor_b32_e32 v233, 0x80000000, v233
.LBB112_763:
	s_andn2_saveexec_b32 s1, s1
	s_cbranch_execz .LBB112_765
; %bb.764:
	v_div_scale_f64 v[214:215], null, v[230:231], v[230:231], v[232:233]
	v_div_scale_f64 v[220:221], vcc_lo, v[232:233], v[230:231], v[232:233]
	v_rcp_f64_e32 v[216:217], v[214:215]
	v_fma_f64 v[218:219], -v[214:215], v[216:217], 1.0
	v_fma_f64 v[216:217], v[216:217], v[218:219], v[216:217]
	v_fma_f64 v[218:219], -v[214:215], v[216:217], 1.0
	v_fma_f64 v[216:217], v[216:217], v[218:219], v[216:217]
	v_mul_f64 v[218:219], v[220:221], v[216:217]
	v_fma_f64 v[214:215], -v[214:215], v[218:219], v[220:221]
	v_div_fmas_f64 v[214:215], v[214:215], v[216:217], v[218:219]
	v_div_fixup_f64 v[214:215], v[214:215], v[230:231], v[232:233]
	v_fma_f64 v[216:217], v[232:233], v[214:215], v[230:231]
	v_div_scale_f64 v[218:219], null, v[216:217], v[216:217], 1.0
	v_rcp_f64_e32 v[220:221], v[218:219]
	v_fma_f64 v[222:223], -v[218:219], v[220:221], 1.0
	v_fma_f64 v[220:221], v[220:221], v[222:223], v[220:221]
	v_fma_f64 v[222:223], -v[218:219], v[220:221], 1.0
	v_fma_f64 v[220:221], v[220:221], v[222:223], v[220:221]
	v_div_scale_f64 v[222:223], vcc_lo, 1.0, v[216:217], 1.0
	v_mul_f64 v[224:225], v[222:223], v[220:221]
	v_fma_f64 v[218:219], -v[218:219], v[224:225], v[222:223]
	v_div_fmas_f64 v[218:219], v[218:219], v[220:221], v[224:225]
	v_div_fixup_f64 v[230:231], v[218:219], v[216:217], 1.0
	v_mul_f64 v[232:233], v[214:215], -v[230:231]
.LBB112_765:
	s_or_b32 exec_lo, exec_lo, s1
.LBB112_766:
	s_or_b32 exec_lo, exec_lo, s0
	s_mov_b32 s0, exec_lo
	v_cmpx_ne_u32_e64 v244, v238
	s_xor_b32 s0, exec_lo, s0
	s_cbranch_execz .LBB112_772
; %bb.767:
	s_mov_b32 s1, exec_lo
	v_cmpx_eq_u32_e32 36, v244
	s_cbranch_execz .LBB112_771
; %bb.768:
	v_cmp_ne_u32_e32 vcc_lo, 36, v238
	s_xor_b32 s7, s16, -1
	s_and_b32 s9, s7, vcc_lo
	s_and_saveexec_b32 s7, s9
	s_cbranch_execz .LBB112_770
; %bb.769:
	s_clause 0x1
	buffer_load_dword v210, off, s[20:23], 0
	buffer_load_dword v211, off, s[20:23], 0 offset:4
	v_ashrrev_i32_e32 v239, 31, v238
	v_lshlrev_b64 v[214:215], 2, v[238:239]
	s_waitcnt vmcnt(1)
	v_add_co_u32 v214, vcc_lo, v210, v214
	s_waitcnt vmcnt(0)
	v_add_co_ci_u32_e64 v215, null, v211, v215, vcc_lo
	s_clause 0x1
	global_load_dword v0, v[214:215], off
	global_load_dword v216, v[210:211], off offset:144
	s_waitcnt vmcnt(1)
	global_store_dword v[210:211], v0, off offset:144
	s_waitcnt vmcnt(0)
	global_store_dword v[214:215], v216, off
.LBB112_770:
	s_or_b32 exec_lo, exec_lo, s7
	v_mov_b32_e32 v244, v238
	v_mov_b32_e32 v0, v238
.LBB112_771:
	s_or_b32 exec_lo, exec_lo, s1
.LBB112_772:
	s_andn2_saveexec_b32 s0, s0
	s_cbranch_execz .LBB112_774
; %bb.773:
	v_mov_b32_e32 v244, 36
	ds_write2_b64 v1, v[78:79], v[80:81] offset0:74 offset1:75
	ds_write2_b64 v1, v[74:75], v[76:77] offset0:76 offset1:77
	;; [unrolled: 1-line block ×20, first 2 shown]
.LBB112_774:
	s_or_b32 exec_lo, exec_lo, s0
	s_mov_b32 s0, exec_lo
	s_waitcnt lgkmcnt(0)
	s_waitcnt_vscnt null, 0x0
	s_barrier
	buffer_gl0_inv
	v_cmpx_lt_i32_e32 36, v244
	s_cbranch_execz .LBB112_776
; %bb.775:
	v_mul_f64 v[214:215], v[232:233], v[84:85]
	v_mul_f64 v[84:85], v[230:231], v[84:85]
	v_fma_f64 v[238:239], v[230:231], v[82:83], -v[214:215]
	v_fma_f64 v[84:85], v[232:233], v[82:83], v[84:85]
	ds_read2_b64 v[230:233], v1 offset0:74 offset1:75
	s_waitcnt lgkmcnt(0)
	v_mul_f64 v[82:83], v[232:233], v[84:85]
	v_mul_f64 v[214:215], v[230:231], v[84:85]
	v_fma_f64 v[82:83], v[230:231], v[238:239], -v[82:83]
	v_fma_f64 v[214:215], v[232:233], v[238:239], v[214:215]
	ds_read2_b64 v[230:233], v1 offset0:76 offset1:77
	v_add_f64 v[78:79], v[78:79], -v[82:83]
	v_add_f64 v[80:81], v[80:81], -v[214:215]
	s_waitcnt lgkmcnt(0)
	v_mul_f64 v[82:83], v[232:233], v[84:85]
	v_mul_f64 v[214:215], v[230:231], v[84:85]
	v_fma_f64 v[82:83], v[230:231], v[238:239], -v[82:83]
	v_fma_f64 v[214:215], v[232:233], v[238:239], v[214:215]
	ds_read2_b64 v[230:233], v1 offset0:78 offset1:79
	v_add_f64 v[74:75], v[74:75], -v[82:83]
	v_add_f64 v[76:77], v[76:77], -v[214:215]
	;; [unrolled: 8-line block ×19, first 2 shown]
	s_waitcnt lgkmcnt(0)
	v_mul_f64 v[82:83], v[232:233], v[84:85]
	v_mul_f64 v[214:215], v[230:231], v[84:85]
	v_fma_f64 v[82:83], v[230:231], v[238:239], -v[82:83]
	v_fma_f64 v[214:215], v[232:233], v[238:239], v[214:215]
	v_add_f64 v[250:251], v[250:251], -v[82:83]
	v_add_f64 v[252:253], v[252:253], -v[214:215]
	v_mov_b32_e32 v82, v238
	v_mov_b32_e32 v83, v239
.LBB112_776:
	s_or_b32 exec_lo, exec_lo, s0
	v_lshl_add_u32 v214, v244, 4, v1
	s_barrier
	buffer_gl0_inv
	v_mov_b32_e32 v238, 37
	ds_write2_b64 v214, v[78:79], v[80:81] offset1:1
	s_waitcnt lgkmcnt(0)
	s_barrier
	buffer_gl0_inv
	ds_read2_b64 v[230:233], v1 offset0:74 offset1:75
	s_cmp_lt_i32 s8, 39
	s_cbranch_scc1 .LBB112_779
; %bb.777:
	v_add3_u32 v239, v228, 0, 0x260
	v_mov_b32_e32 v238, 37
	s_mov_b32 s0, 38
	s_inst_prefetch 0x1
	.p2align	6
.LBB112_778:                            ; =>This Inner Loop Header: Depth=1
	s_waitcnt lgkmcnt(0)
	v_cmp_gt_f64_e32 vcc_lo, 0, v[230:231]
	v_xor_b32_e32 v214, 0x80000000, v231
	ds_read2_b64 v[245:248], v239 offset1:1
	v_xor_b32_e32 v216, 0x80000000, v233
	v_add_nc_u32_e32 v239, 16, v239
	s_waitcnt lgkmcnt(0)
	v_xor_b32_e32 v218, 0x80000000, v248
	v_cndmask_b32_e32 v215, v231, v214, vcc_lo
	v_cmp_gt_f64_e32 vcc_lo, 0, v[232:233]
	v_mov_b32_e32 v214, v230
	v_cndmask_b32_e32 v217, v233, v216, vcc_lo
	v_cmp_gt_f64_e32 vcc_lo, 0, v[245:246]
	v_mov_b32_e32 v216, v232
	v_add_f64 v[214:215], v[214:215], v[216:217]
	v_xor_b32_e32 v216, 0x80000000, v246
	v_cndmask_b32_e32 v217, v246, v216, vcc_lo
	v_cmp_gt_f64_e32 vcc_lo, 0, v[247:248]
	v_mov_b32_e32 v216, v245
	v_cndmask_b32_e32 v219, v248, v218, vcc_lo
	v_mov_b32_e32 v218, v247
	v_add_f64 v[216:217], v[216:217], v[218:219]
	v_cmp_lt_f64_e32 vcc_lo, v[214:215], v[216:217]
	v_cndmask_b32_e32 v231, v231, v246, vcc_lo
	v_cndmask_b32_e32 v230, v230, v245, vcc_lo
	;; [unrolled: 1-line block ×4, first 2 shown]
	v_cndmask_b32_e64 v238, v238, s0, vcc_lo
	s_add_i32 s0, s0, 1
	s_cmp_lg_u32 s8, s0
	s_cbranch_scc1 .LBB112_778
.LBB112_779:
	s_inst_prefetch 0x2
	s_waitcnt lgkmcnt(0)
	v_cmp_eq_f64_e32 vcc_lo, 0, v[230:231]
	v_cmp_eq_f64_e64 s0, 0, v[232:233]
	s_and_b32 s0, vcc_lo, s0
	s_and_saveexec_b32 s1, s0
	s_xor_b32 s0, exec_lo, s1
; %bb.780:
	v_cmp_ne_u32_e32 vcc_lo, 0, v243
	v_cndmask_b32_e32 v243, 38, v243, vcc_lo
; %bb.781:
	s_andn2_saveexec_b32 s0, s0
	s_cbranch_execz .LBB112_787
; %bb.782:
	v_cmp_ngt_f64_e64 s1, |v[230:231]|, |v[232:233]|
	s_and_saveexec_b32 s7, s1
	s_xor_b32 s1, exec_lo, s7
	s_cbranch_execz .LBB112_784
; %bb.783:
	v_div_scale_f64 v[214:215], null, v[232:233], v[232:233], v[230:231]
	v_div_scale_f64 v[220:221], vcc_lo, v[230:231], v[232:233], v[230:231]
	v_rcp_f64_e32 v[216:217], v[214:215]
	v_fma_f64 v[218:219], -v[214:215], v[216:217], 1.0
	v_fma_f64 v[216:217], v[216:217], v[218:219], v[216:217]
	v_fma_f64 v[218:219], -v[214:215], v[216:217], 1.0
	v_fma_f64 v[216:217], v[216:217], v[218:219], v[216:217]
	v_mul_f64 v[218:219], v[220:221], v[216:217]
	v_fma_f64 v[214:215], -v[214:215], v[218:219], v[220:221]
	v_div_fmas_f64 v[214:215], v[214:215], v[216:217], v[218:219]
	v_div_fixup_f64 v[214:215], v[214:215], v[232:233], v[230:231]
	v_fma_f64 v[216:217], v[230:231], v[214:215], v[232:233]
	v_div_scale_f64 v[218:219], null, v[216:217], v[216:217], 1.0
	v_rcp_f64_e32 v[220:221], v[218:219]
	v_fma_f64 v[222:223], -v[218:219], v[220:221], 1.0
	v_fma_f64 v[220:221], v[220:221], v[222:223], v[220:221]
	v_fma_f64 v[222:223], -v[218:219], v[220:221], 1.0
	v_fma_f64 v[220:221], v[220:221], v[222:223], v[220:221]
	v_div_scale_f64 v[222:223], vcc_lo, 1.0, v[216:217], 1.0
	v_mul_f64 v[224:225], v[222:223], v[220:221]
	v_fma_f64 v[218:219], -v[218:219], v[224:225], v[222:223]
	v_div_fmas_f64 v[218:219], v[218:219], v[220:221], v[224:225]
	v_div_fixup_f64 v[232:233], v[218:219], v[216:217], 1.0
	v_mul_f64 v[230:231], v[214:215], v[232:233]
	v_xor_b32_e32 v233, 0x80000000, v233
.LBB112_784:
	s_andn2_saveexec_b32 s1, s1
	s_cbranch_execz .LBB112_786
; %bb.785:
	v_div_scale_f64 v[214:215], null, v[230:231], v[230:231], v[232:233]
	v_div_scale_f64 v[220:221], vcc_lo, v[232:233], v[230:231], v[232:233]
	v_rcp_f64_e32 v[216:217], v[214:215]
	v_fma_f64 v[218:219], -v[214:215], v[216:217], 1.0
	v_fma_f64 v[216:217], v[216:217], v[218:219], v[216:217]
	v_fma_f64 v[218:219], -v[214:215], v[216:217], 1.0
	v_fma_f64 v[216:217], v[216:217], v[218:219], v[216:217]
	v_mul_f64 v[218:219], v[220:221], v[216:217]
	v_fma_f64 v[214:215], -v[214:215], v[218:219], v[220:221]
	v_div_fmas_f64 v[214:215], v[214:215], v[216:217], v[218:219]
	v_div_fixup_f64 v[214:215], v[214:215], v[230:231], v[232:233]
	v_fma_f64 v[216:217], v[232:233], v[214:215], v[230:231]
	v_div_scale_f64 v[218:219], null, v[216:217], v[216:217], 1.0
	v_rcp_f64_e32 v[220:221], v[218:219]
	v_fma_f64 v[222:223], -v[218:219], v[220:221], 1.0
	v_fma_f64 v[220:221], v[220:221], v[222:223], v[220:221]
	v_fma_f64 v[222:223], -v[218:219], v[220:221], 1.0
	v_fma_f64 v[220:221], v[220:221], v[222:223], v[220:221]
	v_div_scale_f64 v[222:223], vcc_lo, 1.0, v[216:217], 1.0
	v_mul_f64 v[224:225], v[222:223], v[220:221]
	v_fma_f64 v[218:219], -v[218:219], v[224:225], v[222:223]
	v_div_fmas_f64 v[218:219], v[218:219], v[220:221], v[224:225]
	v_div_fixup_f64 v[230:231], v[218:219], v[216:217], 1.0
	v_mul_f64 v[232:233], v[214:215], -v[230:231]
.LBB112_786:
	s_or_b32 exec_lo, exec_lo, s1
.LBB112_787:
	s_or_b32 exec_lo, exec_lo, s0
	s_mov_b32 s0, exec_lo
	v_cmpx_ne_u32_e64 v244, v238
	s_xor_b32 s0, exec_lo, s0
	s_cbranch_execz .LBB112_793
; %bb.788:
	s_mov_b32 s1, exec_lo
	v_cmpx_eq_u32_e32 37, v244
	s_cbranch_execz .LBB112_792
; %bb.789:
	v_cmp_ne_u32_e32 vcc_lo, 37, v238
	s_xor_b32 s7, s16, -1
	s_and_b32 s9, s7, vcc_lo
	s_and_saveexec_b32 s7, s9
	s_cbranch_execz .LBB112_791
; %bb.790:
	s_clause 0x1
	buffer_load_dword v210, off, s[20:23], 0
	buffer_load_dword v211, off, s[20:23], 0 offset:4
	v_ashrrev_i32_e32 v239, 31, v238
	v_lshlrev_b64 v[214:215], 2, v[238:239]
	s_waitcnt vmcnt(1)
	v_add_co_u32 v214, vcc_lo, v210, v214
	s_waitcnt vmcnt(0)
	v_add_co_ci_u32_e64 v215, null, v211, v215, vcc_lo
	s_clause 0x1
	global_load_dword v0, v[214:215], off
	global_load_dword v216, v[210:211], off offset:148
	s_waitcnt vmcnt(1)
	global_store_dword v[210:211], v0, off offset:148
	s_waitcnt vmcnt(0)
	global_store_dword v[214:215], v216, off
.LBB112_791:
	s_or_b32 exec_lo, exec_lo, s7
	v_mov_b32_e32 v244, v238
	v_mov_b32_e32 v0, v238
.LBB112_792:
	s_or_b32 exec_lo, exec_lo, s1
.LBB112_793:
	s_andn2_saveexec_b32 s0, s0
	s_cbranch_execz .LBB112_795
; %bb.794:
	v_mov_b32_e32 v244, 37
	ds_write2_b64 v1, v[74:75], v[76:77] offset0:76 offset1:77
	ds_write2_b64 v1, v[70:71], v[72:73] offset0:78 offset1:79
	;; [unrolled: 1-line block ×19, first 2 shown]
.LBB112_795:
	s_or_b32 exec_lo, exec_lo, s0
	s_mov_b32 s0, exec_lo
	s_waitcnt lgkmcnt(0)
	s_waitcnt_vscnt null, 0x0
	s_barrier
	buffer_gl0_inv
	v_cmpx_lt_i32_e32 37, v244
	s_cbranch_execz .LBB112_797
; %bb.796:
	v_mul_f64 v[214:215], v[232:233], v[80:81]
	v_mul_f64 v[80:81], v[230:231], v[80:81]
	v_fma_f64 v[238:239], v[230:231], v[78:79], -v[214:215]
	v_fma_f64 v[80:81], v[232:233], v[78:79], v[80:81]
	ds_read2_b64 v[230:233], v1 offset0:76 offset1:77
	s_waitcnt lgkmcnt(0)
	v_mul_f64 v[78:79], v[232:233], v[80:81]
	v_mul_f64 v[214:215], v[230:231], v[80:81]
	v_fma_f64 v[78:79], v[230:231], v[238:239], -v[78:79]
	v_fma_f64 v[214:215], v[232:233], v[238:239], v[214:215]
	ds_read2_b64 v[230:233], v1 offset0:78 offset1:79
	v_add_f64 v[74:75], v[74:75], -v[78:79]
	v_add_f64 v[76:77], v[76:77], -v[214:215]
	s_waitcnt lgkmcnt(0)
	v_mul_f64 v[78:79], v[232:233], v[80:81]
	v_mul_f64 v[214:215], v[230:231], v[80:81]
	v_fma_f64 v[78:79], v[230:231], v[238:239], -v[78:79]
	v_fma_f64 v[214:215], v[232:233], v[238:239], v[214:215]
	ds_read2_b64 v[230:233], v1 offset0:80 offset1:81
	v_add_f64 v[70:71], v[70:71], -v[78:79]
	v_add_f64 v[72:73], v[72:73], -v[214:215]
	;; [unrolled: 8-line block ×18, first 2 shown]
	s_waitcnt lgkmcnt(0)
	v_mul_f64 v[78:79], v[232:233], v[80:81]
	v_mul_f64 v[214:215], v[230:231], v[80:81]
	v_fma_f64 v[78:79], v[230:231], v[238:239], -v[78:79]
	v_fma_f64 v[214:215], v[232:233], v[238:239], v[214:215]
	v_add_f64 v[250:251], v[250:251], -v[78:79]
	v_add_f64 v[252:253], v[252:253], -v[214:215]
	v_mov_b32_e32 v78, v238
	v_mov_b32_e32 v79, v239
.LBB112_797:
	s_or_b32 exec_lo, exec_lo, s0
	v_lshl_add_u32 v214, v244, 4, v1
	s_barrier
	buffer_gl0_inv
	v_mov_b32_e32 v238, 38
	ds_write2_b64 v214, v[74:75], v[76:77] offset1:1
	s_waitcnt lgkmcnt(0)
	s_barrier
	buffer_gl0_inv
	ds_read2_b64 v[230:233], v1 offset0:76 offset1:77
	s_cmp_lt_i32 s8, 40
	s_cbranch_scc1 .LBB112_800
; %bb.798:
	v_add3_u32 v239, v228, 0, 0x270
	v_mov_b32_e32 v238, 38
	s_mov_b32 s0, 39
	s_inst_prefetch 0x1
	.p2align	6
.LBB112_799:                            ; =>This Inner Loop Header: Depth=1
	s_waitcnt lgkmcnt(0)
	v_cmp_gt_f64_e32 vcc_lo, 0, v[230:231]
	v_xor_b32_e32 v214, 0x80000000, v231
	ds_read2_b64 v[245:248], v239 offset1:1
	v_xor_b32_e32 v216, 0x80000000, v233
	v_add_nc_u32_e32 v239, 16, v239
	s_waitcnt lgkmcnt(0)
	v_xor_b32_e32 v218, 0x80000000, v248
	v_cndmask_b32_e32 v215, v231, v214, vcc_lo
	v_cmp_gt_f64_e32 vcc_lo, 0, v[232:233]
	v_mov_b32_e32 v214, v230
	v_cndmask_b32_e32 v217, v233, v216, vcc_lo
	v_cmp_gt_f64_e32 vcc_lo, 0, v[245:246]
	v_mov_b32_e32 v216, v232
	v_add_f64 v[214:215], v[214:215], v[216:217]
	v_xor_b32_e32 v216, 0x80000000, v246
	v_cndmask_b32_e32 v217, v246, v216, vcc_lo
	v_cmp_gt_f64_e32 vcc_lo, 0, v[247:248]
	v_mov_b32_e32 v216, v245
	v_cndmask_b32_e32 v219, v248, v218, vcc_lo
	v_mov_b32_e32 v218, v247
	v_add_f64 v[216:217], v[216:217], v[218:219]
	v_cmp_lt_f64_e32 vcc_lo, v[214:215], v[216:217]
	v_cndmask_b32_e32 v231, v231, v246, vcc_lo
	v_cndmask_b32_e32 v230, v230, v245, vcc_lo
	;; [unrolled: 1-line block ×4, first 2 shown]
	v_cndmask_b32_e64 v238, v238, s0, vcc_lo
	s_add_i32 s0, s0, 1
	s_cmp_lg_u32 s8, s0
	s_cbranch_scc1 .LBB112_799
.LBB112_800:
	s_inst_prefetch 0x2
	s_waitcnt lgkmcnt(0)
	v_cmp_eq_f64_e32 vcc_lo, 0, v[230:231]
	v_cmp_eq_f64_e64 s0, 0, v[232:233]
	s_and_b32 s0, vcc_lo, s0
	s_and_saveexec_b32 s1, s0
	s_xor_b32 s0, exec_lo, s1
; %bb.801:
	v_cmp_ne_u32_e32 vcc_lo, 0, v243
	v_cndmask_b32_e32 v243, 39, v243, vcc_lo
; %bb.802:
	s_andn2_saveexec_b32 s0, s0
	s_cbranch_execz .LBB112_808
; %bb.803:
	v_cmp_ngt_f64_e64 s1, |v[230:231]|, |v[232:233]|
	s_and_saveexec_b32 s7, s1
	s_xor_b32 s1, exec_lo, s7
	s_cbranch_execz .LBB112_805
; %bb.804:
	v_div_scale_f64 v[214:215], null, v[232:233], v[232:233], v[230:231]
	v_div_scale_f64 v[220:221], vcc_lo, v[230:231], v[232:233], v[230:231]
	v_rcp_f64_e32 v[216:217], v[214:215]
	v_fma_f64 v[218:219], -v[214:215], v[216:217], 1.0
	v_fma_f64 v[216:217], v[216:217], v[218:219], v[216:217]
	v_fma_f64 v[218:219], -v[214:215], v[216:217], 1.0
	v_fma_f64 v[216:217], v[216:217], v[218:219], v[216:217]
	v_mul_f64 v[218:219], v[220:221], v[216:217]
	v_fma_f64 v[214:215], -v[214:215], v[218:219], v[220:221]
	v_div_fmas_f64 v[214:215], v[214:215], v[216:217], v[218:219]
	v_div_fixup_f64 v[214:215], v[214:215], v[232:233], v[230:231]
	v_fma_f64 v[216:217], v[230:231], v[214:215], v[232:233]
	v_div_scale_f64 v[218:219], null, v[216:217], v[216:217], 1.0
	v_rcp_f64_e32 v[220:221], v[218:219]
	v_fma_f64 v[222:223], -v[218:219], v[220:221], 1.0
	v_fma_f64 v[220:221], v[220:221], v[222:223], v[220:221]
	v_fma_f64 v[222:223], -v[218:219], v[220:221], 1.0
	v_fma_f64 v[220:221], v[220:221], v[222:223], v[220:221]
	v_div_scale_f64 v[222:223], vcc_lo, 1.0, v[216:217], 1.0
	v_mul_f64 v[224:225], v[222:223], v[220:221]
	v_fma_f64 v[218:219], -v[218:219], v[224:225], v[222:223]
	v_div_fmas_f64 v[218:219], v[218:219], v[220:221], v[224:225]
	v_div_fixup_f64 v[232:233], v[218:219], v[216:217], 1.0
	v_mul_f64 v[230:231], v[214:215], v[232:233]
	v_xor_b32_e32 v233, 0x80000000, v233
.LBB112_805:
	s_andn2_saveexec_b32 s1, s1
	s_cbranch_execz .LBB112_807
; %bb.806:
	v_div_scale_f64 v[214:215], null, v[230:231], v[230:231], v[232:233]
	v_div_scale_f64 v[220:221], vcc_lo, v[232:233], v[230:231], v[232:233]
	v_rcp_f64_e32 v[216:217], v[214:215]
	v_fma_f64 v[218:219], -v[214:215], v[216:217], 1.0
	v_fma_f64 v[216:217], v[216:217], v[218:219], v[216:217]
	v_fma_f64 v[218:219], -v[214:215], v[216:217], 1.0
	v_fma_f64 v[216:217], v[216:217], v[218:219], v[216:217]
	v_mul_f64 v[218:219], v[220:221], v[216:217]
	v_fma_f64 v[214:215], -v[214:215], v[218:219], v[220:221]
	v_div_fmas_f64 v[214:215], v[214:215], v[216:217], v[218:219]
	v_div_fixup_f64 v[214:215], v[214:215], v[230:231], v[232:233]
	v_fma_f64 v[216:217], v[232:233], v[214:215], v[230:231]
	v_div_scale_f64 v[218:219], null, v[216:217], v[216:217], 1.0
	v_rcp_f64_e32 v[220:221], v[218:219]
	v_fma_f64 v[222:223], -v[218:219], v[220:221], 1.0
	v_fma_f64 v[220:221], v[220:221], v[222:223], v[220:221]
	v_fma_f64 v[222:223], -v[218:219], v[220:221], 1.0
	v_fma_f64 v[220:221], v[220:221], v[222:223], v[220:221]
	v_div_scale_f64 v[222:223], vcc_lo, 1.0, v[216:217], 1.0
	v_mul_f64 v[224:225], v[222:223], v[220:221]
	v_fma_f64 v[218:219], -v[218:219], v[224:225], v[222:223]
	v_div_fmas_f64 v[218:219], v[218:219], v[220:221], v[224:225]
	v_div_fixup_f64 v[230:231], v[218:219], v[216:217], 1.0
	v_mul_f64 v[232:233], v[214:215], -v[230:231]
.LBB112_807:
	s_or_b32 exec_lo, exec_lo, s1
.LBB112_808:
	s_or_b32 exec_lo, exec_lo, s0
	s_mov_b32 s0, exec_lo
	v_cmpx_ne_u32_e64 v244, v238
	s_xor_b32 s0, exec_lo, s0
	s_cbranch_execz .LBB112_814
; %bb.809:
	s_mov_b32 s1, exec_lo
	v_cmpx_eq_u32_e32 38, v244
	s_cbranch_execz .LBB112_813
; %bb.810:
	v_cmp_ne_u32_e32 vcc_lo, 38, v238
	s_xor_b32 s7, s16, -1
	s_and_b32 s9, s7, vcc_lo
	s_and_saveexec_b32 s7, s9
	s_cbranch_execz .LBB112_812
; %bb.811:
	s_clause 0x1
	buffer_load_dword v210, off, s[20:23], 0
	buffer_load_dword v211, off, s[20:23], 0 offset:4
	v_ashrrev_i32_e32 v239, 31, v238
	v_lshlrev_b64 v[214:215], 2, v[238:239]
	s_waitcnt vmcnt(1)
	v_add_co_u32 v214, vcc_lo, v210, v214
	s_waitcnt vmcnt(0)
	v_add_co_ci_u32_e64 v215, null, v211, v215, vcc_lo
	s_clause 0x1
	global_load_dword v0, v[214:215], off
	global_load_dword v216, v[210:211], off offset:152
	s_waitcnt vmcnt(1)
	global_store_dword v[210:211], v0, off offset:152
	s_waitcnt vmcnt(0)
	global_store_dword v[214:215], v216, off
.LBB112_812:
	s_or_b32 exec_lo, exec_lo, s7
	v_mov_b32_e32 v244, v238
	v_mov_b32_e32 v0, v238
.LBB112_813:
	s_or_b32 exec_lo, exec_lo, s1
.LBB112_814:
	s_andn2_saveexec_b32 s0, s0
	s_cbranch_execz .LBB112_816
; %bb.815:
	v_mov_b32_e32 v244, 38
	ds_write2_b64 v1, v[70:71], v[72:73] offset0:78 offset1:79
	ds_write2_b64 v1, v[66:67], v[68:69] offset0:80 offset1:81
	;; [unrolled: 1-line block ×18, first 2 shown]
.LBB112_816:
	s_or_b32 exec_lo, exec_lo, s0
	s_mov_b32 s0, exec_lo
	s_waitcnt lgkmcnt(0)
	s_waitcnt_vscnt null, 0x0
	s_barrier
	buffer_gl0_inv
	v_cmpx_lt_i32_e32 38, v244
	s_cbranch_execz .LBB112_818
; %bb.817:
	v_mul_f64 v[214:215], v[232:233], v[76:77]
	v_mul_f64 v[76:77], v[230:231], v[76:77]
	v_fma_f64 v[238:239], v[230:231], v[74:75], -v[214:215]
	v_fma_f64 v[76:77], v[232:233], v[74:75], v[76:77]
	ds_read2_b64 v[230:233], v1 offset0:78 offset1:79
	s_waitcnt lgkmcnt(0)
	v_mul_f64 v[74:75], v[232:233], v[76:77]
	v_mul_f64 v[214:215], v[230:231], v[76:77]
	v_fma_f64 v[74:75], v[230:231], v[238:239], -v[74:75]
	v_fma_f64 v[214:215], v[232:233], v[238:239], v[214:215]
	ds_read2_b64 v[230:233], v1 offset0:80 offset1:81
	v_add_f64 v[70:71], v[70:71], -v[74:75]
	v_add_f64 v[72:73], v[72:73], -v[214:215]
	s_waitcnt lgkmcnt(0)
	v_mul_f64 v[74:75], v[232:233], v[76:77]
	v_mul_f64 v[214:215], v[230:231], v[76:77]
	v_fma_f64 v[74:75], v[230:231], v[238:239], -v[74:75]
	v_fma_f64 v[214:215], v[232:233], v[238:239], v[214:215]
	ds_read2_b64 v[230:233], v1 offset0:82 offset1:83
	v_add_f64 v[66:67], v[66:67], -v[74:75]
	v_add_f64 v[68:69], v[68:69], -v[214:215]
	;; [unrolled: 8-line block ×17, first 2 shown]
	s_waitcnt lgkmcnt(0)
	v_mul_f64 v[74:75], v[232:233], v[76:77]
	v_mul_f64 v[214:215], v[230:231], v[76:77]
	v_fma_f64 v[74:75], v[230:231], v[238:239], -v[74:75]
	v_fma_f64 v[214:215], v[232:233], v[238:239], v[214:215]
	v_add_f64 v[250:251], v[250:251], -v[74:75]
	v_add_f64 v[252:253], v[252:253], -v[214:215]
	v_mov_b32_e32 v74, v238
	v_mov_b32_e32 v75, v239
.LBB112_818:
	s_or_b32 exec_lo, exec_lo, s0
	v_lshl_add_u32 v214, v244, 4, v1
	s_barrier
	buffer_gl0_inv
	v_mov_b32_e32 v238, 39
	ds_write2_b64 v214, v[70:71], v[72:73] offset1:1
	s_waitcnt lgkmcnt(0)
	s_barrier
	buffer_gl0_inv
	ds_read2_b64 v[230:233], v1 offset0:78 offset1:79
	s_cmp_lt_i32 s8, 41
	s_cbranch_scc1 .LBB112_821
; %bb.819:
	v_add3_u32 v239, v228, 0, 0x280
	v_mov_b32_e32 v238, 39
	s_mov_b32 s0, 40
	s_inst_prefetch 0x1
	.p2align	6
.LBB112_820:                            ; =>This Inner Loop Header: Depth=1
	s_waitcnt lgkmcnt(0)
	v_cmp_gt_f64_e32 vcc_lo, 0, v[230:231]
	v_xor_b32_e32 v214, 0x80000000, v231
	ds_read2_b64 v[245:248], v239 offset1:1
	v_xor_b32_e32 v216, 0x80000000, v233
	v_add_nc_u32_e32 v239, 16, v239
	s_waitcnt lgkmcnt(0)
	v_xor_b32_e32 v218, 0x80000000, v248
	v_cndmask_b32_e32 v215, v231, v214, vcc_lo
	v_cmp_gt_f64_e32 vcc_lo, 0, v[232:233]
	v_mov_b32_e32 v214, v230
	v_cndmask_b32_e32 v217, v233, v216, vcc_lo
	v_cmp_gt_f64_e32 vcc_lo, 0, v[245:246]
	v_mov_b32_e32 v216, v232
	v_add_f64 v[214:215], v[214:215], v[216:217]
	v_xor_b32_e32 v216, 0x80000000, v246
	v_cndmask_b32_e32 v217, v246, v216, vcc_lo
	v_cmp_gt_f64_e32 vcc_lo, 0, v[247:248]
	v_mov_b32_e32 v216, v245
	v_cndmask_b32_e32 v219, v248, v218, vcc_lo
	v_mov_b32_e32 v218, v247
	v_add_f64 v[216:217], v[216:217], v[218:219]
	v_cmp_lt_f64_e32 vcc_lo, v[214:215], v[216:217]
	v_cndmask_b32_e32 v231, v231, v246, vcc_lo
	v_cndmask_b32_e32 v230, v230, v245, vcc_lo
	;; [unrolled: 1-line block ×4, first 2 shown]
	v_cndmask_b32_e64 v238, v238, s0, vcc_lo
	s_add_i32 s0, s0, 1
	s_cmp_lg_u32 s8, s0
	s_cbranch_scc1 .LBB112_820
.LBB112_821:
	s_inst_prefetch 0x2
	s_waitcnt lgkmcnt(0)
	v_cmp_eq_f64_e32 vcc_lo, 0, v[230:231]
	v_cmp_eq_f64_e64 s0, 0, v[232:233]
	s_and_b32 s0, vcc_lo, s0
	s_and_saveexec_b32 s1, s0
	s_xor_b32 s0, exec_lo, s1
; %bb.822:
	v_cmp_ne_u32_e32 vcc_lo, 0, v243
	v_cndmask_b32_e32 v243, 40, v243, vcc_lo
; %bb.823:
	s_andn2_saveexec_b32 s0, s0
	s_cbranch_execz .LBB112_829
; %bb.824:
	v_cmp_ngt_f64_e64 s1, |v[230:231]|, |v[232:233]|
	s_and_saveexec_b32 s7, s1
	s_xor_b32 s1, exec_lo, s7
	s_cbranch_execz .LBB112_826
; %bb.825:
	v_div_scale_f64 v[214:215], null, v[232:233], v[232:233], v[230:231]
	v_div_scale_f64 v[220:221], vcc_lo, v[230:231], v[232:233], v[230:231]
	v_rcp_f64_e32 v[216:217], v[214:215]
	v_fma_f64 v[218:219], -v[214:215], v[216:217], 1.0
	v_fma_f64 v[216:217], v[216:217], v[218:219], v[216:217]
	v_fma_f64 v[218:219], -v[214:215], v[216:217], 1.0
	v_fma_f64 v[216:217], v[216:217], v[218:219], v[216:217]
	v_mul_f64 v[218:219], v[220:221], v[216:217]
	v_fma_f64 v[214:215], -v[214:215], v[218:219], v[220:221]
	v_div_fmas_f64 v[214:215], v[214:215], v[216:217], v[218:219]
	v_div_fixup_f64 v[214:215], v[214:215], v[232:233], v[230:231]
	v_fma_f64 v[216:217], v[230:231], v[214:215], v[232:233]
	v_div_scale_f64 v[218:219], null, v[216:217], v[216:217], 1.0
	v_rcp_f64_e32 v[220:221], v[218:219]
	v_fma_f64 v[222:223], -v[218:219], v[220:221], 1.0
	v_fma_f64 v[220:221], v[220:221], v[222:223], v[220:221]
	v_fma_f64 v[222:223], -v[218:219], v[220:221], 1.0
	v_fma_f64 v[220:221], v[220:221], v[222:223], v[220:221]
	v_div_scale_f64 v[222:223], vcc_lo, 1.0, v[216:217], 1.0
	v_mul_f64 v[224:225], v[222:223], v[220:221]
	v_fma_f64 v[218:219], -v[218:219], v[224:225], v[222:223]
	v_div_fmas_f64 v[218:219], v[218:219], v[220:221], v[224:225]
	v_div_fixup_f64 v[232:233], v[218:219], v[216:217], 1.0
	v_mul_f64 v[230:231], v[214:215], v[232:233]
	v_xor_b32_e32 v233, 0x80000000, v233
.LBB112_826:
	s_andn2_saveexec_b32 s1, s1
	s_cbranch_execz .LBB112_828
; %bb.827:
	v_div_scale_f64 v[214:215], null, v[230:231], v[230:231], v[232:233]
	v_div_scale_f64 v[220:221], vcc_lo, v[232:233], v[230:231], v[232:233]
	v_rcp_f64_e32 v[216:217], v[214:215]
	v_fma_f64 v[218:219], -v[214:215], v[216:217], 1.0
	v_fma_f64 v[216:217], v[216:217], v[218:219], v[216:217]
	v_fma_f64 v[218:219], -v[214:215], v[216:217], 1.0
	v_fma_f64 v[216:217], v[216:217], v[218:219], v[216:217]
	v_mul_f64 v[218:219], v[220:221], v[216:217]
	v_fma_f64 v[214:215], -v[214:215], v[218:219], v[220:221]
	v_div_fmas_f64 v[214:215], v[214:215], v[216:217], v[218:219]
	v_div_fixup_f64 v[214:215], v[214:215], v[230:231], v[232:233]
	v_fma_f64 v[216:217], v[232:233], v[214:215], v[230:231]
	v_div_scale_f64 v[218:219], null, v[216:217], v[216:217], 1.0
	v_rcp_f64_e32 v[220:221], v[218:219]
	v_fma_f64 v[222:223], -v[218:219], v[220:221], 1.0
	v_fma_f64 v[220:221], v[220:221], v[222:223], v[220:221]
	v_fma_f64 v[222:223], -v[218:219], v[220:221], 1.0
	v_fma_f64 v[220:221], v[220:221], v[222:223], v[220:221]
	v_div_scale_f64 v[222:223], vcc_lo, 1.0, v[216:217], 1.0
	v_mul_f64 v[224:225], v[222:223], v[220:221]
	v_fma_f64 v[218:219], -v[218:219], v[224:225], v[222:223]
	v_div_fmas_f64 v[218:219], v[218:219], v[220:221], v[224:225]
	v_div_fixup_f64 v[230:231], v[218:219], v[216:217], 1.0
	v_mul_f64 v[232:233], v[214:215], -v[230:231]
.LBB112_828:
	s_or_b32 exec_lo, exec_lo, s1
.LBB112_829:
	s_or_b32 exec_lo, exec_lo, s0
	s_mov_b32 s0, exec_lo
	v_cmpx_ne_u32_e64 v244, v238
	s_xor_b32 s0, exec_lo, s0
	s_cbranch_execz .LBB112_835
; %bb.830:
	s_mov_b32 s1, exec_lo
	v_cmpx_eq_u32_e32 39, v244
	s_cbranch_execz .LBB112_834
; %bb.831:
	v_cmp_ne_u32_e32 vcc_lo, 39, v238
	s_xor_b32 s7, s16, -1
	s_and_b32 s9, s7, vcc_lo
	s_and_saveexec_b32 s7, s9
	s_cbranch_execz .LBB112_833
; %bb.832:
	s_clause 0x1
	buffer_load_dword v210, off, s[20:23], 0
	buffer_load_dword v211, off, s[20:23], 0 offset:4
	v_ashrrev_i32_e32 v239, 31, v238
	v_lshlrev_b64 v[214:215], 2, v[238:239]
	s_waitcnt vmcnt(1)
	v_add_co_u32 v214, vcc_lo, v210, v214
	s_waitcnt vmcnt(0)
	v_add_co_ci_u32_e64 v215, null, v211, v215, vcc_lo
	s_clause 0x1
	global_load_dword v0, v[214:215], off
	global_load_dword v216, v[210:211], off offset:156
	s_waitcnt vmcnt(1)
	global_store_dword v[210:211], v0, off offset:156
	s_waitcnt vmcnt(0)
	global_store_dword v[214:215], v216, off
.LBB112_833:
	s_or_b32 exec_lo, exec_lo, s7
	v_mov_b32_e32 v244, v238
	v_mov_b32_e32 v0, v238
.LBB112_834:
	s_or_b32 exec_lo, exec_lo, s1
.LBB112_835:
	s_andn2_saveexec_b32 s0, s0
	s_cbranch_execz .LBB112_837
; %bb.836:
	v_mov_b32_e32 v244, 39
	ds_write2_b64 v1, v[66:67], v[68:69] offset0:80 offset1:81
	ds_write2_b64 v1, v[62:63], v[64:65] offset0:82 offset1:83
	;; [unrolled: 1-line block ×17, first 2 shown]
.LBB112_837:
	s_or_b32 exec_lo, exec_lo, s0
	s_mov_b32 s0, exec_lo
	s_waitcnt lgkmcnt(0)
	s_waitcnt_vscnt null, 0x0
	s_barrier
	buffer_gl0_inv
	v_cmpx_lt_i32_e32 39, v244
	s_cbranch_execz .LBB112_839
; %bb.838:
	v_mul_f64 v[214:215], v[232:233], v[72:73]
	v_mul_f64 v[72:73], v[230:231], v[72:73]
	v_fma_f64 v[238:239], v[230:231], v[70:71], -v[214:215]
	v_fma_f64 v[72:73], v[232:233], v[70:71], v[72:73]
	ds_read2_b64 v[230:233], v1 offset0:80 offset1:81
	s_waitcnt lgkmcnt(0)
	v_mul_f64 v[70:71], v[232:233], v[72:73]
	v_mul_f64 v[214:215], v[230:231], v[72:73]
	v_fma_f64 v[70:71], v[230:231], v[238:239], -v[70:71]
	v_fma_f64 v[214:215], v[232:233], v[238:239], v[214:215]
	ds_read2_b64 v[230:233], v1 offset0:82 offset1:83
	v_add_f64 v[66:67], v[66:67], -v[70:71]
	v_add_f64 v[68:69], v[68:69], -v[214:215]
	s_waitcnt lgkmcnt(0)
	v_mul_f64 v[70:71], v[232:233], v[72:73]
	v_mul_f64 v[214:215], v[230:231], v[72:73]
	v_fma_f64 v[70:71], v[230:231], v[238:239], -v[70:71]
	v_fma_f64 v[214:215], v[232:233], v[238:239], v[214:215]
	ds_read2_b64 v[230:233], v1 offset0:84 offset1:85
	v_add_f64 v[62:63], v[62:63], -v[70:71]
	v_add_f64 v[64:65], v[64:65], -v[214:215]
	;; [unrolled: 8-line block ×16, first 2 shown]
	s_waitcnt lgkmcnt(0)
	v_mul_f64 v[70:71], v[232:233], v[72:73]
	v_mul_f64 v[214:215], v[230:231], v[72:73]
	v_fma_f64 v[70:71], v[230:231], v[238:239], -v[70:71]
	v_fma_f64 v[214:215], v[232:233], v[238:239], v[214:215]
	v_add_f64 v[250:251], v[250:251], -v[70:71]
	v_add_f64 v[252:253], v[252:253], -v[214:215]
	v_mov_b32_e32 v70, v238
	v_mov_b32_e32 v71, v239
.LBB112_839:
	s_or_b32 exec_lo, exec_lo, s0
	v_lshl_add_u32 v214, v244, 4, v1
	s_barrier
	buffer_gl0_inv
	v_mov_b32_e32 v238, 40
	ds_write2_b64 v214, v[66:67], v[68:69] offset1:1
	s_waitcnt lgkmcnt(0)
	s_barrier
	buffer_gl0_inv
	ds_read2_b64 v[230:233], v1 offset0:80 offset1:81
	s_cmp_lt_i32 s8, 42
	s_cbranch_scc1 .LBB112_842
; %bb.840:
	v_add3_u32 v239, v228, 0, 0x290
	v_mov_b32_e32 v238, 40
	s_mov_b32 s0, 41
	s_inst_prefetch 0x1
	.p2align	6
.LBB112_841:                            ; =>This Inner Loop Header: Depth=1
	s_waitcnt lgkmcnt(0)
	v_cmp_gt_f64_e32 vcc_lo, 0, v[230:231]
	v_xor_b32_e32 v214, 0x80000000, v231
	ds_read2_b64 v[245:248], v239 offset1:1
	v_xor_b32_e32 v216, 0x80000000, v233
	v_add_nc_u32_e32 v239, 16, v239
	s_waitcnt lgkmcnt(0)
	v_xor_b32_e32 v218, 0x80000000, v248
	v_cndmask_b32_e32 v215, v231, v214, vcc_lo
	v_cmp_gt_f64_e32 vcc_lo, 0, v[232:233]
	v_mov_b32_e32 v214, v230
	v_cndmask_b32_e32 v217, v233, v216, vcc_lo
	v_cmp_gt_f64_e32 vcc_lo, 0, v[245:246]
	v_mov_b32_e32 v216, v232
	v_add_f64 v[214:215], v[214:215], v[216:217]
	v_xor_b32_e32 v216, 0x80000000, v246
	v_cndmask_b32_e32 v217, v246, v216, vcc_lo
	v_cmp_gt_f64_e32 vcc_lo, 0, v[247:248]
	v_mov_b32_e32 v216, v245
	v_cndmask_b32_e32 v219, v248, v218, vcc_lo
	v_mov_b32_e32 v218, v247
	v_add_f64 v[216:217], v[216:217], v[218:219]
	v_cmp_lt_f64_e32 vcc_lo, v[214:215], v[216:217]
	v_cndmask_b32_e32 v231, v231, v246, vcc_lo
	v_cndmask_b32_e32 v230, v230, v245, vcc_lo
	;; [unrolled: 1-line block ×4, first 2 shown]
	v_cndmask_b32_e64 v238, v238, s0, vcc_lo
	s_add_i32 s0, s0, 1
	s_cmp_lg_u32 s8, s0
	s_cbranch_scc1 .LBB112_841
.LBB112_842:
	s_inst_prefetch 0x2
	s_waitcnt lgkmcnt(0)
	v_cmp_eq_f64_e32 vcc_lo, 0, v[230:231]
	v_cmp_eq_f64_e64 s0, 0, v[232:233]
	s_and_b32 s0, vcc_lo, s0
	s_and_saveexec_b32 s1, s0
	s_xor_b32 s0, exec_lo, s1
; %bb.843:
	v_cmp_ne_u32_e32 vcc_lo, 0, v243
	v_cndmask_b32_e32 v243, 41, v243, vcc_lo
; %bb.844:
	s_andn2_saveexec_b32 s0, s0
	s_cbranch_execz .LBB112_850
; %bb.845:
	v_cmp_ngt_f64_e64 s1, |v[230:231]|, |v[232:233]|
	s_and_saveexec_b32 s7, s1
	s_xor_b32 s1, exec_lo, s7
	s_cbranch_execz .LBB112_847
; %bb.846:
	v_div_scale_f64 v[214:215], null, v[232:233], v[232:233], v[230:231]
	v_div_scale_f64 v[220:221], vcc_lo, v[230:231], v[232:233], v[230:231]
	v_rcp_f64_e32 v[216:217], v[214:215]
	v_fma_f64 v[218:219], -v[214:215], v[216:217], 1.0
	v_fma_f64 v[216:217], v[216:217], v[218:219], v[216:217]
	v_fma_f64 v[218:219], -v[214:215], v[216:217], 1.0
	v_fma_f64 v[216:217], v[216:217], v[218:219], v[216:217]
	v_mul_f64 v[218:219], v[220:221], v[216:217]
	v_fma_f64 v[214:215], -v[214:215], v[218:219], v[220:221]
	v_div_fmas_f64 v[214:215], v[214:215], v[216:217], v[218:219]
	v_div_fixup_f64 v[214:215], v[214:215], v[232:233], v[230:231]
	v_fma_f64 v[216:217], v[230:231], v[214:215], v[232:233]
	v_div_scale_f64 v[218:219], null, v[216:217], v[216:217], 1.0
	v_rcp_f64_e32 v[220:221], v[218:219]
	v_fma_f64 v[222:223], -v[218:219], v[220:221], 1.0
	v_fma_f64 v[220:221], v[220:221], v[222:223], v[220:221]
	v_fma_f64 v[222:223], -v[218:219], v[220:221], 1.0
	v_fma_f64 v[220:221], v[220:221], v[222:223], v[220:221]
	v_div_scale_f64 v[222:223], vcc_lo, 1.0, v[216:217], 1.0
	v_mul_f64 v[224:225], v[222:223], v[220:221]
	v_fma_f64 v[218:219], -v[218:219], v[224:225], v[222:223]
	v_div_fmas_f64 v[218:219], v[218:219], v[220:221], v[224:225]
	v_div_fixup_f64 v[232:233], v[218:219], v[216:217], 1.0
	v_mul_f64 v[230:231], v[214:215], v[232:233]
	v_xor_b32_e32 v233, 0x80000000, v233
.LBB112_847:
	s_andn2_saveexec_b32 s1, s1
	s_cbranch_execz .LBB112_849
; %bb.848:
	v_div_scale_f64 v[214:215], null, v[230:231], v[230:231], v[232:233]
	v_div_scale_f64 v[220:221], vcc_lo, v[232:233], v[230:231], v[232:233]
	v_rcp_f64_e32 v[216:217], v[214:215]
	v_fma_f64 v[218:219], -v[214:215], v[216:217], 1.0
	v_fma_f64 v[216:217], v[216:217], v[218:219], v[216:217]
	v_fma_f64 v[218:219], -v[214:215], v[216:217], 1.0
	v_fma_f64 v[216:217], v[216:217], v[218:219], v[216:217]
	v_mul_f64 v[218:219], v[220:221], v[216:217]
	v_fma_f64 v[214:215], -v[214:215], v[218:219], v[220:221]
	v_div_fmas_f64 v[214:215], v[214:215], v[216:217], v[218:219]
	v_div_fixup_f64 v[214:215], v[214:215], v[230:231], v[232:233]
	v_fma_f64 v[216:217], v[232:233], v[214:215], v[230:231]
	v_div_scale_f64 v[218:219], null, v[216:217], v[216:217], 1.0
	v_rcp_f64_e32 v[220:221], v[218:219]
	v_fma_f64 v[222:223], -v[218:219], v[220:221], 1.0
	v_fma_f64 v[220:221], v[220:221], v[222:223], v[220:221]
	v_fma_f64 v[222:223], -v[218:219], v[220:221], 1.0
	v_fma_f64 v[220:221], v[220:221], v[222:223], v[220:221]
	v_div_scale_f64 v[222:223], vcc_lo, 1.0, v[216:217], 1.0
	v_mul_f64 v[224:225], v[222:223], v[220:221]
	v_fma_f64 v[218:219], -v[218:219], v[224:225], v[222:223]
	v_div_fmas_f64 v[218:219], v[218:219], v[220:221], v[224:225]
	v_div_fixup_f64 v[230:231], v[218:219], v[216:217], 1.0
	v_mul_f64 v[232:233], v[214:215], -v[230:231]
.LBB112_849:
	s_or_b32 exec_lo, exec_lo, s1
.LBB112_850:
	s_or_b32 exec_lo, exec_lo, s0
	s_mov_b32 s0, exec_lo
	v_cmpx_ne_u32_e64 v244, v238
	s_xor_b32 s0, exec_lo, s0
	s_cbranch_execz .LBB112_856
; %bb.851:
	s_mov_b32 s1, exec_lo
	v_cmpx_eq_u32_e32 40, v244
	s_cbranch_execz .LBB112_855
; %bb.852:
	v_cmp_ne_u32_e32 vcc_lo, 40, v238
	s_xor_b32 s7, s16, -1
	s_and_b32 s9, s7, vcc_lo
	s_and_saveexec_b32 s7, s9
	s_cbranch_execz .LBB112_854
; %bb.853:
	s_clause 0x1
	buffer_load_dword v210, off, s[20:23], 0
	buffer_load_dword v211, off, s[20:23], 0 offset:4
	v_ashrrev_i32_e32 v239, 31, v238
	v_lshlrev_b64 v[214:215], 2, v[238:239]
	s_waitcnt vmcnt(1)
	v_add_co_u32 v214, vcc_lo, v210, v214
	s_waitcnt vmcnt(0)
	v_add_co_ci_u32_e64 v215, null, v211, v215, vcc_lo
	s_clause 0x1
	global_load_dword v0, v[214:215], off
	global_load_dword v216, v[210:211], off offset:160
	s_waitcnt vmcnt(1)
	global_store_dword v[210:211], v0, off offset:160
	s_waitcnt vmcnt(0)
	global_store_dword v[214:215], v216, off
.LBB112_854:
	s_or_b32 exec_lo, exec_lo, s7
	v_mov_b32_e32 v244, v238
	v_mov_b32_e32 v0, v238
.LBB112_855:
	s_or_b32 exec_lo, exec_lo, s1
.LBB112_856:
	s_andn2_saveexec_b32 s0, s0
	s_cbranch_execz .LBB112_858
; %bb.857:
	v_mov_b32_e32 v244, 40
	ds_write2_b64 v1, v[62:63], v[64:65] offset0:82 offset1:83
	ds_write2_b64 v1, v[58:59], v[60:61] offset0:84 offset1:85
	;; [unrolled: 1-line block ×16, first 2 shown]
.LBB112_858:
	s_or_b32 exec_lo, exec_lo, s0
	s_mov_b32 s0, exec_lo
	s_waitcnt lgkmcnt(0)
	s_waitcnt_vscnt null, 0x0
	s_barrier
	buffer_gl0_inv
	v_cmpx_lt_i32_e32 40, v244
	s_cbranch_execz .LBB112_860
; %bb.859:
	v_mul_f64 v[214:215], v[230:231], v[68:69]
	v_mul_f64 v[68:69], v[232:233], v[68:69]
	v_fma_f64 v[238:239], v[232:233], v[66:67], v[214:215]
	v_fma_f64 v[66:67], v[230:231], v[66:67], -v[68:69]
	ds_read2_b64 v[230:233], v1 offset0:82 offset1:83
	s_waitcnt lgkmcnt(0)
	v_mul_f64 v[68:69], v[232:233], v[238:239]
	v_mul_f64 v[214:215], v[230:231], v[238:239]
	v_fma_f64 v[68:69], v[230:231], v[66:67], -v[68:69]
	v_fma_f64 v[214:215], v[232:233], v[66:67], v[214:215]
	ds_read2_b64 v[230:233], v1 offset0:84 offset1:85
	v_add_f64 v[62:63], v[62:63], -v[68:69]
	v_add_f64 v[64:65], v[64:65], -v[214:215]
	s_waitcnt lgkmcnt(0)
	v_mul_f64 v[68:69], v[232:233], v[238:239]
	v_mul_f64 v[214:215], v[230:231], v[238:239]
	v_fma_f64 v[68:69], v[230:231], v[66:67], -v[68:69]
	v_fma_f64 v[214:215], v[232:233], v[66:67], v[214:215]
	ds_read2_b64 v[230:233], v1 offset0:86 offset1:87
	v_add_f64 v[58:59], v[58:59], -v[68:69]
	v_add_f64 v[60:61], v[60:61], -v[214:215]
	;; [unrolled: 8-line block ×15, first 2 shown]
	s_waitcnt lgkmcnt(0)
	v_mul_f64 v[68:69], v[232:233], v[238:239]
	v_mul_f64 v[214:215], v[230:231], v[238:239]
	v_fma_f64 v[68:69], v[230:231], v[66:67], -v[68:69]
	v_fma_f64 v[214:215], v[232:233], v[66:67], v[214:215]
	v_add_f64 v[250:251], v[250:251], -v[68:69]
	v_add_f64 v[252:253], v[252:253], -v[214:215]
	v_mov_b32_e32 v68, v238
	v_mov_b32_e32 v69, v239
.LBB112_860:
	s_or_b32 exec_lo, exec_lo, s0
	v_lshl_add_u32 v214, v244, 4, v1
	s_barrier
	buffer_gl0_inv
	v_mov_b32_e32 v238, 41
	ds_write2_b64 v214, v[62:63], v[64:65] offset1:1
	s_waitcnt lgkmcnt(0)
	s_barrier
	buffer_gl0_inv
	ds_read2_b64 v[230:233], v1 offset0:82 offset1:83
	s_cmp_lt_i32 s8, 43
	s_cbranch_scc1 .LBB112_863
; %bb.861:
	v_add3_u32 v239, v228, 0, 0x2a0
	v_mov_b32_e32 v238, 41
	s_mov_b32 s0, 42
	s_inst_prefetch 0x1
	.p2align	6
.LBB112_862:                            ; =>This Inner Loop Header: Depth=1
	s_waitcnt lgkmcnt(0)
	v_cmp_gt_f64_e32 vcc_lo, 0, v[230:231]
	v_xor_b32_e32 v214, 0x80000000, v231
	ds_read2_b64 v[245:248], v239 offset1:1
	v_xor_b32_e32 v216, 0x80000000, v233
	v_add_nc_u32_e32 v239, 16, v239
	s_waitcnt lgkmcnt(0)
	v_xor_b32_e32 v218, 0x80000000, v248
	v_cndmask_b32_e32 v215, v231, v214, vcc_lo
	v_cmp_gt_f64_e32 vcc_lo, 0, v[232:233]
	v_mov_b32_e32 v214, v230
	v_cndmask_b32_e32 v217, v233, v216, vcc_lo
	v_cmp_gt_f64_e32 vcc_lo, 0, v[245:246]
	v_mov_b32_e32 v216, v232
	v_add_f64 v[214:215], v[214:215], v[216:217]
	v_xor_b32_e32 v216, 0x80000000, v246
	v_cndmask_b32_e32 v217, v246, v216, vcc_lo
	v_cmp_gt_f64_e32 vcc_lo, 0, v[247:248]
	v_mov_b32_e32 v216, v245
	v_cndmask_b32_e32 v219, v248, v218, vcc_lo
	v_mov_b32_e32 v218, v247
	v_add_f64 v[216:217], v[216:217], v[218:219]
	v_cmp_lt_f64_e32 vcc_lo, v[214:215], v[216:217]
	v_cndmask_b32_e32 v231, v231, v246, vcc_lo
	v_cndmask_b32_e32 v230, v230, v245, vcc_lo
	v_cndmask_b32_e32 v233, v233, v248, vcc_lo
	v_cndmask_b32_e32 v232, v232, v247, vcc_lo
	v_cndmask_b32_e64 v238, v238, s0, vcc_lo
	s_add_i32 s0, s0, 1
	s_cmp_lg_u32 s8, s0
	s_cbranch_scc1 .LBB112_862
.LBB112_863:
	s_inst_prefetch 0x2
	s_waitcnt lgkmcnt(0)
	v_cmp_eq_f64_e32 vcc_lo, 0, v[230:231]
	v_cmp_eq_f64_e64 s0, 0, v[232:233]
	s_and_b32 s0, vcc_lo, s0
	s_and_saveexec_b32 s1, s0
	s_xor_b32 s0, exec_lo, s1
; %bb.864:
	v_cmp_ne_u32_e32 vcc_lo, 0, v243
	v_cndmask_b32_e32 v243, 42, v243, vcc_lo
; %bb.865:
	s_andn2_saveexec_b32 s0, s0
	s_cbranch_execz .LBB112_871
; %bb.866:
	v_cmp_ngt_f64_e64 s1, |v[230:231]|, |v[232:233]|
	s_and_saveexec_b32 s7, s1
	s_xor_b32 s1, exec_lo, s7
	s_cbranch_execz .LBB112_868
; %bb.867:
	v_div_scale_f64 v[214:215], null, v[232:233], v[232:233], v[230:231]
	v_div_scale_f64 v[220:221], vcc_lo, v[230:231], v[232:233], v[230:231]
	v_rcp_f64_e32 v[216:217], v[214:215]
	v_fma_f64 v[218:219], -v[214:215], v[216:217], 1.0
	v_fma_f64 v[216:217], v[216:217], v[218:219], v[216:217]
	v_fma_f64 v[218:219], -v[214:215], v[216:217], 1.0
	v_fma_f64 v[216:217], v[216:217], v[218:219], v[216:217]
	v_mul_f64 v[218:219], v[220:221], v[216:217]
	v_fma_f64 v[214:215], -v[214:215], v[218:219], v[220:221]
	v_div_fmas_f64 v[214:215], v[214:215], v[216:217], v[218:219]
	v_div_fixup_f64 v[214:215], v[214:215], v[232:233], v[230:231]
	v_fma_f64 v[216:217], v[230:231], v[214:215], v[232:233]
	v_div_scale_f64 v[218:219], null, v[216:217], v[216:217], 1.0
	v_rcp_f64_e32 v[220:221], v[218:219]
	v_fma_f64 v[222:223], -v[218:219], v[220:221], 1.0
	v_fma_f64 v[220:221], v[220:221], v[222:223], v[220:221]
	v_fma_f64 v[222:223], -v[218:219], v[220:221], 1.0
	v_fma_f64 v[220:221], v[220:221], v[222:223], v[220:221]
	v_div_scale_f64 v[222:223], vcc_lo, 1.0, v[216:217], 1.0
	v_mul_f64 v[224:225], v[222:223], v[220:221]
	v_fma_f64 v[218:219], -v[218:219], v[224:225], v[222:223]
	v_div_fmas_f64 v[218:219], v[218:219], v[220:221], v[224:225]
	v_div_fixup_f64 v[232:233], v[218:219], v[216:217], 1.0
	v_mul_f64 v[230:231], v[214:215], v[232:233]
	v_xor_b32_e32 v233, 0x80000000, v233
.LBB112_868:
	s_andn2_saveexec_b32 s1, s1
	s_cbranch_execz .LBB112_870
; %bb.869:
	v_div_scale_f64 v[214:215], null, v[230:231], v[230:231], v[232:233]
	v_div_scale_f64 v[220:221], vcc_lo, v[232:233], v[230:231], v[232:233]
	v_rcp_f64_e32 v[216:217], v[214:215]
	v_fma_f64 v[218:219], -v[214:215], v[216:217], 1.0
	v_fma_f64 v[216:217], v[216:217], v[218:219], v[216:217]
	v_fma_f64 v[218:219], -v[214:215], v[216:217], 1.0
	v_fma_f64 v[216:217], v[216:217], v[218:219], v[216:217]
	v_mul_f64 v[218:219], v[220:221], v[216:217]
	v_fma_f64 v[214:215], -v[214:215], v[218:219], v[220:221]
	v_div_fmas_f64 v[214:215], v[214:215], v[216:217], v[218:219]
	v_div_fixup_f64 v[214:215], v[214:215], v[230:231], v[232:233]
	v_fma_f64 v[216:217], v[232:233], v[214:215], v[230:231]
	v_div_scale_f64 v[218:219], null, v[216:217], v[216:217], 1.0
	v_rcp_f64_e32 v[220:221], v[218:219]
	v_fma_f64 v[222:223], -v[218:219], v[220:221], 1.0
	v_fma_f64 v[220:221], v[220:221], v[222:223], v[220:221]
	v_fma_f64 v[222:223], -v[218:219], v[220:221], 1.0
	v_fma_f64 v[220:221], v[220:221], v[222:223], v[220:221]
	v_div_scale_f64 v[222:223], vcc_lo, 1.0, v[216:217], 1.0
	v_mul_f64 v[224:225], v[222:223], v[220:221]
	v_fma_f64 v[218:219], -v[218:219], v[224:225], v[222:223]
	v_div_fmas_f64 v[218:219], v[218:219], v[220:221], v[224:225]
	v_div_fixup_f64 v[230:231], v[218:219], v[216:217], 1.0
	v_mul_f64 v[232:233], v[214:215], -v[230:231]
.LBB112_870:
	s_or_b32 exec_lo, exec_lo, s1
.LBB112_871:
	s_or_b32 exec_lo, exec_lo, s0
	s_mov_b32 s0, exec_lo
	v_cmpx_ne_u32_e64 v244, v238
	s_xor_b32 s0, exec_lo, s0
	s_cbranch_execz .LBB112_877
; %bb.872:
	s_mov_b32 s1, exec_lo
	v_cmpx_eq_u32_e32 41, v244
	s_cbranch_execz .LBB112_876
; %bb.873:
	v_cmp_ne_u32_e32 vcc_lo, 41, v238
	s_xor_b32 s7, s16, -1
	s_and_b32 s9, s7, vcc_lo
	s_and_saveexec_b32 s7, s9
	s_cbranch_execz .LBB112_875
; %bb.874:
	s_clause 0x1
	buffer_load_dword v210, off, s[20:23], 0
	buffer_load_dword v211, off, s[20:23], 0 offset:4
	v_ashrrev_i32_e32 v239, 31, v238
	v_lshlrev_b64 v[214:215], 2, v[238:239]
	s_waitcnt vmcnt(1)
	v_add_co_u32 v214, vcc_lo, v210, v214
	s_waitcnt vmcnt(0)
	v_add_co_ci_u32_e64 v215, null, v211, v215, vcc_lo
	s_clause 0x1
	global_load_dword v0, v[214:215], off
	global_load_dword v216, v[210:211], off offset:164
	s_waitcnt vmcnt(1)
	global_store_dword v[210:211], v0, off offset:164
	s_waitcnt vmcnt(0)
	global_store_dword v[214:215], v216, off
.LBB112_875:
	s_or_b32 exec_lo, exec_lo, s7
	v_mov_b32_e32 v244, v238
	v_mov_b32_e32 v0, v238
.LBB112_876:
	s_or_b32 exec_lo, exec_lo, s1
.LBB112_877:
	s_andn2_saveexec_b32 s0, s0
	s_cbranch_execz .LBB112_879
; %bb.878:
	v_mov_b32_e32 v244, 41
	ds_write2_b64 v1, v[58:59], v[60:61] offset0:84 offset1:85
	ds_write2_b64 v1, v[54:55], v[56:57] offset0:86 offset1:87
	;; [unrolled: 1-line block ×15, first 2 shown]
.LBB112_879:
	s_or_b32 exec_lo, exec_lo, s0
	s_mov_b32 s0, exec_lo
	s_waitcnt lgkmcnt(0)
	s_waitcnt_vscnt null, 0x0
	s_barrier
	buffer_gl0_inv
	v_cmpx_lt_i32_e32 41, v244
	s_cbranch_execz .LBB112_881
; %bb.880:
	v_mul_f64 v[214:215], v[230:231], v[64:65]
	v_mul_f64 v[64:65], v[232:233], v[64:65]
	v_fma_f64 v[238:239], v[232:233], v[62:63], v[214:215]
	v_fma_f64 v[62:63], v[230:231], v[62:63], -v[64:65]
	ds_read2_b64 v[230:233], v1 offset0:84 offset1:85
	s_waitcnt lgkmcnt(0)
	v_mul_f64 v[64:65], v[232:233], v[238:239]
	v_mul_f64 v[214:215], v[230:231], v[238:239]
	v_fma_f64 v[64:65], v[230:231], v[62:63], -v[64:65]
	v_fma_f64 v[214:215], v[232:233], v[62:63], v[214:215]
	ds_read2_b64 v[230:233], v1 offset0:86 offset1:87
	v_add_f64 v[58:59], v[58:59], -v[64:65]
	v_add_f64 v[60:61], v[60:61], -v[214:215]
	s_waitcnt lgkmcnt(0)
	v_mul_f64 v[64:65], v[232:233], v[238:239]
	v_mul_f64 v[214:215], v[230:231], v[238:239]
	v_fma_f64 v[64:65], v[230:231], v[62:63], -v[64:65]
	v_fma_f64 v[214:215], v[232:233], v[62:63], v[214:215]
	ds_read2_b64 v[230:233], v1 offset0:88 offset1:89
	v_add_f64 v[54:55], v[54:55], -v[64:65]
	v_add_f64 v[56:57], v[56:57], -v[214:215]
	;; [unrolled: 8-line block ×14, first 2 shown]
	s_waitcnt lgkmcnt(0)
	v_mul_f64 v[64:65], v[232:233], v[238:239]
	v_mul_f64 v[214:215], v[230:231], v[238:239]
	v_fma_f64 v[64:65], v[230:231], v[62:63], -v[64:65]
	v_fma_f64 v[214:215], v[232:233], v[62:63], v[214:215]
	v_add_f64 v[250:251], v[250:251], -v[64:65]
	v_add_f64 v[252:253], v[252:253], -v[214:215]
	v_mov_b32_e32 v64, v238
	v_mov_b32_e32 v65, v239
.LBB112_881:
	s_or_b32 exec_lo, exec_lo, s0
	v_lshl_add_u32 v214, v244, 4, v1
	s_barrier
	buffer_gl0_inv
	v_mov_b32_e32 v238, 42
	ds_write2_b64 v214, v[58:59], v[60:61] offset1:1
	s_waitcnt lgkmcnt(0)
	s_barrier
	buffer_gl0_inv
	ds_read2_b64 v[230:233], v1 offset0:84 offset1:85
	s_cmp_lt_i32 s8, 44
	s_cbranch_scc1 .LBB112_884
; %bb.882:
	v_add3_u32 v239, v228, 0, 0x2b0
	v_mov_b32_e32 v238, 42
	s_mov_b32 s0, 43
	s_inst_prefetch 0x1
	.p2align	6
.LBB112_883:                            ; =>This Inner Loop Header: Depth=1
	s_waitcnt lgkmcnt(0)
	v_cmp_gt_f64_e32 vcc_lo, 0, v[230:231]
	v_xor_b32_e32 v214, 0x80000000, v231
	ds_read2_b64 v[245:248], v239 offset1:1
	v_xor_b32_e32 v216, 0x80000000, v233
	v_add_nc_u32_e32 v239, 16, v239
	s_waitcnt lgkmcnt(0)
	v_xor_b32_e32 v218, 0x80000000, v248
	v_cndmask_b32_e32 v215, v231, v214, vcc_lo
	v_cmp_gt_f64_e32 vcc_lo, 0, v[232:233]
	v_mov_b32_e32 v214, v230
	v_cndmask_b32_e32 v217, v233, v216, vcc_lo
	v_cmp_gt_f64_e32 vcc_lo, 0, v[245:246]
	v_mov_b32_e32 v216, v232
	v_add_f64 v[214:215], v[214:215], v[216:217]
	v_xor_b32_e32 v216, 0x80000000, v246
	v_cndmask_b32_e32 v217, v246, v216, vcc_lo
	v_cmp_gt_f64_e32 vcc_lo, 0, v[247:248]
	v_mov_b32_e32 v216, v245
	v_cndmask_b32_e32 v219, v248, v218, vcc_lo
	v_mov_b32_e32 v218, v247
	v_add_f64 v[216:217], v[216:217], v[218:219]
	v_cmp_lt_f64_e32 vcc_lo, v[214:215], v[216:217]
	v_cndmask_b32_e32 v231, v231, v246, vcc_lo
	v_cndmask_b32_e32 v230, v230, v245, vcc_lo
	;; [unrolled: 1-line block ×4, first 2 shown]
	v_cndmask_b32_e64 v238, v238, s0, vcc_lo
	s_add_i32 s0, s0, 1
	s_cmp_lg_u32 s8, s0
	s_cbranch_scc1 .LBB112_883
.LBB112_884:
	s_inst_prefetch 0x2
	s_waitcnt lgkmcnt(0)
	v_cmp_eq_f64_e32 vcc_lo, 0, v[230:231]
	v_cmp_eq_f64_e64 s0, 0, v[232:233]
	s_and_b32 s0, vcc_lo, s0
	s_and_saveexec_b32 s1, s0
	s_xor_b32 s0, exec_lo, s1
; %bb.885:
	v_cmp_ne_u32_e32 vcc_lo, 0, v243
	v_cndmask_b32_e32 v243, 43, v243, vcc_lo
; %bb.886:
	s_andn2_saveexec_b32 s0, s0
	s_cbranch_execz .LBB112_892
; %bb.887:
	v_cmp_ngt_f64_e64 s1, |v[230:231]|, |v[232:233]|
	s_and_saveexec_b32 s7, s1
	s_xor_b32 s1, exec_lo, s7
	s_cbranch_execz .LBB112_889
; %bb.888:
	v_div_scale_f64 v[214:215], null, v[232:233], v[232:233], v[230:231]
	v_div_scale_f64 v[220:221], vcc_lo, v[230:231], v[232:233], v[230:231]
	v_rcp_f64_e32 v[216:217], v[214:215]
	v_fma_f64 v[218:219], -v[214:215], v[216:217], 1.0
	v_fma_f64 v[216:217], v[216:217], v[218:219], v[216:217]
	v_fma_f64 v[218:219], -v[214:215], v[216:217], 1.0
	v_fma_f64 v[216:217], v[216:217], v[218:219], v[216:217]
	v_mul_f64 v[218:219], v[220:221], v[216:217]
	v_fma_f64 v[214:215], -v[214:215], v[218:219], v[220:221]
	v_div_fmas_f64 v[214:215], v[214:215], v[216:217], v[218:219]
	v_div_fixup_f64 v[214:215], v[214:215], v[232:233], v[230:231]
	v_fma_f64 v[216:217], v[230:231], v[214:215], v[232:233]
	v_div_scale_f64 v[218:219], null, v[216:217], v[216:217], 1.0
	v_rcp_f64_e32 v[220:221], v[218:219]
	v_fma_f64 v[222:223], -v[218:219], v[220:221], 1.0
	v_fma_f64 v[220:221], v[220:221], v[222:223], v[220:221]
	v_fma_f64 v[222:223], -v[218:219], v[220:221], 1.0
	v_fma_f64 v[220:221], v[220:221], v[222:223], v[220:221]
	v_div_scale_f64 v[222:223], vcc_lo, 1.0, v[216:217], 1.0
	v_mul_f64 v[224:225], v[222:223], v[220:221]
	v_fma_f64 v[218:219], -v[218:219], v[224:225], v[222:223]
	v_div_fmas_f64 v[218:219], v[218:219], v[220:221], v[224:225]
	v_div_fixup_f64 v[232:233], v[218:219], v[216:217], 1.0
	v_mul_f64 v[230:231], v[214:215], v[232:233]
	v_xor_b32_e32 v233, 0x80000000, v233
.LBB112_889:
	s_andn2_saveexec_b32 s1, s1
	s_cbranch_execz .LBB112_891
; %bb.890:
	v_div_scale_f64 v[214:215], null, v[230:231], v[230:231], v[232:233]
	v_div_scale_f64 v[220:221], vcc_lo, v[232:233], v[230:231], v[232:233]
	v_rcp_f64_e32 v[216:217], v[214:215]
	v_fma_f64 v[218:219], -v[214:215], v[216:217], 1.0
	v_fma_f64 v[216:217], v[216:217], v[218:219], v[216:217]
	v_fma_f64 v[218:219], -v[214:215], v[216:217], 1.0
	v_fma_f64 v[216:217], v[216:217], v[218:219], v[216:217]
	v_mul_f64 v[218:219], v[220:221], v[216:217]
	v_fma_f64 v[214:215], -v[214:215], v[218:219], v[220:221]
	v_div_fmas_f64 v[214:215], v[214:215], v[216:217], v[218:219]
	v_div_fixup_f64 v[214:215], v[214:215], v[230:231], v[232:233]
	v_fma_f64 v[216:217], v[232:233], v[214:215], v[230:231]
	v_div_scale_f64 v[218:219], null, v[216:217], v[216:217], 1.0
	v_rcp_f64_e32 v[220:221], v[218:219]
	v_fma_f64 v[222:223], -v[218:219], v[220:221], 1.0
	v_fma_f64 v[220:221], v[220:221], v[222:223], v[220:221]
	v_fma_f64 v[222:223], -v[218:219], v[220:221], 1.0
	v_fma_f64 v[220:221], v[220:221], v[222:223], v[220:221]
	v_div_scale_f64 v[222:223], vcc_lo, 1.0, v[216:217], 1.0
	v_mul_f64 v[224:225], v[222:223], v[220:221]
	v_fma_f64 v[218:219], -v[218:219], v[224:225], v[222:223]
	v_div_fmas_f64 v[218:219], v[218:219], v[220:221], v[224:225]
	v_div_fixup_f64 v[230:231], v[218:219], v[216:217], 1.0
	v_mul_f64 v[232:233], v[214:215], -v[230:231]
.LBB112_891:
	s_or_b32 exec_lo, exec_lo, s1
.LBB112_892:
	s_or_b32 exec_lo, exec_lo, s0
	s_mov_b32 s0, exec_lo
	v_cmpx_ne_u32_e64 v244, v238
	s_xor_b32 s0, exec_lo, s0
	s_cbranch_execz .LBB112_898
; %bb.893:
	s_mov_b32 s1, exec_lo
	v_cmpx_eq_u32_e32 42, v244
	s_cbranch_execz .LBB112_897
; %bb.894:
	v_cmp_ne_u32_e32 vcc_lo, 42, v238
	s_xor_b32 s7, s16, -1
	s_and_b32 s9, s7, vcc_lo
	s_and_saveexec_b32 s7, s9
	s_cbranch_execz .LBB112_896
; %bb.895:
	s_clause 0x1
	buffer_load_dword v210, off, s[20:23], 0
	buffer_load_dword v211, off, s[20:23], 0 offset:4
	v_ashrrev_i32_e32 v239, 31, v238
	v_lshlrev_b64 v[214:215], 2, v[238:239]
	s_waitcnt vmcnt(1)
	v_add_co_u32 v214, vcc_lo, v210, v214
	s_waitcnt vmcnt(0)
	v_add_co_ci_u32_e64 v215, null, v211, v215, vcc_lo
	s_clause 0x1
	global_load_dword v0, v[214:215], off
	global_load_dword v216, v[210:211], off offset:168
	s_waitcnt vmcnt(1)
	global_store_dword v[210:211], v0, off offset:168
	s_waitcnt vmcnt(0)
	global_store_dword v[214:215], v216, off
.LBB112_896:
	s_or_b32 exec_lo, exec_lo, s7
	v_mov_b32_e32 v244, v238
	v_mov_b32_e32 v0, v238
.LBB112_897:
	s_or_b32 exec_lo, exec_lo, s1
.LBB112_898:
	s_andn2_saveexec_b32 s0, s0
	s_cbranch_execz .LBB112_900
; %bb.899:
	v_mov_b32_e32 v244, 42
	ds_write2_b64 v1, v[54:55], v[56:57] offset0:86 offset1:87
	ds_write2_b64 v1, v[50:51], v[52:53] offset0:88 offset1:89
	;; [unrolled: 1-line block ×14, first 2 shown]
.LBB112_900:
	s_or_b32 exec_lo, exec_lo, s0
	s_mov_b32 s0, exec_lo
	s_waitcnt lgkmcnt(0)
	s_waitcnt_vscnt null, 0x0
	s_barrier
	buffer_gl0_inv
	v_cmpx_lt_i32_e32 42, v244
	s_cbranch_execz .LBB112_902
; %bb.901:
	v_mul_f64 v[214:215], v[230:231], v[60:61]
	v_mul_f64 v[60:61], v[232:233], v[60:61]
	v_fma_f64 v[238:239], v[232:233], v[58:59], v[214:215]
	v_fma_f64 v[58:59], v[230:231], v[58:59], -v[60:61]
	ds_read2_b64 v[230:233], v1 offset0:86 offset1:87
	s_waitcnt lgkmcnt(0)
	v_mul_f64 v[60:61], v[232:233], v[238:239]
	v_mul_f64 v[214:215], v[230:231], v[238:239]
	v_fma_f64 v[60:61], v[230:231], v[58:59], -v[60:61]
	v_fma_f64 v[214:215], v[232:233], v[58:59], v[214:215]
	ds_read2_b64 v[230:233], v1 offset0:88 offset1:89
	v_add_f64 v[54:55], v[54:55], -v[60:61]
	v_add_f64 v[56:57], v[56:57], -v[214:215]
	s_waitcnt lgkmcnt(0)
	v_mul_f64 v[60:61], v[232:233], v[238:239]
	v_mul_f64 v[214:215], v[230:231], v[238:239]
	v_fma_f64 v[60:61], v[230:231], v[58:59], -v[60:61]
	v_fma_f64 v[214:215], v[232:233], v[58:59], v[214:215]
	ds_read2_b64 v[230:233], v1 offset0:90 offset1:91
	v_add_f64 v[50:51], v[50:51], -v[60:61]
	v_add_f64 v[52:53], v[52:53], -v[214:215]
	;; [unrolled: 8-line block ×13, first 2 shown]
	s_waitcnt lgkmcnt(0)
	v_mul_f64 v[60:61], v[232:233], v[238:239]
	v_mul_f64 v[214:215], v[230:231], v[238:239]
	v_fma_f64 v[60:61], v[230:231], v[58:59], -v[60:61]
	v_fma_f64 v[214:215], v[232:233], v[58:59], v[214:215]
	v_add_f64 v[250:251], v[250:251], -v[60:61]
	v_add_f64 v[252:253], v[252:253], -v[214:215]
	v_mov_b32_e32 v60, v238
	v_mov_b32_e32 v61, v239
.LBB112_902:
	s_or_b32 exec_lo, exec_lo, s0
	v_lshl_add_u32 v214, v244, 4, v1
	s_barrier
	buffer_gl0_inv
	v_mov_b32_e32 v238, 43
	ds_write2_b64 v214, v[54:55], v[56:57] offset1:1
	s_waitcnt lgkmcnt(0)
	s_barrier
	buffer_gl0_inv
	ds_read2_b64 v[230:233], v1 offset0:86 offset1:87
	s_cmp_lt_i32 s8, 45
	s_cbranch_scc1 .LBB112_905
; %bb.903:
	v_add3_u32 v239, v228, 0, 0x2c0
	v_mov_b32_e32 v238, 43
	s_mov_b32 s0, 44
	s_inst_prefetch 0x1
	.p2align	6
.LBB112_904:                            ; =>This Inner Loop Header: Depth=1
	s_waitcnt lgkmcnt(0)
	v_cmp_gt_f64_e32 vcc_lo, 0, v[230:231]
	v_xor_b32_e32 v214, 0x80000000, v231
	ds_read2_b64 v[245:248], v239 offset1:1
	v_xor_b32_e32 v216, 0x80000000, v233
	v_add_nc_u32_e32 v239, 16, v239
	s_waitcnt lgkmcnt(0)
	v_xor_b32_e32 v218, 0x80000000, v248
	v_cndmask_b32_e32 v215, v231, v214, vcc_lo
	v_cmp_gt_f64_e32 vcc_lo, 0, v[232:233]
	v_mov_b32_e32 v214, v230
	v_cndmask_b32_e32 v217, v233, v216, vcc_lo
	v_cmp_gt_f64_e32 vcc_lo, 0, v[245:246]
	v_mov_b32_e32 v216, v232
	v_add_f64 v[214:215], v[214:215], v[216:217]
	v_xor_b32_e32 v216, 0x80000000, v246
	v_cndmask_b32_e32 v217, v246, v216, vcc_lo
	v_cmp_gt_f64_e32 vcc_lo, 0, v[247:248]
	v_mov_b32_e32 v216, v245
	v_cndmask_b32_e32 v219, v248, v218, vcc_lo
	v_mov_b32_e32 v218, v247
	v_add_f64 v[216:217], v[216:217], v[218:219]
	v_cmp_lt_f64_e32 vcc_lo, v[214:215], v[216:217]
	v_cndmask_b32_e32 v231, v231, v246, vcc_lo
	v_cndmask_b32_e32 v230, v230, v245, vcc_lo
	;; [unrolled: 1-line block ×4, first 2 shown]
	v_cndmask_b32_e64 v238, v238, s0, vcc_lo
	s_add_i32 s0, s0, 1
	s_cmp_lg_u32 s8, s0
	s_cbranch_scc1 .LBB112_904
.LBB112_905:
	s_inst_prefetch 0x2
	s_waitcnt lgkmcnt(0)
	v_cmp_eq_f64_e32 vcc_lo, 0, v[230:231]
	v_cmp_eq_f64_e64 s0, 0, v[232:233]
	s_and_b32 s0, vcc_lo, s0
	s_and_saveexec_b32 s1, s0
	s_xor_b32 s0, exec_lo, s1
; %bb.906:
	v_cmp_ne_u32_e32 vcc_lo, 0, v243
	v_cndmask_b32_e32 v243, 44, v243, vcc_lo
; %bb.907:
	s_andn2_saveexec_b32 s0, s0
	s_cbranch_execz .LBB112_913
; %bb.908:
	v_cmp_ngt_f64_e64 s1, |v[230:231]|, |v[232:233]|
	s_and_saveexec_b32 s7, s1
	s_xor_b32 s1, exec_lo, s7
	s_cbranch_execz .LBB112_910
; %bb.909:
	v_div_scale_f64 v[214:215], null, v[232:233], v[232:233], v[230:231]
	v_div_scale_f64 v[220:221], vcc_lo, v[230:231], v[232:233], v[230:231]
	v_rcp_f64_e32 v[216:217], v[214:215]
	v_fma_f64 v[218:219], -v[214:215], v[216:217], 1.0
	v_fma_f64 v[216:217], v[216:217], v[218:219], v[216:217]
	v_fma_f64 v[218:219], -v[214:215], v[216:217], 1.0
	v_fma_f64 v[216:217], v[216:217], v[218:219], v[216:217]
	v_mul_f64 v[218:219], v[220:221], v[216:217]
	v_fma_f64 v[214:215], -v[214:215], v[218:219], v[220:221]
	v_div_fmas_f64 v[214:215], v[214:215], v[216:217], v[218:219]
	v_div_fixup_f64 v[214:215], v[214:215], v[232:233], v[230:231]
	v_fma_f64 v[216:217], v[230:231], v[214:215], v[232:233]
	v_div_scale_f64 v[218:219], null, v[216:217], v[216:217], 1.0
	v_rcp_f64_e32 v[220:221], v[218:219]
	v_fma_f64 v[222:223], -v[218:219], v[220:221], 1.0
	v_fma_f64 v[220:221], v[220:221], v[222:223], v[220:221]
	v_fma_f64 v[222:223], -v[218:219], v[220:221], 1.0
	v_fma_f64 v[220:221], v[220:221], v[222:223], v[220:221]
	v_div_scale_f64 v[222:223], vcc_lo, 1.0, v[216:217], 1.0
	v_mul_f64 v[224:225], v[222:223], v[220:221]
	v_fma_f64 v[218:219], -v[218:219], v[224:225], v[222:223]
	v_div_fmas_f64 v[218:219], v[218:219], v[220:221], v[224:225]
	v_div_fixup_f64 v[232:233], v[218:219], v[216:217], 1.0
	v_mul_f64 v[230:231], v[214:215], v[232:233]
	v_xor_b32_e32 v233, 0x80000000, v233
.LBB112_910:
	s_andn2_saveexec_b32 s1, s1
	s_cbranch_execz .LBB112_912
; %bb.911:
	v_div_scale_f64 v[214:215], null, v[230:231], v[230:231], v[232:233]
	v_div_scale_f64 v[220:221], vcc_lo, v[232:233], v[230:231], v[232:233]
	v_rcp_f64_e32 v[216:217], v[214:215]
	v_fma_f64 v[218:219], -v[214:215], v[216:217], 1.0
	v_fma_f64 v[216:217], v[216:217], v[218:219], v[216:217]
	v_fma_f64 v[218:219], -v[214:215], v[216:217], 1.0
	v_fma_f64 v[216:217], v[216:217], v[218:219], v[216:217]
	v_mul_f64 v[218:219], v[220:221], v[216:217]
	v_fma_f64 v[214:215], -v[214:215], v[218:219], v[220:221]
	v_div_fmas_f64 v[214:215], v[214:215], v[216:217], v[218:219]
	v_div_fixup_f64 v[214:215], v[214:215], v[230:231], v[232:233]
	v_fma_f64 v[216:217], v[232:233], v[214:215], v[230:231]
	v_div_scale_f64 v[218:219], null, v[216:217], v[216:217], 1.0
	v_rcp_f64_e32 v[220:221], v[218:219]
	v_fma_f64 v[222:223], -v[218:219], v[220:221], 1.0
	v_fma_f64 v[220:221], v[220:221], v[222:223], v[220:221]
	v_fma_f64 v[222:223], -v[218:219], v[220:221], 1.0
	v_fma_f64 v[220:221], v[220:221], v[222:223], v[220:221]
	v_div_scale_f64 v[222:223], vcc_lo, 1.0, v[216:217], 1.0
	v_mul_f64 v[224:225], v[222:223], v[220:221]
	v_fma_f64 v[218:219], -v[218:219], v[224:225], v[222:223]
	v_div_fmas_f64 v[218:219], v[218:219], v[220:221], v[224:225]
	v_div_fixup_f64 v[230:231], v[218:219], v[216:217], 1.0
	v_mul_f64 v[232:233], v[214:215], -v[230:231]
.LBB112_912:
	s_or_b32 exec_lo, exec_lo, s1
.LBB112_913:
	s_or_b32 exec_lo, exec_lo, s0
	s_mov_b32 s0, exec_lo
	v_cmpx_ne_u32_e64 v244, v238
	s_xor_b32 s0, exec_lo, s0
	s_cbranch_execz .LBB112_919
; %bb.914:
	s_mov_b32 s1, exec_lo
	v_cmpx_eq_u32_e32 43, v244
	s_cbranch_execz .LBB112_918
; %bb.915:
	v_cmp_ne_u32_e32 vcc_lo, 43, v238
	s_xor_b32 s7, s16, -1
	s_and_b32 s9, s7, vcc_lo
	s_and_saveexec_b32 s7, s9
	s_cbranch_execz .LBB112_917
; %bb.916:
	s_clause 0x1
	buffer_load_dword v210, off, s[20:23], 0
	buffer_load_dword v211, off, s[20:23], 0 offset:4
	v_ashrrev_i32_e32 v239, 31, v238
	v_lshlrev_b64 v[214:215], 2, v[238:239]
	s_waitcnt vmcnt(1)
	v_add_co_u32 v214, vcc_lo, v210, v214
	s_waitcnt vmcnt(0)
	v_add_co_ci_u32_e64 v215, null, v211, v215, vcc_lo
	s_clause 0x1
	global_load_dword v0, v[214:215], off
	global_load_dword v216, v[210:211], off offset:172
	s_waitcnt vmcnt(1)
	global_store_dword v[210:211], v0, off offset:172
	s_waitcnt vmcnt(0)
	global_store_dword v[214:215], v216, off
.LBB112_917:
	s_or_b32 exec_lo, exec_lo, s7
	v_mov_b32_e32 v244, v238
	v_mov_b32_e32 v0, v238
.LBB112_918:
	s_or_b32 exec_lo, exec_lo, s1
.LBB112_919:
	s_andn2_saveexec_b32 s0, s0
	s_cbranch_execz .LBB112_921
; %bb.920:
	v_mov_b32_e32 v244, 43
	ds_write2_b64 v1, v[50:51], v[52:53] offset0:88 offset1:89
	ds_write2_b64 v1, v[46:47], v[48:49] offset0:90 offset1:91
	;; [unrolled: 1-line block ×13, first 2 shown]
.LBB112_921:
	s_or_b32 exec_lo, exec_lo, s0
	s_mov_b32 s0, exec_lo
	s_waitcnt lgkmcnt(0)
	s_waitcnt_vscnt null, 0x0
	s_barrier
	buffer_gl0_inv
	v_cmpx_lt_i32_e32 43, v244
	s_cbranch_execz .LBB112_923
; %bb.922:
	v_mul_f64 v[214:215], v[230:231], v[56:57]
	v_mul_f64 v[56:57], v[232:233], v[56:57]
	v_fma_f64 v[214:215], v[232:233], v[54:55], v[214:215]
	v_fma_f64 v[54:55], v[230:231], v[54:55], -v[56:57]
	ds_read2_b64 v[230:233], v1 offset0:88 offset1:89
	s_waitcnt lgkmcnt(0)
	v_mul_f64 v[56:57], v[232:233], v[214:215]
	v_mul_f64 v[216:217], v[230:231], v[214:215]
	v_fma_f64 v[56:57], v[230:231], v[54:55], -v[56:57]
	v_fma_f64 v[216:217], v[232:233], v[54:55], v[216:217]
	ds_read2_b64 v[230:233], v1 offset0:90 offset1:91
	v_add_f64 v[50:51], v[50:51], -v[56:57]
	v_add_f64 v[52:53], v[52:53], -v[216:217]
	s_waitcnt lgkmcnt(0)
	v_mul_f64 v[56:57], v[232:233], v[214:215]
	v_mul_f64 v[216:217], v[230:231], v[214:215]
	v_fma_f64 v[56:57], v[230:231], v[54:55], -v[56:57]
	v_fma_f64 v[216:217], v[232:233], v[54:55], v[216:217]
	ds_read2_b64 v[230:233], v1 offset0:92 offset1:93
	v_add_f64 v[46:47], v[46:47], -v[56:57]
	v_add_f64 v[48:49], v[48:49], -v[216:217]
	;; [unrolled: 8-line block ×12, first 2 shown]
	s_waitcnt lgkmcnt(0)
	v_mul_f64 v[56:57], v[232:233], v[214:215]
	v_mul_f64 v[216:217], v[230:231], v[214:215]
	v_fma_f64 v[56:57], v[230:231], v[54:55], -v[56:57]
	v_fma_f64 v[216:217], v[232:233], v[54:55], v[216:217]
	v_add_f64 v[250:251], v[250:251], -v[56:57]
	v_add_f64 v[252:253], v[252:253], -v[216:217]
	v_mov_b32_e32 v56, v214
	v_mov_b32_e32 v57, v215
.LBB112_923:
	s_or_b32 exec_lo, exec_lo, s0
	v_lshl_add_u32 v214, v244, 4, v1
	s_barrier
	buffer_gl0_inv
	v_mov_b32_e32 v238, 44
	ds_write2_b64 v214, v[50:51], v[52:53] offset1:1
	s_waitcnt lgkmcnt(0)
	s_barrier
	buffer_gl0_inv
	ds_read2_b64 v[230:233], v1 offset0:88 offset1:89
	s_cmp_lt_i32 s8, 46
	s_cbranch_scc1 .LBB112_926
; %bb.924:
	v_add3_u32 v239, v228, 0, 0x2d0
	v_mov_b32_e32 v238, 44
	s_mov_b32 s0, 45
	s_inst_prefetch 0x1
	.p2align	6
.LBB112_925:                            ; =>This Inner Loop Header: Depth=1
	s_waitcnt lgkmcnt(0)
	v_cmp_gt_f64_e32 vcc_lo, 0, v[230:231]
	v_xor_b32_e32 v214, 0x80000000, v231
	ds_read2_b64 v[245:248], v239 offset1:1
	v_xor_b32_e32 v216, 0x80000000, v233
	v_add_nc_u32_e32 v239, 16, v239
	s_waitcnt lgkmcnt(0)
	v_xor_b32_e32 v218, 0x80000000, v248
	v_cndmask_b32_e32 v215, v231, v214, vcc_lo
	v_cmp_gt_f64_e32 vcc_lo, 0, v[232:233]
	v_mov_b32_e32 v214, v230
	v_cndmask_b32_e32 v217, v233, v216, vcc_lo
	v_cmp_gt_f64_e32 vcc_lo, 0, v[245:246]
	v_mov_b32_e32 v216, v232
	v_add_f64 v[214:215], v[214:215], v[216:217]
	v_xor_b32_e32 v216, 0x80000000, v246
	v_cndmask_b32_e32 v217, v246, v216, vcc_lo
	v_cmp_gt_f64_e32 vcc_lo, 0, v[247:248]
	v_mov_b32_e32 v216, v245
	v_cndmask_b32_e32 v219, v248, v218, vcc_lo
	v_mov_b32_e32 v218, v247
	v_add_f64 v[216:217], v[216:217], v[218:219]
	v_cmp_lt_f64_e32 vcc_lo, v[214:215], v[216:217]
	v_cndmask_b32_e32 v231, v231, v246, vcc_lo
	v_cndmask_b32_e32 v230, v230, v245, vcc_lo
	;; [unrolled: 1-line block ×4, first 2 shown]
	v_cndmask_b32_e64 v238, v238, s0, vcc_lo
	s_add_i32 s0, s0, 1
	s_cmp_lg_u32 s8, s0
	s_cbranch_scc1 .LBB112_925
.LBB112_926:
	s_inst_prefetch 0x2
	s_waitcnt lgkmcnt(0)
	v_cmp_eq_f64_e32 vcc_lo, 0, v[230:231]
	v_cmp_eq_f64_e64 s0, 0, v[232:233]
	s_and_b32 s0, vcc_lo, s0
	s_and_saveexec_b32 s1, s0
	s_xor_b32 s0, exec_lo, s1
; %bb.927:
	v_cmp_ne_u32_e32 vcc_lo, 0, v243
	v_cndmask_b32_e32 v243, 45, v243, vcc_lo
; %bb.928:
	s_andn2_saveexec_b32 s0, s0
	s_cbranch_execz .LBB112_934
; %bb.929:
	v_cmp_ngt_f64_e64 s1, |v[230:231]|, |v[232:233]|
	s_and_saveexec_b32 s7, s1
	s_xor_b32 s1, exec_lo, s7
	s_cbranch_execz .LBB112_931
; %bb.930:
	v_div_scale_f64 v[214:215], null, v[232:233], v[232:233], v[230:231]
	v_div_scale_f64 v[220:221], vcc_lo, v[230:231], v[232:233], v[230:231]
	v_rcp_f64_e32 v[216:217], v[214:215]
	v_fma_f64 v[218:219], -v[214:215], v[216:217], 1.0
	v_fma_f64 v[216:217], v[216:217], v[218:219], v[216:217]
	v_fma_f64 v[218:219], -v[214:215], v[216:217], 1.0
	v_fma_f64 v[216:217], v[216:217], v[218:219], v[216:217]
	v_mul_f64 v[218:219], v[220:221], v[216:217]
	v_fma_f64 v[214:215], -v[214:215], v[218:219], v[220:221]
	v_div_fmas_f64 v[214:215], v[214:215], v[216:217], v[218:219]
	v_div_fixup_f64 v[214:215], v[214:215], v[232:233], v[230:231]
	v_fma_f64 v[216:217], v[230:231], v[214:215], v[232:233]
	v_div_scale_f64 v[218:219], null, v[216:217], v[216:217], 1.0
	v_rcp_f64_e32 v[220:221], v[218:219]
	v_fma_f64 v[222:223], -v[218:219], v[220:221], 1.0
	v_fma_f64 v[220:221], v[220:221], v[222:223], v[220:221]
	v_fma_f64 v[222:223], -v[218:219], v[220:221], 1.0
	v_fma_f64 v[220:221], v[220:221], v[222:223], v[220:221]
	v_div_scale_f64 v[222:223], vcc_lo, 1.0, v[216:217], 1.0
	v_mul_f64 v[224:225], v[222:223], v[220:221]
	v_fma_f64 v[218:219], -v[218:219], v[224:225], v[222:223]
	v_div_fmas_f64 v[218:219], v[218:219], v[220:221], v[224:225]
	v_div_fixup_f64 v[232:233], v[218:219], v[216:217], 1.0
	v_mul_f64 v[230:231], v[214:215], v[232:233]
	v_xor_b32_e32 v233, 0x80000000, v233
.LBB112_931:
	s_andn2_saveexec_b32 s1, s1
	s_cbranch_execz .LBB112_933
; %bb.932:
	v_div_scale_f64 v[214:215], null, v[230:231], v[230:231], v[232:233]
	v_div_scale_f64 v[220:221], vcc_lo, v[232:233], v[230:231], v[232:233]
	v_rcp_f64_e32 v[216:217], v[214:215]
	v_fma_f64 v[218:219], -v[214:215], v[216:217], 1.0
	v_fma_f64 v[216:217], v[216:217], v[218:219], v[216:217]
	v_fma_f64 v[218:219], -v[214:215], v[216:217], 1.0
	v_fma_f64 v[216:217], v[216:217], v[218:219], v[216:217]
	v_mul_f64 v[218:219], v[220:221], v[216:217]
	v_fma_f64 v[214:215], -v[214:215], v[218:219], v[220:221]
	v_div_fmas_f64 v[214:215], v[214:215], v[216:217], v[218:219]
	v_div_fixup_f64 v[214:215], v[214:215], v[230:231], v[232:233]
	v_fma_f64 v[216:217], v[232:233], v[214:215], v[230:231]
	v_div_scale_f64 v[218:219], null, v[216:217], v[216:217], 1.0
	v_rcp_f64_e32 v[220:221], v[218:219]
	v_fma_f64 v[222:223], -v[218:219], v[220:221], 1.0
	v_fma_f64 v[220:221], v[220:221], v[222:223], v[220:221]
	v_fma_f64 v[222:223], -v[218:219], v[220:221], 1.0
	v_fma_f64 v[220:221], v[220:221], v[222:223], v[220:221]
	v_div_scale_f64 v[222:223], vcc_lo, 1.0, v[216:217], 1.0
	v_mul_f64 v[224:225], v[222:223], v[220:221]
	v_fma_f64 v[218:219], -v[218:219], v[224:225], v[222:223]
	v_div_fmas_f64 v[218:219], v[218:219], v[220:221], v[224:225]
	v_div_fixup_f64 v[230:231], v[218:219], v[216:217], 1.0
	v_mul_f64 v[232:233], v[214:215], -v[230:231]
.LBB112_933:
	s_or_b32 exec_lo, exec_lo, s1
.LBB112_934:
	s_or_b32 exec_lo, exec_lo, s0
	s_mov_b32 s0, exec_lo
	v_cmpx_ne_u32_e64 v244, v238
	s_xor_b32 s0, exec_lo, s0
	s_cbranch_execz .LBB112_940
; %bb.935:
	s_mov_b32 s1, exec_lo
	v_cmpx_eq_u32_e32 44, v244
	s_cbranch_execz .LBB112_939
; %bb.936:
	v_cmp_ne_u32_e32 vcc_lo, 44, v238
	s_xor_b32 s7, s16, -1
	s_and_b32 s9, s7, vcc_lo
	s_and_saveexec_b32 s7, s9
	s_cbranch_execz .LBB112_938
; %bb.937:
	s_clause 0x1
	buffer_load_dword v210, off, s[20:23], 0
	buffer_load_dword v211, off, s[20:23], 0 offset:4
	v_ashrrev_i32_e32 v239, 31, v238
	v_lshlrev_b64 v[214:215], 2, v[238:239]
	s_waitcnt vmcnt(1)
	v_add_co_u32 v214, vcc_lo, v210, v214
	s_waitcnt vmcnt(0)
	v_add_co_ci_u32_e64 v215, null, v211, v215, vcc_lo
	s_clause 0x1
	global_load_dword v0, v[214:215], off
	global_load_dword v216, v[210:211], off offset:176
	s_waitcnt vmcnt(1)
	global_store_dword v[210:211], v0, off offset:176
	s_waitcnt vmcnt(0)
	global_store_dword v[214:215], v216, off
.LBB112_938:
	s_or_b32 exec_lo, exec_lo, s7
	v_mov_b32_e32 v244, v238
	v_mov_b32_e32 v0, v238
.LBB112_939:
	s_or_b32 exec_lo, exec_lo, s1
.LBB112_940:
	s_andn2_saveexec_b32 s0, s0
	s_cbranch_execz .LBB112_942
; %bb.941:
	v_mov_b32_e32 v244, 44
	ds_write2_b64 v1, v[46:47], v[48:49] offset0:90 offset1:91
	ds_write2_b64 v1, v[42:43], v[44:45] offset0:92 offset1:93
	;; [unrolled: 1-line block ×12, first 2 shown]
.LBB112_942:
	s_or_b32 exec_lo, exec_lo, s0
	s_mov_b32 s0, exec_lo
	s_waitcnt lgkmcnt(0)
	s_waitcnt_vscnt null, 0x0
	s_barrier
	buffer_gl0_inv
	v_cmpx_lt_i32_e32 44, v244
	s_cbranch_execz .LBB112_944
; %bb.943:
	v_mul_f64 v[214:215], v[230:231], v[52:53]
	v_mul_f64 v[52:53], v[232:233], v[52:53]
	v_fma_f64 v[214:215], v[232:233], v[50:51], v[214:215]
	v_fma_f64 v[50:51], v[230:231], v[50:51], -v[52:53]
	ds_read2_b64 v[230:233], v1 offset0:90 offset1:91
	s_waitcnt lgkmcnt(0)
	v_mul_f64 v[52:53], v[232:233], v[214:215]
	v_mul_f64 v[216:217], v[230:231], v[214:215]
	v_fma_f64 v[52:53], v[230:231], v[50:51], -v[52:53]
	v_fma_f64 v[216:217], v[232:233], v[50:51], v[216:217]
	ds_read2_b64 v[230:233], v1 offset0:92 offset1:93
	v_add_f64 v[46:47], v[46:47], -v[52:53]
	v_add_f64 v[48:49], v[48:49], -v[216:217]
	s_waitcnt lgkmcnt(0)
	v_mul_f64 v[52:53], v[232:233], v[214:215]
	v_mul_f64 v[216:217], v[230:231], v[214:215]
	v_fma_f64 v[52:53], v[230:231], v[50:51], -v[52:53]
	v_fma_f64 v[216:217], v[232:233], v[50:51], v[216:217]
	ds_read2_b64 v[230:233], v1 offset0:94 offset1:95
	v_add_f64 v[42:43], v[42:43], -v[52:53]
	v_add_f64 v[44:45], v[44:45], -v[216:217]
	;; [unrolled: 8-line block ×11, first 2 shown]
	s_waitcnt lgkmcnt(0)
	v_mul_f64 v[52:53], v[232:233], v[214:215]
	v_mul_f64 v[216:217], v[230:231], v[214:215]
	v_fma_f64 v[52:53], v[230:231], v[50:51], -v[52:53]
	v_fma_f64 v[216:217], v[232:233], v[50:51], v[216:217]
	v_add_f64 v[250:251], v[250:251], -v[52:53]
	v_add_f64 v[252:253], v[252:253], -v[216:217]
	v_mov_b32_e32 v52, v214
	v_mov_b32_e32 v53, v215
.LBB112_944:
	s_or_b32 exec_lo, exec_lo, s0
	v_lshl_add_u32 v214, v244, 4, v1
	s_barrier
	buffer_gl0_inv
	v_mov_b32_e32 v238, 45
	ds_write2_b64 v214, v[46:47], v[48:49] offset1:1
	s_waitcnt lgkmcnt(0)
	s_barrier
	buffer_gl0_inv
	ds_read2_b64 v[230:233], v1 offset0:90 offset1:91
	s_cmp_lt_i32 s8, 47
	s_cbranch_scc1 .LBB112_947
; %bb.945:
	v_add3_u32 v239, v228, 0, 0x2e0
	v_mov_b32_e32 v238, 45
	s_mov_b32 s0, 46
	s_inst_prefetch 0x1
	.p2align	6
.LBB112_946:                            ; =>This Inner Loop Header: Depth=1
	s_waitcnt lgkmcnt(0)
	v_cmp_gt_f64_e32 vcc_lo, 0, v[230:231]
	v_xor_b32_e32 v214, 0x80000000, v231
	ds_read2_b64 v[245:248], v239 offset1:1
	v_xor_b32_e32 v216, 0x80000000, v233
	v_add_nc_u32_e32 v239, 16, v239
	s_waitcnt lgkmcnt(0)
	v_xor_b32_e32 v218, 0x80000000, v248
	v_cndmask_b32_e32 v215, v231, v214, vcc_lo
	v_cmp_gt_f64_e32 vcc_lo, 0, v[232:233]
	v_mov_b32_e32 v214, v230
	v_cndmask_b32_e32 v217, v233, v216, vcc_lo
	v_cmp_gt_f64_e32 vcc_lo, 0, v[245:246]
	v_mov_b32_e32 v216, v232
	v_add_f64 v[214:215], v[214:215], v[216:217]
	v_xor_b32_e32 v216, 0x80000000, v246
	v_cndmask_b32_e32 v217, v246, v216, vcc_lo
	v_cmp_gt_f64_e32 vcc_lo, 0, v[247:248]
	v_mov_b32_e32 v216, v245
	v_cndmask_b32_e32 v219, v248, v218, vcc_lo
	v_mov_b32_e32 v218, v247
	v_add_f64 v[216:217], v[216:217], v[218:219]
	v_cmp_lt_f64_e32 vcc_lo, v[214:215], v[216:217]
	v_cndmask_b32_e32 v231, v231, v246, vcc_lo
	v_cndmask_b32_e32 v230, v230, v245, vcc_lo
	v_cndmask_b32_e32 v233, v233, v248, vcc_lo
	v_cndmask_b32_e32 v232, v232, v247, vcc_lo
	v_cndmask_b32_e64 v238, v238, s0, vcc_lo
	s_add_i32 s0, s0, 1
	s_cmp_lg_u32 s8, s0
	s_cbranch_scc1 .LBB112_946
.LBB112_947:
	s_inst_prefetch 0x2
	s_waitcnt lgkmcnt(0)
	v_cmp_eq_f64_e32 vcc_lo, 0, v[230:231]
	v_cmp_eq_f64_e64 s0, 0, v[232:233]
	s_and_b32 s0, vcc_lo, s0
	s_and_saveexec_b32 s1, s0
	s_xor_b32 s0, exec_lo, s1
; %bb.948:
	v_cmp_ne_u32_e32 vcc_lo, 0, v243
	v_cndmask_b32_e32 v243, 46, v243, vcc_lo
; %bb.949:
	s_andn2_saveexec_b32 s0, s0
	s_cbranch_execz .LBB112_955
; %bb.950:
	v_cmp_ngt_f64_e64 s1, |v[230:231]|, |v[232:233]|
	s_and_saveexec_b32 s7, s1
	s_xor_b32 s1, exec_lo, s7
	s_cbranch_execz .LBB112_952
; %bb.951:
	v_div_scale_f64 v[214:215], null, v[232:233], v[232:233], v[230:231]
	v_div_scale_f64 v[220:221], vcc_lo, v[230:231], v[232:233], v[230:231]
	v_rcp_f64_e32 v[216:217], v[214:215]
	v_fma_f64 v[218:219], -v[214:215], v[216:217], 1.0
	v_fma_f64 v[216:217], v[216:217], v[218:219], v[216:217]
	v_fma_f64 v[218:219], -v[214:215], v[216:217], 1.0
	v_fma_f64 v[216:217], v[216:217], v[218:219], v[216:217]
	v_mul_f64 v[218:219], v[220:221], v[216:217]
	v_fma_f64 v[214:215], -v[214:215], v[218:219], v[220:221]
	v_div_fmas_f64 v[214:215], v[214:215], v[216:217], v[218:219]
	v_div_fixup_f64 v[214:215], v[214:215], v[232:233], v[230:231]
	v_fma_f64 v[216:217], v[230:231], v[214:215], v[232:233]
	v_div_scale_f64 v[218:219], null, v[216:217], v[216:217], 1.0
	v_rcp_f64_e32 v[220:221], v[218:219]
	v_fma_f64 v[222:223], -v[218:219], v[220:221], 1.0
	v_fma_f64 v[220:221], v[220:221], v[222:223], v[220:221]
	v_fma_f64 v[222:223], -v[218:219], v[220:221], 1.0
	v_fma_f64 v[220:221], v[220:221], v[222:223], v[220:221]
	v_div_scale_f64 v[222:223], vcc_lo, 1.0, v[216:217], 1.0
	v_mul_f64 v[224:225], v[222:223], v[220:221]
	v_fma_f64 v[218:219], -v[218:219], v[224:225], v[222:223]
	v_div_fmas_f64 v[218:219], v[218:219], v[220:221], v[224:225]
	v_div_fixup_f64 v[232:233], v[218:219], v[216:217], 1.0
	v_mul_f64 v[230:231], v[214:215], v[232:233]
	v_xor_b32_e32 v233, 0x80000000, v233
.LBB112_952:
	s_andn2_saveexec_b32 s1, s1
	s_cbranch_execz .LBB112_954
; %bb.953:
	v_div_scale_f64 v[214:215], null, v[230:231], v[230:231], v[232:233]
	v_div_scale_f64 v[220:221], vcc_lo, v[232:233], v[230:231], v[232:233]
	v_rcp_f64_e32 v[216:217], v[214:215]
	v_fma_f64 v[218:219], -v[214:215], v[216:217], 1.0
	v_fma_f64 v[216:217], v[216:217], v[218:219], v[216:217]
	v_fma_f64 v[218:219], -v[214:215], v[216:217], 1.0
	v_fma_f64 v[216:217], v[216:217], v[218:219], v[216:217]
	v_mul_f64 v[218:219], v[220:221], v[216:217]
	v_fma_f64 v[214:215], -v[214:215], v[218:219], v[220:221]
	v_div_fmas_f64 v[214:215], v[214:215], v[216:217], v[218:219]
	v_div_fixup_f64 v[214:215], v[214:215], v[230:231], v[232:233]
	v_fma_f64 v[216:217], v[232:233], v[214:215], v[230:231]
	v_div_scale_f64 v[218:219], null, v[216:217], v[216:217], 1.0
	v_rcp_f64_e32 v[220:221], v[218:219]
	v_fma_f64 v[222:223], -v[218:219], v[220:221], 1.0
	v_fma_f64 v[220:221], v[220:221], v[222:223], v[220:221]
	v_fma_f64 v[222:223], -v[218:219], v[220:221], 1.0
	v_fma_f64 v[220:221], v[220:221], v[222:223], v[220:221]
	v_div_scale_f64 v[222:223], vcc_lo, 1.0, v[216:217], 1.0
	v_mul_f64 v[224:225], v[222:223], v[220:221]
	v_fma_f64 v[218:219], -v[218:219], v[224:225], v[222:223]
	v_div_fmas_f64 v[218:219], v[218:219], v[220:221], v[224:225]
	v_div_fixup_f64 v[230:231], v[218:219], v[216:217], 1.0
	v_mul_f64 v[232:233], v[214:215], -v[230:231]
.LBB112_954:
	s_or_b32 exec_lo, exec_lo, s1
.LBB112_955:
	s_or_b32 exec_lo, exec_lo, s0
	s_mov_b32 s0, exec_lo
	v_cmpx_ne_u32_e64 v244, v238
	s_xor_b32 s0, exec_lo, s0
	s_cbranch_execz .LBB112_961
; %bb.956:
	s_mov_b32 s1, exec_lo
	v_cmpx_eq_u32_e32 45, v244
	s_cbranch_execz .LBB112_960
; %bb.957:
	v_cmp_ne_u32_e32 vcc_lo, 45, v238
	s_xor_b32 s7, s16, -1
	s_and_b32 s9, s7, vcc_lo
	s_and_saveexec_b32 s7, s9
	s_cbranch_execz .LBB112_959
; %bb.958:
	s_clause 0x1
	buffer_load_dword v210, off, s[20:23], 0
	buffer_load_dword v211, off, s[20:23], 0 offset:4
	v_ashrrev_i32_e32 v239, 31, v238
	v_lshlrev_b64 v[214:215], 2, v[238:239]
	s_waitcnt vmcnt(1)
	v_add_co_u32 v214, vcc_lo, v210, v214
	s_waitcnt vmcnt(0)
	v_add_co_ci_u32_e64 v215, null, v211, v215, vcc_lo
	s_clause 0x1
	global_load_dword v0, v[214:215], off
	global_load_dword v216, v[210:211], off offset:180
	s_waitcnt vmcnt(1)
	global_store_dword v[210:211], v0, off offset:180
	s_waitcnt vmcnt(0)
	global_store_dword v[214:215], v216, off
.LBB112_959:
	s_or_b32 exec_lo, exec_lo, s7
	v_mov_b32_e32 v244, v238
	v_mov_b32_e32 v0, v238
.LBB112_960:
	s_or_b32 exec_lo, exec_lo, s1
.LBB112_961:
	s_andn2_saveexec_b32 s0, s0
	s_cbranch_execz .LBB112_963
; %bb.962:
	v_mov_b32_e32 v244, 45
	ds_write2_b64 v1, v[42:43], v[44:45] offset0:92 offset1:93
	ds_write2_b64 v1, v[38:39], v[40:41] offset0:94 offset1:95
	;; [unrolled: 1-line block ×11, first 2 shown]
.LBB112_963:
	s_or_b32 exec_lo, exec_lo, s0
	s_mov_b32 s0, exec_lo
	s_waitcnt lgkmcnt(0)
	s_waitcnt_vscnt null, 0x0
	s_barrier
	buffer_gl0_inv
	v_cmpx_lt_i32_e32 45, v244
	s_cbranch_execz .LBB112_965
; %bb.964:
	v_mul_f64 v[214:215], v[230:231], v[48:49]
	v_mul_f64 v[48:49], v[232:233], v[48:49]
	v_fma_f64 v[214:215], v[232:233], v[46:47], v[214:215]
	v_fma_f64 v[46:47], v[230:231], v[46:47], -v[48:49]
	ds_read2_b64 v[230:233], v1 offset0:92 offset1:93
	s_waitcnt lgkmcnt(0)
	v_mul_f64 v[48:49], v[232:233], v[214:215]
	v_mul_f64 v[216:217], v[230:231], v[214:215]
	v_fma_f64 v[48:49], v[230:231], v[46:47], -v[48:49]
	v_fma_f64 v[216:217], v[232:233], v[46:47], v[216:217]
	ds_read2_b64 v[230:233], v1 offset0:94 offset1:95
	v_add_f64 v[42:43], v[42:43], -v[48:49]
	v_add_f64 v[44:45], v[44:45], -v[216:217]
	s_waitcnt lgkmcnt(0)
	v_mul_f64 v[48:49], v[232:233], v[214:215]
	v_mul_f64 v[216:217], v[230:231], v[214:215]
	v_fma_f64 v[48:49], v[230:231], v[46:47], -v[48:49]
	v_fma_f64 v[216:217], v[232:233], v[46:47], v[216:217]
	ds_read2_b64 v[230:233], v1 offset0:96 offset1:97
	v_add_f64 v[38:39], v[38:39], -v[48:49]
	v_add_f64 v[40:41], v[40:41], -v[216:217]
	;; [unrolled: 8-line block ×10, first 2 shown]
	s_waitcnt lgkmcnt(0)
	v_mul_f64 v[48:49], v[232:233], v[214:215]
	v_mul_f64 v[216:217], v[230:231], v[214:215]
	v_fma_f64 v[48:49], v[230:231], v[46:47], -v[48:49]
	v_fma_f64 v[216:217], v[232:233], v[46:47], v[216:217]
	v_add_f64 v[250:251], v[250:251], -v[48:49]
	v_add_f64 v[252:253], v[252:253], -v[216:217]
	v_mov_b32_e32 v48, v214
	v_mov_b32_e32 v49, v215
.LBB112_965:
	s_or_b32 exec_lo, exec_lo, s0
	v_lshl_add_u32 v214, v244, 4, v1
	s_barrier
	buffer_gl0_inv
	v_mov_b32_e32 v238, 46
	ds_write2_b64 v214, v[42:43], v[44:45] offset1:1
	s_waitcnt lgkmcnt(0)
	s_barrier
	buffer_gl0_inv
	ds_read2_b64 v[230:233], v1 offset0:92 offset1:93
	s_cmp_lt_i32 s8, 48
	s_cbranch_scc1 .LBB112_968
; %bb.966:
	v_add3_u32 v239, v228, 0, 0x2f0
	v_mov_b32_e32 v238, 46
	s_mov_b32 s0, 47
	s_inst_prefetch 0x1
	.p2align	6
.LBB112_967:                            ; =>This Inner Loop Header: Depth=1
	s_waitcnt lgkmcnt(0)
	v_cmp_gt_f64_e32 vcc_lo, 0, v[230:231]
	v_xor_b32_e32 v214, 0x80000000, v231
	ds_read2_b64 v[245:248], v239 offset1:1
	v_xor_b32_e32 v216, 0x80000000, v233
	v_add_nc_u32_e32 v239, 16, v239
	s_waitcnt lgkmcnt(0)
	v_xor_b32_e32 v218, 0x80000000, v248
	v_cndmask_b32_e32 v215, v231, v214, vcc_lo
	v_cmp_gt_f64_e32 vcc_lo, 0, v[232:233]
	v_mov_b32_e32 v214, v230
	v_cndmask_b32_e32 v217, v233, v216, vcc_lo
	v_cmp_gt_f64_e32 vcc_lo, 0, v[245:246]
	v_mov_b32_e32 v216, v232
	v_add_f64 v[214:215], v[214:215], v[216:217]
	v_xor_b32_e32 v216, 0x80000000, v246
	v_cndmask_b32_e32 v217, v246, v216, vcc_lo
	v_cmp_gt_f64_e32 vcc_lo, 0, v[247:248]
	v_mov_b32_e32 v216, v245
	v_cndmask_b32_e32 v219, v248, v218, vcc_lo
	v_mov_b32_e32 v218, v247
	v_add_f64 v[216:217], v[216:217], v[218:219]
	v_cmp_lt_f64_e32 vcc_lo, v[214:215], v[216:217]
	v_cndmask_b32_e32 v231, v231, v246, vcc_lo
	v_cndmask_b32_e32 v230, v230, v245, vcc_lo
	;; [unrolled: 1-line block ×4, first 2 shown]
	v_cndmask_b32_e64 v238, v238, s0, vcc_lo
	s_add_i32 s0, s0, 1
	s_cmp_lg_u32 s8, s0
	s_cbranch_scc1 .LBB112_967
.LBB112_968:
	s_inst_prefetch 0x2
	s_waitcnt lgkmcnt(0)
	v_cmp_eq_f64_e32 vcc_lo, 0, v[230:231]
	v_cmp_eq_f64_e64 s0, 0, v[232:233]
	s_and_b32 s0, vcc_lo, s0
	s_and_saveexec_b32 s1, s0
	s_xor_b32 s0, exec_lo, s1
; %bb.969:
	v_cmp_ne_u32_e32 vcc_lo, 0, v243
	v_cndmask_b32_e32 v243, 47, v243, vcc_lo
; %bb.970:
	s_andn2_saveexec_b32 s0, s0
	s_cbranch_execz .LBB112_976
; %bb.971:
	v_cmp_ngt_f64_e64 s1, |v[230:231]|, |v[232:233]|
	s_and_saveexec_b32 s7, s1
	s_xor_b32 s1, exec_lo, s7
	s_cbranch_execz .LBB112_973
; %bb.972:
	v_div_scale_f64 v[214:215], null, v[232:233], v[232:233], v[230:231]
	v_div_scale_f64 v[220:221], vcc_lo, v[230:231], v[232:233], v[230:231]
	v_rcp_f64_e32 v[216:217], v[214:215]
	v_fma_f64 v[218:219], -v[214:215], v[216:217], 1.0
	v_fma_f64 v[216:217], v[216:217], v[218:219], v[216:217]
	v_fma_f64 v[218:219], -v[214:215], v[216:217], 1.0
	v_fma_f64 v[216:217], v[216:217], v[218:219], v[216:217]
	v_mul_f64 v[218:219], v[220:221], v[216:217]
	v_fma_f64 v[214:215], -v[214:215], v[218:219], v[220:221]
	v_div_fmas_f64 v[214:215], v[214:215], v[216:217], v[218:219]
	v_div_fixup_f64 v[214:215], v[214:215], v[232:233], v[230:231]
	v_fma_f64 v[216:217], v[230:231], v[214:215], v[232:233]
	v_div_scale_f64 v[218:219], null, v[216:217], v[216:217], 1.0
	v_rcp_f64_e32 v[220:221], v[218:219]
	v_fma_f64 v[222:223], -v[218:219], v[220:221], 1.0
	v_fma_f64 v[220:221], v[220:221], v[222:223], v[220:221]
	v_fma_f64 v[222:223], -v[218:219], v[220:221], 1.0
	v_fma_f64 v[220:221], v[220:221], v[222:223], v[220:221]
	v_div_scale_f64 v[222:223], vcc_lo, 1.0, v[216:217], 1.0
	v_mul_f64 v[224:225], v[222:223], v[220:221]
	v_fma_f64 v[218:219], -v[218:219], v[224:225], v[222:223]
	v_div_fmas_f64 v[218:219], v[218:219], v[220:221], v[224:225]
	v_div_fixup_f64 v[232:233], v[218:219], v[216:217], 1.0
	v_mul_f64 v[230:231], v[214:215], v[232:233]
	v_xor_b32_e32 v233, 0x80000000, v233
.LBB112_973:
	s_andn2_saveexec_b32 s1, s1
	s_cbranch_execz .LBB112_975
; %bb.974:
	v_div_scale_f64 v[214:215], null, v[230:231], v[230:231], v[232:233]
	v_div_scale_f64 v[220:221], vcc_lo, v[232:233], v[230:231], v[232:233]
	v_rcp_f64_e32 v[216:217], v[214:215]
	v_fma_f64 v[218:219], -v[214:215], v[216:217], 1.0
	v_fma_f64 v[216:217], v[216:217], v[218:219], v[216:217]
	v_fma_f64 v[218:219], -v[214:215], v[216:217], 1.0
	v_fma_f64 v[216:217], v[216:217], v[218:219], v[216:217]
	v_mul_f64 v[218:219], v[220:221], v[216:217]
	v_fma_f64 v[214:215], -v[214:215], v[218:219], v[220:221]
	v_div_fmas_f64 v[214:215], v[214:215], v[216:217], v[218:219]
	v_div_fixup_f64 v[214:215], v[214:215], v[230:231], v[232:233]
	v_fma_f64 v[216:217], v[232:233], v[214:215], v[230:231]
	v_div_scale_f64 v[218:219], null, v[216:217], v[216:217], 1.0
	v_rcp_f64_e32 v[220:221], v[218:219]
	v_fma_f64 v[222:223], -v[218:219], v[220:221], 1.0
	v_fma_f64 v[220:221], v[220:221], v[222:223], v[220:221]
	v_fma_f64 v[222:223], -v[218:219], v[220:221], 1.0
	v_fma_f64 v[220:221], v[220:221], v[222:223], v[220:221]
	v_div_scale_f64 v[222:223], vcc_lo, 1.0, v[216:217], 1.0
	v_mul_f64 v[224:225], v[222:223], v[220:221]
	v_fma_f64 v[218:219], -v[218:219], v[224:225], v[222:223]
	v_div_fmas_f64 v[218:219], v[218:219], v[220:221], v[224:225]
	v_div_fixup_f64 v[230:231], v[218:219], v[216:217], 1.0
	v_mul_f64 v[232:233], v[214:215], -v[230:231]
.LBB112_975:
	s_or_b32 exec_lo, exec_lo, s1
.LBB112_976:
	s_or_b32 exec_lo, exec_lo, s0
	s_mov_b32 s0, exec_lo
	v_cmpx_ne_u32_e64 v244, v238
	s_xor_b32 s0, exec_lo, s0
	s_cbranch_execz .LBB112_982
; %bb.977:
	s_mov_b32 s1, exec_lo
	v_cmpx_eq_u32_e32 46, v244
	s_cbranch_execz .LBB112_981
; %bb.978:
	v_cmp_ne_u32_e32 vcc_lo, 46, v238
	s_xor_b32 s7, s16, -1
	s_and_b32 s9, s7, vcc_lo
	s_and_saveexec_b32 s7, s9
	s_cbranch_execz .LBB112_980
; %bb.979:
	s_clause 0x1
	buffer_load_dword v210, off, s[20:23], 0
	buffer_load_dword v211, off, s[20:23], 0 offset:4
	v_ashrrev_i32_e32 v239, 31, v238
	v_lshlrev_b64 v[214:215], 2, v[238:239]
	s_waitcnt vmcnt(1)
	v_add_co_u32 v214, vcc_lo, v210, v214
	s_waitcnt vmcnt(0)
	v_add_co_ci_u32_e64 v215, null, v211, v215, vcc_lo
	s_clause 0x1
	global_load_dword v0, v[214:215], off
	global_load_dword v216, v[210:211], off offset:184
	s_waitcnt vmcnt(1)
	global_store_dword v[210:211], v0, off offset:184
	s_waitcnt vmcnt(0)
	global_store_dword v[214:215], v216, off
.LBB112_980:
	s_or_b32 exec_lo, exec_lo, s7
	v_mov_b32_e32 v244, v238
	v_mov_b32_e32 v0, v238
.LBB112_981:
	s_or_b32 exec_lo, exec_lo, s1
.LBB112_982:
	s_andn2_saveexec_b32 s0, s0
	s_cbranch_execz .LBB112_984
; %bb.983:
	v_mov_b32_e32 v244, 46
	ds_write2_b64 v1, v[38:39], v[40:41] offset0:94 offset1:95
	ds_write2_b64 v1, v[34:35], v[36:37] offset0:96 offset1:97
	;; [unrolled: 1-line block ×10, first 2 shown]
.LBB112_984:
	s_or_b32 exec_lo, exec_lo, s0
	s_mov_b32 s0, exec_lo
	s_waitcnt lgkmcnt(0)
	s_waitcnt_vscnt null, 0x0
	s_barrier
	buffer_gl0_inv
	v_cmpx_lt_i32_e32 46, v244
	s_cbranch_execz .LBB112_986
; %bb.985:
	v_mul_f64 v[214:215], v[230:231], v[44:45]
	v_mul_f64 v[44:45], v[232:233], v[44:45]
	v_fma_f64 v[214:215], v[232:233], v[42:43], v[214:215]
	v_fma_f64 v[42:43], v[230:231], v[42:43], -v[44:45]
	ds_read2_b64 v[230:233], v1 offset0:94 offset1:95
	s_waitcnt lgkmcnt(0)
	v_mul_f64 v[44:45], v[232:233], v[214:215]
	v_mul_f64 v[216:217], v[230:231], v[214:215]
	v_fma_f64 v[44:45], v[230:231], v[42:43], -v[44:45]
	v_fma_f64 v[216:217], v[232:233], v[42:43], v[216:217]
	ds_read2_b64 v[230:233], v1 offset0:96 offset1:97
	v_add_f64 v[38:39], v[38:39], -v[44:45]
	v_add_f64 v[40:41], v[40:41], -v[216:217]
	s_waitcnt lgkmcnt(0)
	v_mul_f64 v[44:45], v[232:233], v[214:215]
	v_mul_f64 v[216:217], v[230:231], v[214:215]
	v_fma_f64 v[44:45], v[230:231], v[42:43], -v[44:45]
	v_fma_f64 v[216:217], v[232:233], v[42:43], v[216:217]
	ds_read2_b64 v[230:233], v1 offset0:98 offset1:99
	v_add_f64 v[34:35], v[34:35], -v[44:45]
	v_add_f64 v[36:37], v[36:37], -v[216:217]
	;; [unrolled: 8-line block ×9, first 2 shown]
	s_waitcnt lgkmcnt(0)
	v_mul_f64 v[44:45], v[232:233], v[214:215]
	v_mul_f64 v[216:217], v[230:231], v[214:215]
	v_fma_f64 v[44:45], v[230:231], v[42:43], -v[44:45]
	v_fma_f64 v[216:217], v[232:233], v[42:43], v[216:217]
	v_add_f64 v[250:251], v[250:251], -v[44:45]
	v_add_f64 v[252:253], v[252:253], -v[216:217]
	v_mov_b32_e32 v44, v214
	v_mov_b32_e32 v45, v215
.LBB112_986:
	s_or_b32 exec_lo, exec_lo, s0
	v_lshl_add_u32 v214, v244, 4, v1
	s_barrier
	buffer_gl0_inv
	v_mov_b32_e32 v238, 47
	ds_write2_b64 v214, v[38:39], v[40:41] offset1:1
	s_waitcnt lgkmcnt(0)
	s_barrier
	buffer_gl0_inv
	ds_read2_b64 v[230:233], v1 offset0:94 offset1:95
	s_cmp_lt_i32 s8, 49
	s_cbranch_scc1 .LBB112_989
; %bb.987:
	v_add3_u32 v239, v228, 0, 0x300
	v_mov_b32_e32 v238, 47
	s_mov_b32 s0, 48
	s_inst_prefetch 0x1
	.p2align	6
.LBB112_988:                            ; =>This Inner Loop Header: Depth=1
	s_waitcnt lgkmcnt(0)
	v_cmp_gt_f64_e32 vcc_lo, 0, v[230:231]
	v_xor_b32_e32 v214, 0x80000000, v231
	ds_read2_b64 v[245:248], v239 offset1:1
	v_xor_b32_e32 v216, 0x80000000, v233
	v_add_nc_u32_e32 v239, 16, v239
	s_waitcnt lgkmcnt(0)
	v_xor_b32_e32 v218, 0x80000000, v248
	v_cndmask_b32_e32 v215, v231, v214, vcc_lo
	v_cmp_gt_f64_e32 vcc_lo, 0, v[232:233]
	v_mov_b32_e32 v214, v230
	v_cndmask_b32_e32 v217, v233, v216, vcc_lo
	v_cmp_gt_f64_e32 vcc_lo, 0, v[245:246]
	v_mov_b32_e32 v216, v232
	v_add_f64 v[214:215], v[214:215], v[216:217]
	v_xor_b32_e32 v216, 0x80000000, v246
	v_cndmask_b32_e32 v217, v246, v216, vcc_lo
	v_cmp_gt_f64_e32 vcc_lo, 0, v[247:248]
	v_mov_b32_e32 v216, v245
	v_cndmask_b32_e32 v219, v248, v218, vcc_lo
	v_mov_b32_e32 v218, v247
	v_add_f64 v[216:217], v[216:217], v[218:219]
	v_cmp_lt_f64_e32 vcc_lo, v[214:215], v[216:217]
	v_cndmask_b32_e32 v231, v231, v246, vcc_lo
	v_cndmask_b32_e32 v230, v230, v245, vcc_lo
	;; [unrolled: 1-line block ×4, first 2 shown]
	v_cndmask_b32_e64 v238, v238, s0, vcc_lo
	s_add_i32 s0, s0, 1
	s_cmp_lg_u32 s8, s0
	s_cbranch_scc1 .LBB112_988
.LBB112_989:
	s_inst_prefetch 0x2
	s_waitcnt lgkmcnt(0)
	v_cmp_eq_f64_e32 vcc_lo, 0, v[230:231]
	v_cmp_eq_f64_e64 s0, 0, v[232:233]
	s_and_b32 s0, vcc_lo, s0
	s_and_saveexec_b32 s1, s0
	s_xor_b32 s0, exec_lo, s1
; %bb.990:
	v_cmp_ne_u32_e32 vcc_lo, 0, v243
	v_cndmask_b32_e32 v243, 48, v243, vcc_lo
; %bb.991:
	s_andn2_saveexec_b32 s0, s0
	s_cbranch_execz .LBB112_997
; %bb.992:
	v_cmp_ngt_f64_e64 s1, |v[230:231]|, |v[232:233]|
	s_and_saveexec_b32 s7, s1
	s_xor_b32 s1, exec_lo, s7
	s_cbranch_execz .LBB112_994
; %bb.993:
	v_div_scale_f64 v[214:215], null, v[232:233], v[232:233], v[230:231]
	v_div_scale_f64 v[220:221], vcc_lo, v[230:231], v[232:233], v[230:231]
	v_rcp_f64_e32 v[216:217], v[214:215]
	v_fma_f64 v[218:219], -v[214:215], v[216:217], 1.0
	v_fma_f64 v[216:217], v[216:217], v[218:219], v[216:217]
	v_fma_f64 v[218:219], -v[214:215], v[216:217], 1.0
	v_fma_f64 v[216:217], v[216:217], v[218:219], v[216:217]
	v_mul_f64 v[218:219], v[220:221], v[216:217]
	v_fma_f64 v[214:215], -v[214:215], v[218:219], v[220:221]
	v_div_fmas_f64 v[214:215], v[214:215], v[216:217], v[218:219]
	v_div_fixup_f64 v[214:215], v[214:215], v[232:233], v[230:231]
	v_fma_f64 v[216:217], v[230:231], v[214:215], v[232:233]
	v_div_scale_f64 v[218:219], null, v[216:217], v[216:217], 1.0
	v_rcp_f64_e32 v[220:221], v[218:219]
	v_fma_f64 v[222:223], -v[218:219], v[220:221], 1.0
	v_fma_f64 v[220:221], v[220:221], v[222:223], v[220:221]
	v_fma_f64 v[222:223], -v[218:219], v[220:221], 1.0
	v_fma_f64 v[220:221], v[220:221], v[222:223], v[220:221]
	v_div_scale_f64 v[222:223], vcc_lo, 1.0, v[216:217], 1.0
	v_mul_f64 v[224:225], v[222:223], v[220:221]
	v_fma_f64 v[218:219], -v[218:219], v[224:225], v[222:223]
	v_div_fmas_f64 v[218:219], v[218:219], v[220:221], v[224:225]
	v_div_fixup_f64 v[232:233], v[218:219], v[216:217], 1.0
	v_mul_f64 v[230:231], v[214:215], v[232:233]
	v_xor_b32_e32 v233, 0x80000000, v233
.LBB112_994:
	s_andn2_saveexec_b32 s1, s1
	s_cbranch_execz .LBB112_996
; %bb.995:
	v_div_scale_f64 v[214:215], null, v[230:231], v[230:231], v[232:233]
	v_div_scale_f64 v[220:221], vcc_lo, v[232:233], v[230:231], v[232:233]
	v_rcp_f64_e32 v[216:217], v[214:215]
	v_fma_f64 v[218:219], -v[214:215], v[216:217], 1.0
	v_fma_f64 v[216:217], v[216:217], v[218:219], v[216:217]
	v_fma_f64 v[218:219], -v[214:215], v[216:217], 1.0
	v_fma_f64 v[216:217], v[216:217], v[218:219], v[216:217]
	v_mul_f64 v[218:219], v[220:221], v[216:217]
	v_fma_f64 v[214:215], -v[214:215], v[218:219], v[220:221]
	v_div_fmas_f64 v[214:215], v[214:215], v[216:217], v[218:219]
	v_div_fixup_f64 v[214:215], v[214:215], v[230:231], v[232:233]
	v_fma_f64 v[216:217], v[232:233], v[214:215], v[230:231]
	v_div_scale_f64 v[218:219], null, v[216:217], v[216:217], 1.0
	v_rcp_f64_e32 v[220:221], v[218:219]
	v_fma_f64 v[222:223], -v[218:219], v[220:221], 1.0
	v_fma_f64 v[220:221], v[220:221], v[222:223], v[220:221]
	v_fma_f64 v[222:223], -v[218:219], v[220:221], 1.0
	v_fma_f64 v[220:221], v[220:221], v[222:223], v[220:221]
	v_div_scale_f64 v[222:223], vcc_lo, 1.0, v[216:217], 1.0
	v_mul_f64 v[224:225], v[222:223], v[220:221]
	v_fma_f64 v[218:219], -v[218:219], v[224:225], v[222:223]
	v_div_fmas_f64 v[218:219], v[218:219], v[220:221], v[224:225]
	v_div_fixup_f64 v[230:231], v[218:219], v[216:217], 1.0
	v_mul_f64 v[232:233], v[214:215], -v[230:231]
.LBB112_996:
	s_or_b32 exec_lo, exec_lo, s1
.LBB112_997:
	s_or_b32 exec_lo, exec_lo, s0
	s_mov_b32 s0, exec_lo
	v_cmpx_ne_u32_e64 v244, v238
	s_xor_b32 s0, exec_lo, s0
	s_cbranch_execz .LBB112_1003
; %bb.998:
	s_mov_b32 s1, exec_lo
	v_cmpx_eq_u32_e32 47, v244
	s_cbranch_execz .LBB112_1002
; %bb.999:
	v_cmp_ne_u32_e32 vcc_lo, 47, v238
	s_xor_b32 s7, s16, -1
	s_and_b32 s9, s7, vcc_lo
	s_and_saveexec_b32 s7, s9
	s_cbranch_execz .LBB112_1001
; %bb.1000:
	s_clause 0x1
	buffer_load_dword v210, off, s[20:23], 0
	buffer_load_dword v211, off, s[20:23], 0 offset:4
	v_ashrrev_i32_e32 v239, 31, v238
	v_lshlrev_b64 v[214:215], 2, v[238:239]
	s_waitcnt vmcnt(1)
	v_add_co_u32 v214, vcc_lo, v210, v214
	s_waitcnt vmcnt(0)
	v_add_co_ci_u32_e64 v215, null, v211, v215, vcc_lo
	s_clause 0x1
	global_load_dword v0, v[214:215], off
	global_load_dword v216, v[210:211], off offset:188
	s_waitcnt vmcnt(1)
	global_store_dword v[210:211], v0, off offset:188
	s_waitcnt vmcnt(0)
	global_store_dword v[214:215], v216, off
.LBB112_1001:
	s_or_b32 exec_lo, exec_lo, s7
	v_mov_b32_e32 v244, v238
	v_mov_b32_e32 v0, v238
.LBB112_1002:
	s_or_b32 exec_lo, exec_lo, s1
.LBB112_1003:
	s_andn2_saveexec_b32 s0, s0
	s_cbranch_execz .LBB112_1005
; %bb.1004:
	v_mov_b32_e32 v244, 47
	ds_write2_b64 v1, v[34:35], v[36:37] offset0:96 offset1:97
	ds_write2_b64 v1, v[30:31], v[32:33] offset0:98 offset1:99
	ds_write2_b64 v1, v[26:27], v[28:29] offset0:100 offset1:101
	ds_write2_b64 v1, v[22:23], v[24:25] offset0:102 offset1:103
	ds_write2_b64 v1, v[18:19], v[20:21] offset0:104 offset1:105
	ds_write2_b64 v1, v[14:15], v[16:17] offset0:106 offset1:107
	ds_write2_b64 v1, v[10:11], v[12:13] offset0:108 offset1:109
	ds_write2_b64 v1, v[6:7], v[8:9] offset0:110 offset1:111
	ds_write2_b64 v1, v[250:251], v[252:253] offset0:112 offset1:113
.LBB112_1005:
	s_or_b32 exec_lo, exec_lo, s0
	s_mov_b32 s0, exec_lo
	s_waitcnt lgkmcnt(0)
	s_waitcnt_vscnt null, 0x0
	s_barrier
	buffer_gl0_inv
	v_cmpx_lt_i32_e32 47, v244
	s_cbranch_execz .LBB112_1007
; %bb.1006:
	v_mul_f64 v[214:215], v[230:231], v[40:41]
	v_mul_f64 v[40:41], v[232:233], v[40:41]
	v_fma_f64 v[214:215], v[232:233], v[38:39], v[214:215]
	v_fma_f64 v[38:39], v[230:231], v[38:39], -v[40:41]
	ds_read2_b64 v[230:233], v1 offset0:96 offset1:97
	s_waitcnt lgkmcnt(0)
	v_mul_f64 v[40:41], v[232:233], v[214:215]
	v_mul_f64 v[216:217], v[230:231], v[214:215]
	v_fma_f64 v[40:41], v[230:231], v[38:39], -v[40:41]
	v_fma_f64 v[216:217], v[232:233], v[38:39], v[216:217]
	ds_read2_b64 v[230:233], v1 offset0:98 offset1:99
	v_add_f64 v[34:35], v[34:35], -v[40:41]
	v_add_f64 v[36:37], v[36:37], -v[216:217]
	s_waitcnt lgkmcnt(0)
	v_mul_f64 v[40:41], v[232:233], v[214:215]
	v_mul_f64 v[216:217], v[230:231], v[214:215]
	v_fma_f64 v[40:41], v[230:231], v[38:39], -v[40:41]
	v_fma_f64 v[216:217], v[232:233], v[38:39], v[216:217]
	ds_read2_b64 v[230:233], v1 offset0:100 offset1:101
	v_add_f64 v[30:31], v[30:31], -v[40:41]
	v_add_f64 v[32:33], v[32:33], -v[216:217]
	;; [unrolled: 8-line block ×8, first 2 shown]
	s_waitcnt lgkmcnt(0)
	v_mul_f64 v[40:41], v[232:233], v[214:215]
	v_mul_f64 v[216:217], v[230:231], v[214:215]
	v_fma_f64 v[40:41], v[230:231], v[38:39], -v[40:41]
	v_fma_f64 v[216:217], v[232:233], v[38:39], v[216:217]
	v_add_f64 v[250:251], v[250:251], -v[40:41]
	v_add_f64 v[252:253], v[252:253], -v[216:217]
	v_mov_b32_e32 v40, v214
	v_mov_b32_e32 v41, v215
.LBB112_1007:
	s_or_b32 exec_lo, exec_lo, s0
	v_lshl_add_u32 v214, v244, 4, v1
	s_barrier
	buffer_gl0_inv
	v_mov_b32_e32 v238, 48
	ds_write2_b64 v214, v[34:35], v[36:37] offset1:1
	s_waitcnt lgkmcnt(0)
	s_barrier
	buffer_gl0_inv
	ds_read2_b64 v[230:233], v1 offset0:96 offset1:97
	s_cmp_lt_i32 s8, 50
	s_cbranch_scc1 .LBB112_1010
; %bb.1008:
	v_add3_u32 v239, v228, 0, 0x310
	v_mov_b32_e32 v238, 48
	s_mov_b32 s0, 49
	s_inst_prefetch 0x1
	.p2align	6
.LBB112_1009:                           ; =>This Inner Loop Header: Depth=1
	s_waitcnt lgkmcnt(0)
	v_cmp_gt_f64_e32 vcc_lo, 0, v[230:231]
	v_xor_b32_e32 v214, 0x80000000, v231
	ds_read2_b64 v[245:248], v239 offset1:1
	v_xor_b32_e32 v216, 0x80000000, v233
	v_add_nc_u32_e32 v239, 16, v239
	s_waitcnt lgkmcnt(0)
	v_xor_b32_e32 v218, 0x80000000, v248
	v_cndmask_b32_e32 v215, v231, v214, vcc_lo
	v_cmp_gt_f64_e32 vcc_lo, 0, v[232:233]
	v_mov_b32_e32 v214, v230
	v_cndmask_b32_e32 v217, v233, v216, vcc_lo
	v_cmp_gt_f64_e32 vcc_lo, 0, v[245:246]
	v_mov_b32_e32 v216, v232
	v_add_f64 v[214:215], v[214:215], v[216:217]
	v_xor_b32_e32 v216, 0x80000000, v246
	v_cndmask_b32_e32 v217, v246, v216, vcc_lo
	v_cmp_gt_f64_e32 vcc_lo, 0, v[247:248]
	v_mov_b32_e32 v216, v245
	v_cndmask_b32_e32 v219, v248, v218, vcc_lo
	v_mov_b32_e32 v218, v247
	v_add_f64 v[216:217], v[216:217], v[218:219]
	v_cmp_lt_f64_e32 vcc_lo, v[214:215], v[216:217]
	v_cndmask_b32_e32 v231, v231, v246, vcc_lo
	v_cndmask_b32_e32 v230, v230, v245, vcc_lo
	;; [unrolled: 1-line block ×4, first 2 shown]
	v_cndmask_b32_e64 v238, v238, s0, vcc_lo
	s_add_i32 s0, s0, 1
	s_cmp_lg_u32 s8, s0
	s_cbranch_scc1 .LBB112_1009
.LBB112_1010:
	s_inst_prefetch 0x2
	s_waitcnt lgkmcnt(0)
	v_cmp_eq_f64_e32 vcc_lo, 0, v[230:231]
	v_cmp_eq_f64_e64 s0, 0, v[232:233]
	s_and_b32 s0, vcc_lo, s0
	s_and_saveexec_b32 s1, s0
	s_xor_b32 s0, exec_lo, s1
; %bb.1011:
	v_cmp_ne_u32_e32 vcc_lo, 0, v243
	v_cndmask_b32_e32 v243, 49, v243, vcc_lo
; %bb.1012:
	s_andn2_saveexec_b32 s0, s0
	s_cbranch_execz .LBB112_1018
; %bb.1013:
	v_cmp_ngt_f64_e64 s1, |v[230:231]|, |v[232:233]|
	s_and_saveexec_b32 s7, s1
	s_xor_b32 s1, exec_lo, s7
	s_cbranch_execz .LBB112_1015
; %bb.1014:
	v_div_scale_f64 v[214:215], null, v[232:233], v[232:233], v[230:231]
	v_div_scale_f64 v[220:221], vcc_lo, v[230:231], v[232:233], v[230:231]
	v_rcp_f64_e32 v[216:217], v[214:215]
	v_fma_f64 v[218:219], -v[214:215], v[216:217], 1.0
	v_fma_f64 v[216:217], v[216:217], v[218:219], v[216:217]
	v_fma_f64 v[218:219], -v[214:215], v[216:217], 1.0
	v_fma_f64 v[216:217], v[216:217], v[218:219], v[216:217]
	v_mul_f64 v[218:219], v[220:221], v[216:217]
	v_fma_f64 v[214:215], -v[214:215], v[218:219], v[220:221]
	v_div_fmas_f64 v[214:215], v[214:215], v[216:217], v[218:219]
	v_div_fixup_f64 v[214:215], v[214:215], v[232:233], v[230:231]
	v_fma_f64 v[216:217], v[230:231], v[214:215], v[232:233]
	v_div_scale_f64 v[218:219], null, v[216:217], v[216:217], 1.0
	v_rcp_f64_e32 v[220:221], v[218:219]
	v_fma_f64 v[222:223], -v[218:219], v[220:221], 1.0
	v_fma_f64 v[220:221], v[220:221], v[222:223], v[220:221]
	v_fma_f64 v[222:223], -v[218:219], v[220:221], 1.0
	v_fma_f64 v[220:221], v[220:221], v[222:223], v[220:221]
	v_div_scale_f64 v[222:223], vcc_lo, 1.0, v[216:217], 1.0
	v_mul_f64 v[224:225], v[222:223], v[220:221]
	v_fma_f64 v[218:219], -v[218:219], v[224:225], v[222:223]
	v_div_fmas_f64 v[218:219], v[218:219], v[220:221], v[224:225]
	v_div_fixup_f64 v[232:233], v[218:219], v[216:217], 1.0
	v_mul_f64 v[230:231], v[214:215], v[232:233]
	v_xor_b32_e32 v233, 0x80000000, v233
.LBB112_1015:
	s_andn2_saveexec_b32 s1, s1
	s_cbranch_execz .LBB112_1017
; %bb.1016:
	v_div_scale_f64 v[214:215], null, v[230:231], v[230:231], v[232:233]
	v_div_scale_f64 v[220:221], vcc_lo, v[232:233], v[230:231], v[232:233]
	v_rcp_f64_e32 v[216:217], v[214:215]
	v_fma_f64 v[218:219], -v[214:215], v[216:217], 1.0
	v_fma_f64 v[216:217], v[216:217], v[218:219], v[216:217]
	v_fma_f64 v[218:219], -v[214:215], v[216:217], 1.0
	v_fma_f64 v[216:217], v[216:217], v[218:219], v[216:217]
	v_mul_f64 v[218:219], v[220:221], v[216:217]
	v_fma_f64 v[214:215], -v[214:215], v[218:219], v[220:221]
	v_div_fmas_f64 v[214:215], v[214:215], v[216:217], v[218:219]
	v_div_fixup_f64 v[214:215], v[214:215], v[230:231], v[232:233]
	v_fma_f64 v[216:217], v[232:233], v[214:215], v[230:231]
	v_div_scale_f64 v[218:219], null, v[216:217], v[216:217], 1.0
	v_rcp_f64_e32 v[220:221], v[218:219]
	v_fma_f64 v[222:223], -v[218:219], v[220:221], 1.0
	v_fma_f64 v[220:221], v[220:221], v[222:223], v[220:221]
	v_fma_f64 v[222:223], -v[218:219], v[220:221], 1.0
	v_fma_f64 v[220:221], v[220:221], v[222:223], v[220:221]
	v_div_scale_f64 v[222:223], vcc_lo, 1.0, v[216:217], 1.0
	v_mul_f64 v[224:225], v[222:223], v[220:221]
	v_fma_f64 v[218:219], -v[218:219], v[224:225], v[222:223]
	v_div_fmas_f64 v[218:219], v[218:219], v[220:221], v[224:225]
	v_div_fixup_f64 v[230:231], v[218:219], v[216:217], 1.0
	v_mul_f64 v[232:233], v[214:215], -v[230:231]
.LBB112_1017:
	s_or_b32 exec_lo, exec_lo, s1
.LBB112_1018:
	s_or_b32 exec_lo, exec_lo, s0
	s_mov_b32 s0, exec_lo
	v_cmpx_ne_u32_e64 v244, v238
	s_xor_b32 s0, exec_lo, s0
	s_cbranch_execz .LBB112_1024
; %bb.1019:
	s_mov_b32 s1, exec_lo
	v_cmpx_eq_u32_e32 48, v244
	s_cbranch_execz .LBB112_1023
; %bb.1020:
	v_cmp_ne_u32_e32 vcc_lo, 48, v238
	s_xor_b32 s7, s16, -1
	s_and_b32 s9, s7, vcc_lo
	s_and_saveexec_b32 s7, s9
	s_cbranch_execz .LBB112_1022
; %bb.1021:
	s_clause 0x1
	buffer_load_dword v210, off, s[20:23], 0
	buffer_load_dword v211, off, s[20:23], 0 offset:4
	v_ashrrev_i32_e32 v239, 31, v238
	v_lshlrev_b64 v[214:215], 2, v[238:239]
	s_waitcnt vmcnt(1)
	v_add_co_u32 v214, vcc_lo, v210, v214
	s_waitcnt vmcnt(0)
	v_add_co_ci_u32_e64 v215, null, v211, v215, vcc_lo
	s_clause 0x1
	global_load_dword v0, v[214:215], off
	global_load_dword v216, v[210:211], off offset:192
	s_waitcnt vmcnt(1)
	global_store_dword v[210:211], v0, off offset:192
	s_waitcnt vmcnt(0)
	global_store_dword v[214:215], v216, off
.LBB112_1022:
	s_or_b32 exec_lo, exec_lo, s7
	v_mov_b32_e32 v244, v238
	v_mov_b32_e32 v0, v238
.LBB112_1023:
	s_or_b32 exec_lo, exec_lo, s1
.LBB112_1024:
	s_andn2_saveexec_b32 s0, s0
	s_cbranch_execz .LBB112_1026
; %bb.1025:
	v_mov_b32_e32 v244, 48
	ds_write2_b64 v1, v[30:31], v[32:33] offset0:98 offset1:99
	ds_write2_b64 v1, v[26:27], v[28:29] offset0:100 offset1:101
	;; [unrolled: 1-line block ×8, first 2 shown]
.LBB112_1026:
	s_or_b32 exec_lo, exec_lo, s0
	s_mov_b32 s0, exec_lo
	s_waitcnt lgkmcnt(0)
	s_waitcnt_vscnt null, 0x0
	s_barrier
	buffer_gl0_inv
	v_cmpx_lt_i32_e32 48, v244
	s_cbranch_execz .LBB112_1028
; %bb.1027:
	v_mul_f64 v[214:215], v[230:231], v[36:37]
	v_mul_f64 v[36:37], v[232:233], v[36:37]
	v_fma_f64 v[214:215], v[232:233], v[34:35], v[214:215]
	v_fma_f64 v[34:35], v[230:231], v[34:35], -v[36:37]
	ds_read2_b64 v[230:233], v1 offset0:98 offset1:99
	s_waitcnt lgkmcnt(0)
	v_mul_f64 v[36:37], v[232:233], v[214:215]
	v_mul_f64 v[216:217], v[230:231], v[214:215]
	v_fma_f64 v[36:37], v[230:231], v[34:35], -v[36:37]
	v_fma_f64 v[216:217], v[232:233], v[34:35], v[216:217]
	ds_read2_b64 v[230:233], v1 offset0:100 offset1:101
	v_add_f64 v[30:31], v[30:31], -v[36:37]
	v_add_f64 v[32:33], v[32:33], -v[216:217]
	s_waitcnt lgkmcnt(0)
	v_mul_f64 v[36:37], v[232:233], v[214:215]
	v_mul_f64 v[216:217], v[230:231], v[214:215]
	v_fma_f64 v[36:37], v[230:231], v[34:35], -v[36:37]
	v_fma_f64 v[216:217], v[232:233], v[34:35], v[216:217]
	ds_read2_b64 v[230:233], v1 offset0:102 offset1:103
	v_add_f64 v[26:27], v[26:27], -v[36:37]
	v_add_f64 v[28:29], v[28:29], -v[216:217]
	;; [unrolled: 8-line block ×7, first 2 shown]
	s_waitcnt lgkmcnt(0)
	v_mul_f64 v[36:37], v[232:233], v[214:215]
	v_mul_f64 v[216:217], v[230:231], v[214:215]
	v_fma_f64 v[36:37], v[230:231], v[34:35], -v[36:37]
	v_fma_f64 v[216:217], v[232:233], v[34:35], v[216:217]
	v_add_f64 v[250:251], v[250:251], -v[36:37]
	v_add_f64 v[252:253], v[252:253], -v[216:217]
	v_mov_b32_e32 v36, v214
	v_mov_b32_e32 v37, v215
.LBB112_1028:
	s_or_b32 exec_lo, exec_lo, s0
	v_lshl_add_u32 v214, v244, 4, v1
	s_barrier
	buffer_gl0_inv
	v_mov_b32_e32 v238, 49
	ds_write2_b64 v214, v[30:31], v[32:33] offset1:1
	s_waitcnt lgkmcnt(0)
	s_barrier
	buffer_gl0_inv
	ds_read2_b64 v[230:233], v1 offset0:98 offset1:99
	s_cmp_lt_i32 s8, 51
	s_cbranch_scc1 .LBB112_1031
; %bb.1029:
	v_add3_u32 v239, v228, 0, 0x320
	v_mov_b32_e32 v238, 49
	s_mov_b32 s0, 50
	s_inst_prefetch 0x1
	.p2align	6
.LBB112_1030:                           ; =>This Inner Loop Header: Depth=1
	s_waitcnt lgkmcnt(0)
	v_cmp_gt_f64_e32 vcc_lo, 0, v[230:231]
	v_xor_b32_e32 v214, 0x80000000, v231
	ds_read2_b64 v[245:248], v239 offset1:1
	v_xor_b32_e32 v216, 0x80000000, v233
	v_add_nc_u32_e32 v239, 16, v239
	s_waitcnt lgkmcnt(0)
	v_xor_b32_e32 v218, 0x80000000, v248
	v_cndmask_b32_e32 v215, v231, v214, vcc_lo
	v_cmp_gt_f64_e32 vcc_lo, 0, v[232:233]
	v_mov_b32_e32 v214, v230
	v_cndmask_b32_e32 v217, v233, v216, vcc_lo
	v_cmp_gt_f64_e32 vcc_lo, 0, v[245:246]
	v_mov_b32_e32 v216, v232
	v_add_f64 v[214:215], v[214:215], v[216:217]
	v_xor_b32_e32 v216, 0x80000000, v246
	v_cndmask_b32_e32 v217, v246, v216, vcc_lo
	v_cmp_gt_f64_e32 vcc_lo, 0, v[247:248]
	v_mov_b32_e32 v216, v245
	v_cndmask_b32_e32 v219, v248, v218, vcc_lo
	v_mov_b32_e32 v218, v247
	v_add_f64 v[216:217], v[216:217], v[218:219]
	v_cmp_lt_f64_e32 vcc_lo, v[214:215], v[216:217]
	v_cndmask_b32_e32 v231, v231, v246, vcc_lo
	v_cndmask_b32_e32 v230, v230, v245, vcc_lo
	;; [unrolled: 1-line block ×4, first 2 shown]
	v_cndmask_b32_e64 v238, v238, s0, vcc_lo
	s_add_i32 s0, s0, 1
	s_cmp_lg_u32 s8, s0
	s_cbranch_scc1 .LBB112_1030
.LBB112_1031:
	s_inst_prefetch 0x2
	s_waitcnt lgkmcnt(0)
	v_cmp_eq_f64_e32 vcc_lo, 0, v[230:231]
	v_cmp_eq_f64_e64 s0, 0, v[232:233]
	s_and_b32 s0, vcc_lo, s0
	s_and_saveexec_b32 s1, s0
	s_xor_b32 s0, exec_lo, s1
; %bb.1032:
	v_cmp_ne_u32_e32 vcc_lo, 0, v243
	v_cndmask_b32_e32 v243, 50, v243, vcc_lo
; %bb.1033:
	s_andn2_saveexec_b32 s0, s0
	s_cbranch_execz .LBB112_1039
; %bb.1034:
	v_cmp_ngt_f64_e64 s1, |v[230:231]|, |v[232:233]|
	s_and_saveexec_b32 s7, s1
	s_xor_b32 s1, exec_lo, s7
	s_cbranch_execz .LBB112_1036
; %bb.1035:
	v_div_scale_f64 v[214:215], null, v[232:233], v[232:233], v[230:231]
	v_div_scale_f64 v[220:221], vcc_lo, v[230:231], v[232:233], v[230:231]
	v_rcp_f64_e32 v[216:217], v[214:215]
	v_fma_f64 v[218:219], -v[214:215], v[216:217], 1.0
	v_fma_f64 v[216:217], v[216:217], v[218:219], v[216:217]
	v_fma_f64 v[218:219], -v[214:215], v[216:217], 1.0
	v_fma_f64 v[216:217], v[216:217], v[218:219], v[216:217]
	v_mul_f64 v[218:219], v[220:221], v[216:217]
	v_fma_f64 v[214:215], -v[214:215], v[218:219], v[220:221]
	v_div_fmas_f64 v[214:215], v[214:215], v[216:217], v[218:219]
	v_div_fixup_f64 v[214:215], v[214:215], v[232:233], v[230:231]
	v_fma_f64 v[216:217], v[230:231], v[214:215], v[232:233]
	v_div_scale_f64 v[218:219], null, v[216:217], v[216:217], 1.0
	v_rcp_f64_e32 v[220:221], v[218:219]
	v_fma_f64 v[222:223], -v[218:219], v[220:221], 1.0
	v_fma_f64 v[220:221], v[220:221], v[222:223], v[220:221]
	v_fma_f64 v[222:223], -v[218:219], v[220:221], 1.0
	v_fma_f64 v[220:221], v[220:221], v[222:223], v[220:221]
	v_div_scale_f64 v[222:223], vcc_lo, 1.0, v[216:217], 1.0
	v_mul_f64 v[224:225], v[222:223], v[220:221]
	v_fma_f64 v[218:219], -v[218:219], v[224:225], v[222:223]
	v_div_fmas_f64 v[218:219], v[218:219], v[220:221], v[224:225]
	v_div_fixup_f64 v[232:233], v[218:219], v[216:217], 1.0
	v_mul_f64 v[230:231], v[214:215], v[232:233]
	v_xor_b32_e32 v233, 0x80000000, v233
.LBB112_1036:
	s_andn2_saveexec_b32 s1, s1
	s_cbranch_execz .LBB112_1038
; %bb.1037:
	v_div_scale_f64 v[214:215], null, v[230:231], v[230:231], v[232:233]
	v_div_scale_f64 v[220:221], vcc_lo, v[232:233], v[230:231], v[232:233]
	v_rcp_f64_e32 v[216:217], v[214:215]
	v_fma_f64 v[218:219], -v[214:215], v[216:217], 1.0
	v_fma_f64 v[216:217], v[216:217], v[218:219], v[216:217]
	v_fma_f64 v[218:219], -v[214:215], v[216:217], 1.0
	v_fma_f64 v[216:217], v[216:217], v[218:219], v[216:217]
	v_mul_f64 v[218:219], v[220:221], v[216:217]
	v_fma_f64 v[214:215], -v[214:215], v[218:219], v[220:221]
	v_div_fmas_f64 v[214:215], v[214:215], v[216:217], v[218:219]
	v_div_fixup_f64 v[214:215], v[214:215], v[230:231], v[232:233]
	v_fma_f64 v[216:217], v[232:233], v[214:215], v[230:231]
	v_div_scale_f64 v[218:219], null, v[216:217], v[216:217], 1.0
	v_rcp_f64_e32 v[220:221], v[218:219]
	v_fma_f64 v[222:223], -v[218:219], v[220:221], 1.0
	v_fma_f64 v[220:221], v[220:221], v[222:223], v[220:221]
	v_fma_f64 v[222:223], -v[218:219], v[220:221], 1.0
	v_fma_f64 v[220:221], v[220:221], v[222:223], v[220:221]
	v_div_scale_f64 v[222:223], vcc_lo, 1.0, v[216:217], 1.0
	v_mul_f64 v[224:225], v[222:223], v[220:221]
	v_fma_f64 v[218:219], -v[218:219], v[224:225], v[222:223]
	v_div_fmas_f64 v[218:219], v[218:219], v[220:221], v[224:225]
	v_div_fixup_f64 v[230:231], v[218:219], v[216:217], 1.0
	v_mul_f64 v[232:233], v[214:215], -v[230:231]
.LBB112_1038:
	s_or_b32 exec_lo, exec_lo, s1
.LBB112_1039:
	s_or_b32 exec_lo, exec_lo, s0
	s_mov_b32 s0, exec_lo
	v_cmpx_ne_u32_e64 v244, v238
	s_xor_b32 s0, exec_lo, s0
	s_cbranch_execz .LBB112_1045
; %bb.1040:
	s_mov_b32 s1, exec_lo
	v_cmpx_eq_u32_e32 49, v244
	s_cbranch_execz .LBB112_1044
; %bb.1041:
	v_cmp_ne_u32_e32 vcc_lo, 49, v238
	s_xor_b32 s7, s16, -1
	s_and_b32 s9, s7, vcc_lo
	s_and_saveexec_b32 s7, s9
	s_cbranch_execz .LBB112_1043
; %bb.1042:
	s_clause 0x1
	buffer_load_dword v210, off, s[20:23], 0
	buffer_load_dword v211, off, s[20:23], 0 offset:4
	v_ashrrev_i32_e32 v239, 31, v238
	v_lshlrev_b64 v[214:215], 2, v[238:239]
	s_waitcnt vmcnt(1)
	v_add_co_u32 v214, vcc_lo, v210, v214
	s_waitcnt vmcnt(0)
	v_add_co_ci_u32_e64 v215, null, v211, v215, vcc_lo
	s_clause 0x1
	global_load_dword v0, v[214:215], off
	global_load_dword v216, v[210:211], off offset:196
	s_waitcnt vmcnt(1)
	global_store_dword v[210:211], v0, off offset:196
	s_waitcnt vmcnt(0)
	global_store_dword v[214:215], v216, off
.LBB112_1043:
	s_or_b32 exec_lo, exec_lo, s7
	v_mov_b32_e32 v244, v238
	v_mov_b32_e32 v0, v238
.LBB112_1044:
	s_or_b32 exec_lo, exec_lo, s1
.LBB112_1045:
	s_andn2_saveexec_b32 s0, s0
	s_cbranch_execz .LBB112_1047
; %bb.1046:
	v_mov_b32_e32 v244, 49
	ds_write2_b64 v1, v[26:27], v[28:29] offset0:100 offset1:101
	ds_write2_b64 v1, v[22:23], v[24:25] offset0:102 offset1:103
	;; [unrolled: 1-line block ×7, first 2 shown]
.LBB112_1047:
	s_or_b32 exec_lo, exec_lo, s0
	s_mov_b32 s0, exec_lo
	s_waitcnt lgkmcnt(0)
	s_waitcnt_vscnt null, 0x0
	s_barrier
	buffer_gl0_inv
	v_cmpx_lt_i32_e32 49, v244
	s_cbranch_execz .LBB112_1049
; %bb.1048:
	v_mul_f64 v[214:215], v[230:231], v[32:33]
	v_mul_f64 v[32:33], v[232:233], v[32:33]
	v_fma_f64 v[214:215], v[232:233], v[30:31], v[214:215]
	v_fma_f64 v[30:31], v[230:231], v[30:31], -v[32:33]
	ds_read2_b64 v[230:233], v1 offset0:100 offset1:101
	s_waitcnt lgkmcnt(0)
	v_mul_f64 v[32:33], v[232:233], v[214:215]
	v_mul_f64 v[216:217], v[230:231], v[214:215]
	v_fma_f64 v[32:33], v[230:231], v[30:31], -v[32:33]
	v_fma_f64 v[216:217], v[232:233], v[30:31], v[216:217]
	ds_read2_b64 v[230:233], v1 offset0:102 offset1:103
	v_add_f64 v[26:27], v[26:27], -v[32:33]
	v_add_f64 v[28:29], v[28:29], -v[216:217]
	s_waitcnt lgkmcnt(0)
	v_mul_f64 v[32:33], v[232:233], v[214:215]
	v_mul_f64 v[216:217], v[230:231], v[214:215]
	v_fma_f64 v[32:33], v[230:231], v[30:31], -v[32:33]
	v_fma_f64 v[216:217], v[232:233], v[30:31], v[216:217]
	ds_read2_b64 v[230:233], v1 offset0:104 offset1:105
	v_add_f64 v[22:23], v[22:23], -v[32:33]
	v_add_f64 v[24:25], v[24:25], -v[216:217]
	;; [unrolled: 8-line block ×6, first 2 shown]
	s_waitcnt lgkmcnt(0)
	v_mul_f64 v[32:33], v[232:233], v[214:215]
	v_mul_f64 v[216:217], v[230:231], v[214:215]
	v_fma_f64 v[32:33], v[230:231], v[30:31], -v[32:33]
	v_fma_f64 v[216:217], v[232:233], v[30:31], v[216:217]
	v_add_f64 v[250:251], v[250:251], -v[32:33]
	v_add_f64 v[252:253], v[252:253], -v[216:217]
	v_mov_b32_e32 v32, v214
	v_mov_b32_e32 v33, v215
.LBB112_1049:
	s_or_b32 exec_lo, exec_lo, s0
	v_lshl_add_u32 v214, v244, 4, v1
	s_barrier
	buffer_gl0_inv
	v_mov_b32_e32 v238, 50
	ds_write2_b64 v214, v[26:27], v[28:29] offset1:1
	s_waitcnt lgkmcnt(0)
	s_barrier
	buffer_gl0_inv
	ds_read2_b64 v[230:233], v1 offset0:100 offset1:101
	s_cmp_lt_i32 s8, 52
	s_cbranch_scc1 .LBB112_1052
; %bb.1050:
	v_add3_u32 v239, v228, 0, 0x330
	v_mov_b32_e32 v238, 50
	s_mov_b32 s0, 51
	s_inst_prefetch 0x1
	.p2align	6
.LBB112_1051:                           ; =>This Inner Loop Header: Depth=1
	s_waitcnt lgkmcnt(0)
	v_cmp_gt_f64_e32 vcc_lo, 0, v[230:231]
	v_xor_b32_e32 v214, 0x80000000, v231
	ds_read2_b64 v[245:248], v239 offset1:1
	v_xor_b32_e32 v216, 0x80000000, v233
	v_add_nc_u32_e32 v239, 16, v239
	s_waitcnt lgkmcnt(0)
	v_xor_b32_e32 v218, 0x80000000, v248
	v_cndmask_b32_e32 v215, v231, v214, vcc_lo
	v_cmp_gt_f64_e32 vcc_lo, 0, v[232:233]
	v_mov_b32_e32 v214, v230
	v_cndmask_b32_e32 v217, v233, v216, vcc_lo
	v_cmp_gt_f64_e32 vcc_lo, 0, v[245:246]
	v_mov_b32_e32 v216, v232
	v_add_f64 v[214:215], v[214:215], v[216:217]
	v_xor_b32_e32 v216, 0x80000000, v246
	v_cndmask_b32_e32 v217, v246, v216, vcc_lo
	v_cmp_gt_f64_e32 vcc_lo, 0, v[247:248]
	v_mov_b32_e32 v216, v245
	v_cndmask_b32_e32 v219, v248, v218, vcc_lo
	v_mov_b32_e32 v218, v247
	v_add_f64 v[216:217], v[216:217], v[218:219]
	v_cmp_lt_f64_e32 vcc_lo, v[214:215], v[216:217]
	v_cndmask_b32_e32 v231, v231, v246, vcc_lo
	v_cndmask_b32_e32 v230, v230, v245, vcc_lo
	;; [unrolled: 1-line block ×4, first 2 shown]
	v_cndmask_b32_e64 v238, v238, s0, vcc_lo
	s_add_i32 s0, s0, 1
	s_cmp_lg_u32 s8, s0
	s_cbranch_scc1 .LBB112_1051
.LBB112_1052:
	s_inst_prefetch 0x2
	s_waitcnt lgkmcnt(0)
	v_cmp_eq_f64_e32 vcc_lo, 0, v[230:231]
	v_cmp_eq_f64_e64 s0, 0, v[232:233]
	s_and_b32 s0, vcc_lo, s0
	s_and_saveexec_b32 s1, s0
	s_xor_b32 s0, exec_lo, s1
; %bb.1053:
	v_cmp_ne_u32_e32 vcc_lo, 0, v243
	v_cndmask_b32_e32 v243, 51, v243, vcc_lo
; %bb.1054:
	s_andn2_saveexec_b32 s0, s0
	s_cbranch_execz .LBB112_1060
; %bb.1055:
	v_cmp_ngt_f64_e64 s1, |v[230:231]|, |v[232:233]|
	s_and_saveexec_b32 s7, s1
	s_xor_b32 s1, exec_lo, s7
	s_cbranch_execz .LBB112_1057
; %bb.1056:
	v_div_scale_f64 v[214:215], null, v[232:233], v[232:233], v[230:231]
	v_div_scale_f64 v[220:221], vcc_lo, v[230:231], v[232:233], v[230:231]
	v_rcp_f64_e32 v[216:217], v[214:215]
	v_fma_f64 v[218:219], -v[214:215], v[216:217], 1.0
	v_fma_f64 v[216:217], v[216:217], v[218:219], v[216:217]
	v_fma_f64 v[218:219], -v[214:215], v[216:217], 1.0
	v_fma_f64 v[216:217], v[216:217], v[218:219], v[216:217]
	v_mul_f64 v[218:219], v[220:221], v[216:217]
	v_fma_f64 v[214:215], -v[214:215], v[218:219], v[220:221]
	v_div_fmas_f64 v[214:215], v[214:215], v[216:217], v[218:219]
	v_div_fixup_f64 v[214:215], v[214:215], v[232:233], v[230:231]
	v_fma_f64 v[216:217], v[230:231], v[214:215], v[232:233]
	v_div_scale_f64 v[218:219], null, v[216:217], v[216:217], 1.0
	v_rcp_f64_e32 v[220:221], v[218:219]
	v_fma_f64 v[222:223], -v[218:219], v[220:221], 1.0
	v_fma_f64 v[220:221], v[220:221], v[222:223], v[220:221]
	v_fma_f64 v[222:223], -v[218:219], v[220:221], 1.0
	v_fma_f64 v[220:221], v[220:221], v[222:223], v[220:221]
	v_div_scale_f64 v[222:223], vcc_lo, 1.0, v[216:217], 1.0
	v_mul_f64 v[224:225], v[222:223], v[220:221]
	v_fma_f64 v[218:219], -v[218:219], v[224:225], v[222:223]
	v_div_fmas_f64 v[218:219], v[218:219], v[220:221], v[224:225]
	v_div_fixup_f64 v[232:233], v[218:219], v[216:217], 1.0
	v_mul_f64 v[230:231], v[214:215], v[232:233]
	v_xor_b32_e32 v233, 0x80000000, v233
.LBB112_1057:
	s_andn2_saveexec_b32 s1, s1
	s_cbranch_execz .LBB112_1059
; %bb.1058:
	v_div_scale_f64 v[214:215], null, v[230:231], v[230:231], v[232:233]
	v_div_scale_f64 v[220:221], vcc_lo, v[232:233], v[230:231], v[232:233]
	v_rcp_f64_e32 v[216:217], v[214:215]
	v_fma_f64 v[218:219], -v[214:215], v[216:217], 1.0
	v_fma_f64 v[216:217], v[216:217], v[218:219], v[216:217]
	v_fma_f64 v[218:219], -v[214:215], v[216:217], 1.0
	v_fma_f64 v[216:217], v[216:217], v[218:219], v[216:217]
	v_mul_f64 v[218:219], v[220:221], v[216:217]
	v_fma_f64 v[214:215], -v[214:215], v[218:219], v[220:221]
	v_div_fmas_f64 v[214:215], v[214:215], v[216:217], v[218:219]
	v_div_fixup_f64 v[214:215], v[214:215], v[230:231], v[232:233]
	v_fma_f64 v[216:217], v[232:233], v[214:215], v[230:231]
	v_div_scale_f64 v[218:219], null, v[216:217], v[216:217], 1.0
	v_rcp_f64_e32 v[220:221], v[218:219]
	v_fma_f64 v[222:223], -v[218:219], v[220:221], 1.0
	v_fma_f64 v[220:221], v[220:221], v[222:223], v[220:221]
	v_fma_f64 v[222:223], -v[218:219], v[220:221], 1.0
	v_fma_f64 v[220:221], v[220:221], v[222:223], v[220:221]
	v_div_scale_f64 v[222:223], vcc_lo, 1.0, v[216:217], 1.0
	v_mul_f64 v[224:225], v[222:223], v[220:221]
	v_fma_f64 v[218:219], -v[218:219], v[224:225], v[222:223]
	v_div_fmas_f64 v[218:219], v[218:219], v[220:221], v[224:225]
	v_div_fixup_f64 v[230:231], v[218:219], v[216:217], 1.0
	v_mul_f64 v[232:233], v[214:215], -v[230:231]
.LBB112_1059:
	s_or_b32 exec_lo, exec_lo, s1
.LBB112_1060:
	s_or_b32 exec_lo, exec_lo, s0
	s_mov_b32 s0, exec_lo
	v_cmpx_ne_u32_e64 v244, v238
	s_xor_b32 s0, exec_lo, s0
	s_cbranch_execz .LBB112_1066
; %bb.1061:
	s_mov_b32 s1, exec_lo
	v_cmpx_eq_u32_e32 50, v244
	s_cbranch_execz .LBB112_1065
; %bb.1062:
	v_cmp_ne_u32_e32 vcc_lo, 50, v238
	s_xor_b32 s7, s16, -1
	s_and_b32 s9, s7, vcc_lo
	s_and_saveexec_b32 s7, s9
	s_cbranch_execz .LBB112_1064
; %bb.1063:
	s_clause 0x1
	buffer_load_dword v210, off, s[20:23], 0
	buffer_load_dword v211, off, s[20:23], 0 offset:4
	v_ashrrev_i32_e32 v239, 31, v238
	v_lshlrev_b64 v[214:215], 2, v[238:239]
	s_waitcnt vmcnt(1)
	v_add_co_u32 v214, vcc_lo, v210, v214
	s_waitcnt vmcnt(0)
	v_add_co_ci_u32_e64 v215, null, v211, v215, vcc_lo
	s_clause 0x1
	global_load_dword v0, v[214:215], off
	global_load_dword v216, v[210:211], off offset:200
	s_waitcnt vmcnt(1)
	global_store_dword v[210:211], v0, off offset:200
	s_waitcnt vmcnt(0)
	global_store_dword v[214:215], v216, off
.LBB112_1064:
	s_or_b32 exec_lo, exec_lo, s7
	v_mov_b32_e32 v244, v238
	v_mov_b32_e32 v0, v238
.LBB112_1065:
	s_or_b32 exec_lo, exec_lo, s1
.LBB112_1066:
	s_andn2_saveexec_b32 s0, s0
	s_cbranch_execz .LBB112_1068
; %bb.1067:
	v_mov_b32_e32 v244, 50
	ds_write2_b64 v1, v[22:23], v[24:25] offset0:102 offset1:103
	ds_write2_b64 v1, v[18:19], v[20:21] offset0:104 offset1:105
	;; [unrolled: 1-line block ×6, first 2 shown]
.LBB112_1068:
	s_or_b32 exec_lo, exec_lo, s0
	s_mov_b32 s0, exec_lo
	s_waitcnt lgkmcnt(0)
	s_waitcnt_vscnt null, 0x0
	s_barrier
	buffer_gl0_inv
	v_cmpx_lt_i32_e32 50, v244
	s_cbranch_execz .LBB112_1070
; %bb.1069:
	v_mul_f64 v[214:215], v[230:231], v[28:29]
	v_mul_f64 v[28:29], v[232:233], v[28:29]
	v_fma_f64 v[214:215], v[232:233], v[26:27], v[214:215]
	v_fma_f64 v[26:27], v[230:231], v[26:27], -v[28:29]
	ds_read2_b64 v[230:233], v1 offset0:102 offset1:103
	s_waitcnt lgkmcnt(0)
	v_mul_f64 v[28:29], v[232:233], v[214:215]
	v_mul_f64 v[216:217], v[230:231], v[214:215]
	v_fma_f64 v[28:29], v[230:231], v[26:27], -v[28:29]
	v_fma_f64 v[216:217], v[232:233], v[26:27], v[216:217]
	ds_read2_b64 v[230:233], v1 offset0:104 offset1:105
	v_add_f64 v[22:23], v[22:23], -v[28:29]
	v_add_f64 v[24:25], v[24:25], -v[216:217]
	s_waitcnt lgkmcnt(0)
	v_mul_f64 v[28:29], v[232:233], v[214:215]
	v_mul_f64 v[216:217], v[230:231], v[214:215]
	v_fma_f64 v[28:29], v[230:231], v[26:27], -v[28:29]
	v_fma_f64 v[216:217], v[232:233], v[26:27], v[216:217]
	ds_read2_b64 v[230:233], v1 offset0:106 offset1:107
	v_add_f64 v[18:19], v[18:19], -v[28:29]
	v_add_f64 v[20:21], v[20:21], -v[216:217]
	;; [unrolled: 8-line block ×5, first 2 shown]
	s_waitcnt lgkmcnt(0)
	v_mul_f64 v[28:29], v[232:233], v[214:215]
	v_mul_f64 v[216:217], v[230:231], v[214:215]
	v_fma_f64 v[28:29], v[230:231], v[26:27], -v[28:29]
	v_fma_f64 v[216:217], v[232:233], v[26:27], v[216:217]
	v_add_f64 v[250:251], v[250:251], -v[28:29]
	v_add_f64 v[252:253], v[252:253], -v[216:217]
	v_mov_b32_e32 v28, v214
	v_mov_b32_e32 v29, v215
.LBB112_1070:
	s_or_b32 exec_lo, exec_lo, s0
	v_lshl_add_u32 v214, v244, 4, v1
	s_barrier
	buffer_gl0_inv
	v_mov_b32_e32 v238, 51
	ds_write2_b64 v214, v[22:23], v[24:25] offset1:1
	s_waitcnt lgkmcnt(0)
	s_barrier
	buffer_gl0_inv
	ds_read2_b64 v[230:233], v1 offset0:102 offset1:103
	s_cmp_lt_i32 s8, 53
	s_cbranch_scc1 .LBB112_1073
; %bb.1071:
	v_add3_u32 v239, v228, 0, 0x340
	v_mov_b32_e32 v238, 51
	s_mov_b32 s0, 52
	s_inst_prefetch 0x1
	.p2align	6
.LBB112_1072:                           ; =>This Inner Loop Header: Depth=1
	s_waitcnt lgkmcnt(0)
	v_cmp_gt_f64_e32 vcc_lo, 0, v[230:231]
	v_xor_b32_e32 v214, 0x80000000, v231
	ds_read2_b64 v[245:248], v239 offset1:1
	v_xor_b32_e32 v216, 0x80000000, v233
	v_add_nc_u32_e32 v239, 16, v239
	s_waitcnt lgkmcnt(0)
	v_xor_b32_e32 v218, 0x80000000, v248
	v_cndmask_b32_e32 v215, v231, v214, vcc_lo
	v_cmp_gt_f64_e32 vcc_lo, 0, v[232:233]
	v_mov_b32_e32 v214, v230
	v_cndmask_b32_e32 v217, v233, v216, vcc_lo
	v_cmp_gt_f64_e32 vcc_lo, 0, v[245:246]
	v_mov_b32_e32 v216, v232
	v_add_f64 v[214:215], v[214:215], v[216:217]
	v_xor_b32_e32 v216, 0x80000000, v246
	v_cndmask_b32_e32 v217, v246, v216, vcc_lo
	v_cmp_gt_f64_e32 vcc_lo, 0, v[247:248]
	v_mov_b32_e32 v216, v245
	v_cndmask_b32_e32 v219, v248, v218, vcc_lo
	v_mov_b32_e32 v218, v247
	v_add_f64 v[216:217], v[216:217], v[218:219]
	v_cmp_lt_f64_e32 vcc_lo, v[214:215], v[216:217]
	v_cndmask_b32_e32 v231, v231, v246, vcc_lo
	v_cndmask_b32_e32 v230, v230, v245, vcc_lo
	;; [unrolled: 1-line block ×4, first 2 shown]
	v_cndmask_b32_e64 v238, v238, s0, vcc_lo
	s_add_i32 s0, s0, 1
	s_cmp_lg_u32 s8, s0
	s_cbranch_scc1 .LBB112_1072
.LBB112_1073:
	s_inst_prefetch 0x2
	s_waitcnt lgkmcnt(0)
	v_cmp_eq_f64_e32 vcc_lo, 0, v[230:231]
	v_cmp_eq_f64_e64 s0, 0, v[232:233]
	s_and_b32 s0, vcc_lo, s0
	s_and_saveexec_b32 s1, s0
	s_xor_b32 s0, exec_lo, s1
; %bb.1074:
	v_cmp_ne_u32_e32 vcc_lo, 0, v243
	v_cndmask_b32_e32 v243, 52, v243, vcc_lo
; %bb.1075:
	s_andn2_saveexec_b32 s0, s0
	s_cbranch_execz .LBB112_1081
; %bb.1076:
	v_cmp_ngt_f64_e64 s1, |v[230:231]|, |v[232:233]|
	s_and_saveexec_b32 s7, s1
	s_xor_b32 s1, exec_lo, s7
	s_cbranch_execz .LBB112_1078
; %bb.1077:
	v_div_scale_f64 v[214:215], null, v[232:233], v[232:233], v[230:231]
	v_div_scale_f64 v[220:221], vcc_lo, v[230:231], v[232:233], v[230:231]
	v_rcp_f64_e32 v[216:217], v[214:215]
	v_fma_f64 v[218:219], -v[214:215], v[216:217], 1.0
	v_fma_f64 v[216:217], v[216:217], v[218:219], v[216:217]
	v_fma_f64 v[218:219], -v[214:215], v[216:217], 1.0
	v_fma_f64 v[216:217], v[216:217], v[218:219], v[216:217]
	v_mul_f64 v[218:219], v[220:221], v[216:217]
	v_fma_f64 v[214:215], -v[214:215], v[218:219], v[220:221]
	v_div_fmas_f64 v[214:215], v[214:215], v[216:217], v[218:219]
	v_div_fixup_f64 v[214:215], v[214:215], v[232:233], v[230:231]
	v_fma_f64 v[216:217], v[230:231], v[214:215], v[232:233]
	v_div_scale_f64 v[218:219], null, v[216:217], v[216:217], 1.0
	v_rcp_f64_e32 v[220:221], v[218:219]
	v_fma_f64 v[222:223], -v[218:219], v[220:221], 1.0
	v_fma_f64 v[220:221], v[220:221], v[222:223], v[220:221]
	v_fma_f64 v[222:223], -v[218:219], v[220:221], 1.0
	v_fma_f64 v[220:221], v[220:221], v[222:223], v[220:221]
	v_div_scale_f64 v[222:223], vcc_lo, 1.0, v[216:217], 1.0
	v_mul_f64 v[224:225], v[222:223], v[220:221]
	v_fma_f64 v[218:219], -v[218:219], v[224:225], v[222:223]
	v_div_fmas_f64 v[218:219], v[218:219], v[220:221], v[224:225]
	v_div_fixup_f64 v[232:233], v[218:219], v[216:217], 1.0
	v_mul_f64 v[230:231], v[214:215], v[232:233]
	v_xor_b32_e32 v233, 0x80000000, v233
.LBB112_1078:
	s_andn2_saveexec_b32 s1, s1
	s_cbranch_execz .LBB112_1080
; %bb.1079:
	v_div_scale_f64 v[214:215], null, v[230:231], v[230:231], v[232:233]
	v_div_scale_f64 v[220:221], vcc_lo, v[232:233], v[230:231], v[232:233]
	v_rcp_f64_e32 v[216:217], v[214:215]
	v_fma_f64 v[218:219], -v[214:215], v[216:217], 1.0
	v_fma_f64 v[216:217], v[216:217], v[218:219], v[216:217]
	v_fma_f64 v[218:219], -v[214:215], v[216:217], 1.0
	v_fma_f64 v[216:217], v[216:217], v[218:219], v[216:217]
	v_mul_f64 v[218:219], v[220:221], v[216:217]
	v_fma_f64 v[214:215], -v[214:215], v[218:219], v[220:221]
	v_div_fmas_f64 v[214:215], v[214:215], v[216:217], v[218:219]
	v_div_fixup_f64 v[214:215], v[214:215], v[230:231], v[232:233]
	v_fma_f64 v[216:217], v[232:233], v[214:215], v[230:231]
	v_div_scale_f64 v[218:219], null, v[216:217], v[216:217], 1.0
	v_rcp_f64_e32 v[220:221], v[218:219]
	v_fma_f64 v[222:223], -v[218:219], v[220:221], 1.0
	v_fma_f64 v[220:221], v[220:221], v[222:223], v[220:221]
	v_fma_f64 v[222:223], -v[218:219], v[220:221], 1.0
	v_fma_f64 v[220:221], v[220:221], v[222:223], v[220:221]
	v_div_scale_f64 v[222:223], vcc_lo, 1.0, v[216:217], 1.0
	v_mul_f64 v[224:225], v[222:223], v[220:221]
	v_fma_f64 v[218:219], -v[218:219], v[224:225], v[222:223]
	v_div_fmas_f64 v[218:219], v[218:219], v[220:221], v[224:225]
	v_div_fixup_f64 v[230:231], v[218:219], v[216:217], 1.0
	v_mul_f64 v[232:233], v[214:215], -v[230:231]
.LBB112_1080:
	s_or_b32 exec_lo, exec_lo, s1
.LBB112_1081:
	s_or_b32 exec_lo, exec_lo, s0
	s_mov_b32 s0, exec_lo
	v_cmpx_ne_u32_e64 v244, v238
	s_xor_b32 s0, exec_lo, s0
	s_cbranch_execz .LBB112_1087
; %bb.1082:
	s_mov_b32 s1, exec_lo
	v_cmpx_eq_u32_e32 51, v244
	s_cbranch_execz .LBB112_1086
; %bb.1083:
	v_cmp_ne_u32_e32 vcc_lo, 51, v238
	s_xor_b32 s7, s16, -1
	s_and_b32 s9, s7, vcc_lo
	s_and_saveexec_b32 s7, s9
	s_cbranch_execz .LBB112_1085
; %bb.1084:
	s_clause 0x1
	buffer_load_dword v210, off, s[20:23], 0
	buffer_load_dword v211, off, s[20:23], 0 offset:4
	v_ashrrev_i32_e32 v239, 31, v238
	v_lshlrev_b64 v[214:215], 2, v[238:239]
	s_waitcnt vmcnt(1)
	v_add_co_u32 v214, vcc_lo, v210, v214
	s_waitcnt vmcnt(0)
	v_add_co_ci_u32_e64 v215, null, v211, v215, vcc_lo
	s_clause 0x1
	global_load_dword v0, v[214:215], off
	global_load_dword v216, v[210:211], off offset:204
	s_waitcnt vmcnt(1)
	global_store_dword v[210:211], v0, off offset:204
	s_waitcnt vmcnt(0)
	global_store_dword v[214:215], v216, off
.LBB112_1085:
	s_or_b32 exec_lo, exec_lo, s7
	v_mov_b32_e32 v244, v238
	v_mov_b32_e32 v0, v238
.LBB112_1086:
	s_or_b32 exec_lo, exec_lo, s1
.LBB112_1087:
	s_andn2_saveexec_b32 s0, s0
	s_cbranch_execz .LBB112_1089
; %bb.1088:
	v_mov_b32_e32 v244, 51
	ds_write2_b64 v1, v[18:19], v[20:21] offset0:104 offset1:105
	ds_write2_b64 v1, v[14:15], v[16:17] offset0:106 offset1:107
	;; [unrolled: 1-line block ×5, first 2 shown]
.LBB112_1089:
	s_or_b32 exec_lo, exec_lo, s0
	s_mov_b32 s0, exec_lo
	s_waitcnt lgkmcnt(0)
	s_waitcnt_vscnt null, 0x0
	s_barrier
	buffer_gl0_inv
	v_cmpx_lt_i32_e32 51, v244
	s_cbranch_execz .LBB112_1091
; %bb.1090:
	v_mul_f64 v[214:215], v[230:231], v[24:25]
	v_mul_f64 v[24:25], v[232:233], v[24:25]
	v_fma_f64 v[214:215], v[232:233], v[22:23], v[214:215]
	v_fma_f64 v[22:23], v[230:231], v[22:23], -v[24:25]
	ds_read2_b64 v[230:233], v1 offset0:104 offset1:105
	s_waitcnt lgkmcnt(0)
	v_mul_f64 v[24:25], v[232:233], v[214:215]
	v_mul_f64 v[216:217], v[230:231], v[214:215]
	v_fma_f64 v[24:25], v[230:231], v[22:23], -v[24:25]
	v_fma_f64 v[216:217], v[232:233], v[22:23], v[216:217]
	ds_read2_b64 v[230:233], v1 offset0:106 offset1:107
	v_add_f64 v[18:19], v[18:19], -v[24:25]
	v_add_f64 v[20:21], v[20:21], -v[216:217]
	s_waitcnt lgkmcnt(0)
	v_mul_f64 v[24:25], v[232:233], v[214:215]
	v_mul_f64 v[216:217], v[230:231], v[214:215]
	v_fma_f64 v[24:25], v[230:231], v[22:23], -v[24:25]
	v_fma_f64 v[216:217], v[232:233], v[22:23], v[216:217]
	ds_read2_b64 v[230:233], v1 offset0:108 offset1:109
	v_add_f64 v[14:15], v[14:15], -v[24:25]
	v_add_f64 v[16:17], v[16:17], -v[216:217]
	;; [unrolled: 8-line block ×4, first 2 shown]
	s_waitcnt lgkmcnt(0)
	v_mul_f64 v[24:25], v[232:233], v[214:215]
	v_mul_f64 v[216:217], v[230:231], v[214:215]
	v_fma_f64 v[24:25], v[230:231], v[22:23], -v[24:25]
	v_fma_f64 v[216:217], v[232:233], v[22:23], v[216:217]
	v_add_f64 v[250:251], v[250:251], -v[24:25]
	v_add_f64 v[252:253], v[252:253], -v[216:217]
	v_mov_b32_e32 v24, v214
	v_mov_b32_e32 v25, v215
.LBB112_1091:
	s_or_b32 exec_lo, exec_lo, s0
	v_lshl_add_u32 v214, v244, 4, v1
	s_barrier
	buffer_gl0_inv
	v_mov_b32_e32 v238, 52
	ds_write2_b64 v214, v[18:19], v[20:21] offset1:1
	s_waitcnt lgkmcnt(0)
	s_barrier
	buffer_gl0_inv
	ds_read2_b64 v[230:233], v1 offset0:104 offset1:105
	s_cmp_lt_i32 s8, 54
	s_cbranch_scc1 .LBB112_1094
; %bb.1092:
	v_add3_u32 v239, v228, 0, 0x350
	v_mov_b32_e32 v238, 52
	s_mov_b32 s0, 53
	s_inst_prefetch 0x1
	.p2align	6
.LBB112_1093:                           ; =>This Inner Loop Header: Depth=1
	s_waitcnt lgkmcnt(0)
	v_cmp_gt_f64_e32 vcc_lo, 0, v[230:231]
	v_xor_b32_e32 v214, 0x80000000, v231
	ds_read2_b64 v[245:248], v239 offset1:1
	v_xor_b32_e32 v216, 0x80000000, v233
	v_add_nc_u32_e32 v239, 16, v239
	s_waitcnt lgkmcnt(0)
	v_xor_b32_e32 v218, 0x80000000, v248
	v_cndmask_b32_e32 v215, v231, v214, vcc_lo
	v_cmp_gt_f64_e32 vcc_lo, 0, v[232:233]
	v_mov_b32_e32 v214, v230
	v_cndmask_b32_e32 v217, v233, v216, vcc_lo
	v_cmp_gt_f64_e32 vcc_lo, 0, v[245:246]
	v_mov_b32_e32 v216, v232
	v_add_f64 v[214:215], v[214:215], v[216:217]
	v_xor_b32_e32 v216, 0x80000000, v246
	v_cndmask_b32_e32 v217, v246, v216, vcc_lo
	v_cmp_gt_f64_e32 vcc_lo, 0, v[247:248]
	v_mov_b32_e32 v216, v245
	v_cndmask_b32_e32 v219, v248, v218, vcc_lo
	v_mov_b32_e32 v218, v247
	v_add_f64 v[216:217], v[216:217], v[218:219]
	v_cmp_lt_f64_e32 vcc_lo, v[214:215], v[216:217]
	v_cndmask_b32_e32 v231, v231, v246, vcc_lo
	v_cndmask_b32_e32 v230, v230, v245, vcc_lo
	;; [unrolled: 1-line block ×4, first 2 shown]
	v_cndmask_b32_e64 v238, v238, s0, vcc_lo
	s_add_i32 s0, s0, 1
	s_cmp_lg_u32 s8, s0
	s_cbranch_scc1 .LBB112_1093
.LBB112_1094:
	s_inst_prefetch 0x2
	s_waitcnt lgkmcnt(0)
	v_cmp_eq_f64_e32 vcc_lo, 0, v[230:231]
	v_cmp_eq_f64_e64 s0, 0, v[232:233]
	s_and_b32 s0, vcc_lo, s0
	s_and_saveexec_b32 s1, s0
	s_xor_b32 s0, exec_lo, s1
; %bb.1095:
	v_cmp_ne_u32_e32 vcc_lo, 0, v243
	v_cndmask_b32_e32 v243, 53, v243, vcc_lo
; %bb.1096:
	s_andn2_saveexec_b32 s0, s0
	s_cbranch_execz .LBB112_1102
; %bb.1097:
	v_cmp_ngt_f64_e64 s1, |v[230:231]|, |v[232:233]|
	s_and_saveexec_b32 s7, s1
	s_xor_b32 s1, exec_lo, s7
	s_cbranch_execz .LBB112_1099
; %bb.1098:
	v_div_scale_f64 v[214:215], null, v[232:233], v[232:233], v[230:231]
	v_div_scale_f64 v[220:221], vcc_lo, v[230:231], v[232:233], v[230:231]
	v_rcp_f64_e32 v[216:217], v[214:215]
	v_fma_f64 v[218:219], -v[214:215], v[216:217], 1.0
	v_fma_f64 v[216:217], v[216:217], v[218:219], v[216:217]
	v_fma_f64 v[218:219], -v[214:215], v[216:217], 1.0
	v_fma_f64 v[216:217], v[216:217], v[218:219], v[216:217]
	v_mul_f64 v[218:219], v[220:221], v[216:217]
	v_fma_f64 v[214:215], -v[214:215], v[218:219], v[220:221]
	v_div_fmas_f64 v[214:215], v[214:215], v[216:217], v[218:219]
	v_div_fixup_f64 v[214:215], v[214:215], v[232:233], v[230:231]
	v_fma_f64 v[216:217], v[230:231], v[214:215], v[232:233]
	v_div_scale_f64 v[218:219], null, v[216:217], v[216:217], 1.0
	v_rcp_f64_e32 v[220:221], v[218:219]
	v_fma_f64 v[222:223], -v[218:219], v[220:221], 1.0
	v_fma_f64 v[220:221], v[220:221], v[222:223], v[220:221]
	v_fma_f64 v[222:223], -v[218:219], v[220:221], 1.0
	v_fma_f64 v[220:221], v[220:221], v[222:223], v[220:221]
	v_div_scale_f64 v[222:223], vcc_lo, 1.0, v[216:217], 1.0
	v_mul_f64 v[224:225], v[222:223], v[220:221]
	v_fma_f64 v[218:219], -v[218:219], v[224:225], v[222:223]
	v_div_fmas_f64 v[218:219], v[218:219], v[220:221], v[224:225]
	v_div_fixup_f64 v[232:233], v[218:219], v[216:217], 1.0
	v_mul_f64 v[230:231], v[214:215], v[232:233]
	v_xor_b32_e32 v233, 0x80000000, v233
.LBB112_1099:
	s_andn2_saveexec_b32 s1, s1
	s_cbranch_execz .LBB112_1101
; %bb.1100:
	v_div_scale_f64 v[214:215], null, v[230:231], v[230:231], v[232:233]
	v_div_scale_f64 v[220:221], vcc_lo, v[232:233], v[230:231], v[232:233]
	v_rcp_f64_e32 v[216:217], v[214:215]
	v_fma_f64 v[218:219], -v[214:215], v[216:217], 1.0
	v_fma_f64 v[216:217], v[216:217], v[218:219], v[216:217]
	v_fma_f64 v[218:219], -v[214:215], v[216:217], 1.0
	v_fma_f64 v[216:217], v[216:217], v[218:219], v[216:217]
	v_mul_f64 v[218:219], v[220:221], v[216:217]
	v_fma_f64 v[214:215], -v[214:215], v[218:219], v[220:221]
	v_div_fmas_f64 v[214:215], v[214:215], v[216:217], v[218:219]
	v_div_fixup_f64 v[214:215], v[214:215], v[230:231], v[232:233]
	v_fma_f64 v[216:217], v[232:233], v[214:215], v[230:231]
	v_div_scale_f64 v[218:219], null, v[216:217], v[216:217], 1.0
	v_rcp_f64_e32 v[220:221], v[218:219]
	v_fma_f64 v[222:223], -v[218:219], v[220:221], 1.0
	v_fma_f64 v[220:221], v[220:221], v[222:223], v[220:221]
	v_fma_f64 v[222:223], -v[218:219], v[220:221], 1.0
	v_fma_f64 v[220:221], v[220:221], v[222:223], v[220:221]
	v_div_scale_f64 v[222:223], vcc_lo, 1.0, v[216:217], 1.0
	v_mul_f64 v[224:225], v[222:223], v[220:221]
	v_fma_f64 v[218:219], -v[218:219], v[224:225], v[222:223]
	v_div_fmas_f64 v[218:219], v[218:219], v[220:221], v[224:225]
	v_div_fixup_f64 v[230:231], v[218:219], v[216:217], 1.0
	v_mul_f64 v[232:233], v[214:215], -v[230:231]
.LBB112_1101:
	s_or_b32 exec_lo, exec_lo, s1
.LBB112_1102:
	s_or_b32 exec_lo, exec_lo, s0
	s_mov_b32 s0, exec_lo
	v_cmpx_ne_u32_e64 v244, v238
	s_xor_b32 s0, exec_lo, s0
	s_cbranch_execz .LBB112_1108
; %bb.1103:
	s_mov_b32 s1, exec_lo
	v_cmpx_eq_u32_e32 52, v244
	s_cbranch_execz .LBB112_1107
; %bb.1104:
	v_cmp_ne_u32_e32 vcc_lo, 52, v238
	s_xor_b32 s7, s16, -1
	s_and_b32 s9, s7, vcc_lo
	s_and_saveexec_b32 s7, s9
	s_cbranch_execz .LBB112_1106
; %bb.1105:
	s_clause 0x1
	buffer_load_dword v210, off, s[20:23], 0
	buffer_load_dword v211, off, s[20:23], 0 offset:4
	v_ashrrev_i32_e32 v239, 31, v238
	v_lshlrev_b64 v[214:215], 2, v[238:239]
	s_waitcnt vmcnt(1)
	v_add_co_u32 v214, vcc_lo, v210, v214
	s_waitcnt vmcnt(0)
	v_add_co_ci_u32_e64 v215, null, v211, v215, vcc_lo
	s_clause 0x1
	global_load_dword v0, v[214:215], off
	global_load_dword v216, v[210:211], off offset:208
	s_waitcnt vmcnt(1)
	global_store_dword v[210:211], v0, off offset:208
	s_waitcnt vmcnt(0)
	global_store_dword v[214:215], v216, off
.LBB112_1106:
	s_or_b32 exec_lo, exec_lo, s7
	v_mov_b32_e32 v244, v238
	v_mov_b32_e32 v0, v238
.LBB112_1107:
	s_or_b32 exec_lo, exec_lo, s1
.LBB112_1108:
	s_andn2_saveexec_b32 s0, s0
	s_cbranch_execz .LBB112_1110
; %bb.1109:
	v_mov_b32_e32 v244, 52
	ds_write2_b64 v1, v[14:15], v[16:17] offset0:106 offset1:107
	ds_write2_b64 v1, v[10:11], v[12:13] offset0:108 offset1:109
	;; [unrolled: 1-line block ×4, first 2 shown]
.LBB112_1110:
	s_or_b32 exec_lo, exec_lo, s0
	s_mov_b32 s0, exec_lo
	s_waitcnt lgkmcnt(0)
	s_waitcnt_vscnt null, 0x0
	s_barrier
	buffer_gl0_inv
	v_cmpx_lt_i32_e32 52, v244
	s_cbranch_execz .LBB112_1112
; %bb.1111:
	v_mul_f64 v[214:215], v[230:231], v[20:21]
	v_mul_f64 v[20:21], v[232:233], v[20:21]
	v_fma_f64 v[214:215], v[232:233], v[18:19], v[214:215]
	v_fma_f64 v[18:19], v[230:231], v[18:19], -v[20:21]
	ds_read2_b64 v[230:233], v1 offset0:106 offset1:107
	s_waitcnt lgkmcnt(0)
	v_mul_f64 v[20:21], v[232:233], v[214:215]
	v_mul_f64 v[216:217], v[230:231], v[214:215]
	v_fma_f64 v[20:21], v[230:231], v[18:19], -v[20:21]
	v_fma_f64 v[216:217], v[232:233], v[18:19], v[216:217]
	ds_read2_b64 v[230:233], v1 offset0:108 offset1:109
	v_add_f64 v[14:15], v[14:15], -v[20:21]
	v_add_f64 v[16:17], v[16:17], -v[216:217]
	s_waitcnt lgkmcnt(0)
	v_mul_f64 v[20:21], v[232:233], v[214:215]
	v_mul_f64 v[216:217], v[230:231], v[214:215]
	v_fma_f64 v[20:21], v[230:231], v[18:19], -v[20:21]
	v_fma_f64 v[216:217], v[232:233], v[18:19], v[216:217]
	ds_read2_b64 v[230:233], v1 offset0:110 offset1:111
	v_add_f64 v[10:11], v[10:11], -v[20:21]
	v_add_f64 v[12:13], v[12:13], -v[216:217]
	;; [unrolled: 8-line block ×3, first 2 shown]
	s_waitcnt lgkmcnt(0)
	v_mul_f64 v[20:21], v[232:233], v[214:215]
	v_mul_f64 v[216:217], v[230:231], v[214:215]
	v_fma_f64 v[20:21], v[230:231], v[18:19], -v[20:21]
	v_fma_f64 v[216:217], v[232:233], v[18:19], v[216:217]
	v_add_f64 v[250:251], v[250:251], -v[20:21]
	v_add_f64 v[252:253], v[252:253], -v[216:217]
	v_mov_b32_e32 v20, v214
	v_mov_b32_e32 v21, v215
.LBB112_1112:
	s_or_b32 exec_lo, exec_lo, s0
	v_lshl_add_u32 v214, v244, 4, v1
	s_barrier
	buffer_gl0_inv
	v_mov_b32_e32 v238, 53
	ds_write2_b64 v214, v[14:15], v[16:17] offset1:1
	s_waitcnt lgkmcnt(0)
	s_barrier
	buffer_gl0_inv
	ds_read2_b64 v[230:233], v1 offset0:106 offset1:107
	s_cmp_lt_i32 s8, 55
	s_cbranch_scc1 .LBB112_1115
; %bb.1113:
	v_add3_u32 v239, v228, 0, 0x360
	v_mov_b32_e32 v238, 53
	s_mov_b32 s0, 54
	s_inst_prefetch 0x1
	.p2align	6
.LBB112_1114:                           ; =>This Inner Loop Header: Depth=1
	s_waitcnt lgkmcnt(0)
	v_cmp_gt_f64_e32 vcc_lo, 0, v[230:231]
	v_xor_b32_e32 v214, 0x80000000, v231
	ds_read2_b64 v[245:248], v239 offset1:1
	v_xor_b32_e32 v216, 0x80000000, v233
	v_add_nc_u32_e32 v239, 16, v239
	s_waitcnt lgkmcnt(0)
	v_xor_b32_e32 v218, 0x80000000, v248
	v_cndmask_b32_e32 v215, v231, v214, vcc_lo
	v_cmp_gt_f64_e32 vcc_lo, 0, v[232:233]
	v_mov_b32_e32 v214, v230
	v_cndmask_b32_e32 v217, v233, v216, vcc_lo
	v_cmp_gt_f64_e32 vcc_lo, 0, v[245:246]
	v_mov_b32_e32 v216, v232
	v_add_f64 v[214:215], v[214:215], v[216:217]
	v_xor_b32_e32 v216, 0x80000000, v246
	v_cndmask_b32_e32 v217, v246, v216, vcc_lo
	v_cmp_gt_f64_e32 vcc_lo, 0, v[247:248]
	v_mov_b32_e32 v216, v245
	v_cndmask_b32_e32 v219, v248, v218, vcc_lo
	v_mov_b32_e32 v218, v247
	v_add_f64 v[216:217], v[216:217], v[218:219]
	v_cmp_lt_f64_e32 vcc_lo, v[214:215], v[216:217]
	v_cndmask_b32_e32 v231, v231, v246, vcc_lo
	v_cndmask_b32_e32 v230, v230, v245, vcc_lo
	;; [unrolled: 1-line block ×4, first 2 shown]
	v_cndmask_b32_e64 v238, v238, s0, vcc_lo
	s_add_i32 s0, s0, 1
	s_cmp_lg_u32 s8, s0
	s_cbranch_scc1 .LBB112_1114
.LBB112_1115:
	s_inst_prefetch 0x2
	s_waitcnt lgkmcnt(0)
	v_cmp_eq_f64_e32 vcc_lo, 0, v[230:231]
	v_cmp_eq_f64_e64 s0, 0, v[232:233]
	s_and_b32 s0, vcc_lo, s0
	s_and_saveexec_b32 s1, s0
	s_xor_b32 s0, exec_lo, s1
; %bb.1116:
	v_cmp_ne_u32_e32 vcc_lo, 0, v243
	v_cndmask_b32_e32 v243, 54, v243, vcc_lo
; %bb.1117:
	s_andn2_saveexec_b32 s0, s0
	s_cbranch_execz .LBB112_1123
; %bb.1118:
	v_cmp_ngt_f64_e64 s1, |v[230:231]|, |v[232:233]|
	s_and_saveexec_b32 s7, s1
	s_xor_b32 s1, exec_lo, s7
	s_cbranch_execz .LBB112_1120
; %bb.1119:
	v_div_scale_f64 v[214:215], null, v[232:233], v[232:233], v[230:231]
	v_div_scale_f64 v[220:221], vcc_lo, v[230:231], v[232:233], v[230:231]
	v_rcp_f64_e32 v[216:217], v[214:215]
	v_fma_f64 v[218:219], -v[214:215], v[216:217], 1.0
	v_fma_f64 v[216:217], v[216:217], v[218:219], v[216:217]
	v_fma_f64 v[218:219], -v[214:215], v[216:217], 1.0
	v_fma_f64 v[216:217], v[216:217], v[218:219], v[216:217]
	v_mul_f64 v[218:219], v[220:221], v[216:217]
	v_fma_f64 v[214:215], -v[214:215], v[218:219], v[220:221]
	v_div_fmas_f64 v[214:215], v[214:215], v[216:217], v[218:219]
	v_div_fixup_f64 v[214:215], v[214:215], v[232:233], v[230:231]
	v_fma_f64 v[216:217], v[230:231], v[214:215], v[232:233]
	v_div_scale_f64 v[218:219], null, v[216:217], v[216:217], 1.0
	v_rcp_f64_e32 v[220:221], v[218:219]
	v_fma_f64 v[222:223], -v[218:219], v[220:221], 1.0
	v_fma_f64 v[220:221], v[220:221], v[222:223], v[220:221]
	v_fma_f64 v[222:223], -v[218:219], v[220:221], 1.0
	v_fma_f64 v[220:221], v[220:221], v[222:223], v[220:221]
	v_div_scale_f64 v[222:223], vcc_lo, 1.0, v[216:217], 1.0
	v_mul_f64 v[224:225], v[222:223], v[220:221]
	v_fma_f64 v[218:219], -v[218:219], v[224:225], v[222:223]
	v_div_fmas_f64 v[218:219], v[218:219], v[220:221], v[224:225]
	v_div_fixup_f64 v[232:233], v[218:219], v[216:217], 1.0
	v_mul_f64 v[230:231], v[214:215], v[232:233]
	v_xor_b32_e32 v233, 0x80000000, v233
.LBB112_1120:
	s_andn2_saveexec_b32 s1, s1
	s_cbranch_execz .LBB112_1122
; %bb.1121:
	v_div_scale_f64 v[214:215], null, v[230:231], v[230:231], v[232:233]
	v_div_scale_f64 v[220:221], vcc_lo, v[232:233], v[230:231], v[232:233]
	v_rcp_f64_e32 v[216:217], v[214:215]
	v_fma_f64 v[218:219], -v[214:215], v[216:217], 1.0
	v_fma_f64 v[216:217], v[216:217], v[218:219], v[216:217]
	v_fma_f64 v[218:219], -v[214:215], v[216:217], 1.0
	v_fma_f64 v[216:217], v[216:217], v[218:219], v[216:217]
	v_mul_f64 v[218:219], v[220:221], v[216:217]
	v_fma_f64 v[214:215], -v[214:215], v[218:219], v[220:221]
	v_div_fmas_f64 v[214:215], v[214:215], v[216:217], v[218:219]
	v_div_fixup_f64 v[214:215], v[214:215], v[230:231], v[232:233]
	v_fma_f64 v[216:217], v[232:233], v[214:215], v[230:231]
	v_div_scale_f64 v[218:219], null, v[216:217], v[216:217], 1.0
	v_rcp_f64_e32 v[220:221], v[218:219]
	v_fma_f64 v[222:223], -v[218:219], v[220:221], 1.0
	v_fma_f64 v[220:221], v[220:221], v[222:223], v[220:221]
	v_fma_f64 v[222:223], -v[218:219], v[220:221], 1.0
	v_fma_f64 v[220:221], v[220:221], v[222:223], v[220:221]
	v_div_scale_f64 v[222:223], vcc_lo, 1.0, v[216:217], 1.0
	v_mul_f64 v[224:225], v[222:223], v[220:221]
	v_fma_f64 v[218:219], -v[218:219], v[224:225], v[222:223]
	v_div_fmas_f64 v[218:219], v[218:219], v[220:221], v[224:225]
	v_div_fixup_f64 v[230:231], v[218:219], v[216:217], 1.0
	v_mul_f64 v[232:233], v[214:215], -v[230:231]
.LBB112_1122:
	s_or_b32 exec_lo, exec_lo, s1
.LBB112_1123:
	s_or_b32 exec_lo, exec_lo, s0
	s_mov_b32 s0, exec_lo
	v_cmpx_ne_u32_e64 v244, v238
	s_xor_b32 s0, exec_lo, s0
	s_cbranch_execz .LBB112_1129
; %bb.1124:
	s_mov_b32 s1, exec_lo
	v_cmpx_eq_u32_e32 53, v244
	s_cbranch_execz .LBB112_1128
; %bb.1125:
	v_cmp_ne_u32_e32 vcc_lo, 53, v238
	s_xor_b32 s7, s16, -1
	s_and_b32 s9, s7, vcc_lo
	s_and_saveexec_b32 s7, s9
	s_cbranch_execz .LBB112_1127
; %bb.1126:
	s_clause 0x1
	buffer_load_dword v210, off, s[20:23], 0
	buffer_load_dword v211, off, s[20:23], 0 offset:4
	v_ashrrev_i32_e32 v239, 31, v238
	v_lshlrev_b64 v[214:215], 2, v[238:239]
	s_waitcnt vmcnt(1)
	v_add_co_u32 v214, vcc_lo, v210, v214
	s_waitcnt vmcnt(0)
	v_add_co_ci_u32_e64 v215, null, v211, v215, vcc_lo
	s_clause 0x1
	global_load_dword v0, v[214:215], off
	global_load_dword v216, v[210:211], off offset:212
	s_waitcnt vmcnt(1)
	global_store_dword v[210:211], v0, off offset:212
	s_waitcnt vmcnt(0)
	global_store_dword v[214:215], v216, off
.LBB112_1127:
	s_or_b32 exec_lo, exec_lo, s7
	v_mov_b32_e32 v244, v238
	v_mov_b32_e32 v0, v238
.LBB112_1128:
	s_or_b32 exec_lo, exec_lo, s1
.LBB112_1129:
	s_andn2_saveexec_b32 s0, s0
	s_cbranch_execz .LBB112_1131
; %bb.1130:
	v_mov_b32_e32 v244, 53
	ds_write2_b64 v1, v[10:11], v[12:13] offset0:108 offset1:109
	ds_write2_b64 v1, v[6:7], v[8:9] offset0:110 offset1:111
	;; [unrolled: 1-line block ×3, first 2 shown]
.LBB112_1131:
	s_or_b32 exec_lo, exec_lo, s0
	s_mov_b32 s0, exec_lo
	s_waitcnt lgkmcnt(0)
	s_waitcnt_vscnt null, 0x0
	s_barrier
	buffer_gl0_inv
	v_cmpx_lt_i32_e32 53, v244
	s_cbranch_execz .LBB112_1133
; %bb.1132:
	v_mul_f64 v[214:215], v[230:231], v[16:17]
	v_mul_f64 v[16:17], v[232:233], v[16:17]
	v_fma_f64 v[214:215], v[232:233], v[14:15], v[214:215]
	v_fma_f64 v[14:15], v[230:231], v[14:15], -v[16:17]
	ds_read2_b64 v[230:233], v1 offset0:108 offset1:109
	s_waitcnt lgkmcnt(0)
	v_mul_f64 v[16:17], v[232:233], v[214:215]
	v_mul_f64 v[216:217], v[230:231], v[214:215]
	v_fma_f64 v[16:17], v[230:231], v[14:15], -v[16:17]
	v_fma_f64 v[216:217], v[232:233], v[14:15], v[216:217]
	ds_read2_b64 v[230:233], v1 offset0:110 offset1:111
	v_add_f64 v[10:11], v[10:11], -v[16:17]
	v_add_f64 v[12:13], v[12:13], -v[216:217]
	s_waitcnt lgkmcnt(0)
	v_mul_f64 v[16:17], v[232:233], v[214:215]
	v_mul_f64 v[216:217], v[230:231], v[214:215]
	v_fma_f64 v[16:17], v[230:231], v[14:15], -v[16:17]
	v_fma_f64 v[216:217], v[232:233], v[14:15], v[216:217]
	ds_read2_b64 v[230:233], v1 offset0:112 offset1:113
	v_add_f64 v[6:7], v[6:7], -v[16:17]
	v_add_f64 v[8:9], v[8:9], -v[216:217]
	s_waitcnt lgkmcnt(0)
	v_mul_f64 v[16:17], v[232:233], v[214:215]
	v_mul_f64 v[216:217], v[230:231], v[214:215]
	v_fma_f64 v[16:17], v[230:231], v[14:15], -v[16:17]
	v_fma_f64 v[216:217], v[232:233], v[14:15], v[216:217]
	v_add_f64 v[250:251], v[250:251], -v[16:17]
	v_add_f64 v[252:253], v[252:253], -v[216:217]
	v_mov_b32_e32 v16, v214
	v_mov_b32_e32 v17, v215
.LBB112_1133:
	s_or_b32 exec_lo, exec_lo, s0
	v_lshl_add_u32 v214, v244, 4, v1
	s_barrier
	buffer_gl0_inv
	v_mov_b32_e32 v238, 54
	ds_write2_b64 v214, v[10:11], v[12:13] offset1:1
	s_waitcnt lgkmcnt(0)
	s_barrier
	buffer_gl0_inv
	ds_read2_b64 v[230:233], v1 offset0:108 offset1:109
	s_cmp_lt_i32 s8, 56
	s_cbranch_scc1 .LBB112_1136
; %bb.1134:
	v_add3_u32 v239, v228, 0, 0x370
	v_mov_b32_e32 v238, 54
	s_mov_b32 s0, 55
	s_inst_prefetch 0x1
	.p2align	6
.LBB112_1135:                           ; =>This Inner Loop Header: Depth=1
	s_waitcnt lgkmcnt(0)
	v_cmp_gt_f64_e32 vcc_lo, 0, v[230:231]
	v_xor_b32_e32 v214, 0x80000000, v231
	ds_read2_b64 v[245:248], v239 offset1:1
	v_xor_b32_e32 v216, 0x80000000, v233
	v_add_nc_u32_e32 v239, 16, v239
	s_waitcnt lgkmcnt(0)
	v_xor_b32_e32 v218, 0x80000000, v248
	v_cndmask_b32_e32 v215, v231, v214, vcc_lo
	v_cmp_gt_f64_e32 vcc_lo, 0, v[232:233]
	v_mov_b32_e32 v214, v230
	v_cndmask_b32_e32 v217, v233, v216, vcc_lo
	v_cmp_gt_f64_e32 vcc_lo, 0, v[245:246]
	v_mov_b32_e32 v216, v232
	v_add_f64 v[214:215], v[214:215], v[216:217]
	v_xor_b32_e32 v216, 0x80000000, v246
	v_cndmask_b32_e32 v217, v246, v216, vcc_lo
	v_cmp_gt_f64_e32 vcc_lo, 0, v[247:248]
	v_mov_b32_e32 v216, v245
	v_cndmask_b32_e32 v219, v248, v218, vcc_lo
	v_mov_b32_e32 v218, v247
	v_add_f64 v[216:217], v[216:217], v[218:219]
	v_cmp_lt_f64_e32 vcc_lo, v[214:215], v[216:217]
	v_cndmask_b32_e32 v231, v231, v246, vcc_lo
	v_cndmask_b32_e32 v230, v230, v245, vcc_lo
	;; [unrolled: 1-line block ×4, first 2 shown]
	v_cndmask_b32_e64 v238, v238, s0, vcc_lo
	s_add_i32 s0, s0, 1
	s_cmp_lg_u32 s8, s0
	s_cbranch_scc1 .LBB112_1135
.LBB112_1136:
	s_inst_prefetch 0x2
	s_waitcnt lgkmcnt(0)
	v_cmp_eq_f64_e32 vcc_lo, 0, v[230:231]
	v_cmp_eq_f64_e64 s0, 0, v[232:233]
	s_and_b32 s0, vcc_lo, s0
	s_and_saveexec_b32 s1, s0
	s_xor_b32 s0, exec_lo, s1
; %bb.1137:
	v_cmp_ne_u32_e32 vcc_lo, 0, v243
	v_cndmask_b32_e32 v243, 55, v243, vcc_lo
; %bb.1138:
	s_andn2_saveexec_b32 s0, s0
	s_cbranch_execz .LBB112_1144
; %bb.1139:
	v_cmp_ngt_f64_e64 s1, |v[230:231]|, |v[232:233]|
	s_and_saveexec_b32 s7, s1
	s_xor_b32 s1, exec_lo, s7
	s_cbranch_execz .LBB112_1141
; %bb.1140:
	v_div_scale_f64 v[214:215], null, v[232:233], v[232:233], v[230:231]
	v_div_scale_f64 v[220:221], vcc_lo, v[230:231], v[232:233], v[230:231]
	v_rcp_f64_e32 v[216:217], v[214:215]
	v_fma_f64 v[218:219], -v[214:215], v[216:217], 1.0
	v_fma_f64 v[216:217], v[216:217], v[218:219], v[216:217]
	v_fma_f64 v[218:219], -v[214:215], v[216:217], 1.0
	v_fma_f64 v[216:217], v[216:217], v[218:219], v[216:217]
	v_mul_f64 v[218:219], v[220:221], v[216:217]
	v_fma_f64 v[214:215], -v[214:215], v[218:219], v[220:221]
	v_div_fmas_f64 v[214:215], v[214:215], v[216:217], v[218:219]
	v_div_fixup_f64 v[214:215], v[214:215], v[232:233], v[230:231]
	v_fma_f64 v[216:217], v[230:231], v[214:215], v[232:233]
	v_div_scale_f64 v[218:219], null, v[216:217], v[216:217], 1.0
	v_rcp_f64_e32 v[220:221], v[218:219]
	v_fma_f64 v[222:223], -v[218:219], v[220:221], 1.0
	v_fma_f64 v[220:221], v[220:221], v[222:223], v[220:221]
	v_fma_f64 v[222:223], -v[218:219], v[220:221], 1.0
	v_fma_f64 v[220:221], v[220:221], v[222:223], v[220:221]
	v_div_scale_f64 v[222:223], vcc_lo, 1.0, v[216:217], 1.0
	v_mul_f64 v[224:225], v[222:223], v[220:221]
	v_fma_f64 v[218:219], -v[218:219], v[224:225], v[222:223]
	v_div_fmas_f64 v[218:219], v[218:219], v[220:221], v[224:225]
	v_div_fixup_f64 v[232:233], v[218:219], v[216:217], 1.0
	v_mul_f64 v[230:231], v[214:215], v[232:233]
	v_xor_b32_e32 v233, 0x80000000, v233
.LBB112_1141:
	s_andn2_saveexec_b32 s1, s1
	s_cbranch_execz .LBB112_1143
; %bb.1142:
	v_div_scale_f64 v[214:215], null, v[230:231], v[230:231], v[232:233]
	v_div_scale_f64 v[220:221], vcc_lo, v[232:233], v[230:231], v[232:233]
	v_rcp_f64_e32 v[216:217], v[214:215]
	v_fma_f64 v[218:219], -v[214:215], v[216:217], 1.0
	v_fma_f64 v[216:217], v[216:217], v[218:219], v[216:217]
	v_fma_f64 v[218:219], -v[214:215], v[216:217], 1.0
	v_fma_f64 v[216:217], v[216:217], v[218:219], v[216:217]
	v_mul_f64 v[218:219], v[220:221], v[216:217]
	v_fma_f64 v[214:215], -v[214:215], v[218:219], v[220:221]
	v_div_fmas_f64 v[214:215], v[214:215], v[216:217], v[218:219]
	v_div_fixup_f64 v[214:215], v[214:215], v[230:231], v[232:233]
	v_fma_f64 v[216:217], v[232:233], v[214:215], v[230:231]
	v_div_scale_f64 v[218:219], null, v[216:217], v[216:217], 1.0
	v_rcp_f64_e32 v[220:221], v[218:219]
	v_fma_f64 v[222:223], -v[218:219], v[220:221], 1.0
	v_fma_f64 v[220:221], v[220:221], v[222:223], v[220:221]
	v_fma_f64 v[222:223], -v[218:219], v[220:221], 1.0
	v_fma_f64 v[220:221], v[220:221], v[222:223], v[220:221]
	v_div_scale_f64 v[222:223], vcc_lo, 1.0, v[216:217], 1.0
	v_mul_f64 v[224:225], v[222:223], v[220:221]
	v_fma_f64 v[218:219], -v[218:219], v[224:225], v[222:223]
	v_div_fmas_f64 v[218:219], v[218:219], v[220:221], v[224:225]
	v_div_fixup_f64 v[230:231], v[218:219], v[216:217], 1.0
	v_mul_f64 v[232:233], v[214:215], -v[230:231]
.LBB112_1143:
	s_or_b32 exec_lo, exec_lo, s1
.LBB112_1144:
	s_or_b32 exec_lo, exec_lo, s0
	s_mov_b32 s0, exec_lo
	v_cmpx_ne_u32_e64 v244, v238
	s_xor_b32 s0, exec_lo, s0
	s_cbranch_execz .LBB112_1150
; %bb.1145:
	s_mov_b32 s1, exec_lo
	v_cmpx_eq_u32_e32 54, v244
	s_cbranch_execz .LBB112_1149
; %bb.1146:
	v_cmp_ne_u32_e32 vcc_lo, 54, v238
	s_xor_b32 s7, s16, -1
	s_and_b32 s9, s7, vcc_lo
	s_and_saveexec_b32 s7, s9
	s_cbranch_execz .LBB112_1148
; %bb.1147:
	s_clause 0x1
	buffer_load_dword v210, off, s[20:23], 0
	buffer_load_dword v211, off, s[20:23], 0 offset:4
	v_ashrrev_i32_e32 v239, 31, v238
	v_lshlrev_b64 v[214:215], 2, v[238:239]
	s_waitcnt vmcnt(1)
	v_add_co_u32 v214, vcc_lo, v210, v214
	s_waitcnt vmcnt(0)
	v_add_co_ci_u32_e64 v215, null, v211, v215, vcc_lo
	s_clause 0x1
	global_load_dword v0, v[214:215], off
	global_load_dword v216, v[210:211], off offset:216
	s_waitcnt vmcnt(1)
	global_store_dword v[210:211], v0, off offset:216
	s_waitcnt vmcnt(0)
	global_store_dword v[214:215], v216, off
.LBB112_1148:
	s_or_b32 exec_lo, exec_lo, s7
	v_mov_b32_e32 v244, v238
	v_mov_b32_e32 v0, v238
.LBB112_1149:
	s_or_b32 exec_lo, exec_lo, s1
.LBB112_1150:
	s_andn2_saveexec_b32 s0, s0
	s_cbranch_execz .LBB112_1152
; %bb.1151:
	v_mov_b32_e32 v244, 54
	ds_write2_b64 v1, v[6:7], v[8:9] offset0:110 offset1:111
	ds_write2_b64 v1, v[250:251], v[252:253] offset0:112 offset1:113
.LBB112_1152:
	s_or_b32 exec_lo, exec_lo, s0
	s_mov_b32 s0, exec_lo
	s_waitcnt lgkmcnt(0)
	s_waitcnt_vscnt null, 0x0
	s_barrier
	buffer_gl0_inv
	v_cmpx_lt_i32_e32 54, v244
	s_cbranch_execz .LBB112_1154
; %bb.1153:
	v_mul_f64 v[214:215], v[230:231], v[12:13]
	v_mul_f64 v[12:13], v[232:233], v[12:13]
	v_fma_f64 v[214:215], v[232:233], v[10:11], v[214:215]
	v_fma_f64 v[10:11], v[230:231], v[10:11], -v[12:13]
	ds_read2_b64 v[230:233], v1 offset0:110 offset1:111
	s_waitcnt lgkmcnt(0)
	v_mul_f64 v[12:13], v[232:233], v[214:215]
	v_mul_f64 v[216:217], v[230:231], v[214:215]
	v_fma_f64 v[12:13], v[230:231], v[10:11], -v[12:13]
	v_fma_f64 v[216:217], v[232:233], v[10:11], v[216:217]
	ds_read2_b64 v[230:233], v1 offset0:112 offset1:113
	v_add_f64 v[6:7], v[6:7], -v[12:13]
	v_add_f64 v[8:9], v[8:9], -v[216:217]
	s_waitcnt lgkmcnt(0)
	v_mul_f64 v[12:13], v[232:233], v[214:215]
	v_mul_f64 v[216:217], v[230:231], v[214:215]
	v_fma_f64 v[12:13], v[230:231], v[10:11], -v[12:13]
	v_fma_f64 v[216:217], v[232:233], v[10:11], v[216:217]
	v_add_f64 v[250:251], v[250:251], -v[12:13]
	v_add_f64 v[252:253], v[252:253], -v[216:217]
	v_mov_b32_e32 v12, v214
	v_mov_b32_e32 v13, v215
.LBB112_1154:
	s_or_b32 exec_lo, exec_lo, s0
	v_lshl_add_u32 v214, v244, 4, v1
	s_barrier
	buffer_gl0_inv
	v_mov_b32_e32 v238, 55
	ds_write2_b64 v214, v[6:7], v[8:9] offset1:1
	s_waitcnt lgkmcnt(0)
	s_barrier
	buffer_gl0_inv
	ds_read2_b64 v[230:233], v1 offset0:110 offset1:111
	s_cmp_lt_i32 s8, 57
	s_cbranch_scc1 .LBB112_1157
; %bb.1155:
	v_add3_u32 v239, v228, 0, 0x380
	v_mov_b32_e32 v238, 55
	s_mov_b32 s0, 56
	s_inst_prefetch 0x1
	.p2align	6
.LBB112_1156:                           ; =>This Inner Loop Header: Depth=1
	s_waitcnt lgkmcnt(0)
	v_cmp_gt_f64_e32 vcc_lo, 0, v[230:231]
	v_xor_b32_e32 v214, 0x80000000, v231
	ds_read2_b64 v[245:248], v239 offset1:1
	v_xor_b32_e32 v216, 0x80000000, v233
	v_add_nc_u32_e32 v239, 16, v239
	s_waitcnt lgkmcnt(0)
	v_xor_b32_e32 v218, 0x80000000, v248
	v_cndmask_b32_e32 v215, v231, v214, vcc_lo
	v_cmp_gt_f64_e32 vcc_lo, 0, v[232:233]
	v_mov_b32_e32 v214, v230
	v_cndmask_b32_e32 v217, v233, v216, vcc_lo
	v_cmp_gt_f64_e32 vcc_lo, 0, v[245:246]
	v_mov_b32_e32 v216, v232
	v_add_f64 v[214:215], v[214:215], v[216:217]
	v_xor_b32_e32 v216, 0x80000000, v246
	v_cndmask_b32_e32 v217, v246, v216, vcc_lo
	v_cmp_gt_f64_e32 vcc_lo, 0, v[247:248]
	v_mov_b32_e32 v216, v245
	v_cndmask_b32_e32 v219, v248, v218, vcc_lo
	v_mov_b32_e32 v218, v247
	v_add_f64 v[216:217], v[216:217], v[218:219]
	v_cmp_lt_f64_e32 vcc_lo, v[214:215], v[216:217]
	v_cndmask_b32_e32 v231, v231, v246, vcc_lo
	v_cndmask_b32_e32 v230, v230, v245, vcc_lo
	v_cndmask_b32_e32 v233, v233, v248, vcc_lo
	v_cndmask_b32_e32 v232, v232, v247, vcc_lo
	v_cndmask_b32_e64 v238, v238, s0, vcc_lo
	s_add_i32 s0, s0, 1
	s_cmp_lg_u32 s8, s0
	s_cbranch_scc1 .LBB112_1156
.LBB112_1157:
	s_inst_prefetch 0x2
	s_waitcnt lgkmcnt(0)
	v_cmp_eq_f64_e32 vcc_lo, 0, v[230:231]
	v_cmp_eq_f64_e64 s0, 0, v[232:233]
	s_and_b32 s0, vcc_lo, s0
	s_and_saveexec_b32 s1, s0
	s_xor_b32 s0, exec_lo, s1
; %bb.1158:
	v_cmp_ne_u32_e32 vcc_lo, 0, v243
	v_cndmask_b32_e32 v243, 56, v243, vcc_lo
; %bb.1159:
	s_andn2_saveexec_b32 s0, s0
	s_cbranch_execz .LBB112_1165
; %bb.1160:
	v_cmp_ngt_f64_e64 s1, |v[230:231]|, |v[232:233]|
	s_and_saveexec_b32 s7, s1
	s_xor_b32 s1, exec_lo, s7
	s_cbranch_execz .LBB112_1162
; %bb.1161:
	v_div_scale_f64 v[214:215], null, v[232:233], v[232:233], v[230:231]
	v_div_scale_f64 v[220:221], vcc_lo, v[230:231], v[232:233], v[230:231]
	v_rcp_f64_e32 v[216:217], v[214:215]
	v_fma_f64 v[218:219], -v[214:215], v[216:217], 1.0
	v_fma_f64 v[216:217], v[216:217], v[218:219], v[216:217]
	v_fma_f64 v[218:219], -v[214:215], v[216:217], 1.0
	v_fma_f64 v[216:217], v[216:217], v[218:219], v[216:217]
	v_mul_f64 v[218:219], v[220:221], v[216:217]
	v_fma_f64 v[214:215], -v[214:215], v[218:219], v[220:221]
	v_div_fmas_f64 v[214:215], v[214:215], v[216:217], v[218:219]
	v_div_fixup_f64 v[214:215], v[214:215], v[232:233], v[230:231]
	v_fma_f64 v[216:217], v[230:231], v[214:215], v[232:233]
	v_div_scale_f64 v[218:219], null, v[216:217], v[216:217], 1.0
	v_rcp_f64_e32 v[220:221], v[218:219]
	v_fma_f64 v[222:223], -v[218:219], v[220:221], 1.0
	v_fma_f64 v[220:221], v[220:221], v[222:223], v[220:221]
	v_fma_f64 v[222:223], -v[218:219], v[220:221], 1.0
	v_fma_f64 v[220:221], v[220:221], v[222:223], v[220:221]
	v_div_scale_f64 v[222:223], vcc_lo, 1.0, v[216:217], 1.0
	v_mul_f64 v[224:225], v[222:223], v[220:221]
	v_fma_f64 v[218:219], -v[218:219], v[224:225], v[222:223]
	v_div_fmas_f64 v[218:219], v[218:219], v[220:221], v[224:225]
	v_div_fixup_f64 v[232:233], v[218:219], v[216:217], 1.0
	v_mul_f64 v[230:231], v[214:215], v[232:233]
	v_xor_b32_e32 v233, 0x80000000, v233
.LBB112_1162:
	s_andn2_saveexec_b32 s1, s1
	s_cbranch_execz .LBB112_1164
; %bb.1163:
	v_div_scale_f64 v[214:215], null, v[230:231], v[230:231], v[232:233]
	v_div_scale_f64 v[220:221], vcc_lo, v[232:233], v[230:231], v[232:233]
	v_rcp_f64_e32 v[216:217], v[214:215]
	v_fma_f64 v[218:219], -v[214:215], v[216:217], 1.0
	v_fma_f64 v[216:217], v[216:217], v[218:219], v[216:217]
	v_fma_f64 v[218:219], -v[214:215], v[216:217], 1.0
	v_fma_f64 v[216:217], v[216:217], v[218:219], v[216:217]
	v_mul_f64 v[218:219], v[220:221], v[216:217]
	v_fma_f64 v[214:215], -v[214:215], v[218:219], v[220:221]
	v_div_fmas_f64 v[214:215], v[214:215], v[216:217], v[218:219]
	v_div_fixup_f64 v[214:215], v[214:215], v[230:231], v[232:233]
	v_fma_f64 v[216:217], v[232:233], v[214:215], v[230:231]
	v_div_scale_f64 v[218:219], null, v[216:217], v[216:217], 1.0
	v_rcp_f64_e32 v[220:221], v[218:219]
	v_fma_f64 v[222:223], -v[218:219], v[220:221], 1.0
	v_fma_f64 v[220:221], v[220:221], v[222:223], v[220:221]
	v_fma_f64 v[222:223], -v[218:219], v[220:221], 1.0
	v_fma_f64 v[220:221], v[220:221], v[222:223], v[220:221]
	v_div_scale_f64 v[222:223], vcc_lo, 1.0, v[216:217], 1.0
	v_mul_f64 v[224:225], v[222:223], v[220:221]
	v_fma_f64 v[218:219], -v[218:219], v[224:225], v[222:223]
	v_div_fmas_f64 v[218:219], v[218:219], v[220:221], v[224:225]
	v_div_fixup_f64 v[230:231], v[218:219], v[216:217], 1.0
	v_mul_f64 v[232:233], v[214:215], -v[230:231]
.LBB112_1164:
	s_or_b32 exec_lo, exec_lo, s1
.LBB112_1165:
	s_or_b32 exec_lo, exec_lo, s0
	s_mov_b32 s0, exec_lo
	v_cmpx_ne_u32_e64 v244, v238
	s_xor_b32 s0, exec_lo, s0
	s_cbranch_execz .LBB112_1171
; %bb.1166:
	s_mov_b32 s1, exec_lo
	v_cmpx_eq_u32_e32 55, v244
	s_cbranch_execz .LBB112_1170
; %bb.1167:
	v_cmp_ne_u32_e32 vcc_lo, 55, v238
	s_xor_b32 s7, s16, -1
	s_and_b32 s9, s7, vcc_lo
	s_and_saveexec_b32 s7, s9
	s_cbranch_execz .LBB112_1169
; %bb.1168:
	s_clause 0x1
	buffer_load_dword v210, off, s[20:23], 0
	buffer_load_dword v211, off, s[20:23], 0 offset:4
	v_ashrrev_i32_e32 v239, 31, v238
	v_lshlrev_b64 v[214:215], 2, v[238:239]
	s_waitcnt vmcnt(1)
	v_add_co_u32 v214, vcc_lo, v210, v214
	s_waitcnt vmcnt(0)
	v_add_co_ci_u32_e64 v215, null, v211, v215, vcc_lo
	s_clause 0x1
	global_load_dword v0, v[214:215], off
	global_load_dword v216, v[210:211], off offset:220
	s_waitcnt vmcnt(1)
	global_store_dword v[210:211], v0, off offset:220
	s_waitcnt vmcnt(0)
	global_store_dword v[214:215], v216, off
.LBB112_1169:
	s_or_b32 exec_lo, exec_lo, s7
	v_mov_b32_e32 v244, v238
	v_mov_b32_e32 v0, v238
.LBB112_1170:
	s_or_b32 exec_lo, exec_lo, s1
.LBB112_1171:
	s_andn2_saveexec_b32 s0, s0
; %bb.1172:
	v_mov_b32_e32 v244, 55
	ds_write2_b64 v1, v[250:251], v[252:253] offset0:112 offset1:113
; %bb.1173:
	s_or_b32 exec_lo, exec_lo, s0
	s_mov_b32 s0, exec_lo
	s_waitcnt lgkmcnt(0)
	s_waitcnt_vscnt null, 0x0
	s_barrier
	buffer_gl0_inv
	v_cmpx_lt_i32_e32 55, v244
	s_cbranch_execz .LBB112_1175
; %bb.1174:
	v_mul_f64 v[214:215], v[230:231], v[8:9]
	v_mul_f64 v[8:9], v[232:233], v[8:9]
	ds_read2_b64 v[245:248], v1 offset0:112 offset1:113
	v_fma_f64 v[214:215], v[232:233], v[6:7], v[214:215]
	v_fma_f64 v[6:7], v[230:231], v[6:7], -v[8:9]
	s_waitcnt lgkmcnt(0)
	v_mul_f64 v[8:9], v[247:248], v[214:215]
	v_mul_f64 v[216:217], v[245:246], v[214:215]
	v_fma_f64 v[8:9], v[245:246], v[6:7], -v[8:9]
	v_fma_f64 v[216:217], v[247:248], v[6:7], v[216:217]
	v_add_f64 v[250:251], v[250:251], -v[8:9]
	v_add_f64 v[252:253], v[252:253], -v[216:217]
	v_mov_b32_e32 v8, v214
	v_mov_b32_e32 v9, v215
.LBB112_1175:
	s_or_b32 exec_lo, exec_lo, s0
	v_lshl_add_u32 v214, v244, 4, v1
	s_barrier
	buffer_gl0_inv
	v_mov_b32_e32 v238, 56
	ds_write2_b64 v214, v[250:251], v[252:253] offset1:1
	s_waitcnt lgkmcnt(0)
	s_barrier
	buffer_gl0_inv
	ds_read2_b64 v[230:233], v1 offset0:112 offset1:113
	s_cmp_lt_i32 s8, 58
	s_cbranch_scc1 .LBB112_1178
; %bb.1176:
	v_add3_u32 v1, v228, 0, 0x390
	v_mov_b32_e32 v238, 56
	s_mov_b32 s1, 57
	s_inst_prefetch 0x1
	.p2align	6
.LBB112_1177:                           ; =>This Inner Loop Header: Depth=1
	s_waitcnt lgkmcnt(0)
	v_cmp_gt_f64_e32 vcc_lo, 0, v[232:233]
	v_cmp_gt_f64_e64 s0, 0, v[230:231]
	ds_read2_b64 v[245:248], v1 offset1:1
	v_xor_b32_e32 v215, 0x80000000, v231
	v_xor_b32_e32 v217, 0x80000000, v233
	v_mov_b32_e32 v214, v230
	v_mov_b32_e32 v216, v232
	v_add_nc_u32_e32 v1, 16, v1
	s_waitcnt lgkmcnt(0)
	v_xor_b32_e32 v219, 0x80000000, v248
	v_cndmask_b32_e64 v215, v231, v215, s0
	v_cndmask_b32_e32 v217, v233, v217, vcc_lo
	v_cmp_gt_f64_e32 vcc_lo, 0, v[247:248]
	v_cmp_gt_f64_e64 s0, 0, v[245:246]
	v_mov_b32_e32 v218, v247
	v_add_f64 v[214:215], v[214:215], v[216:217]
	v_xor_b32_e32 v217, 0x80000000, v246
	v_mov_b32_e32 v216, v245
	v_cndmask_b32_e32 v219, v248, v219, vcc_lo
	v_cndmask_b32_e64 v217, v246, v217, s0
	v_add_f64 v[216:217], v[216:217], v[218:219]
	v_cmp_lt_f64_e32 vcc_lo, v[214:215], v[216:217]
	v_cndmask_b32_e32 v231, v231, v246, vcc_lo
	v_cndmask_b32_e32 v230, v230, v245, vcc_lo
	;; [unrolled: 1-line block ×4, first 2 shown]
	v_cndmask_b32_e64 v238, v238, s1, vcc_lo
	s_add_i32 s1, s1, 1
	s_cmp_lg_u32 s8, s1
	s_cbranch_scc1 .LBB112_1177
.LBB112_1178:
	s_inst_prefetch 0x2
	s_waitcnt lgkmcnt(0)
	v_cmp_eq_f64_e32 vcc_lo, 0, v[230:231]
	v_cmp_eq_f64_e64 s0, 0, v[232:233]
	s_and_b32 s0, vcc_lo, s0
	s_and_saveexec_b32 s1, s0
	s_xor_b32 s0, exec_lo, s1
; %bb.1179:
	v_cmp_ne_u32_e32 vcc_lo, 0, v243
	v_cndmask_b32_e32 v243, 57, v243, vcc_lo
; %bb.1180:
	s_andn2_saveexec_b32 s0, s0
	s_cbranch_execz .LBB112_1186
; %bb.1181:
	v_cmp_ngt_f64_e64 s1, |v[230:231]|, |v[232:233]|
	s_and_saveexec_b32 s7, s1
	s_xor_b32 s1, exec_lo, s7
	s_cbranch_execz .LBB112_1183
; %bb.1182:
	v_div_scale_f64 v[214:215], null, v[232:233], v[232:233], v[230:231]
	v_div_scale_f64 v[220:221], vcc_lo, v[230:231], v[232:233], v[230:231]
	v_rcp_f64_e32 v[216:217], v[214:215]
	v_fma_f64 v[218:219], -v[214:215], v[216:217], 1.0
	v_fma_f64 v[216:217], v[216:217], v[218:219], v[216:217]
	v_fma_f64 v[218:219], -v[214:215], v[216:217], 1.0
	v_fma_f64 v[216:217], v[216:217], v[218:219], v[216:217]
	v_mul_f64 v[218:219], v[220:221], v[216:217]
	v_fma_f64 v[214:215], -v[214:215], v[218:219], v[220:221]
	v_div_fmas_f64 v[214:215], v[214:215], v[216:217], v[218:219]
	v_div_fixup_f64 v[214:215], v[214:215], v[232:233], v[230:231]
	v_fma_f64 v[216:217], v[230:231], v[214:215], v[232:233]
	v_div_scale_f64 v[218:219], null, v[216:217], v[216:217], 1.0
	v_rcp_f64_e32 v[220:221], v[218:219]
	v_fma_f64 v[222:223], -v[218:219], v[220:221], 1.0
	v_fma_f64 v[220:221], v[220:221], v[222:223], v[220:221]
	v_fma_f64 v[222:223], -v[218:219], v[220:221], 1.0
	v_fma_f64 v[220:221], v[220:221], v[222:223], v[220:221]
	v_div_scale_f64 v[222:223], vcc_lo, 1.0, v[216:217], 1.0
	v_mul_f64 v[224:225], v[222:223], v[220:221]
	v_fma_f64 v[218:219], -v[218:219], v[224:225], v[222:223]
	v_div_fmas_f64 v[218:219], v[218:219], v[220:221], v[224:225]
	v_div_fixup_f64 v[232:233], v[218:219], v[216:217], 1.0
	v_mul_f64 v[230:231], v[214:215], v[232:233]
	v_xor_b32_e32 v233, 0x80000000, v233
.LBB112_1183:
	s_andn2_saveexec_b32 s1, s1
	s_cbranch_execz .LBB112_1185
; %bb.1184:
	v_div_scale_f64 v[214:215], null, v[230:231], v[230:231], v[232:233]
	v_div_scale_f64 v[220:221], vcc_lo, v[232:233], v[230:231], v[232:233]
	v_rcp_f64_e32 v[216:217], v[214:215]
	v_fma_f64 v[218:219], -v[214:215], v[216:217], 1.0
	v_fma_f64 v[216:217], v[216:217], v[218:219], v[216:217]
	v_fma_f64 v[218:219], -v[214:215], v[216:217], 1.0
	v_fma_f64 v[216:217], v[216:217], v[218:219], v[216:217]
	v_mul_f64 v[218:219], v[220:221], v[216:217]
	v_fma_f64 v[214:215], -v[214:215], v[218:219], v[220:221]
	v_div_fmas_f64 v[214:215], v[214:215], v[216:217], v[218:219]
	v_div_fixup_f64 v[214:215], v[214:215], v[230:231], v[232:233]
	v_fma_f64 v[216:217], v[232:233], v[214:215], v[230:231]
	v_div_scale_f64 v[218:219], null, v[216:217], v[216:217], 1.0
	v_rcp_f64_e32 v[220:221], v[218:219]
	v_fma_f64 v[222:223], -v[218:219], v[220:221], 1.0
	v_fma_f64 v[220:221], v[220:221], v[222:223], v[220:221]
	v_fma_f64 v[222:223], -v[218:219], v[220:221], 1.0
	v_fma_f64 v[220:221], v[220:221], v[222:223], v[220:221]
	v_div_scale_f64 v[222:223], vcc_lo, 1.0, v[216:217], 1.0
	v_mul_f64 v[224:225], v[222:223], v[220:221]
	v_fma_f64 v[218:219], -v[218:219], v[224:225], v[222:223]
	v_div_fmas_f64 v[218:219], v[218:219], v[220:221], v[224:225]
	v_div_fixup_f64 v[230:231], v[218:219], v[216:217], 1.0
	v_mul_f64 v[232:233], v[214:215], -v[230:231]
.LBB112_1185:
	s_or_b32 exec_lo, exec_lo, s1
.LBB112_1186:
	s_or_b32 exec_lo, exec_lo, s0
	v_mov_b32_e32 v239, 56
	s_mov_b32 s0, exec_lo
	v_cmpx_ne_u32_e64 v244, v238
	s_cbranch_execz .LBB112_1192
; %bb.1187:
	s_mov_b32 s1, exec_lo
	v_cmpx_eq_u32_e32 56, v244
	s_cbranch_execz .LBB112_1191
; %bb.1188:
	v_cmp_ne_u32_e32 vcc_lo, 56, v238
	s_xor_b32 s7, s16, -1
	s_and_b32 s8, s7, vcc_lo
	s_and_saveexec_b32 s7, s8
	s_cbranch_execz .LBB112_1190
; %bb.1189:
	s_clause 0x1
	buffer_load_dword v210, off, s[20:23], 0
	buffer_load_dword v211, off, s[20:23], 0 offset:4
	v_ashrrev_i32_e32 v239, 31, v238
	v_lshlrev_b64 v[0:1], 2, v[238:239]
	s_waitcnt vmcnt(1)
	v_add_co_u32 v0, vcc_lo, v210, v0
	s_waitcnt vmcnt(0)
	v_add_co_ci_u32_e64 v1, null, v211, v1, vcc_lo
	s_clause 0x1
	global_load_dword v214, v[0:1], off
	global_load_dword v215, v[210:211], off offset:224
	s_waitcnt vmcnt(1)
	global_store_dword v[210:211], v214, off offset:224
	s_waitcnt vmcnt(0)
	global_store_dword v[0:1], v215, off
.LBB112_1190:
	s_or_b32 exec_lo, exec_lo, s7
	v_mov_b32_e32 v244, v238
	v_mov_b32_e32 v0, v238
.LBB112_1191:
	s_or_b32 exec_lo, exec_lo, s1
	v_mov_b32_e32 v239, v244
.LBB112_1192:
	s_or_b32 exec_lo, exec_lo, s0
	s_mov_b32 s0, exec_lo
	s_waitcnt_vscnt null, 0x0
	s_barrier
	buffer_gl0_inv
	v_cmpx_lt_i32_e32 56, v239
	s_cbranch_execz .LBB112_1194
; %bb.1193:
	v_mul_f64 v[214:215], v[232:233], v[252:253]
	v_mov_b32_e32 v213, v5
	v_mov_b32_e32 v212, v4
	;; [unrolled: 1-line block ×4, first 2 shown]
	v_mul_f64 v[4:5], v[230:231], v[252:253]
	v_fma_f64 v[214:215], v[230:231], v[250:251], -v[214:215]
	v_fma_f64 v[252:253], v[232:233], v[250:251], v[4:5]
	v_mov_b32_e32 v2, v210
	v_mov_b32_e32 v3, v211
	;; [unrolled: 1-line block ×6, first 2 shown]
.LBB112_1194:
	s_or_b32 exec_lo, exec_lo, s0
	v_ashrrev_i32_e32 v240, 31, v239
	s_mov_b32 s0, exec_lo
	s_barrier
	buffer_gl0_inv
	v_cmpx_gt_i32_e32 57, v239
	s_cbranch_execz .LBB112_1196
; %bb.1195:
	v_mul_lo_u32 v1, s15, v226
	v_mul_lo_u32 v216, s14, v227
	v_mad_u64_u32 v[214:215], null, s14, v226, 0
	s_lshl_b64 s[8:9], s[12:13], 2
	v_add3_u32 v0, v0, s17, 1
	v_add3_u32 v215, v215, v216, v1
	v_lshlrev_b64 v[214:215], 2, v[214:215]
	v_add_co_u32 v1, vcc_lo, s10, v214
	v_add_co_ci_u32_e64 v216, null, s11, v215, vcc_lo
	v_lshlrev_b64 v[214:215], 2, v[239:240]
	v_add_co_u32 v1, vcc_lo, v1, s8
	v_add_co_ci_u32_e64 v216, null, s9, v216, vcc_lo
	v_add_co_u32 v214, vcc_lo, v1, v214
	v_add_co_ci_u32_e64 v215, null, v216, v215, vcc_lo
	global_store_dword v[214:215], v0, off
.LBB112_1196:
	s_or_b32 exec_lo, exec_lo, s0
	s_mov_b32 s1, exec_lo
	v_cmpx_eq_u32_e32 0, v239
	s_cbranch_execz .LBB112_1199
; %bb.1197:
	v_lshlrev_b64 v[0:1], 2, v[226:227]
	v_cmp_ne_u32_e64 s0, 0, v243
	v_add_co_u32 v0, vcc_lo, s4, v0
	v_add_co_ci_u32_e64 v1, null, s5, v1, vcc_lo
	global_load_dword v214, v[0:1], off
	s_waitcnt vmcnt(0)
	v_cmp_eq_u32_e32 vcc_lo, 0, v214
	s_and_b32 s0, vcc_lo, s0
	s_and_b32 exec_lo, exec_lo, s0
	s_cbranch_execz .LBB112_1199
; %bb.1198:
	v_add_nc_u32_e32 v214, s17, v243
	global_store_dword v[0:1], v214, off
.LBB112_1199:
	s_or_b32 exec_lo, exec_lo, s1
	s_clause 0x3
	buffer_load_dword v210, off, s[20:23], 0 offset:40
	buffer_load_dword v211, off, s[20:23], 0 offset:44
	;; [unrolled: 1-line block ×4, first 2 shown]
	v_lshlrev_b64 v[214:215], 4, v[239:240]
	v_add3_u32 v0, s6, s6, v239
	v_add_nc_u32_e32 v216, s6, v0
	v_add_co_u32 v214, vcc_lo, v255, v214
	v_add_co_ci_u32_e64 v215, null, v242, v215, vcc_lo
	v_ashrrev_i32_e32 v1, 31, v0
	v_add_co_u32 v218, vcc_lo, v214, s2
	v_add_co_ci_u32_e64 v219, null, s3, v215, vcc_lo
	v_add_nc_u32_e32 v220, s6, v216
	v_ashrrev_i32_e32 v217, 31, v216
	v_lshlrev_b64 v[0:1], 4, v[0:1]
	v_ashrrev_i32_e32 v221, 31, v220
	v_add_co_u32 v0, vcc_lo, v255, v0
	v_add_co_ci_u32_e64 v1, null, v242, v1, vcc_lo
	s_waitcnt vmcnt(0)
	global_store_dwordx4 v[214:215], v[210:213], off
	s_clause 0x3
	buffer_load_dword v210, off, s[20:23], 0 offset:24
	buffer_load_dword v211, off, s[20:23], 0 offset:28
	;; [unrolled: 1-line block ×4, first 2 shown]
	v_lshlrev_b64 v[214:215], 4, v[216:217]
	v_lshlrev_b64 v[216:217], 4, v[220:221]
	v_add_co_u32 v214, vcc_lo, v255, v214
	v_add_co_ci_u32_e64 v215, null, v242, v215, vcc_lo
	v_add_co_u32 v216, vcc_lo, v255, v216
	v_add_co_ci_u32_e64 v217, null, v242, v217, vcc_lo
	s_waitcnt vmcnt(0)
	global_store_dwordx4 v[218:219], v[210:213], off
	s_clause 0x3
	buffer_load_dword v210, off, s[20:23], 0 offset:8
	buffer_load_dword v211, off, s[20:23], 0 offset:12
	;; [unrolled: 1-line block ×4, first 2 shown]
	v_add_nc_u32_e32 v218, s6, v220
	v_add_nc_u32_e32 v220, s6, v218
	v_ashrrev_i32_e32 v219, 31, v218
	v_ashrrev_i32_e32 v221, 31, v220
	s_waitcnt vmcnt(0)
	global_store_dwordx4 v[0:1], v[210:213], off
	v_add_nc_u32_e32 v212, s6, v220
	v_lshlrev_b64 v[0:1], 4, v[218:219]
	global_store_dwordx4 v[214:215], v[2:5], off
	global_store_dwordx4 v[216:217], v[234:237], off
	v_lshlrev_b64 v[210:211], 4, v[220:221]
	v_add_nc_u32_e32 v214, s6, v212
	v_ashrrev_i32_e32 v213, 31, v212
	v_add_co_u32 v0, vcc_lo, v255, v0
	v_add_co_ci_u32_e64 v1, null, v242, v1, vcc_lo
	v_add_nc_u32_e32 v216, s6, v214
	v_add_co_u32 v210, vcc_lo, v255, v210
	v_ashrrev_i32_e32 v215, 31, v214
	v_add_co_ci_u32_e64 v211, null, v242, v211, vcc_lo
	v_ashrrev_i32_e32 v217, 31, v216
	v_lshlrev_b64 v[212:213], 4, v[212:213]
	global_store_dwordx4 v[0:1], v[206:209], off
	global_store_dwordx4 v[210:211], v[202:205], off
	v_lshlrev_b64 v[0:1], 4, v[214:215]
	v_add_nc_u32_e32 v206, s6, v216
	v_lshlrev_b64 v[204:205], 4, v[216:217]
	v_add_co_u32 v202, vcc_lo, v255, v212
	v_add_co_ci_u32_e64 v203, null, v242, v213, vcc_lo
	v_add_co_u32 v0, vcc_lo, v255, v0
	v_add_co_ci_u32_e64 v1, null, v242, v1, vcc_lo
	v_add_co_u32 v204, vcc_lo, v255, v204
	v_add_nc_u32_e32 v208, s6, v206
	v_add_co_ci_u32_e64 v205, null, v242, v205, vcc_lo
	v_ashrrev_i32_e32 v207, 31, v206
	global_store_dwordx4 v[202:203], v[198:201], off
	global_store_dwordx4 v[0:1], v[194:197], off
	global_store_dwordx4 v[204:205], v[190:193], off
	v_add_nc_u32_e32 v190, s6, v208
	v_ashrrev_i32_e32 v209, 31, v208
	v_lshlrev_b64 v[198:199], 4, v[206:207]
	v_add_nc_u32_e32 v194, s6, v190
	v_lshlrev_b64 v[0:1], 4, v[208:209]
	v_ashrrev_i32_e32 v191, 31, v190
	v_add_co_u32 v192, vcc_lo, v255, v198
	v_add_nc_u32_e32 v196, s6, v194
	v_add_co_ci_u32_e64 v193, null, v242, v199, vcc_lo
	v_add_co_u32 v0, vcc_lo, v255, v0
	v_ashrrev_i32_e32 v195, 31, v194
	v_add_co_ci_u32_e64 v1, null, v242, v1, vcc_lo
	v_ashrrev_i32_e32 v197, 31, v196
	v_lshlrev_b64 v[190:191], 4, v[190:191]
	global_store_dwordx4 v[192:193], v[186:189], off
	global_store_dwordx4 v[0:1], v[182:185], off
	v_lshlrev_b64 v[0:1], 4, v[194:195]
	v_add_nc_u32_e32 v186, s6, v196
	v_lshlrev_b64 v[184:185], 4, v[196:197]
	v_add_co_u32 v182, vcc_lo, v255, v190
	v_add_co_ci_u32_e64 v183, null, v242, v191, vcc_lo
	v_add_co_u32 v0, vcc_lo, v255, v0
	v_add_co_ci_u32_e64 v1, null, v242, v1, vcc_lo
	v_add_co_u32 v184, vcc_lo, v255, v184
	v_add_nc_u32_e32 v188, s6, v186
	v_add_co_ci_u32_e64 v185, null, v242, v185, vcc_lo
	v_ashrrev_i32_e32 v187, 31, v186
	global_store_dwordx4 v[182:183], v[178:181], off
	global_store_dwordx4 v[0:1], v[174:177], off
	global_store_dwordx4 v[184:185], v[170:173], off
	v_add_nc_u32_e32 v170, s6, v188
	v_ashrrev_i32_e32 v189, 31, v188
	v_lshlrev_b64 v[178:179], 4, v[186:187]
	v_add_nc_u32_e32 v174, s6, v170
	v_lshlrev_b64 v[0:1], 4, v[188:189]
	v_ashrrev_i32_e32 v171, 31, v170
	v_add_co_u32 v172, vcc_lo, v255, v178
	v_add_nc_u32_e32 v176, s6, v174
	v_add_co_ci_u32_e64 v173, null, v242, v179, vcc_lo
	;; [unrolled: 30-line block ×8, first 2 shown]
	v_add_co_u32 v0, vcc_lo, v255, v0
	v_ashrrev_i32_e32 v55, 31, v54
	v_add_co_ci_u32_e64 v1, null, v242, v1, vcc_lo
	v_ashrrev_i32_e32 v57, 31, v56
	v_lshlrev_b64 v[50:51], 4, v[50:51]
	global_store_dwordx4 v[52:53], v[46:49], off
	global_store_dwordx4 v[0:1], v[42:45], off
	v_lshlrev_b64 v[0:1], 4, v[54:55]
	v_add_nc_u32_e32 v46, s6, v56
	v_lshlrev_b64 v[44:45], 4, v[56:57]
	v_add_co_u32 v42, vcc_lo, v255, v50
	v_add_co_ci_u32_e64 v43, null, v242, v51, vcc_lo
	v_add_co_u32 v0, vcc_lo, v255, v0
	v_add_nc_u32_e32 v48, s6, v46
	v_add_co_ci_u32_e64 v1, null, v242, v1, vcc_lo
	v_add_co_u32 v44, vcc_lo, v255, v44
	v_ashrrev_i32_e32 v47, 31, v46
	v_add_co_ci_u32_e64 v45, null, v242, v45, vcc_lo
	v_ashrrev_i32_e32 v49, 31, v48
	global_store_dwordx4 v[42:43], v[38:41], off
	v_lshlrev_b64 v[38:39], 4, v[46:47]
	global_store_dwordx4 v[0:1], v[34:37], off
	global_store_dwordx4 v[44:45], v[30:33], off
	v_add_nc_u32_e32 v30, s6, v48
	v_lshlrev_b64 v[0:1], 4, v[48:49]
	v_add_co_u32 v32, vcc_lo, v255, v38
	v_add_nc_u32_e32 v34, s6, v30
	v_add_co_ci_u32_e64 v33, null, v242, v39, vcc_lo
	v_add_co_u32 v0, vcc_lo, v255, v0
	v_add_co_ci_u32_e64 v1, null, v242, v1, vcc_lo
	v_add_nc_u32_e32 v36, s6, v34
	v_ashrrev_i32_e32 v31, 31, v30
	global_store_dwordx4 v[32:33], v[26:29], off
	global_store_dwordx4 v[0:1], v[22:25], off
	v_ashrrev_i32_e32 v35, 31, v34
	v_add_nc_u32_e32 v22, s6, v36
	v_lshlrev_b64 v[26:27], 4, v[30:31]
	v_ashrrev_i32_e32 v37, 31, v36
	v_lshlrev_b64 v[0:1], 4, v[34:35]
	v_add_nc_u32_e32 v28, s6, v22
	v_ashrrev_i32_e32 v23, 31, v22
	v_add_co_u32 v24, vcc_lo, v255, v26
	v_add_co_ci_u32_e64 v25, null, v242, v27, vcc_lo
	v_ashrrev_i32_e32 v29, 31, v28
	v_lshlrev_b64 v[26:27], 4, v[36:37]
	v_lshlrev_b64 v[22:23], 4, v[22:23]
	v_add_co_u32 v0, vcc_lo, v255, v0
	v_lshlrev_b64 v[28:29], 4, v[28:29]
	v_add_co_ci_u32_e64 v1, null, v242, v1, vcc_lo
	v_add_co_u32 v26, vcc_lo, v255, v26
	v_add_co_ci_u32_e64 v27, null, v242, v27, vcc_lo
	v_add_co_u32 v22, vcc_lo, v255, v22
	v_add_co_ci_u32_e64 v23, null, v242, v23, vcc_lo
	v_add_co_u32 v28, vcc_lo, v255, v28
	v_add_co_ci_u32_e64 v29, null, v242, v29, vcc_lo
	global_store_dwordx4 v[24:25], v[18:21], off
	global_store_dwordx4 v[0:1], v[14:17], off
	;; [unrolled: 1-line block ×5, first 2 shown]
.LBB112_1200:
	s_endpgm
	.section	.rodata,"a",@progbits
	.p2align	6, 0x0
	.amdhsa_kernel _ZN9rocsolver6v33100L18getf2_small_kernelILi57E19rocblas_complex_numIdEiiPS3_EEvT1_T3_lS5_lPS5_llPT2_S5_S5_S7_l
		.amdhsa_group_segment_fixed_size 0
		.amdhsa_private_segment_fixed_size 76
		.amdhsa_kernarg_size 352
		.amdhsa_user_sgpr_count 6
		.amdhsa_user_sgpr_private_segment_buffer 1
		.amdhsa_user_sgpr_dispatch_ptr 0
		.amdhsa_user_sgpr_queue_ptr 0
		.amdhsa_user_sgpr_kernarg_segment_ptr 1
		.amdhsa_user_sgpr_dispatch_id 0
		.amdhsa_user_sgpr_flat_scratch_init 0
		.amdhsa_user_sgpr_private_segment_size 0
		.amdhsa_wavefront_size32 1
		.amdhsa_uses_dynamic_stack 0
		.amdhsa_system_sgpr_private_segment_wavefront_offset 1
		.amdhsa_system_sgpr_workgroup_id_x 1
		.amdhsa_system_sgpr_workgroup_id_y 1
		.amdhsa_system_sgpr_workgroup_id_z 0
		.amdhsa_system_sgpr_workgroup_info 0
		.amdhsa_system_vgpr_workitem_id 1
		.amdhsa_next_free_vgpr 256
		.amdhsa_next_free_sgpr 24
		.amdhsa_reserve_vcc 1
		.amdhsa_reserve_flat_scratch 0
		.amdhsa_float_round_mode_32 0
		.amdhsa_float_round_mode_16_64 0
		.amdhsa_float_denorm_mode_32 3
		.amdhsa_float_denorm_mode_16_64 3
		.amdhsa_dx10_clamp 1
		.amdhsa_ieee_mode 1
		.amdhsa_fp16_overflow 0
		.amdhsa_workgroup_processor_mode 1
		.amdhsa_memory_ordered 1
		.amdhsa_forward_progress 1
		.amdhsa_shared_vgpr_count 0
		.amdhsa_exception_fp_ieee_invalid_op 0
		.amdhsa_exception_fp_denorm_src 0
		.amdhsa_exception_fp_ieee_div_zero 0
		.amdhsa_exception_fp_ieee_overflow 0
		.amdhsa_exception_fp_ieee_underflow 0
		.amdhsa_exception_fp_ieee_inexact 0
		.amdhsa_exception_int_div_zero 0
	.end_amdhsa_kernel
	.section	.text._ZN9rocsolver6v33100L18getf2_small_kernelILi57E19rocblas_complex_numIdEiiPS3_EEvT1_T3_lS5_lPS5_llPT2_S5_S5_S7_l,"axG",@progbits,_ZN9rocsolver6v33100L18getf2_small_kernelILi57E19rocblas_complex_numIdEiiPS3_EEvT1_T3_lS5_lPS5_llPT2_S5_S5_S7_l,comdat
.Lfunc_end112:
	.size	_ZN9rocsolver6v33100L18getf2_small_kernelILi57E19rocblas_complex_numIdEiiPS3_EEvT1_T3_lS5_lPS5_llPT2_S5_S5_S7_l, .Lfunc_end112-_ZN9rocsolver6v33100L18getf2_small_kernelILi57E19rocblas_complex_numIdEiiPS3_EEvT1_T3_lS5_lPS5_llPT2_S5_S5_S7_l
                                        ; -- End function
	.set _ZN9rocsolver6v33100L18getf2_small_kernelILi57E19rocblas_complex_numIdEiiPS3_EEvT1_T3_lS5_lPS5_llPT2_S5_S5_S7_l.num_vgpr, 256
	.set _ZN9rocsolver6v33100L18getf2_small_kernelILi57E19rocblas_complex_numIdEiiPS3_EEvT1_T3_lS5_lPS5_llPT2_S5_S5_S7_l.num_agpr, 0
	.set _ZN9rocsolver6v33100L18getf2_small_kernelILi57E19rocblas_complex_numIdEiiPS3_EEvT1_T3_lS5_lPS5_llPT2_S5_S5_S7_l.numbered_sgpr, 24
	.set _ZN9rocsolver6v33100L18getf2_small_kernelILi57E19rocblas_complex_numIdEiiPS3_EEvT1_T3_lS5_lPS5_llPT2_S5_S5_S7_l.num_named_barrier, 0
	.set _ZN9rocsolver6v33100L18getf2_small_kernelILi57E19rocblas_complex_numIdEiiPS3_EEvT1_T3_lS5_lPS5_llPT2_S5_S5_S7_l.private_seg_size, 76
	.set _ZN9rocsolver6v33100L18getf2_small_kernelILi57E19rocblas_complex_numIdEiiPS3_EEvT1_T3_lS5_lPS5_llPT2_S5_S5_S7_l.uses_vcc, 1
	.set _ZN9rocsolver6v33100L18getf2_small_kernelILi57E19rocblas_complex_numIdEiiPS3_EEvT1_T3_lS5_lPS5_llPT2_S5_S5_S7_l.uses_flat_scratch, 0
	.set _ZN9rocsolver6v33100L18getf2_small_kernelILi57E19rocblas_complex_numIdEiiPS3_EEvT1_T3_lS5_lPS5_llPT2_S5_S5_S7_l.has_dyn_sized_stack, 0
	.set _ZN9rocsolver6v33100L18getf2_small_kernelILi57E19rocblas_complex_numIdEiiPS3_EEvT1_T3_lS5_lPS5_llPT2_S5_S5_S7_l.has_recursion, 0
	.set _ZN9rocsolver6v33100L18getf2_small_kernelILi57E19rocblas_complex_numIdEiiPS3_EEvT1_T3_lS5_lPS5_llPT2_S5_S5_S7_l.has_indirect_call, 0
	.section	.AMDGPU.csdata,"",@progbits
; Kernel info:
; codeLenInByte = 171404
; TotalNumSgprs: 26
; NumVgprs: 256
; ScratchSize: 76
; MemoryBound: 0
; FloatMode: 240
; IeeeMode: 1
; LDSByteSize: 0 bytes/workgroup (compile time only)
; SGPRBlocks: 0
; VGPRBlocks: 31
; NumSGPRsForWavesPerEU: 26
; NumVGPRsForWavesPerEU: 256
; Occupancy: 4
; WaveLimiterHint : 0
; COMPUTE_PGM_RSRC2:SCRATCH_EN: 1
; COMPUTE_PGM_RSRC2:USER_SGPR: 6
; COMPUTE_PGM_RSRC2:TRAP_HANDLER: 0
; COMPUTE_PGM_RSRC2:TGID_X_EN: 1
; COMPUTE_PGM_RSRC2:TGID_Y_EN: 1
; COMPUTE_PGM_RSRC2:TGID_Z_EN: 0
; COMPUTE_PGM_RSRC2:TIDIG_COMP_CNT: 1
	.section	.text._ZN9rocsolver6v33100L23getf2_npvt_small_kernelILi57E19rocblas_complex_numIdEiiPS3_EEvT1_T3_lS5_lPT2_S5_S5_,"axG",@progbits,_ZN9rocsolver6v33100L23getf2_npvt_small_kernelILi57E19rocblas_complex_numIdEiiPS3_EEvT1_T3_lS5_lPT2_S5_S5_,comdat
	.globl	_ZN9rocsolver6v33100L23getf2_npvt_small_kernelILi57E19rocblas_complex_numIdEiiPS3_EEvT1_T3_lS5_lPT2_S5_S5_ ; -- Begin function _ZN9rocsolver6v33100L23getf2_npvt_small_kernelILi57E19rocblas_complex_numIdEiiPS3_EEvT1_T3_lS5_lPT2_S5_S5_
	.p2align	8
	.type	_ZN9rocsolver6v33100L23getf2_npvt_small_kernelILi57E19rocblas_complex_numIdEiiPS3_EEvT1_T3_lS5_lPT2_S5_S5_,@function
_ZN9rocsolver6v33100L23getf2_npvt_small_kernelILi57E19rocblas_complex_numIdEiiPS3_EEvT1_T3_lS5_lPT2_S5_S5_: ; @_ZN9rocsolver6v33100L23getf2_npvt_small_kernelILi57E19rocblas_complex_numIdEiiPS3_EEvT1_T3_lS5_lPT2_S5_S5_
; %bb.0:
	s_mov_b64 s[18:19], s[2:3]
	s_mov_b64 s[16:17], s[0:1]
	s_clause 0x1
	s_load_dword s0, s[4:5], 0x44
	s_load_dwordx2 s[12:13], s[4:5], 0x30
	s_add_u32 s16, s16, s8
	s_addc_u32 s17, s17, 0
	s_waitcnt lgkmcnt(0)
	s_lshr_b32 s14, s0, 16
	s_mov_b32 s0, exec_lo
	v_mad_u64_u32 v[199:200], null, s7, s14, v[1:2]
	v_cmpx_gt_i32_e64 s12, v199
	s_cbranch_execnz .LBB113_1
; %bb.519:
	s_getpc_b64 s[20:21]
.Lpost_getpc15:
	s_add_u32 s20, s20, (.LBB113_518-.Lpost_getpc15)&4294967295
	s_addc_u32 s21, s21, (.LBB113_518-.Lpost_getpc15)>>32
	s_setpc_b64 s[20:21]
.LBB113_1:
	s_clause 0x2
	s_load_dwordx4 s[8:11], s[4:5], 0x20
	s_load_dword s6, s[4:5], 0x18
	s_load_dwordx4 s[0:3], s[4:5], 0x8
	v_ashrrev_i32_e32 v200, 31, v199
	v_mad_u32_u24 v253, 0x390, v1, 0
	v_lshlrev_b32_e32 v1, 4, v1
	s_mulk_i32 s14, 0x390
	v_add3_u32 v255, 0, s14, v1
	s_waitcnt lgkmcnt(0)
	v_mul_lo_u32 v5, s9, v199
	v_mul_lo_u32 v7, s8, v200
	v_mad_u64_u32 v[2:3], null, s8, v199, 0
	v_add3_u32 v4, s6, s6, v0
	s_lshl_b64 s[2:3], s[2:3], 4
	s_ashr_i32 s7, s6, 31
	v_add_nc_u32_e32 v6, s6, v4
	v_add3_u32 v3, v3, v7, v5
	v_ashrrev_i32_e32 v5, 31, v4
	v_add_nc_u32_e32 v8, s6, v6
	v_lshlrev_b64 v[2:3], 4, v[2:3]
	v_ashrrev_i32_e32 v7, 31, v6
	v_lshlrev_b64 v[4:5], 4, v[4:5]
	v_add_nc_u32_e32 v10, s6, v8
	v_ashrrev_i32_e32 v9, 31, v8
	v_add_co_u32 v2, vcc_lo, s0, v2
	v_add_co_ci_u32_e64 v3, null, s1, v3, vcc_lo
	v_add_nc_u32_e32 v12, s6, v10
	v_add_co_u32 v2, vcc_lo, v2, s2
	v_lshlrev_b64 v[6:7], 4, v[6:7]
	v_ashrrev_i32_e32 v11, 31, v10
	v_add_co_ci_u32_e64 v3, null, s3, v3, vcc_lo
	v_add_nc_u32_e32 v14, s6, v12
	v_lshlrev_b64 v[8:9], 4, v[8:9]
	v_ashrrev_i32_e32 v13, 31, v12
	v_add_co_u32 v84, vcc_lo, v2, v4
	v_lshlrev_b64 v[10:11], 4, v[10:11]
	v_add_co_ci_u32_e64 v85, null, v3, v5, vcc_lo
	v_add_co_u32 v16, vcc_lo, v2, v6
	v_add_nc_u32_e32 v6, s6, v14
	v_lshlrev_b64 v[4:5], 4, v[12:13]
	v_ashrrev_i32_e32 v15, 31, v14
	v_add_co_ci_u32_e64 v17, null, v3, v7, vcc_lo
	v_add_co_u32 v207, vcc_lo, v2, v8
	v_add_co_ci_u32_e64 v208, null, v3, v9, vcc_lo
	v_add_co_u32 v78, vcc_lo, v2, v10
	v_ashrrev_i32_e32 v7, 31, v6
	v_add_nc_u32_e32 v10, s6, v6
	v_lshlrev_b64 v[8:9], 4, v[14:15]
	v_add_co_ci_u32_e64 v79, null, v3, v11, vcc_lo
	v_add_co_u32 v12, vcc_lo, v2, v4
	v_add_co_ci_u32_e64 v13, null, v3, v5, vcc_lo
	v_lshlrev_b64 v[4:5], 4, v[6:7]
	v_ashrrev_i32_e32 v11, 31, v10
	v_add_nc_u32_e32 v6, s6, v10
	v_add_co_u32 v86, vcc_lo, v2, v8
	v_add_co_ci_u32_e64 v87, null, v3, v9, vcc_lo
	v_lshlrev_b64 v[8:9], 4, v[10:11]
	v_ashrrev_i32_e32 v7, 31, v6
	v_add_nc_u32_e32 v10, s6, v6
	;; [unrolled: 5-line block ×46, first 2 shown]
	v_add_co_u32 v231, vcc_lo, v2, v4
	v_add_co_ci_u32_e64 v232, null, v3, v5, vcc_lo
	v_lshlrev_b64 v[4:5], 4, v[6:7]
	v_add_nc_u32_e32 v6, s6, v10
	v_ashrrev_i32_e32 v11, 31, v10
	v_add_co_u32 v235, vcc_lo, v2, v8
	v_add_co_ci_u32_e64 v236, null, v3, v9, vcc_lo
	v_ashrrev_i32_e32 v7, 31, v6
	v_lshlrev_b64 v[8:9], 4, v[10:11]
	v_add_co_u32 v10, vcc_lo, v2, v4
	v_add_co_ci_u32_e64 v11, null, v3, v5, vcc_lo
	v_lshlrev_b64 v[4:5], 4, v[6:7]
	v_lshlrev_b32_e32 v6, 4, v0
	v_add_co_u32 v7, vcc_lo, v2, v8
	v_add_co_ci_u32_e64 v8, null, v3, v9, vcc_lo
	v_add_co_u32 v233, vcc_lo, v2, v4
	v_add_co_ci_u32_e64 v234, null, v3, v5, vcc_lo
	;; [unrolled: 2-line block ×3, first 2 shown]
	s_lshl_b64 s[0:1], s[6:7], 4
	v_add_co_u32 v4, vcc_lo, v2, s0
	v_add_co_ci_u32_e64 v5, null, s1, v3, vcc_lo
	buffer_store_dword v2, off, s[16:19], 0 offset:440 ; 4-byte Folded Spill
	buffer_store_dword v3, off, s[16:19], 0 offset:444 ; 4-byte Folded Spill
	v_cmp_ne_u32_e64 s1, 0, v0
	v_cmp_eq_u32_e64 s0, 0, v0
	global_load_dwordx4 v[80:83], v[2:3], off
	s_waitcnt vmcnt(0)
	buffer_store_dword v80, off, s[16:19], 0 offset:16 ; 4-byte Folded Spill
	buffer_store_dword v81, off, s[16:19], 0 offset:20 ; 4-byte Folded Spill
	;; [unrolled: 1-line block ×6, first 2 shown]
	global_load_dwordx4 v[1:4], v[4:5], off
	s_waitcnt vmcnt(0)
	buffer_store_dword v1, off, s[16:19], 0 ; 4-byte Folded Spill
	buffer_store_dword v2, off, s[16:19], 0 offset:4 ; 4-byte Folded Spill
	buffer_store_dword v3, off, s[16:19], 0 offset:8 ; 4-byte Folded Spill
	;; [unrolled: 1-line block ×5, first 2 shown]
	global_load_dwordx4 v[225:228], v[84:85], off
	buffer_store_dword v16, off, s[16:19], 0 offset:32 ; 4-byte Folded Spill
	buffer_store_dword v17, off, s[16:19], 0 offset:36 ; 4-byte Folded Spill
	s_clause 0x1
	global_load_dwordx4 v[245:248], v[16:17], off
	global_load_dwordx4 v[241:244], v[207:208], off
	buffer_store_dword v78, off, s[16:19], 0 offset:456 ; 4-byte Folded Spill
	buffer_store_dword v79, off, s[16:19], 0 offset:460 ; 4-byte Folded Spill
	global_load_dwordx4 v[109:112], v[78:79], off
	buffer_store_dword v12, off, s[16:19], 0 offset:40 ; 4-byte Folded Spill
	buffer_store_dword v13, off, s[16:19], 0 offset:44 ; 4-byte Folded Spill
	;; [unrolled: 3-line block ×39, first 2 shown]
	s_waitcnt vmcnt(34)
	v_mov_b32_e32 v212, v4
	v_mov_b32_e32 v211, v3
	;; [unrolled: 1-line block ×4, first 2 shown]
	global_load_dwordx4 v[53:56], v[213:214], off
	buffer_store_dword v215, off, s[16:19], 0 offset:328 ; 4-byte Folded Spill
	buffer_store_dword v216, off, s[16:19], 0 offset:332 ; 4-byte Folded Spill
	global_load_dwordx4 v[49:52], v[215:216], off
	buffer_store_dword v217, off, s[16:19], 0 offset:336 ; 4-byte Folded Spill
	buffer_store_dword v218, off, s[16:19], 0 offset:340 ; 4-byte Folded Spill
	;; [unrolled: 3-line block ×10, first 2 shown]
	v_mov_b32_e32 v232, v156
	v_mov_b32_e32 v231, v155
	;; [unrolled: 1-line block ×4, first 2 shown]
	s_waitcnt vmcnt(34)
	v_mov_b32_e32 v156, v15
	v_mov_b32_e32 v155, v14
	v_mov_b32_e32 v154, v13
	v_mov_b32_e32 v153, v12
	global_load_dwordx4 v[13:16], v[235:236], off
	buffer_store_dword v10, off, s[16:19], 0 offset:400 ; 4-byte Folded Spill
	buffer_store_dword v11, off, s[16:19], 0 offset:404 ; 4-byte Folded Spill
	global_load_dwordx4 v[9:12], v[10:11], off
	buffer_store_dword v7, off, s[16:19], 0 offset:408 ; 4-byte Folded Spill
	buffer_store_dword v8, off, s[16:19], 0 offset:412 ; 4-byte Folded Spill
	;; [unrolled: 3-line block ×3, first 2 shown]
	global_load_dwordx4 v[1:4], v[233:234], off
	v_mov_b32_e32 v236, v112
	v_mov_b32_e32 v235, v111
	v_mov_b32_e32 v234, v110
	v_mov_b32_e32 v233, v109
	s_waitcnt vmcnt(27)
	v_mov_b32_e32 v112, v108
	v_mov_b32_e32 v111, v107
	v_mov_b32_e32 v110, v106
	v_mov_b32_e32 v109, v105
	s_waitcnt vmcnt(26)
	;; [unrolled: 5-line block ×9, first 2 shown]
	v_mov_b32_e32 v77, v237
	v_mov_b32_e32 v78, v238
	;; [unrolled: 1-line block ×12, first 2 shown]
	s_and_saveexec_b32 s3, s0
	s_cbranch_execz .LBB113_8
; %bb.2:
	s_clause 0x3
	buffer_load_dword v193, off, s[16:19], 0 offset:16
	buffer_load_dword v194, off, s[16:19], 0 offset:20
	;; [unrolled: 1-line block ×4, first 2 shown]
	s_waitcnt vmcnt(0)
	ds_write2_b64 v255, v[193:194], v[195:196] offset1:1
	s_clause 0x3
	buffer_load_dword v193, off, s[16:19], 0
	buffer_load_dword v194, off, s[16:19], 0 offset:4
	buffer_load_dword v195, off, s[16:19], 0 offset:8
	;; [unrolled: 1-line block ×3, first 2 shown]
	s_waitcnt vmcnt(0)
	ds_write2_b64 v253, v[193:194], v[195:196] offset0:2 offset1:3
	ds_write2_b64 v253, v[225:226], v[227:228] offset0:4 offset1:5
	;; [unrolled: 1-line block ×56, first 2 shown]
	ds_read2_b64 v[213:216], v255 offset1:1
	s_waitcnt lgkmcnt(0)
	v_cmp_neq_f64_e32 vcc_lo, 0, v[213:214]
	v_cmp_neq_f64_e64 s2, 0, v[215:216]
	s_or_b32 s2, vcc_lo, s2
	s_and_b32 exec_lo, exec_lo, s2
	s_cbranch_execz .LBB113_8
; %bb.3:
	v_cmp_ngt_f64_e64 s2, |v[213:214]|, |v[215:216]|
                                        ; implicit-def: $vgpr217_vgpr218
	s_and_saveexec_b32 s4, s2
	s_xor_b32 s2, exec_lo, s4
                                        ; implicit-def: $vgpr219_vgpr220
	s_cbranch_execz .LBB113_5
; %bb.4:
	v_div_scale_f64 v[217:218], null, v[215:216], v[215:216], v[213:214]
	v_div_scale_f64 v[223:224], vcc_lo, v[213:214], v[215:216], v[213:214]
	v_rcp_f64_e32 v[219:220], v[217:218]
	v_fma_f64 v[221:222], -v[217:218], v[219:220], 1.0
	v_fma_f64 v[219:220], v[219:220], v[221:222], v[219:220]
	v_fma_f64 v[221:222], -v[217:218], v[219:220], 1.0
	v_fma_f64 v[219:220], v[219:220], v[221:222], v[219:220]
	v_mul_f64 v[221:222], v[223:224], v[219:220]
	v_fma_f64 v[217:218], -v[217:218], v[221:222], v[223:224]
	v_div_fmas_f64 v[217:218], v[217:218], v[219:220], v[221:222]
	v_div_fixup_f64 v[217:218], v[217:218], v[215:216], v[213:214]
	v_fma_f64 v[213:214], v[213:214], v[217:218], v[215:216]
	v_div_scale_f64 v[215:216], null, v[213:214], v[213:214], 1.0
	v_rcp_f64_e32 v[219:220], v[215:216]
	v_fma_f64 v[221:222], -v[215:216], v[219:220], 1.0
	v_fma_f64 v[219:220], v[219:220], v[221:222], v[219:220]
	v_fma_f64 v[221:222], -v[215:216], v[219:220], 1.0
	v_fma_f64 v[219:220], v[219:220], v[221:222], v[219:220]
	v_div_scale_f64 v[221:222], vcc_lo, 1.0, v[213:214], 1.0
	v_mul_f64 v[223:224], v[221:222], v[219:220]
	v_fma_f64 v[215:216], -v[215:216], v[223:224], v[221:222]
	v_div_fmas_f64 v[215:216], v[215:216], v[219:220], v[223:224]
	v_div_fixup_f64 v[219:220], v[215:216], v[213:214], 1.0
                                        ; implicit-def: $vgpr213_vgpr214
	v_mul_f64 v[217:218], v[217:218], v[219:220]
	v_xor_b32_e32 v220, 0x80000000, v220
.LBB113_5:
	s_andn2_saveexec_b32 s2, s2
	s_cbranch_execz .LBB113_7
; %bb.6:
	v_div_scale_f64 v[217:218], null, v[213:214], v[213:214], v[215:216]
	v_div_scale_f64 v[223:224], vcc_lo, v[215:216], v[213:214], v[215:216]
	v_rcp_f64_e32 v[219:220], v[217:218]
	v_fma_f64 v[221:222], -v[217:218], v[219:220], 1.0
	v_fma_f64 v[219:220], v[219:220], v[221:222], v[219:220]
	v_fma_f64 v[221:222], -v[217:218], v[219:220], 1.0
	v_fma_f64 v[219:220], v[219:220], v[221:222], v[219:220]
	v_mul_f64 v[221:222], v[223:224], v[219:220]
	v_fma_f64 v[217:218], -v[217:218], v[221:222], v[223:224]
	v_div_fmas_f64 v[217:218], v[217:218], v[219:220], v[221:222]
	v_div_fixup_f64 v[219:220], v[217:218], v[213:214], v[215:216]
	v_fma_f64 v[213:214], v[215:216], v[219:220], v[213:214]
	v_div_scale_f64 v[215:216], null, v[213:214], v[213:214], 1.0
	v_rcp_f64_e32 v[217:218], v[215:216]
	v_fma_f64 v[221:222], -v[215:216], v[217:218], 1.0
	v_fma_f64 v[217:218], v[217:218], v[221:222], v[217:218]
	v_fma_f64 v[221:222], -v[215:216], v[217:218], 1.0
	v_fma_f64 v[217:218], v[217:218], v[221:222], v[217:218]
	v_div_scale_f64 v[221:222], vcc_lo, 1.0, v[213:214], 1.0
	v_mul_f64 v[223:224], v[221:222], v[217:218]
	v_fma_f64 v[215:216], -v[215:216], v[223:224], v[221:222]
	v_div_fmas_f64 v[215:216], v[215:216], v[217:218], v[223:224]
	v_div_fixup_f64 v[217:218], v[215:216], v[213:214], 1.0
	v_mul_f64 v[219:220], v[219:220], -v[217:218]
.LBB113_7:
	s_or_b32 exec_lo, exec_lo, s2
	ds_write2_b64 v255, v[217:218], v[219:220] offset1:1
.LBB113_8:
	s_or_b32 exec_lo, exec_lo, s3
	s_waitcnt vmcnt(0) lgkmcnt(0)
	s_waitcnt_vscnt null, 0x0
	s_barrier
	buffer_gl0_inv
	ds_read2_b64 v[193:196], v255 offset1:1
	s_waitcnt lgkmcnt(0)
	buffer_store_dword v193, off, s[16:19], 0 offset:464 ; 4-byte Folded Spill
	buffer_store_dword v194, off, s[16:19], 0 offset:468 ; 4-byte Folded Spill
	;; [unrolled: 1-line block ×4, first 2 shown]
	s_and_saveexec_b32 s2, s1
	s_cbranch_execz .LBB113_10
; %bb.9:
	s_clause 0x7
	buffer_load_dword v203, off, s[16:19], 0 offset:16
	buffer_load_dword v204, off, s[16:19], 0 offset:20
	buffer_load_dword v205, off, s[16:19], 0 offset:24
	buffer_load_dword v206, off, s[16:19], 0 offset:28
	buffer_load_dword v193, off, s[16:19], 0 offset:464
	buffer_load_dword v194, off, s[16:19], 0 offset:468
	buffer_load_dword v195, off, s[16:19], 0 offset:472
	buffer_load_dword v196, off, s[16:19], 0 offset:476
	s_waitcnt vmcnt(2)
	v_mul_f64 v[215:216], v[193:194], v[205:206]
	s_waitcnt vmcnt(0)
	v_mul_f64 v[213:214], v[195:196], v[205:206]
	v_fma_f64 v[205:206], v[195:196], v[203:204], v[215:216]
	ds_read2_b64 v[215:218], v253 offset0:2 offset1:3
	v_fma_f64 v[213:214], v[193:194], v[203:204], -v[213:214]
	s_clause 0x3
	buffer_load_dword v193, off, s[16:19], 0
	buffer_load_dword v194, off, s[16:19], 0 offset:4
	buffer_load_dword v195, off, s[16:19], 0 offset:8
	buffer_load_dword v196, off, s[16:19], 0 offset:12
	s_waitcnt lgkmcnt(0)
	v_mul_f64 v[219:220], v[217:218], v[205:206]
	v_mov_b32_e32 v203, v213
	v_mov_b32_e32 v204, v214
	v_fma_f64 v[219:220], v[215:216], v[213:214], -v[219:220]
	v_mul_f64 v[215:216], v[215:216], v[205:206]
	v_fma_f64 v[215:216], v[217:218], v[213:214], v[215:216]
	s_waitcnt vmcnt(2)
	v_add_f64 v[193:194], v[193:194], -v[219:220]
	s_waitcnt vmcnt(0)
	v_add_f64 v[195:196], v[195:196], -v[215:216]
	buffer_store_dword v193, off, s[16:19], 0 ; 4-byte Folded Spill
	buffer_store_dword v194, off, s[16:19], 0 offset:4 ; 4-byte Folded Spill
	buffer_store_dword v195, off, s[16:19], 0 offset:8 ; 4-byte Folded Spill
	;; [unrolled: 1-line block ×3, first 2 shown]
	ds_read2_b64 v[215:218], v253 offset0:4 offset1:5
	s_waitcnt lgkmcnt(0)
	v_mul_f64 v[219:220], v[217:218], v[205:206]
	v_fma_f64 v[219:220], v[215:216], v[213:214], -v[219:220]
	v_mul_f64 v[215:216], v[215:216], v[205:206]
	v_add_f64 v[225:226], v[225:226], -v[219:220]
	v_fma_f64 v[215:216], v[217:218], v[213:214], v[215:216]
	v_add_f64 v[227:228], v[227:228], -v[215:216]
	ds_read2_b64 v[215:218], v253 offset0:6 offset1:7
	s_waitcnt lgkmcnt(0)
	v_mul_f64 v[219:220], v[217:218], v[205:206]
	v_fma_f64 v[219:220], v[215:216], v[213:214], -v[219:220]
	v_mul_f64 v[215:216], v[215:216], v[205:206]
	v_add_f64 v[241:242], v[241:242], -v[219:220]
	v_fma_f64 v[215:216], v[217:218], v[213:214], v[215:216]
	v_add_f64 v[243:244], v[243:244], -v[215:216]
	ds_read2_b64 v[215:218], v253 offset0:8 offset1:9
	s_waitcnt lgkmcnt(0)
	v_mul_f64 v[219:220], v[217:218], v[205:206]
	v_fma_f64 v[219:220], v[215:216], v[213:214], -v[219:220]
	v_mul_f64 v[215:216], v[215:216], v[205:206]
	v_add_f64 v[237:238], v[237:238], -v[219:220]
	v_fma_f64 v[215:216], v[217:218], v[213:214], v[215:216]
	v_add_f64 v[239:240], v[239:240], -v[215:216]
	ds_read2_b64 v[215:218], v253 offset0:10 offset1:11
	s_waitcnt lgkmcnt(0)
	v_mul_f64 v[219:220], v[217:218], v[205:206]
	v_fma_f64 v[219:220], v[215:216], v[213:214], -v[219:220]
	v_mul_f64 v[215:216], v[215:216], v[205:206]
	v_add_f64 v[233:234], v[233:234], -v[219:220]
	v_fma_f64 v[215:216], v[217:218], v[213:214], v[215:216]
	v_add_f64 v[235:236], v[235:236], -v[215:216]
	ds_read2_b64 v[215:218], v253 offset0:12 offset1:13
	s_waitcnt lgkmcnt(0)
	v_mul_f64 v[219:220], v[217:218], v[205:206]
	v_fma_f64 v[219:220], v[215:216], v[213:214], -v[219:220]
	v_mul_f64 v[215:216], v[215:216], v[205:206]
	v_add_f64 v[229:230], v[229:230], -v[219:220]
	v_fma_f64 v[215:216], v[217:218], v[213:214], v[215:216]
	v_add_f64 v[231:232], v[231:232], -v[215:216]
	ds_read2_b64 v[215:218], v253 offset0:14 offset1:15
	s_waitcnt lgkmcnt(0)
	v_mul_f64 v[219:220], v[217:218], v[205:206]
	v_fma_f64 v[219:220], v[215:216], v[213:214], -v[219:220]
	v_mul_f64 v[215:216], v[215:216], v[205:206]
	v_add_f64 v[249:250], v[249:250], -v[219:220]
	v_fma_f64 v[215:216], v[217:218], v[213:214], v[215:216]
	v_add_f64 v[251:252], v[251:252], -v[215:216]
	ds_read2_b64 v[215:218], v253 offset0:16 offset1:17
	s_waitcnt lgkmcnt(0)
	v_mul_f64 v[219:220], v[217:218], v[205:206]
	v_fma_f64 v[219:220], v[215:216], v[213:214], -v[219:220]
	v_mul_f64 v[215:216], v[215:216], v[205:206]
	v_add_f64 v[209:210], v[209:210], -v[219:220]
	v_fma_f64 v[215:216], v[217:218], v[213:214], v[215:216]
	v_add_f64 v[211:212], v[211:212], -v[215:216]
	ds_read2_b64 v[215:218], v253 offset0:18 offset1:19
	s_waitcnt lgkmcnt(0)
	v_mul_f64 v[219:220], v[217:218], v[205:206]
	v_fma_f64 v[219:220], v[215:216], v[213:214], -v[219:220]
	v_mul_f64 v[215:216], v[215:216], v[205:206]
	v_add_f64 v[189:190], v[189:190], -v[219:220]
	v_fma_f64 v[215:216], v[217:218], v[213:214], v[215:216]
	v_add_f64 v[191:192], v[191:192], -v[215:216]
	ds_read2_b64 v[215:218], v253 offset0:20 offset1:21
	s_waitcnt lgkmcnt(0)
	v_mul_f64 v[219:220], v[217:218], v[205:206]
	v_fma_f64 v[219:220], v[215:216], v[213:214], -v[219:220]
	v_mul_f64 v[215:216], v[215:216], v[205:206]
	v_add_f64 v[185:186], v[185:186], -v[219:220]
	v_fma_f64 v[215:216], v[217:218], v[213:214], v[215:216]
	v_add_f64 v[187:188], v[187:188], -v[215:216]
	ds_read2_b64 v[215:218], v253 offset0:22 offset1:23
	s_waitcnt lgkmcnt(0)
	v_mul_f64 v[219:220], v[217:218], v[205:206]
	v_fma_f64 v[219:220], v[215:216], v[213:214], -v[219:220]
	v_mul_f64 v[215:216], v[215:216], v[205:206]
	v_add_f64 v[181:182], v[181:182], -v[219:220]
	v_fma_f64 v[215:216], v[217:218], v[213:214], v[215:216]
	v_add_f64 v[183:184], v[183:184], -v[215:216]
	ds_read2_b64 v[215:218], v253 offset0:24 offset1:25
	s_waitcnt lgkmcnt(0)
	v_mul_f64 v[219:220], v[217:218], v[205:206]
	v_fma_f64 v[219:220], v[215:216], v[213:214], -v[219:220]
	v_mul_f64 v[215:216], v[215:216], v[205:206]
	v_add_f64 v[177:178], v[177:178], -v[219:220]
	v_fma_f64 v[215:216], v[217:218], v[213:214], v[215:216]
	v_add_f64 v[179:180], v[179:180], -v[215:216]
	ds_read2_b64 v[215:218], v253 offset0:26 offset1:27
	s_waitcnt lgkmcnt(0)
	v_mul_f64 v[219:220], v[217:218], v[205:206]
	v_fma_f64 v[219:220], v[215:216], v[213:214], -v[219:220]
	v_mul_f64 v[215:216], v[215:216], v[205:206]
	v_add_f64 v[173:174], v[173:174], -v[219:220]
	v_fma_f64 v[215:216], v[217:218], v[213:214], v[215:216]
	v_add_f64 v[175:176], v[175:176], -v[215:216]
	ds_read2_b64 v[215:218], v253 offset0:28 offset1:29
	s_waitcnt lgkmcnt(0)
	v_mul_f64 v[219:220], v[217:218], v[205:206]
	v_fma_f64 v[219:220], v[215:216], v[213:214], -v[219:220]
	v_mul_f64 v[215:216], v[215:216], v[205:206]
	v_add_f64 v[169:170], v[169:170], -v[219:220]
	v_fma_f64 v[215:216], v[217:218], v[213:214], v[215:216]
	v_add_f64 v[171:172], v[171:172], -v[215:216]
	ds_read2_b64 v[215:218], v253 offset0:30 offset1:31
	s_waitcnt lgkmcnt(0)
	v_mul_f64 v[219:220], v[217:218], v[205:206]
	v_fma_f64 v[219:220], v[215:216], v[213:214], -v[219:220]
	v_mul_f64 v[215:216], v[215:216], v[205:206]
	v_add_f64 v[165:166], v[165:166], -v[219:220]
	v_fma_f64 v[215:216], v[217:218], v[213:214], v[215:216]
	v_add_f64 v[167:168], v[167:168], -v[215:216]
	ds_read2_b64 v[215:218], v253 offset0:32 offset1:33
	s_waitcnt lgkmcnt(0)
	v_mul_f64 v[219:220], v[217:218], v[205:206]
	v_fma_f64 v[219:220], v[215:216], v[213:214], -v[219:220]
	v_mul_f64 v[215:216], v[215:216], v[205:206]
	v_add_f64 v[161:162], v[161:162], -v[219:220]
	v_fma_f64 v[215:216], v[217:218], v[213:214], v[215:216]
	v_add_f64 v[163:164], v[163:164], -v[215:216]
	ds_read2_b64 v[215:218], v253 offset0:34 offset1:35
	s_waitcnt lgkmcnt(0)
	v_mul_f64 v[219:220], v[217:218], v[205:206]
	v_fma_f64 v[219:220], v[215:216], v[213:214], -v[219:220]
	v_mul_f64 v[215:216], v[215:216], v[205:206]
	v_add_f64 v[157:158], v[157:158], -v[219:220]
	v_fma_f64 v[215:216], v[217:218], v[213:214], v[215:216]
	v_add_f64 v[159:160], v[159:160], -v[215:216]
	ds_read2_b64 v[215:218], v253 offset0:36 offset1:37
	s_waitcnt lgkmcnt(0)
	v_mul_f64 v[219:220], v[217:218], v[205:206]
	v_fma_f64 v[219:220], v[215:216], v[213:214], -v[219:220]
	v_mul_f64 v[215:216], v[215:216], v[205:206]
	v_add_f64 v[153:154], v[153:154], -v[219:220]
	v_fma_f64 v[215:216], v[217:218], v[213:214], v[215:216]
	v_add_f64 v[155:156], v[155:156], -v[215:216]
	ds_read2_b64 v[215:218], v253 offset0:38 offset1:39
	s_waitcnt lgkmcnt(0)
	v_mul_f64 v[219:220], v[217:218], v[205:206]
	v_fma_f64 v[219:220], v[215:216], v[213:214], -v[219:220]
	v_mul_f64 v[215:216], v[215:216], v[205:206]
	v_add_f64 v[149:150], v[149:150], -v[219:220]
	v_fma_f64 v[215:216], v[217:218], v[213:214], v[215:216]
	v_add_f64 v[151:152], v[151:152], -v[215:216]
	ds_read2_b64 v[215:218], v253 offset0:40 offset1:41
	s_waitcnt lgkmcnt(0)
	v_mul_f64 v[219:220], v[217:218], v[205:206]
	v_fma_f64 v[219:220], v[215:216], v[213:214], -v[219:220]
	v_mul_f64 v[215:216], v[215:216], v[205:206]
	v_add_f64 v[145:146], v[145:146], -v[219:220]
	v_fma_f64 v[215:216], v[217:218], v[213:214], v[215:216]
	v_add_f64 v[147:148], v[147:148], -v[215:216]
	ds_read2_b64 v[215:218], v253 offset0:42 offset1:43
	s_waitcnt lgkmcnt(0)
	v_mul_f64 v[219:220], v[217:218], v[205:206]
	v_fma_f64 v[219:220], v[215:216], v[213:214], -v[219:220]
	v_mul_f64 v[215:216], v[215:216], v[205:206]
	v_add_f64 v[141:142], v[141:142], -v[219:220]
	v_fma_f64 v[215:216], v[217:218], v[213:214], v[215:216]
	v_add_f64 v[143:144], v[143:144], -v[215:216]
	ds_read2_b64 v[215:218], v253 offset0:44 offset1:45
	s_waitcnt lgkmcnt(0)
	v_mul_f64 v[219:220], v[217:218], v[205:206]
	v_fma_f64 v[219:220], v[215:216], v[213:214], -v[219:220]
	v_mul_f64 v[215:216], v[215:216], v[205:206]
	v_add_f64 v[137:138], v[137:138], -v[219:220]
	v_fma_f64 v[215:216], v[217:218], v[213:214], v[215:216]
	v_add_f64 v[139:140], v[139:140], -v[215:216]
	ds_read2_b64 v[215:218], v253 offset0:46 offset1:47
	s_waitcnt lgkmcnt(0)
	v_mul_f64 v[219:220], v[217:218], v[205:206]
	v_fma_f64 v[219:220], v[215:216], v[213:214], -v[219:220]
	v_mul_f64 v[215:216], v[215:216], v[205:206]
	v_add_f64 v[133:134], v[133:134], -v[219:220]
	v_fma_f64 v[215:216], v[217:218], v[213:214], v[215:216]
	v_add_f64 v[135:136], v[135:136], -v[215:216]
	ds_read2_b64 v[215:218], v253 offset0:48 offset1:49
	s_waitcnt lgkmcnt(0)
	v_mul_f64 v[219:220], v[217:218], v[205:206]
	v_fma_f64 v[219:220], v[215:216], v[213:214], -v[219:220]
	v_mul_f64 v[215:216], v[215:216], v[205:206]
	v_add_f64 v[129:130], v[129:130], -v[219:220]
	v_fma_f64 v[215:216], v[217:218], v[213:214], v[215:216]
	v_add_f64 v[131:132], v[131:132], -v[215:216]
	ds_read2_b64 v[215:218], v253 offset0:50 offset1:51
	s_waitcnt lgkmcnt(0)
	v_mul_f64 v[219:220], v[217:218], v[205:206]
	v_fma_f64 v[219:220], v[215:216], v[213:214], -v[219:220]
	v_mul_f64 v[215:216], v[215:216], v[205:206]
	v_add_f64 v[125:126], v[125:126], -v[219:220]
	v_fma_f64 v[215:216], v[217:218], v[213:214], v[215:216]
	v_add_f64 v[127:128], v[127:128], -v[215:216]
	ds_read2_b64 v[215:218], v253 offset0:52 offset1:53
	s_waitcnt lgkmcnt(0)
	v_mul_f64 v[219:220], v[217:218], v[205:206]
	v_fma_f64 v[219:220], v[215:216], v[213:214], -v[219:220]
	v_mul_f64 v[215:216], v[215:216], v[205:206]
	v_add_f64 v[121:122], v[121:122], -v[219:220]
	v_fma_f64 v[215:216], v[217:218], v[213:214], v[215:216]
	v_add_f64 v[123:124], v[123:124], -v[215:216]
	ds_read2_b64 v[215:218], v253 offset0:54 offset1:55
	s_waitcnt lgkmcnt(0)
	v_mul_f64 v[219:220], v[217:218], v[205:206]
	v_fma_f64 v[219:220], v[215:216], v[213:214], -v[219:220]
	v_mul_f64 v[215:216], v[215:216], v[205:206]
	v_add_f64 v[117:118], v[117:118], -v[219:220]
	v_fma_f64 v[215:216], v[217:218], v[213:214], v[215:216]
	v_add_f64 v[119:120], v[119:120], -v[215:216]
	ds_read2_b64 v[215:218], v253 offset0:56 offset1:57
	s_waitcnt lgkmcnt(0)
	v_mul_f64 v[219:220], v[217:218], v[205:206]
	v_fma_f64 v[219:220], v[215:216], v[213:214], -v[219:220]
	v_mul_f64 v[215:216], v[215:216], v[205:206]
	v_add_f64 v[113:114], v[113:114], -v[219:220]
	v_fma_f64 v[215:216], v[217:218], v[213:214], v[215:216]
	v_add_f64 v[115:116], v[115:116], -v[215:216]
	ds_read2_b64 v[215:218], v253 offset0:58 offset1:59
	s_waitcnt lgkmcnt(0)
	v_mul_f64 v[219:220], v[217:218], v[205:206]
	v_fma_f64 v[219:220], v[215:216], v[213:214], -v[219:220]
	v_mul_f64 v[215:216], v[215:216], v[205:206]
	v_add_f64 v[109:110], v[109:110], -v[219:220]
	v_fma_f64 v[215:216], v[217:218], v[213:214], v[215:216]
	v_add_f64 v[111:112], v[111:112], -v[215:216]
	ds_read2_b64 v[215:218], v253 offset0:60 offset1:61
	s_waitcnt lgkmcnt(0)
	v_mul_f64 v[219:220], v[217:218], v[205:206]
	v_fma_f64 v[219:220], v[215:216], v[213:214], -v[219:220]
	v_mul_f64 v[215:216], v[215:216], v[205:206]
	v_add_f64 v[105:106], v[105:106], -v[219:220]
	v_fma_f64 v[215:216], v[217:218], v[213:214], v[215:216]
	v_add_f64 v[107:108], v[107:108], -v[215:216]
	ds_read2_b64 v[215:218], v253 offset0:62 offset1:63
	s_waitcnt lgkmcnt(0)
	v_mul_f64 v[219:220], v[217:218], v[205:206]
	v_fma_f64 v[219:220], v[215:216], v[213:214], -v[219:220]
	v_mul_f64 v[215:216], v[215:216], v[205:206]
	v_add_f64 v[101:102], v[101:102], -v[219:220]
	v_fma_f64 v[215:216], v[217:218], v[213:214], v[215:216]
	v_add_f64 v[103:104], v[103:104], -v[215:216]
	ds_read2_b64 v[215:218], v253 offset0:64 offset1:65
	s_waitcnt lgkmcnt(0)
	v_mul_f64 v[219:220], v[217:218], v[205:206]
	v_fma_f64 v[219:220], v[215:216], v[213:214], -v[219:220]
	v_mul_f64 v[215:216], v[215:216], v[205:206]
	v_add_f64 v[97:98], v[97:98], -v[219:220]
	v_fma_f64 v[215:216], v[217:218], v[213:214], v[215:216]
	v_add_f64 v[99:100], v[99:100], -v[215:216]
	ds_read2_b64 v[215:218], v253 offset0:66 offset1:67
	s_waitcnt lgkmcnt(0)
	v_mul_f64 v[219:220], v[217:218], v[205:206]
	v_fma_f64 v[219:220], v[215:216], v[213:214], -v[219:220]
	v_mul_f64 v[215:216], v[215:216], v[205:206]
	v_add_f64 v[93:94], v[93:94], -v[219:220]
	v_fma_f64 v[215:216], v[217:218], v[213:214], v[215:216]
	v_add_f64 v[95:96], v[95:96], -v[215:216]
	ds_read2_b64 v[215:218], v253 offset0:68 offset1:69
	s_waitcnt lgkmcnt(0)
	v_mul_f64 v[219:220], v[217:218], v[205:206]
	v_fma_f64 v[219:220], v[215:216], v[213:214], -v[219:220]
	v_mul_f64 v[215:216], v[215:216], v[205:206]
	v_add_f64 v[89:90], v[89:90], -v[219:220]
	v_fma_f64 v[215:216], v[217:218], v[213:214], v[215:216]
	v_add_f64 v[91:92], v[91:92], -v[215:216]
	ds_read2_b64 v[215:218], v253 offset0:70 offset1:71
	s_waitcnt lgkmcnt(0)
	v_mul_f64 v[219:220], v[217:218], v[205:206]
	v_fma_f64 v[219:220], v[215:216], v[213:214], -v[219:220]
	v_mul_f64 v[215:216], v[215:216], v[205:206]
	v_add_f64 v[85:86], v[85:86], -v[219:220]
	v_fma_f64 v[215:216], v[217:218], v[213:214], v[215:216]
	v_add_f64 v[87:88], v[87:88], -v[215:216]
	ds_read2_b64 v[215:218], v253 offset0:72 offset1:73
	s_waitcnt lgkmcnt(0)
	v_mul_f64 v[219:220], v[217:218], v[205:206]
	v_fma_f64 v[219:220], v[215:216], v[213:214], -v[219:220]
	v_mul_f64 v[215:216], v[215:216], v[205:206]
	v_add_f64 v[81:82], v[81:82], -v[219:220]
	v_fma_f64 v[215:216], v[217:218], v[213:214], v[215:216]
	v_add_f64 v[83:84], v[83:84], -v[215:216]
	ds_read2_b64 v[215:218], v253 offset0:74 offset1:75
	s_waitcnt lgkmcnt(0)
	v_mul_f64 v[219:220], v[217:218], v[205:206]
	v_fma_f64 v[219:220], v[215:216], v[213:214], -v[219:220]
	v_mul_f64 v[215:216], v[215:216], v[205:206]
	v_add_f64 v[77:78], v[77:78], -v[219:220]
	v_fma_f64 v[215:216], v[217:218], v[213:214], v[215:216]
	v_add_f64 v[79:80], v[79:80], -v[215:216]
	ds_read2_b64 v[215:218], v253 offset0:76 offset1:77
	s_waitcnt lgkmcnt(0)
	v_mul_f64 v[219:220], v[217:218], v[205:206]
	v_fma_f64 v[219:220], v[215:216], v[213:214], -v[219:220]
	v_mul_f64 v[215:216], v[215:216], v[205:206]
	v_add_f64 v[73:74], v[73:74], -v[219:220]
	v_fma_f64 v[215:216], v[217:218], v[213:214], v[215:216]
	v_add_f64 v[75:76], v[75:76], -v[215:216]
	ds_read2_b64 v[215:218], v253 offset0:78 offset1:79
	s_waitcnt lgkmcnt(0)
	v_mul_f64 v[219:220], v[217:218], v[205:206]
	v_fma_f64 v[219:220], v[215:216], v[213:214], -v[219:220]
	v_mul_f64 v[215:216], v[215:216], v[205:206]
	v_add_f64 v[69:70], v[69:70], -v[219:220]
	v_fma_f64 v[215:216], v[217:218], v[213:214], v[215:216]
	v_add_f64 v[71:72], v[71:72], -v[215:216]
	ds_read2_b64 v[215:218], v253 offset0:80 offset1:81
	s_waitcnt lgkmcnt(0)
	v_mul_f64 v[219:220], v[217:218], v[205:206]
	v_fma_f64 v[219:220], v[215:216], v[213:214], -v[219:220]
	v_mul_f64 v[215:216], v[215:216], v[205:206]
	v_add_f64 v[65:66], v[65:66], -v[219:220]
	v_fma_f64 v[215:216], v[217:218], v[213:214], v[215:216]
	v_add_f64 v[67:68], v[67:68], -v[215:216]
	ds_read2_b64 v[215:218], v253 offset0:82 offset1:83
	s_waitcnt lgkmcnt(0)
	v_mul_f64 v[219:220], v[217:218], v[205:206]
	v_fma_f64 v[219:220], v[215:216], v[213:214], -v[219:220]
	v_mul_f64 v[215:216], v[215:216], v[205:206]
	v_add_f64 v[61:62], v[61:62], -v[219:220]
	v_fma_f64 v[215:216], v[217:218], v[213:214], v[215:216]
	v_add_f64 v[63:64], v[63:64], -v[215:216]
	ds_read2_b64 v[215:218], v253 offset0:84 offset1:85
	s_waitcnt lgkmcnt(0)
	v_mul_f64 v[219:220], v[217:218], v[205:206]
	v_fma_f64 v[219:220], v[215:216], v[213:214], -v[219:220]
	v_mul_f64 v[215:216], v[215:216], v[205:206]
	v_add_f64 v[57:58], v[57:58], -v[219:220]
	v_fma_f64 v[215:216], v[217:218], v[213:214], v[215:216]
	v_add_f64 v[59:60], v[59:60], -v[215:216]
	ds_read2_b64 v[215:218], v253 offset0:86 offset1:87
	s_waitcnt lgkmcnt(0)
	v_mul_f64 v[219:220], v[217:218], v[205:206]
	v_fma_f64 v[219:220], v[215:216], v[213:214], -v[219:220]
	v_mul_f64 v[215:216], v[215:216], v[205:206]
	v_add_f64 v[53:54], v[53:54], -v[219:220]
	v_fma_f64 v[215:216], v[217:218], v[213:214], v[215:216]
	v_add_f64 v[55:56], v[55:56], -v[215:216]
	ds_read2_b64 v[215:218], v253 offset0:88 offset1:89
	s_waitcnt lgkmcnt(0)
	v_mul_f64 v[219:220], v[217:218], v[205:206]
	v_fma_f64 v[219:220], v[215:216], v[213:214], -v[219:220]
	v_mul_f64 v[215:216], v[215:216], v[205:206]
	v_add_f64 v[49:50], v[49:50], -v[219:220]
	v_fma_f64 v[215:216], v[217:218], v[213:214], v[215:216]
	v_add_f64 v[51:52], v[51:52], -v[215:216]
	ds_read2_b64 v[215:218], v253 offset0:90 offset1:91
	s_waitcnt lgkmcnt(0)
	v_mul_f64 v[219:220], v[217:218], v[205:206]
	v_fma_f64 v[219:220], v[215:216], v[213:214], -v[219:220]
	v_mul_f64 v[215:216], v[215:216], v[205:206]
	v_add_f64 v[45:46], v[45:46], -v[219:220]
	v_fma_f64 v[215:216], v[217:218], v[213:214], v[215:216]
	v_add_f64 v[47:48], v[47:48], -v[215:216]
	ds_read2_b64 v[215:218], v253 offset0:92 offset1:93
	s_waitcnt lgkmcnt(0)
	v_mul_f64 v[219:220], v[217:218], v[205:206]
	v_fma_f64 v[219:220], v[215:216], v[213:214], -v[219:220]
	v_mul_f64 v[215:216], v[215:216], v[205:206]
	v_add_f64 v[41:42], v[41:42], -v[219:220]
	v_fma_f64 v[215:216], v[217:218], v[213:214], v[215:216]
	v_add_f64 v[43:44], v[43:44], -v[215:216]
	ds_read2_b64 v[215:218], v253 offset0:94 offset1:95
	s_waitcnt lgkmcnt(0)
	v_mul_f64 v[219:220], v[217:218], v[205:206]
	v_fma_f64 v[219:220], v[215:216], v[213:214], -v[219:220]
	v_mul_f64 v[215:216], v[215:216], v[205:206]
	v_add_f64 v[37:38], v[37:38], -v[219:220]
	v_fma_f64 v[215:216], v[217:218], v[213:214], v[215:216]
	v_add_f64 v[39:40], v[39:40], -v[215:216]
	ds_read2_b64 v[215:218], v253 offset0:96 offset1:97
	s_waitcnt lgkmcnt(0)
	v_mul_f64 v[219:220], v[217:218], v[205:206]
	v_fma_f64 v[219:220], v[215:216], v[213:214], -v[219:220]
	v_mul_f64 v[215:216], v[215:216], v[205:206]
	v_add_f64 v[33:34], v[33:34], -v[219:220]
	v_fma_f64 v[215:216], v[217:218], v[213:214], v[215:216]
	v_add_f64 v[35:36], v[35:36], -v[215:216]
	ds_read2_b64 v[215:218], v253 offset0:98 offset1:99
	s_waitcnt lgkmcnt(0)
	v_mul_f64 v[219:220], v[217:218], v[205:206]
	v_fma_f64 v[219:220], v[215:216], v[213:214], -v[219:220]
	v_mul_f64 v[215:216], v[215:216], v[205:206]
	v_add_f64 v[29:30], v[29:30], -v[219:220]
	v_fma_f64 v[215:216], v[217:218], v[213:214], v[215:216]
	v_add_f64 v[31:32], v[31:32], -v[215:216]
	ds_read2_b64 v[215:218], v253 offset0:100 offset1:101
	s_waitcnt lgkmcnt(0)
	v_mul_f64 v[219:220], v[217:218], v[205:206]
	v_fma_f64 v[219:220], v[215:216], v[213:214], -v[219:220]
	v_mul_f64 v[215:216], v[215:216], v[205:206]
	v_add_f64 v[25:26], v[25:26], -v[219:220]
	v_fma_f64 v[215:216], v[217:218], v[213:214], v[215:216]
	v_add_f64 v[27:28], v[27:28], -v[215:216]
	ds_read2_b64 v[215:218], v253 offset0:102 offset1:103
	s_waitcnt lgkmcnt(0)
	v_mul_f64 v[219:220], v[217:218], v[205:206]
	v_fma_f64 v[219:220], v[215:216], v[213:214], -v[219:220]
	v_mul_f64 v[215:216], v[215:216], v[205:206]
	v_add_f64 v[21:22], v[21:22], -v[219:220]
	v_fma_f64 v[215:216], v[217:218], v[213:214], v[215:216]
	v_add_f64 v[23:24], v[23:24], -v[215:216]
	ds_read2_b64 v[215:218], v253 offset0:104 offset1:105
	s_waitcnt lgkmcnt(0)
	v_mul_f64 v[219:220], v[217:218], v[205:206]
	v_fma_f64 v[219:220], v[215:216], v[213:214], -v[219:220]
	v_mul_f64 v[215:216], v[215:216], v[205:206]
	v_add_f64 v[17:18], v[17:18], -v[219:220]
	v_fma_f64 v[215:216], v[217:218], v[213:214], v[215:216]
	v_add_f64 v[19:20], v[19:20], -v[215:216]
	ds_read2_b64 v[215:218], v253 offset0:106 offset1:107
	s_waitcnt lgkmcnt(0)
	v_mul_f64 v[219:220], v[217:218], v[205:206]
	v_fma_f64 v[219:220], v[215:216], v[213:214], -v[219:220]
	v_mul_f64 v[215:216], v[215:216], v[205:206]
	v_add_f64 v[13:14], v[13:14], -v[219:220]
	v_fma_f64 v[215:216], v[217:218], v[213:214], v[215:216]
	v_add_f64 v[15:16], v[15:16], -v[215:216]
	ds_read2_b64 v[215:218], v253 offset0:108 offset1:109
	s_waitcnt lgkmcnt(0)
	v_mul_f64 v[219:220], v[217:218], v[205:206]
	v_fma_f64 v[219:220], v[215:216], v[213:214], -v[219:220]
	v_mul_f64 v[215:216], v[215:216], v[205:206]
	v_add_f64 v[9:10], v[9:10], -v[219:220]
	v_fma_f64 v[215:216], v[217:218], v[213:214], v[215:216]
	v_add_f64 v[11:12], v[11:12], -v[215:216]
	ds_read2_b64 v[215:218], v253 offset0:110 offset1:111
	s_waitcnt lgkmcnt(0)
	v_mul_f64 v[219:220], v[217:218], v[205:206]
	v_fma_f64 v[219:220], v[215:216], v[213:214], -v[219:220]
	v_mul_f64 v[215:216], v[215:216], v[205:206]
	v_add_f64 v[5:6], v[5:6], -v[219:220]
	v_fma_f64 v[215:216], v[217:218], v[213:214], v[215:216]
	v_add_f64 v[7:8], v[7:8], -v[215:216]
	ds_read2_b64 v[215:218], v253 offset0:112 offset1:113
	s_waitcnt lgkmcnt(0)
	v_mul_f64 v[219:220], v[217:218], v[205:206]
	v_fma_f64 v[219:220], v[215:216], v[213:214], -v[219:220]
	v_mul_f64 v[215:216], v[215:216], v[205:206]
	buffer_store_dword v203, off, s[16:19], 0 offset:16 ; 4-byte Folded Spill
	buffer_store_dword v204, off, s[16:19], 0 offset:20 ; 4-byte Folded Spill
	buffer_store_dword v205, off, s[16:19], 0 offset:24 ; 4-byte Folded Spill
	buffer_store_dword v206, off, s[16:19], 0 offset:28 ; 4-byte Folded Spill
	v_add_f64 v[1:2], v[1:2], -v[219:220]
	v_fma_f64 v[215:216], v[217:218], v[213:214], v[215:216]
	v_add_f64 v[3:4], v[3:4], -v[215:216]
.LBB113_10:
	s_or_b32 exec_lo, exec_lo, s2
	s_mov_b32 s2, exec_lo
	s_waitcnt_vscnt null, 0x0
	s_barrier
	buffer_gl0_inv
	v_cmpx_eq_u32_e32 1, v0
	s_cbranch_execz .LBB113_17
; %bb.11:
	s_clause 0x3
	buffer_load_dword v193, off, s[16:19], 0
	buffer_load_dword v194, off, s[16:19], 0 offset:4
	buffer_load_dword v195, off, s[16:19], 0 offset:8
	;; [unrolled: 1-line block ×3, first 2 shown]
	s_waitcnt vmcnt(0)
	ds_write2_b64 v255, v[193:194], v[195:196] offset1:1
	ds_write2_b64 v253, v[225:226], v[227:228] offset0:4 offset1:5
	ds_write2_b64 v253, v[241:242], v[243:244] offset0:6 offset1:7
	;; [unrolled: 1-line block ×55, first 2 shown]
	ds_read2_b64 v[213:216], v255 offset1:1
	s_waitcnt lgkmcnt(0)
	v_cmp_neq_f64_e32 vcc_lo, 0, v[213:214]
	v_cmp_neq_f64_e64 s1, 0, v[215:216]
	s_or_b32 s1, vcc_lo, s1
	s_and_b32 exec_lo, exec_lo, s1
	s_cbranch_execz .LBB113_17
; %bb.12:
	v_cmp_ngt_f64_e64 s1, |v[213:214]|, |v[215:216]|
                                        ; implicit-def: $vgpr217_vgpr218
	s_and_saveexec_b32 s3, s1
	s_xor_b32 s1, exec_lo, s3
                                        ; implicit-def: $vgpr219_vgpr220
	s_cbranch_execz .LBB113_14
; %bb.13:
	v_div_scale_f64 v[217:218], null, v[215:216], v[215:216], v[213:214]
	v_div_scale_f64 v[223:224], vcc_lo, v[213:214], v[215:216], v[213:214]
	v_rcp_f64_e32 v[219:220], v[217:218]
	v_fma_f64 v[221:222], -v[217:218], v[219:220], 1.0
	v_fma_f64 v[219:220], v[219:220], v[221:222], v[219:220]
	v_fma_f64 v[221:222], -v[217:218], v[219:220], 1.0
	v_fma_f64 v[219:220], v[219:220], v[221:222], v[219:220]
	v_mul_f64 v[221:222], v[223:224], v[219:220]
	v_fma_f64 v[217:218], -v[217:218], v[221:222], v[223:224]
	v_div_fmas_f64 v[217:218], v[217:218], v[219:220], v[221:222]
	v_div_fixup_f64 v[217:218], v[217:218], v[215:216], v[213:214]
	v_fma_f64 v[213:214], v[213:214], v[217:218], v[215:216]
	v_div_scale_f64 v[215:216], null, v[213:214], v[213:214], 1.0
	v_rcp_f64_e32 v[219:220], v[215:216]
	v_fma_f64 v[221:222], -v[215:216], v[219:220], 1.0
	v_fma_f64 v[219:220], v[219:220], v[221:222], v[219:220]
	v_fma_f64 v[221:222], -v[215:216], v[219:220], 1.0
	v_fma_f64 v[219:220], v[219:220], v[221:222], v[219:220]
	v_div_scale_f64 v[221:222], vcc_lo, 1.0, v[213:214], 1.0
	v_mul_f64 v[223:224], v[221:222], v[219:220]
	v_fma_f64 v[215:216], -v[215:216], v[223:224], v[221:222]
	v_div_fmas_f64 v[215:216], v[215:216], v[219:220], v[223:224]
	v_div_fixup_f64 v[219:220], v[215:216], v[213:214], 1.0
                                        ; implicit-def: $vgpr213_vgpr214
	v_mul_f64 v[217:218], v[217:218], v[219:220]
	v_xor_b32_e32 v220, 0x80000000, v220
.LBB113_14:
	s_andn2_saveexec_b32 s1, s1
	s_cbranch_execz .LBB113_16
; %bb.15:
	v_div_scale_f64 v[217:218], null, v[213:214], v[213:214], v[215:216]
	v_div_scale_f64 v[223:224], vcc_lo, v[215:216], v[213:214], v[215:216]
	v_rcp_f64_e32 v[219:220], v[217:218]
	v_fma_f64 v[221:222], -v[217:218], v[219:220], 1.0
	v_fma_f64 v[219:220], v[219:220], v[221:222], v[219:220]
	v_fma_f64 v[221:222], -v[217:218], v[219:220], 1.0
	v_fma_f64 v[219:220], v[219:220], v[221:222], v[219:220]
	v_mul_f64 v[221:222], v[223:224], v[219:220]
	v_fma_f64 v[217:218], -v[217:218], v[221:222], v[223:224]
	v_div_fmas_f64 v[217:218], v[217:218], v[219:220], v[221:222]
	v_div_fixup_f64 v[219:220], v[217:218], v[213:214], v[215:216]
	v_fma_f64 v[213:214], v[215:216], v[219:220], v[213:214]
	v_div_scale_f64 v[215:216], null, v[213:214], v[213:214], 1.0
	v_rcp_f64_e32 v[217:218], v[215:216]
	v_fma_f64 v[221:222], -v[215:216], v[217:218], 1.0
	v_fma_f64 v[217:218], v[217:218], v[221:222], v[217:218]
	v_fma_f64 v[221:222], -v[215:216], v[217:218], 1.0
	v_fma_f64 v[217:218], v[217:218], v[221:222], v[217:218]
	v_div_scale_f64 v[221:222], vcc_lo, 1.0, v[213:214], 1.0
	v_mul_f64 v[223:224], v[221:222], v[217:218]
	v_fma_f64 v[215:216], -v[215:216], v[223:224], v[221:222]
	v_div_fmas_f64 v[215:216], v[215:216], v[217:218], v[223:224]
	v_div_fixup_f64 v[217:218], v[215:216], v[213:214], 1.0
	v_mul_f64 v[219:220], v[219:220], -v[217:218]
.LBB113_16:
	s_or_b32 exec_lo, exec_lo, s1
	ds_write2_b64 v255, v[217:218], v[219:220] offset1:1
.LBB113_17:
	s_or_b32 exec_lo, exec_lo, s2
	s_waitcnt lgkmcnt(0)
	s_barrier
	buffer_gl0_inv
	ds_read2_b64 v[193:196], v255 offset1:1
	s_mov_b32 s1, exec_lo
	s_waitcnt lgkmcnt(0)
	buffer_store_dword v193, off, s[16:19], 0 offset:480 ; 4-byte Folded Spill
	buffer_store_dword v194, off, s[16:19], 0 offset:484 ; 4-byte Folded Spill
	;; [unrolled: 1-line block ×4, first 2 shown]
	v_cmpx_lt_u32_e32 1, v0
	s_cbranch_execz .LBB113_19
; %bb.18:
	s_clause 0x7
	buffer_load_dword v193, off, s[16:19], 0
	buffer_load_dword v194, off, s[16:19], 0 offset:4
	buffer_load_dword v195, off, s[16:19], 0 offset:8
	;; [unrolled: 1-line block ×7, first 2 shown]
	s_waitcnt vmcnt(2)
	v_mul_f64 v[215:216], v[203:204], v[195:196]
	s_waitcnt vmcnt(0)
	v_mul_f64 v[213:214], v[205:206], v[195:196]
	v_fma_f64 v[195:196], v[205:206], v[193:194], v[215:216]
	ds_read2_b64 v[215:218], v253 offset0:4 offset1:5
	v_fma_f64 v[213:214], v[203:204], v[193:194], -v[213:214]
	s_waitcnt lgkmcnt(0)
	v_mul_f64 v[219:220], v[217:218], v[195:196]
	v_mov_b32_e32 v193, v213
	v_mov_b32_e32 v194, v214
	v_fma_f64 v[219:220], v[215:216], v[213:214], -v[219:220]
	v_mul_f64 v[215:216], v[215:216], v[195:196]
	v_add_f64 v[225:226], v[225:226], -v[219:220]
	v_fma_f64 v[215:216], v[217:218], v[213:214], v[215:216]
	v_add_f64 v[227:228], v[227:228], -v[215:216]
	ds_read2_b64 v[215:218], v253 offset0:6 offset1:7
	s_waitcnt lgkmcnt(0)
	v_mul_f64 v[219:220], v[217:218], v[195:196]
	v_fma_f64 v[219:220], v[215:216], v[213:214], -v[219:220]
	v_mul_f64 v[215:216], v[215:216], v[195:196]
	v_add_f64 v[241:242], v[241:242], -v[219:220]
	v_fma_f64 v[215:216], v[217:218], v[213:214], v[215:216]
	v_add_f64 v[243:244], v[243:244], -v[215:216]
	ds_read2_b64 v[215:218], v253 offset0:8 offset1:9
	s_waitcnt lgkmcnt(0)
	v_mul_f64 v[219:220], v[217:218], v[195:196]
	v_fma_f64 v[219:220], v[215:216], v[213:214], -v[219:220]
	v_mul_f64 v[215:216], v[215:216], v[195:196]
	v_add_f64 v[237:238], v[237:238], -v[219:220]
	v_fma_f64 v[215:216], v[217:218], v[213:214], v[215:216]
	v_add_f64 v[239:240], v[239:240], -v[215:216]
	ds_read2_b64 v[215:218], v253 offset0:10 offset1:11
	s_waitcnt lgkmcnt(0)
	v_mul_f64 v[219:220], v[217:218], v[195:196]
	v_fma_f64 v[219:220], v[215:216], v[213:214], -v[219:220]
	v_mul_f64 v[215:216], v[215:216], v[195:196]
	v_add_f64 v[233:234], v[233:234], -v[219:220]
	v_fma_f64 v[215:216], v[217:218], v[213:214], v[215:216]
	v_add_f64 v[235:236], v[235:236], -v[215:216]
	ds_read2_b64 v[215:218], v253 offset0:12 offset1:13
	s_waitcnt lgkmcnt(0)
	v_mul_f64 v[219:220], v[217:218], v[195:196]
	v_fma_f64 v[219:220], v[215:216], v[213:214], -v[219:220]
	v_mul_f64 v[215:216], v[215:216], v[195:196]
	v_add_f64 v[229:230], v[229:230], -v[219:220]
	v_fma_f64 v[215:216], v[217:218], v[213:214], v[215:216]
	v_add_f64 v[231:232], v[231:232], -v[215:216]
	ds_read2_b64 v[215:218], v253 offset0:14 offset1:15
	s_waitcnt lgkmcnt(0)
	v_mul_f64 v[219:220], v[217:218], v[195:196]
	v_fma_f64 v[219:220], v[215:216], v[213:214], -v[219:220]
	v_mul_f64 v[215:216], v[215:216], v[195:196]
	v_add_f64 v[249:250], v[249:250], -v[219:220]
	v_fma_f64 v[215:216], v[217:218], v[213:214], v[215:216]
	v_add_f64 v[251:252], v[251:252], -v[215:216]
	ds_read2_b64 v[215:218], v253 offset0:16 offset1:17
	s_waitcnt lgkmcnt(0)
	v_mul_f64 v[219:220], v[217:218], v[195:196]
	v_fma_f64 v[219:220], v[215:216], v[213:214], -v[219:220]
	v_mul_f64 v[215:216], v[215:216], v[195:196]
	v_add_f64 v[209:210], v[209:210], -v[219:220]
	v_fma_f64 v[215:216], v[217:218], v[213:214], v[215:216]
	v_add_f64 v[211:212], v[211:212], -v[215:216]
	ds_read2_b64 v[215:218], v253 offset0:18 offset1:19
	s_waitcnt lgkmcnt(0)
	v_mul_f64 v[219:220], v[217:218], v[195:196]
	v_fma_f64 v[219:220], v[215:216], v[213:214], -v[219:220]
	v_mul_f64 v[215:216], v[215:216], v[195:196]
	v_add_f64 v[189:190], v[189:190], -v[219:220]
	v_fma_f64 v[215:216], v[217:218], v[213:214], v[215:216]
	v_add_f64 v[191:192], v[191:192], -v[215:216]
	ds_read2_b64 v[215:218], v253 offset0:20 offset1:21
	s_waitcnt lgkmcnt(0)
	v_mul_f64 v[219:220], v[217:218], v[195:196]
	v_fma_f64 v[219:220], v[215:216], v[213:214], -v[219:220]
	v_mul_f64 v[215:216], v[215:216], v[195:196]
	v_add_f64 v[185:186], v[185:186], -v[219:220]
	v_fma_f64 v[215:216], v[217:218], v[213:214], v[215:216]
	v_add_f64 v[187:188], v[187:188], -v[215:216]
	ds_read2_b64 v[215:218], v253 offset0:22 offset1:23
	s_waitcnt lgkmcnt(0)
	v_mul_f64 v[219:220], v[217:218], v[195:196]
	v_fma_f64 v[219:220], v[215:216], v[213:214], -v[219:220]
	v_mul_f64 v[215:216], v[215:216], v[195:196]
	v_add_f64 v[181:182], v[181:182], -v[219:220]
	v_fma_f64 v[215:216], v[217:218], v[213:214], v[215:216]
	v_add_f64 v[183:184], v[183:184], -v[215:216]
	ds_read2_b64 v[215:218], v253 offset0:24 offset1:25
	s_waitcnt lgkmcnt(0)
	v_mul_f64 v[219:220], v[217:218], v[195:196]
	v_fma_f64 v[219:220], v[215:216], v[213:214], -v[219:220]
	v_mul_f64 v[215:216], v[215:216], v[195:196]
	v_add_f64 v[177:178], v[177:178], -v[219:220]
	v_fma_f64 v[215:216], v[217:218], v[213:214], v[215:216]
	v_add_f64 v[179:180], v[179:180], -v[215:216]
	ds_read2_b64 v[215:218], v253 offset0:26 offset1:27
	s_waitcnt lgkmcnt(0)
	v_mul_f64 v[219:220], v[217:218], v[195:196]
	v_fma_f64 v[219:220], v[215:216], v[213:214], -v[219:220]
	v_mul_f64 v[215:216], v[215:216], v[195:196]
	v_add_f64 v[173:174], v[173:174], -v[219:220]
	v_fma_f64 v[215:216], v[217:218], v[213:214], v[215:216]
	v_add_f64 v[175:176], v[175:176], -v[215:216]
	ds_read2_b64 v[215:218], v253 offset0:28 offset1:29
	s_waitcnt lgkmcnt(0)
	v_mul_f64 v[219:220], v[217:218], v[195:196]
	v_fma_f64 v[219:220], v[215:216], v[213:214], -v[219:220]
	v_mul_f64 v[215:216], v[215:216], v[195:196]
	v_add_f64 v[169:170], v[169:170], -v[219:220]
	v_fma_f64 v[215:216], v[217:218], v[213:214], v[215:216]
	v_add_f64 v[171:172], v[171:172], -v[215:216]
	ds_read2_b64 v[215:218], v253 offset0:30 offset1:31
	s_waitcnt lgkmcnt(0)
	v_mul_f64 v[219:220], v[217:218], v[195:196]
	v_fma_f64 v[219:220], v[215:216], v[213:214], -v[219:220]
	v_mul_f64 v[215:216], v[215:216], v[195:196]
	v_add_f64 v[165:166], v[165:166], -v[219:220]
	v_fma_f64 v[215:216], v[217:218], v[213:214], v[215:216]
	v_add_f64 v[167:168], v[167:168], -v[215:216]
	ds_read2_b64 v[215:218], v253 offset0:32 offset1:33
	s_waitcnt lgkmcnt(0)
	v_mul_f64 v[219:220], v[217:218], v[195:196]
	v_fma_f64 v[219:220], v[215:216], v[213:214], -v[219:220]
	v_mul_f64 v[215:216], v[215:216], v[195:196]
	v_add_f64 v[161:162], v[161:162], -v[219:220]
	v_fma_f64 v[215:216], v[217:218], v[213:214], v[215:216]
	v_add_f64 v[163:164], v[163:164], -v[215:216]
	ds_read2_b64 v[215:218], v253 offset0:34 offset1:35
	s_waitcnt lgkmcnt(0)
	v_mul_f64 v[219:220], v[217:218], v[195:196]
	v_fma_f64 v[219:220], v[215:216], v[213:214], -v[219:220]
	v_mul_f64 v[215:216], v[215:216], v[195:196]
	v_add_f64 v[157:158], v[157:158], -v[219:220]
	v_fma_f64 v[215:216], v[217:218], v[213:214], v[215:216]
	v_add_f64 v[159:160], v[159:160], -v[215:216]
	ds_read2_b64 v[215:218], v253 offset0:36 offset1:37
	s_waitcnt lgkmcnt(0)
	v_mul_f64 v[219:220], v[217:218], v[195:196]
	v_fma_f64 v[219:220], v[215:216], v[213:214], -v[219:220]
	v_mul_f64 v[215:216], v[215:216], v[195:196]
	v_add_f64 v[153:154], v[153:154], -v[219:220]
	v_fma_f64 v[215:216], v[217:218], v[213:214], v[215:216]
	v_add_f64 v[155:156], v[155:156], -v[215:216]
	ds_read2_b64 v[215:218], v253 offset0:38 offset1:39
	s_waitcnt lgkmcnt(0)
	v_mul_f64 v[219:220], v[217:218], v[195:196]
	v_fma_f64 v[219:220], v[215:216], v[213:214], -v[219:220]
	v_mul_f64 v[215:216], v[215:216], v[195:196]
	v_add_f64 v[149:150], v[149:150], -v[219:220]
	v_fma_f64 v[215:216], v[217:218], v[213:214], v[215:216]
	v_add_f64 v[151:152], v[151:152], -v[215:216]
	ds_read2_b64 v[215:218], v253 offset0:40 offset1:41
	s_waitcnt lgkmcnt(0)
	v_mul_f64 v[219:220], v[217:218], v[195:196]
	v_fma_f64 v[219:220], v[215:216], v[213:214], -v[219:220]
	v_mul_f64 v[215:216], v[215:216], v[195:196]
	v_add_f64 v[145:146], v[145:146], -v[219:220]
	v_fma_f64 v[215:216], v[217:218], v[213:214], v[215:216]
	v_add_f64 v[147:148], v[147:148], -v[215:216]
	ds_read2_b64 v[215:218], v253 offset0:42 offset1:43
	s_waitcnt lgkmcnt(0)
	v_mul_f64 v[219:220], v[217:218], v[195:196]
	v_fma_f64 v[219:220], v[215:216], v[213:214], -v[219:220]
	v_mul_f64 v[215:216], v[215:216], v[195:196]
	v_add_f64 v[141:142], v[141:142], -v[219:220]
	v_fma_f64 v[215:216], v[217:218], v[213:214], v[215:216]
	v_add_f64 v[143:144], v[143:144], -v[215:216]
	ds_read2_b64 v[215:218], v253 offset0:44 offset1:45
	s_waitcnt lgkmcnt(0)
	v_mul_f64 v[219:220], v[217:218], v[195:196]
	v_fma_f64 v[219:220], v[215:216], v[213:214], -v[219:220]
	v_mul_f64 v[215:216], v[215:216], v[195:196]
	v_add_f64 v[137:138], v[137:138], -v[219:220]
	v_fma_f64 v[215:216], v[217:218], v[213:214], v[215:216]
	v_add_f64 v[139:140], v[139:140], -v[215:216]
	ds_read2_b64 v[215:218], v253 offset0:46 offset1:47
	s_waitcnt lgkmcnt(0)
	v_mul_f64 v[219:220], v[217:218], v[195:196]
	v_fma_f64 v[219:220], v[215:216], v[213:214], -v[219:220]
	v_mul_f64 v[215:216], v[215:216], v[195:196]
	v_add_f64 v[133:134], v[133:134], -v[219:220]
	v_fma_f64 v[215:216], v[217:218], v[213:214], v[215:216]
	v_add_f64 v[135:136], v[135:136], -v[215:216]
	ds_read2_b64 v[215:218], v253 offset0:48 offset1:49
	s_waitcnt lgkmcnt(0)
	v_mul_f64 v[219:220], v[217:218], v[195:196]
	v_fma_f64 v[219:220], v[215:216], v[213:214], -v[219:220]
	v_mul_f64 v[215:216], v[215:216], v[195:196]
	v_add_f64 v[129:130], v[129:130], -v[219:220]
	v_fma_f64 v[215:216], v[217:218], v[213:214], v[215:216]
	v_add_f64 v[131:132], v[131:132], -v[215:216]
	ds_read2_b64 v[215:218], v253 offset0:50 offset1:51
	s_waitcnt lgkmcnt(0)
	v_mul_f64 v[219:220], v[217:218], v[195:196]
	v_fma_f64 v[219:220], v[215:216], v[213:214], -v[219:220]
	v_mul_f64 v[215:216], v[215:216], v[195:196]
	v_add_f64 v[125:126], v[125:126], -v[219:220]
	v_fma_f64 v[215:216], v[217:218], v[213:214], v[215:216]
	v_add_f64 v[127:128], v[127:128], -v[215:216]
	ds_read2_b64 v[215:218], v253 offset0:52 offset1:53
	s_waitcnt lgkmcnt(0)
	v_mul_f64 v[219:220], v[217:218], v[195:196]
	v_fma_f64 v[219:220], v[215:216], v[213:214], -v[219:220]
	v_mul_f64 v[215:216], v[215:216], v[195:196]
	v_add_f64 v[121:122], v[121:122], -v[219:220]
	v_fma_f64 v[215:216], v[217:218], v[213:214], v[215:216]
	v_add_f64 v[123:124], v[123:124], -v[215:216]
	ds_read2_b64 v[215:218], v253 offset0:54 offset1:55
	s_waitcnt lgkmcnt(0)
	v_mul_f64 v[219:220], v[217:218], v[195:196]
	v_fma_f64 v[219:220], v[215:216], v[213:214], -v[219:220]
	v_mul_f64 v[215:216], v[215:216], v[195:196]
	v_add_f64 v[117:118], v[117:118], -v[219:220]
	v_fma_f64 v[215:216], v[217:218], v[213:214], v[215:216]
	v_add_f64 v[119:120], v[119:120], -v[215:216]
	ds_read2_b64 v[215:218], v253 offset0:56 offset1:57
	s_waitcnt lgkmcnt(0)
	v_mul_f64 v[219:220], v[217:218], v[195:196]
	v_fma_f64 v[219:220], v[215:216], v[213:214], -v[219:220]
	v_mul_f64 v[215:216], v[215:216], v[195:196]
	v_add_f64 v[113:114], v[113:114], -v[219:220]
	v_fma_f64 v[215:216], v[217:218], v[213:214], v[215:216]
	v_add_f64 v[115:116], v[115:116], -v[215:216]
	ds_read2_b64 v[215:218], v253 offset0:58 offset1:59
	s_waitcnt lgkmcnt(0)
	v_mul_f64 v[219:220], v[217:218], v[195:196]
	v_fma_f64 v[219:220], v[215:216], v[213:214], -v[219:220]
	v_mul_f64 v[215:216], v[215:216], v[195:196]
	v_add_f64 v[109:110], v[109:110], -v[219:220]
	v_fma_f64 v[215:216], v[217:218], v[213:214], v[215:216]
	v_add_f64 v[111:112], v[111:112], -v[215:216]
	ds_read2_b64 v[215:218], v253 offset0:60 offset1:61
	s_waitcnt lgkmcnt(0)
	v_mul_f64 v[219:220], v[217:218], v[195:196]
	v_fma_f64 v[219:220], v[215:216], v[213:214], -v[219:220]
	v_mul_f64 v[215:216], v[215:216], v[195:196]
	v_add_f64 v[105:106], v[105:106], -v[219:220]
	v_fma_f64 v[215:216], v[217:218], v[213:214], v[215:216]
	v_add_f64 v[107:108], v[107:108], -v[215:216]
	ds_read2_b64 v[215:218], v253 offset0:62 offset1:63
	s_waitcnt lgkmcnt(0)
	v_mul_f64 v[219:220], v[217:218], v[195:196]
	v_fma_f64 v[219:220], v[215:216], v[213:214], -v[219:220]
	v_mul_f64 v[215:216], v[215:216], v[195:196]
	v_add_f64 v[101:102], v[101:102], -v[219:220]
	v_fma_f64 v[215:216], v[217:218], v[213:214], v[215:216]
	v_add_f64 v[103:104], v[103:104], -v[215:216]
	ds_read2_b64 v[215:218], v253 offset0:64 offset1:65
	s_waitcnt lgkmcnt(0)
	v_mul_f64 v[219:220], v[217:218], v[195:196]
	v_fma_f64 v[219:220], v[215:216], v[213:214], -v[219:220]
	v_mul_f64 v[215:216], v[215:216], v[195:196]
	v_add_f64 v[97:98], v[97:98], -v[219:220]
	v_fma_f64 v[215:216], v[217:218], v[213:214], v[215:216]
	v_add_f64 v[99:100], v[99:100], -v[215:216]
	ds_read2_b64 v[215:218], v253 offset0:66 offset1:67
	s_waitcnt lgkmcnt(0)
	v_mul_f64 v[219:220], v[217:218], v[195:196]
	v_fma_f64 v[219:220], v[215:216], v[213:214], -v[219:220]
	v_mul_f64 v[215:216], v[215:216], v[195:196]
	v_add_f64 v[93:94], v[93:94], -v[219:220]
	v_fma_f64 v[215:216], v[217:218], v[213:214], v[215:216]
	v_add_f64 v[95:96], v[95:96], -v[215:216]
	ds_read2_b64 v[215:218], v253 offset0:68 offset1:69
	s_waitcnt lgkmcnt(0)
	v_mul_f64 v[219:220], v[217:218], v[195:196]
	v_fma_f64 v[219:220], v[215:216], v[213:214], -v[219:220]
	v_mul_f64 v[215:216], v[215:216], v[195:196]
	v_add_f64 v[89:90], v[89:90], -v[219:220]
	v_fma_f64 v[215:216], v[217:218], v[213:214], v[215:216]
	v_add_f64 v[91:92], v[91:92], -v[215:216]
	ds_read2_b64 v[215:218], v253 offset0:70 offset1:71
	s_waitcnt lgkmcnt(0)
	v_mul_f64 v[219:220], v[217:218], v[195:196]
	v_fma_f64 v[219:220], v[215:216], v[213:214], -v[219:220]
	v_mul_f64 v[215:216], v[215:216], v[195:196]
	v_add_f64 v[85:86], v[85:86], -v[219:220]
	v_fma_f64 v[215:216], v[217:218], v[213:214], v[215:216]
	v_add_f64 v[87:88], v[87:88], -v[215:216]
	ds_read2_b64 v[215:218], v253 offset0:72 offset1:73
	s_waitcnt lgkmcnt(0)
	v_mul_f64 v[219:220], v[217:218], v[195:196]
	v_fma_f64 v[219:220], v[215:216], v[213:214], -v[219:220]
	v_mul_f64 v[215:216], v[215:216], v[195:196]
	v_add_f64 v[81:82], v[81:82], -v[219:220]
	v_fma_f64 v[215:216], v[217:218], v[213:214], v[215:216]
	v_add_f64 v[83:84], v[83:84], -v[215:216]
	ds_read2_b64 v[215:218], v253 offset0:74 offset1:75
	s_waitcnt lgkmcnt(0)
	v_mul_f64 v[219:220], v[217:218], v[195:196]
	v_fma_f64 v[219:220], v[215:216], v[213:214], -v[219:220]
	v_mul_f64 v[215:216], v[215:216], v[195:196]
	v_add_f64 v[77:78], v[77:78], -v[219:220]
	v_fma_f64 v[215:216], v[217:218], v[213:214], v[215:216]
	v_add_f64 v[79:80], v[79:80], -v[215:216]
	ds_read2_b64 v[215:218], v253 offset0:76 offset1:77
	s_waitcnt lgkmcnt(0)
	v_mul_f64 v[219:220], v[217:218], v[195:196]
	v_fma_f64 v[219:220], v[215:216], v[213:214], -v[219:220]
	v_mul_f64 v[215:216], v[215:216], v[195:196]
	v_add_f64 v[73:74], v[73:74], -v[219:220]
	v_fma_f64 v[215:216], v[217:218], v[213:214], v[215:216]
	v_add_f64 v[75:76], v[75:76], -v[215:216]
	ds_read2_b64 v[215:218], v253 offset0:78 offset1:79
	s_waitcnt lgkmcnt(0)
	v_mul_f64 v[219:220], v[217:218], v[195:196]
	v_fma_f64 v[219:220], v[215:216], v[213:214], -v[219:220]
	v_mul_f64 v[215:216], v[215:216], v[195:196]
	v_add_f64 v[69:70], v[69:70], -v[219:220]
	v_fma_f64 v[215:216], v[217:218], v[213:214], v[215:216]
	v_add_f64 v[71:72], v[71:72], -v[215:216]
	ds_read2_b64 v[215:218], v253 offset0:80 offset1:81
	s_waitcnt lgkmcnt(0)
	v_mul_f64 v[219:220], v[217:218], v[195:196]
	v_fma_f64 v[219:220], v[215:216], v[213:214], -v[219:220]
	v_mul_f64 v[215:216], v[215:216], v[195:196]
	v_add_f64 v[65:66], v[65:66], -v[219:220]
	v_fma_f64 v[215:216], v[217:218], v[213:214], v[215:216]
	v_add_f64 v[67:68], v[67:68], -v[215:216]
	ds_read2_b64 v[215:218], v253 offset0:82 offset1:83
	s_waitcnt lgkmcnt(0)
	v_mul_f64 v[219:220], v[217:218], v[195:196]
	v_fma_f64 v[219:220], v[215:216], v[213:214], -v[219:220]
	v_mul_f64 v[215:216], v[215:216], v[195:196]
	v_add_f64 v[61:62], v[61:62], -v[219:220]
	v_fma_f64 v[215:216], v[217:218], v[213:214], v[215:216]
	v_add_f64 v[63:64], v[63:64], -v[215:216]
	ds_read2_b64 v[215:218], v253 offset0:84 offset1:85
	s_waitcnt lgkmcnt(0)
	v_mul_f64 v[219:220], v[217:218], v[195:196]
	v_fma_f64 v[219:220], v[215:216], v[213:214], -v[219:220]
	v_mul_f64 v[215:216], v[215:216], v[195:196]
	v_add_f64 v[57:58], v[57:58], -v[219:220]
	v_fma_f64 v[215:216], v[217:218], v[213:214], v[215:216]
	v_add_f64 v[59:60], v[59:60], -v[215:216]
	ds_read2_b64 v[215:218], v253 offset0:86 offset1:87
	s_waitcnt lgkmcnt(0)
	v_mul_f64 v[219:220], v[217:218], v[195:196]
	v_fma_f64 v[219:220], v[215:216], v[213:214], -v[219:220]
	v_mul_f64 v[215:216], v[215:216], v[195:196]
	v_add_f64 v[53:54], v[53:54], -v[219:220]
	v_fma_f64 v[215:216], v[217:218], v[213:214], v[215:216]
	v_add_f64 v[55:56], v[55:56], -v[215:216]
	ds_read2_b64 v[215:218], v253 offset0:88 offset1:89
	s_waitcnt lgkmcnt(0)
	v_mul_f64 v[219:220], v[217:218], v[195:196]
	v_fma_f64 v[219:220], v[215:216], v[213:214], -v[219:220]
	v_mul_f64 v[215:216], v[215:216], v[195:196]
	v_add_f64 v[49:50], v[49:50], -v[219:220]
	v_fma_f64 v[215:216], v[217:218], v[213:214], v[215:216]
	v_add_f64 v[51:52], v[51:52], -v[215:216]
	ds_read2_b64 v[215:218], v253 offset0:90 offset1:91
	s_waitcnt lgkmcnt(0)
	v_mul_f64 v[219:220], v[217:218], v[195:196]
	v_fma_f64 v[219:220], v[215:216], v[213:214], -v[219:220]
	v_mul_f64 v[215:216], v[215:216], v[195:196]
	v_add_f64 v[45:46], v[45:46], -v[219:220]
	v_fma_f64 v[215:216], v[217:218], v[213:214], v[215:216]
	v_add_f64 v[47:48], v[47:48], -v[215:216]
	ds_read2_b64 v[215:218], v253 offset0:92 offset1:93
	s_waitcnt lgkmcnt(0)
	v_mul_f64 v[219:220], v[217:218], v[195:196]
	v_fma_f64 v[219:220], v[215:216], v[213:214], -v[219:220]
	v_mul_f64 v[215:216], v[215:216], v[195:196]
	v_add_f64 v[41:42], v[41:42], -v[219:220]
	v_fma_f64 v[215:216], v[217:218], v[213:214], v[215:216]
	v_add_f64 v[43:44], v[43:44], -v[215:216]
	ds_read2_b64 v[215:218], v253 offset0:94 offset1:95
	s_waitcnt lgkmcnt(0)
	v_mul_f64 v[219:220], v[217:218], v[195:196]
	v_fma_f64 v[219:220], v[215:216], v[213:214], -v[219:220]
	v_mul_f64 v[215:216], v[215:216], v[195:196]
	v_add_f64 v[37:38], v[37:38], -v[219:220]
	v_fma_f64 v[215:216], v[217:218], v[213:214], v[215:216]
	v_add_f64 v[39:40], v[39:40], -v[215:216]
	ds_read2_b64 v[215:218], v253 offset0:96 offset1:97
	s_waitcnt lgkmcnt(0)
	v_mul_f64 v[219:220], v[217:218], v[195:196]
	v_fma_f64 v[219:220], v[215:216], v[213:214], -v[219:220]
	v_mul_f64 v[215:216], v[215:216], v[195:196]
	v_add_f64 v[33:34], v[33:34], -v[219:220]
	v_fma_f64 v[215:216], v[217:218], v[213:214], v[215:216]
	v_add_f64 v[35:36], v[35:36], -v[215:216]
	ds_read2_b64 v[215:218], v253 offset0:98 offset1:99
	s_waitcnt lgkmcnt(0)
	v_mul_f64 v[219:220], v[217:218], v[195:196]
	v_fma_f64 v[219:220], v[215:216], v[213:214], -v[219:220]
	v_mul_f64 v[215:216], v[215:216], v[195:196]
	v_add_f64 v[29:30], v[29:30], -v[219:220]
	v_fma_f64 v[215:216], v[217:218], v[213:214], v[215:216]
	v_add_f64 v[31:32], v[31:32], -v[215:216]
	ds_read2_b64 v[215:218], v253 offset0:100 offset1:101
	s_waitcnt lgkmcnt(0)
	v_mul_f64 v[219:220], v[217:218], v[195:196]
	v_fma_f64 v[219:220], v[215:216], v[213:214], -v[219:220]
	v_mul_f64 v[215:216], v[215:216], v[195:196]
	v_add_f64 v[25:26], v[25:26], -v[219:220]
	v_fma_f64 v[215:216], v[217:218], v[213:214], v[215:216]
	v_add_f64 v[27:28], v[27:28], -v[215:216]
	ds_read2_b64 v[215:218], v253 offset0:102 offset1:103
	s_waitcnt lgkmcnt(0)
	v_mul_f64 v[219:220], v[217:218], v[195:196]
	v_fma_f64 v[219:220], v[215:216], v[213:214], -v[219:220]
	v_mul_f64 v[215:216], v[215:216], v[195:196]
	v_add_f64 v[21:22], v[21:22], -v[219:220]
	v_fma_f64 v[215:216], v[217:218], v[213:214], v[215:216]
	v_add_f64 v[23:24], v[23:24], -v[215:216]
	ds_read2_b64 v[215:218], v253 offset0:104 offset1:105
	s_waitcnt lgkmcnt(0)
	v_mul_f64 v[219:220], v[217:218], v[195:196]
	v_fma_f64 v[219:220], v[215:216], v[213:214], -v[219:220]
	v_mul_f64 v[215:216], v[215:216], v[195:196]
	v_add_f64 v[17:18], v[17:18], -v[219:220]
	v_fma_f64 v[215:216], v[217:218], v[213:214], v[215:216]
	v_add_f64 v[19:20], v[19:20], -v[215:216]
	ds_read2_b64 v[215:218], v253 offset0:106 offset1:107
	s_waitcnt lgkmcnt(0)
	v_mul_f64 v[219:220], v[217:218], v[195:196]
	v_fma_f64 v[219:220], v[215:216], v[213:214], -v[219:220]
	v_mul_f64 v[215:216], v[215:216], v[195:196]
	v_add_f64 v[13:14], v[13:14], -v[219:220]
	v_fma_f64 v[215:216], v[217:218], v[213:214], v[215:216]
	v_add_f64 v[15:16], v[15:16], -v[215:216]
	ds_read2_b64 v[215:218], v253 offset0:108 offset1:109
	s_waitcnt lgkmcnt(0)
	v_mul_f64 v[219:220], v[217:218], v[195:196]
	v_fma_f64 v[219:220], v[215:216], v[213:214], -v[219:220]
	v_mul_f64 v[215:216], v[215:216], v[195:196]
	v_add_f64 v[9:10], v[9:10], -v[219:220]
	v_fma_f64 v[215:216], v[217:218], v[213:214], v[215:216]
	v_add_f64 v[11:12], v[11:12], -v[215:216]
	ds_read2_b64 v[215:218], v253 offset0:110 offset1:111
	s_waitcnt lgkmcnt(0)
	v_mul_f64 v[219:220], v[217:218], v[195:196]
	v_fma_f64 v[219:220], v[215:216], v[213:214], -v[219:220]
	v_mul_f64 v[215:216], v[215:216], v[195:196]
	v_add_f64 v[5:6], v[5:6], -v[219:220]
	v_fma_f64 v[215:216], v[217:218], v[213:214], v[215:216]
	v_add_f64 v[7:8], v[7:8], -v[215:216]
	ds_read2_b64 v[215:218], v253 offset0:112 offset1:113
	s_waitcnt lgkmcnt(0)
	v_mul_f64 v[219:220], v[217:218], v[195:196]
	v_fma_f64 v[219:220], v[215:216], v[213:214], -v[219:220]
	v_mul_f64 v[215:216], v[215:216], v[195:196]
	buffer_store_dword v193, off, s[16:19], 0 ; 4-byte Folded Spill
	buffer_store_dword v194, off, s[16:19], 0 offset:4 ; 4-byte Folded Spill
	buffer_store_dword v195, off, s[16:19], 0 offset:8 ; 4-byte Folded Spill
	;; [unrolled: 1-line block ×3, first 2 shown]
	v_add_f64 v[1:2], v[1:2], -v[219:220]
	v_fma_f64 v[215:216], v[217:218], v[213:214], v[215:216]
	v_add_f64 v[3:4], v[3:4], -v[215:216]
.LBB113_19:
	s_or_b32 exec_lo, exec_lo, s1
	s_mov_b32 s2, exec_lo
	s_waitcnt_vscnt null, 0x0
	s_barrier
	buffer_gl0_inv
	v_cmpx_eq_u32_e32 2, v0
	s_cbranch_execz .LBB113_26
; %bb.20:
	ds_write2_b64 v255, v[225:226], v[227:228] offset1:1
	ds_write2_b64 v253, v[241:242], v[243:244] offset0:6 offset1:7
	ds_write2_b64 v253, v[237:238], v[239:240] offset0:8 offset1:9
	;; [unrolled: 1-line block ×54, first 2 shown]
	ds_read2_b64 v[213:216], v255 offset1:1
	s_waitcnt lgkmcnt(0)
	v_cmp_neq_f64_e32 vcc_lo, 0, v[213:214]
	v_cmp_neq_f64_e64 s1, 0, v[215:216]
	s_or_b32 s1, vcc_lo, s1
	s_and_b32 exec_lo, exec_lo, s1
	s_cbranch_execz .LBB113_26
; %bb.21:
	v_cmp_ngt_f64_e64 s1, |v[213:214]|, |v[215:216]|
                                        ; implicit-def: $vgpr217_vgpr218
	s_and_saveexec_b32 s3, s1
	s_xor_b32 s1, exec_lo, s3
                                        ; implicit-def: $vgpr219_vgpr220
	s_cbranch_execz .LBB113_23
; %bb.22:
	v_div_scale_f64 v[217:218], null, v[215:216], v[215:216], v[213:214]
	v_div_scale_f64 v[223:224], vcc_lo, v[213:214], v[215:216], v[213:214]
	v_rcp_f64_e32 v[219:220], v[217:218]
	v_fma_f64 v[221:222], -v[217:218], v[219:220], 1.0
	v_fma_f64 v[219:220], v[219:220], v[221:222], v[219:220]
	v_fma_f64 v[221:222], -v[217:218], v[219:220], 1.0
	v_fma_f64 v[219:220], v[219:220], v[221:222], v[219:220]
	v_mul_f64 v[221:222], v[223:224], v[219:220]
	v_fma_f64 v[217:218], -v[217:218], v[221:222], v[223:224]
	v_div_fmas_f64 v[217:218], v[217:218], v[219:220], v[221:222]
	v_div_fixup_f64 v[217:218], v[217:218], v[215:216], v[213:214]
	v_fma_f64 v[213:214], v[213:214], v[217:218], v[215:216]
	v_div_scale_f64 v[215:216], null, v[213:214], v[213:214], 1.0
	v_rcp_f64_e32 v[219:220], v[215:216]
	v_fma_f64 v[221:222], -v[215:216], v[219:220], 1.0
	v_fma_f64 v[219:220], v[219:220], v[221:222], v[219:220]
	v_fma_f64 v[221:222], -v[215:216], v[219:220], 1.0
	v_fma_f64 v[219:220], v[219:220], v[221:222], v[219:220]
	v_div_scale_f64 v[221:222], vcc_lo, 1.0, v[213:214], 1.0
	v_mul_f64 v[223:224], v[221:222], v[219:220]
	v_fma_f64 v[215:216], -v[215:216], v[223:224], v[221:222]
	v_div_fmas_f64 v[215:216], v[215:216], v[219:220], v[223:224]
	v_div_fixup_f64 v[219:220], v[215:216], v[213:214], 1.0
                                        ; implicit-def: $vgpr213_vgpr214
	v_mul_f64 v[217:218], v[217:218], v[219:220]
	v_xor_b32_e32 v220, 0x80000000, v220
.LBB113_23:
	s_andn2_saveexec_b32 s1, s1
	s_cbranch_execz .LBB113_25
; %bb.24:
	v_div_scale_f64 v[217:218], null, v[213:214], v[213:214], v[215:216]
	v_div_scale_f64 v[223:224], vcc_lo, v[215:216], v[213:214], v[215:216]
	v_rcp_f64_e32 v[219:220], v[217:218]
	v_fma_f64 v[221:222], -v[217:218], v[219:220], 1.0
	v_fma_f64 v[219:220], v[219:220], v[221:222], v[219:220]
	v_fma_f64 v[221:222], -v[217:218], v[219:220], 1.0
	v_fma_f64 v[219:220], v[219:220], v[221:222], v[219:220]
	v_mul_f64 v[221:222], v[223:224], v[219:220]
	v_fma_f64 v[217:218], -v[217:218], v[221:222], v[223:224]
	v_div_fmas_f64 v[217:218], v[217:218], v[219:220], v[221:222]
	v_div_fixup_f64 v[219:220], v[217:218], v[213:214], v[215:216]
	v_fma_f64 v[213:214], v[215:216], v[219:220], v[213:214]
	v_div_scale_f64 v[215:216], null, v[213:214], v[213:214], 1.0
	v_rcp_f64_e32 v[217:218], v[215:216]
	v_fma_f64 v[221:222], -v[215:216], v[217:218], 1.0
	v_fma_f64 v[217:218], v[217:218], v[221:222], v[217:218]
	v_fma_f64 v[221:222], -v[215:216], v[217:218], 1.0
	v_fma_f64 v[217:218], v[217:218], v[221:222], v[217:218]
	v_div_scale_f64 v[221:222], vcc_lo, 1.0, v[213:214], 1.0
	v_mul_f64 v[223:224], v[221:222], v[217:218]
	v_fma_f64 v[215:216], -v[215:216], v[223:224], v[221:222]
	v_div_fmas_f64 v[215:216], v[215:216], v[217:218], v[223:224]
	v_div_fixup_f64 v[217:218], v[215:216], v[213:214], 1.0
	v_mul_f64 v[219:220], v[219:220], -v[217:218]
.LBB113_25:
	s_or_b32 exec_lo, exec_lo, s1
	ds_write2_b64 v255, v[217:218], v[219:220] offset1:1
.LBB113_26:
	s_or_b32 exec_lo, exec_lo, s2
	s_waitcnt lgkmcnt(0)
	s_barrier
	buffer_gl0_inv
	ds_read2_b64 v[193:196], v255 offset1:1
	s_mov_b32 s1, exec_lo
	s_waitcnt lgkmcnt(0)
	buffer_store_dword v193, off, s[16:19], 0 offset:496 ; 4-byte Folded Spill
	buffer_store_dword v194, off, s[16:19], 0 offset:500 ; 4-byte Folded Spill
	;; [unrolled: 1-line block ×4, first 2 shown]
	v_cmpx_lt_u32_e32 2, v0
	s_cbranch_execz .LBB113_28
; %bb.27:
	s_clause 0x3
	buffer_load_dword v193, off, s[16:19], 0 offset:496
	buffer_load_dword v194, off, s[16:19], 0 offset:500
	;; [unrolled: 1-line block ×4, first 2 shown]
	s_waitcnt vmcnt(2)
	v_mul_f64 v[215:216], v[193:194], v[227:228]
	s_waitcnt vmcnt(0)
	v_mul_f64 v[213:214], v[195:196], v[227:228]
	v_fma_f64 v[227:228], v[195:196], v[225:226], v[215:216]
	ds_read2_b64 v[215:218], v253 offset0:6 offset1:7
	v_fma_f64 v[213:214], v[193:194], v[225:226], -v[213:214]
	s_waitcnt lgkmcnt(0)
	v_mul_f64 v[219:220], v[217:218], v[227:228]
	v_mov_b32_e32 v226, v214
	v_mov_b32_e32 v225, v213
	v_fma_f64 v[219:220], v[215:216], v[213:214], -v[219:220]
	v_mul_f64 v[215:216], v[215:216], v[227:228]
	v_add_f64 v[241:242], v[241:242], -v[219:220]
	v_fma_f64 v[215:216], v[217:218], v[213:214], v[215:216]
	v_add_f64 v[243:244], v[243:244], -v[215:216]
	ds_read2_b64 v[215:218], v253 offset0:8 offset1:9
	s_waitcnt lgkmcnt(0)
	v_mul_f64 v[219:220], v[217:218], v[227:228]
	v_fma_f64 v[219:220], v[215:216], v[213:214], -v[219:220]
	v_mul_f64 v[215:216], v[215:216], v[227:228]
	v_add_f64 v[237:238], v[237:238], -v[219:220]
	v_fma_f64 v[215:216], v[217:218], v[213:214], v[215:216]
	v_add_f64 v[239:240], v[239:240], -v[215:216]
	ds_read2_b64 v[215:218], v253 offset0:10 offset1:11
	s_waitcnt lgkmcnt(0)
	v_mul_f64 v[219:220], v[217:218], v[227:228]
	;; [unrolled: 8-line block ×53, first 2 shown]
	v_fma_f64 v[219:220], v[215:216], v[213:214], -v[219:220]
	v_mul_f64 v[215:216], v[215:216], v[227:228]
	v_add_f64 v[1:2], v[1:2], -v[219:220]
	v_fma_f64 v[215:216], v[217:218], v[213:214], v[215:216]
	v_add_f64 v[3:4], v[3:4], -v[215:216]
.LBB113_28:
	s_or_b32 exec_lo, exec_lo, s1
	s_mov_b32 s2, exec_lo
	s_waitcnt_vscnt null, 0x0
	s_barrier
	buffer_gl0_inv
	v_cmpx_eq_u32_e32 3, v0
	s_cbranch_execz .LBB113_35
; %bb.29:
	ds_write2_b64 v255, v[241:242], v[243:244] offset1:1
	ds_write2_b64 v253, v[237:238], v[239:240] offset0:8 offset1:9
	ds_write2_b64 v253, v[233:234], v[235:236] offset0:10 offset1:11
	;; [unrolled: 1-line block ×53, first 2 shown]
	ds_read2_b64 v[213:216], v255 offset1:1
	s_waitcnt lgkmcnt(0)
	v_cmp_neq_f64_e32 vcc_lo, 0, v[213:214]
	v_cmp_neq_f64_e64 s1, 0, v[215:216]
	s_or_b32 s1, vcc_lo, s1
	s_and_b32 exec_lo, exec_lo, s1
	s_cbranch_execz .LBB113_35
; %bb.30:
	v_cmp_ngt_f64_e64 s1, |v[213:214]|, |v[215:216]|
                                        ; implicit-def: $vgpr217_vgpr218
	s_and_saveexec_b32 s3, s1
	s_xor_b32 s1, exec_lo, s3
                                        ; implicit-def: $vgpr219_vgpr220
	s_cbranch_execz .LBB113_32
; %bb.31:
	v_div_scale_f64 v[217:218], null, v[215:216], v[215:216], v[213:214]
	v_div_scale_f64 v[223:224], vcc_lo, v[213:214], v[215:216], v[213:214]
	v_rcp_f64_e32 v[219:220], v[217:218]
	v_fma_f64 v[221:222], -v[217:218], v[219:220], 1.0
	v_fma_f64 v[219:220], v[219:220], v[221:222], v[219:220]
	v_fma_f64 v[221:222], -v[217:218], v[219:220], 1.0
	v_fma_f64 v[219:220], v[219:220], v[221:222], v[219:220]
	v_mul_f64 v[221:222], v[223:224], v[219:220]
	v_fma_f64 v[217:218], -v[217:218], v[221:222], v[223:224]
	v_div_fmas_f64 v[217:218], v[217:218], v[219:220], v[221:222]
	v_div_fixup_f64 v[217:218], v[217:218], v[215:216], v[213:214]
	v_fma_f64 v[213:214], v[213:214], v[217:218], v[215:216]
	v_div_scale_f64 v[215:216], null, v[213:214], v[213:214], 1.0
	v_rcp_f64_e32 v[219:220], v[215:216]
	v_fma_f64 v[221:222], -v[215:216], v[219:220], 1.0
	v_fma_f64 v[219:220], v[219:220], v[221:222], v[219:220]
	v_fma_f64 v[221:222], -v[215:216], v[219:220], 1.0
	v_fma_f64 v[219:220], v[219:220], v[221:222], v[219:220]
	v_div_scale_f64 v[221:222], vcc_lo, 1.0, v[213:214], 1.0
	v_mul_f64 v[223:224], v[221:222], v[219:220]
	v_fma_f64 v[215:216], -v[215:216], v[223:224], v[221:222]
	v_div_fmas_f64 v[215:216], v[215:216], v[219:220], v[223:224]
	v_div_fixup_f64 v[219:220], v[215:216], v[213:214], 1.0
                                        ; implicit-def: $vgpr213_vgpr214
	v_mul_f64 v[217:218], v[217:218], v[219:220]
	v_xor_b32_e32 v220, 0x80000000, v220
.LBB113_32:
	s_andn2_saveexec_b32 s1, s1
	s_cbranch_execz .LBB113_34
; %bb.33:
	v_div_scale_f64 v[217:218], null, v[213:214], v[213:214], v[215:216]
	v_div_scale_f64 v[223:224], vcc_lo, v[215:216], v[213:214], v[215:216]
	v_rcp_f64_e32 v[219:220], v[217:218]
	v_fma_f64 v[221:222], -v[217:218], v[219:220], 1.0
	v_fma_f64 v[219:220], v[219:220], v[221:222], v[219:220]
	v_fma_f64 v[221:222], -v[217:218], v[219:220], 1.0
	v_fma_f64 v[219:220], v[219:220], v[221:222], v[219:220]
	v_mul_f64 v[221:222], v[223:224], v[219:220]
	v_fma_f64 v[217:218], -v[217:218], v[221:222], v[223:224]
	v_div_fmas_f64 v[217:218], v[217:218], v[219:220], v[221:222]
	v_div_fixup_f64 v[219:220], v[217:218], v[213:214], v[215:216]
	v_fma_f64 v[213:214], v[215:216], v[219:220], v[213:214]
	v_div_scale_f64 v[215:216], null, v[213:214], v[213:214], 1.0
	v_rcp_f64_e32 v[217:218], v[215:216]
	v_fma_f64 v[221:222], -v[215:216], v[217:218], 1.0
	v_fma_f64 v[217:218], v[217:218], v[221:222], v[217:218]
	v_fma_f64 v[221:222], -v[215:216], v[217:218], 1.0
	v_fma_f64 v[217:218], v[217:218], v[221:222], v[217:218]
	v_div_scale_f64 v[221:222], vcc_lo, 1.0, v[213:214], 1.0
	v_mul_f64 v[223:224], v[221:222], v[217:218]
	v_fma_f64 v[215:216], -v[215:216], v[223:224], v[221:222]
	v_div_fmas_f64 v[215:216], v[215:216], v[217:218], v[223:224]
	v_div_fixup_f64 v[217:218], v[215:216], v[213:214], 1.0
	v_mul_f64 v[219:220], v[219:220], -v[217:218]
.LBB113_34:
	s_or_b32 exec_lo, exec_lo, s1
	ds_write2_b64 v255, v[217:218], v[219:220] offset1:1
.LBB113_35:
	s_or_b32 exec_lo, exec_lo, s2
	s_waitcnt lgkmcnt(0)
	s_barrier
	buffer_gl0_inv
	ds_read2_b64 v[193:196], v255 offset1:1
	s_mov_b32 s1, exec_lo
	s_waitcnt lgkmcnt(0)
	buffer_store_dword v193, off, s[16:19], 0 offset:512 ; 4-byte Folded Spill
	buffer_store_dword v194, off, s[16:19], 0 offset:516 ; 4-byte Folded Spill
	;; [unrolled: 1-line block ×4, first 2 shown]
	v_cmpx_lt_u32_e32 3, v0
	s_cbranch_execz .LBB113_37
; %bb.36:
	s_clause 0x3
	buffer_load_dword v193, off, s[16:19], 0 offset:512
	buffer_load_dword v194, off, s[16:19], 0 offset:516
	;; [unrolled: 1-line block ×4, first 2 shown]
	s_waitcnt vmcnt(2)
	v_mul_f64 v[215:216], v[193:194], v[243:244]
	s_waitcnt vmcnt(0)
	v_mul_f64 v[213:214], v[195:196], v[243:244]
	v_fma_f64 v[243:244], v[195:196], v[241:242], v[215:216]
	ds_read2_b64 v[215:218], v253 offset0:8 offset1:9
	v_fma_f64 v[213:214], v[193:194], v[241:242], -v[213:214]
	s_waitcnt lgkmcnt(0)
	v_mul_f64 v[219:220], v[217:218], v[243:244]
	v_mov_b32_e32 v242, v214
	v_mov_b32_e32 v241, v213
	v_fma_f64 v[219:220], v[215:216], v[213:214], -v[219:220]
	v_mul_f64 v[215:216], v[215:216], v[243:244]
	v_add_f64 v[237:238], v[237:238], -v[219:220]
	v_fma_f64 v[215:216], v[217:218], v[213:214], v[215:216]
	v_add_f64 v[239:240], v[239:240], -v[215:216]
	ds_read2_b64 v[215:218], v253 offset0:10 offset1:11
	s_waitcnt lgkmcnt(0)
	v_mul_f64 v[219:220], v[217:218], v[243:244]
	v_fma_f64 v[219:220], v[215:216], v[213:214], -v[219:220]
	v_mul_f64 v[215:216], v[215:216], v[243:244]
	v_add_f64 v[233:234], v[233:234], -v[219:220]
	v_fma_f64 v[215:216], v[217:218], v[213:214], v[215:216]
	v_add_f64 v[235:236], v[235:236], -v[215:216]
	ds_read2_b64 v[215:218], v253 offset0:12 offset1:13
	s_waitcnt lgkmcnt(0)
	v_mul_f64 v[219:220], v[217:218], v[243:244]
	;; [unrolled: 8-line block ×52, first 2 shown]
	v_fma_f64 v[219:220], v[215:216], v[213:214], -v[219:220]
	v_mul_f64 v[215:216], v[215:216], v[243:244]
	v_add_f64 v[1:2], v[1:2], -v[219:220]
	v_fma_f64 v[215:216], v[217:218], v[213:214], v[215:216]
	v_add_f64 v[3:4], v[3:4], -v[215:216]
.LBB113_37:
	s_or_b32 exec_lo, exec_lo, s1
	s_mov_b32 s2, exec_lo
	s_waitcnt_vscnt null, 0x0
	s_barrier
	buffer_gl0_inv
	v_cmpx_eq_u32_e32 4, v0
	s_cbranch_execz .LBB113_44
; %bb.38:
	ds_write2_b64 v255, v[237:238], v[239:240] offset1:1
	ds_write2_b64 v253, v[233:234], v[235:236] offset0:10 offset1:11
	ds_write2_b64 v253, v[229:230], v[231:232] offset0:12 offset1:13
	;; [unrolled: 1-line block ×52, first 2 shown]
	ds_read2_b64 v[213:216], v255 offset1:1
	s_waitcnt lgkmcnt(0)
	v_cmp_neq_f64_e32 vcc_lo, 0, v[213:214]
	v_cmp_neq_f64_e64 s1, 0, v[215:216]
	s_or_b32 s1, vcc_lo, s1
	s_and_b32 exec_lo, exec_lo, s1
	s_cbranch_execz .LBB113_44
; %bb.39:
	v_cmp_ngt_f64_e64 s1, |v[213:214]|, |v[215:216]|
                                        ; implicit-def: $vgpr217_vgpr218
	s_and_saveexec_b32 s3, s1
	s_xor_b32 s1, exec_lo, s3
                                        ; implicit-def: $vgpr219_vgpr220
	s_cbranch_execz .LBB113_41
; %bb.40:
	v_div_scale_f64 v[217:218], null, v[215:216], v[215:216], v[213:214]
	v_div_scale_f64 v[223:224], vcc_lo, v[213:214], v[215:216], v[213:214]
	v_rcp_f64_e32 v[219:220], v[217:218]
	v_fma_f64 v[221:222], -v[217:218], v[219:220], 1.0
	v_fma_f64 v[219:220], v[219:220], v[221:222], v[219:220]
	v_fma_f64 v[221:222], -v[217:218], v[219:220], 1.0
	v_fma_f64 v[219:220], v[219:220], v[221:222], v[219:220]
	v_mul_f64 v[221:222], v[223:224], v[219:220]
	v_fma_f64 v[217:218], -v[217:218], v[221:222], v[223:224]
	v_div_fmas_f64 v[217:218], v[217:218], v[219:220], v[221:222]
	v_div_fixup_f64 v[217:218], v[217:218], v[215:216], v[213:214]
	v_fma_f64 v[213:214], v[213:214], v[217:218], v[215:216]
	v_div_scale_f64 v[215:216], null, v[213:214], v[213:214], 1.0
	v_rcp_f64_e32 v[219:220], v[215:216]
	v_fma_f64 v[221:222], -v[215:216], v[219:220], 1.0
	v_fma_f64 v[219:220], v[219:220], v[221:222], v[219:220]
	v_fma_f64 v[221:222], -v[215:216], v[219:220], 1.0
	v_fma_f64 v[219:220], v[219:220], v[221:222], v[219:220]
	v_div_scale_f64 v[221:222], vcc_lo, 1.0, v[213:214], 1.0
	v_mul_f64 v[223:224], v[221:222], v[219:220]
	v_fma_f64 v[215:216], -v[215:216], v[223:224], v[221:222]
	v_div_fmas_f64 v[215:216], v[215:216], v[219:220], v[223:224]
	v_div_fixup_f64 v[219:220], v[215:216], v[213:214], 1.0
                                        ; implicit-def: $vgpr213_vgpr214
	v_mul_f64 v[217:218], v[217:218], v[219:220]
	v_xor_b32_e32 v220, 0x80000000, v220
.LBB113_41:
	s_andn2_saveexec_b32 s1, s1
	s_cbranch_execz .LBB113_43
; %bb.42:
	v_div_scale_f64 v[217:218], null, v[213:214], v[213:214], v[215:216]
	v_div_scale_f64 v[223:224], vcc_lo, v[215:216], v[213:214], v[215:216]
	v_rcp_f64_e32 v[219:220], v[217:218]
	v_fma_f64 v[221:222], -v[217:218], v[219:220], 1.0
	v_fma_f64 v[219:220], v[219:220], v[221:222], v[219:220]
	v_fma_f64 v[221:222], -v[217:218], v[219:220], 1.0
	v_fma_f64 v[219:220], v[219:220], v[221:222], v[219:220]
	v_mul_f64 v[221:222], v[223:224], v[219:220]
	v_fma_f64 v[217:218], -v[217:218], v[221:222], v[223:224]
	v_div_fmas_f64 v[217:218], v[217:218], v[219:220], v[221:222]
	v_div_fixup_f64 v[219:220], v[217:218], v[213:214], v[215:216]
	v_fma_f64 v[213:214], v[215:216], v[219:220], v[213:214]
	v_div_scale_f64 v[215:216], null, v[213:214], v[213:214], 1.0
	v_rcp_f64_e32 v[217:218], v[215:216]
	v_fma_f64 v[221:222], -v[215:216], v[217:218], 1.0
	v_fma_f64 v[217:218], v[217:218], v[221:222], v[217:218]
	v_fma_f64 v[221:222], -v[215:216], v[217:218], 1.0
	v_fma_f64 v[217:218], v[217:218], v[221:222], v[217:218]
	v_div_scale_f64 v[221:222], vcc_lo, 1.0, v[213:214], 1.0
	v_mul_f64 v[223:224], v[221:222], v[217:218]
	v_fma_f64 v[215:216], -v[215:216], v[223:224], v[221:222]
	v_div_fmas_f64 v[215:216], v[215:216], v[217:218], v[223:224]
	v_div_fixup_f64 v[217:218], v[215:216], v[213:214], 1.0
	v_mul_f64 v[219:220], v[219:220], -v[217:218]
.LBB113_43:
	s_or_b32 exec_lo, exec_lo, s1
	ds_write2_b64 v255, v[217:218], v[219:220] offset1:1
.LBB113_44:
	s_or_b32 exec_lo, exec_lo, s2
	s_waitcnt lgkmcnt(0)
	s_barrier
	buffer_gl0_inv
	ds_read2_b64 v[193:196], v255 offset1:1
	s_mov_b32 s1, exec_lo
	s_waitcnt lgkmcnt(0)
	buffer_store_dword v193, off, s[16:19], 0 offset:528 ; 4-byte Folded Spill
	buffer_store_dword v194, off, s[16:19], 0 offset:532 ; 4-byte Folded Spill
	;; [unrolled: 1-line block ×4, first 2 shown]
	v_cmpx_lt_u32_e32 4, v0
	s_cbranch_execz .LBB113_46
; %bb.45:
	s_clause 0x3
	buffer_load_dword v193, off, s[16:19], 0 offset:528
	buffer_load_dword v194, off, s[16:19], 0 offset:532
	;; [unrolled: 1-line block ×4, first 2 shown]
	v_mov_b32_e32 v222, v212
	v_mov_b32_e32 v221, v211
	;; [unrolled: 1-line block ×4, first 2 shown]
	ds_read2_b64 v[215:218], v253 offset0:10 offset1:11
	s_waitcnt vmcnt(2)
	v_mul_f64 v[211:212], v[193:194], v[239:240]
	s_waitcnt vmcnt(0)
	v_mul_f64 v[213:214], v[195:196], v[239:240]
	v_fma_f64 v[239:240], v[195:196], v[237:238], v[211:212]
	v_fma_f64 v[213:214], v[193:194], v[237:238], -v[213:214]
	s_waitcnt lgkmcnt(0)
	v_mul_f64 v[209:210], v[217:218], v[239:240]
	v_mov_b32_e32 v238, v214
	v_mov_b32_e32 v237, v213
	v_fma_f64 v[209:210], v[215:216], v[213:214], -v[209:210]
	v_mul_f64 v[215:216], v[215:216], v[239:240]
	v_add_f64 v[233:234], v[233:234], -v[209:210]
	v_fma_f64 v[215:216], v[217:218], v[213:214], v[215:216]
	v_add_f64 v[235:236], v[235:236], -v[215:216]
	ds_read2_b64 v[215:218], v253 offset0:12 offset1:13
	s_waitcnt lgkmcnt(0)
	v_mul_f64 v[209:210], v[217:218], v[239:240]
	v_fma_f64 v[209:210], v[215:216], v[213:214], -v[209:210]
	v_mul_f64 v[215:216], v[215:216], v[239:240]
	v_add_f64 v[229:230], v[229:230], -v[209:210]
	v_fma_f64 v[215:216], v[217:218], v[213:214], v[215:216]
	v_add_f64 v[231:232], v[231:232], -v[215:216]
	ds_read2_b64 v[215:218], v253 offset0:14 offset1:15
	s_waitcnt lgkmcnt(0)
	v_mul_f64 v[209:210], v[217:218], v[239:240]
	;; [unrolled: 8-line block ×51, first 2 shown]
	v_fma_f64 v[209:210], v[215:216], v[213:214], -v[209:210]
	v_mul_f64 v[215:216], v[215:216], v[239:240]
	v_add_f64 v[1:2], v[1:2], -v[209:210]
	v_fma_f64 v[215:216], v[217:218], v[213:214], v[215:216]
	v_mov_b32_e32 v209, v219
	v_mov_b32_e32 v210, v220
	;; [unrolled: 1-line block ×4, first 2 shown]
	v_add_f64 v[3:4], v[3:4], -v[215:216]
.LBB113_46:
	s_or_b32 exec_lo, exec_lo, s1
	s_mov_b32 s2, exec_lo
	s_waitcnt_vscnt null, 0x0
	s_barrier
	buffer_gl0_inv
	v_cmpx_eq_u32_e32 5, v0
	s_cbranch_execz .LBB113_53
; %bb.47:
	ds_write2_b64 v255, v[233:234], v[235:236] offset1:1
	ds_write2_b64 v253, v[229:230], v[231:232] offset0:12 offset1:13
	ds_write2_b64 v253, v[249:250], v[251:252] offset0:14 offset1:15
	;; [unrolled: 1-line block ×51, first 2 shown]
	ds_read2_b64 v[213:216], v255 offset1:1
	s_waitcnt lgkmcnt(0)
	v_cmp_neq_f64_e32 vcc_lo, 0, v[213:214]
	v_cmp_neq_f64_e64 s1, 0, v[215:216]
	s_or_b32 s1, vcc_lo, s1
	s_and_b32 exec_lo, exec_lo, s1
	s_cbranch_execz .LBB113_53
; %bb.48:
	v_cmp_ngt_f64_e64 s1, |v[213:214]|, |v[215:216]|
                                        ; implicit-def: $vgpr217_vgpr218
	s_and_saveexec_b32 s3, s1
	s_xor_b32 s1, exec_lo, s3
                                        ; implicit-def: $vgpr219_vgpr220
	s_cbranch_execz .LBB113_50
; %bb.49:
	v_div_scale_f64 v[217:218], null, v[215:216], v[215:216], v[213:214]
	v_div_scale_f64 v[223:224], vcc_lo, v[213:214], v[215:216], v[213:214]
	v_rcp_f64_e32 v[219:220], v[217:218]
	v_fma_f64 v[221:222], -v[217:218], v[219:220], 1.0
	v_fma_f64 v[219:220], v[219:220], v[221:222], v[219:220]
	v_fma_f64 v[221:222], -v[217:218], v[219:220], 1.0
	v_fma_f64 v[219:220], v[219:220], v[221:222], v[219:220]
	v_mul_f64 v[221:222], v[223:224], v[219:220]
	v_fma_f64 v[217:218], -v[217:218], v[221:222], v[223:224]
	v_div_fmas_f64 v[217:218], v[217:218], v[219:220], v[221:222]
	v_div_fixup_f64 v[217:218], v[217:218], v[215:216], v[213:214]
	v_fma_f64 v[213:214], v[213:214], v[217:218], v[215:216]
	v_div_scale_f64 v[215:216], null, v[213:214], v[213:214], 1.0
	v_rcp_f64_e32 v[219:220], v[215:216]
	v_fma_f64 v[221:222], -v[215:216], v[219:220], 1.0
	v_fma_f64 v[219:220], v[219:220], v[221:222], v[219:220]
	v_fma_f64 v[221:222], -v[215:216], v[219:220], 1.0
	v_fma_f64 v[219:220], v[219:220], v[221:222], v[219:220]
	v_div_scale_f64 v[221:222], vcc_lo, 1.0, v[213:214], 1.0
	v_mul_f64 v[223:224], v[221:222], v[219:220]
	v_fma_f64 v[215:216], -v[215:216], v[223:224], v[221:222]
	v_div_fmas_f64 v[215:216], v[215:216], v[219:220], v[223:224]
	v_div_fixup_f64 v[219:220], v[215:216], v[213:214], 1.0
                                        ; implicit-def: $vgpr213_vgpr214
	v_mul_f64 v[217:218], v[217:218], v[219:220]
	v_xor_b32_e32 v220, 0x80000000, v220
.LBB113_50:
	s_andn2_saveexec_b32 s1, s1
	s_cbranch_execz .LBB113_52
; %bb.51:
	v_div_scale_f64 v[217:218], null, v[213:214], v[213:214], v[215:216]
	v_div_scale_f64 v[223:224], vcc_lo, v[215:216], v[213:214], v[215:216]
	v_rcp_f64_e32 v[219:220], v[217:218]
	v_fma_f64 v[221:222], -v[217:218], v[219:220], 1.0
	v_fma_f64 v[219:220], v[219:220], v[221:222], v[219:220]
	v_fma_f64 v[221:222], -v[217:218], v[219:220], 1.0
	v_fma_f64 v[219:220], v[219:220], v[221:222], v[219:220]
	v_mul_f64 v[221:222], v[223:224], v[219:220]
	v_fma_f64 v[217:218], -v[217:218], v[221:222], v[223:224]
	v_div_fmas_f64 v[217:218], v[217:218], v[219:220], v[221:222]
	v_div_fixup_f64 v[219:220], v[217:218], v[213:214], v[215:216]
	v_fma_f64 v[213:214], v[215:216], v[219:220], v[213:214]
	v_div_scale_f64 v[215:216], null, v[213:214], v[213:214], 1.0
	v_rcp_f64_e32 v[217:218], v[215:216]
	v_fma_f64 v[221:222], -v[215:216], v[217:218], 1.0
	v_fma_f64 v[217:218], v[217:218], v[221:222], v[217:218]
	v_fma_f64 v[221:222], -v[215:216], v[217:218], 1.0
	v_fma_f64 v[217:218], v[217:218], v[221:222], v[217:218]
	v_div_scale_f64 v[221:222], vcc_lo, 1.0, v[213:214], 1.0
	v_mul_f64 v[223:224], v[221:222], v[217:218]
	v_fma_f64 v[215:216], -v[215:216], v[223:224], v[221:222]
	v_div_fmas_f64 v[215:216], v[215:216], v[217:218], v[223:224]
	v_div_fixup_f64 v[217:218], v[215:216], v[213:214], 1.0
	v_mul_f64 v[219:220], v[219:220], -v[217:218]
.LBB113_52:
	s_or_b32 exec_lo, exec_lo, s1
	ds_write2_b64 v255, v[217:218], v[219:220] offset1:1
.LBB113_53:
	s_or_b32 exec_lo, exec_lo, s2
	s_waitcnt lgkmcnt(0)
	s_barrier
	buffer_gl0_inv
	ds_read2_b64 v[193:196], v255 offset1:1
	s_mov_b32 s1, exec_lo
	s_waitcnt lgkmcnt(0)
	buffer_store_dword v193, off, s[16:19], 0 offset:544 ; 4-byte Folded Spill
	buffer_store_dword v194, off, s[16:19], 0 offset:548 ; 4-byte Folded Spill
	;; [unrolled: 1-line block ×4, first 2 shown]
	v_cmpx_lt_u32_e32 5, v0
	s_cbranch_execz .LBB113_55
; %bb.54:
	s_clause 0x3
	buffer_load_dword v193, off, s[16:19], 0 offset:544
	buffer_load_dword v194, off, s[16:19], 0 offset:548
	;; [unrolled: 1-line block ×4, first 2 shown]
	v_mov_b32_e32 v205, v207
	v_mov_b32_e32 v206, v208
	ds_read2_b64 v[215:218], v253 offset0:12 offset1:13
	s_waitcnt vmcnt(2)
	v_mul_f64 v[207:208], v[193:194], v[235:236]
	s_waitcnt vmcnt(0)
	v_mul_f64 v[213:214], v[195:196], v[235:236]
	v_fma_f64 v[235:236], v[195:196], v[233:234], v[207:208]
	v_mov_b32_e32 v208, v206
	v_fma_f64 v[213:214], v[193:194], v[233:234], -v[213:214]
	v_mov_b32_e32 v207, v205
	s_waitcnt lgkmcnt(0)
	v_mul_f64 v[205:206], v[217:218], v[235:236]
	v_mov_b32_e32 v234, v214
	v_mov_b32_e32 v233, v213
	v_fma_f64 v[205:206], v[215:216], v[213:214], -v[205:206]
	v_mul_f64 v[215:216], v[215:216], v[235:236]
	v_add_f64 v[229:230], v[229:230], -v[205:206]
	v_fma_f64 v[215:216], v[217:218], v[213:214], v[215:216]
	v_add_f64 v[231:232], v[231:232], -v[215:216]
	ds_read2_b64 v[215:218], v253 offset0:14 offset1:15
	s_waitcnt lgkmcnt(0)
	v_mul_f64 v[205:206], v[217:218], v[235:236]
	v_fma_f64 v[205:206], v[215:216], v[213:214], -v[205:206]
	v_mul_f64 v[215:216], v[215:216], v[235:236]
	v_add_f64 v[249:250], v[249:250], -v[205:206]
	v_fma_f64 v[215:216], v[217:218], v[213:214], v[215:216]
	v_add_f64 v[251:252], v[251:252], -v[215:216]
	ds_read2_b64 v[215:218], v253 offset0:16 offset1:17
	s_waitcnt lgkmcnt(0)
	v_mul_f64 v[205:206], v[217:218], v[235:236]
	;; [unrolled: 8-line block ×50, first 2 shown]
	v_fma_f64 v[205:206], v[215:216], v[213:214], -v[205:206]
	v_mul_f64 v[215:216], v[215:216], v[235:236]
	v_add_f64 v[1:2], v[1:2], -v[205:206]
	v_fma_f64 v[215:216], v[217:218], v[213:214], v[215:216]
	v_add_f64 v[3:4], v[3:4], -v[215:216]
.LBB113_55:
	s_or_b32 exec_lo, exec_lo, s1
	s_mov_b32 s2, exec_lo
	s_waitcnt_vscnt null, 0x0
	s_barrier
	buffer_gl0_inv
	v_cmpx_eq_u32_e32 6, v0
	s_cbranch_execz .LBB113_62
; %bb.56:
	ds_write2_b64 v255, v[229:230], v[231:232] offset1:1
	ds_write2_b64 v253, v[249:250], v[251:252] offset0:14 offset1:15
	ds_write2_b64 v253, v[209:210], v[211:212] offset0:16 offset1:17
	;; [unrolled: 1-line block ×50, first 2 shown]
	ds_read2_b64 v[213:216], v255 offset1:1
	s_waitcnt lgkmcnt(0)
	v_cmp_neq_f64_e32 vcc_lo, 0, v[213:214]
	v_cmp_neq_f64_e64 s1, 0, v[215:216]
	s_or_b32 s1, vcc_lo, s1
	s_and_b32 exec_lo, exec_lo, s1
	s_cbranch_execz .LBB113_62
; %bb.57:
	v_cmp_ngt_f64_e64 s1, |v[213:214]|, |v[215:216]|
                                        ; implicit-def: $vgpr217_vgpr218
	s_and_saveexec_b32 s3, s1
	s_xor_b32 s1, exec_lo, s3
                                        ; implicit-def: $vgpr219_vgpr220
	s_cbranch_execz .LBB113_59
; %bb.58:
	v_div_scale_f64 v[217:218], null, v[215:216], v[215:216], v[213:214]
	v_div_scale_f64 v[223:224], vcc_lo, v[213:214], v[215:216], v[213:214]
	v_rcp_f64_e32 v[219:220], v[217:218]
	v_fma_f64 v[221:222], -v[217:218], v[219:220], 1.0
	v_fma_f64 v[219:220], v[219:220], v[221:222], v[219:220]
	v_fma_f64 v[221:222], -v[217:218], v[219:220], 1.0
	v_fma_f64 v[219:220], v[219:220], v[221:222], v[219:220]
	v_mul_f64 v[221:222], v[223:224], v[219:220]
	v_fma_f64 v[217:218], -v[217:218], v[221:222], v[223:224]
	v_div_fmas_f64 v[217:218], v[217:218], v[219:220], v[221:222]
	v_div_fixup_f64 v[217:218], v[217:218], v[215:216], v[213:214]
	v_fma_f64 v[213:214], v[213:214], v[217:218], v[215:216]
	v_div_scale_f64 v[215:216], null, v[213:214], v[213:214], 1.0
	v_rcp_f64_e32 v[219:220], v[215:216]
	v_fma_f64 v[221:222], -v[215:216], v[219:220], 1.0
	v_fma_f64 v[219:220], v[219:220], v[221:222], v[219:220]
	v_fma_f64 v[221:222], -v[215:216], v[219:220], 1.0
	v_fma_f64 v[219:220], v[219:220], v[221:222], v[219:220]
	v_div_scale_f64 v[221:222], vcc_lo, 1.0, v[213:214], 1.0
	v_mul_f64 v[223:224], v[221:222], v[219:220]
	v_fma_f64 v[215:216], -v[215:216], v[223:224], v[221:222]
	v_div_fmas_f64 v[215:216], v[215:216], v[219:220], v[223:224]
	v_div_fixup_f64 v[219:220], v[215:216], v[213:214], 1.0
                                        ; implicit-def: $vgpr213_vgpr214
	v_mul_f64 v[217:218], v[217:218], v[219:220]
	v_xor_b32_e32 v220, 0x80000000, v220
.LBB113_59:
	s_andn2_saveexec_b32 s1, s1
	s_cbranch_execz .LBB113_61
; %bb.60:
	v_div_scale_f64 v[217:218], null, v[213:214], v[213:214], v[215:216]
	v_div_scale_f64 v[223:224], vcc_lo, v[215:216], v[213:214], v[215:216]
	v_rcp_f64_e32 v[219:220], v[217:218]
	v_fma_f64 v[221:222], -v[217:218], v[219:220], 1.0
	v_fma_f64 v[219:220], v[219:220], v[221:222], v[219:220]
	v_fma_f64 v[221:222], -v[217:218], v[219:220], 1.0
	v_fma_f64 v[219:220], v[219:220], v[221:222], v[219:220]
	v_mul_f64 v[221:222], v[223:224], v[219:220]
	v_fma_f64 v[217:218], -v[217:218], v[221:222], v[223:224]
	v_div_fmas_f64 v[217:218], v[217:218], v[219:220], v[221:222]
	v_div_fixup_f64 v[219:220], v[217:218], v[213:214], v[215:216]
	v_fma_f64 v[213:214], v[215:216], v[219:220], v[213:214]
	v_div_scale_f64 v[215:216], null, v[213:214], v[213:214], 1.0
	v_rcp_f64_e32 v[217:218], v[215:216]
	v_fma_f64 v[221:222], -v[215:216], v[217:218], 1.0
	v_fma_f64 v[217:218], v[217:218], v[221:222], v[217:218]
	v_fma_f64 v[221:222], -v[215:216], v[217:218], 1.0
	v_fma_f64 v[217:218], v[217:218], v[221:222], v[217:218]
	v_div_scale_f64 v[221:222], vcc_lo, 1.0, v[213:214], 1.0
	v_mul_f64 v[223:224], v[221:222], v[217:218]
	v_fma_f64 v[215:216], -v[215:216], v[223:224], v[221:222]
	v_div_fmas_f64 v[215:216], v[215:216], v[217:218], v[223:224]
	v_div_fixup_f64 v[217:218], v[215:216], v[213:214], 1.0
	v_mul_f64 v[219:220], v[219:220], -v[217:218]
.LBB113_61:
	s_or_b32 exec_lo, exec_lo, s1
	ds_write2_b64 v255, v[217:218], v[219:220] offset1:1
.LBB113_62:
	s_or_b32 exec_lo, exec_lo, s2
	s_waitcnt lgkmcnt(0)
	s_barrier
	buffer_gl0_inv
	ds_read2_b64 v[193:196], v255 offset1:1
	s_mov_b32 s1, exec_lo
	s_waitcnt lgkmcnt(0)
	buffer_store_dword v193, off, s[16:19], 0 offset:560 ; 4-byte Folded Spill
	buffer_store_dword v194, off, s[16:19], 0 offset:564 ; 4-byte Folded Spill
	buffer_store_dword v195, off, s[16:19], 0 offset:568 ; 4-byte Folded Spill
	buffer_store_dword v196, off, s[16:19], 0 offset:572 ; 4-byte Folded Spill
	v_cmpx_lt_u32_e32 6, v0
	s_cbranch_execz .LBB113_64
; %bb.63:
	s_clause 0x3
	buffer_load_dword v193, off, s[16:19], 0 offset:560
	buffer_load_dword v194, off, s[16:19], 0 offset:564
	buffer_load_dword v195, off, s[16:19], 0 offset:568
	buffer_load_dword v196, off, s[16:19], 0 offset:572
	ds_read2_b64 v[215:218], v253 offset0:14 offset1:15
	s_waitcnt vmcnt(2)
	v_mul_f64 v[203:204], v[193:194], v[231:232]
	s_waitcnt vmcnt(0)
	v_mul_f64 v[213:214], v[195:196], v[231:232]
	v_fma_f64 v[231:232], v[195:196], v[229:230], v[203:204]
	v_fma_f64 v[213:214], v[193:194], v[229:230], -v[213:214]
	s_waitcnt lgkmcnt(0)
	v_mul_f64 v[201:202], v[217:218], v[231:232]
	v_mov_b32_e32 v230, v214
	v_mov_b32_e32 v229, v213
	v_fma_f64 v[201:202], v[215:216], v[213:214], -v[201:202]
	v_mul_f64 v[215:216], v[215:216], v[231:232]
	v_add_f64 v[249:250], v[249:250], -v[201:202]
	v_fma_f64 v[215:216], v[217:218], v[213:214], v[215:216]
	v_add_f64 v[251:252], v[251:252], -v[215:216]
	ds_read2_b64 v[215:218], v253 offset0:16 offset1:17
	s_waitcnt lgkmcnt(0)
	v_mul_f64 v[201:202], v[217:218], v[231:232]
	v_fma_f64 v[201:202], v[215:216], v[213:214], -v[201:202]
	v_mul_f64 v[215:216], v[215:216], v[231:232]
	v_add_f64 v[209:210], v[209:210], -v[201:202]
	v_fma_f64 v[215:216], v[217:218], v[213:214], v[215:216]
	v_add_f64 v[211:212], v[211:212], -v[215:216]
	ds_read2_b64 v[215:218], v253 offset0:18 offset1:19
	s_waitcnt lgkmcnt(0)
	v_mul_f64 v[201:202], v[217:218], v[231:232]
	;; [unrolled: 8-line block ×49, first 2 shown]
	v_fma_f64 v[201:202], v[215:216], v[213:214], -v[201:202]
	v_mul_f64 v[215:216], v[215:216], v[231:232]
	v_add_f64 v[1:2], v[1:2], -v[201:202]
	v_fma_f64 v[215:216], v[217:218], v[213:214], v[215:216]
	v_add_f64 v[3:4], v[3:4], -v[215:216]
.LBB113_64:
	s_or_b32 exec_lo, exec_lo, s1
	s_mov_b32 s2, exec_lo
	s_waitcnt_vscnt null, 0x0
	s_barrier
	buffer_gl0_inv
	v_cmpx_eq_u32_e32 7, v0
	s_cbranch_execz .LBB113_71
; %bb.65:
	ds_write2_b64 v255, v[249:250], v[251:252] offset1:1
	ds_write2_b64 v253, v[209:210], v[211:212] offset0:16 offset1:17
	ds_write2_b64 v253, v[189:190], v[191:192] offset0:18 offset1:19
	;; [unrolled: 1-line block ×49, first 2 shown]
	ds_read2_b64 v[213:216], v255 offset1:1
	s_waitcnt lgkmcnt(0)
	v_cmp_neq_f64_e32 vcc_lo, 0, v[213:214]
	v_cmp_neq_f64_e64 s1, 0, v[215:216]
	s_or_b32 s1, vcc_lo, s1
	s_and_b32 exec_lo, exec_lo, s1
	s_cbranch_execz .LBB113_71
; %bb.66:
	v_cmp_ngt_f64_e64 s1, |v[213:214]|, |v[215:216]|
                                        ; implicit-def: $vgpr217_vgpr218
	s_and_saveexec_b32 s3, s1
	s_xor_b32 s1, exec_lo, s3
                                        ; implicit-def: $vgpr219_vgpr220
	s_cbranch_execz .LBB113_68
; %bb.67:
	v_div_scale_f64 v[217:218], null, v[215:216], v[215:216], v[213:214]
	v_div_scale_f64 v[223:224], vcc_lo, v[213:214], v[215:216], v[213:214]
	v_rcp_f64_e32 v[219:220], v[217:218]
	v_fma_f64 v[221:222], -v[217:218], v[219:220], 1.0
	v_fma_f64 v[219:220], v[219:220], v[221:222], v[219:220]
	v_fma_f64 v[221:222], -v[217:218], v[219:220], 1.0
	v_fma_f64 v[219:220], v[219:220], v[221:222], v[219:220]
	v_mul_f64 v[221:222], v[223:224], v[219:220]
	v_fma_f64 v[217:218], -v[217:218], v[221:222], v[223:224]
	v_div_fmas_f64 v[217:218], v[217:218], v[219:220], v[221:222]
	v_div_fixup_f64 v[217:218], v[217:218], v[215:216], v[213:214]
	v_fma_f64 v[213:214], v[213:214], v[217:218], v[215:216]
	v_div_scale_f64 v[215:216], null, v[213:214], v[213:214], 1.0
	v_rcp_f64_e32 v[219:220], v[215:216]
	v_fma_f64 v[221:222], -v[215:216], v[219:220], 1.0
	v_fma_f64 v[219:220], v[219:220], v[221:222], v[219:220]
	v_fma_f64 v[221:222], -v[215:216], v[219:220], 1.0
	v_fma_f64 v[219:220], v[219:220], v[221:222], v[219:220]
	v_div_scale_f64 v[221:222], vcc_lo, 1.0, v[213:214], 1.0
	v_mul_f64 v[223:224], v[221:222], v[219:220]
	v_fma_f64 v[215:216], -v[215:216], v[223:224], v[221:222]
	v_div_fmas_f64 v[215:216], v[215:216], v[219:220], v[223:224]
	v_div_fixup_f64 v[219:220], v[215:216], v[213:214], 1.0
                                        ; implicit-def: $vgpr213_vgpr214
	v_mul_f64 v[217:218], v[217:218], v[219:220]
	v_xor_b32_e32 v220, 0x80000000, v220
.LBB113_68:
	s_andn2_saveexec_b32 s1, s1
	s_cbranch_execz .LBB113_70
; %bb.69:
	v_div_scale_f64 v[217:218], null, v[213:214], v[213:214], v[215:216]
	v_div_scale_f64 v[223:224], vcc_lo, v[215:216], v[213:214], v[215:216]
	v_rcp_f64_e32 v[219:220], v[217:218]
	v_fma_f64 v[221:222], -v[217:218], v[219:220], 1.0
	v_fma_f64 v[219:220], v[219:220], v[221:222], v[219:220]
	v_fma_f64 v[221:222], -v[217:218], v[219:220], 1.0
	v_fma_f64 v[219:220], v[219:220], v[221:222], v[219:220]
	v_mul_f64 v[221:222], v[223:224], v[219:220]
	v_fma_f64 v[217:218], -v[217:218], v[221:222], v[223:224]
	v_div_fmas_f64 v[217:218], v[217:218], v[219:220], v[221:222]
	v_div_fixup_f64 v[219:220], v[217:218], v[213:214], v[215:216]
	v_fma_f64 v[213:214], v[215:216], v[219:220], v[213:214]
	v_div_scale_f64 v[215:216], null, v[213:214], v[213:214], 1.0
	v_rcp_f64_e32 v[217:218], v[215:216]
	v_fma_f64 v[221:222], -v[215:216], v[217:218], 1.0
	v_fma_f64 v[217:218], v[217:218], v[221:222], v[217:218]
	v_fma_f64 v[221:222], -v[215:216], v[217:218], 1.0
	v_fma_f64 v[217:218], v[217:218], v[221:222], v[217:218]
	v_div_scale_f64 v[221:222], vcc_lo, 1.0, v[213:214], 1.0
	v_mul_f64 v[223:224], v[221:222], v[217:218]
	v_fma_f64 v[215:216], -v[215:216], v[223:224], v[221:222]
	v_div_fmas_f64 v[215:216], v[215:216], v[217:218], v[223:224]
	v_div_fixup_f64 v[217:218], v[215:216], v[213:214], 1.0
	v_mul_f64 v[219:220], v[219:220], -v[217:218]
.LBB113_70:
	s_or_b32 exec_lo, exec_lo, s1
	ds_write2_b64 v255, v[217:218], v[219:220] offset1:1
.LBB113_71:
	s_or_b32 exec_lo, exec_lo, s2
	s_waitcnt lgkmcnt(0)
	s_barrier
	buffer_gl0_inv
	ds_read2_b64 v[193:196], v255 offset1:1
	s_mov_b32 s1, exec_lo
	s_waitcnt lgkmcnt(0)
	buffer_store_dword v193, off, s[16:19], 0 offset:576 ; 4-byte Folded Spill
	buffer_store_dword v194, off, s[16:19], 0 offset:580 ; 4-byte Folded Spill
	buffer_store_dword v195, off, s[16:19], 0 offset:584 ; 4-byte Folded Spill
	buffer_store_dword v196, off, s[16:19], 0 offset:588 ; 4-byte Folded Spill
	v_cmpx_lt_u32_e32 7, v0
	s_cbranch_execz .LBB113_73
; %bb.72:
	s_clause 0x3
	buffer_load_dword v193, off, s[16:19], 0 offset:576
	buffer_load_dword v194, off, s[16:19], 0 offset:580
	;; [unrolled: 1-line block ×4, first 2 shown]
	v_mov_b32_e32 v197, v199
	v_mov_b32_e32 v198, v200
	ds_read2_b64 v[215:218], v253 offset0:16 offset1:17
	s_waitcnt vmcnt(2)
	v_mul_f64 v[199:200], v[193:194], v[251:252]
	s_waitcnt vmcnt(0)
	v_mul_f64 v[213:214], v[195:196], v[251:252]
	v_fma_f64 v[251:252], v[195:196], v[249:250], v[199:200]
	v_mov_b32_e32 v200, v198
	v_fma_f64 v[213:214], v[193:194], v[249:250], -v[213:214]
	v_mov_b32_e32 v199, v197
	s_waitcnt lgkmcnt(0)
	v_mul_f64 v[197:198], v[217:218], v[251:252]
	v_mov_b32_e32 v250, v214
	v_mov_b32_e32 v249, v213
	v_fma_f64 v[197:198], v[215:216], v[213:214], -v[197:198]
	v_mul_f64 v[215:216], v[215:216], v[251:252]
	v_add_f64 v[209:210], v[209:210], -v[197:198]
	v_fma_f64 v[215:216], v[217:218], v[213:214], v[215:216]
	v_add_f64 v[211:212], v[211:212], -v[215:216]
	ds_read2_b64 v[215:218], v253 offset0:18 offset1:19
	s_waitcnt lgkmcnt(0)
	v_mul_f64 v[197:198], v[217:218], v[251:252]
	v_fma_f64 v[197:198], v[215:216], v[213:214], -v[197:198]
	v_mul_f64 v[215:216], v[215:216], v[251:252]
	v_add_f64 v[189:190], v[189:190], -v[197:198]
	v_fma_f64 v[215:216], v[217:218], v[213:214], v[215:216]
	v_add_f64 v[191:192], v[191:192], -v[215:216]
	ds_read2_b64 v[215:218], v253 offset0:20 offset1:21
	s_waitcnt lgkmcnt(0)
	v_mul_f64 v[197:198], v[217:218], v[251:252]
	;; [unrolled: 8-line block ×48, first 2 shown]
	v_fma_f64 v[197:198], v[215:216], v[213:214], -v[197:198]
	v_mul_f64 v[215:216], v[215:216], v[251:252]
	v_add_f64 v[1:2], v[1:2], -v[197:198]
	v_fma_f64 v[215:216], v[217:218], v[213:214], v[215:216]
	v_add_f64 v[3:4], v[3:4], -v[215:216]
.LBB113_73:
	s_or_b32 exec_lo, exec_lo, s1
	s_mov_b32 s2, exec_lo
	s_waitcnt_vscnt null, 0x0
	s_barrier
	buffer_gl0_inv
	v_cmpx_eq_u32_e32 8, v0
	s_cbranch_execz .LBB113_80
; %bb.74:
	ds_write2_b64 v255, v[209:210], v[211:212] offset1:1
	ds_write2_b64 v253, v[189:190], v[191:192] offset0:18 offset1:19
	ds_write2_b64 v253, v[185:186], v[187:188] offset0:20 offset1:21
	;; [unrolled: 1-line block ×48, first 2 shown]
	ds_read2_b64 v[213:216], v255 offset1:1
	s_waitcnt lgkmcnt(0)
	v_cmp_neq_f64_e32 vcc_lo, 0, v[213:214]
	v_cmp_neq_f64_e64 s1, 0, v[215:216]
	s_or_b32 s1, vcc_lo, s1
	s_and_b32 exec_lo, exec_lo, s1
	s_cbranch_execz .LBB113_80
; %bb.75:
	v_cmp_ngt_f64_e64 s1, |v[213:214]|, |v[215:216]|
                                        ; implicit-def: $vgpr217_vgpr218
	s_and_saveexec_b32 s3, s1
	s_xor_b32 s1, exec_lo, s3
                                        ; implicit-def: $vgpr219_vgpr220
	s_cbranch_execz .LBB113_77
; %bb.76:
	v_div_scale_f64 v[217:218], null, v[215:216], v[215:216], v[213:214]
	v_div_scale_f64 v[223:224], vcc_lo, v[213:214], v[215:216], v[213:214]
	v_rcp_f64_e32 v[219:220], v[217:218]
	v_fma_f64 v[221:222], -v[217:218], v[219:220], 1.0
	v_fma_f64 v[219:220], v[219:220], v[221:222], v[219:220]
	v_fma_f64 v[221:222], -v[217:218], v[219:220], 1.0
	v_fma_f64 v[219:220], v[219:220], v[221:222], v[219:220]
	v_mul_f64 v[221:222], v[223:224], v[219:220]
	v_fma_f64 v[217:218], -v[217:218], v[221:222], v[223:224]
	v_div_fmas_f64 v[217:218], v[217:218], v[219:220], v[221:222]
	v_div_fixup_f64 v[217:218], v[217:218], v[215:216], v[213:214]
	v_fma_f64 v[213:214], v[213:214], v[217:218], v[215:216]
	v_div_scale_f64 v[215:216], null, v[213:214], v[213:214], 1.0
	v_rcp_f64_e32 v[219:220], v[215:216]
	v_fma_f64 v[221:222], -v[215:216], v[219:220], 1.0
	v_fma_f64 v[219:220], v[219:220], v[221:222], v[219:220]
	v_fma_f64 v[221:222], -v[215:216], v[219:220], 1.0
	v_fma_f64 v[219:220], v[219:220], v[221:222], v[219:220]
	v_div_scale_f64 v[221:222], vcc_lo, 1.0, v[213:214], 1.0
	v_mul_f64 v[223:224], v[221:222], v[219:220]
	v_fma_f64 v[215:216], -v[215:216], v[223:224], v[221:222]
	v_div_fmas_f64 v[215:216], v[215:216], v[219:220], v[223:224]
	v_div_fixup_f64 v[219:220], v[215:216], v[213:214], 1.0
                                        ; implicit-def: $vgpr213_vgpr214
	v_mul_f64 v[217:218], v[217:218], v[219:220]
	v_xor_b32_e32 v220, 0x80000000, v220
.LBB113_77:
	s_andn2_saveexec_b32 s1, s1
	s_cbranch_execz .LBB113_79
; %bb.78:
	v_div_scale_f64 v[217:218], null, v[213:214], v[213:214], v[215:216]
	v_div_scale_f64 v[223:224], vcc_lo, v[215:216], v[213:214], v[215:216]
	v_rcp_f64_e32 v[219:220], v[217:218]
	v_fma_f64 v[221:222], -v[217:218], v[219:220], 1.0
	v_fma_f64 v[219:220], v[219:220], v[221:222], v[219:220]
	v_fma_f64 v[221:222], -v[217:218], v[219:220], 1.0
	v_fma_f64 v[219:220], v[219:220], v[221:222], v[219:220]
	v_mul_f64 v[221:222], v[223:224], v[219:220]
	v_fma_f64 v[217:218], -v[217:218], v[221:222], v[223:224]
	v_div_fmas_f64 v[217:218], v[217:218], v[219:220], v[221:222]
	v_div_fixup_f64 v[219:220], v[217:218], v[213:214], v[215:216]
	v_fma_f64 v[213:214], v[215:216], v[219:220], v[213:214]
	v_div_scale_f64 v[215:216], null, v[213:214], v[213:214], 1.0
	v_rcp_f64_e32 v[217:218], v[215:216]
	v_fma_f64 v[221:222], -v[215:216], v[217:218], 1.0
	v_fma_f64 v[217:218], v[217:218], v[221:222], v[217:218]
	v_fma_f64 v[221:222], -v[215:216], v[217:218], 1.0
	v_fma_f64 v[217:218], v[217:218], v[221:222], v[217:218]
	v_div_scale_f64 v[221:222], vcc_lo, 1.0, v[213:214], 1.0
	v_mul_f64 v[223:224], v[221:222], v[217:218]
	v_fma_f64 v[215:216], -v[215:216], v[223:224], v[221:222]
	v_div_fmas_f64 v[215:216], v[215:216], v[217:218], v[223:224]
	v_div_fixup_f64 v[217:218], v[215:216], v[213:214], 1.0
	v_mul_f64 v[219:220], v[219:220], -v[217:218]
.LBB113_79:
	s_or_b32 exec_lo, exec_lo, s1
	ds_write2_b64 v255, v[217:218], v[219:220] offset1:1
.LBB113_80:
	s_or_b32 exec_lo, exec_lo, s2
	s_waitcnt lgkmcnt(0)
	s_barrier
	buffer_gl0_inv
	ds_read2_b64 v[203:206], v255 offset1:1
	s_mov_b32 s1, exec_lo
	v_cmpx_lt_u32_e32 8, v0
	s_cbranch_execz .LBB113_82
; %bb.81:
	s_waitcnt lgkmcnt(0)
	v_mul_f64 v[195:196], v[203:204], v[211:212]
	v_mul_f64 v[213:214], v[205:206], v[211:212]
	ds_read2_b64 v[215:218], v253 offset0:18 offset1:19
	v_fma_f64 v[211:212], v[205:206], v[209:210], v[195:196]
	v_fma_f64 v[213:214], v[203:204], v[209:210], -v[213:214]
	s_waitcnt lgkmcnt(0)
	v_mul_f64 v[193:194], v[217:218], v[211:212]
	v_mov_b32_e32 v209, v213
	v_mov_b32_e32 v210, v214
	v_fma_f64 v[193:194], v[215:216], v[213:214], -v[193:194]
	v_mul_f64 v[215:216], v[215:216], v[211:212]
	v_add_f64 v[189:190], v[189:190], -v[193:194]
	v_fma_f64 v[215:216], v[217:218], v[213:214], v[215:216]
	v_add_f64 v[191:192], v[191:192], -v[215:216]
	ds_read2_b64 v[215:218], v253 offset0:20 offset1:21
	s_waitcnt lgkmcnt(0)
	v_mul_f64 v[193:194], v[217:218], v[211:212]
	v_fma_f64 v[193:194], v[215:216], v[213:214], -v[193:194]
	v_mul_f64 v[215:216], v[215:216], v[211:212]
	v_add_f64 v[185:186], v[185:186], -v[193:194]
	v_fma_f64 v[215:216], v[217:218], v[213:214], v[215:216]
	v_add_f64 v[187:188], v[187:188], -v[215:216]
	ds_read2_b64 v[215:218], v253 offset0:22 offset1:23
	s_waitcnt lgkmcnt(0)
	v_mul_f64 v[193:194], v[217:218], v[211:212]
	v_fma_f64 v[193:194], v[215:216], v[213:214], -v[193:194]
	v_mul_f64 v[215:216], v[215:216], v[211:212]
	v_add_f64 v[181:182], v[181:182], -v[193:194]
	v_fma_f64 v[215:216], v[217:218], v[213:214], v[215:216]
	v_add_f64 v[183:184], v[183:184], -v[215:216]
	ds_read2_b64 v[215:218], v253 offset0:24 offset1:25
	s_waitcnt lgkmcnt(0)
	v_mul_f64 v[193:194], v[217:218], v[211:212]
	v_fma_f64 v[193:194], v[215:216], v[213:214], -v[193:194]
	v_mul_f64 v[215:216], v[215:216], v[211:212]
	v_add_f64 v[177:178], v[177:178], -v[193:194]
	v_fma_f64 v[215:216], v[217:218], v[213:214], v[215:216]
	v_add_f64 v[179:180], v[179:180], -v[215:216]
	ds_read2_b64 v[215:218], v253 offset0:26 offset1:27
	s_waitcnt lgkmcnt(0)
	v_mul_f64 v[193:194], v[217:218], v[211:212]
	v_fma_f64 v[193:194], v[215:216], v[213:214], -v[193:194]
	v_mul_f64 v[215:216], v[215:216], v[211:212]
	v_add_f64 v[173:174], v[173:174], -v[193:194]
	v_fma_f64 v[215:216], v[217:218], v[213:214], v[215:216]
	v_add_f64 v[175:176], v[175:176], -v[215:216]
	ds_read2_b64 v[215:218], v253 offset0:28 offset1:29
	s_waitcnt lgkmcnt(0)
	v_mul_f64 v[193:194], v[217:218], v[211:212]
	v_fma_f64 v[193:194], v[215:216], v[213:214], -v[193:194]
	v_mul_f64 v[215:216], v[215:216], v[211:212]
	v_add_f64 v[169:170], v[169:170], -v[193:194]
	v_fma_f64 v[215:216], v[217:218], v[213:214], v[215:216]
	v_add_f64 v[171:172], v[171:172], -v[215:216]
	ds_read2_b64 v[215:218], v253 offset0:30 offset1:31
	s_waitcnt lgkmcnt(0)
	v_mul_f64 v[193:194], v[217:218], v[211:212]
	v_fma_f64 v[193:194], v[215:216], v[213:214], -v[193:194]
	v_mul_f64 v[215:216], v[215:216], v[211:212]
	v_add_f64 v[165:166], v[165:166], -v[193:194]
	v_fma_f64 v[215:216], v[217:218], v[213:214], v[215:216]
	v_add_f64 v[167:168], v[167:168], -v[215:216]
	ds_read2_b64 v[215:218], v253 offset0:32 offset1:33
	s_waitcnt lgkmcnt(0)
	v_mul_f64 v[193:194], v[217:218], v[211:212]
	v_fma_f64 v[193:194], v[215:216], v[213:214], -v[193:194]
	v_mul_f64 v[215:216], v[215:216], v[211:212]
	v_add_f64 v[161:162], v[161:162], -v[193:194]
	v_fma_f64 v[215:216], v[217:218], v[213:214], v[215:216]
	v_add_f64 v[163:164], v[163:164], -v[215:216]
	ds_read2_b64 v[215:218], v253 offset0:34 offset1:35
	s_waitcnt lgkmcnt(0)
	v_mul_f64 v[193:194], v[217:218], v[211:212]
	v_fma_f64 v[193:194], v[215:216], v[213:214], -v[193:194]
	v_mul_f64 v[215:216], v[215:216], v[211:212]
	v_add_f64 v[157:158], v[157:158], -v[193:194]
	v_fma_f64 v[215:216], v[217:218], v[213:214], v[215:216]
	v_add_f64 v[159:160], v[159:160], -v[215:216]
	ds_read2_b64 v[215:218], v253 offset0:36 offset1:37
	s_waitcnt lgkmcnt(0)
	v_mul_f64 v[193:194], v[217:218], v[211:212]
	v_fma_f64 v[193:194], v[215:216], v[213:214], -v[193:194]
	v_mul_f64 v[215:216], v[215:216], v[211:212]
	v_add_f64 v[153:154], v[153:154], -v[193:194]
	v_fma_f64 v[215:216], v[217:218], v[213:214], v[215:216]
	v_add_f64 v[155:156], v[155:156], -v[215:216]
	ds_read2_b64 v[215:218], v253 offset0:38 offset1:39
	s_waitcnt lgkmcnt(0)
	v_mul_f64 v[193:194], v[217:218], v[211:212]
	v_fma_f64 v[193:194], v[215:216], v[213:214], -v[193:194]
	v_mul_f64 v[215:216], v[215:216], v[211:212]
	v_add_f64 v[149:150], v[149:150], -v[193:194]
	v_fma_f64 v[215:216], v[217:218], v[213:214], v[215:216]
	v_add_f64 v[151:152], v[151:152], -v[215:216]
	ds_read2_b64 v[215:218], v253 offset0:40 offset1:41
	s_waitcnt lgkmcnt(0)
	v_mul_f64 v[193:194], v[217:218], v[211:212]
	v_fma_f64 v[193:194], v[215:216], v[213:214], -v[193:194]
	v_mul_f64 v[215:216], v[215:216], v[211:212]
	v_add_f64 v[145:146], v[145:146], -v[193:194]
	v_fma_f64 v[215:216], v[217:218], v[213:214], v[215:216]
	v_add_f64 v[147:148], v[147:148], -v[215:216]
	ds_read2_b64 v[215:218], v253 offset0:42 offset1:43
	s_waitcnt lgkmcnt(0)
	v_mul_f64 v[193:194], v[217:218], v[211:212]
	v_fma_f64 v[193:194], v[215:216], v[213:214], -v[193:194]
	v_mul_f64 v[215:216], v[215:216], v[211:212]
	v_add_f64 v[141:142], v[141:142], -v[193:194]
	v_fma_f64 v[215:216], v[217:218], v[213:214], v[215:216]
	v_add_f64 v[143:144], v[143:144], -v[215:216]
	ds_read2_b64 v[215:218], v253 offset0:44 offset1:45
	s_waitcnt lgkmcnt(0)
	v_mul_f64 v[193:194], v[217:218], v[211:212]
	v_fma_f64 v[193:194], v[215:216], v[213:214], -v[193:194]
	v_mul_f64 v[215:216], v[215:216], v[211:212]
	v_add_f64 v[137:138], v[137:138], -v[193:194]
	v_fma_f64 v[215:216], v[217:218], v[213:214], v[215:216]
	v_add_f64 v[139:140], v[139:140], -v[215:216]
	ds_read2_b64 v[215:218], v253 offset0:46 offset1:47
	s_waitcnt lgkmcnt(0)
	v_mul_f64 v[193:194], v[217:218], v[211:212]
	v_fma_f64 v[193:194], v[215:216], v[213:214], -v[193:194]
	v_mul_f64 v[215:216], v[215:216], v[211:212]
	v_add_f64 v[133:134], v[133:134], -v[193:194]
	v_fma_f64 v[215:216], v[217:218], v[213:214], v[215:216]
	v_add_f64 v[135:136], v[135:136], -v[215:216]
	ds_read2_b64 v[215:218], v253 offset0:48 offset1:49
	s_waitcnt lgkmcnt(0)
	v_mul_f64 v[193:194], v[217:218], v[211:212]
	v_fma_f64 v[193:194], v[215:216], v[213:214], -v[193:194]
	v_mul_f64 v[215:216], v[215:216], v[211:212]
	v_add_f64 v[129:130], v[129:130], -v[193:194]
	v_fma_f64 v[215:216], v[217:218], v[213:214], v[215:216]
	v_add_f64 v[131:132], v[131:132], -v[215:216]
	ds_read2_b64 v[215:218], v253 offset0:50 offset1:51
	s_waitcnt lgkmcnt(0)
	v_mul_f64 v[193:194], v[217:218], v[211:212]
	v_fma_f64 v[193:194], v[215:216], v[213:214], -v[193:194]
	v_mul_f64 v[215:216], v[215:216], v[211:212]
	v_add_f64 v[125:126], v[125:126], -v[193:194]
	v_fma_f64 v[215:216], v[217:218], v[213:214], v[215:216]
	v_add_f64 v[127:128], v[127:128], -v[215:216]
	ds_read2_b64 v[215:218], v253 offset0:52 offset1:53
	s_waitcnt lgkmcnt(0)
	v_mul_f64 v[193:194], v[217:218], v[211:212]
	v_fma_f64 v[193:194], v[215:216], v[213:214], -v[193:194]
	v_mul_f64 v[215:216], v[215:216], v[211:212]
	v_add_f64 v[121:122], v[121:122], -v[193:194]
	v_fma_f64 v[215:216], v[217:218], v[213:214], v[215:216]
	v_add_f64 v[123:124], v[123:124], -v[215:216]
	ds_read2_b64 v[215:218], v253 offset0:54 offset1:55
	s_waitcnt lgkmcnt(0)
	v_mul_f64 v[193:194], v[217:218], v[211:212]
	v_fma_f64 v[193:194], v[215:216], v[213:214], -v[193:194]
	v_mul_f64 v[215:216], v[215:216], v[211:212]
	v_add_f64 v[117:118], v[117:118], -v[193:194]
	v_fma_f64 v[215:216], v[217:218], v[213:214], v[215:216]
	v_add_f64 v[119:120], v[119:120], -v[215:216]
	ds_read2_b64 v[215:218], v253 offset0:56 offset1:57
	s_waitcnt lgkmcnt(0)
	v_mul_f64 v[193:194], v[217:218], v[211:212]
	v_fma_f64 v[193:194], v[215:216], v[213:214], -v[193:194]
	v_mul_f64 v[215:216], v[215:216], v[211:212]
	v_add_f64 v[113:114], v[113:114], -v[193:194]
	v_fma_f64 v[215:216], v[217:218], v[213:214], v[215:216]
	v_add_f64 v[115:116], v[115:116], -v[215:216]
	ds_read2_b64 v[215:218], v253 offset0:58 offset1:59
	s_waitcnt lgkmcnt(0)
	v_mul_f64 v[193:194], v[217:218], v[211:212]
	v_fma_f64 v[193:194], v[215:216], v[213:214], -v[193:194]
	v_mul_f64 v[215:216], v[215:216], v[211:212]
	v_add_f64 v[109:110], v[109:110], -v[193:194]
	v_fma_f64 v[215:216], v[217:218], v[213:214], v[215:216]
	v_add_f64 v[111:112], v[111:112], -v[215:216]
	ds_read2_b64 v[215:218], v253 offset0:60 offset1:61
	s_waitcnt lgkmcnt(0)
	v_mul_f64 v[193:194], v[217:218], v[211:212]
	v_fma_f64 v[193:194], v[215:216], v[213:214], -v[193:194]
	v_mul_f64 v[215:216], v[215:216], v[211:212]
	v_add_f64 v[105:106], v[105:106], -v[193:194]
	v_fma_f64 v[215:216], v[217:218], v[213:214], v[215:216]
	v_add_f64 v[107:108], v[107:108], -v[215:216]
	ds_read2_b64 v[215:218], v253 offset0:62 offset1:63
	s_waitcnt lgkmcnt(0)
	v_mul_f64 v[193:194], v[217:218], v[211:212]
	v_fma_f64 v[193:194], v[215:216], v[213:214], -v[193:194]
	v_mul_f64 v[215:216], v[215:216], v[211:212]
	v_add_f64 v[101:102], v[101:102], -v[193:194]
	v_fma_f64 v[215:216], v[217:218], v[213:214], v[215:216]
	v_add_f64 v[103:104], v[103:104], -v[215:216]
	ds_read2_b64 v[215:218], v253 offset0:64 offset1:65
	s_waitcnt lgkmcnt(0)
	v_mul_f64 v[193:194], v[217:218], v[211:212]
	v_fma_f64 v[193:194], v[215:216], v[213:214], -v[193:194]
	v_mul_f64 v[215:216], v[215:216], v[211:212]
	v_add_f64 v[97:98], v[97:98], -v[193:194]
	v_fma_f64 v[215:216], v[217:218], v[213:214], v[215:216]
	v_add_f64 v[99:100], v[99:100], -v[215:216]
	ds_read2_b64 v[215:218], v253 offset0:66 offset1:67
	s_waitcnt lgkmcnt(0)
	v_mul_f64 v[193:194], v[217:218], v[211:212]
	v_fma_f64 v[193:194], v[215:216], v[213:214], -v[193:194]
	v_mul_f64 v[215:216], v[215:216], v[211:212]
	v_add_f64 v[93:94], v[93:94], -v[193:194]
	v_fma_f64 v[215:216], v[217:218], v[213:214], v[215:216]
	v_add_f64 v[95:96], v[95:96], -v[215:216]
	ds_read2_b64 v[215:218], v253 offset0:68 offset1:69
	s_waitcnt lgkmcnt(0)
	v_mul_f64 v[193:194], v[217:218], v[211:212]
	v_fma_f64 v[193:194], v[215:216], v[213:214], -v[193:194]
	v_mul_f64 v[215:216], v[215:216], v[211:212]
	v_add_f64 v[89:90], v[89:90], -v[193:194]
	v_fma_f64 v[215:216], v[217:218], v[213:214], v[215:216]
	v_add_f64 v[91:92], v[91:92], -v[215:216]
	ds_read2_b64 v[215:218], v253 offset0:70 offset1:71
	s_waitcnt lgkmcnt(0)
	v_mul_f64 v[193:194], v[217:218], v[211:212]
	v_fma_f64 v[193:194], v[215:216], v[213:214], -v[193:194]
	v_mul_f64 v[215:216], v[215:216], v[211:212]
	v_add_f64 v[85:86], v[85:86], -v[193:194]
	v_fma_f64 v[215:216], v[217:218], v[213:214], v[215:216]
	v_add_f64 v[87:88], v[87:88], -v[215:216]
	ds_read2_b64 v[215:218], v253 offset0:72 offset1:73
	s_waitcnt lgkmcnt(0)
	v_mul_f64 v[193:194], v[217:218], v[211:212]
	v_fma_f64 v[193:194], v[215:216], v[213:214], -v[193:194]
	v_mul_f64 v[215:216], v[215:216], v[211:212]
	v_add_f64 v[81:82], v[81:82], -v[193:194]
	v_fma_f64 v[215:216], v[217:218], v[213:214], v[215:216]
	v_add_f64 v[83:84], v[83:84], -v[215:216]
	ds_read2_b64 v[215:218], v253 offset0:74 offset1:75
	s_waitcnt lgkmcnt(0)
	v_mul_f64 v[193:194], v[217:218], v[211:212]
	v_fma_f64 v[193:194], v[215:216], v[213:214], -v[193:194]
	v_mul_f64 v[215:216], v[215:216], v[211:212]
	v_add_f64 v[77:78], v[77:78], -v[193:194]
	v_fma_f64 v[215:216], v[217:218], v[213:214], v[215:216]
	v_add_f64 v[79:80], v[79:80], -v[215:216]
	ds_read2_b64 v[215:218], v253 offset0:76 offset1:77
	s_waitcnt lgkmcnt(0)
	v_mul_f64 v[193:194], v[217:218], v[211:212]
	v_fma_f64 v[193:194], v[215:216], v[213:214], -v[193:194]
	v_mul_f64 v[215:216], v[215:216], v[211:212]
	v_add_f64 v[73:74], v[73:74], -v[193:194]
	v_fma_f64 v[215:216], v[217:218], v[213:214], v[215:216]
	v_add_f64 v[75:76], v[75:76], -v[215:216]
	ds_read2_b64 v[215:218], v253 offset0:78 offset1:79
	s_waitcnt lgkmcnt(0)
	v_mul_f64 v[193:194], v[217:218], v[211:212]
	v_fma_f64 v[193:194], v[215:216], v[213:214], -v[193:194]
	v_mul_f64 v[215:216], v[215:216], v[211:212]
	v_add_f64 v[69:70], v[69:70], -v[193:194]
	v_fma_f64 v[215:216], v[217:218], v[213:214], v[215:216]
	v_add_f64 v[71:72], v[71:72], -v[215:216]
	ds_read2_b64 v[215:218], v253 offset0:80 offset1:81
	s_waitcnt lgkmcnt(0)
	v_mul_f64 v[193:194], v[217:218], v[211:212]
	v_fma_f64 v[193:194], v[215:216], v[213:214], -v[193:194]
	v_mul_f64 v[215:216], v[215:216], v[211:212]
	v_add_f64 v[65:66], v[65:66], -v[193:194]
	v_fma_f64 v[215:216], v[217:218], v[213:214], v[215:216]
	v_add_f64 v[67:68], v[67:68], -v[215:216]
	ds_read2_b64 v[215:218], v253 offset0:82 offset1:83
	s_waitcnt lgkmcnt(0)
	v_mul_f64 v[193:194], v[217:218], v[211:212]
	v_fma_f64 v[193:194], v[215:216], v[213:214], -v[193:194]
	v_mul_f64 v[215:216], v[215:216], v[211:212]
	v_add_f64 v[61:62], v[61:62], -v[193:194]
	v_fma_f64 v[215:216], v[217:218], v[213:214], v[215:216]
	v_add_f64 v[63:64], v[63:64], -v[215:216]
	ds_read2_b64 v[215:218], v253 offset0:84 offset1:85
	s_waitcnt lgkmcnt(0)
	v_mul_f64 v[193:194], v[217:218], v[211:212]
	v_fma_f64 v[193:194], v[215:216], v[213:214], -v[193:194]
	v_mul_f64 v[215:216], v[215:216], v[211:212]
	v_add_f64 v[57:58], v[57:58], -v[193:194]
	v_fma_f64 v[215:216], v[217:218], v[213:214], v[215:216]
	v_add_f64 v[59:60], v[59:60], -v[215:216]
	ds_read2_b64 v[215:218], v253 offset0:86 offset1:87
	s_waitcnt lgkmcnt(0)
	v_mul_f64 v[193:194], v[217:218], v[211:212]
	v_fma_f64 v[193:194], v[215:216], v[213:214], -v[193:194]
	v_mul_f64 v[215:216], v[215:216], v[211:212]
	v_add_f64 v[53:54], v[53:54], -v[193:194]
	v_fma_f64 v[215:216], v[217:218], v[213:214], v[215:216]
	v_add_f64 v[55:56], v[55:56], -v[215:216]
	ds_read2_b64 v[215:218], v253 offset0:88 offset1:89
	s_waitcnt lgkmcnt(0)
	v_mul_f64 v[193:194], v[217:218], v[211:212]
	v_fma_f64 v[193:194], v[215:216], v[213:214], -v[193:194]
	v_mul_f64 v[215:216], v[215:216], v[211:212]
	v_add_f64 v[49:50], v[49:50], -v[193:194]
	v_fma_f64 v[215:216], v[217:218], v[213:214], v[215:216]
	v_add_f64 v[51:52], v[51:52], -v[215:216]
	ds_read2_b64 v[215:218], v253 offset0:90 offset1:91
	s_waitcnt lgkmcnt(0)
	v_mul_f64 v[193:194], v[217:218], v[211:212]
	v_fma_f64 v[193:194], v[215:216], v[213:214], -v[193:194]
	v_mul_f64 v[215:216], v[215:216], v[211:212]
	v_add_f64 v[45:46], v[45:46], -v[193:194]
	v_fma_f64 v[215:216], v[217:218], v[213:214], v[215:216]
	v_add_f64 v[47:48], v[47:48], -v[215:216]
	ds_read2_b64 v[215:218], v253 offset0:92 offset1:93
	s_waitcnt lgkmcnt(0)
	v_mul_f64 v[193:194], v[217:218], v[211:212]
	v_fma_f64 v[193:194], v[215:216], v[213:214], -v[193:194]
	v_mul_f64 v[215:216], v[215:216], v[211:212]
	v_add_f64 v[41:42], v[41:42], -v[193:194]
	v_fma_f64 v[215:216], v[217:218], v[213:214], v[215:216]
	v_add_f64 v[43:44], v[43:44], -v[215:216]
	ds_read2_b64 v[215:218], v253 offset0:94 offset1:95
	s_waitcnt lgkmcnt(0)
	v_mul_f64 v[193:194], v[217:218], v[211:212]
	v_fma_f64 v[193:194], v[215:216], v[213:214], -v[193:194]
	v_mul_f64 v[215:216], v[215:216], v[211:212]
	v_add_f64 v[37:38], v[37:38], -v[193:194]
	v_fma_f64 v[215:216], v[217:218], v[213:214], v[215:216]
	v_add_f64 v[39:40], v[39:40], -v[215:216]
	ds_read2_b64 v[215:218], v253 offset0:96 offset1:97
	s_waitcnt lgkmcnt(0)
	v_mul_f64 v[193:194], v[217:218], v[211:212]
	v_fma_f64 v[193:194], v[215:216], v[213:214], -v[193:194]
	v_mul_f64 v[215:216], v[215:216], v[211:212]
	v_add_f64 v[33:34], v[33:34], -v[193:194]
	v_fma_f64 v[215:216], v[217:218], v[213:214], v[215:216]
	v_add_f64 v[35:36], v[35:36], -v[215:216]
	ds_read2_b64 v[215:218], v253 offset0:98 offset1:99
	s_waitcnt lgkmcnt(0)
	v_mul_f64 v[193:194], v[217:218], v[211:212]
	v_fma_f64 v[193:194], v[215:216], v[213:214], -v[193:194]
	v_mul_f64 v[215:216], v[215:216], v[211:212]
	v_add_f64 v[29:30], v[29:30], -v[193:194]
	v_fma_f64 v[215:216], v[217:218], v[213:214], v[215:216]
	v_add_f64 v[31:32], v[31:32], -v[215:216]
	ds_read2_b64 v[215:218], v253 offset0:100 offset1:101
	s_waitcnt lgkmcnt(0)
	v_mul_f64 v[193:194], v[217:218], v[211:212]
	v_fma_f64 v[193:194], v[215:216], v[213:214], -v[193:194]
	v_mul_f64 v[215:216], v[215:216], v[211:212]
	v_add_f64 v[25:26], v[25:26], -v[193:194]
	v_fma_f64 v[215:216], v[217:218], v[213:214], v[215:216]
	v_add_f64 v[27:28], v[27:28], -v[215:216]
	ds_read2_b64 v[215:218], v253 offset0:102 offset1:103
	s_waitcnt lgkmcnt(0)
	v_mul_f64 v[193:194], v[217:218], v[211:212]
	v_fma_f64 v[193:194], v[215:216], v[213:214], -v[193:194]
	v_mul_f64 v[215:216], v[215:216], v[211:212]
	v_add_f64 v[21:22], v[21:22], -v[193:194]
	v_fma_f64 v[215:216], v[217:218], v[213:214], v[215:216]
	v_add_f64 v[23:24], v[23:24], -v[215:216]
	ds_read2_b64 v[215:218], v253 offset0:104 offset1:105
	s_waitcnt lgkmcnt(0)
	v_mul_f64 v[193:194], v[217:218], v[211:212]
	v_fma_f64 v[193:194], v[215:216], v[213:214], -v[193:194]
	v_mul_f64 v[215:216], v[215:216], v[211:212]
	v_add_f64 v[17:18], v[17:18], -v[193:194]
	v_fma_f64 v[215:216], v[217:218], v[213:214], v[215:216]
	v_add_f64 v[19:20], v[19:20], -v[215:216]
	ds_read2_b64 v[215:218], v253 offset0:106 offset1:107
	s_waitcnt lgkmcnt(0)
	v_mul_f64 v[193:194], v[217:218], v[211:212]
	v_fma_f64 v[193:194], v[215:216], v[213:214], -v[193:194]
	v_mul_f64 v[215:216], v[215:216], v[211:212]
	v_add_f64 v[13:14], v[13:14], -v[193:194]
	v_fma_f64 v[215:216], v[217:218], v[213:214], v[215:216]
	v_add_f64 v[15:16], v[15:16], -v[215:216]
	ds_read2_b64 v[215:218], v253 offset0:108 offset1:109
	s_waitcnt lgkmcnt(0)
	v_mul_f64 v[193:194], v[217:218], v[211:212]
	v_fma_f64 v[193:194], v[215:216], v[213:214], -v[193:194]
	v_mul_f64 v[215:216], v[215:216], v[211:212]
	v_add_f64 v[9:10], v[9:10], -v[193:194]
	v_fma_f64 v[215:216], v[217:218], v[213:214], v[215:216]
	v_add_f64 v[11:12], v[11:12], -v[215:216]
	ds_read2_b64 v[215:218], v253 offset0:110 offset1:111
	s_waitcnt lgkmcnt(0)
	v_mul_f64 v[193:194], v[217:218], v[211:212]
	v_fma_f64 v[193:194], v[215:216], v[213:214], -v[193:194]
	v_mul_f64 v[215:216], v[215:216], v[211:212]
	v_add_f64 v[5:6], v[5:6], -v[193:194]
	v_fma_f64 v[215:216], v[217:218], v[213:214], v[215:216]
	v_add_f64 v[7:8], v[7:8], -v[215:216]
	ds_read2_b64 v[215:218], v253 offset0:112 offset1:113
	s_waitcnt lgkmcnt(0)
	v_mul_f64 v[193:194], v[217:218], v[211:212]
	v_fma_f64 v[193:194], v[215:216], v[213:214], -v[193:194]
	v_mul_f64 v[215:216], v[215:216], v[211:212]
	v_add_f64 v[1:2], v[1:2], -v[193:194]
	v_fma_f64 v[215:216], v[217:218], v[213:214], v[215:216]
	v_add_f64 v[3:4], v[3:4], -v[215:216]
.LBB113_82:
	s_or_b32 exec_lo, exec_lo, s1
	s_mov_b32 s2, exec_lo
	s_waitcnt lgkmcnt(0)
	s_barrier
	buffer_gl0_inv
	v_cmpx_eq_u32_e32 9, v0
	s_cbranch_execz .LBB113_89
; %bb.83:
	ds_write2_b64 v255, v[189:190], v[191:192] offset1:1
	ds_write2_b64 v253, v[185:186], v[187:188] offset0:20 offset1:21
	ds_write2_b64 v253, v[181:182], v[183:184] offset0:22 offset1:23
	;; [unrolled: 1-line block ×47, first 2 shown]
	ds_read2_b64 v[213:216], v255 offset1:1
	s_waitcnt lgkmcnt(0)
	v_cmp_neq_f64_e32 vcc_lo, 0, v[213:214]
	v_cmp_neq_f64_e64 s1, 0, v[215:216]
	s_or_b32 s1, vcc_lo, s1
	s_and_b32 exec_lo, exec_lo, s1
	s_cbranch_execz .LBB113_89
; %bb.84:
	v_cmp_ngt_f64_e64 s1, |v[213:214]|, |v[215:216]|
                                        ; implicit-def: $vgpr217_vgpr218
	s_and_saveexec_b32 s3, s1
	s_xor_b32 s1, exec_lo, s3
                                        ; implicit-def: $vgpr219_vgpr220
	s_cbranch_execz .LBB113_86
; %bb.85:
	v_div_scale_f64 v[217:218], null, v[215:216], v[215:216], v[213:214]
	v_div_scale_f64 v[223:224], vcc_lo, v[213:214], v[215:216], v[213:214]
	v_rcp_f64_e32 v[219:220], v[217:218]
	v_fma_f64 v[221:222], -v[217:218], v[219:220], 1.0
	v_fma_f64 v[219:220], v[219:220], v[221:222], v[219:220]
	v_fma_f64 v[221:222], -v[217:218], v[219:220], 1.0
	v_fma_f64 v[219:220], v[219:220], v[221:222], v[219:220]
	v_mul_f64 v[221:222], v[223:224], v[219:220]
	v_fma_f64 v[217:218], -v[217:218], v[221:222], v[223:224]
	v_div_fmas_f64 v[217:218], v[217:218], v[219:220], v[221:222]
	v_div_fixup_f64 v[217:218], v[217:218], v[215:216], v[213:214]
	v_fma_f64 v[213:214], v[213:214], v[217:218], v[215:216]
	v_div_scale_f64 v[215:216], null, v[213:214], v[213:214], 1.0
	v_rcp_f64_e32 v[219:220], v[215:216]
	v_fma_f64 v[221:222], -v[215:216], v[219:220], 1.0
	v_fma_f64 v[219:220], v[219:220], v[221:222], v[219:220]
	v_fma_f64 v[221:222], -v[215:216], v[219:220], 1.0
	v_fma_f64 v[219:220], v[219:220], v[221:222], v[219:220]
	v_div_scale_f64 v[221:222], vcc_lo, 1.0, v[213:214], 1.0
	v_mul_f64 v[223:224], v[221:222], v[219:220]
	v_fma_f64 v[215:216], -v[215:216], v[223:224], v[221:222]
	v_div_fmas_f64 v[215:216], v[215:216], v[219:220], v[223:224]
	v_div_fixup_f64 v[219:220], v[215:216], v[213:214], 1.0
                                        ; implicit-def: $vgpr213_vgpr214
	v_mul_f64 v[217:218], v[217:218], v[219:220]
	v_xor_b32_e32 v220, 0x80000000, v220
.LBB113_86:
	s_andn2_saveexec_b32 s1, s1
	s_cbranch_execz .LBB113_88
; %bb.87:
	v_div_scale_f64 v[217:218], null, v[213:214], v[213:214], v[215:216]
	v_div_scale_f64 v[223:224], vcc_lo, v[215:216], v[213:214], v[215:216]
	v_rcp_f64_e32 v[219:220], v[217:218]
	v_fma_f64 v[221:222], -v[217:218], v[219:220], 1.0
	v_fma_f64 v[219:220], v[219:220], v[221:222], v[219:220]
	v_fma_f64 v[221:222], -v[217:218], v[219:220], 1.0
	v_fma_f64 v[219:220], v[219:220], v[221:222], v[219:220]
	v_mul_f64 v[221:222], v[223:224], v[219:220]
	v_fma_f64 v[217:218], -v[217:218], v[221:222], v[223:224]
	v_div_fmas_f64 v[217:218], v[217:218], v[219:220], v[221:222]
	v_div_fixup_f64 v[219:220], v[217:218], v[213:214], v[215:216]
	v_fma_f64 v[213:214], v[215:216], v[219:220], v[213:214]
	v_div_scale_f64 v[215:216], null, v[213:214], v[213:214], 1.0
	v_rcp_f64_e32 v[217:218], v[215:216]
	v_fma_f64 v[221:222], -v[215:216], v[217:218], 1.0
	v_fma_f64 v[217:218], v[217:218], v[221:222], v[217:218]
	v_fma_f64 v[221:222], -v[215:216], v[217:218], 1.0
	v_fma_f64 v[217:218], v[217:218], v[221:222], v[217:218]
	v_div_scale_f64 v[221:222], vcc_lo, 1.0, v[213:214], 1.0
	v_mul_f64 v[223:224], v[221:222], v[217:218]
	v_fma_f64 v[215:216], -v[215:216], v[223:224], v[221:222]
	v_div_fmas_f64 v[215:216], v[215:216], v[217:218], v[223:224]
	v_div_fixup_f64 v[217:218], v[215:216], v[213:214], 1.0
	v_mul_f64 v[219:220], v[219:220], -v[217:218]
.LBB113_88:
	s_or_b32 exec_lo, exec_lo, s1
	ds_write2_b64 v255, v[217:218], v[219:220] offset1:1
.LBB113_89:
	s_or_b32 exec_lo, exec_lo, s2
	s_waitcnt lgkmcnt(0)
	s_barrier
	buffer_gl0_inv
	ds_read2_b64 v[193:196], v255 offset1:1
	s_mov_b32 s1, exec_lo
	s_waitcnt lgkmcnt(0)
	buffer_store_dword v193, off, s[16:19], 0 offset:608 ; 4-byte Folded Spill
	buffer_store_dword v194, off, s[16:19], 0 offset:612 ; 4-byte Folded Spill
	buffer_store_dword v195, off, s[16:19], 0 offset:616 ; 4-byte Folded Spill
	buffer_store_dword v196, off, s[16:19], 0 offset:620 ; 4-byte Folded Spill
	v_cmpx_lt_u32_e32 9, v0
	s_cbranch_execz .LBB113_91
; %bb.90:
	s_clause 0x3
	buffer_load_dword v193, off, s[16:19], 0 offset:608
	buffer_load_dword v194, off, s[16:19], 0 offset:612
	;; [unrolled: 1-line block ×4, first 2 shown]
	ds_read2_b64 v[215:218], v253 offset0:20 offset1:21
	s_waitcnt vmcnt(0)
	v_mul_f64 v[213:214], v[195:196], v[191:192]
	v_mul_f64 v[191:192], v[193:194], v[191:192]
	v_fma_f64 v[213:214], v[193:194], v[189:190], -v[213:214]
	v_fma_f64 v[191:192], v[195:196], v[189:190], v[191:192]
	s_waitcnt lgkmcnt(0)
	v_mul_f64 v[189:190], v[217:218], v[191:192]
	v_fma_f64 v[189:190], v[215:216], v[213:214], -v[189:190]
	v_mul_f64 v[215:216], v[215:216], v[191:192]
	v_add_f64 v[185:186], v[185:186], -v[189:190]
	v_fma_f64 v[215:216], v[217:218], v[213:214], v[215:216]
	v_add_f64 v[187:188], v[187:188], -v[215:216]
	ds_read2_b64 v[215:218], v253 offset0:22 offset1:23
	s_waitcnt lgkmcnt(0)
	v_mul_f64 v[189:190], v[217:218], v[191:192]
	v_fma_f64 v[189:190], v[215:216], v[213:214], -v[189:190]
	v_mul_f64 v[215:216], v[215:216], v[191:192]
	v_add_f64 v[181:182], v[181:182], -v[189:190]
	v_fma_f64 v[215:216], v[217:218], v[213:214], v[215:216]
	v_add_f64 v[183:184], v[183:184], -v[215:216]
	ds_read2_b64 v[215:218], v253 offset0:24 offset1:25
	s_waitcnt lgkmcnt(0)
	v_mul_f64 v[189:190], v[217:218], v[191:192]
	v_fma_f64 v[189:190], v[215:216], v[213:214], -v[189:190]
	v_mul_f64 v[215:216], v[215:216], v[191:192]
	v_add_f64 v[177:178], v[177:178], -v[189:190]
	v_fma_f64 v[215:216], v[217:218], v[213:214], v[215:216]
	v_add_f64 v[179:180], v[179:180], -v[215:216]
	ds_read2_b64 v[215:218], v253 offset0:26 offset1:27
	s_waitcnt lgkmcnt(0)
	v_mul_f64 v[189:190], v[217:218], v[191:192]
	v_fma_f64 v[189:190], v[215:216], v[213:214], -v[189:190]
	v_mul_f64 v[215:216], v[215:216], v[191:192]
	v_add_f64 v[173:174], v[173:174], -v[189:190]
	v_fma_f64 v[215:216], v[217:218], v[213:214], v[215:216]
	v_add_f64 v[175:176], v[175:176], -v[215:216]
	ds_read2_b64 v[215:218], v253 offset0:28 offset1:29
	s_waitcnt lgkmcnt(0)
	v_mul_f64 v[189:190], v[217:218], v[191:192]
	v_fma_f64 v[189:190], v[215:216], v[213:214], -v[189:190]
	v_mul_f64 v[215:216], v[215:216], v[191:192]
	v_add_f64 v[169:170], v[169:170], -v[189:190]
	v_fma_f64 v[215:216], v[217:218], v[213:214], v[215:216]
	v_add_f64 v[171:172], v[171:172], -v[215:216]
	ds_read2_b64 v[215:218], v253 offset0:30 offset1:31
	s_waitcnt lgkmcnt(0)
	v_mul_f64 v[189:190], v[217:218], v[191:192]
	v_fma_f64 v[189:190], v[215:216], v[213:214], -v[189:190]
	v_mul_f64 v[215:216], v[215:216], v[191:192]
	v_add_f64 v[165:166], v[165:166], -v[189:190]
	v_fma_f64 v[215:216], v[217:218], v[213:214], v[215:216]
	v_add_f64 v[167:168], v[167:168], -v[215:216]
	ds_read2_b64 v[215:218], v253 offset0:32 offset1:33
	s_waitcnt lgkmcnt(0)
	v_mul_f64 v[189:190], v[217:218], v[191:192]
	v_fma_f64 v[189:190], v[215:216], v[213:214], -v[189:190]
	v_mul_f64 v[215:216], v[215:216], v[191:192]
	v_add_f64 v[161:162], v[161:162], -v[189:190]
	v_fma_f64 v[215:216], v[217:218], v[213:214], v[215:216]
	v_add_f64 v[163:164], v[163:164], -v[215:216]
	ds_read2_b64 v[215:218], v253 offset0:34 offset1:35
	s_waitcnt lgkmcnt(0)
	v_mul_f64 v[189:190], v[217:218], v[191:192]
	v_fma_f64 v[189:190], v[215:216], v[213:214], -v[189:190]
	v_mul_f64 v[215:216], v[215:216], v[191:192]
	v_add_f64 v[157:158], v[157:158], -v[189:190]
	v_fma_f64 v[215:216], v[217:218], v[213:214], v[215:216]
	v_add_f64 v[159:160], v[159:160], -v[215:216]
	ds_read2_b64 v[215:218], v253 offset0:36 offset1:37
	s_waitcnt lgkmcnt(0)
	v_mul_f64 v[189:190], v[217:218], v[191:192]
	v_fma_f64 v[189:190], v[215:216], v[213:214], -v[189:190]
	v_mul_f64 v[215:216], v[215:216], v[191:192]
	v_add_f64 v[153:154], v[153:154], -v[189:190]
	v_fma_f64 v[215:216], v[217:218], v[213:214], v[215:216]
	v_add_f64 v[155:156], v[155:156], -v[215:216]
	ds_read2_b64 v[215:218], v253 offset0:38 offset1:39
	s_waitcnt lgkmcnt(0)
	v_mul_f64 v[189:190], v[217:218], v[191:192]
	v_fma_f64 v[189:190], v[215:216], v[213:214], -v[189:190]
	v_mul_f64 v[215:216], v[215:216], v[191:192]
	v_add_f64 v[149:150], v[149:150], -v[189:190]
	v_fma_f64 v[215:216], v[217:218], v[213:214], v[215:216]
	v_add_f64 v[151:152], v[151:152], -v[215:216]
	ds_read2_b64 v[215:218], v253 offset0:40 offset1:41
	s_waitcnt lgkmcnt(0)
	v_mul_f64 v[189:190], v[217:218], v[191:192]
	v_fma_f64 v[189:190], v[215:216], v[213:214], -v[189:190]
	v_mul_f64 v[215:216], v[215:216], v[191:192]
	v_add_f64 v[145:146], v[145:146], -v[189:190]
	v_fma_f64 v[215:216], v[217:218], v[213:214], v[215:216]
	v_add_f64 v[147:148], v[147:148], -v[215:216]
	ds_read2_b64 v[215:218], v253 offset0:42 offset1:43
	s_waitcnt lgkmcnt(0)
	v_mul_f64 v[189:190], v[217:218], v[191:192]
	v_fma_f64 v[189:190], v[215:216], v[213:214], -v[189:190]
	v_mul_f64 v[215:216], v[215:216], v[191:192]
	v_add_f64 v[141:142], v[141:142], -v[189:190]
	v_fma_f64 v[215:216], v[217:218], v[213:214], v[215:216]
	v_add_f64 v[143:144], v[143:144], -v[215:216]
	ds_read2_b64 v[215:218], v253 offset0:44 offset1:45
	s_waitcnt lgkmcnt(0)
	v_mul_f64 v[189:190], v[217:218], v[191:192]
	v_fma_f64 v[189:190], v[215:216], v[213:214], -v[189:190]
	v_mul_f64 v[215:216], v[215:216], v[191:192]
	v_add_f64 v[137:138], v[137:138], -v[189:190]
	v_fma_f64 v[215:216], v[217:218], v[213:214], v[215:216]
	v_add_f64 v[139:140], v[139:140], -v[215:216]
	ds_read2_b64 v[215:218], v253 offset0:46 offset1:47
	s_waitcnt lgkmcnt(0)
	v_mul_f64 v[189:190], v[217:218], v[191:192]
	v_fma_f64 v[189:190], v[215:216], v[213:214], -v[189:190]
	v_mul_f64 v[215:216], v[215:216], v[191:192]
	v_add_f64 v[133:134], v[133:134], -v[189:190]
	v_fma_f64 v[215:216], v[217:218], v[213:214], v[215:216]
	v_add_f64 v[135:136], v[135:136], -v[215:216]
	ds_read2_b64 v[215:218], v253 offset0:48 offset1:49
	s_waitcnt lgkmcnt(0)
	v_mul_f64 v[189:190], v[217:218], v[191:192]
	v_fma_f64 v[189:190], v[215:216], v[213:214], -v[189:190]
	v_mul_f64 v[215:216], v[215:216], v[191:192]
	v_add_f64 v[129:130], v[129:130], -v[189:190]
	v_fma_f64 v[215:216], v[217:218], v[213:214], v[215:216]
	v_add_f64 v[131:132], v[131:132], -v[215:216]
	ds_read2_b64 v[215:218], v253 offset0:50 offset1:51
	s_waitcnt lgkmcnt(0)
	v_mul_f64 v[189:190], v[217:218], v[191:192]
	v_fma_f64 v[189:190], v[215:216], v[213:214], -v[189:190]
	v_mul_f64 v[215:216], v[215:216], v[191:192]
	v_add_f64 v[125:126], v[125:126], -v[189:190]
	v_fma_f64 v[215:216], v[217:218], v[213:214], v[215:216]
	v_add_f64 v[127:128], v[127:128], -v[215:216]
	ds_read2_b64 v[215:218], v253 offset0:52 offset1:53
	s_waitcnt lgkmcnt(0)
	v_mul_f64 v[189:190], v[217:218], v[191:192]
	v_fma_f64 v[189:190], v[215:216], v[213:214], -v[189:190]
	v_mul_f64 v[215:216], v[215:216], v[191:192]
	v_add_f64 v[121:122], v[121:122], -v[189:190]
	v_fma_f64 v[215:216], v[217:218], v[213:214], v[215:216]
	v_add_f64 v[123:124], v[123:124], -v[215:216]
	ds_read2_b64 v[215:218], v253 offset0:54 offset1:55
	s_waitcnt lgkmcnt(0)
	v_mul_f64 v[189:190], v[217:218], v[191:192]
	v_fma_f64 v[189:190], v[215:216], v[213:214], -v[189:190]
	v_mul_f64 v[215:216], v[215:216], v[191:192]
	v_add_f64 v[117:118], v[117:118], -v[189:190]
	v_fma_f64 v[215:216], v[217:218], v[213:214], v[215:216]
	v_add_f64 v[119:120], v[119:120], -v[215:216]
	ds_read2_b64 v[215:218], v253 offset0:56 offset1:57
	s_waitcnt lgkmcnt(0)
	v_mul_f64 v[189:190], v[217:218], v[191:192]
	v_fma_f64 v[189:190], v[215:216], v[213:214], -v[189:190]
	v_mul_f64 v[215:216], v[215:216], v[191:192]
	v_add_f64 v[113:114], v[113:114], -v[189:190]
	v_fma_f64 v[215:216], v[217:218], v[213:214], v[215:216]
	v_add_f64 v[115:116], v[115:116], -v[215:216]
	ds_read2_b64 v[215:218], v253 offset0:58 offset1:59
	s_waitcnt lgkmcnt(0)
	v_mul_f64 v[189:190], v[217:218], v[191:192]
	v_fma_f64 v[189:190], v[215:216], v[213:214], -v[189:190]
	v_mul_f64 v[215:216], v[215:216], v[191:192]
	v_add_f64 v[109:110], v[109:110], -v[189:190]
	v_fma_f64 v[215:216], v[217:218], v[213:214], v[215:216]
	v_add_f64 v[111:112], v[111:112], -v[215:216]
	ds_read2_b64 v[215:218], v253 offset0:60 offset1:61
	s_waitcnt lgkmcnt(0)
	v_mul_f64 v[189:190], v[217:218], v[191:192]
	v_fma_f64 v[189:190], v[215:216], v[213:214], -v[189:190]
	v_mul_f64 v[215:216], v[215:216], v[191:192]
	v_add_f64 v[105:106], v[105:106], -v[189:190]
	v_fma_f64 v[215:216], v[217:218], v[213:214], v[215:216]
	v_add_f64 v[107:108], v[107:108], -v[215:216]
	ds_read2_b64 v[215:218], v253 offset0:62 offset1:63
	s_waitcnt lgkmcnt(0)
	v_mul_f64 v[189:190], v[217:218], v[191:192]
	v_fma_f64 v[189:190], v[215:216], v[213:214], -v[189:190]
	v_mul_f64 v[215:216], v[215:216], v[191:192]
	v_add_f64 v[101:102], v[101:102], -v[189:190]
	v_fma_f64 v[215:216], v[217:218], v[213:214], v[215:216]
	v_add_f64 v[103:104], v[103:104], -v[215:216]
	ds_read2_b64 v[215:218], v253 offset0:64 offset1:65
	s_waitcnt lgkmcnt(0)
	v_mul_f64 v[189:190], v[217:218], v[191:192]
	v_fma_f64 v[189:190], v[215:216], v[213:214], -v[189:190]
	v_mul_f64 v[215:216], v[215:216], v[191:192]
	v_add_f64 v[97:98], v[97:98], -v[189:190]
	v_fma_f64 v[215:216], v[217:218], v[213:214], v[215:216]
	v_add_f64 v[99:100], v[99:100], -v[215:216]
	ds_read2_b64 v[215:218], v253 offset0:66 offset1:67
	s_waitcnt lgkmcnt(0)
	v_mul_f64 v[189:190], v[217:218], v[191:192]
	v_fma_f64 v[189:190], v[215:216], v[213:214], -v[189:190]
	v_mul_f64 v[215:216], v[215:216], v[191:192]
	v_add_f64 v[93:94], v[93:94], -v[189:190]
	v_fma_f64 v[215:216], v[217:218], v[213:214], v[215:216]
	v_add_f64 v[95:96], v[95:96], -v[215:216]
	ds_read2_b64 v[215:218], v253 offset0:68 offset1:69
	s_waitcnt lgkmcnt(0)
	v_mul_f64 v[189:190], v[217:218], v[191:192]
	v_fma_f64 v[189:190], v[215:216], v[213:214], -v[189:190]
	v_mul_f64 v[215:216], v[215:216], v[191:192]
	v_add_f64 v[89:90], v[89:90], -v[189:190]
	v_fma_f64 v[215:216], v[217:218], v[213:214], v[215:216]
	v_add_f64 v[91:92], v[91:92], -v[215:216]
	ds_read2_b64 v[215:218], v253 offset0:70 offset1:71
	s_waitcnt lgkmcnt(0)
	v_mul_f64 v[189:190], v[217:218], v[191:192]
	v_fma_f64 v[189:190], v[215:216], v[213:214], -v[189:190]
	v_mul_f64 v[215:216], v[215:216], v[191:192]
	v_add_f64 v[85:86], v[85:86], -v[189:190]
	v_fma_f64 v[215:216], v[217:218], v[213:214], v[215:216]
	v_add_f64 v[87:88], v[87:88], -v[215:216]
	ds_read2_b64 v[215:218], v253 offset0:72 offset1:73
	s_waitcnt lgkmcnt(0)
	v_mul_f64 v[189:190], v[217:218], v[191:192]
	v_fma_f64 v[189:190], v[215:216], v[213:214], -v[189:190]
	v_mul_f64 v[215:216], v[215:216], v[191:192]
	v_add_f64 v[81:82], v[81:82], -v[189:190]
	v_fma_f64 v[215:216], v[217:218], v[213:214], v[215:216]
	v_add_f64 v[83:84], v[83:84], -v[215:216]
	ds_read2_b64 v[215:218], v253 offset0:74 offset1:75
	s_waitcnt lgkmcnt(0)
	v_mul_f64 v[189:190], v[217:218], v[191:192]
	v_fma_f64 v[189:190], v[215:216], v[213:214], -v[189:190]
	v_mul_f64 v[215:216], v[215:216], v[191:192]
	v_add_f64 v[77:78], v[77:78], -v[189:190]
	v_fma_f64 v[215:216], v[217:218], v[213:214], v[215:216]
	v_add_f64 v[79:80], v[79:80], -v[215:216]
	ds_read2_b64 v[215:218], v253 offset0:76 offset1:77
	s_waitcnt lgkmcnt(0)
	v_mul_f64 v[189:190], v[217:218], v[191:192]
	v_fma_f64 v[189:190], v[215:216], v[213:214], -v[189:190]
	v_mul_f64 v[215:216], v[215:216], v[191:192]
	v_add_f64 v[73:74], v[73:74], -v[189:190]
	v_fma_f64 v[215:216], v[217:218], v[213:214], v[215:216]
	v_add_f64 v[75:76], v[75:76], -v[215:216]
	ds_read2_b64 v[215:218], v253 offset0:78 offset1:79
	s_waitcnt lgkmcnt(0)
	v_mul_f64 v[189:190], v[217:218], v[191:192]
	v_fma_f64 v[189:190], v[215:216], v[213:214], -v[189:190]
	v_mul_f64 v[215:216], v[215:216], v[191:192]
	v_add_f64 v[69:70], v[69:70], -v[189:190]
	v_fma_f64 v[215:216], v[217:218], v[213:214], v[215:216]
	v_add_f64 v[71:72], v[71:72], -v[215:216]
	ds_read2_b64 v[215:218], v253 offset0:80 offset1:81
	s_waitcnt lgkmcnt(0)
	v_mul_f64 v[189:190], v[217:218], v[191:192]
	v_fma_f64 v[189:190], v[215:216], v[213:214], -v[189:190]
	v_mul_f64 v[215:216], v[215:216], v[191:192]
	v_add_f64 v[65:66], v[65:66], -v[189:190]
	v_fma_f64 v[215:216], v[217:218], v[213:214], v[215:216]
	v_add_f64 v[67:68], v[67:68], -v[215:216]
	ds_read2_b64 v[215:218], v253 offset0:82 offset1:83
	s_waitcnt lgkmcnt(0)
	v_mul_f64 v[189:190], v[217:218], v[191:192]
	v_fma_f64 v[189:190], v[215:216], v[213:214], -v[189:190]
	v_mul_f64 v[215:216], v[215:216], v[191:192]
	v_add_f64 v[61:62], v[61:62], -v[189:190]
	v_fma_f64 v[215:216], v[217:218], v[213:214], v[215:216]
	v_add_f64 v[63:64], v[63:64], -v[215:216]
	ds_read2_b64 v[215:218], v253 offset0:84 offset1:85
	s_waitcnt lgkmcnt(0)
	v_mul_f64 v[189:190], v[217:218], v[191:192]
	v_fma_f64 v[189:190], v[215:216], v[213:214], -v[189:190]
	v_mul_f64 v[215:216], v[215:216], v[191:192]
	v_add_f64 v[57:58], v[57:58], -v[189:190]
	v_fma_f64 v[215:216], v[217:218], v[213:214], v[215:216]
	v_add_f64 v[59:60], v[59:60], -v[215:216]
	ds_read2_b64 v[215:218], v253 offset0:86 offset1:87
	s_waitcnt lgkmcnt(0)
	v_mul_f64 v[189:190], v[217:218], v[191:192]
	v_fma_f64 v[189:190], v[215:216], v[213:214], -v[189:190]
	v_mul_f64 v[215:216], v[215:216], v[191:192]
	v_add_f64 v[53:54], v[53:54], -v[189:190]
	v_fma_f64 v[215:216], v[217:218], v[213:214], v[215:216]
	v_add_f64 v[55:56], v[55:56], -v[215:216]
	ds_read2_b64 v[215:218], v253 offset0:88 offset1:89
	s_waitcnt lgkmcnt(0)
	v_mul_f64 v[189:190], v[217:218], v[191:192]
	v_fma_f64 v[189:190], v[215:216], v[213:214], -v[189:190]
	v_mul_f64 v[215:216], v[215:216], v[191:192]
	v_add_f64 v[49:50], v[49:50], -v[189:190]
	v_fma_f64 v[215:216], v[217:218], v[213:214], v[215:216]
	v_add_f64 v[51:52], v[51:52], -v[215:216]
	ds_read2_b64 v[215:218], v253 offset0:90 offset1:91
	s_waitcnt lgkmcnt(0)
	v_mul_f64 v[189:190], v[217:218], v[191:192]
	v_fma_f64 v[189:190], v[215:216], v[213:214], -v[189:190]
	v_mul_f64 v[215:216], v[215:216], v[191:192]
	v_add_f64 v[45:46], v[45:46], -v[189:190]
	v_fma_f64 v[215:216], v[217:218], v[213:214], v[215:216]
	v_add_f64 v[47:48], v[47:48], -v[215:216]
	ds_read2_b64 v[215:218], v253 offset0:92 offset1:93
	s_waitcnt lgkmcnt(0)
	v_mul_f64 v[189:190], v[217:218], v[191:192]
	v_fma_f64 v[189:190], v[215:216], v[213:214], -v[189:190]
	v_mul_f64 v[215:216], v[215:216], v[191:192]
	v_add_f64 v[41:42], v[41:42], -v[189:190]
	v_fma_f64 v[215:216], v[217:218], v[213:214], v[215:216]
	v_add_f64 v[43:44], v[43:44], -v[215:216]
	ds_read2_b64 v[215:218], v253 offset0:94 offset1:95
	s_waitcnt lgkmcnt(0)
	v_mul_f64 v[189:190], v[217:218], v[191:192]
	v_fma_f64 v[189:190], v[215:216], v[213:214], -v[189:190]
	v_mul_f64 v[215:216], v[215:216], v[191:192]
	v_add_f64 v[37:38], v[37:38], -v[189:190]
	v_fma_f64 v[215:216], v[217:218], v[213:214], v[215:216]
	v_add_f64 v[39:40], v[39:40], -v[215:216]
	ds_read2_b64 v[215:218], v253 offset0:96 offset1:97
	s_waitcnt lgkmcnt(0)
	v_mul_f64 v[189:190], v[217:218], v[191:192]
	v_fma_f64 v[189:190], v[215:216], v[213:214], -v[189:190]
	v_mul_f64 v[215:216], v[215:216], v[191:192]
	v_add_f64 v[33:34], v[33:34], -v[189:190]
	v_fma_f64 v[215:216], v[217:218], v[213:214], v[215:216]
	v_add_f64 v[35:36], v[35:36], -v[215:216]
	ds_read2_b64 v[215:218], v253 offset0:98 offset1:99
	s_waitcnt lgkmcnt(0)
	v_mul_f64 v[189:190], v[217:218], v[191:192]
	v_fma_f64 v[189:190], v[215:216], v[213:214], -v[189:190]
	v_mul_f64 v[215:216], v[215:216], v[191:192]
	v_add_f64 v[29:30], v[29:30], -v[189:190]
	v_fma_f64 v[215:216], v[217:218], v[213:214], v[215:216]
	v_add_f64 v[31:32], v[31:32], -v[215:216]
	ds_read2_b64 v[215:218], v253 offset0:100 offset1:101
	s_waitcnt lgkmcnt(0)
	v_mul_f64 v[189:190], v[217:218], v[191:192]
	v_fma_f64 v[189:190], v[215:216], v[213:214], -v[189:190]
	v_mul_f64 v[215:216], v[215:216], v[191:192]
	v_add_f64 v[25:26], v[25:26], -v[189:190]
	v_fma_f64 v[215:216], v[217:218], v[213:214], v[215:216]
	v_add_f64 v[27:28], v[27:28], -v[215:216]
	ds_read2_b64 v[215:218], v253 offset0:102 offset1:103
	s_waitcnt lgkmcnt(0)
	v_mul_f64 v[189:190], v[217:218], v[191:192]
	v_fma_f64 v[189:190], v[215:216], v[213:214], -v[189:190]
	v_mul_f64 v[215:216], v[215:216], v[191:192]
	v_add_f64 v[21:22], v[21:22], -v[189:190]
	v_fma_f64 v[215:216], v[217:218], v[213:214], v[215:216]
	v_add_f64 v[23:24], v[23:24], -v[215:216]
	ds_read2_b64 v[215:218], v253 offset0:104 offset1:105
	s_waitcnt lgkmcnt(0)
	v_mul_f64 v[189:190], v[217:218], v[191:192]
	v_fma_f64 v[189:190], v[215:216], v[213:214], -v[189:190]
	v_mul_f64 v[215:216], v[215:216], v[191:192]
	v_add_f64 v[17:18], v[17:18], -v[189:190]
	v_fma_f64 v[215:216], v[217:218], v[213:214], v[215:216]
	v_add_f64 v[19:20], v[19:20], -v[215:216]
	ds_read2_b64 v[215:218], v253 offset0:106 offset1:107
	s_waitcnt lgkmcnt(0)
	v_mul_f64 v[189:190], v[217:218], v[191:192]
	v_fma_f64 v[189:190], v[215:216], v[213:214], -v[189:190]
	v_mul_f64 v[215:216], v[215:216], v[191:192]
	v_add_f64 v[13:14], v[13:14], -v[189:190]
	v_fma_f64 v[215:216], v[217:218], v[213:214], v[215:216]
	v_add_f64 v[15:16], v[15:16], -v[215:216]
	ds_read2_b64 v[215:218], v253 offset0:108 offset1:109
	s_waitcnt lgkmcnt(0)
	v_mul_f64 v[189:190], v[217:218], v[191:192]
	v_fma_f64 v[189:190], v[215:216], v[213:214], -v[189:190]
	v_mul_f64 v[215:216], v[215:216], v[191:192]
	v_add_f64 v[9:10], v[9:10], -v[189:190]
	v_fma_f64 v[215:216], v[217:218], v[213:214], v[215:216]
	v_add_f64 v[11:12], v[11:12], -v[215:216]
	ds_read2_b64 v[215:218], v253 offset0:110 offset1:111
	s_waitcnt lgkmcnt(0)
	v_mul_f64 v[189:190], v[217:218], v[191:192]
	v_fma_f64 v[189:190], v[215:216], v[213:214], -v[189:190]
	v_mul_f64 v[215:216], v[215:216], v[191:192]
	v_add_f64 v[5:6], v[5:6], -v[189:190]
	v_fma_f64 v[215:216], v[217:218], v[213:214], v[215:216]
	v_add_f64 v[7:8], v[7:8], -v[215:216]
	ds_read2_b64 v[215:218], v253 offset0:112 offset1:113
	s_waitcnt lgkmcnt(0)
	v_mul_f64 v[189:190], v[217:218], v[191:192]
	v_fma_f64 v[189:190], v[215:216], v[213:214], -v[189:190]
	v_mul_f64 v[215:216], v[215:216], v[191:192]
	v_add_f64 v[1:2], v[1:2], -v[189:190]
	v_fma_f64 v[215:216], v[217:218], v[213:214], v[215:216]
	v_mov_b32_e32 v189, v213
	v_mov_b32_e32 v190, v214
	v_add_f64 v[3:4], v[3:4], -v[215:216]
.LBB113_91:
	s_or_b32 exec_lo, exec_lo, s1
	s_mov_b32 s2, exec_lo
	s_waitcnt_vscnt null, 0x0
	s_barrier
	buffer_gl0_inv
	v_cmpx_eq_u32_e32 10, v0
	s_cbranch_execz .LBB113_98
; %bb.92:
	ds_write2_b64 v255, v[185:186], v[187:188] offset1:1
	ds_write2_b64 v253, v[181:182], v[183:184] offset0:22 offset1:23
	ds_write2_b64 v253, v[177:178], v[179:180] offset0:24 offset1:25
	;; [unrolled: 1-line block ×46, first 2 shown]
	ds_read2_b64 v[213:216], v255 offset1:1
	s_waitcnt lgkmcnt(0)
	v_cmp_neq_f64_e32 vcc_lo, 0, v[213:214]
	v_cmp_neq_f64_e64 s1, 0, v[215:216]
	s_or_b32 s1, vcc_lo, s1
	s_and_b32 exec_lo, exec_lo, s1
	s_cbranch_execz .LBB113_98
; %bb.93:
	v_cmp_ngt_f64_e64 s1, |v[213:214]|, |v[215:216]|
                                        ; implicit-def: $vgpr217_vgpr218
	s_and_saveexec_b32 s3, s1
	s_xor_b32 s1, exec_lo, s3
                                        ; implicit-def: $vgpr219_vgpr220
	s_cbranch_execz .LBB113_95
; %bb.94:
	v_div_scale_f64 v[217:218], null, v[215:216], v[215:216], v[213:214]
	v_div_scale_f64 v[223:224], vcc_lo, v[213:214], v[215:216], v[213:214]
	v_rcp_f64_e32 v[219:220], v[217:218]
	v_fma_f64 v[221:222], -v[217:218], v[219:220], 1.0
	v_fma_f64 v[219:220], v[219:220], v[221:222], v[219:220]
	v_fma_f64 v[221:222], -v[217:218], v[219:220], 1.0
	v_fma_f64 v[219:220], v[219:220], v[221:222], v[219:220]
	v_mul_f64 v[221:222], v[223:224], v[219:220]
	v_fma_f64 v[217:218], -v[217:218], v[221:222], v[223:224]
	v_div_fmas_f64 v[217:218], v[217:218], v[219:220], v[221:222]
	v_div_fixup_f64 v[217:218], v[217:218], v[215:216], v[213:214]
	v_fma_f64 v[213:214], v[213:214], v[217:218], v[215:216]
	v_div_scale_f64 v[215:216], null, v[213:214], v[213:214], 1.0
	v_rcp_f64_e32 v[219:220], v[215:216]
	v_fma_f64 v[221:222], -v[215:216], v[219:220], 1.0
	v_fma_f64 v[219:220], v[219:220], v[221:222], v[219:220]
	v_fma_f64 v[221:222], -v[215:216], v[219:220], 1.0
	v_fma_f64 v[219:220], v[219:220], v[221:222], v[219:220]
	v_div_scale_f64 v[221:222], vcc_lo, 1.0, v[213:214], 1.0
	v_mul_f64 v[223:224], v[221:222], v[219:220]
	v_fma_f64 v[215:216], -v[215:216], v[223:224], v[221:222]
	v_div_fmas_f64 v[215:216], v[215:216], v[219:220], v[223:224]
	v_div_fixup_f64 v[219:220], v[215:216], v[213:214], 1.0
                                        ; implicit-def: $vgpr213_vgpr214
	v_mul_f64 v[217:218], v[217:218], v[219:220]
	v_xor_b32_e32 v220, 0x80000000, v220
.LBB113_95:
	s_andn2_saveexec_b32 s1, s1
	s_cbranch_execz .LBB113_97
; %bb.96:
	v_div_scale_f64 v[217:218], null, v[213:214], v[213:214], v[215:216]
	v_div_scale_f64 v[223:224], vcc_lo, v[215:216], v[213:214], v[215:216]
	v_rcp_f64_e32 v[219:220], v[217:218]
	v_fma_f64 v[221:222], -v[217:218], v[219:220], 1.0
	v_fma_f64 v[219:220], v[219:220], v[221:222], v[219:220]
	v_fma_f64 v[221:222], -v[217:218], v[219:220], 1.0
	v_fma_f64 v[219:220], v[219:220], v[221:222], v[219:220]
	v_mul_f64 v[221:222], v[223:224], v[219:220]
	v_fma_f64 v[217:218], -v[217:218], v[221:222], v[223:224]
	v_div_fmas_f64 v[217:218], v[217:218], v[219:220], v[221:222]
	v_div_fixup_f64 v[219:220], v[217:218], v[213:214], v[215:216]
	v_fma_f64 v[213:214], v[215:216], v[219:220], v[213:214]
	v_div_scale_f64 v[215:216], null, v[213:214], v[213:214], 1.0
	v_rcp_f64_e32 v[217:218], v[215:216]
	v_fma_f64 v[221:222], -v[215:216], v[217:218], 1.0
	v_fma_f64 v[217:218], v[217:218], v[221:222], v[217:218]
	v_fma_f64 v[221:222], -v[215:216], v[217:218], 1.0
	v_fma_f64 v[217:218], v[217:218], v[221:222], v[217:218]
	v_div_scale_f64 v[221:222], vcc_lo, 1.0, v[213:214], 1.0
	v_mul_f64 v[223:224], v[221:222], v[217:218]
	v_fma_f64 v[215:216], -v[215:216], v[223:224], v[221:222]
	v_div_fmas_f64 v[215:216], v[215:216], v[217:218], v[223:224]
	v_div_fixup_f64 v[217:218], v[215:216], v[213:214], 1.0
	v_mul_f64 v[219:220], v[219:220], -v[217:218]
.LBB113_97:
	s_or_b32 exec_lo, exec_lo, s1
	ds_write2_b64 v255, v[217:218], v[219:220] offset1:1
.LBB113_98:
	s_or_b32 exec_lo, exec_lo, s2
	s_waitcnt lgkmcnt(0)
	s_barrier
	buffer_gl0_inv
	ds_read2_b64 v[193:196], v255 offset1:1
	s_mov_b32 s1, exec_lo
	s_waitcnt lgkmcnt(0)
	buffer_store_dword v193, off, s[16:19], 0 offset:624 ; 4-byte Folded Spill
	buffer_store_dword v194, off, s[16:19], 0 offset:628 ; 4-byte Folded Spill
	;; [unrolled: 1-line block ×4, first 2 shown]
	v_cmpx_lt_u32_e32 10, v0
	s_cbranch_execz .LBB113_100
; %bb.99:
	s_clause 0x3
	buffer_load_dword v193, off, s[16:19], 0 offset:624
	buffer_load_dword v194, off, s[16:19], 0 offset:628
	;; [unrolled: 1-line block ×4, first 2 shown]
	ds_read2_b64 v[215:218], v253 offset0:22 offset1:23
	s_waitcnt vmcnt(0)
	v_mul_f64 v[213:214], v[195:196], v[187:188]
	v_mul_f64 v[187:188], v[193:194], v[187:188]
	v_fma_f64 v[213:214], v[193:194], v[185:186], -v[213:214]
	v_fma_f64 v[187:188], v[195:196], v[185:186], v[187:188]
	s_waitcnt lgkmcnt(0)
	v_mul_f64 v[185:186], v[217:218], v[187:188]
	v_fma_f64 v[185:186], v[215:216], v[213:214], -v[185:186]
	v_mul_f64 v[215:216], v[215:216], v[187:188]
	v_add_f64 v[181:182], v[181:182], -v[185:186]
	v_fma_f64 v[215:216], v[217:218], v[213:214], v[215:216]
	v_add_f64 v[183:184], v[183:184], -v[215:216]
	ds_read2_b64 v[215:218], v253 offset0:24 offset1:25
	s_waitcnt lgkmcnt(0)
	v_mul_f64 v[185:186], v[217:218], v[187:188]
	v_fma_f64 v[185:186], v[215:216], v[213:214], -v[185:186]
	v_mul_f64 v[215:216], v[215:216], v[187:188]
	v_add_f64 v[177:178], v[177:178], -v[185:186]
	v_fma_f64 v[215:216], v[217:218], v[213:214], v[215:216]
	v_add_f64 v[179:180], v[179:180], -v[215:216]
	ds_read2_b64 v[215:218], v253 offset0:26 offset1:27
	;; [unrolled: 8-line block ×45, first 2 shown]
	s_waitcnt lgkmcnt(0)
	v_mul_f64 v[185:186], v[217:218], v[187:188]
	v_fma_f64 v[185:186], v[215:216], v[213:214], -v[185:186]
	v_mul_f64 v[215:216], v[215:216], v[187:188]
	v_add_f64 v[1:2], v[1:2], -v[185:186]
	v_fma_f64 v[215:216], v[217:218], v[213:214], v[215:216]
	v_mov_b32_e32 v185, v213
	v_mov_b32_e32 v186, v214
	v_add_f64 v[3:4], v[3:4], -v[215:216]
.LBB113_100:
	s_or_b32 exec_lo, exec_lo, s1
	s_mov_b32 s2, exec_lo
	s_waitcnt_vscnt null, 0x0
	s_barrier
	buffer_gl0_inv
	v_cmpx_eq_u32_e32 11, v0
	s_cbranch_execz .LBB113_107
; %bb.101:
	ds_write2_b64 v255, v[181:182], v[183:184] offset1:1
	ds_write2_b64 v253, v[177:178], v[179:180] offset0:24 offset1:25
	ds_write2_b64 v253, v[173:174], v[175:176] offset0:26 offset1:27
	;; [unrolled: 1-line block ×45, first 2 shown]
	ds_read2_b64 v[213:216], v255 offset1:1
	s_waitcnt lgkmcnt(0)
	v_cmp_neq_f64_e32 vcc_lo, 0, v[213:214]
	v_cmp_neq_f64_e64 s1, 0, v[215:216]
	s_or_b32 s1, vcc_lo, s1
	s_and_b32 exec_lo, exec_lo, s1
	s_cbranch_execz .LBB113_107
; %bb.102:
	v_cmp_ngt_f64_e64 s1, |v[213:214]|, |v[215:216]|
                                        ; implicit-def: $vgpr217_vgpr218
	s_and_saveexec_b32 s3, s1
	s_xor_b32 s1, exec_lo, s3
                                        ; implicit-def: $vgpr219_vgpr220
	s_cbranch_execz .LBB113_104
; %bb.103:
	v_div_scale_f64 v[217:218], null, v[215:216], v[215:216], v[213:214]
	v_div_scale_f64 v[223:224], vcc_lo, v[213:214], v[215:216], v[213:214]
	v_rcp_f64_e32 v[219:220], v[217:218]
	v_fma_f64 v[221:222], -v[217:218], v[219:220], 1.0
	v_fma_f64 v[219:220], v[219:220], v[221:222], v[219:220]
	v_fma_f64 v[221:222], -v[217:218], v[219:220], 1.0
	v_fma_f64 v[219:220], v[219:220], v[221:222], v[219:220]
	v_mul_f64 v[221:222], v[223:224], v[219:220]
	v_fma_f64 v[217:218], -v[217:218], v[221:222], v[223:224]
	v_div_fmas_f64 v[217:218], v[217:218], v[219:220], v[221:222]
	v_div_fixup_f64 v[217:218], v[217:218], v[215:216], v[213:214]
	v_fma_f64 v[213:214], v[213:214], v[217:218], v[215:216]
	v_div_scale_f64 v[215:216], null, v[213:214], v[213:214], 1.0
	v_rcp_f64_e32 v[219:220], v[215:216]
	v_fma_f64 v[221:222], -v[215:216], v[219:220], 1.0
	v_fma_f64 v[219:220], v[219:220], v[221:222], v[219:220]
	v_fma_f64 v[221:222], -v[215:216], v[219:220], 1.0
	v_fma_f64 v[219:220], v[219:220], v[221:222], v[219:220]
	v_div_scale_f64 v[221:222], vcc_lo, 1.0, v[213:214], 1.0
	v_mul_f64 v[223:224], v[221:222], v[219:220]
	v_fma_f64 v[215:216], -v[215:216], v[223:224], v[221:222]
	v_div_fmas_f64 v[215:216], v[215:216], v[219:220], v[223:224]
	v_div_fixup_f64 v[219:220], v[215:216], v[213:214], 1.0
                                        ; implicit-def: $vgpr213_vgpr214
	v_mul_f64 v[217:218], v[217:218], v[219:220]
	v_xor_b32_e32 v220, 0x80000000, v220
.LBB113_104:
	s_andn2_saveexec_b32 s1, s1
	s_cbranch_execz .LBB113_106
; %bb.105:
	v_div_scale_f64 v[217:218], null, v[213:214], v[213:214], v[215:216]
	v_div_scale_f64 v[223:224], vcc_lo, v[215:216], v[213:214], v[215:216]
	v_rcp_f64_e32 v[219:220], v[217:218]
	v_fma_f64 v[221:222], -v[217:218], v[219:220], 1.0
	v_fma_f64 v[219:220], v[219:220], v[221:222], v[219:220]
	v_fma_f64 v[221:222], -v[217:218], v[219:220], 1.0
	v_fma_f64 v[219:220], v[219:220], v[221:222], v[219:220]
	v_mul_f64 v[221:222], v[223:224], v[219:220]
	v_fma_f64 v[217:218], -v[217:218], v[221:222], v[223:224]
	v_div_fmas_f64 v[217:218], v[217:218], v[219:220], v[221:222]
	v_div_fixup_f64 v[219:220], v[217:218], v[213:214], v[215:216]
	v_fma_f64 v[213:214], v[215:216], v[219:220], v[213:214]
	v_div_scale_f64 v[215:216], null, v[213:214], v[213:214], 1.0
	v_rcp_f64_e32 v[217:218], v[215:216]
	v_fma_f64 v[221:222], -v[215:216], v[217:218], 1.0
	v_fma_f64 v[217:218], v[217:218], v[221:222], v[217:218]
	v_fma_f64 v[221:222], -v[215:216], v[217:218], 1.0
	v_fma_f64 v[217:218], v[217:218], v[221:222], v[217:218]
	v_div_scale_f64 v[221:222], vcc_lo, 1.0, v[213:214], 1.0
	v_mul_f64 v[223:224], v[221:222], v[217:218]
	v_fma_f64 v[215:216], -v[215:216], v[223:224], v[221:222]
	v_div_fmas_f64 v[215:216], v[215:216], v[217:218], v[223:224]
	v_div_fixup_f64 v[217:218], v[215:216], v[213:214], 1.0
	v_mul_f64 v[219:220], v[219:220], -v[217:218]
.LBB113_106:
	s_or_b32 exec_lo, exec_lo, s1
	ds_write2_b64 v255, v[217:218], v[219:220] offset1:1
.LBB113_107:
	s_or_b32 exec_lo, exec_lo, s2
	s_waitcnt lgkmcnt(0)
	s_barrier
	buffer_gl0_inv
	ds_read2_b64 v[193:196], v255 offset1:1
	s_mov_b32 s1, exec_lo
	s_waitcnt lgkmcnt(0)
	buffer_store_dword v193, off, s[16:19], 0 offset:640 ; 4-byte Folded Spill
	buffer_store_dword v194, off, s[16:19], 0 offset:644 ; 4-byte Folded Spill
	;; [unrolled: 1-line block ×4, first 2 shown]
	v_cmpx_lt_u32_e32 11, v0
	s_cbranch_execz .LBB113_109
; %bb.108:
	s_clause 0x3
	buffer_load_dword v193, off, s[16:19], 0 offset:640
	buffer_load_dword v194, off, s[16:19], 0 offset:644
	;; [unrolled: 1-line block ×4, first 2 shown]
	ds_read2_b64 v[215:218], v253 offset0:24 offset1:25
	s_waitcnt vmcnt(0)
	v_mul_f64 v[213:214], v[195:196], v[183:184]
	v_mul_f64 v[183:184], v[193:194], v[183:184]
	v_fma_f64 v[213:214], v[193:194], v[181:182], -v[213:214]
	v_fma_f64 v[183:184], v[195:196], v[181:182], v[183:184]
	s_waitcnt lgkmcnt(0)
	v_mul_f64 v[181:182], v[217:218], v[183:184]
	v_fma_f64 v[181:182], v[215:216], v[213:214], -v[181:182]
	v_mul_f64 v[215:216], v[215:216], v[183:184]
	v_add_f64 v[177:178], v[177:178], -v[181:182]
	v_fma_f64 v[215:216], v[217:218], v[213:214], v[215:216]
	v_add_f64 v[179:180], v[179:180], -v[215:216]
	ds_read2_b64 v[215:218], v253 offset0:26 offset1:27
	s_waitcnt lgkmcnt(0)
	v_mul_f64 v[181:182], v[217:218], v[183:184]
	v_fma_f64 v[181:182], v[215:216], v[213:214], -v[181:182]
	v_mul_f64 v[215:216], v[215:216], v[183:184]
	v_add_f64 v[173:174], v[173:174], -v[181:182]
	v_fma_f64 v[215:216], v[217:218], v[213:214], v[215:216]
	v_add_f64 v[175:176], v[175:176], -v[215:216]
	ds_read2_b64 v[215:218], v253 offset0:28 offset1:29
	;; [unrolled: 8-line block ×44, first 2 shown]
	s_waitcnt lgkmcnt(0)
	v_mul_f64 v[181:182], v[217:218], v[183:184]
	v_fma_f64 v[181:182], v[215:216], v[213:214], -v[181:182]
	v_mul_f64 v[215:216], v[215:216], v[183:184]
	v_add_f64 v[1:2], v[1:2], -v[181:182]
	v_fma_f64 v[215:216], v[217:218], v[213:214], v[215:216]
	v_mov_b32_e32 v181, v213
	v_mov_b32_e32 v182, v214
	v_add_f64 v[3:4], v[3:4], -v[215:216]
.LBB113_109:
	s_or_b32 exec_lo, exec_lo, s1
	s_mov_b32 s2, exec_lo
	s_waitcnt_vscnt null, 0x0
	s_barrier
	buffer_gl0_inv
	v_cmpx_eq_u32_e32 12, v0
	s_cbranch_execz .LBB113_116
; %bb.110:
	ds_write2_b64 v255, v[177:178], v[179:180] offset1:1
	ds_write2_b64 v253, v[173:174], v[175:176] offset0:26 offset1:27
	ds_write2_b64 v253, v[169:170], v[171:172] offset0:28 offset1:29
	;; [unrolled: 1-line block ×44, first 2 shown]
	ds_read2_b64 v[213:216], v255 offset1:1
	s_waitcnt lgkmcnt(0)
	v_cmp_neq_f64_e32 vcc_lo, 0, v[213:214]
	v_cmp_neq_f64_e64 s1, 0, v[215:216]
	s_or_b32 s1, vcc_lo, s1
	s_and_b32 exec_lo, exec_lo, s1
	s_cbranch_execz .LBB113_116
; %bb.111:
	v_cmp_ngt_f64_e64 s1, |v[213:214]|, |v[215:216]|
                                        ; implicit-def: $vgpr217_vgpr218
	s_and_saveexec_b32 s3, s1
	s_xor_b32 s1, exec_lo, s3
                                        ; implicit-def: $vgpr219_vgpr220
	s_cbranch_execz .LBB113_113
; %bb.112:
	v_div_scale_f64 v[217:218], null, v[215:216], v[215:216], v[213:214]
	v_div_scale_f64 v[223:224], vcc_lo, v[213:214], v[215:216], v[213:214]
	v_rcp_f64_e32 v[219:220], v[217:218]
	v_fma_f64 v[221:222], -v[217:218], v[219:220], 1.0
	v_fma_f64 v[219:220], v[219:220], v[221:222], v[219:220]
	v_fma_f64 v[221:222], -v[217:218], v[219:220], 1.0
	v_fma_f64 v[219:220], v[219:220], v[221:222], v[219:220]
	v_mul_f64 v[221:222], v[223:224], v[219:220]
	v_fma_f64 v[217:218], -v[217:218], v[221:222], v[223:224]
	v_div_fmas_f64 v[217:218], v[217:218], v[219:220], v[221:222]
	v_div_fixup_f64 v[217:218], v[217:218], v[215:216], v[213:214]
	v_fma_f64 v[213:214], v[213:214], v[217:218], v[215:216]
	v_div_scale_f64 v[215:216], null, v[213:214], v[213:214], 1.0
	v_rcp_f64_e32 v[219:220], v[215:216]
	v_fma_f64 v[221:222], -v[215:216], v[219:220], 1.0
	v_fma_f64 v[219:220], v[219:220], v[221:222], v[219:220]
	v_fma_f64 v[221:222], -v[215:216], v[219:220], 1.0
	v_fma_f64 v[219:220], v[219:220], v[221:222], v[219:220]
	v_div_scale_f64 v[221:222], vcc_lo, 1.0, v[213:214], 1.0
	v_mul_f64 v[223:224], v[221:222], v[219:220]
	v_fma_f64 v[215:216], -v[215:216], v[223:224], v[221:222]
	v_div_fmas_f64 v[215:216], v[215:216], v[219:220], v[223:224]
	v_div_fixup_f64 v[219:220], v[215:216], v[213:214], 1.0
                                        ; implicit-def: $vgpr213_vgpr214
	v_mul_f64 v[217:218], v[217:218], v[219:220]
	v_xor_b32_e32 v220, 0x80000000, v220
.LBB113_113:
	s_andn2_saveexec_b32 s1, s1
	s_cbranch_execz .LBB113_115
; %bb.114:
	v_div_scale_f64 v[217:218], null, v[213:214], v[213:214], v[215:216]
	v_div_scale_f64 v[223:224], vcc_lo, v[215:216], v[213:214], v[215:216]
	v_rcp_f64_e32 v[219:220], v[217:218]
	v_fma_f64 v[221:222], -v[217:218], v[219:220], 1.0
	v_fma_f64 v[219:220], v[219:220], v[221:222], v[219:220]
	v_fma_f64 v[221:222], -v[217:218], v[219:220], 1.0
	v_fma_f64 v[219:220], v[219:220], v[221:222], v[219:220]
	v_mul_f64 v[221:222], v[223:224], v[219:220]
	v_fma_f64 v[217:218], -v[217:218], v[221:222], v[223:224]
	v_div_fmas_f64 v[217:218], v[217:218], v[219:220], v[221:222]
	v_div_fixup_f64 v[219:220], v[217:218], v[213:214], v[215:216]
	v_fma_f64 v[213:214], v[215:216], v[219:220], v[213:214]
	v_div_scale_f64 v[215:216], null, v[213:214], v[213:214], 1.0
	v_rcp_f64_e32 v[217:218], v[215:216]
	v_fma_f64 v[221:222], -v[215:216], v[217:218], 1.0
	v_fma_f64 v[217:218], v[217:218], v[221:222], v[217:218]
	v_fma_f64 v[221:222], -v[215:216], v[217:218], 1.0
	v_fma_f64 v[217:218], v[217:218], v[221:222], v[217:218]
	v_div_scale_f64 v[221:222], vcc_lo, 1.0, v[213:214], 1.0
	v_mul_f64 v[223:224], v[221:222], v[217:218]
	v_fma_f64 v[215:216], -v[215:216], v[223:224], v[221:222]
	v_div_fmas_f64 v[215:216], v[215:216], v[217:218], v[223:224]
	v_div_fixup_f64 v[217:218], v[215:216], v[213:214], 1.0
	v_mul_f64 v[219:220], v[219:220], -v[217:218]
.LBB113_115:
	s_or_b32 exec_lo, exec_lo, s1
	ds_write2_b64 v255, v[217:218], v[219:220] offset1:1
.LBB113_116:
	s_or_b32 exec_lo, exec_lo, s2
	s_waitcnt lgkmcnt(0)
	s_barrier
	buffer_gl0_inv
	ds_read2_b64 v[193:196], v255 offset1:1
	s_mov_b32 s1, exec_lo
	s_waitcnt lgkmcnt(0)
	buffer_store_dword v193, off, s[16:19], 0 offset:656 ; 4-byte Folded Spill
	buffer_store_dword v194, off, s[16:19], 0 offset:660 ; 4-byte Folded Spill
	;; [unrolled: 1-line block ×4, first 2 shown]
	v_cmpx_lt_u32_e32 12, v0
	s_cbranch_execz .LBB113_118
; %bb.117:
	s_clause 0x3
	buffer_load_dword v193, off, s[16:19], 0 offset:656
	buffer_load_dword v194, off, s[16:19], 0 offset:660
	;; [unrolled: 1-line block ×4, first 2 shown]
	ds_read2_b64 v[215:218], v253 offset0:26 offset1:27
	s_waitcnt vmcnt(0)
	v_mul_f64 v[213:214], v[195:196], v[179:180]
	v_mul_f64 v[179:180], v[193:194], v[179:180]
	v_fma_f64 v[213:214], v[193:194], v[177:178], -v[213:214]
	v_fma_f64 v[179:180], v[195:196], v[177:178], v[179:180]
	s_waitcnt lgkmcnt(0)
	v_mul_f64 v[177:178], v[217:218], v[179:180]
	v_fma_f64 v[177:178], v[215:216], v[213:214], -v[177:178]
	v_mul_f64 v[215:216], v[215:216], v[179:180]
	v_add_f64 v[173:174], v[173:174], -v[177:178]
	v_fma_f64 v[215:216], v[217:218], v[213:214], v[215:216]
	v_add_f64 v[175:176], v[175:176], -v[215:216]
	ds_read2_b64 v[215:218], v253 offset0:28 offset1:29
	s_waitcnt lgkmcnt(0)
	v_mul_f64 v[177:178], v[217:218], v[179:180]
	v_fma_f64 v[177:178], v[215:216], v[213:214], -v[177:178]
	v_mul_f64 v[215:216], v[215:216], v[179:180]
	v_add_f64 v[169:170], v[169:170], -v[177:178]
	v_fma_f64 v[215:216], v[217:218], v[213:214], v[215:216]
	v_add_f64 v[171:172], v[171:172], -v[215:216]
	ds_read2_b64 v[215:218], v253 offset0:30 offset1:31
	;; [unrolled: 8-line block ×43, first 2 shown]
	s_waitcnt lgkmcnt(0)
	v_mul_f64 v[177:178], v[217:218], v[179:180]
	v_fma_f64 v[177:178], v[215:216], v[213:214], -v[177:178]
	v_mul_f64 v[215:216], v[215:216], v[179:180]
	v_add_f64 v[1:2], v[1:2], -v[177:178]
	v_fma_f64 v[215:216], v[217:218], v[213:214], v[215:216]
	v_mov_b32_e32 v177, v213
	v_mov_b32_e32 v178, v214
	v_add_f64 v[3:4], v[3:4], -v[215:216]
.LBB113_118:
	s_or_b32 exec_lo, exec_lo, s1
	s_mov_b32 s2, exec_lo
	s_waitcnt_vscnt null, 0x0
	s_barrier
	buffer_gl0_inv
	v_cmpx_eq_u32_e32 13, v0
	s_cbranch_execz .LBB113_125
; %bb.119:
	ds_write2_b64 v255, v[173:174], v[175:176] offset1:1
	ds_write2_b64 v253, v[169:170], v[171:172] offset0:28 offset1:29
	ds_write2_b64 v253, v[165:166], v[167:168] offset0:30 offset1:31
	;; [unrolled: 1-line block ×43, first 2 shown]
	ds_read2_b64 v[213:216], v255 offset1:1
	s_waitcnt lgkmcnt(0)
	v_cmp_neq_f64_e32 vcc_lo, 0, v[213:214]
	v_cmp_neq_f64_e64 s1, 0, v[215:216]
	s_or_b32 s1, vcc_lo, s1
	s_and_b32 exec_lo, exec_lo, s1
	s_cbranch_execz .LBB113_125
; %bb.120:
	v_cmp_ngt_f64_e64 s1, |v[213:214]|, |v[215:216]|
                                        ; implicit-def: $vgpr217_vgpr218
	s_and_saveexec_b32 s3, s1
	s_xor_b32 s1, exec_lo, s3
                                        ; implicit-def: $vgpr219_vgpr220
	s_cbranch_execz .LBB113_122
; %bb.121:
	v_div_scale_f64 v[217:218], null, v[215:216], v[215:216], v[213:214]
	v_div_scale_f64 v[223:224], vcc_lo, v[213:214], v[215:216], v[213:214]
	v_rcp_f64_e32 v[219:220], v[217:218]
	v_fma_f64 v[221:222], -v[217:218], v[219:220], 1.0
	v_fma_f64 v[219:220], v[219:220], v[221:222], v[219:220]
	v_fma_f64 v[221:222], -v[217:218], v[219:220], 1.0
	v_fma_f64 v[219:220], v[219:220], v[221:222], v[219:220]
	v_mul_f64 v[221:222], v[223:224], v[219:220]
	v_fma_f64 v[217:218], -v[217:218], v[221:222], v[223:224]
	v_div_fmas_f64 v[217:218], v[217:218], v[219:220], v[221:222]
	v_div_fixup_f64 v[217:218], v[217:218], v[215:216], v[213:214]
	v_fma_f64 v[213:214], v[213:214], v[217:218], v[215:216]
	v_div_scale_f64 v[215:216], null, v[213:214], v[213:214], 1.0
	v_rcp_f64_e32 v[219:220], v[215:216]
	v_fma_f64 v[221:222], -v[215:216], v[219:220], 1.0
	v_fma_f64 v[219:220], v[219:220], v[221:222], v[219:220]
	v_fma_f64 v[221:222], -v[215:216], v[219:220], 1.0
	v_fma_f64 v[219:220], v[219:220], v[221:222], v[219:220]
	v_div_scale_f64 v[221:222], vcc_lo, 1.0, v[213:214], 1.0
	v_mul_f64 v[223:224], v[221:222], v[219:220]
	v_fma_f64 v[215:216], -v[215:216], v[223:224], v[221:222]
	v_div_fmas_f64 v[215:216], v[215:216], v[219:220], v[223:224]
	v_div_fixup_f64 v[219:220], v[215:216], v[213:214], 1.0
                                        ; implicit-def: $vgpr213_vgpr214
	v_mul_f64 v[217:218], v[217:218], v[219:220]
	v_xor_b32_e32 v220, 0x80000000, v220
.LBB113_122:
	s_andn2_saveexec_b32 s1, s1
	s_cbranch_execz .LBB113_124
; %bb.123:
	v_div_scale_f64 v[217:218], null, v[213:214], v[213:214], v[215:216]
	v_div_scale_f64 v[223:224], vcc_lo, v[215:216], v[213:214], v[215:216]
	v_rcp_f64_e32 v[219:220], v[217:218]
	v_fma_f64 v[221:222], -v[217:218], v[219:220], 1.0
	v_fma_f64 v[219:220], v[219:220], v[221:222], v[219:220]
	v_fma_f64 v[221:222], -v[217:218], v[219:220], 1.0
	v_fma_f64 v[219:220], v[219:220], v[221:222], v[219:220]
	v_mul_f64 v[221:222], v[223:224], v[219:220]
	v_fma_f64 v[217:218], -v[217:218], v[221:222], v[223:224]
	v_div_fmas_f64 v[217:218], v[217:218], v[219:220], v[221:222]
	v_div_fixup_f64 v[219:220], v[217:218], v[213:214], v[215:216]
	v_fma_f64 v[213:214], v[215:216], v[219:220], v[213:214]
	v_div_scale_f64 v[215:216], null, v[213:214], v[213:214], 1.0
	v_rcp_f64_e32 v[217:218], v[215:216]
	v_fma_f64 v[221:222], -v[215:216], v[217:218], 1.0
	v_fma_f64 v[217:218], v[217:218], v[221:222], v[217:218]
	v_fma_f64 v[221:222], -v[215:216], v[217:218], 1.0
	v_fma_f64 v[217:218], v[217:218], v[221:222], v[217:218]
	v_div_scale_f64 v[221:222], vcc_lo, 1.0, v[213:214], 1.0
	v_mul_f64 v[223:224], v[221:222], v[217:218]
	v_fma_f64 v[215:216], -v[215:216], v[223:224], v[221:222]
	v_div_fmas_f64 v[215:216], v[215:216], v[217:218], v[223:224]
	v_div_fixup_f64 v[217:218], v[215:216], v[213:214], 1.0
	v_mul_f64 v[219:220], v[219:220], -v[217:218]
.LBB113_124:
	s_or_b32 exec_lo, exec_lo, s1
	ds_write2_b64 v255, v[217:218], v[219:220] offset1:1
.LBB113_125:
	s_or_b32 exec_lo, exec_lo, s2
	s_waitcnt lgkmcnt(0)
	s_barrier
	buffer_gl0_inv
	ds_read2_b64 v[193:196], v255 offset1:1
	s_mov_b32 s1, exec_lo
	s_waitcnt lgkmcnt(0)
	buffer_store_dword v193, off, s[16:19], 0 offset:672 ; 4-byte Folded Spill
	buffer_store_dword v194, off, s[16:19], 0 offset:676 ; 4-byte Folded Spill
	;; [unrolled: 1-line block ×4, first 2 shown]
	v_cmpx_lt_u32_e32 13, v0
	s_cbranch_execz .LBB113_127
; %bb.126:
	s_clause 0x3
	buffer_load_dword v193, off, s[16:19], 0 offset:672
	buffer_load_dword v194, off, s[16:19], 0 offset:676
	;; [unrolled: 1-line block ×4, first 2 shown]
	ds_read2_b64 v[215:218], v253 offset0:28 offset1:29
	s_waitcnt vmcnt(0)
	v_mul_f64 v[213:214], v[195:196], v[175:176]
	v_mul_f64 v[175:176], v[193:194], v[175:176]
	v_fma_f64 v[213:214], v[193:194], v[173:174], -v[213:214]
	v_fma_f64 v[175:176], v[195:196], v[173:174], v[175:176]
	s_waitcnt lgkmcnt(0)
	v_mul_f64 v[173:174], v[217:218], v[175:176]
	v_fma_f64 v[173:174], v[215:216], v[213:214], -v[173:174]
	v_mul_f64 v[215:216], v[215:216], v[175:176]
	v_add_f64 v[169:170], v[169:170], -v[173:174]
	v_fma_f64 v[215:216], v[217:218], v[213:214], v[215:216]
	v_add_f64 v[171:172], v[171:172], -v[215:216]
	ds_read2_b64 v[215:218], v253 offset0:30 offset1:31
	s_waitcnt lgkmcnt(0)
	v_mul_f64 v[173:174], v[217:218], v[175:176]
	v_fma_f64 v[173:174], v[215:216], v[213:214], -v[173:174]
	v_mul_f64 v[215:216], v[215:216], v[175:176]
	v_add_f64 v[165:166], v[165:166], -v[173:174]
	v_fma_f64 v[215:216], v[217:218], v[213:214], v[215:216]
	v_add_f64 v[167:168], v[167:168], -v[215:216]
	ds_read2_b64 v[215:218], v253 offset0:32 offset1:33
	;; [unrolled: 8-line block ×42, first 2 shown]
	s_waitcnt lgkmcnt(0)
	v_mul_f64 v[173:174], v[217:218], v[175:176]
	v_fma_f64 v[173:174], v[215:216], v[213:214], -v[173:174]
	v_mul_f64 v[215:216], v[215:216], v[175:176]
	v_add_f64 v[1:2], v[1:2], -v[173:174]
	v_fma_f64 v[215:216], v[217:218], v[213:214], v[215:216]
	v_mov_b32_e32 v173, v213
	v_mov_b32_e32 v174, v214
	v_add_f64 v[3:4], v[3:4], -v[215:216]
.LBB113_127:
	s_or_b32 exec_lo, exec_lo, s1
	s_mov_b32 s2, exec_lo
	s_waitcnt_vscnt null, 0x0
	s_barrier
	buffer_gl0_inv
	v_cmpx_eq_u32_e32 14, v0
	s_cbranch_execz .LBB113_134
; %bb.128:
	ds_write2_b64 v255, v[169:170], v[171:172] offset1:1
	ds_write2_b64 v253, v[165:166], v[167:168] offset0:30 offset1:31
	ds_write2_b64 v253, v[161:162], v[163:164] offset0:32 offset1:33
	;; [unrolled: 1-line block ×42, first 2 shown]
	ds_read2_b64 v[213:216], v255 offset1:1
	s_waitcnt lgkmcnt(0)
	v_cmp_neq_f64_e32 vcc_lo, 0, v[213:214]
	v_cmp_neq_f64_e64 s1, 0, v[215:216]
	s_or_b32 s1, vcc_lo, s1
	s_and_b32 exec_lo, exec_lo, s1
	s_cbranch_execz .LBB113_134
; %bb.129:
	v_cmp_ngt_f64_e64 s1, |v[213:214]|, |v[215:216]|
                                        ; implicit-def: $vgpr217_vgpr218
	s_and_saveexec_b32 s3, s1
	s_xor_b32 s1, exec_lo, s3
                                        ; implicit-def: $vgpr219_vgpr220
	s_cbranch_execz .LBB113_131
; %bb.130:
	v_div_scale_f64 v[217:218], null, v[215:216], v[215:216], v[213:214]
	v_div_scale_f64 v[223:224], vcc_lo, v[213:214], v[215:216], v[213:214]
	v_rcp_f64_e32 v[219:220], v[217:218]
	v_fma_f64 v[221:222], -v[217:218], v[219:220], 1.0
	v_fma_f64 v[219:220], v[219:220], v[221:222], v[219:220]
	v_fma_f64 v[221:222], -v[217:218], v[219:220], 1.0
	v_fma_f64 v[219:220], v[219:220], v[221:222], v[219:220]
	v_mul_f64 v[221:222], v[223:224], v[219:220]
	v_fma_f64 v[217:218], -v[217:218], v[221:222], v[223:224]
	v_div_fmas_f64 v[217:218], v[217:218], v[219:220], v[221:222]
	v_div_fixup_f64 v[217:218], v[217:218], v[215:216], v[213:214]
	v_fma_f64 v[213:214], v[213:214], v[217:218], v[215:216]
	v_div_scale_f64 v[215:216], null, v[213:214], v[213:214], 1.0
	v_rcp_f64_e32 v[219:220], v[215:216]
	v_fma_f64 v[221:222], -v[215:216], v[219:220], 1.0
	v_fma_f64 v[219:220], v[219:220], v[221:222], v[219:220]
	v_fma_f64 v[221:222], -v[215:216], v[219:220], 1.0
	v_fma_f64 v[219:220], v[219:220], v[221:222], v[219:220]
	v_div_scale_f64 v[221:222], vcc_lo, 1.0, v[213:214], 1.0
	v_mul_f64 v[223:224], v[221:222], v[219:220]
	v_fma_f64 v[215:216], -v[215:216], v[223:224], v[221:222]
	v_div_fmas_f64 v[215:216], v[215:216], v[219:220], v[223:224]
	v_div_fixup_f64 v[219:220], v[215:216], v[213:214], 1.0
                                        ; implicit-def: $vgpr213_vgpr214
	v_mul_f64 v[217:218], v[217:218], v[219:220]
	v_xor_b32_e32 v220, 0x80000000, v220
.LBB113_131:
	s_andn2_saveexec_b32 s1, s1
	s_cbranch_execz .LBB113_133
; %bb.132:
	v_div_scale_f64 v[217:218], null, v[213:214], v[213:214], v[215:216]
	v_div_scale_f64 v[223:224], vcc_lo, v[215:216], v[213:214], v[215:216]
	v_rcp_f64_e32 v[219:220], v[217:218]
	v_fma_f64 v[221:222], -v[217:218], v[219:220], 1.0
	v_fma_f64 v[219:220], v[219:220], v[221:222], v[219:220]
	v_fma_f64 v[221:222], -v[217:218], v[219:220], 1.0
	v_fma_f64 v[219:220], v[219:220], v[221:222], v[219:220]
	v_mul_f64 v[221:222], v[223:224], v[219:220]
	v_fma_f64 v[217:218], -v[217:218], v[221:222], v[223:224]
	v_div_fmas_f64 v[217:218], v[217:218], v[219:220], v[221:222]
	v_div_fixup_f64 v[219:220], v[217:218], v[213:214], v[215:216]
	v_fma_f64 v[213:214], v[215:216], v[219:220], v[213:214]
	v_div_scale_f64 v[215:216], null, v[213:214], v[213:214], 1.0
	v_rcp_f64_e32 v[217:218], v[215:216]
	v_fma_f64 v[221:222], -v[215:216], v[217:218], 1.0
	v_fma_f64 v[217:218], v[217:218], v[221:222], v[217:218]
	v_fma_f64 v[221:222], -v[215:216], v[217:218], 1.0
	v_fma_f64 v[217:218], v[217:218], v[221:222], v[217:218]
	v_div_scale_f64 v[221:222], vcc_lo, 1.0, v[213:214], 1.0
	v_mul_f64 v[223:224], v[221:222], v[217:218]
	v_fma_f64 v[215:216], -v[215:216], v[223:224], v[221:222]
	v_div_fmas_f64 v[215:216], v[215:216], v[217:218], v[223:224]
	v_div_fixup_f64 v[217:218], v[215:216], v[213:214], 1.0
	v_mul_f64 v[219:220], v[219:220], -v[217:218]
.LBB113_133:
	s_or_b32 exec_lo, exec_lo, s1
	ds_write2_b64 v255, v[217:218], v[219:220] offset1:1
.LBB113_134:
	s_or_b32 exec_lo, exec_lo, s2
	s_waitcnt lgkmcnt(0)
	s_barrier
	buffer_gl0_inv
	ds_read2_b64 v[193:196], v255 offset1:1
	s_mov_b32 s1, exec_lo
	s_waitcnt lgkmcnt(0)
	buffer_store_dword v193, off, s[16:19], 0 offset:688 ; 4-byte Folded Spill
	buffer_store_dword v194, off, s[16:19], 0 offset:692 ; 4-byte Folded Spill
	;; [unrolled: 1-line block ×4, first 2 shown]
	v_cmpx_lt_u32_e32 14, v0
	s_cbranch_execz .LBB113_136
; %bb.135:
	s_clause 0x3
	buffer_load_dword v193, off, s[16:19], 0 offset:688
	buffer_load_dword v194, off, s[16:19], 0 offset:692
	;; [unrolled: 1-line block ×4, first 2 shown]
	ds_read2_b64 v[215:218], v253 offset0:30 offset1:31
	s_waitcnt vmcnt(0)
	v_mul_f64 v[213:214], v[195:196], v[171:172]
	v_mul_f64 v[171:172], v[193:194], v[171:172]
	v_fma_f64 v[213:214], v[193:194], v[169:170], -v[213:214]
	v_fma_f64 v[171:172], v[195:196], v[169:170], v[171:172]
	s_waitcnt lgkmcnt(0)
	v_mul_f64 v[169:170], v[217:218], v[171:172]
	v_fma_f64 v[169:170], v[215:216], v[213:214], -v[169:170]
	v_mul_f64 v[215:216], v[215:216], v[171:172]
	v_add_f64 v[165:166], v[165:166], -v[169:170]
	v_fma_f64 v[215:216], v[217:218], v[213:214], v[215:216]
	v_add_f64 v[167:168], v[167:168], -v[215:216]
	ds_read2_b64 v[215:218], v253 offset0:32 offset1:33
	s_waitcnt lgkmcnt(0)
	v_mul_f64 v[169:170], v[217:218], v[171:172]
	v_fma_f64 v[169:170], v[215:216], v[213:214], -v[169:170]
	v_mul_f64 v[215:216], v[215:216], v[171:172]
	v_add_f64 v[161:162], v[161:162], -v[169:170]
	v_fma_f64 v[215:216], v[217:218], v[213:214], v[215:216]
	v_add_f64 v[163:164], v[163:164], -v[215:216]
	ds_read2_b64 v[215:218], v253 offset0:34 offset1:35
	s_waitcnt lgkmcnt(0)
	v_mul_f64 v[169:170], v[217:218], v[171:172]
	v_fma_f64 v[169:170], v[215:216], v[213:214], -v[169:170]
	v_mul_f64 v[215:216], v[215:216], v[171:172]
	v_add_f64 v[157:158], v[157:158], -v[169:170]
	v_fma_f64 v[215:216], v[217:218], v[213:214], v[215:216]
	v_add_f64 v[159:160], v[159:160], -v[215:216]
	ds_read2_b64 v[215:218], v253 offset0:36 offset1:37
	s_waitcnt lgkmcnt(0)
	v_mul_f64 v[169:170], v[217:218], v[171:172]
	v_fma_f64 v[169:170], v[215:216], v[213:214], -v[169:170]
	v_mul_f64 v[215:216], v[215:216], v[171:172]
	v_add_f64 v[153:154], v[153:154], -v[169:170]
	v_fma_f64 v[215:216], v[217:218], v[213:214], v[215:216]
	v_add_f64 v[155:156], v[155:156], -v[215:216]
	ds_read2_b64 v[215:218], v253 offset0:38 offset1:39
	s_waitcnt lgkmcnt(0)
	v_mul_f64 v[169:170], v[217:218], v[171:172]
	v_fma_f64 v[169:170], v[215:216], v[213:214], -v[169:170]
	v_mul_f64 v[215:216], v[215:216], v[171:172]
	v_add_f64 v[149:150], v[149:150], -v[169:170]
	v_fma_f64 v[215:216], v[217:218], v[213:214], v[215:216]
	v_add_f64 v[151:152], v[151:152], -v[215:216]
	ds_read2_b64 v[215:218], v253 offset0:40 offset1:41
	s_waitcnt lgkmcnt(0)
	v_mul_f64 v[169:170], v[217:218], v[171:172]
	v_fma_f64 v[169:170], v[215:216], v[213:214], -v[169:170]
	v_mul_f64 v[215:216], v[215:216], v[171:172]
	v_add_f64 v[145:146], v[145:146], -v[169:170]
	v_fma_f64 v[215:216], v[217:218], v[213:214], v[215:216]
	v_add_f64 v[147:148], v[147:148], -v[215:216]
	ds_read2_b64 v[215:218], v253 offset0:42 offset1:43
	s_waitcnt lgkmcnt(0)
	v_mul_f64 v[169:170], v[217:218], v[171:172]
	v_fma_f64 v[169:170], v[215:216], v[213:214], -v[169:170]
	v_mul_f64 v[215:216], v[215:216], v[171:172]
	v_add_f64 v[141:142], v[141:142], -v[169:170]
	v_fma_f64 v[215:216], v[217:218], v[213:214], v[215:216]
	v_add_f64 v[143:144], v[143:144], -v[215:216]
	ds_read2_b64 v[215:218], v253 offset0:44 offset1:45
	s_waitcnt lgkmcnt(0)
	v_mul_f64 v[169:170], v[217:218], v[171:172]
	v_fma_f64 v[169:170], v[215:216], v[213:214], -v[169:170]
	v_mul_f64 v[215:216], v[215:216], v[171:172]
	v_add_f64 v[137:138], v[137:138], -v[169:170]
	v_fma_f64 v[215:216], v[217:218], v[213:214], v[215:216]
	v_add_f64 v[139:140], v[139:140], -v[215:216]
	ds_read2_b64 v[215:218], v253 offset0:46 offset1:47
	s_waitcnt lgkmcnt(0)
	v_mul_f64 v[169:170], v[217:218], v[171:172]
	v_fma_f64 v[169:170], v[215:216], v[213:214], -v[169:170]
	v_mul_f64 v[215:216], v[215:216], v[171:172]
	v_add_f64 v[133:134], v[133:134], -v[169:170]
	v_fma_f64 v[215:216], v[217:218], v[213:214], v[215:216]
	v_add_f64 v[135:136], v[135:136], -v[215:216]
	ds_read2_b64 v[215:218], v253 offset0:48 offset1:49
	s_waitcnt lgkmcnt(0)
	v_mul_f64 v[169:170], v[217:218], v[171:172]
	v_fma_f64 v[169:170], v[215:216], v[213:214], -v[169:170]
	v_mul_f64 v[215:216], v[215:216], v[171:172]
	v_add_f64 v[129:130], v[129:130], -v[169:170]
	v_fma_f64 v[215:216], v[217:218], v[213:214], v[215:216]
	v_add_f64 v[131:132], v[131:132], -v[215:216]
	ds_read2_b64 v[215:218], v253 offset0:50 offset1:51
	s_waitcnt lgkmcnt(0)
	v_mul_f64 v[169:170], v[217:218], v[171:172]
	v_fma_f64 v[169:170], v[215:216], v[213:214], -v[169:170]
	v_mul_f64 v[215:216], v[215:216], v[171:172]
	v_add_f64 v[125:126], v[125:126], -v[169:170]
	v_fma_f64 v[215:216], v[217:218], v[213:214], v[215:216]
	v_add_f64 v[127:128], v[127:128], -v[215:216]
	ds_read2_b64 v[215:218], v253 offset0:52 offset1:53
	s_waitcnt lgkmcnt(0)
	v_mul_f64 v[169:170], v[217:218], v[171:172]
	v_fma_f64 v[169:170], v[215:216], v[213:214], -v[169:170]
	v_mul_f64 v[215:216], v[215:216], v[171:172]
	v_add_f64 v[121:122], v[121:122], -v[169:170]
	v_fma_f64 v[215:216], v[217:218], v[213:214], v[215:216]
	v_add_f64 v[123:124], v[123:124], -v[215:216]
	ds_read2_b64 v[215:218], v253 offset0:54 offset1:55
	s_waitcnt lgkmcnt(0)
	v_mul_f64 v[169:170], v[217:218], v[171:172]
	v_fma_f64 v[169:170], v[215:216], v[213:214], -v[169:170]
	v_mul_f64 v[215:216], v[215:216], v[171:172]
	v_add_f64 v[117:118], v[117:118], -v[169:170]
	v_fma_f64 v[215:216], v[217:218], v[213:214], v[215:216]
	v_add_f64 v[119:120], v[119:120], -v[215:216]
	ds_read2_b64 v[215:218], v253 offset0:56 offset1:57
	s_waitcnt lgkmcnt(0)
	v_mul_f64 v[169:170], v[217:218], v[171:172]
	v_fma_f64 v[169:170], v[215:216], v[213:214], -v[169:170]
	v_mul_f64 v[215:216], v[215:216], v[171:172]
	v_add_f64 v[113:114], v[113:114], -v[169:170]
	v_fma_f64 v[215:216], v[217:218], v[213:214], v[215:216]
	v_add_f64 v[115:116], v[115:116], -v[215:216]
	ds_read2_b64 v[215:218], v253 offset0:58 offset1:59
	s_waitcnt lgkmcnt(0)
	v_mul_f64 v[169:170], v[217:218], v[171:172]
	v_fma_f64 v[169:170], v[215:216], v[213:214], -v[169:170]
	v_mul_f64 v[215:216], v[215:216], v[171:172]
	v_add_f64 v[109:110], v[109:110], -v[169:170]
	v_fma_f64 v[215:216], v[217:218], v[213:214], v[215:216]
	v_add_f64 v[111:112], v[111:112], -v[215:216]
	ds_read2_b64 v[215:218], v253 offset0:60 offset1:61
	s_waitcnt lgkmcnt(0)
	v_mul_f64 v[169:170], v[217:218], v[171:172]
	v_fma_f64 v[169:170], v[215:216], v[213:214], -v[169:170]
	v_mul_f64 v[215:216], v[215:216], v[171:172]
	v_add_f64 v[105:106], v[105:106], -v[169:170]
	v_fma_f64 v[215:216], v[217:218], v[213:214], v[215:216]
	v_add_f64 v[107:108], v[107:108], -v[215:216]
	ds_read2_b64 v[215:218], v253 offset0:62 offset1:63
	s_waitcnt lgkmcnt(0)
	v_mul_f64 v[169:170], v[217:218], v[171:172]
	v_fma_f64 v[169:170], v[215:216], v[213:214], -v[169:170]
	v_mul_f64 v[215:216], v[215:216], v[171:172]
	v_add_f64 v[101:102], v[101:102], -v[169:170]
	v_fma_f64 v[215:216], v[217:218], v[213:214], v[215:216]
	v_add_f64 v[103:104], v[103:104], -v[215:216]
	ds_read2_b64 v[215:218], v253 offset0:64 offset1:65
	s_waitcnt lgkmcnt(0)
	v_mul_f64 v[169:170], v[217:218], v[171:172]
	v_fma_f64 v[169:170], v[215:216], v[213:214], -v[169:170]
	v_mul_f64 v[215:216], v[215:216], v[171:172]
	v_add_f64 v[97:98], v[97:98], -v[169:170]
	v_fma_f64 v[215:216], v[217:218], v[213:214], v[215:216]
	v_add_f64 v[99:100], v[99:100], -v[215:216]
	ds_read2_b64 v[215:218], v253 offset0:66 offset1:67
	s_waitcnt lgkmcnt(0)
	v_mul_f64 v[169:170], v[217:218], v[171:172]
	v_fma_f64 v[169:170], v[215:216], v[213:214], -v[169:170]
	v_mul_f64 v[215:216], v[215:216], v[171:172]
	v_add_f64 v[93:94], v[93:94], -v[169:170]
	v_fma_f64 v[215:216], v[217:218], v[213:214], v[215:216]
	v_add_f64 v[95:96], v[95:96], -v[215:216]
	ds_read2_b64 v[215:218], v253 offset0:68 offset1:69
	s_waitcnt lgkmcnt(0)
	v_mul_f64 v[169:170], v[217:218], v[171:172]
	v_fma_f64 v[169:170], v[215:216], v[213:214], -v[169:170]
	v_mul_f64 v[215:216], v[215:216], v[171:172]
	v_add_f64 v[89:90], v[89:90], -v[169:170]
	v_fma_f64 v[215:216], v[217:218], v[213:214], v[215:216]
	v_add_f64 v[91:92], v[91:92], -v[215:216]
	ds_read2_b64 v[215:218], v253 offset0:70 offset1:71
	s_waitcnt lgkmcnt(0)
	v_mul_f64 v[169:170], v[217:218], v[171:172]
	v_fma_f64 v[169:170], v[215:216], v[213:214], -v[169:170]
	v_mul_f64 v[215:216], v[215:216], v[171:172]
	v_add_f64 v[85:86], v[85:86], -v[169:170]
	v_fma_f64 v[215:216], v[217:218], v[213:214], v[215:216]
	v_add_f64 v[87:88], v[87:88], -v[215:216]
	ds_read2_b64 v[215:218], v253 offset0:72 offset1:73
	s_waitcnt lgkmcnt(0)
	v_mul_f64 v[169:170], v[217:218], v[171:172]
	v_fma_f64 v[169:170], v[215:216], v[213:214], -v[169:170]
	v_mul_f64 v[215:216], v[215:216], v[171:172]
	v_add_f64 v[81:82], v[81:82], -v[169:170]
	v_fma_f64 v[215:216], v[217:218], v[213:214], v[215:216]
	v_add_f64 v[83:84], v[83:84], -v[215:216]
	ds_read2_b64 v[215:218], v253 offset0:74 offset1:75
	s_waitcnt lgkmcnt(0)
	v_mul_f64 v[169:170], v[217:218], v[171:172]
	v_fma_f64 v[169:170], v[215:216], v[213:214], -v[169:170]
	v_mul_f64 v[215:216], v[215:216], v[171:172]
	v_add_f64 v[77:78], v[77:78], -v[169:170]
	v_fma_f64 v[215:216], v[217:218], v[213:214], v[215:216]
	v_add_f64 v[79:80], v[79:80], -v[215:216]
	ds_read2_b64 v[215:218], v253 offset0:76 offset1:77
	s_waitcnt lgkmcnt(0)
	v_mul_f64 v[169:170], v[217:218], v[171:172]
	v_fma_f64 v[169:170], v[215:216], v[213:214], -v[169:170]
	v_mul_f64 v[215:216], v[215:216], v[171:172]
	v_add_f64 v[73:74], v[73:74], -v[169:170]
	v_fma_f64 v[215:216], v[217:218], v[213:214], v[215:216]
	v_add_f64 v[75:76], v[75:76], -v[215:216]
	ds_read2_b64 v[215:218], v253 offset0:78 offset1:79
	s_waitcnt lgkmcnt(0)
	v_mul_f64 v[169:170], v[217:218], v[171:172]
	v_fma_f64 v[169:170], v[215:216], v[213:214], -v[169:170]
	v_mul_f64 v[215:216], v[215:216], v[171:172]
	v_add_f64 v[69:70], v[69:70], -v[169:170]
	v_fma_f64 v[215:216], v[217:218], v[213:214], v[215:216]
	v_add_f64 v[71:72], v[71:72], -v[215:216]
	ds_read2_b64 v[215:218], v253 offset0:80 offset1:81
	s_waitcnt lgkmcnt(0)
	v_mul_f64 v[169:170], v[217:218], v[171:172]
	v_fma_f64 v[169:170], v[215:216], v[213:214], -v[169:170]
	v_mul_f64 v[215:216], v[215:216], v[171:172]
	v_add_f64 v[65:66], v[65:66], -v[169:170]
	v_fma_f64 v[215:216], v[217:218], v[213:214], v[215:216]
	v_add_f64 v[67:68], v[67:68], -v[215:216]
	ds_read2_b64 v[215:218], v253 offset0:82 offset1:83
	s_waitcnt lgkmcnt(0)
	v_mul_f64 v[169:170], v[217:218], v[171:172]
	v_fma_f64 v[169:170], v[215:216], v[213:214], -v[169:170]
	v_mul_f64 v[215:216], v[215:216], v[171:172]
	v_add_f64 v[61:62], v[61:62], -v[169:170]
	v_fma_f64 v[215:216], v[217:218], v[213:214], v[215:216]
	v_add_f64 v[63:64], v[63:64], -v[215:216]
	ds_read2_b64 v[215:218], v253 offset0:84 offset1:85
	s_waitcnt lgkmcnt(0)
	v_mul_f64 v[169:170], v[217:218], v[171:172]
	v_fma_f64 v[169:170], v[215:216], v[213:214], -v[169:170]
	v_mul_f64 v[215:216], v[215:216], v[171:172]
	v_add_f64 v[57:58], v[57:58], -v[169:170]
	v_fma_f64 v[215:216], v[217:218], v[213:214], v[215:216]
	v_add_f64 v[59:60], v[59:60], -v[215:216]
	ds_read2_b64 v[215:218], v253 offset0:86 offset1:87
	s_waitcnt lgkmcnt(0)
	v_mul_f64 v[169:170], v[217:218], v[171:172]
	v_fma_f64 v[169:170], v[215:216], v[213:214], -v[169:170]
	v_mul_f64 v[215:216], v[215:216], v[171:172]
	v_add_f64 v[53:54], v[53:54], -v[169:170]
	v_fma_f64 v[215:216], v[217:218], v[213:214], v[215:216]
	v_add_f64 v[55:56], v[55:56], -v[215:216]
	ds_read2_b64 v[215:218], v253 offset0:88 offset1:89
	s_waitcnt lgkmcnt(0)
	v_mul_f64 v[169:170], v[217:218], v[171:172]
	v_fma_f64 v[169:170], v[215:216], v[213:214], -v[169:170]
	v_mul_f64 v[215:216], v[215:216], v[171:172]
	v_add_f64 v[49:50], v[49:50], -v[169:170]
	v_fma_f64 v[215:216], v[217:218], v[213:214], v[215:216]
	v_add_f64 v[51:52], v[51:52], -v[215:216]
	ds_read2_b64 v[215:218], v253 offset0:90 offset1:91
	s_waitcnt lgkmcnt(0)
	v_mul_f64 v[169:170], v[217:218], v[171:172]
	v_fma_f64 v[169:170], v[215:216], v[213:214], -v[169:170]
	v_mul_f64 v[215:216], v[215:216], v[171:172]
	v_add_f64 v[45:46], v[45:46], -v[169:170]
	v_fma_f64 v[215:216], v[217:218], v[213:214], v[215:216]
	v_add_f64 v[47:48], v[47:48], -v[215:216]
	ds_read2_b64 v[215:218], v253 offset0:92 offset1:93
	s_waitcnt lgkmcnt(0)
	v_mul_f64 v[169:170], v[217:218], v[171:172]
	v_fma_f64 v[169:170], v[215:216], v[213:214], -v[169:170]
	v_mul_f64 v[215:216], v[215:216], v[171:172]
	v_add_f64 v[41:42], v[41:42], -v[169:170]
	v_fma_f64 v[215:216], v[217:218], v[213:214], v[215:216]
	v_add_f64 v[43:44], v[43:44], -v[215:216]
	ds_read2_b64 v[215:218], v253 offset0:94 offset1:95
	s_waitcnt lgkmcnt(0)
	v_mul_f64 v[169:170], v[217:218], v[171:172]
	v_fma_f64 v[169:170], v[215:216], v[213:214], -v[169:170]
	v_mul_f64 v[215:216], v[215:216], v[171:172]
	v_add_f64 v[37:38], v[37:38], -v[169:170]
	v_fma_f64 v[215:216], v[217:218], v[213:214], v[215:216]
	v_add_f64 v[39:40], v[39:40], -v[215:216]
	ds_read2_b64 v[215:218], v253 offset0:96 offset1:97
	s_waitcnt lgkmcnt(0)
	v_mul_f64 v[169:170], v[217:218], v[171:172]
	v_fma_f64 v[169:170], v[215:216], v[213:214], -v[169:170]
	v_mul_f64 v[215:216], v[215:216], v[171:172]
	v_add_f64 v[33:34], v[33:34], -v[169:170]
	v_fma_f64 v[215:216], v[217:218], v[213:214], v[215:216]
	v_add_f64 v[35:36], v[35:36], -v[215:216]
	ds_read2_b64 v[215:218], v253 offset0:98 offset1:99
	s_waitcnt lgkmcnt(0)
	v_mul_f64 v[169:170], v[217:218], v[171:172]
	v_fma_f64 v[169:170], v[215:216], v[213:214], -v[169:170]
	v_mul_f64 v[215:216], v[215:216], v[171:172]
	v_add_f64 v[29:30], v[29:30], -v[169:170]
	v_fma_f64 v[215:216], v[217:218], v[213:214], v[215:216]
	v_add_f64 v[31:32], v[31:32], -v[215:216]
	ds_read2_b64 v[215:218], v253 offset0:100 offset1:101
	s_waitcnt lgkmcnt(0)
	v_mul_f64 v[169:170], v[217:218], v[171:172]
	v_fma_f64 v[169:170], v[215:216], v[213:214], -v[169:170]
	v_mul_f64 v[215:216], v[215:216], v[171:172]
	v_add_f64 v[25:26], v[25:26], -v[169:170]
	v_fma_f64 v[215:216], v[217:218], v[213:214], v[215:216]
	v_add_f64 v[27:28], v[27:28], -v[215:216]
	ds_read2_b64 v[215:218], v253 offset0:102 offset1:103
	s_waitcnt lgkmcnt(0)
	v_mul_f64 v[169:170], v[217:218], v[171:172]
	v_fma_f64 v[169:170], v[215:216], v[213:214], -v[169:170]
	v_mul_f64 v[215:216], v[215:216], v[171:172]
	v_add_f64 v[21:22], v[21:22], -v[169:170]
	v_fma_f64 v[215:216], v[217:218], v[213:214], v[215:216]
	v_add_f64 v[23:24], v[23:24], -v[215:216]
	ds_read2_b64 v[215:218], v253 offset0:104 offset1:105
	s_waitcnt lgkmcnt(0)
	v_mul_f64 v[169:170], v[217:218], v[171:172]
	v_fma_f64 v[169:170], v[215:216], v[213:214], -v[169:170]
	v_mul_f64 v[215:216], v[215:216], v[171:172]
	v_add_f64 v[17:18], v[17:18], -v[169:170]
	v_fma_f64 v[215:216], v[217:218], v[213:214], v[215:216]
	v_add_f64 v[19:20], v[19:20], -v[215:216]
	ds_read2_b64 v[215:218], v253 offset0:106 offset1:107
	s_waitcnt lgkmcnt(0)
	v_mul_f64 v[169:170], v[217:218], v[171:172]
	v_fma_f64 v[169:170], v[215:216], v[213:214], -v[169:170]
	v_mul_f64 v[215:216], v[215:216], v[171:172]
	v_add_f64 v[13:14], v[13:14], -v[169:170]
	v_fma_f64 v[215:216], v[217:218], v[213:214], v[215:216]
	v_add_f64 v[15:16], v[15:16], -v[215:216]
	ds_read2_b64 v[215:218], v253 offset0:108 offset1:109
	s_waitcnt lgkmcnt(0)
	v_mul_f64 v[169:170], v[217:218], v[171:172]
	v_fma_f64 v[169:170], v[215:216], v[213:214], -v[169:170]
	v_mul_f64 v[215:216], v[215:216], v[171:172]
	v_add_f64 v[9:10], v[9:10], -v[169:170]
	v_fma_f64 v[215:216], v[217:218], v[213:214], v[215:216]
	v_add_f64 v[11:12], v[11:12], -v[215:216]
	ds_read2_b64 v[215:218], v253 offset0:110 offset1:111
	s_waitcnt lgkmcnt(0)
	v_mul_f64 v[169:170], v[217:218], v[171:172]
	v_fma_f64 v[169:170], v[215:216], v[213:214], -v[169:170]
	v_mul_f64 v[215:216], v[215:216], v[171:172]
	v_add_f64 v[5:6], v[5:6], -v[169:170]
	v_fma_f64 v[215:216], v[217:218], v[213:214], v[215:216]
	v_add_f64 v[7:8], v[7:8], -v[215:216]
	ds_read2_b64 v[215:218], v253 offset0:112 offset1:113
	s_waitcnt lgkmcnt(0)
	v_mul_f64 v[169:170], v[217:218], v[171:172]
	v_fma_f64 v[169:170], v[215:216], v[213:214], -v[169:170]
	v_mul_f64 v[215:216], v[215:216], v[171:172]
	v_add_f64 v[1:2], v[1:2], -v[169:170]
	v_fma_f64 v[215:216], v[217:218], v[213:214], v[215:216]
	v_mov_b32_e32 v169, v213
	v_mov_b32_e32 v170, v214
	v_add_f64 v[3:4], v[3:4], -v[215:216]
.LBB113_136:
	s_or_b32 exec_lo, exec_lo, s1
	s_mov_b32 s2, exec_lo
	s_waitcnt_vscnt null, 0x0
	s_barrier
	buffer_gl0_inv
	v_cmpx_eq_u32_e32 15, v0
	s_cbranch_execz .LBB113_143
; %bb.137:
	ds_write2_b64 v255, v[165:166], v[167:168] offset1:1
	ds_write2_b64 v253, v[161:162], v[163:164] offset0:32 offset1:33
	ds_write2_b64 v253, v[157:158], v[159:160] offset0:34 offset1:35
	;; [unrolled: 1-line block ×41, first 2 shown]
	ds_read2_b64 v[213:216], v255 offset1:1
	s_waitcnt lgkmcnt(0)
	v_cmp_neq_f64_e32 vcc_lo, 0, v[213:214]
	v_cmp_neq_f64_e64 s1, 0, v[215:216]
	s_or_b32 s1, vcc_lo, s1
	s_and_b32 exec_lo, exec_lo, s1
	s_cbranch_execz .LBB113_143
; %bb.138:
	v_cmp_ngt_f64_e64 s1, |v[213:214]|, |v[215:216]|
                                        ; implicit-def: $vgpr217_vgpr218
	s_and_saveexec_b32 s3, s1
	s_xor_b32 s1, exec_lo, s3
                                        ; implicit-def: $vgpr219_vgpr220
	s_cbranch_execz .LBB113_140
; %bb.139:
	v_div_scale_f64 v[217:218], null, v[215:216], v[215:216], v[213:214]
	v_div_scale_f64 v[223:224], vcc_lo, v[213:214], v[215:216], v[213:214]
	v_rcp_f64_e32 v[219:220], v[217:218]
	v_fma_f64 v[221:222], -v[217:218], v[219:220], 1.0
	v_fma_f64 v[219:220], v[219:220], v[221:222], v[219:220]
	v_fma_f64 v[221:222], -v[217:218], v[219:220], 1.0
	v_fma_f64 v[219:220], v[219:220], v[221:222], v[219:220]
	v_mul_f64 v[221:222], v[223:224], v[219:220]
	v_fma_f64 v[217:218], -v[217:218], v[221:222], v[223:224]
	v_div_fmas_f64 v[217:218], v[217:218], v[219:220], v[221:222]
	v_div_fixup_f64 v[217:218], v[217:218], v[215:216], v[213:214]
	v_fma_f64 v[213:214], v[213:214], v[217:218], v[215:216]
	v_div_scale_f64 v[215:216], null, v[213:214], v[213:214], 1.0
	v_rcp_f64_e32 v[219:220], v[215:216]
	v_fma_f64 v[221:222], -v[215:216], v[219:220], 1.0
	v_fma_f64 v[219:220], v[219:220], v[221:222], v[219:220]
	v_fma_f64 v[221:222], -v[215:216], v[219:220], 1.0
	v_fma_f64 v[219:220], v[219:220], v[221:222], v[219:220]
	v_div_scale_f64 v[221:222], vcc_lo, 1.0, v[213:214], 1.0
	v_mul_f64 v[223:224], v[221:222], v[219:220]
	v_fma_f64 v[215:216], -v[215:216], v[223:224], v[221:222]
	v_div_fmas_f64 v[215:216], v[215:216], v[219:220], v[223:224]
	v_div_fixup_f64 v[219:220], v[215:216], v[213:214], 1.0
                                        ; implicit-def: $vgpr213_vgpr214
	v_mul_f64 v[217:218], v[217:218], v[219:220]
	v_xor_b32_e32 v220, 0x80000000, v220
.LBB113_140:
	s_andn2_saveexec_b32 s1, s1
	s_cbranch_execz .LBB113_142
; %bb.141:
	v_div_scale_f64 v[217:218], null, v[213:214], v[213:214], v[215:216]
	v_div_scale_f64 v[223:224], vcc_lo, v[215:216], v[213:214], v[215:216]
	v_rcp_f64_e32 v[219:220], v[217:218]
	v_fma_f64 v[221:222], -v[217:218], v[219:220], 1.0
	v_fma_f64 v[219:220], v[219:220], v[221:222], v[219:220]
	v_fma_f64 v[221:222], -v[217:218], v[219:220], 1.0
	v_fma_f64 v[219:220], v[219:220], v[221:222], v[219:220]
	v_mul_f64 v[221:222], v[223:224], v[219:220]
	v_fma_f64 v[217:218], -v[217:218], v[221:222], v[223:224]
	v_div_fmas_f64 v[217:218], v[217:218], v[219:220], v[221:222]
	v_div_fixup_f64 v[219:220], v[217:218], v[213:214], v[215:216]
	v_fma_f64 v[213:214], v[215:216], v[219:220], v[213:214]
	v_div_scale_f64 v[215:216], null, v[213:214], v[213:214], 1.0
	v_rcp_f64_e32 v[217:218], v[215:216]
	v_fma_f64 v[221:222], -v[215:216], v[217:218], 1.0
	v_fma_f64 v[217:218], v[217:218], v[221:222], v[217:218]
	v_fma_f64 v[221:222], -v[215:216], v[217:218], 1.0
	v_fma_f64 v[217:218], v[217:218], v[221:222], v[217:218]
	v_div_scale_f64 v[221:222], vcc_lo, 1.0, v[213:214], 1.0
	v_mul_f64 v[223:224], v[221:222], v[217:218]
	v_fma_f64 v[215:216], -v[215:216], v[223:224], v[221:222]
	v_div_fmas_f64 v[215:216], v[215:216], v[217:218], v[223:224]
	v_div_fixup_f64 v[217:218], v[215:216], v[213:214], 1.0
	v_mul_f64 v[219:220], v[219:220], -v[217:218]
.LBB113_142:
	s_or_b32 exec_lo, exec_lo, s1
	ds_write2_b64 v255, v[217:218], v[219:220] offset1:1
.LBB113_143:
	s_or_b32 exec_lo, exec_lo, s2
	s_waitcnt lgkmcnt(0)
	s_barrier
	buffer_gl0_inv
	ds_read2_b64 v[193:196], v255 offset1:1
	s_mov_b32 s1, exec_lo
	s_waitcnt lgkmcnt(0)
	buffer_store_dword v193, off, s[16:19], 0 offset:704 ; 4-byte Folded Spill
	buffer_store_dword v194, off, s[16:19], 0 offset:708 ; 4-byte Folded Spill
	;; [unrolled: 1-line block ×4, first 2 shown]
	v_cmpx_lt_u32_e32 15, v0
	s_cbranch_execz .LBB113_145
; %bb.144:
	s_clause 0x3
	buffer_load_dword v193, off, s[16:19], 0 offset:704
	buffer_load_dword v194, off, s[16:19], 0 offset:708
	buffer_load_dword v195, off, s[16:19], 0 offset:712
	buffer_load_dword v196, off, s[16:19], 0 offset:716
	ds_read2_b64 v[215:218], v253 offset0:32 offset1:33
	s_waitcnt vmcnt(0)
	v_mul_f64 v[213:214], v[195:196], v[167:168]
	v_mul_f64 v[167:168], v[193:194], v[167:168]
	v_fma_f64 v[213:214], v[193:194], v[165:166], -v[213:214]
	v_fma_f64 v[167:168], v[195:196], v[165:166], v[167:168]
	s_waitcnt lgkmcnt(0)
	v_mul_f64 v[165:166], v[217:218], v[167:168]
	v_fma_f64 v[165:166], v[215:216], v[213:214], -v[165:166]
	v_mul_f64 v[215:216], v[215:216], v[167:168]
	v_add_f64 v[161:162], v[161:162], -v[165:166]
	v_fma_f64 v[215:216], v[217:218], v[213:214], v[215:216]
	v_add_f64 v[163:164], v[163:164], -v[215:216]
	ds_read2_b64 v[215:218], v253 offset0:34 offset1:35
	s_waitcnt lgkmcnt(0)
	v_mul_f64 v[165:166], v[217:218], v[167:168]
	v_fma_f64 v[165:166], v[215:216], v[213:214], -v[165:166]
	v_mul_f64 v[215:216], v[215:216], v[167:168]
	v_add_f64 v[157:158], v[157:158], -v[165:166]
	v_fma_f64 v[215:216], v[217:218], v[213:214], v[215:216]
	v_add_f64 v[159:160], v[159:160], -v[215:216]
	ds_read2_b64 v[215:218], v253 offset0:36 offset1:37
	;; [unrolled: 8-line block ×40, first 2 shown]
	s_waitcnt lgkmcnt(0)
	v_mul_f64 v[165:166], v[217:218], v[167:168]
	v_fma_f64 v[165:166], v[215:216], v[213:214], -v[165:166]
	v_mul_f64 v[215:216], v[215:216], v[167:168]
	v_add_f64 v[1:2], v[1:2], -v[165:166]
	v_fma_f64 v[215:216], v[217:218], v[213:214], v[215:216]
	v_mov_b32_e32 v165, v213
	v_mov_b32_e32 v166, v214
	v_add_f64 v[3:4], v[3:4], -v[215:216]
.LBB113_145:
	s_or_b32 exec_lo, exec_lo, s1
	s_mov_b32 s2, exec_lo
	s_waitcnt_vscnt null, 0x0
	s_barrier
	buffer_gl0_inv
	v_cmpx_eq_u32_e32 16, v0
	s_cbranch_execz .LBB113_152
; %bb.146:
	ds_write2_b64 v255, v[161:162], v[163:164] offset1:1
	ds_write2_b64 v253, v[157:158], v[159:160] offset0:34 offset1:35
	ds_write2_b64 v253, v[153:154], v[155:156] offset0:36 offset1:37
	;; [unrolled: 1-line block ×40, first 2 shown]
	ds_read2_b64 v[213:216], v255 offset1:1
	s_waitcnt lgkmcnt(0)
	v_cmp_neq_f64_e32 vcc_lo, 0, v[213:214]
	v_cmp_neq_f64_e64 s1, 0, v[215:216]
	s_or_b32 s1, vcc_lo, s1
	s_and_b32 exec_lo, exec_lo, s1
	s_cbranch_execz .LBB113_152
; %bb.147:
	v_cmp_ngt_f64_e64 s1, |v[213:214]|, |v[215:216]|
                                        ; implicit-def: $vgpr217_vgpr218
	s_and_saveexec_b32 s3, s1
	s_xor_b32 s1, exec_lo, s3
                                        ; implicit-def: $vgpr219_vgpr220
	s_cbranch_execz .LBB113_149
; %bb.148:
	v_div_scale_f64 v[217:218], null, v[215:216], v[215:216], v[213:214]
	v_div_scale_f64 v[223:224], vcc_lo, v[213:214], v[215:216], v[213:214]
	v_rcp_f64_e32 v[219:220], v[217:218]
	v_fma_f64 v[221:222], -v[217:218], v[219:220], 1.0
	v_fma_f64 v[219:220], v[219:220], v[221:222], v[219:220]
	v_fma_f64 v[221:222], -v[217:218], v[219:220], 1.0
	v_fma_f64 v[219:220], v[219:220], v[221:222], v[219:220]
	v_mul_f64 v[221:222], v[223:224], v[219:220]
	v_fma_f64 v[217:218], -v[217:218], v[221:222], v[223:224]
	v_div_fmas_f64 v[217:218], v[217:218], v[219:220], v[221:222]
	v_div_fixup_f64 v[217:218], v[217:218], v[215:216], v[213:214]
	v_fma_f64 v[213:214], v[213:214], v[217:218], v[215:216]
	v_div_scale_f64 v[215:216], null, v[213:214], v[213:214], 1.0
	v_rcp_f64_e32 v[219:220], v[215:216]
	v_fma_f64 v[221:222], -v[215:216], v[219:220], 1.0
	v_fma_f64 v[219:220], v[219:220], v[221:222], v[219:220]
	v_fma_f64 v[221:222], -v[215:216], v[219:220], 1.0
	v_fma_f64 v[219:220], v[219:220], v[221:222], v[219:220]
	v_div_scale_f64 v[221:222], vcc_lo, 1.0, v[213:214], 1.0
	v_mul_f64 v[223:224], v[221:222], v[219:220]
	v_fma_f64 v[215:216], -v[215:216], v[223:224], v[221:222]
	v_div_fmas_f64 v[215:216], v[215:216], v[219:220], v[223:224]
	v_div_fixup_f64 v[219:220], v[215:216], v[213:214], 1.0
                                        ; implicit-def: $vgpr213_vgpr214
	v_mul_f64 v[217:218], v[217:218], v[219:220]
	v_xor_b32_e32 v220, 0x80000000, v220
.LBB113_149:
	s_andn2_saveexec_b32 s1, s1
	s_cbranch_execz .LBB113_151
; %bb.150:
	v_div_scale_f64 v[217:218], null, v[213:214], v[213:214], v[215:216]
	v_div_scale_f64 v[223:224], vcc_lo, v[215:216], v[213:214], v[215:216]
	v_rcp_f64_e32 v[219:220], v[217:218]
	v_fma_f64 v[221:222], -v[217:218], v[219:220], 1.0
	v_fma_f64 v[219:220], v[219:220], v[221:222], v[219:220]
	v_fma_f64 v[221:222], -v[217:218], v[219:220], 1.0
	v_fma_f64 v[219:220], v[219:220], v[221:222], v[219:220]
	v_mul_f64 v[221:222], v[223:224], v[219:220]
	v_fma_f64 v[217:218], -v[217:218], v[221:222], v[223:224]
	v_div_fmas_f64 v[217:218], v[217:218], v[219:220], v[221:222]
	v_div_fixup_f64 v[219:220], v[217:218], v[213:214], v[215:216]
	v_fma_f64 v[213:214], v[215:216], v[219:220], v[213:214]
	v_div_scale_f64 v[215:216], null, v[213:214], v[213:214], 1.0
	v_rcp_f64_e32 v[217:218], v[215:216]
	v_fma_f64 v[221:222], -v[215:216], v[217:218], 1.0
	v_fma_f64 v[217:218], v[217:218], v[221:222], v[217:218]
	v_fma_f64 v[221:222], -v[215:216], v[217:218], 1.0
	v_fma_f64 v[217:218], v[217:218], v[221:222], v[217:218]
	v_div_scale_f64 v[221:222], vcc_lo, 1.0, v[213:214], 1.0
	v_mul_f64 v[223:224], v[221:222], v[217:218]
	v_fma_f64 v[215:216], -v[215:216], v[223:224], v[221:222]
	v_div_fmas_f64 v[215:216], v[215:216], v[217:218], v[223:224]
	v_div_fixup_f64 v[217:218], v[215:216], v[213:214], 1.0
	v_mul_f64 v[219:220], v[219:220], -v[217:218]
.LBB113_151:
	s_or_b32 exec_lo, exec_lo, s1
	ds_write2_b64 v255, v[217:218], v[219:220] offset1:1
.LBB113_152:
	s_or_b32 exec_lo, exec_lo, s2
	s_waitcnt lgkmcnt(0)
	s_barrier
	buffer_gl0_inv
	ds_read2_b64 v[193:196], v255 offset1:1
	s_mov_b32 s1, exec_lo
	s_waitcnt lgkmcnt(0)
	buffer_store_dword v193, off, s[16:19], 0 offset:720 ; 4-byte Folded Spill
	buffer_store_dword v194, off, s[16:19], 0 offset:724 ; 4-byte Folded Spill
	;; [unrolled: 1-line block ×4, first 2 shown]
	v_cmpx_lt_u32_e32 16, v0
	s_cbranch_execz .LBB113_154
; %bb.153:
	s_clause 0x3
	buffer_load_dword v193, off, s[16:19], 0 offset:720
	buffer_load_dword v194, off, s[16:19], 0 offset:724
	;; [unrolled: 1-line block ×4, first 2 shown]
	ds_read2_b64 v[215:218], v253 offset0:34 offset1:35
	s_waitcnt vmcnt(0)
	v_mul_f64 v[213:214], v[195:196], v[163:164]
	v_mul_f64 v[163:164], v[193:194], v[163:164]
	v_fma_f64 v[213:214], v[193:194], v[161:162], -v[213:214]
	v_fma_f64 v[163:164], v[195:196], v[161:162], v[163:164]
	s_waitcnt lgkmcnt(0)
	v_mul_f64 v[161:162], v[217:218], v[163:164]
	v_fma_f64 v[161:162], v[215:216], v[213:214], -v[161:162]
	v_mul_f64 v[215:216], v[215:216], v[163:164]
	v_add_f64 v[157:158], v[157:158], -v[161:162]
	v_fma_f64 v[215:216], v[217:218], v[213:214], v[215:216]
	v_add_f64 v[159:160], v[159:160], -v[215:216]
	ds_read2_b64 v[215:218], v253 offset0:36 offset1:37
	s_waitcnt lgkmcnt(0)
	v_mul_f64 v[161:162], v[217:218], v[163:164]
	v_fma_f64 v[161:162], v[215:216], v[213:214], -v[161:162]
	v_mul_f64 v[215:216], v[215:216], v[163:164]
	v_add_f64 v[153:154], v[153:154], -v[161:162]
	v_fma_f64 v[215:216], v[217:218], v[213:214], v[215:216]
	v_add_f64 v[155:156], v[155:156], -v[215:216]
	ds_read2_b64 v[215:218], v253 offset0:38 offset1:39
	;; [unrolled: 8-line block ×39, first 2 shown]
	s_waitcnt lgkmcnt(0)
	v_mul_f64 v[161:162], v[217:218], v[163:164]
	v_fma_f64 v[161:162], v[215:216], v[213:214], -v[161:162]
	v_mul_f64 v[215:216], v[215:216], v[163:164]
	v_add_f64 v[1:2], v[1:2], -v[161:162]
	v_fma_f64 v[215:216], v[217:218], v[213:214], v[215:216]
	v_mov_b32_e32 v161, v213
	v_mov_b32_e32 v162, v214
	v_add_f64 v[3:4], v[3:4], -v[215:216]
.LBB113_154:
	s_or_b32 exec_lo, exec_lo, s1
	s_mov_b32 s2, exec_lo
	s_waitcnt_vscnt null, 0x0
	s_barrier
	buffer_gl0_inv
	v_cmpx_eq_u32_e32 17, v0
	s_cbranch_execz .LBB113_161
; %bb.155:
	ds_write2_b64 v255, v[157:158], v[159:160] offset1:1
	ds_write2_b64 v253, v[153:154], v[155:156] offset0:36 offset1:37
	ds_write2_b64 v253, v[149:150], v[151:152] offset0:38 offset1:39
	ds_write2_b64 v253, v[145:146], v[147:148] offset0:40 offset1:41
	ds_write2_b64 v253, v[141:142], v[143:144] offset0:42 offset1:43
	ds_write2_b64 v253, v[137:138], v[139:140] offset0:44 offset1:45
	ds_write2_b64 v253, v[133:134], v[135:136] offset0:46 offset1:47
	ds_write2_b64 v253, v[129:130], v[131:132] offset0:48 offset1:49
	ds_write2_b64 v253, v[125:126], v[127:128] offset0:50 offset1:51
	ds_write2_b64 v253, v[121:122], v[123:124] offset0:52 offset1:53
	ds_write2_b64 v253, v[117:118], v[119:120] offset0:54 offset1:55
	ds_write2_b64 v253, v[113:114], v[115:116] offset0:56 offset1:57
	ds_write2_b64 v253, v[109:110], v[111:112] offset0:58 offset1:59
	ds_write2_b64 v253, v[105:106], v[107:108] offset0:60 offset1:61
	ds_write2_b64 v253, v[101:102], v[103:104] offset0:62 offset1:63
	ds_write2_b64 v253, v[97:98], v[99:100] offset0:64 offset1:65
	ds_write2_b64 v253, v[93:94], v[95:96] offset0:66 offset1:67
	ds_write2_b64 v253, v[89:90], v[91:92] offset0:68 offset1:69
	ds_write2_b64 v253, v[85:86], v[87:88] offset0:70 offset1:71
	ds_write2_b64 v253, v[81:82], v[83:84] offset0:72 offset1:73
	ds_write2_b64 v253, v[77:78], v[79:80] offset0:74 offset1:75
	ds_write2_b64 v253, v[73:74], v[75:76] offset0:76 offset1:77
	ds_write2_b64 v253, v[69:70], v[71:72] offset0:78 offset1:79
	ds_write2_b64 v253, v[65:66], v[67:68] offset0:80 offset1:81
	ds_write2_b64 v253, v[61:62], v[63:64] offset0:82 offset1:83
	ds_write2_b64 v253, v[57:58], v[59:60] offset0:84 offset1:85
	ds_write2_b64 v253, v[53:54], v[55:56] offset0:86 offset1:87
	ds_write2_b64 v253, v[49:50], v[51:52] offset0:88 offset1:89
	ds_write2_b64 v253, v[45:46], v[47:48] offset0:90 offset1:91
	ds_write2_b64 v253, v[41:42], v[43:44] offset0:92 offset1:93
	ds_write2_b64 v253, v[37:38], v[39:40] offset0:94 offset1:95
	ds_write2_b64 v253, v[33:34], v[35:36] offset0:96 offset1:97
	ds_write2_b64 v253, v[29:30], v[31:32] offset0:98 offset1:99
	ds_write2_b64 v253, v[25:26], v[27:28] offset0:100 offset1:101
	ds_write2_b64 v253, v[21:22], v[23:24] offset0:102 offset1:103
	ds_write2_b64 v253, v[17:18], v[19:20] offset0:104 offset1:105
	ds_write2_b64 v253, v[13:14], v[15:16] offset0:106 offset1:107
	ds_write2_b64 v253, v[9:10], v[11:12] offset0:108 offset1:109
	ds_write2_b64 v253, v[5:6], v[7:8] offset0:110 offset1:111
	ds_write2_b64 v253, v[1:2], v[3:4] offset0:112 offset1:113
	ds_read2_b64 v[213:216], v255 offset1:1
	s_waitcnt lgkmcnt(0)
	v_cmp_neq_f64_e32 vcc_lo, 0, v[213:214]
	v_cmp_neq_f64_e64 s1, 0, v[215:216]
	s_or_b32 s1, vcc_lo, s1
	s_and_b32 exec_lo, exec_lo, s1
	s_cbranch_execz .LBB113_161
; %bb.156:
	v_cmp_ngt_f64_e64 s1, |v[213:214]|, |v[215:216]|
                                        ; implicit-def: $vgpr217_vgpr218
	s_and_saveexec_b32 s3, s1
	s_xor_b32 s1, exec_lo, s3
                                        ; implicit-def: $vgpr219_vgpr220
	s_cbranch_execz .LBB113_158
; %bb.157:
	v_div_scale_f64 v[217:218], null, v[215:216], v[215:216], v[213:214]
	v_div_scale_f64 v[223:224], vcc_lo, v[213:214], v[215:216], v[213:214]
	v_rcp_f64_e32 v[219:220], v[217:218]
	v_fma_f64 v[221:222], -v[217:218], v[219:220], 1.0
	v_fma_f64 v[219:220], v[219:220], v[221:222], v[219:220]
	v_fma_f64 v[221:222], -v[217:218], v[219:220], 1.0
	v_fma_f64 v[219:220], v[219:220], v[221:222], v[219:220]
	v_mul_f64 v[221:222], v[223:224], v[219:220]
	v_fma_f64 v[217:218], -v[217:218], v[221:222], v[223:224]
	v_div_fmas_f64 v[217:218], v[217:218], v[219:220], v[221:222]
	v_div_fixup_f64 v[217:218], v[217:218], v[215:216], v[213:214]
	v_fma_f64 v[213:214], v[213:214], v[217:218], v[215:216]
	v_div_scale_f64 v[215:216], null, v[213:214], v[213:214], 1.0
	v_rcp_f64_e32 v[219:220], v[215:216]
	v_fma_f64 v[221:222], -v[215:216], v[219:220], 1.0
	v_fma_f64 v[219:220], v[219:220], v[221:222], v[219:220]
	v_fma_f64 v[221:222], -v[215:216], v[219:220], 1.0
	v_fma_f64 v[219:220], v[219:220], v[221:222], v[219:220]
	v_div_scale_f64 v[221:222], vcc_lo, 1.0, v[213:214], 1.0
	v_mul_f64 v[223:224], v[221:222], v[219:220]
	v_fma_f64 v[215:216], -v[215:216], v[223:224], v[221:222]
	v_div_fmas_f64 v[215:216], v[215:216], v[219:220], v[223:224]
	v_div_fixup_f64 v[219:220], v[215:216], v[213:214], 1.0
                                        ; implicit-def: $vgpr213_vgpr214
	v_mul_f64 v[217:218], v[217:218], v[219:220]
	v_xor_b32_e32 v220, 0x80000000, v220
.LBB113_158:
	s_andn2_saveexec_b32 s1, s1
	s_cbranch_execz .LBB113_160
; %bb.159:
	v_div_scale_f64 v[217:218], null, v[213:214], v[213:214], v[215:216]
	v_div_scale_f64 v[223:224], vcc_lo, v[215:216], v[213:214], v[215:216]
	v_rcp_f64_e32 v[219:220], v[217:218]
	v_fma_f64 v[221:222], -v[217:218], v[219:220], 1.0
	v_fma_f64 v[219:220], v[219:220], v[221:222], v[219:220]
	v_fma_f64 v[221:222], -v[217:218], v[219:220], 1.0
	v_fma_f64 v[219:220], v[219:220], v[221:222], v[219:220]
	v_mul_f64 v[221:222], v[223:224], v[219:220]
	v_fma_f64 v[217:218], -v[217:218], v[221:222], v[223:224]
	v_div_fmas_f64 v[217:218], v[217:218], v[219:220], v[221:222]
	v_div_fixup_f64 v[219:220], v[217:218], v[213:214], v[215:216]
	v_fma_f64 v[213:214], v[215:216], v[219:220], v[213:214]
	v_div_scale_f64 v[215:216], null, v[213:214], v[213:214], 1.0
	v_rcp_f64_e32 v[217:218], v[215:216]
	v_fma_f64 v[221:222], -v[215:216], v[217:218], 1.0
	v_fma_f64 v[217:218], v[217:218], v[221:222], v[217:218]
	v_fma_f64 v[221:222], -v[215:216], v[217:218], 1.0
	v_fma_f64 v[217:218], v[217:218], v[221:222], v[217:218]
	v_div_scale_f64 v[221:222], vcc_lo, 1.0, v[213:214], 1.0
	v_mul_f64 v[223:224], v[221:222], v[217:218]
	v_fma_f64 v[215:216], -v[215:216], v[223:224], v[221:222]
	v_div_fmas_f64 v[215:216], v[215:216], v[217:218], v[223:224]
	v_div_fixup_f64 v[217:218], v[215:216], v[213:214], 1.0
	v_mul_f64 v[219:220], v[219:220], -v[217:218]
.LBB113_160:
	s_or_b32 exec_lo, exec_lo, s1
	ds_write2_b64 v255, v[217:218], v[219:220] offset1:1
.LBB113_161:
	s_or_b32 exec_lo, exec_lo, s2
	s_waitcnt lgkmcnt(0)
	s_barrier
	buffer_gl0_inv
	ds_read2_b64 v[193:196], v255 offset1:1
	s_mov_b32 s1, exec_lo
	s_waitcnt lgkmcnt(0)
	buffer_store_dword v193, off, s[16:19], 0 offset:736 ; 4-byte Folded Spill
	buffer_store_dword v194, off, s[16:19], 0 offset:740 ; 4-byte Folded Spill
	;; [unrolled: 1-line block ×4, first 2 shown]
	v_cmpx_lt_u32_e32 17, v0
	s_cbranch_execz .LBB113_163
; %bb.162:
	s_clause 0x3
	buffer_load_dword v193, off, s[16:19], 0 offset:736
	buffer_load_dword v194, off, s[16:19], 0 offset:740
	;; [unrolled: 1-line block ×4, first 2 shown]
	ds_read2_b64 v[215:218], v253 offset0:36 offset1:37
	s_waitcnt vmcnt(0)
	v_mul_f64 v[213:214], v[195:196], v[159:160]
	v_mul_f64 v[159:160], v[193:194], v[159:160]
	v_fma_f64 v[213:214], v[193:194], v[157:158], -v[213:214]
	v_fma_f64 v[159:160], v[195:196], v[157:158], v[159:160]
	s_waitcnt lgkmcnt(0)
	v_mul_f64 v[157:158], v[217:218], v[159:160]
	v_fma_f64 v[157:158], v[215:216], v[213:214], -v[157:158]
	v_mul_f64 v[215:216], v[215:216], v[159:160]
	v_add_f64 v[153:154], v[153:154], -v[157:158]
	v_fma_f64 v[215:216], v[217:218], v[213:214], v[215:216]
	v_add_f64 v[155:156], v[155:156], -v[215:216]
	ds_read2_b64 v[215:218], v253 offset0:38 offset1:39
	s_waitcnt lgkmcnt(0)
	v_mul_f64 v[157:158], v[217:218], v[159:160]
	v_fma_f64 v[157:158], v[215:216], v[213:214], -v[157:158]
	v_mul_f64 v[215:216], v[215:216], v[159:160]
	v_add_f64 v[149:150], v[149:150], -v[157:158]
	v_fma_f64 v[215:216], v[217:218], v[213:214], v[215:216]
	v_add_f64 v[151:152], v[151:152], -v[215:216]
	ds_read2_b64 v[215:218], v253 offset0:40 offset1:41
	;; [unrolled: 8-line block ×38, first 2 shown]
	s_waitcnt lgkmcnt(0)
	v_mul_f64 v[157:158], v[217:218], v[159:160]
	v_fma_f64 v[157:158], v[215:216], v[213:214], -v[157:158]
	v_mul_f64 v[215:216], v[215:216], v[159:160]
	v_add_f64 v[1:2], v[1:2], -v[157:158]
	v_fma_f64 v[215:216], v[217:218], v[213:214], v[215:216]
	v_mov_b32_e32 v157, v213
	v_mov_b32_e32 v158, v214
	v_add_f64 v[3:4], v[3:4], -v[215:216]
.LBB113_163:
	s_or_b32 exec_lo, exec_lo, s1
	s_mov_b32 s2, exec_lo
	s_waitcnt_vscnt null, 0x0
	s_barrier
	buffer_gl0_inv
	v_cmpx_eq_u32_e32 18, v0
	s_cbranch_execz .LBB113_170
; %bb.164:
	ds_write2_b64 v255, v[153:154], v[155:156] offset1:1
	ds_write2_b64 v253, v[149:150], v[151:152] offset0:38 offset1:39
	ds_write2_b64 v253, v[145:146], v[147:148] offset0:40 offset1:41
	;; [unrolled: 1-line block ×38, first 2 shown]
	ds_read2_b64 v[213:216], v255 offset1:1
	s_waitcnt lgkmcnt(0)
	v_cmp_neq_f64_e32 vcc_lo, 0, v[213:214]
	v_cmp_neq_f64_e64 s1, 0, v[215:216]
	s_or_b32 s1, vcc_lo, s1
	s_and_b32 exec_lo, exec_lo, s1
	s_cbranch_execz .LBB113_170
; %bb.165:
	v_cmp_ngt_f64_e64 s1, |v[213:214]|, |v[215:216]|
                                        ; implicit-def: $vgpr217_vgpr218
	s_and_saveexec_b32 s3, s1
	s_xor_b32 s1, exec_lo, s3
                                        ; implicit-def: $vgpr219_vgpr220
	s_cbranch_execz .LBB113_167
; %bb.166:
	v_div_scale_f64 v[217:218], null, v[215:216], v[215:216], v[213:214]
	v_div_scale_f64 v[223:224], vcc_lo, v[213:214], v[215:216], v[213:214]
	v_rcp_f64_e32 v[219:220], v[217:218]
	v_fma_f64 v[221:222], -v[217:218], v[219:220], 1.0
	v_fma_f64 v[219:220], v[219:220], v[221:222], v[219:220]
	v_fma_f64 v[221:222], -v[217:218], v[219:220], 1.0
	v_fma_f64 v[219:220], v[219:220], v[221:222], v[219:220]
	v_mul_f64 v[221:222], v[223:224], v[219:220]
	v_fma_f64 v[217:218], -v[217:218], v[221:222], v[223:224]
	v_div_fmas_f64 v[217:218], v[217:218], v[219:220], v[221:222]
	v_div_fixup_f64 v[217:218], v[217:218], v[215:216], v[213:214]
	v_fma_f64 v[213:214], v[213:214], v[217:218], v[215:216]
	v_div_scale_f64 v[215:216], null, v[213:214], v[213:214], 1.0
	v_rcp_f64_e32 v[219:220], v[215:216]
	v_fma_f64 v[221:222], -v[215:216], v[219:220], 1.0
	v_fma_f64 v[219:220], v[219:220], v[221:222], v[219:220]
	v_fma_f64 v[221:222], -v[215:216], v[219:220], 1.0
	v_fma_f64 v[219:220], v[219:220], v[221:222], v[219:220]
	v_div_scale_f64 v[221:222], vcc_lo, 1.0, v[213:214], 1.0
	v_mul_f64 v[223:224], v[221:222], v[219:220]
	v_fma_f64 v[215:216], -v[215:216], v[223:224], v[221:222]
	v_div_fmas_f64 v[215:216], v[215:216], v[219:220], v[223:224]
	v_div_fixup_f64 v[219:220], v[215:216], v[213:214], 1.0
                                        ; implicit-def: $vgpr213_vgpr214
	v_mul_f64 v[217:218], v[217:218], v[219:220]
	v_xor_b32_e32 v220, 0x80000000, v220
.LBB113_167:
	s_andn2_saveexec_b32 s1, s1
	s_cbranch_execz .LBB113_169
; %bb.168:
	v_div_scale_f64 v[217:218], null, v[213:214], v[213:214], v[215:216]
	v_div_scale_f64 v[223:224], vcc_lo, v[215:216], v[213:214], v[215:216]
	v_rcp_f64_e32 v[219:220], v[217:218]
	v_fma_f64 v[221:222], -v[217:218], v[219:220], 1.0
	v_fma_f64 v[219:220], v[219:220], v[221:222], v[219:220]
	v_fma_f64 v[221:222], -v[217:218], v[219:220], 1.0
	v_fma_f64 v[219:220], v[219:220], v[221:222], v[219:220]
	v_mul_f64 v[221:222], v[223:224], v[219:220]
	v_fma_f64 v[217:218], -v[217:218], v[221:222], v[223:224]
	v_div_fmas_f64 v[217:218], v[217:218], v[219:220], v[221:222]
	v_div_fixup_f64 v[219:220], v[217:218], v[213:214], v[215:216]
	v_fma_f64 v[213:214], v[215:216], v[219:220], v[213:214]
	v_div_scale_f64 v[215:216], null, v[213:214], v[213:214], 1.0
	v_rcp_f64_e32 v[217:218], v[215:216]
	v_fma_f64 v[221:222], -v[215:216], v[217:218], 1.0
	v_fma_f64 v[217:218], v[217:218], v[221:222], v[217:218]
	v_fma_f64 v[221:222], -v[215:216], v[217:218], 1.0
	v_fma_f64 v[217:218], v[217:218], v[221:222], v[217:218]
	v_div_scale_f64 v[221:222], vcc_lo, 1.0, v[213:214], 1.0
	v_mul_f64 v[223:224], v[221:222], v[217:218]
	v_fma_f64 v[215:216], -v[215:216], v[223:224], v[221:222]
	v_div_fmas_f64 v[215:216], v[215:216], v[217:218], v[223:224]
	v_div_fixup_f64 v[217:218], v[215:216], v[213:214], 1.0
	v_mul_f64 v[219:220], v[219:220], -v[217:218]
.LBB113_169:
	s_or_b32 exec_lo, exec_lo, s1
	ds_write2_b64 v255, v[217:218], v[219:220] offset1:1
.LBB113_170:
	s_or_b32 exec_lo, exec_lo, s2
	s_waitcnt lgkmcnt(0)
	s_barrier
	buffer_gl0_inv
	ds_read2_b64 v[193:196], v255 offset1:1
	s_mov_b32 s1, exec_lo
	s_waitcnt lgkmcnt(0)
	buffer_store_dword v193, off, s[16:19], 0 offset:752 ; 4-byte Folded Spill
	buffer_store_dword v194, off, s[16:19], 0 offset:756 ; 4-byte Folded Spill
	;; [unrolled: 1-line block ×4, first 2 shown]
	v_cmpx_lt_u32_e32 18, v0
	s_cbranch_execz .LBB113_172
; %bb.171:
	s_clause 0x3
	buffer_load_dword v193, off, s[16:19], 0 offset:752
	buffer_load_dword v194, off, s[16:19], 0 offset:756
	;; [unrolled: 1-line block ×4, first 2 shown]
	ds_read2_b64 v[215:218], v253 offset0:38 offset1:39
	s_waitcnt vmcnt(0)
	v_mul_f64 v[213:214], v[195:196], v[155:156]
	v_mul_f64 v[155:156], v[193:194], v[155:156]
	v_fma_f64 v[213:214], v[193:194], v[153:154], -v[213:214]
	v_fma_f64 v[155:156], v[195:196], v[153:154], v[155:156]
	s_waitcnt lgkmcnt(0)
	v_mul_f64 v[153:154], v[217:218], v[155:156]
	v_fma_f64 v[153:154], v[215:216], v[213:214], -v[153:154]
	v_mul_f64 v[215:216], v[215:216], v[155:156]
	v_add_f64 v[149:150], v[149:150], -v[153:154]
	v_fma_f64 v[215:216], v[217:218], v[213:214], v[215:216]
	v_add_f64 v[151:152], v[151:152], -v[215:216]
	ds_read2_b64 v[215:218], v253 offset0:40 offset1:41
	s_waitcnt lgkmcnt(0)
	v_mul_f64 v[153:154], v[217:218], v[155:156]
	v_fma_f64 v[153:154], v[215:216], v[213:214], -v[153:154]
	v_mul_f64 v[215:216], v[215:216], v[155:156]
	v_add_f64 v[145:146], v[145:146], -v[153:154]
	v_fma_f64 v[215:216], v[217:218], v[213:214], v[215:216]
	v_add_f64 v[147:148], v[147:148], -v[215:216]
	ds_read2_b64 v[215:218], v253 offset0:42 offset1:43
	;; [unrolled: 8-line block ×37, first 2 shown]
	s_waitcnt lgkmcnt(0)
	v_mul_f64 v[153:154], v[217:218], v[155:156]
	v_fma_f64 v[153:154], v[215:216], v[213:214], -v[153:154]
	v_mul_f64 v[215:216], v[215:216], v[155:156]
	v_add_f64 v[1:2], v[1:2], -v[153:154]
	v_fma_f64 v[215:216], v[217:218], v[213:214], v[215:216]
	v_mov_b32_e32 v153, v213
	v_mov_b32_e32 v154, v214
	v_add_f64 v[3:4], v[3:4], -v[215:216]
.LBB113_172:
	s_or_b32 exec_lo, exec_lo, s1
	s_mov_b32 s2, exec_lo
	s_waitcnt_vscnt null, 0x0
	s_barrier
	buffer_gl0_inv
	v_cmpx_eq_u32_e32 19, v0
	s_cbranch_execz .LBB113_179
; %bb.173:
	ds_write2_b64 v255, v[149:150], v[151:152] offset1:1
	ds_write2_b64 v253, v[145:146], v[147:148] offset0:40 offset1:41
	ds_write2_b64 v253, v[141:142], v[143:144] offset0:42 offset1:43
	;; [unrolled: 1-line block ×37, first 2 shown]
	ds_read2_b64 v[213:216], v255 offset1:1
	s_waitcnt lgkmcnt(0)
	v_cmp_neq_f64_e32 vcc_lo, 0, v[213:214]
	v_cmp_neq_f64_e64 s1, 0, v[215:216]
	s_or_b32 s1, vcc_lo, s1
	s_and_b32 exec_lo, exec_lo, s1
	s_cbranch_execz .LBB113_179
; %bb.174:
	v_cmp_ngt_f64_e64 s1, |v[213:214]|, |v[215:216]|
                                        ; implicit-def: $vgpr217_vgpr218
	s_and_saveexec_b32 s3, s1
	s_xor_b32 s1, exec_lo, s3
                                        ; implicit-def: $vgpr219_vgpr220
	s_cbranch_execz .LBB113_176
; %bb.175:
	v_div_scale_f64 v[217:218], null, v[215:216], v[215:216], v[213:214]
	v_div_scale_f64 v[223:224], vcc_lo, v[213:214], v[215:216], v[213:214]
	v_rcp_f64_e32 v[219:220], v[217:218]
	v_fma_f64 v[221:222], -v[217:218], v[219:220], 1.0
	v_fma_f64 v[219:220], v[219:220], v[221:222], v[219:220]
	v_fma_f64 v[221:222], -v[217:218], v[219:220], 1.0
	v_fma_f64 v[219:220], v[219:220], v[221:222], v[219:220]
	v_mul_f64 v[221:222], v[223:224], v[219:220]
	v_fma_f64 v[217:218], -v[217:218], v[221:222], v[223:224]
	v_div_fmas_f64 v[217:218], v[217:218], v[219:220], v[221:222]
	v_div_fixup_f64 v[217:218], v[217:218], v[215:216], v[213:214]
	v_fma_f64 v[213:214], v[213:214], v[217:218], v[215:216]
	v_div_scale_f64 v[215:216], null, v[213:214], v[213:214], 1.0
	v_rcp_f64_e32 v[219:220], v[215:216]
	v_fma_f64 v[221:222], -v[215:216], v[219:220], 1.0
	v_fma_f64 v[219:220], v[219:220], v[221:222], v[219:220]
	v_fma_f64 v[221:222], -v[215:216], v[219:220], 1.0
	v_fma_f64 v[219:220], v[219:220], v[221:222], v[219:220]
	v_div_scale_f64 v[221:222], vcc_lo, 1.0, v[213:214], 1.0
	v_mul_f64 v[223:224], v[221:222], v[219:220]
	v_fma_f64 v[215:216], -v[215:216], v[223:224], v[221:222]
	v_div_fmas_f64 v[215:216], v[215:216], v[219:220], v[223:224]
	v_div_fixup_f64 v[219:220], v[215:216], v[213:214], 1.0
                                        ; implicit-def: $vgpr213_vgpr214
	v_mul_f64 v[217:218], v[217:218], v[219:220]
	v_xor_b32_e32 v220, 0x80000000, v220
.LBB113_176:
	s_andn2_saveexec_b32 s1, s1
	s_cbranch_execz .LBB113_178
; %bb.177:
	v_div_scale_f64 v[217:218], null, v[213:214], v[213:214], v[215:216]
	v_div_scale_f64 v[223:224], vcc_lo, v[215:216], v[213:214], v[215:216]
	v_rcp_f64_e32 v[219:220], v[217:218]
	v_fma_f64 v[221:222], -v[217:218], v[219:220], 1.0
	v_fma_f64 v[219:220], v[219:220], v[221:222], v[219:220]
	v_fma_f64 v[221:222], -v[217:218], v[219:220], 1.0
	v_fma_f64 v[219:220], v[219:220], v[221:222], v[219:220]
	v_mul_f64 v[221:222], v[223:224], v[219:220]
	v_fma_f64 v[217:218], -v[217:218], v[221:222], v[223:224]
	v_div_fmas_f64 v[217:218], v[217:218], v[219:220], v[221:222]
	v_div_fixup_f64 v[219:220], v[217:218], v[213:214], v[215:216]
	v_fma_f64 v[213:214], v[215:216], v[219:220], v[213:214]
	v_div_scale_f64 v[215:216], null, v[213:214], v[213:214], 1.0
	v_rcp_f64_e32 v[217:218], v[215:216]
	v_fma_f64 v[221:222], -v[215:216], v[217:218], 1.0
	v_fma_f64 v[217:218], v[217:218], v[221:222], v[217:218]
	v_fma_f64 v[221:222], -v[215:216], v[217:218], 1.0
	v_fma_f64 v[217:218], v[217:218], v[221:222], v[217:218]
	v_div_scale_f64 v[221:222], vcc_lo, 1.0, v[213:214], 1.0
	v_mul_f64 v[223:224], v[221:222], v[217:218]
	v_fma_f64 v[215:216], -v[215:216], v[223:224], v[221:222]
	v_div_fmas_f64 v[215:216], v[215:216], v[217:218], v[223:224]
	v_div_fixup_f64 v[217:218], v[215:216], v[213:214], 1.0
	v_mul_f64 v[219:220], v[219:220], -v[217:218]
.LBB113_178:
	s_or_b32 exec_lo, exec_lo, s1
	ds_write2_b64 v255, v[217:218], v[219:220] offset1:1
.LBB113_179:
	s_or_b32 exec_lo, exec_lo, s2
	s_waitcnt lgkmcnt(0)
	s_barrier
	buffer_gl0_inv
	ds_read2_b64 v[193:196], v255 offset1:1
	s_mov_b32 s1, exec_lo
	s_waitcnt lgkmcnt(0)
	buffer_store_dword v193, off, s[16:19], 0 offset:768 ; 4-byte Folded Spill
	buffer_store_dword v194, off, s[16:19], 0 offset:772 ; 4-byte Folded Spill
	buffer_store_dword v195, off, s[16:19], 0 offset:776 ; 4-byte Folded Spill
	buffer_store_dword v196, off, s[16:19], 0 offset:780 ; 4-byte Folded Spill
	v_cmpx_lt_u32_e32 19, v0
	s_cbranch_execz .LBB113_181
; %bb.180:
	s_clause 0x3
	buffer_load_dword v193, off, s[16:19], 0 offset:768
	buffer_load_dword v194, off, s[16:19], 0 offset:772
	;; [unrolled: 1-line block ×4, first 2 shown]
	ds_read2_b64 v[215:218], v253 offset0:40 offset1:41
	s_waitcnt vmcnt(0)
	v_mul_f64 v[213:214], v[195:196], v[151:152]
	v_mul_f64 v[151:152], v[193:194], v[151:152]
	v_fma_f64 v[213:214], v[193:194], v[149:150], -v[213:214]
	v_fma_f64 v[151:152], v[195:196], v[149:150], v[151:152]
	s_waitcnt lgkmcnt(0)
	v_mul_f64 v[149:150], v[217:218], v[151:152]
	v_fma_f64 v[149:150], v[215:216], v[213:214], -v[149:150]
	v_mul_f64 v[215:216], v[215:216], v[151:152]
	v_add_f64 v[145:146], v[145:146], -v[149:150]
	v_fma_f64 v[215:216], v[217:218], v[213:214], v[215:216]
	v_add_f64 v[147:148], v[147:148], -v[215:216]
	ds_read2_b64 v[215:218], v253 offset0:42 offset1:43
	s_waitcnt lgkmcnt(0)
	v_mul_f64 v[149:150], v[217:218], v[151:152]
	v_fma_f64 v[149:150], v[215:216], v[213:214], -v[149:150]
	v_mul_f64 v[215:216], v[215:216], v[151:152]
	v_add_f64 v[141:142], v[141:142], -v[149:150]
	v_fma_f64 v[215:216], v[217:218], v[213:214], v[215:216]
	v_add_f64 v[143:144], v[143:144], -v[215:216]
	ds_read2_b64 v[215:218], v253 offset0:44 offset1:45
	;; [unrolled: 8-line block ×36, first 2 shown]
	s_waitcnt lgkmcnt(0)
	v_mul_f64 v[149:150], v[217:218], v[151:152]
	v_fma_f64 v[149:150], v[215:216], v[213:214], -v[149:150]
	v_mul_f64 v[215:216], v[215:216], v[151:152]
	v_add_f64 v[1:2], v[1:2], -v[149:150]
	v_fma_f64 v[215:216], v[217:218], v[213:214], v[215:216]
	v_mov_b32_e32 v149, v213
	v_mov_b32_e32 v150, v214
	v_add_f64 v[3:4], v[3:4], -v[215:216]
.LBB113_181:
	s_or_b32 exec_lo, exec_lo, s1
	s_mov_b32 s2, exec_lo
	s_waitcnt_vscnt null, 0x0
	s_barrier
	buffer_gl0_inv
	v_cmpx_eq_u32_e32 20, v0
	s_cbranch_execz .LBB113_188
; %bb.182:
	ds_write2_b64 v255, v[145:146], v[147:148] offset1:1
	ds_write2_b64 v253, v[141:142], v[143:144] offset0:42 offset1:43
	ds_write2_b64 v253, v[137:138], v[139:140] offset0:44 offset1:45
	;; [unrolled: 1-line block ×36, first 2 shown]
	ds_read2_b64 v[213:216], v255 offset1:1
	s_waitcnt lgkmcnt(0)
	v_cmp_neq_f64_e32 vcc_lo, 0, v[213:214]
	v_cmp_neq_f64_e64 s1, 0, v[215:216]
	s_or_b32 s1, vcc_lo, s1
	s_and_b32 exec_lo, exec_lo, s1
	s_cbranch_execz .LBB113_188
; %bb.183:
	v_cmp_ngt_f64_e64 s1, |v[213:214]|, |v[215:216]|
                                        ; implicit-def: $vgpr217_vgpr218
	s_and_saveexec_b32 s3, s1
	s_xor_b32 s1, exec_lo, s3
                                        ; implicit-def: $vgpr219_vgpr220
	s_cbranch_execz .LBB113_185
; %bb.184:
	v_div_scale_f64 v[217:218], null, v[215:216], v[215:216], v[213:214]
	v_div_scale_f64 v[223:224], vcc_lo, v[213:214], v[215:216], v[213:214]
	v_rcp_f64_e32 v[219:220], v[217:218]
	v_fma_f64 v[221:222], -v[217:218], v[219:220], 1.0
	v_fma_f64 v[219:220], v[219:220], v[221:222], v[219:220]
	v_fma_f64 v[221:222], -v[217:218], v[219:220], 1.0
	v_fma_f64 v[219:220], v[219:220], v[221:222], v[219:220]
	v_mul_f64 v[221:222], v[223:224], v[219:220]
	v_fma_f64 v[217:218], -v[217:218], v[221:222], v[223:224]
	v_div_fmas_f64 v[217:218], v[217:218], v[219:220], v[221:222]
	v_div_fixup_f64 v[217:218], v[217:218], v[215:216], v[213:214]
	v_fma_f64 v[213:214], v[213:214], v[217:218], v[215:216]
	v_div_scale_f64 v[215:216], null, v[213:214], v[213:214], 1.0
	v_rcp_f64_e32 v[219:220], v[215:216]
	v_fma_f64 v[221:222], -v[215:216], v[219:220], 1.0
	v_fma_f64 v[219:220], v[219:220], v[221:222], v[219:220]
	v_fma_f64 v[221:222], -v[215:216], v[219:220], 1.0
	v_fma_f64 v[219:220], v[219:220], v[221:222], v[219:220]
	v_div_scale_f64 v[221:222], vcc_lo, 1.0, v[213:214], 1.0
	v_mul_f64 v[223:224], v[221:222], v[219:220]
	v_fma_f64 v[215:216], -v[215:216], v[223:224], v[221:222]
	v_div_fmas_f64 v[215:216], v[215:216], v[219:220], v[223:224]
	v_div_fixup_f64 v[219:220], v[215:216], v[213:214], 1.0
                                        ; implicit-def: $vgpr213_vgpr214
	v_mul_f64 v[217:218], v[217:218], v[219:220]
	v_xor_b32_e32 v220, 0x80000000, v220
.LBB113_185:
	s_andn2_saveexec_b32 s1, s1
	s_cbranch_execz .LBB113_187
; %bb.186:
	v_div_scale_f64 v[217:218], null, v[213:214], v[213:214], v[215:216]
	v_div_scale_f64 v[223:224], vcc_lo, v[215:216], v[213:214], v[215:216]
	v_rcp_f64_e32 v[219:220], v[217:218]
	v_fma_f64 v[221:222], -v[217:218], v[219:220], 1.0
	v_fma_f64 v[219:220], v[219:220], v[221:222], v[219:220]
	v_fma_f64 v[221:222], -v[217:218], v[219:220], 1.0
	v_fma_f64 v[219:220], v[219:220], v[221:222], v[219:220]
	v_mul_f64 v[221:222], v[223:224], v[219:220]
	v_fma_f64 v[217:218], -v[217:218], v[221:222], v[223:224]
	v_div_fmas_f64 v[217:218], v[217:218], v[219:220], v[221:222]
	v_div_fixup_f64 v[219:220], v[217:218], v[213:214], v[215:216]
	v_fma_f64 v[213:214], v[215:216], v[219:220], v[213:214]
	v_div_scale_f64 v[215:216], null, v[213:214], v[213:214], 1.0
	v_rcp_f64_e32 v[217:218], v[215:216]
	v_fma_f64 v[221:222], -v[215:216], v[217:218], 1.0
	v_fma_f64 v[217:218], v[217:218], v[221:222], v[217:218]
	v_fma_f64 v[221:222], -v[215:216], v[217:218], 1.0
	v_fma_f64 v[217:218], v[217:218], v[221:222], v[217:218]
	v_div_scale_f64 v[221:222], vcc_lo, 1.0, v[213:214], 1.0
	v_mul_f64 v[223:224], v[221:222], v[217:218]
	v_fma_f64 v[215:216], -v[215:216], v[223:224], v[221:222]
	v_div_fmas_f64 v[215:216], v[215:216], v[217:218], v[223:224]
	v_div_fixup_f64 v[217:218], v[215:216], v[213:214], 1.0
	v_mul_f64 v[219:220], v[219:220], -v[217:218]
.LBB113_187:
	s_or_b32 exec_lo, exec_lo, s1
	ds_write2_b64 v255, v[217:218], v[219:220] offset1:1
.LBB113_188:
	s_or_b32 exec_lo, exec_lo, s2
	s_waitcnt lgkmcnt(0)
	s_barrier
	buffer_gl0_inv
	ds_read2_b64 v[193:196], v255 offset1:1
	s_mov_b32 s1, exec_lo
	s_waitcnt lgkmcnt(0)
	buffer_store_dword v193, off, s[16:19], 0 offset:784 ; 4-byte Folded Spill
	buffer_store_dword v194, off, s[16:19], 0 offset:788 ; 4-byte Folded Spill
	;; [unrolled: 1-line block ×4, first 2 shown]
	v_cmpx_lt_u32_e32 20, v0
	s_cbranch_execz .LBB113_190
; %bb.189:
	s_clause 0x3
	buffer_load_dword v193, off, s[16:19], 0 offset:784
	buffer_load_dword v194, off, s[16:19], 0 offset:788
	;; [unrolled: 1-line block ×4, first 2 shown]
	ds_read2_b64 v[215:218], v253 offset0:42 offset1:43
	s_waitcnt vmcnt(0)
	v_mul_f64 v[213:214], v[195:196], v[147:148]
	v_mul_f64 v[147:148], v[193:194], v[147:148]
	v_fma_f64 v[213:214], v[193:194], v[145:146], -v[213:214]
	v_fma_f64 v[147:148], v[195:196], v[145:146], v[147:148]
	s_waitcnt lgkmcnt(0)
	v_mul_f64 v[145:146], v[217:218], v[147:148]
	v_fma_f64 v[145:146], v[215:216], v[213:214], -v[145:146]
	v_mul_f64 v[215:216], v[215:216], v[147:148]
	v_add_f64 v[141:142], v[141:142], -v[145:146]
	v_fma_f64 v[215:216], v[217:218], v[213:214], v[215:216]
	v_add_f64 v[143:144], v[143:144], -v[215:216]
	ds_read2_b64 v[215:218], v253 offset0:44 offset1:45
	s_waitcnt lgkmcnt(0)
	v_mul_f64 v[145:146], v[217:218], v[147:148]
	v_fma_f64 v[145:146], v[215:216], v[213:214], -v[145:146]
	v_mul_f64 v[215:216], v[215:216], v[147:148]
	v_add_f64 v[137:138], v[137:138], -v[145:146]
	v_fma_f64 v[215:216], v[217:218], v[213:214], v[215:216]
	v_add_f64 v[139:140], v[139:140], -v[215:216]
	ds_read2_b64 v[215:218], v253 offset0:46 offset1:47
	;; [unrolled: 8-line block ×35, first 2 shown]
	s_waitcnt lgkmcnt(0)
	v_mul_f64 v[145:146], v[217:218], v[147:148]
	v_fma_f64 v[145:146], v[215:216], v[213:214], -v[145:146]
	v_mul_f64 v[215:216], v[215:216], v[147:148]
	v_add_f64 v[1:2], v[1:2], -v[145:146]
	v_fma_f64 v[215:216], v[217:218], v[213:214], v[215:216]
	v_mov_b32_e32 v145, v213
	v_mov_b32_e32 v146, v214
	v_add_f64 v[3:4], v[3:4], -v[215:216]
.LBB113_190:
	s_or_b32 exec_lo, exec_lo, s1
	s_mov_b32 s2, exec_lo
	s_waitcnt_vscnt null, 0x0
	s_barrier
	buffer_gl0_inv
	v_cmpx_eq_u32_e32 21, v0
	s_cbranch_execz .LBB113_197
; %bb.191:
	ds_write2_b64 v255, v[141:142], v[143:144] offset1:1
	ds_write2_b64 v253, v[137:138], v[139:140] offset0:44 offset1:45
	ds_write2_b64 v253, v[133:134], v[135:136] offset0:46 offset1:47
	;; [unrolled: 1-line block ×35, first 2 shown]
	ds_read2_b64 v[213:216], v255 offset1:1
	s_waitcnt lgkmcnt(0)
	v_cmp_neq_f64_e32 vcc_lo, 0, v[213:214]
	v_cmp_neq_f64_e64 s1, 0, v[215:216]
	s_or_b32 s1, vcc_lo, s1
	s_and_b32 exec_lo, exec_lo, s1
	s_cbranch_execz .LBB113_197
; %bb.192:
	v_cmp_ngt_f64_e64 s1, |v[213:214]|, |v[215:216]|
                                        ; implicit-def: $vgpr217_vgpr218
	s_and_saveexec_b32 s3, s1
	s_xor_b32 s1, exec_lo, s3
                                        ; implicit-def: $vgpr219_vgpr220
	s_cbranch_execz .LBB113_194
; %bb.193:
	v_div_scale_f64 v[217:218], null, v[215:216], v[215:216], v[213:214]
	v_div_scale_f64 v[223:224], vcc_lo, v[213:214], v[215:216], v[213:214]
	v_rcp_f64_e32 v[219:220], v[217:218]
	v_fma_f64 v[221:222], -v[217:218], v[219:220], 1.0
	v_fma_f64 v[219:220], v[219:220], v[221:222], v[219:220]
	v_fma_f64 v[221:222], -v[217:218], v[219:220], 1.0
	v_fma_f64 v[219:220], v[219:220], v[221:222], v[219:220]
	v_mul_f64 v[221:222], v[223:224], v[219:220]
	v_fma_f64 v[217:218], -v[217:218], v[221:222], v[223:224]
	v_div_fmas_f64 v[217:218], v[217:218], v[219:220], v[221:222]
	v_div_fixup_f64 v[217:218], v[217:218], v[215:216], v[213:214]
	v_fma_f64 v[213:214], v[213:214], v[217:218], v[215:216]
	v_div_scale_f64 v[215:216], null, v[213:214], v[213:214], 1.0
	v_rcp_f64_e32 v[219:220], v[215:216]
	v_fma_f64 v[221:222], -v[215:216], v[219:220], 1.0
	v_fma_f64 v[219:220], v[219:220], v[221:222], v[219:220]
	v_fma_f64 v[221:222], -v[215:216], v[219:220], 1.0
	v_fma_f64 v[219:220], v[219:220], v[221:222], v[219:220]
	v_div_scale_f64 v[221:222], vcc_lo, 1.0, v[213:214], 1.0
	v_mul_f64 v[223:224], v[221:222], v[219:220]
	v_fma_f64 v[215:216], -v[215:216], v[223:224], v[221:222]
	v_div_fmas_f64 v[215:216], v[215:216], v[219:220], v[223:224]
	v_div_fixup_f64 v[219:220], v[215:216], v[213:214], 1.0
                                        ; implicit-def: $vgpr213_vgpr214
	v_mul_f64 v[217:218], v[217:218], v[219:220]
	v_xor_b32_e32 v220, 0x80000000, v220
.LBB113_194:
	s_andn2_saveexec_b32 s1, s1
	s_cbranch_execz .LBB113_196
; %bb.195:
	v_div_scale_f64 v[217:218], null, v[213:214], v[213:214], v[215:216]
	v_div_scale_f64 v[223:224], vcc_lo, v[215:216], v[213:214], v[215:216]
	v_rcp_f64_e32 v[219:220], v[217:218]
	v_fma_f64 v[221:222], -v[217:218], v[219:220], 1.0
	v_fma_f64 v[219:220], v[219:220], v[221:222], v[219:220]
	v_fma_f64 v[221:222], -v[217:218], v[219:220], 1.0
	v_fma_f64 v[219:220], v[219:220], v[221:222], v[219:220]
	v_mul_f64 v[221:222], v[223:224], v[219:220]
	v_fma_f64 v[217:218], -v[217:218], v[221:222], v[223:224]
	v_div_fmas_f64 v[217:218], v[217:218], v[219:220], v[221:222]
	v_div_fixup_f64 v[219:220], v[217:218], v[213:214], v[215:216]
	v_fma_f64 v[213:214], v[215:216], v[219:220], v[213:214]
	v_div_scale_f64 v[215:216], null, v[213:214], v[213:214], 1.0
	v_rcp_f64_e32 v[217:218], v[215:216]
	v_fma_f64 v[221:222], -v[215:216], v[217:218], 1.0
	v_fma_f64 v[217:218], v[217:218], v[221:222], v[217:218]
	v_fma_f64 v[221:222], -v[215:216], v[217:218], 1.0
	v_fma_f64 v[217:218], v[217:218], v[221:222], v[217:218]
	v_div_scale_f64 v[221:222], vcc_lo, 1.0, v[213:214], 1.0
	v_mul_f64 v[223:224], v[221:222], v[217:218]
	v_fma_f64 v[215:216], -v[215:216], v[223:224], v[221:222]
	v_div_fmas_f64 v[215:216], v[215:216], v[217:218], v[223:224]
	v_div_fixup_f64 v[217:218], v[215:216], v[213:214], 1.0
	v_mul_f64 v[219:220], v[219:220], -v[217:218]
.LBB113_196:
	s_or_b32 exec_lo, exec_lo, s1
	ds_write2_b64 v255, v[217:218], v[219:220] offset1:1
.LBB113_197:
	s_or_b32 exec_lo, exec_lo, s2
	s_waitcnt lgkmcnt(0)
	s_barrier
	buffer_gl0_inv
	ds_read2_b64 v[193:196], v255 offset1:1
	s_mov_b32 s1, exec_lo
	s_waitcnt lgkmcnt(0)
	buffer_store_dword v193, off, s[16:19], 0 offset:800 ; 4-byte Folded Spill
	buffer_store_dword v194, off, s[16:19], 0 offset:804 ; 4-byte Folded Spill
	;; [unrolled: 1-line block ×4, first 2 shown]
	v_cmpx_lt_u32_e32 21, v0
	s_cbranch_execz .LBB113_199
; %bb.198:
	s_clause 0x3
	buffer_load_dword v193, off, s[16:19], 0 offset:800
	buffer_load_dword v194, off, s[16:19], 0 offset:804
	;; [unrolled: 1-line block ×4, first 2 shown]
	ds_read2_b64 v[215:218], v253 offset0:44 offset1:45
	s_waitcnt vmcnt(0)
	v_mul_f64 v[213:214], v[195:196], v[143:144]
	v_mul_f64 v[143:144], v[193:194], v[143:144]
	v_fma_f64 v[213:214], v[193:194], v[141:142], -v[213:214]
	v_fma_f64 v[143:144], v[195:196], v[141:142], v[143:144]
	s_waitcnt lgkmcnt(0)
	v_mul_f64 v[141:142], v[217:218], v[143:144]
	v_fma_f64 v[141:142], v[215:216], v[213:214], -v[141:142]
	v_mul_f64 v[215:216], v[215:216], v[143:144]
	v_add_f64 v[137:138], v[137:138], -v[141:142]
	v_fma_f64 v[215:216], v[217:218], v[213:214], v[215:216]
	v_add_f64 v[139:140], v[139:140], -v[215:216]
	ds_read2_b64 v[215:218], v253 offset0:46 offset1:47
	s_waitcnt lgkmcnt(0)
	v_mul_f64 v[141:142], v[217:218], v[143:144]
	v_fma_f64 v[141:142], v[215:216], v[213:214], -v[141:142]
	v_mul_f64 v[215:216], v[215:216], v[143:144]
	v_add_f64 v[133:134], v[133:134], -v[141:142]
	v_fma_f64 v[215:216], v[217:218], v[213:214], v[215:216]
	v_add_f64 v[135:136], v[135:136], -v[215:216]
	ds_read2_b64 v[215:218], v253 offset0:48 offset1:49
	;; [unrolled: 8-line block ×34, first 2 shown]
	s_waitcnt lgkmcnt(0)
	v_mul_f64 v[141:142], v[217:218], v[143:144]
	v_fma_f64 v[141:142], v[215:216], v[213:214], -v[141:142]
	v_mul_f64 v[215:216], v[215:216], v[143:144]
	v_add_f64 v[1:2], v[1:2], -v[141:142]
	v_fma_f64 v[215:216], v[217:218], v[213:214], v[215:216]
	v_mov_b32_e32 v141, v213
	v_mov_b32_e32 v142, v214
	v_add_f64 v[3:4], v[3:4], -v[215:216]
.LBB113_199:
	s_or_b32 exec_lo, exec_lo, s1
	s_mov_b32 s2, exec_lo
	s_waitcnt_vscnt null, 0x0
	s_barrier
	buffer_gl0_inv
	v_cmpx_eq_u32_e32 22, v0
	s_cbranch_execz .LBB113_206
; %bb.200:
	ds_write2_b64 v255, v[137:138], v[139:140] offset1:1
	ds_write2_b64 v253, v[133:134], v[135:136] offset0:46 offset1:47
	ds_write2_b64 v253, v[129:130], v[131:132] offset0:48 offset1:49
	;; [unrolled: 1-line block ×34, first 2 shown]
	ds_read2_b64 v[213:216], v255 offset1:1
	s_waitcnt lgkmcnt(0)
	v_cmp_neq_f64_e32 vcc_lo, 0, v[213:214]
	v_cmp_neq_f64_e64 s1, 0, v[215:216]
	s_or_b32 s1, vcc_lo, s1
	s_and_b32 exec_lo, exec_lo, s1
	s_cbranch_execz .LBB113_206
; %bb.201:
	v_cmp_ngt_f64_e64 s1, |v[213:214]|, |v[215:216]|
                                        ; implicit-def: $vgpr217_vgpr218
	s_and_saveexec_b32 s3, s1
	s_xor_b32 s1, exec_lo, s3
                                        ; implicit-def: $vgpr219_vgpr220
	s_cbranch_execz .LBB113_203
; %bb.202:
	v_div_scale_f64 v[217:218], null, v[215:216], v[215:216], v[213:214]
	v_div_scale_f64 v[223:224], vcc_lo, v[213:214], v[215:216], v[213:214]
	v_rcp_f64_e32 v[219:220], v[217:218]
	v_fma_f64 v[221:222], -v[217:218], v[219:220], 1.0
	v_fma_f64 v[219:220], v[219:220], v[221:222], v[219:220]
	v_fma_f64 v[221:222], -v[217:218], v[219:220], 1.0
	v_fma_f64 v[219:220], v[219:220], v[221:222], v[219:220]
	v_mul_f64 v[221:222], v[223:224], v[219:220]
	v_fma_f64 v[217:218], -v[217:218], v[221:222], v[223:224]
	v_div_fmas_f64 v[217:218], v[217:218], v[219:220], v[221:222]
	v_div_fixup_f64 v[217:218], v[217:218], v[215:216], v[213:214]
	v_fma_f64 v[213:214], v[213:214], v[217:218], v[215:216]
	v_div_scale_f64 v[215:216], null, v[213:214], v[213:214], 1.0
	v_rcp_f64_e32 v[219:220], v[215:216]
	v_fma_f64 v[221:222], -v[215:216], v[219:220], 1.0
	v_fma_f64 v[219:220], v[219:220], v[221:222], v[219:220]
	v_fma_f64 v[221:222], -v[215:216], v[219:220], 1.0
	v_fma_f64 v[219:220], v[219:220], v[221:222], v[219:220]
	v_div_scale_f64 v[221:222], vcc_lo, 1.0, v[213:214], 1.0
	v_mul_f64 v[223:224], v[221:222], v[219:220]
	v_fma_f64 v[215:216], -v[215:216], v[223:224], v[221:222]
	v_div_fmas_f64 v[215:216], v[215:216], v[219:220], v[223:224]
	v_div_fixup_f64 v[219:220], v[215:216], v[213:214], 1.0
                                        ; implicit-def: $vgpr213_vgpr214
	v_mul_f64 v[217:218], v[217:218], v[219:220]
	v_xor_b32_e32 v220, 0x80000000, v220
.LBB113_203:
	s_andn2_saveexec_b32 s1, s1
	s_cbranch_execz .LBB113_205
; %bb.204:
	v_div_scale_f64 v[217:218], null, v[213:214], v[213:214], v[215:216]
	v_div_scale_f64 v[223:224], vcc_lo, v[215:216], v[213:214], v[215:216]
	v_rcp_f64_e32 v[219:220], v[217:218]
	v_fma_f64 v[221:222], -v[217:218], v[219:220], 1.0
	v_fma_f64 v[219:220], v[219:220], v[221:222], v[219:220]
	v_fma_f64 v[221:222], -v[217:218], v[219:220], 1.0
	v_fma_f64 v[219:220], v[219:220], v[221:222], v[219:220]
	v_mul_f64 v[221:222], v[223:224], v[219:220]
	v_fma_f64 v[217:218], -v[217:218], v[221:222], v[223:224]
	v_div_fmas_f64 v[217:218], v[217:218], v[219:220], v[221:222]
	v_div_fixup_f64 v[219:220], v[217:218], v[213:214], v[215:216]
	v_fma_f64 v[213:214], v[215:216], v[219:220], v[213:214]
	v_div_scale_f64 v[215:216], null, v[213:214], v[213:214], 1.0
	v_rcp_f64_e32 v[217:218], v[215:216]
	v_fma_f64 v[221:222], -v[215:216], v[217:218], 1.0
	v_fma_f64 v[217:218], v[217:218], v[221:222], v[217:218]
	v_fma_f64 v[221:222], -v[215:216], v[217:218], 1.0
	v_fma_f64 v[217:218], v[217:218], v[221:222], v[217:218]
	v_div_scale_f64 v[221:222], vcc_lo, 1.0, v[213:214], 1.0
	v_mul_f64 v[223:224], v[221:222], v[217:218]
	v_fma_f64 v[215:216], -v[215:216], v[223:224], v[221:222]
	v_div_fmas_f64 v[215:216], v[215:216], v[217:218], v[223:224]
	v_div_fixup_f64 v[217:218], v[215:216], v[213:214], 1.0
	v_mul_f64 v[219:220], v[219:220], -v[217:218]
.LBB113_205:
	s_or_b32 exec_lo, exec_lo, s1
	ds_write2_b64 v255, v[217:218], v[219:220] offset1:1
.LBB113_206:
	s_or_b32 exec_lo, exec_lo, s2
	s_waitcnt lgkmcnt(0)
	s_barrier
	buffer_gl0_inv
	ds_read2_b64 v[193:196], v255 offset1:1
	s_mov_b32 s1, exec_lo
	s_waitcnt lgkmcnt(0)
	buffer_store_dword v193, off, s[16:19], 0 offset:816 ; 4-byte Folded Spill
	buffer_store_dword v194, off, s[16:19], 0 offset:820 ; 4-byte Folded Spill
	;; [unrolled: 1-line block ×4, first 2 shown]
	v_cmpx_lt_u32_e32 22, v0
	s_cbranch_execz .LBB113_208
; %bb.207:
	s_clause 0x3
	buffer_load_dword v193, off, s[16:19], 0 offset:816
	buffer_load_dword v194, off, s[16:19], 0 offset:820
	;; [unrolled: 1-line block ×4, first 2 shown]
	ds_read2_b64 v[215:218], v253 offset0:46 offset1:47
	s_waitcnt vmcnt(0)
	v_mul_f64 v[213:214], v[195:196], v[139:140]
	v_mul_f64 v[139:140], v[193:194], v[139:140]
	v_fma_f64 v[213:214], v[193:194], v[137:138], -v[213:214]
	v_fma_f64 v[139:140], v[195:196], v[137:138], v[139:140]
	s_waitcnt lgkmcnt(0)
	v_mul_f64 v[137:138], v[217:218], v[139:140]
	v_fma_f64 v[137:138], v[215:216], v[213:214], -v[137:138]
	v_mul_f64 v[215:216], v[215:216], v[139:140]
	v_add_f64 v[133:134], v[133:134], -v[137:138]
	v_fma_f64 v[215:216], v[217:218], v[213:214], v[215:216]
	v_add_f64 v[135:136], v[135:136], -v[215:216]
	ds_read2_b64 v[215:218], v253 offset0:48 offset1:49
	s_waitcnt lgkmcnt(0)
	v_mul_f64 v[137:138], v[217:218], v[139:140]
	v_fma_f64 v[137:138], v[215:216], v[213:214], -v[137:138]
	v_mul_f64 v[215:216], v[215:216], v[139:140]
	v_add_f64 v[129:130], v[129:130], -v[137:138]
	v_fma_f64 v[215:216], v[217:218], v[213:214], v[215:216]
	v_add_f64 v[131:132], v[131:132], -v[215:216]
	ds_read2_b64 v[215:218], v253 offset0:50 offset1:51
	;; [unrolled: 8-line block ×33, first 2 shown]
	s_waitcnt lgkmcnt(0)
	v_mul_f64 v[137:138], v[217:218], v[139:140]
	v_fma_f64 v[137:138], v[215:216], v[213:214], -v[137:138]
	v_mul_f64 v[215:216], v[215:216], v[139:140]
	v_add_f64 v[1:2], v[1:2], -v[137:138]
	v_fma_f64 v[215:216], v[217:218], v[213:214], v[215:216]
	v_mov_b32_e32 v137, v213
	v_mov_b32_e32 v138, v214
	v_add_f64 v[3:4], v[3:4], -v[215:216]
.LBB113_208:
	s_or_b32 exec_lo, exec_lo, s1
	s_mov_b32 s2, exec_lo
	s_waitcnt_vscnt null, 0x0
	s_barrier
	buffer_gl0_inv
	v_cmpx_eq_u32_e32 23, v0
	s_cbranch_execz .LBB113_215
; %bb.209:
	ds_write2_b64 v255, v[133:134], v[135:136] offset1:1
	ds_write2_b64 v253, v[129:130], v[131:132] offset0:48 offset1:49
	ds_write2_b64 v253, v[125:126], v[127:128] offset0:50 offset1:51
	ds_write2_b64 v253, v[121:122], v[123:124] offset0:52 offset1:53
	ds_write2_b64 v253, v[117:118], v[119:120] offset0:54 offset1:55
	ds_write2_b64 v253, v[113:114], v[115:116] offset0:56 offset1:57
	ds_write2_b64 v253, v[109:110], v[111:112] offset0:58 offset1:59
	ds_write2_b64 v253, v[105:106], v[107:108] offset0:60 offset1:61
	ds_write2_b64 v253, v[101:102], v[103:104] offset0:62 offset1:63
	ds_write2_b64 v253, v[97:98], v[99:100] offset0:64 offset1:65
	ds_write2_b64 v253, v[93:94], v[95:96] offset0:66 offset1:67
	ds_write2_b64 v253, v[89:90], v[91:92] offset0:68 offset1:69
	ds_write2_b64 v253, v[85:86], v[87:88] offset0:70 offset1:71
	ds_write2_b64 v253, v[81:82], v[83:84] offset0:72 offset1:73
	ds_write2_b64 v253, v[77:78], v[79:80] offset0:74 offset1:75
	ds_write2_b64 v253, v[73:74], v[75:76] offset0:76 offset1:77
	ds_write2_b64 v253, v[69:70], v[71:72] offset0:78 offset1:79
	ds_write2_b64 v253, v[65:66], v[67:68] offset0:80 offset1:81
	ds_write2_b64 v253, v[61:62], v[63:64] offset0:82 offset1:83
	ds_write2_b64 v253, v[57:58], v[59:60] offset0:84 offset1:85
	ds_write2_b64 v253, v[53:54], v[55:56] offset0:86 offset1:87
	ds_write2_b64 v253, v[49:50], v[51:52] offset0:88 offset1:89
	ds_write2_b64 v253, v[45:46], v[47:48] offset0:90 offset1:91
	ds_write2_b64 v253, v[41:42], v[43:44] offset0:92 offset1:93
	ds_write2_b64 v253, v[37:38], v[39:40] offset0:94 offset1:95
	ds_write2_b64 v253, v[33:34], v[35:36] offset0:96 offset1:97
	ds_write2_b64 v253, v[29:30], v[31:32] offset0:98 offset1:99
	ds_write2_b64 v253, v[25:26], v[27:28] offset0:100 offset1:101
	ds_write2_b64 v253, v[21:22], v[23:24] offset0:102 offset1:103
	ds_write2_b64 v253, v[17:18], v[19:20] offset0:104 offset1:105
	ds_write2_b64 v253, v[13:14], v[15:16] offset0:106 offset1:107
	ds_write2_b64 v253, v[9:10], v[11:12] offset0:108 offset1:109
	ds_write2_b64 v253, v[5:6], v[7:8] offset0:110 offset1:111
	ds_write2_b64 v253, v[1:2], v[3:4] offset0:112 offset1:113
	ds_read2_b64 v[213:216], v255 offset1:1
	s_waitcnt lgkmcnt(0)
	v_cmp_neq_f64_e32 vcc_lo, 0, v[213:214]
	v_cmp_neq_f64_e64 s1, 0, v[215:216]
	s_or_b32 s1, vcc_lo, s1
	s_and_b32 exec_lo, exec_lo, s1
	s_cbranch_execz .LBB113_215
; %bb.210:
	v_cmp_ngt_f64_e64 s1, |v[213:214]|, |v[215:216]|
                                        ; implicit-def: $vgpr217_vgpr218
	s_and_saveexec_b32 s3, s1
	s_xor_b32 s1, exec_lo, s3
                                        ; implicit-def: $vgpr219_vgpr220
	s_cbranch_execz .LBB113_212
; %bb.211:
	v_div_scale_f64 v[217:218], null, v[215:216], v[215:216], v[213:214]
	v_div_scale_f64 v[223:224], vcc_lo, v[213:214], v[215:216], v[213:214]
	v_rcp_f64_e32 v[219:220], v[217:218]
	v_fma_f64 v[221:222], -v[217:218], v[219:220], 1.0
	v_fma_f64 v[219:220], v[219:220], v[221:222], v[219:220]
	v_fma_f64 v[221:222], -v[217:218], v[219:220], 1.0
	v_fma_f64 v[219:220], v[219:220], v[221:222], v[219:220]
	v_mul_f64 v[221:222], v[223:224], v[219:220]
	v_fma_f64 v[217:218], -v[217:218], v[221:222], v[223:224]
	v_div_fmas_f64 v[217:218], v[217:218], v[219:220], v[221:222]
	v_div_fixup_f64 v[217:218], v[217:218], v[215:216], v[213:214]
	v_fma_f64 v[213:214], v[213:214], v[217:218], v[215:216]
	v_div_scale_f64 v[215:216], null, v[213:214], v[213:214], 1.0
	v_rcp_f64_e32 v[219:220], v[215:216]
	v_fma_f64 v[221:222], -v[215:216], v[219:220], 1.0
	v_fma_f64 v[219:220], v[219:220], v[221:222], v[219:220]
	v_fma_f64 v[221:222], -v[215:216], v[219:220], 1.0
	v_fma_f64 v[219:220], v[219:220], v[221:222], v[219:220]
	v_div_scale_f64 v[221:222], vcc_lo, 1.0, v[213:214], 1.0
	v_mul_f64 v[223:224], v[221:222], v[219:220]
	v_fma_f64 v[215:216], -v[215:216], v[223:224], v[221:222]
	v_div_fmas_f64 v[215:216], v[215:216], v[219:220], v[223:224]
	v_div_fixup_f64 v[219:220], v[215:216], v[213:214], 1.0
                                        ; implicit-def: $vgpr213_vgpr214
	v_mul_f64 v[217:218], v[217:218], v[219:220]
	v_xor_b32_e32 v220, 0x80000000, v220
.LBB113_212:
	s_andn2_saveexec_b32 s1, s1
	s_cbranch_execz .LBB113_214
; %bb.213:
	v_div_scale_f64 v[217:218], null, v[213:214], v[213:214], v[215:216]
	v_div_scale_f64 v[223:224], vcc_lo, v[215:216], v[213:214], v[215:216]
	v_rcp_f64_e32 v[219:220], v[217:218]
	v_fma_f64 v[221:222], -v[217:218], v[219:220], 1.0
	v_fma_f64 v[219:220], v[219:220], v[221:222], v[219:220]
	v_fma_f64 v[221:222], -v[217:218], v[219:220], 1.0
	v_fma_f64 v[219:220], v[219:220], v[221:222], v[219:220]
	v_mul_f64 v[221:222], v[223:224], v[219:220]
	v_fma_f64 v[217:218], -v[217:218], v[221:222], v[223:224]
	v_div_fmas_f64 v[217:218], v[217:218], v[219:220], v[221:222]
	v_div_fixup_f64 v[219:220], v[217:218], v[213:214], v[215:216]
	v_fma_f64 v[213:214], v[215:216], v[219:220], v[213:214]
	v_div_scale_f64 v[215:216], null, v[213:214], v[213:214], 1.0
	v_rcp_f64_e32 v[217:218], v[215:216]
	v_fma_f64 v[221:222], -v[215:216], v[217:218], 1.0
	v_fma_f64 v[217:218], v[217:218], v[221:222], v[217:218]
	v_fma_f64 v[221:222], -v[215:216], v[217:218], 1.0
	v_fma_f64 v[217:218], v[217:218], v[221:222], v[217:218]
	v_div_scale_f64 v[221:222], vcc_lo, 1.0, v[213:214], 1.0
	v_mul_f64 v[223:224], v[221:222], v[217:218]
	v_fma_f64 v[215:216], -v[215:216], v[223:224], v[221:222]
	v_div_fmas_f64 v[215:216], v[215:216], v[217:218], v[223:224]
	v_div_fixup_f64 v[217:218], v[215:216], v[213:214], 1.0
	v_mul_f64 v[219:220], v[219:220], -v[217:218]
.LBB113_214:
	s_or_b32 exec_lo, exec_lo, s1
	ds_write2_b64 v255, v[217:218], v[219:220] offset1:1
.LBB113_215:
	s_or_b32 exec_lo, exec_lo, s2
	s_waitcnt lgkmcnt(0)
	s_barrier
	buffer_gl0_inv
	ds_read2_b64 v[193:196], v255 offset1:1
	s_mov_b32 s1, exec_lo
	s_waitcnt lgkmcnt(0)
	buffer_store_dword v193, off, s[16:19], 0 offset:832 ; 4-byte Folded Spill
	buffer_store_dword v194, off, s[16:19], 0 offset:836 ; 4-byte Folded Spill
	;; [unrolled: 1-line block ×4, first 2 shown]
	v_cmpx_lt_u32_e32 23, v0
	s_cbranch_execz .LBB113_217
; %bb.216:
	s_clause 0x3
	buffer_load_dword v193, off, s[16:19], 0 offset:832
	buffer_load_dword v194, off, s[16:19], 0 offset:836
	;; [unrolled: 1-line block ×4, first 2 shown]
	ds_read2_b64 v[215:218], v253 offset0:48 offset1:49
	s_waitcnt vmcnt(0)
	v_mul_f64 v[213:214], v[195:196], v[135:136]
	v_mul_f64 v[135:136], v[193:194], v[135:136]
	v_fma_f64 v[213:214], v[193:194], v[133:134], -v[213:214]
	v_fma_f64 v[135:136], v[195:196], v[133:134], v[135:136]
	s_waitcnt lgkmcnt(0)
	v_mul_f64 v[133:134], v[217:218], v[135:136]
	v_fma_f64 v[133:134], v[215:216], v[213:214], -v[133:134]
	v_mul_f64 v[215:216], v[215:216], v[135:136]
	v_add_f64 v[129:130], v[129:130], -v[133:134]
	v_fma_f64 v[215:216], v[217:218], v[213:214], v[215:216]
	v_add_f64 v[131:132], v[131:132], -v[215:216]
	ds_read2_b64 v[215:218], v253 offset0:50 offset1:51
	s_waitcnt lgkmcnt(0)
	v_mul_f64 v[133:134], v[217:218], v[135:136]
	v_fma_f64 v[133:134], v[215:216], v[213:214], -v[133:134]
	v_mul_f64 v[215:216], v[215:216], v[135:136]
	v_add_f64 v[125:126], v[125:126], -v[133:134]
	v_fma_f64 v[215:216], v[217:218], v[213:214], v[215:216]
	v_add_f64 v[127:128], v[127:128], -v[215:216]
	ds_read2_b64 v[215:218], v253 offset0:52 offset1:53
	;; [unrolled: 8-line block ×32, first 2 shown]
	s_waitcnt lgkmcnt(0)
	v_mul_f64 v[133:134], v[217:218], v[135:136]
	v_fma_f64 v[133:134], v[215:216], v[213:214], -v[133:134]
	v_mul_f64 v[215:216], v[215:216], v[135:136]
	v_add_f64 v[1:2], v[1:2], -v[133:134]
	v_fma_f64 v[215:216], v[217:218], v[213:214], v[215:216]
	v_mov_b32_e32 v133, v213
	v_mov_b32_e32 v134, v214
	v_add_f64 v[3:4], v[3:4], -v[215:216]
.LBB113_217:
	s_or_b32 exec_lo, exec_lo, s1
	s_mov_b32 s2, exec_lo
	s_waitcnt_vscnt null, 0x0
	s_barrier
	buffer_gl0_inv
	v_cmpx_eq_u32_e32 24, v0
	s_cbranch_execz .LBB113_224
; %bb.218:
	ds_write2_b64 v255, v[129:130], v[131:132] offset1:1
	ds_write2_b64 v253, v[125:126], v[127:128] offset0:50 offset1:51
	ds_write2_b64 v253, v[121:122], v[123:124] offset0:52 offset1:53
	;; [unrolled: 1-line block ×32, first 2 shown]
	ds_read2_b64 v[213:216], v255 offset1:1
	s_waitcnt lgkmcnt(0)
	v_cmp_neq_f64_e32 vcc_lo, 0, v[213:214]
	v_cmp_neq_f64_e64 s1, 0, v[215:216]
	s_or_b32 s1, vcc_lo, s1
	s_and_b32 exec_lo, exec_lo, s1
	s_cbranch_execz .LBB113_224
; %bb.219:
	v_cmp_ngt_f64_e64 s1, |v[213:214]|, |v[215:216]|
                                        ; implicit-def: $vgpr217_vgpr218
	s_and_saveexec_b32 s3, s1
	s_xor_b32 s1, exec_lo, s3
                                        ; implicit-def: $vgpr219_vgpr220
	s_cbranch_execz .LBB113_221
; %bb.220:
	v_div_scale_f64 v[217:218], null, v[215:216], v[215:216], v[213:214]
	v_div_scale_f64 v[223:224], vcc_lo, v[213:214], v[215:216], v[213:214]
	v_rcp_f64_e32 v[219:220], v[217:218]
	v_fma_f64 v[221:222], -v[217:218], v[219:220], 1.0
	v_fma_f64 v[219:220], v[219:220], v[221:222], v[219:220]
	v_fma_f64 v[221:222], -v[217:218], v[219:220], 1.0
	v_fma_f64 v[219:220], v[219:220], v[221:222], v[219:220]
	v_mul_f64 v[221:222], v[223:224], v[219:220]
	v_fma_f64 v[217:218], -v[217:218], v[221:222], v[223:224]
	v_div_fmas_f64 v[217:218], v[217:218], v[219:220], v[221:222]
	v_div_fixup_f64 v[217:218], v[217:218], v[215:216], v[213:214]
	v_fma_f64 v[213:214], v[213:214], v[217:218], v[215:216]
	v_div_scale_f64 v[215:216], null, v[213:214], v[213:214], 1.0
	v_rcp_f64_e32 v[219:220], v[215:216]
	v_fma_f64 v[221:222], -v[215:216], v[219:220], 1.0
	v_fma_f64 v[219:220], v[219:220], v[221:222], v[219:220]
	v_fma_f64 v[221:222], -v[215:216], v[219:220], 1.0
	v_fma_f64 v[219:220], v[219:220], v[221:222], v[219:220]
	v_div_scale_f64 v[221:222], vcc_lo, 1.0, v[213:214], 1.0
	v_mul_f64 v[223:224], v[221:222], v[219:220]
	v_fma_f64 v[215:216], -v[215:216], v[223:224], v[221:222]
	v_div_fmas_f64 v[215:216], v[215:216], v[219:220], v[223:224]
	v_div_fixup_f64 v[219:220], v[215:216], v[213:214], 1.0
                                        ; implicit-def: $vgpr213_vgpr214
	v_mul_f64 v[217:218], v[217:218], v[219:220]
	v_xor_b32_e32 v220, 0x80000000, v220
.LBB113_221:
	s_andn2_saveexec_b32 s1, s1
	s_cbranch_execz .LBB113_223
; %bb.222:
	v_div_scale_f64 v[217:218], null, v[213:214], v[213:214], v[215:216]
	v_div_scale_f64 v[223:224], vcc_lo, v[215:216], v[213:214], v[215:216]
	v_rcp_f64_e32 v[219:220], v[217:218]
	v_fma_f64 v[221:222], -v[217:218], v[219:220], 1.0
	v_fma_f64 v[219:220], v[219:220], v[221:222], v[219:220]
	v_fma_f64 v[221:222], -v[217:218], v[219:220], 1.0
	v_fma_f64 v[219:220], v[219:220], v[221:222], v[219:220]
	v_mul_f64 v[221:222], v[223:224], v[219:220]
	v_fma_f64 v[217:218], -v[217:218], v[221:222], v[223:224]
	v_div_fmas_f64 v[217:218], v[217:218], v[219:220], v[221:222]
	v_div_fixup_f64 v[219:220], v[217:218], v[213:214], v[215:216]
	v_fma_f64 v[213:214], v[215:216], v[219:220], v[213:214]
	v_div_scale_f64 v[215:216], null, v[213:214], v[213:214], 1.0
	v_rcp_f64_e32 v[217:218], v[215:216]
	v_fma_f64 v[221:222], -v[215:216], v[217:218], 1.0
	v_fma_f64 v[217:218], v[217:218], v[221:222], v[217:218]
	v_fma_f64 v[221:222], -v[215:216], v[217:218], 1.0
	v_fma_f64 v[217:218], v[217:218], v[221:222], v[217:218]
	v_div_scale_f64 v[221:222], vcc_lo, 1.0, v[213:214], 1.0
	v_mul_f64 v[223:224], v[221:222], v[217:218]
	v_fma_f64 v[215:216], -v[215:216], v[223:224], v[221:222]
	v_div_fmas_f64 v[215:216], v[215:216], v[217:218], v[223:224]
	v_div_fixup_f64 v[217:218], v[215:216], v[213:214], 1.0
	v_mul_f64 v[219:220], v[219:220], -v[217:218]
.LBB113_223:
	s_or_b32 exec_lo, exec_lo, s1
	ds_write2_b64 v255, v[217:218], v[219:220] offset1:1
.LBB113_224:
	s_or_b32 exec_lo, exec_lo, s2
	s_waitcnt lgkmcnt(0)
	s_barrier
	buffer_gl0_inv
	ds_read2_b64 v[193:196], v255 offset1:1
	s_mov_b32 s1, exec_lo
	s_waitcnt lgkmcnt(0)
	buffer_store_dword v193, off, s[16:19], 0 offset:848 ; 4-byte Folded Spill
	buffer_store_dword v194, off, s[16:19], 0 offset:852 ; 4-byte Folded Spill
	;; [unrolled: 1-line block ×4, first 2 shown]
	v_cmpx_lt_u32_e32 24, v0
	s_cbranch_execz .LBB113_226
; %bb.225:
	s_clause 0x3
	buffer_load_dword v193, off, s[16:19], 0 offset:848
	buffer_load_dword v194, off, s[16:19], 0 offset:852
	buffer_load_dword v195, off, s[16:19], 0 offset:856
	buffer_load_dword v196, off, s[16:19], 0 offset:860
	ds_read2_b64 v[215:218], v253 offset0:50 offset1:51
	s_waitcnt vmcnt(0)
	v_mul_f64 v[213:214], v[195:196], v[131:132]
	v_mul_f64 v[131:132], v[193:194], v[131:132]
	v_fma_f64 v[213:214], v[193:194], v[129:130], -v[213:214]
	v_fma_f64 v[131:132], v[195:196], v[129:130], v[131:132]
	s_waitcnt lgkmcnt(0)
	v_mul_f64 v[129:130], v[217:218], v[131:132]
	v_fma_f64 v[129:130], v[215:216], v[213:214], -v[129:130]
	v_mul_f64 v[215:216], v[215:216], v[131:132]
	v_add_f64 v[125:126], v[125:126], -v[129:130]
	v_fma_f64 v[215:216], v[217:218], v[213:214], v[215:216]
	v_add_f64 v[127:128], v[127:128], -v[215:216]
	ds_read2_b64 v[215:218], v253 offset0:52 offset1:53
	s_waitcnt lgkmcnt(0)
	v_mul_f64 v[129:130], v[217:218], v[131:132]
	v_fma_f64 v[129:130], v[215:216], v[213:214], -v[129:130]
	v_mul_f64 v[215:216], v[215:216], v[131:132]
	v_add_f64 v[121:122], v[121:122], -v[129:130]
	v_fma_f64 v[215:216], v[217:218], v[213:214], v[215:216]
	v_add_f64 v[123:124], v[123:124], -v[215:216]
	ds_read2_b64 v[215:218], v253 offset0:54 offset1:55
	s_waitcnt lgkmcnt(0)
	v_mul_f64 v[129:130], v[217:218], v[131:132]
	v_fma_f64 v[129:130], v[215:216], v[213:214], -v[129:130]
	v_mul_f64 v[215:216], v[215:216], v[131:132]
	v_add_f64 v[117:118], v[117:118], -v[129:130]
	v_fma_f64 v[215:216], v[217:218], v[213:214], v[215:216]
	v_add_f64 v[119:120], v[119:120], -v[215:216]
	ds_read2_b64 v[215:218], v253 offset0:56 offset1:57
	s_waitcnt lgkmcnt(0)
	v_mul_f64 v[129:130], v[217:218], v[131:132]
	v_fma_f64 v[129:130], v[215:216], v[213:214], -v[129:130]
	v_mul_f64 v[215:216], v[215:216], v[131:132]
	v_add_f64 v[113:114], v[113:114], -v[129:130]
	v_fma_f64 v[215:216], v[217:218], v[213:214], v[215:216]
	v_add_f64 v[115:116], v[115:116], -v[215:216]
	ds_read2_b64 v[215:218], v253 offset0:58 offset1:59
	s_waitcnt lgkmcnt(0)
	v_mul_f64 v[129:130], v[217:218], v[131:132]
	v_fma_f64 v[129:130], v[215:216], v[213:214], -v[129:130]
	v_mul_f64 v[215:216], v[215:216], v[131:132]
	v_add_f64 v[109:110], v[109:110], -v[129:130]
	v_fma_f64 v[215:216], v[217:218], v[213:214], v[215:216]
	v_add_f64 v[111:112], v[111:112], -v[215:216]
	ds_read2_b64 v[215:218], v253 offset0:60 offset1:61
	s_waitcnt lgkmcnt(0)
	v_mul_f64 v[129:130], v[217:218], v[131:132]
	v_fma_f64 v[129:130], v[215:216], v[213:214], -v[129:130]
	v_mul_f64 v[215:216], v[215:216], v[131:132]
	v_add_f64 v[105:106], v[105:106], -v[129:130]
	v_fma_f64 v[215:216], v[217:218], v[213:214], v[215:216]
	v_add_f64 v[107:108], v[107:108], -v[215:216]
	ds_read2_b64 v[215:218], v253 offset0:62 offset1:63
	s_waitcnt lgkmcnt(0)
	v_mul_f64 v[129:130], v[217:218], v[131:132]
	v_fma_f64 v[129:130], v[215:216], v[213:214], -v[129:130]
	v_mul_f64 v[215:216], v[215:216], v[131:132]
	v_add_f64 v[101:102], v[101:102], -v[129:130]
	v_fma_f64 v[215:216], v[217:218], v[213:214], v[215:216]
	v_add_f64 v[103:104], v[103:104], -v[215:216]
	ds_read2_b64 v[215:218], v253 offset0:64 offset1:65
	s_waitcnt lgkmcnt(0)
	v_mul_f64 v[129:130], v[217:218], v[131:132]
	v_fma_f64 v[129:130], v[215:216], v[213:214], -v[129:130]
	v_mul_f64 v[215:216], v[215:216], v[131:132]
	v_add_f64 v[97:98], v[97:98], -v[129:130]
	v_fma_f64 v[215:216], v[217:218], v[213:214], v[215:216]
	v_add_f64 v[99:100], v[99:100], -v[215:216]
	ds_read2_b64 v[215:218], v253 offset0:66 offset1:67
	s_waitcnt lgkmcnt(0)
	v_mul_f64 v[129:130], v[217:218], v[131:132]
	v_fma_f64 v[129:130], v[215:216], v[213:214], -v[129:130]
	v_mul_f64 v[215:216], v[215:216], v[131:132]
	v_add_f64 v[93:94], v[93:94], -v[129:130]
	v_fma_f64 v[215:216], v[217:218], v[213:214], v[215:216]
	v_add_f64 v[95:96], v[95:96], -v[215:216]
	ds_read2_b64 v[215:218], v253 offset0:68 offset1:69
	s_waitcnt lgkmcnt(0)
	v_mul_f64 v[129:130], v[217:218], v[131:132]
	v_fma_f64 v[129:130], v[215:216], v[213:214], -v[129:130]
	v_mul_f64 v[215:216], v[215:216], v[131:132]
	v_add_f64 v[89:90], v[89:90], -v[129:130]
	v_fma_f64 v[215:216], v[217:218], v[213:214], v[215:216]
	v_add_f64 v[91:92], v[91:92], -v[215:216]
	ds_read2_b64 v[215:218], v253 offset0:70 offset1:71
	s_waitcnt lgkmcnt(0)
	v_mul_f64 v[129:130], v[217:218], v[131:132]
	v_fma_f64 v[129:130], v[215:216], v[213:214], -v[129:130]
	v_mul_f64 v[215:216], v[215:216], v[131:132]
	v_add_f64 v[85:86], v[85:86], -v[129:130]
	v_fma_f64 v[215:216], v[217:218], v[213:214], v[215:216]
	v_add_f64 v[87:88], v[87:88], -v[215:216]
	ds_read2_b64 v[215:218], v253 offset0:72 offset1:73
	s_waitcnt lgkmcnt(0)
	v_mul_f64 v[129:130], v[217:218], v[131:132]
	v_fma_f64 v[129:130], v[215:216], v[213:214], -v[129:130]
	v_mul_f64 v[215:216], v[215:216], v[131:132]
	v_add_f64 v[81:82], v[81:82], -v[129:130]
	v_fma_f64 v[215:216], v[217:218], v[213:214], v[215:216]
	v_add_f64 v[83:84], v[83:84], -v[215:216]
	ds_read2_b64 v[215:218], v253 offset0:74 offset1:75
	s_waitcnt lgkmcnt(0)
	v_mul_f64 v[129:130], v[217:218], v[131:132]
	v_fma_f64 v[129:130], v[215:216], v[213:214], -v[129:130]
	v_mul_f64 v[215:216], v[215:216], v[131:132]
	v_add_f64 v[77:78], v[77:78], -v[129:130]
	v_fma_f64 v[215:216], v[217:218], v[213:214], v[215:216]
	v_add_f64 v[79:80], v[79:80], -v[215:216]
	ds_read2_b64 v[215:218], v253 offset0:76 offset1:77
	s_waitcnt lgkmcnt(0)
	v_mul_f64 v[129:130], v[217:218], v[131:132]
	v_fma_f64 v[129:130], v[215:216], v[213:214], -v[129:130]
	v_mul_f64 v[215:216], v[215:216], v[131:132]
	v_add_f64 v[73:74], v[73:74], -v[129:130]
	v_fma_f64 v[215:216], v[217:218], v[213:214], v[215:216]
	v_add_f64 v[75:76], v[75:76], -v[215:216]
	ds_read2_b64 v[215:218], v253 offset0:78 offset1:79
	s_waitcnt lgkmcnt(0)
	v_mul_f64 v[129:130], v[217:218], v[131:132]
	v_fma_f64 v[129:130], v[215:216], v[213:214], -v[129:130]
	v_mul_f64 v[215:216], v[215:216], v[131:132]
	v_add_f64 v[69:70], v[69:70], -v[129:130]
	v_fma_f64 v[215:216], v[217:218], v[213:214], v[215:216]
	v_add_f64 v[71:72], v[71:72], -v[215:216]
	ds_read2_b64 v[215:218], v253 offset0:80 offset1:81
	s_waitcnt lgkmcnt(0)
	v_mul_f64 v[129:130], v[217:218], v[131:132]
	v_fma_f64 v[129:130], v[215:216], v[213:214], -v[129:130]
	v_mul_f64 v[215:216], v[215:216], v[131:132]
	v_add_f64 v[65:66], v[65:66], -v[129:130]
	v_fma_f64 v[215:216], v[217:218], v[213:214], v[215:216]
	v_add_f64 v[67:68], v[67:68], -v[215:216]
	ds_read2_b64 v[215:218], v253 offset0:82 offset1:83
	s_waitcnt lgkmcnt(0)
	v_mul_f64 v[129:130], v[217:218], v[131:132]
	v_fma_f64 v[129:130], v[215:216], v[213:214], -v[129:130]
	v_mul_f64 v[215:216], v[215:216], v[131:132]
	v_add_f64 v[61:62], v[61:62], -v[129:130]
	v_fma_f64 v[215:216], v[217:218], v[213:214], v[215:216]
	v_add_f64 v[63:64], v[63:64], -v[215:216]
	ds_read2_b64 v[215:218], v253 offset0:84 offset1:85
	s_waitcnt lgkmcnt(0)
	v_mul_f64 v[129:130], v[217:218], v[131:132]
	v_fma_f64 v[129:130], v[215:216], v[213:214], -v[129:130]
	v_mul_f64 v[215:216], v[215:216], v[131:132]
	v_add_f64 v[57:58], v[57:58], -v[129:130]
	v_fma_f64 v[215:216], v[217:218], v[213:214], v[215:216]
	v_add_f64 v[59:60], v[59:60], -v[215:216]
	ds_read2_b64 v[215:218], v253 offset0:86 offset1:87
	s_waitcnt lgkmcnt(0)
	v_mul_f64 v[129:130], v[217:218], v[131:132]
	v_fma_f64 v[129:130], v[215:216], v[213:214], -v[129:130]
	v_mul_f64 v[215:216], v[215:216], v[131:132]
	v_add_f64 v[53:54], v[53:54], -v[129:130]
	v_fma_f64 v[215:216], v[217:218], v[213:214], v[215:216]
	v_add_f64 v[55:56], v[55:56], -v[215:216]
	ds_read2_b64 v[215:218], v253 offset0:88 offset1:89
	s_waitcnt lgkmcnt(0)
	v_mul_f64 v[129:130], v[217:218], v[131:132]
	v_fma_f64 v[129:130], v[215:216], v[213:214], -v[129:130]
	v_mul_f64 v[215:216], v[215:216], v[131:132]
	v_add_f64 v[49:50], v[49:50], -v[129:130]
	v_fma_f64 v[215:216], v[217:218], v[213:214], v[215:216]
	v_add_f64 v[51:52], v[51:52], -v[215:216]
	ds_read2_b64 v[215:218], v253 offset0:90 offset1:91
	s_waitcnt lgkmcnt(0)
	v_mul_f64 v[129:130], v[217:218], v[131:132]
	v_fma_f64 v[129:130], v[215:216], v[213:214], -v[129:130]
	v_mul_f64 v[215:216], v[215:216], v[131:132]
	v_add_f64 v[45:46], v[45:46], -v[129:130]
	v_fma_f64 v[215:216], v[217:218], v[213:214], v[215:216]
	v_add_f64 v[47:48], v[47:48], -v[215:216]
	ds_read2_b64 v[215:218], v253 offset0:92 offset1:93
	s_waitcnt lgkmcnt(0)
	v_mul_f64 v[129:130], v[217:218], v[131:132]
	v_fma_f64 v[129:130], v[215:216], v[213:214], -v[129:130]
	v_mul_f64 v[215:216], v[215:216], v[131:132]
	v_add_f64 v[41:42], v[41:42], -v[129:130]
	v_fma_f64 v[215:216], v[217:218], v[213:214], v[215:216]
	v_add_f64 v[43:44], v[43:44], -v[215:216]
	ds_read2_b64 v[215:218], v253 offset0:94 offset1:95
	s_waitcnt lgkmcnt(0)
	v_mul_f64 v[129:130], v[217:218], v[131:132]
	v_fma_f64 v[129:130], v[215:216], v[213:214], -v[129:130]
	v_mul_f64 v[215:216], v[215:216], v[131:132]
	v_add_f64 v[37:38], v[37:38], -v[129:130]
	v_fma_f64 v[215:216], v[217:218], v[213:214], v[215:216]
	v_add_f64 v[39:40], v[39:40], -v[215:216]
	ds_read2_b64 v[215:218], v253 offset0:96 offset1:97
	s_waitcnt lgkmcnt(0)
	v_mul_f64 v[129:130], v[217:218], v[131:132]
	v_fma_f64 v[129:130], v[215:216], v[213:214], -v[129:130]
	v_mul_f64 v[215:216], v[215:216], v[131:132]
	v_add_f64 v[33:34], v[33:34], -v[129:130]
	v_fma_f64 v[215:216], v[217:218], v[213:214], v[215:216]
	v_add_f64 v[35:36], v[35:36], -v[215:216]
	ds_read2_b64 v[215:218], v253 offset0:98 offset1:99
	s_waitcnt lgkmcnt(0)
	v_mul_f64 v[129:130], v[217:218], v[131:132]
	v_fma_f64 v[129:130], v[215:216], v[213:214], -v[129:130]
	v_mul_f64 v[215:216], v[215:216], v[131:132]
	v_add_f64 v[29:30], v[29:30], -v[129:130]
	v_fma_f64 v[215:216], v[217:218], v[213:214], v[215:216]
	v_add_f64 v[31:32], v[31:32], -v[215:216]
	ds_read2_b64 v[215:218], v253 offset0:100 offset1:101
	s_waitcnt lgkmcnt(0)
	v_mul_f64 v[129:130], v[217:218], v[131:132]
	v_fma_f64 v[129:130], v[215:216], v[213:214], -v[129:130]
	v_mul_f64 v[215:216], v[215:216], v[131:132]
	v_add_f64 v[25:26], v[25:26], -v[129:130]
	v_fma_f64 v[215:216], v[217:218], v[213:214], v[215:216]
	v_add_f64 v[27:28], v[27:28], -v[215:216]
	ds_read2_b64 v[215:218], v253 offset0:102 offset1:103
	s_waitcnt lgkmcnt(0)
	v_mul_f64 v[129:130], v[217:218], v[131:132]
	v_fma_f64 v[129:130], v[215:216], v[213:214], -v[129:130]
	v_mul_f64 v[215:216], v[215:216], v[131:132]
	v_add_f64 v[21:22], v[21:22], -v[129:130]
	v_fma_f64 v[215:216], v[217:218], v[213:214], v[215:216]
	v_add_f64 v[23:24], v[23:24], -v[215:216]
	ds_read2_b64 v[215:218], v253 offset0:104 offset1:105
	s_waitcnt lgkmcnt(0)
	v_mul_f64 v[129:130], v[217:218], v[131:132]
	v_fma_f64 v[129:130], v[215:216], v[213:214], -v[129:130]
	v_mul_f64 v[215:216], v[215:216], v[131:132]
	v_add_f64 v[17:18], v[17:18], -v[129:130]
	v_fma_f64 v[215:216], v[217:218], v[213:214], v[215:216]
	v_add_f64 v[19:20], v[19:20], -v[215:216]
	ds_read2_b64 v[215:218], v253 offset0:106 offset1:107
	s_waitcnt lgkmcnt(0)
	v_mul_f64 v[129:130], v[217:218], v[131:132]
	v_fma_f64 v[129:130], v[215:216], v[213:214], -v[129:130]
	v_mul_f64 v[215:216], v[215:216], v[131:132]
	v_add_f64 v[13:14], v[13:14], -v[129:130]
	v_fma_f64 v[215:216], v[217:218], v[213:214], v[215:216]
	v_add_f64 v[15:16], v[15:16], -v[215:216]
	ds_read2_b64 v[215:218], v253 offset0:108 offset1:109
	s_waitcnt lgkmcnt(0)
	v_mul_f64 v[129:130], v[217:218], v[131:132]
	v_fma_f64 v[129:130], v[215:216], v[213:214], -v[129:130]
	v_mul_f64 v[215:216], v[215:216], v[131:132]
	v_add_f64 v[9:10], v[9:10], -v[129:130]
	v_fma_f64 v[215:216], v[217:218], v[213:214], v[215:216]
	v_add_f64 v[11:12], v[11:12], -v[215:216]
	ds_read2_b64 v[215:218], v253 offset0:110 offset1:111
	s_waitcnt lgkmcnt(0)
	v_mul_f64 v[129:130], v[217:218], v[131:132]
	v_fma_f64 v[129:130], v[215:216], v[213:214], -v[129:130]
	v_mul_f64 v[215:216], v[215:216], v[131:132]
	v_add_f64 v[5:6], v[5:6], -v[129:130]
	v_fma_f64 v[215:216], v[217:218], v[213:214], v[215:216]
	v_add_f64 v[7:8], v[7:8], -v[215:216]
	ds_read2_b64 v[215:218], v253 offset0:112 offset1:113
	s_waitcnt lgkmcnt(0)
	v_mul_f64 v[129:130], v[217:218], v[131:132]
	v_fma_f64 v[129:130], v[215:216], v[213:214], -v[129:130]
	v_mul_f64 v[215:216], v[215:216], v[131:132]
	v_add_f64 v[1:2], v[1:2], -v[129:130]
	v_fma_f64 v[215:216], v[217:218], v[213:214], v[215:216]
	v_mov_b32_e32 v129, v213
	v_mov_b32_e32 v130, v214
	v_add_f64 v[3:4], v[3:4], -v[215:216]
.LBB113_226:
	s_or_b32 exec_lo, exec_lo, s1
	s_mov_b32 s2, exec_lo
	s_waitcnt_vscnt null, 0x0
	s_barrier
	buffer_gl0_inv
	v_cmpx_eq_u32_e32 25, v0
	s_cbranch_execz .LBB113_233
; %bb.227:
	ds_write2_b64 v255, v[125:126], v[127:128] offset1:1
	ds_write2_b64 v253, v[121:122], v[123:124] offset0:52 offset1:53
	ds_write2_b64 v253, v[117:118], v[119:120] offset0:54 offset1:55
	;; [unrolled: 1-line block ×31, first 2 shown]
	ds_read2_b64 v[213:216], v255 offset1:1
	s_waitcnt lgkmcnt(0)
	v_cmp_neq_f64_e32 vcc_lo, 0, v[213:214]
	v_cmp_neq_f64_e64 s1, 0, v[215:216]
	s_or_b32 s1, vcc_lo, s1
	s_and_b32 exec_lo, exec_lo, s1
	s_cbranch_execz .LBB113_233
; %bb.228:
	v_cmp_ngt_f64_e64 s1, |v[213:214]|, |v[215:216]|
                                        ; implicit-def: $vgpr217_vgpr218
	s_and_saveexec_b32 s3, s1
	s_xor_b32 s1, exec_lo, s3
                                        ; implicit-def: $vgpr219_vgpr220
	s_cbranch_execz .LBB113_230
; %bb.229:
	v_div_scale_f64 v[217:218], null, v[215:216], v[215:216], v[213:214]
	v_div_scale_f64 v[223:224], vcc_lo, v[213:214], v[215:216], v[213:214]
	v_rcp_f64_e32 v[219:220], v[217:218]
	v_fma_f64 v[221:222], -v[217:218], v[219:220], 1.0
	v_fma_f64 v[219:220], v[219:220], v[221:222], v[219:220]
	v_fma_f64 v[221:222], -v[217:218], v[219:220], 1.0
	v_fma_f64 v[219:220], v[219:220], v[221:222], v[219:220]
	v_mul_f64 v[221:222], v[223:224], v[219:220]
	v_fma_f64 v[217:218], -v[217:218], v[221:222], v[223:224]
	v_div_fmas_f64 v[217:218], v[217:218], v[219:220], v[221:222]
	v_div_fixup_f64 v[217:218], v[217:218], v[215:216], v[213:214]
	v_fma_f64 v[213:214], v[213:214], v[217:218], v[215:216]
	v_div_scale_f64 v[215:216], null, v[213:214], v[213:214], 1.0
	v_rcp_f64_e32 v[219:220], v[215:216]
	v_fma_f64 v[221:222], -v[215:216], v[219:220], 1.0
	v_fma_f64 v[219:220], v[219:220], v[221:222], v[219:220]
	v_fma_f64 v[221:222], -v[215:216], v[219:220], 1.0
	v_fma_f64 v[219:220], v[219:220], v[221:222], v[219:220]
	v_div_scale_f64 v[221:222], vcc_lo, 1.0, v[213:214], 1.0
	v_mul_f64 v[223:224], v[221:222], v[219:220]
	v_fma_f64 v[215:216], -v[215:216], v[223:224], v[221:222]
	v_div_fmas_f64 v[215:216], v[215:216], v[219:220], v[223:224]
	v_div_fixup_f64 v[219:220], v[215:216], v[213:214], 1.0
                                        ; implicit-def: $vgpr213_vgpr214
	v_mul_f64 v[217:218], v[217:218], v[219:220]
	v_xor_b32_e32 v220, 0x80000000, v220
.LBB113_230:
	s_andn2_saveexec_b32 s1, s1
	s_cbranch_execz .LBB113_232
; %bb.231:
	v_div_scale_f64 v[217:218], null, v[213:214], v[213:214], v[215:216]
	v_div_scale_f64 v[223:224], vcc_lo, v[215:216], v[213:214], v[215:216]
	v_rcp_f64_e32 v[219:220], v[217:218]
	v_fma_f64 v[221:222], -v[217:218], v[219:220], 1.0
	v_fma_f64 v[219:220], v[219:220], v[221:222], v[219:220]
	v_fma_f64 v[221:222], -v[217:218], v[219:220], 1.0
	v_fma_f64 v[219:220], v[219:220], v[221:222], v[219:220]
	v_mul_f64 v[221:222], v[223:224], v[219:220]
	v_fma_f64 v[217:218], -v[217:218], v[221:222], v[223:224]
	v_div_fmas_f64 v[217:218], v[217:218], v[219:220], v[221:222]
	v_div_fixup_f64 v[219:220], v[217:218], v[213:214], v[215:216]
	v_fma_f64 v[213:214], v[215:216], v[219:220], v[213:214]
	v_div_scale_f64 v[215:216], null, v[213:214], v[213:214], 1.0
	v_rcp_f64_e32 v[217:218], v[215:216]
	v_fma_f64 v[221:222], -v[215:216], v[217:218], 1.0
	v_fma_f64 v[217:218], v[217:218], v[221:222], v[217:218]
	v_fma_f64 v[221:222], -v[215:216], v[217:218], 1.0
	v_fma_f64 v[217:218], v[217:218], v[221:222], v[217:218]
	v_div_scale_f64 v[221:222], vcc_lo, 1.0, v[213:214], 1.0
	v_mul_f64 v[223:224], v[221:222], v[217:218]
	v_fma_f64 v[215:216], -v[215:216], v[223:224], v[221:222]
	v_div_fmas_f64 v[215:216], v[215:216], v[217:218], v[223:224]
	v_div_fixup_f64 v[217:218], v[215:216], v[213:214], 1.0
	v_mul_f64 v[219:220], v[219:220], -v[217:218]
.LBB113_232:
	s_or_b32 exec_lo, exec_lo, s1
	ds_write2_b64 v255, v[217:218], v[219:220] offset1:1
.LBB113_233:
	s_or_b32 exec_lo, exec_lo, s2
	s_waitcnt lgkmcnt(0)
	s_barrier
	buffer_gl0_inv
	ds_read2_b64 v[193:196], v255 offset1:1
	s_mov_b32 s1, exec_lo
	s_waitcnt lgkmcnt(0)
	buffer_store_dword v193, off, s[16:19], 0 offset:864 ; 4-byte Folded Spill
	buffer_store_dword v194, off, s[16:19], 0 offset:868 ; 4-byte Folded Spill
	;; [unrolled: 1-line block ×4, first 2 shown]
	v_cmpx_lt_u32_e32 25, v0
	s_cbranch_execz .LBB113_235
; %bb.234:
	s_clause 0x3
	buffer_load_dword v193, off, s[16:19], 0 offset:864
	buffer_load_dword v194, off, s[16:19], 0 offset:868
	;; [unrolled: 1-line block ×4, first 2 shown]
	ds_read2_b64 v[215:218], v253 offset0:52 offset1:53
	s_waitcnt vmcnt(0)
	v_mul_f64 v[213:214], v[195:196], v[127:128]
	v_mul_f64 v[127:128], v[193:194], v[127:128]
	v_fma_f64 v[213:214], v[193:194], v[125:126], -v[213:214]
	v_fma_f64 v[127:128], v[195:196], v[125:126], v[127:128]
	s_waitcnt lgkmcnt(0)
	v_mul_f64 v[125:126], v[217:218], v[127:128]
	v_fma_f64 v[125:126], v[215:216], v[213:214], -v[125:126]
	v_mul_f64 v[215:216], v[215:216], v[127:128]
	v_add_f64 v[121:122], v[121:122], -v[125:126]
	v_fma_f64 v[215:216], v[217:218], v[213:214], v[215:216]
	v_add_f64 v[123:124], v[123:124], -v[215:216]
	ds_read2_b64 v[215:218], v253 offset0:54 offset1:55
	s_waitcnt lgkmcnt(0)
	v_mul_f64 v[125:126], v[217:218], v[127:128]
	v_fma_f64 v[125:126], v[215:216], v[213:214], -v[125:126]
	v_mul_f64 v[215:216], v[215:216], v[127:128]
	v_add_f64 v[117:118], v[117:118], -v[125:126]
	v_fma_f64 v[215:216], v[217:218], v[213:214], v[215:216]
	v_add_f64 v[119:120], v[119:120], -v[215:216]
	ds_read2_b64 v[215:218], v253 offset0:56 offset1:57
	;; [unrolled: 8-line block ×30, first 2 shown]
	s_waitcnt lgkmcnt(0)
	v_mul_f64 v[125:126], v[217:218], v[127:128]
	v_fma_f64 v[125:126], v[215:216], v[213:214], -v[125:126]
	v_mul_f64 v[215:216], v[215:216], v[127:128]
	v_add_f64 v[1:2], v[1:2], -v[125:126]
	v_fma_f64 v[215:216], v[217:218], v[213:214], v[215:216]
	v_mov_b32_e32 v125, v213
	v_mov_b32_e32 v126, v214
	v_add_f64 v[3:4], v[3:4], -v[215:216]
.LBB113_235:
	s_or_b32 exec_lo, exec_lo, s1
	s_mov_b32 s2, exec_lo
	s_waitcnt_vscnt null, 0x0
	s_barrier
	buffer_gl0_inv
	v_cmpx_eq_u32_e32 26, v0
	s_cbranch_execz .LBB113_242
; %bb.236:
	ds_write2_b64 v255, v[121:122], v[123:124] offset1:1
	ds_write2_b64 v253, v[117:118], v[119:120] offset0:54 offset1:55
	ds_write2_b64 v253, v[113:114], v[115:116] offset0:56 offset1:57
	;; [unrolled: 1-line block ×30, first 2 shown]
	ds_read2_b64 v[213:216], v255 offset1:1
	s_waitcnt lgkmcnt(0)
	v_cmp_neq_f64_e32 vcc_lo, 0, v[213:214]
	v_cmp_neq_f64_e64 s1, 0, v[215:216]
	s_or_b32 s1, vcc_lo, s1
	s_and_b32 exec_lo, exec_lo, s1
	s_cbranch_execz .LBB113_242
; %bb.237:
	v_cmp_ngt_f64_e64 s1, |v[213:214]|, |v[215:216]|
                                        ; implicit-def: $vgpr217_vgpr218
	s_and_saveexec_b32 s3, s1
	s_xor_b32 s1, exec_lo, s3
                                        ; implicit-def: $vgpr219_vgpr220
	s_cbranch_execz .LBB113_239
; %bb.238:
	v_div_scale_f64 v[217:218], null, v[215:216], v[215:216], v[213:214]
	v_div_scale_f64 v[223:224], vcc_lo, v[213:214], v[215:216], v[213:214]
	v_rcp_f64_e32 v[219:220], v[217:218]
	v_fma_f64 v[221:222], -v[217:218], v[219:220], 1.0
	v_fma_f64 v[219:220], v[219:220], v[221:222], v[219:220]
	v_fma_f64 v[221:222], -v[217:218], v[219:220], 1.0
	v_fma_f64 v[219:220], v[219:220], v[221:222], v[219:220]
	v_mul_f64 v[221:222], v[223:224], v[219:220]
	v_fma_f64 v[217:218], -v[217:218], v[221:222], v[223:224]
	v_div_fmas_f64 v[217:218], v[217:218], v[219:220], v[221:222]
	v_div_fixup_f64 v[217:218], v[217:218], v[215:216], v[213:214]
	v_fma_f64 v[213:214], v[213:214], v[217:218], v[215:216]
	v_div_scale_f64 v[215:216], null, v[213:214], v[213:214], 1.0
	v_rcp_f64_e32 v[219:220], v[215:216]
	v_fma_f64 v[221:222], -v[215:216], v[219:220], 1.0
	v_fma_f64 v[219:220], v[219:220], v[221:222], v[219:220]
	v_fma_f64 v[221:222], -v[215:216], v[219:220], 1.0
	v_fma_f64 v[219:220], v[219:220], v[221:222], v[219:220]
	v_div_scale_f64 v[221:222], vcc_lo, 1.0, v[213:214], 1.0
	v_mul_f64 v[223:224], v[221:222], v[219:220]
	v_fma_f64 v[215:216], -v[215:216], v[223:224], v[221:222]
	v_div_fmas_f64 v[215:216], v[215:216], v[219:220], v[223:224]
	v_div_fixup_f64 v[219:220], v[215:216], v[213:214], 1.0
                                        ; implicit-def: $vgpr213_vgpr214
	v_mul_f64 v[217:218], v[217:218], v[219:220]
	v_xor_b32_e32 v220, 0x80000000, v220
.LBB113_239:
	s_andn2_saveexec_b32 s1, s1
	s_cbranch_execz .LBB113_241
; %bb.240:
	v_div_scale_f64 v[217:218], null, v[213:214], v[213:214], v[215:216]
	v_div_scale_f64 v[223:224], vcc_lo, v[215:216], v[213:214], v[215:216]
	v_rcp_f64_e32 v[219:220], v[217:218]
	v_fma_f64 v[221:222], -v[217:218], v[219:220], 1.0
	v_fma_f64 v[219:220], v[219:220], v[221:222], v[219:220]
	v_fma_f64 v[221:222], -v[217:218], v[219:220], 1.0
	v_fma_f64 v[219:220], v[219:220], v[221:222], v[219:220]
	v_mul_f64 v[221:222], v[223:224], v[219:220]
	v_fma_f64 v[217:218], -v[217:218], v[221:222], v[223:224]
	v_div_fmas_f64 v[217:218], v[217:218], v[219:220], v[221:222]
	v_div_fixup_f64 v[219:220], v[217:218], v[213:214], v[215:216]
	v_fma_f64 v[213:214], v[215:216], v[219:220], v[213:214]
	v_div_scale_f64 v[215:216], null, v[213:214], v[213:214], 1.0
	v_rcp_f64_e32 v[217:218], v[215:216]
	v_fma_f64 v[221:222], -v[215:216], v[217:218], 1.0
	v_fma_f64 v[217:218], v[217:218], v[221:222], v[217:218]
	v_fma_f64 v[221:222], -v[215:216], v[217:218], 1.0
	v_fma_f64 v[217:218], v[217:218], v[221:222], v[217:218]
	v_div_scale_f64 v[221:222], vcc_lo, 1.0, v[213:214], 1.0
	v_mul_f64 v[223:224], v[221:222], v[217:218]
	v_fma_f64 v[215:216], -v[215:216], v[223:224], v[221:222]
	v_div_fmas_f64 v[215:216], v[215:216], v[217:218], v[223:224]
	v_div_fixup_f64 v[217:218], v[215:216], v[213:214], 1.0
	v_mul_f64 v[219:220], v[219:220], -v[217:218]
.LBB113_241:
	s_or_b32 exec_lo, exec_lo, s1
	ds_write2_b64 v255, v[217:218], v[219:220] offset1:1
.LBB113_242:
	s_or_b32 exec_lo, exec_lo, s2
	s_waitcnt lgkmcnt(0)
	s_barrier
	buffer_gl0_inv
	ds_read2_b64 v[193:196], v255 offset1:1
	s_mov_b32 s1, exec_lo
	s_waitcnt lgkmcnt(0)
	buffer_store_dword v193, off, s[16:19], 0 offset:880 ; 4-byte Folded Spill
	buffer_store_dword v194, off, s[16:19], 0 offset:884 ; 4-byte Folded Spill
	;; [unrolled: 1-line block ×4, first 2 shown]
	v_cmpx_lt_u32_e32 26, v0
	s_cbranch_execz .LBB113_244
; %bb.243:
	s_clause 0x3
	buffer_load_dword v193, off, s[16:19], 0 offset:880
	buffer_load_dword v194, off, s[16:19], 0 offset:884
	buffer_load_dword v195, off, s[16:19], 0 offset:888
	buffer_load_dword v196, off, s[16:19], 0 offset:892
	ds_read2_b64 v[215:218], v253 offset0:54 offset1:55
	s_waitcnt vmcnt(0)
	v_mul_f64 v[213:214], v[195:196], v[123:124]
	v_mul_f64 v[123:124], v[193:194], v[123:124]
	v_fma_f64 v[213:214], v[193:194], v[121:122], -v[213:214]
	v_fma_f64 v[123:124], v[195:196], v[121:122], v[123:124]
	s_waitcnt lgkmcnt(0)
	v_mul_f64 v[121:122], v[217:218], v[123:124]
	v_fma_f64 v[121:122], v[215:216], v[213:214], -v[121:122]
	v_mul_f64 v[215:216], v[215:216], v[123:124]
	v_add_f64 v[117:118], v[117:118], -v[121:122]
	v_fma_f64 v[215:216], v[217:218], v[213:214], v[215:216]
	v_add_f64 v[119:120], v[119:120], -v[215:216]
	ds_read2_b64 v[215:218], v253 offset0:56 offset1:57
	s_waitcnt lgkmcnt(0)
	v_mul_f64 v[121:122], v[217:218], v[123:124]
	v_fma_f64 v[121:122], v[215:216], v[213:214], -v[121:122]
	v_mul_f64 v[215:216], v[215:216], v[123:124]
	v_add_f64 v[113:114], v[113:114], -v[121:122]
	v_fma_f64 v[215:216], v[217:218], v[213:214], v[215:216]
	v_add_f64 v[115:116], v[115:116], -v[215:216]
	ds_read2_b64 v[215:218], v253 offset0:58 offset1:59
	;; [unrolled: 8-line block ×29, first 2 shown]
	s_waitcnt lgkmcnt(0)
	v_mul_f64 v[121:122], v[217:218], v[123:124]
	v_fma_f64 v[121:122], v[215:216], v[213:214], -v[121:122]
	v_mul_f64 v[215:216], v[215:216], v[123:124]
	v_add_f64 v[1:2], v[1:2], -v[121:122]
	v_fma_f64 v[215:216], v[217:218], v[213:214], v[215:216]
	v_mov_b32_e32 v121, v213
	v_mov_b32_e32 v122, v214
	v_add_f64 v[3:4], v[3:4], -v[215:216]
.LBB113_244:
	s_or_b32 exec_lo, exec_lo, s1
	s_mov_b32 s2, exec_lo
	s_waitcnt_vscnt null, 0x0
	s_barrier
	buffer_gl0_inv
	v_cmpx_eq_u32_e32 27, v0
	s_cbranch_execz .LBB113_251
; %bb.245:
	ds_write2_b64 v255, v[117:118], v[119:120] offset1:1
	ds_write2_b64 v253, v[113:114], v[115:116] offset0:56 offset1:57
	ds_write2_b64 v253, v[109:110], v[111:112] offset0:58 offset1:59
	;; [unrolled: 1-line block ×29, first 2 shown]
	ds_read2_b64 v[213:216], v255 offset1:1
	s_waitcnt lgkmcnt(0)
	v_cmp_neq_f64_e32 vcc_lo, 0, v[213:214]
	v_cmp_neq_f64_e64 s1, 0, v[215:216]
	s_or_b32 s1, vcc_lo, s1
	s_and_b32 exec_lo, exec_lo, s1
	s_cbranch_execz .LBB113_251
; %bb.246:
	v_cmp_ngt_f64_e64 s1, |v[213:214]|, |v[215:216]|
                                        ; implicit-def: $vgpr217_vgpr218
	s_and_saveexec_b32 s3, s1
	s_xor_b32 s1, exec_lo, s3
                                        ; implicit-def: $vgpr219_vgpr220
	s_cbranch_execz .LBB113_248
; %bb.247:
	v_div_scale_f64 v[217:218], null, v[215:216], v[215:216], v[213:214]
	v_div_scale_f64 v[223:224], vcc_lo, v[213:214], v[215:216], v[213:214]
	v_rcp_f64_e32 v[219:220], v[217:218]
	v_fma_f64 v[221:222], -v[217:218], v[219:220], 1.0
	v_fma_f64 v[219:220], v[219:220], v[221:222], v[219:220]
	v_fma_f64 v[221:222], -v[217:218], v[219:220], 1.0
	v_fma_f64 v[219:220], v[219:220], v[221:222], v[219:220]
	v_mul_f64 v[221:222], v[223:224], v[219:220]
	v_fma_f64 v[217:218], -v[217:218], v[221:222], v[223:224]
	v_div_fmas_f64 v[217:218], v[217:218], v[219:220], v[221:222]
	v_div_fixup_f64 v[217:218], v[217:218], v[215:216], v[213:214]
	v_fma_f64 v[213:214], v[213:214], v[217:218], v[215:216]
	v_div_scale_f64 v[215:216], null, v[213:214], v[213:214], 1.0
	v_rcp_f64_e32 v[219:220], v[215:216]
	v_fma_f64 v[221:222], -v[215:216], v[219:220], 1.0
	v_fma_f64 v[219:220], v[219:220], v[221:222], v[219:220]
	v_fma_f64 v[221:222], -v[215:216], v[219:220], 1.0
	v_fma_f64 v[219:220], v[219:220], v[221:222], v[219:220]
	v_div_scale_f64 v[221:222], vcc_lo, 1.0, v[213:214], 1.0
	v_mul_f64 v[223:224], v[221:222], v[219:220]
	v_fma_f64 v[215:216], -v[215:216], v[223:224], v[221:222]
	v_div_fmas_f64 v[215:216], v[215:216], v[219:220], v[223:224]
	v_div_fixup_f64 v[219:220], v[215:216], v[213:214], 1.0
                                        ; implicit-def: $vgpr213_vgpr214
	v_mul_f64 v[217:218], v[217:218], v[219:220]
	v_xor_b32_e32 v220, 0x80000000, v220
.LBB113_248:
	s_andn2_saveexec_b32 s1, s1
	s_cbranch_execz .LBB113_250
; %bb.249:
	v_div_scale_f64 v[217:218], null, v[213:214], v[213:214], v[215:216]
	v_div_scale_f64 v[223:224], vcc_lo, v[215:216], v[213:214], v[215:216]
	v_rcp_f64_e32 v[219:220], v[217:218]
	v_fma_f64 v[221:222], -v[217:218], v[219:220], 1.0
	v_fma_f64 v[219:220], v[219:220], v[221:222], v[219:220]
	v_fma_f64 v[221:222], -v[217:218], v[219:220], 1.0
	v_fma_f64 v[219:220], v[219:220], v[221:222], v[219:220]
	v_mul_f64 v[221:222], v[223:224], v[219:220]
	v_fma_f64 v[217:218], -v[217:218], v[221:222], v[223:224]
	v_div_fmas_f64 v[217:218], v[217:218], v[219:220], v[221:222]
	v_div_fixup_f64 v[219:220], v[217:218], v[213:214], v[215:216]
	v_fma_f64 v[213:214], v[215:216], v[219:220], v[213:214]
	v_div_scale_f64 v[215:216], null, v[213:214], v[213:214], 1.0
	v_rcp_f64_e32 v[217:218], v[215:216]
	v_fma_f64 v[221:222], -v[215:216], v[217:218], 1.0
	v_fma_f64 v[217:218], v[217:218], v[221:222], v[217:218]
	v_fma_f64 v[221:222], -v[215:216], v[217:218], 1.0
	v_fma_f64 v[217:218], v[217:218], v[221:222], v[217:218]
	v_div_scale_f64 v[221:222], vcc_lo, 1.0, v[213:214], 1.0
	v_mul_f64 v[223:224], v[221:222], v[217:218]
	v_fma_f64 v[215:216], -v[215:216], v[223:224], v[221:222]
	v_div_fmas_f64 v[215:216], v[215:216], v[217:218], v[223:224]
	v_div_fixup_f64 v[217:218], v[215:216], v[213:214], 1.0
	v_mul_f64 v[219:220], v[219:220], -v[217:218]
.LBB113_250:
	s_or_b32 exec_lo, exec_lo, s1
	ds_write2_b64 v255, v[217:218], v[219:220] offset1:1
.LBB113_251:
	s_or_b32 exec_lo, exec_lo, s2
	s_waitcnt lgkmcnt(0)
	s_barrier
	buffer_gl0_inv
	ds_read2_b64 v[193:196], v255 offset1:1
	s_mov_b32 s1, exec_lo
	s_waitcnt lgkmcnt(0)
	buffer_store_dword v193, off, s[16:19], 0 offset:896 ; 4-byte Folded Spill
	buffer_store_dword v194, off, s[16:19], 0 offset:900 ; 4-byte Folded Spill
	;; [unrolled: 1-line block ×4, first 2 shown]
	v_cmpx_lt_u32_e32 27, v0
	s_cbranch_execz .LBB113_253
; %bb.252:
	s_clause 0x3
	buffer_load_dword v193, off, s[16:19], 0 offset:896
	buffer_load_dword v194, off, s[16:19], 0 offset:900
	;; [unrolled: 1-line block ×4, first 2 shown]
	ds_read2_b64 v[215:218], v253 offset0:56 offset1:57
	s_waitcnt vmcnt(0)
	v_mul_f64 v[213:214], v[195:196], v[119:120]
	v_mul_f64 v[119:120], v[193:194], v[119:120]
	v_fma_f64 v[213:214], v[193:194], v[117:118], -v[213:214]
	v_fma_f64 v[119:120], v[195:196], v[117:118], v[119:120]
	s_waitcnt lgkmcnt(0)
	v_mul_f64 v[117:118], v[217:218], v[119:120]
	v_fma_f64 v[117:118], v[215:216], v[213:214], -v[117:118]
	v_mul_f64 v[215:216], v[215:216], v[119:120]
	v_add_f64 v[113:114], v[113:114], -v[117:118]
	v_fma_f64 v[215:216], v[217:218], v[213:214], v[215:216]
	v_add_f64 v[115:116], v[115:116], -v[215:216]
	ds_read2_b64 v[215:218], v253 offset0:58 offset1:59
	s_waitcnt lgkmcnt(0)
	v_mul_f64 v[117:118], v[217:218], v[119:120]
	v_fma_f64 v[117:118], v[215:216], v[213:214], -v[117:118]
	v_mul_f64 v[215:216], v[215:216], v[119:120]
	v_add_f64 v[109:110], v[109:110], -v[117:118]
	v_fma_f64 v[215:216], v[217:218], v[213:214], v[215:216]
	v_add_f64 v[111:112], v[111:112], -v[215:216]
	ds_read2_b64 v[215:218], v253 offset0:60 offset1:61
	;; [unrolled: 8-line block ×28, first 2 shown]
	s_waitcnt lgkmcnt(0)
	v_mul_f64 v[117:118], v[217:218], v[119:120]
	v_fma_f64 v[117:118], v[215:216], v[213:214], -v[117:118]
	v_mul_f64 v[215:216], v[215:216], v[119:120]
	v_add_f64 v[1:2], v[1:2], -v[117:118]
	v_fma_f64 v[215:216], v[217:218], v[213:214], v[215:216]
	v_mov_b32_e32 v117, v213
	v_mov_b32_e32 v118, v214
	v_add_f64 v[3:4], v[3:4], -v[215:216]
.LBB113_253:
	s_or_b32 exec_lo, exec_lo, s1
	s_mov_b32 s2, exec_lo
	s_waitcnt_vscnt null, 0x0
	s_barrier
	buffer_gl0_inv
	v_cmpx_eq_u32_e32 28, v0
	s_cbranch_execz .LBB113_260
; %bb.254:
	ds_write2_b64 v255, v[113:114], v[115:116] offset1:1
	ds_write2_b64 v253, v[109:110], v[111:112] offset0:58 offset1:59
	ds_write2_b64 v253, v[105:106], v[107:108] offset0:60 offset1:61
	;; [unrolled: 1-line block ×28, first 2 shown]
	ds_read2_b64 v[213:216], v255 offset1:1
	s_waitcnt lgkmcnt(0)
	v_cmp_neq_f64_e32 vcc_lo, 0, v[213:214]
	v_cmp_neq_f64_e64 s1, 0, v[215:216]
	s_or_b32 s1, vcc_lo, s1
	s_and_b32 exec_lo, exec_lo, s1
	s_cbranch_execz .LBB113_260
; %bb.255:
	v_cmp_ngt_f64_e64 s1, |v[213:214]|, |v[215:216]|
                                        ; implicit-def: $vgpr217_vgpr218
	s_and_saveexec_b32 s3, s1
	s_xor_b32 s1, exec_lo, s3
                                        ; implicit-def: $vgpr219_vgpr220
	s_cbranch_execz .LBB113_257
; %bb.256:
	v_div_scale_f64 v[217:218], null, v[215:216], v[215:216], v[213:214]
	v_div_scale_f64 v[223:224], vcc_lo, v[213:214], v[215:216], v[213:214]
	v_rcp_f64_e32 v[219:220], v[217:218]
	v_fma_f64 v[221:222], -v[217:218], v[219:220], 1.0
	v_fma_f64 v[219:220], v[219:220], v[221:222], v[219:220]
	v_fma_f64 v[221:222], -v[217:218], v[219:220], 1.0
	v_fma_f64 v[219:220], v[219:220], v[221:222], v[219:220]
	v_mul_f64 v[221:222], v[223:224], v[219:220]
	v_fma_f64 v[217:218], -v[217:218], v[221:222], v[223:224]
	v_div_fmas_f64 v[217:218], v[217:218], v[219:220], v[221:222]
	v_div_fixup_f64 v[217:218], v[217:218], v[215:216], v[213:214]
	v_fma_f64 v[213:214], v[213:214], v[217:218], v[215:216]
	v_div_scale_f64 v[215:216], null, v[213:214], v[213:214], 1.0
	v_rcp_f64_e32 v[219:220], v[215:216]
	v_fma_f64 v[221:222], -v[215:216], v[219:220], 1.0
	v_fma_f64 v[219:220], v[219:220], v[221:222], v[219:220]
	v_fma_f64 v[221:222], -v[215:216], v[219:220], 1.0
	v_fma_f64 v[219:220], v[219:220], v[221:222], v[219:220]
	v_div_scale_f64 v[221:222], vcc_lo, 1.0, v[213:214], 1.0
	v_mul_f64 v[223:224], v[221:222], v[219:220]
	v_fma_f64 v[215:216], -v[215:216], v[223:224], v[221:222]
	v_div_fmas_f64 v[215:216], v[215:216], v[219:220], v[223:224]
	v_div_fixup_f64 v[219:220], v[215:216], v[213:214], 1.0
                                        ; implicit-def: $vgpr213_vgpr214
	v_mul_f64 v[217:218], v[217:218], v[219:220]
	v_xor_b32_e32 v220, 0x80000000, v220
.LBB113_257:
	s_andn2_saveexec_b32 s1, s1
	s_cbranch_execz .LBB113_259
; %bb.258:
	v_div_scale_f64 v[217:218], null, v[213:214], v[213:214], v[215:216]
	v_div_scale_f64 v[223:224], vcc_lo, v[215:216], v[213:214], v[215:216]
	v_rcp_f64_e32 v[219:220], v[217:218]
	v_fma_f64 v[221:222], -v[217:218], v[219:220], 1.0
	v_fma_f64 v[219:220], v[219:220], v[221:222], v[219:220]
	v_fma_f64 v[221:222], -v[217:218], v[219:220], 1.0
	v_fma_f64 v[219:220], v[219:220], v[221:222], v[219:220]
	v_mul_f64 v[221:222], v[223:224], v[219:220]
	v_fma_f64 v[217:218], -v[217:218], v[221:222], v[223:224]
	v_div_fmas_f64 v[217:218], v[217:218], v[219:220], v[221:222]
	v_div_fixup_f64 v[219:220], v[217:218], v[213:214], v[215:216]
	v_fma_f64 v[213:214], v[215:216], v[219:220], v[213:214]
	v_div_scale_f64 v[215:216], null, v[213:214], v[213:214], 1.0
	v_rcp_f64_e32 v[217:218], v[215:216]
	v_fma_f64 v[221:222], -v[215:216], v[217:218], 1.0
	v_fma_f64 v[217:218], v[217:218], v[221:222], v[217:218]
	v_fma_f64 v[221:222], -v[215:216], v[217:218], 1.0
	v_fma_f64 v[217:218], v[217:218], v[221:222], v[217:218]
	v_div_scale_f64 v[221:222], vcc_lo, 1.0, v[213:214], 1.0
	v_mul_f64 v[223:224], v[221:222], v[217:218]
	v_fma_f64 v[215:216], -v[215:216], v[223:224], v[221:222]
	v_div_fmas_f64 v[215:216], v[215:216], v[217:218], v[223:224]
	v_div_fixup_f64 v[217:218], v[215:216], v[213:214], 1.0
	v_mul_f64 v[219:220], v[219:220], -v[217:218]
.LBB113_259:
	s_or_b32 exec_lo, exec_lo, s1
	ds_write2_b64 v255, v[217:218], v[219:220] offset1:1
.LBB113_260:
	s_or_b32 exec_lo, exec_lo, s2
	s_waitcnt lgkmcnt(0)
	s_barrier
	buffer_gl0_inv
	ds_read2_b64 v[193:196], v255 offset1:1
	s_mov_b32 s1, exec_lo
	s_waitcnt lgkmcnt(0)
	buffer_store_dword v193, off, s[16:19], 0 offset:912 ; 4-byte Folded Spill
	buffer_store_dword v194, off, s[16:19], 0 offset:916 ; 4-byte Folded Spill
	;; [unrolled: 1-line block ×4, first 2 shown]
	v_cmpx_lt_u32_e32 28, v0
	s_cbranch_execz .LBB113_262
; %bb.261:
	s_clause 0x3
	buffer_load_dword v193, off, s[16:19], 0 offset:912
	buffer_load_dword v194, off, s[16:19], 0 offset:916
	;; [unrolled: 1-line block ×4, first 2 shown]
	ds_read2_b64 v[215:218], v253 offset0:58 offset1:59
	s_waitcnt vmcnt(0)
	v_mul_f64 v[213:214], v[195:196], v[115:116]
	v_mul_f64 v[115:116], v[193:194], v[115:116]
	v_fma_f64 v[213:214], v[193:194], v[113:114], -v[213:214]
	v_fma_f64 v[115:116], v[195:196], v[113:114], v[115:116]
	s_waitcnt lgkmcnt(0)
	v_mul_f64 v[113:114], v[217:218], v[115:116]
	v_fma_f64 v[113:114], v[215:216], v[213:214], -v[113:114]
	v_mul_f64 v[215:216], v[215:216], v[115:116]
	v_add_f64 v[109:110], v[109:110], -v[113:114]
	v_fma_f64 v[215:216], v[217:218], v[213:214], v[215:216]
	v_add_f64 v[111:112], v[111:112], -v[215:216]
	ds_read2_b64 v[215:218], v253 offset0:60 offset1:61
	s_waitcnt lgkmcnt(0)
	v_mul_f64 v[113:114], v[217:218], v[115:116]
	v_fma_f64 v[113:114], v[215:216], v[213:214], -v[113:114]
	v_mul_f64 v[215:216], v[215:216], v[115:116]
	v_add_f64 v[105:106], v[105:106], -v[113:114]
	v_fma_f64 v[215:216], v[217:218], v[213:214], v[215:216]
	v_add_f64 v[107:108], v[107:108], -v[215:216]
	ds_read2_b64 v[215:218], v253 offset0:62 offset1:63
	;; [unrolled: 8-line block ×27, first 2 shown]
	s_waitcnt lgkmcnt(0)
	v_mul_f64 v[113:114], v[217:218], v[115:116]
	v_fma_f64 v[113:114], v[215:216], v[213:214], -v[113:114]
	v_mul_f64 v[215:216], v[215:216], v[115:116]
	v_add_f64 v[1:2], v[1:2], -v[113:114]
	v_fma_f64 v[215:216], v[217:218], v[213:214], v[215:216]
	v_mov_b32_e32 v113, v213
	v_mov_b32_e32 v114, v214
	v_add_f64 v[3:4], v[3:4], -v[215:216]
.LBB113_262:
	s_or_b32 exec_lo, exec_lo, s1
	s_mov_b32 s2, exec_lo
	s_waitcnt_vscnt null, 0x0
	s_barrier
	buffer_gl0_inv
	v_cmpx_eq_u32_e32 29, v0
	s_cbranch_execz .LBB113_269
; %bb.263:
	ds_write2_b64 v255, v[109:110], v[111:112] offset1:1
	ds_write2_b64 v253, v[105:106], v[107:108] offset0:60 offset1:61
	ds_write2_b64 v253, v[101:102], v[103:104] offset0:62 offset1:63
	;; [unrolled: 1-line block ×27, first 2 shown]
	ds_read2_b64 v[213:216], v255 offset1:1
	s_waitcnt lgkmcnt(0)
	v_cmp_neq_f64_e32 vcc_lo, 0, v[213:214]
	v_cmp_neq_f64_e64 s1, 0, v[215:216]
	s_or_b32 s1, vcc_lo, s1
	s_and_b32 exec_lo, exec_lo, s1
	s_cbranch_execz .LBB113_269
; %bb.264:
	v_cmp_ngt_f64_e64 s1, |v[213:214]|, |v[215:216]|
                                        ; implicit-def: $vgpr217_vgpr218
	s_and_saveexec_b32 s3, s1
	s_xor_b32 s1, exec_lo, s3
                                        ; implicit-def: $vgpr219_vgpr220
	s_cbranch_execz .LBB113_266
; %bb.265:
	v_div_scale_f64 v[217:218], null, v[215:216], v[215:216], v[213:214]
	v_div_scale_f64 v[223:224], vcc_lo, v[213:214], v[215:216], v[213:214]
	v_rcp_f64_e32 v[219:220], v[217:218]
	v_fma_f64 v[221:222], -v[217:218], v[219:220], 1.0
	v_fma_f64 v[219:220], v[219:220], v[221:222], v[219:220]
	v_fma_f64 v[221:222], -v[217:218], v[219:220], 1.0
	v_fma_f64 v[219:220], v[219:220], v[221:222], v[219:220]
	v_mul_f64 v[221:222], v[223:224], v[219:220]
	v_fma_f64 v[217:218], -v[217:218], v[221:222], v[223:224]
	v_div_fmas_f64 v[217:218], v[217:218], v[219:220], v[221:222]
	v_div_fixup_f64 v[217:218], v[217:218], v[215:216], v[213:214]
	v_fma_f64 v[213:214], v[213:214], v[217:218], v[215:216]
	v_div_scale_f64 v[215:216], null, v[213:214], v[213:214], 1.0
	v_rcp_f64_e32 v[219:220], v[215:216]
	v_fma_f64 v[221:222], -v[215:216], v[219:220], 1.0
	v_fma_f64 v[219:220], v[219:220], v[221:222], v[219:220]
	v_fma_f64 v[221:222], -v[215:216], v[219:220], 1.0
	v_fma_f64 v[219:220], v[219:220], v[221:222], v[219:220]
	v_div_scale_f64 v[221:222], vcc_lo, 1.0, v[213:214], 1.0
	v_mul_f64 v[223:224], v[221:222], v[219:220]
	v_fma_f64 v[215:216], -v[215:216], v[223:224], v[221:222]
	v_div_fmas_f64 v[215:216], v[215:216], v[219:220], v[223:224]
	v_div_fixup_f64 v[219:220], v[215:216], v[213:214], 1.0
                                        ; implicit-def: $vgpr213_vgpr214
	v_mul_f64 v[217:218], v[217:218], v[219:220]
	v_xor_b32_e32 v220, 0x80000000, v220
.LBB113_266:
	s_andn2_saveexec_b32 s1, s1
	s_cbranch_execz .LBB113_268
; %bb.267:
	v_div_scale_f64 v[217:218], null, v[213:214], v[213:214], v[215:216]
	v_div_scale_f64 v[223:224], vcc_lo, v[215:216], v[213:214], v[215:216]
	v_rcp_f64_e32 v[219:220], v[217:218]
	v_fma_f64 v[221:222], -v[217:218], v[219:220], 1.0
	v_fma_f64 v[219:220], v[219:220], v[221:222], v[219:220]
	v_fma_f64 v[221:222], -v[217:218], v[219:220], 1.0
	v_fma_f64 v[219:220], v[219:220], v[221:222], v[219:220]
	v_mul_f64 v[221:222], v[223:224], v[219:220]
	v_fma_f64 v[217:218], -v[217:218], v[221:222], v[223:224]
	v_div_fmas_f64 v[217:218], v[217:218], v[219:220], v[221:222]
	v_div_fixup_f64 v[219:220], v[217:218], v[213:214], v[215:216]
	v_fma_f64 v[213:214], v[215:216], v[219:220], v[213:214]
	v_div_scale_f64 v[215:216], null, v[213:214], v[213:214], 1.0
	v_rcp_f64_e32 v[217:218], v[215:216]
	v_fma_f64 v[221:222], -v[215:216], v[217:218], 1.0
	v_fma_f64 v[217:218], v[217:218], v[221:222], v[217:218]
	v_fma_f64 v[221:222], -v[215:216], v[217:218], 1.0
	v_fma_f64 v[217:218], v[217:218], v[221:222], v[217:218]
	v_div_scale_f64 v[221:222], vcc_lo, 1.0, v[213:214], 1.0
	v_mul_f64 v[223:224], v[221:222], v[217:218]
	v_fma_f64 v[215:216], -v[215:216], v[223:224], v[221:222]
	v_div_fmas_f64 v[215:216], v[215:216], v[217:218], v[223:224]
	v_div_fixup_f64 v[217:218], v[215:216], v[213:214], 1.0
	v_mul_f64 v[219:220], v[219:220], -v[217:218]
.LBB113_268:
	s_or_b32 exec_lo, exec_lo, s1
	ds_write2_b64 v255, v[217:218], v[219:220] offset1:1
.LBB113_269:
	s_or_b32 exec_lo, exec_lo, s2
	s_waitcnt lgkmcnt(0)
	s_barrier
	buffer_gl0_inv
	ds_read2_b64 v[193:196], v255 offset1:1
	s_mov_b32 s1, exec_lo
	s_waitcnt lgkmcnt(0)
	buffer_store_dword v193, off, s[16:19], 0 offset:928 ; 4-byte Folded Spill
	buffer_store_dword v194, off, s[16:19], 0 offset:932 ; 4-byte Folded Spill
	buffer_store_dword v195, off, s[16:19], 0 offset:936 ; 4-byte Folded Spill
	buffer_store_dword v196, off, s[16:19], 0 offset:940 ; 4-byte Folded Spill
	v_cmpx_lt_u32_e32 29, v0
	s_cbranch_execz .LBB113_271
; %bb.270:
	s_clause 0x3
	buffer_load_dword v193, off, s[16:19], 0 offset:928
	buffer_load_dword v194, off, s[16:19], 0 offset:932
	;; [unrolled: 1-line block ×4, first 2 shown]
	ds_read2_b64 v[215:218], v253 offset0:60 offset1:61
	s_waitcnt vmcnt(0)
	v_mul_f64 v[213:214], v[195:196], v[111:112]
	v_mul_f64 v[111:112], v[193:194], v[111:112]
	v_fma_f64 v[213:214], v[193:194], v[109:110], -v[213:214]
	v_fma_f64 v[111:112], v[195:196], v[109:110], v[111:112]
	s_waitcnt lgkmcnt(0)
	v_mul_f64 v[109:110], v[217:218], v[111:112]
	v_fma_f64 v[109:110], v[215:216], v[213:214], -v[109:110]
	v_mul_f64 v[215:216], v[215:216], v[111:112]
	v_add_f64 v[105:106], v[105:106], -v[109:110]
	v_fma_f64 v[215:216], v[217:218], v[213:214], v[215:216]
	v_add_f64 v[107:108], v[107:108], -v[215:216]
	ds_read2_b64 v[215:218], v253 offset0:62 offset1:63
	s_waitcnt lgkmcnt(0)
	v_mul_f64 v[109:110], v[217:218], v[111:112]
	v_fma_f64 v[109:110], v[215:216], v[213:214], -v[109:110]
	v_mul_f64 v[215:216], v[215:216], v[111:112]
	v_add_f64 v[101:102], v[101:102], -v[109:110]
	v_fma_f64 v[215:216], v[217:218], v[213:214], v[215:216]
	v_add_f64 v[103:104], v[103:104], -v[215:216]
	ds_read2_b64 v[215:218], v253 offset0:64 offset1:65
	;; [unrolled: 8-line block ×26, first 2 shown]
	s_waitcnt lgkmcnt(0)
	v_mul_f64 v[109:110], v[217:218], v[111:112]
	v_fma_f64 v[109:110], v[215:216], v[213:214], -v[109:110]
	v_mul_f64 v[215:216], v[215:216], v[111:112]
	v_add_f64 v[1:2], v[1:2], -v[109:110]
	v_fma_f64 v[215:216], v[217:218], v[213:214], v[215:216]
	v_mov_b32_e32 v109, v213
	v_mov_b32_e32 v110, v214
	v_add_f64 v[3:4], v[3:4], -v[215:216]
.LBB113_271:
	s_or_b32 exec_lo, exec_lo, s1
	s_mov_b32 s2, exec_lo
	s_waitcnt_vscnt null, 0x0
	s_barrier
	buffer_gl0_inv
	v_cmpx_eq_u32_e32 30, v0
	s_cbranch_execz .LBB113_278
; %bb.272:
	ds_write2_b64 v255, v[105:106], v[107:108] offset1:1
	ds_write2_b64 v253, v[101:102], v[103:104] offset0:62 offset1:63
	ds_write2_b64 v253, v[97:98], v[99:100] offset0:64 offset1:65
	;; [unrolled: 1-line block ×26, first 2 shown]
	ds_read2_b64 v[213:216], v255 offset1:1
	s_waitcnt lgkmcnt(0)
	v_cmp_neq_f64_e32 vcc_lo, 0, v[213:214]
	v_cmp_neq_f64_e64 s1, 0, v[215:216]
	s_or_b32 s1, vcc_lo, s1
	s_and_b32 exec_lo, exec_lo, s1
	s_cbranch_execz .LBB113_278
; %bb.273:
	v_cmp_ngt_f64_e64 s1, |v[213:214]|, |v[215:216]|
                                        ; implicit-def: $vgpr217_vgpr218
	s_and_saveexec_b32 s3, s1
	s_xor_b32 s1, exec_lo, s3
                                        ; implicit-def: $vgpr219_vgpr220
	s_cbranch_execz .LBB113_275
; %bb.274:
	v_div_scale_f64 v[217:218], null, v[215:216], v[215:216], v[213:214]
	v_div_scale_f64 v[223:224], vcc_lo, v[213:214], v[215:216], v[213:214]
	v_rcp_f64_e32 v[219:220], v[217:218]
	v_fma_f64 v[221:222], -v[217:218], v[219:220], 1.0
	v_fma_f64 v[219:220], v[219:220], v[221:222], v[219:220]
	v_fma_f64 v[221:222], -v[217:218], v[219:220], 1.0
	v_fma_f64 v[219:220], v[219:220], v[221:222], v[219:220]
	v_mul_f64 v[221:222], v[223:224], v[219:220]
	v_fma_f64 v[217:218], -v[217:218], v[221:222], v[223:224]
	v_div_fmas_f64 v[217:218], v[217:218], v[219:220], v[221:222]
	v_div_fixup_f64 v[217:218], v[217:218], v[215:216], v[213:214]
	v_fma_f64 v[213:214], v[213:214], v[217:218], v[215:216]
	v_div_scale_f64 v[215:216], null, v[213:214], v[213:214], 1.0
	v_rcp_f64_e32 v[219:220], v[215:216]
	v_fma_f64 v[221:222], -v[215:216], v[219:220], 1.0
	v_fma_f64 v[219:220], v[219:220], v[221:222], v[219:220]
	v_fma_f64 v[221:222], -v[215:216], v[219:220], 1.0
	v_fma_f64 v[219:220], v[219:220], v[221:222], v[219:220]
	v_div_scale_f64 v[221:222], vcc_lo, 1.0, v[213:214], 1.0
	v_mul_f64 v[223:224], v[221:222], v[219:220]
	v_fma_f64 v[215:216], -v[215:216], v[223:224], v[221:222]
	v_div_fmas_f64 v[215:216], v[215:216], v[219:220], v[223:224]
	v_div_fixup_f64 v[219:220], v[215:216], v[213:214], 1.0
                                        ; implicit-def: $vgpr213_vgpr214
	v_mul_f64 v[217:218], v[217:218], v[219:220]
	v_xor_b32_e32 v220, 0x80000000, v220
.LBB113_275:
	s_andn2_saveexec_b32 s1, s1
	s_cbranch_execz .LBB113_277
; %bb.276:
	v_div_scale_f64 v[217:218], null, v[213:214], v[213:214], v[215:216]
	v_div_scale_f64 v[223:224], vcc_lo, v[215:216], v[213:214], v[215:216]
	v_rcp_f64_e32 v[219:220], v[217:218]
	v_fma_f64 v[221:222], -v[217:218], v[219:220], 1.0
	v_fma_f64 v[219:220], v[219:220], v[221:222], v[219:220]
	v_fma_f64 v[221:222], -v[217:218], v[219:220], 1.0
	v_fma_f64 v[219:220], v[219:220], v[221:222], v[219:220]
	v_mul_f64 v[221:222], v[223:224], v[219:220]
	v_fma_f64 v[217:218], -v[217:218], v[221:222], v[223:224]
	v_div_fmas_f64 v[217:218], v[217:218], v[219:220], v[221:222]
	v_div_fixup_f64 v[219:220], v[217:218], v[213:214], v[215:216]
	v_fma_f64 v[213:214], v[215:216], v[219:220], v[213:214]
	v_div_scale_f64 v[215:216], null, v[213:214], v[213:214], 1.0
	v_rcp_f64_e32 v[217:218], v[215:216]
	v_fma_f64 v[221:222], -v[215:216], v[217:218], 1.0
	v_fma_f64 v[217:218], v[217:218], v[221:222], v[217:218]
	v_fma_f64 v[221:222], -v[215:216], v[217:218], 1.0
	v_fma_f64 v[217:218], v[217:218], v[221:222], v[217:218]
	v_div_scale_f64 v[221:222], vcc_lo, 1.0, v[213:214], 1.0
	v_mul_f64 v[223:224], v[221:222], v[217:218]
	v_fma_f64 v[215:216], -v[215:216], v[223:224], v[221:222]
	v_div_fmas_f64 v[215:216], v[215:216], v[217:218], v[223:224]
	v_div_fixup_f64 v[217:218], v[215:216], v[213:214], 1.0
	v_mul_f64 v[219:220], v[219:220], -v[217:218]
.LBB113_277:
	s_or_b32 exec_lo, exec_lo, s1
	ds_write2_b64 v255, v[217:218], v[219:220] offset1:1
.LBB113_278:
	s_or_b32 exec_lo, exec_lo, s2
	s_waitcnt lgkmcnt(0)
	s_barrier
	buffer_gl0_inv
	ds_read2_b64 v[193:196], v255 offset1:1
	s_mov_b32 s1, exec_lo
	s_waitcnt lgkmcnt(0)
	buffer_store_dword v193, off, s[16:19], 0 offset:944 ; 4-byte Folded Spill
	buffer_store_dword v194, off, s[16:19], 0 offset:948 ; 4-byte Folded Spill
	;; [unrolled: 1-line block ×4, first 2 shown]
	v_cmpx_lt_u32_e32 30, v0
	s_cbranch_execz .LBB113_280
; %bb.279:
	s_clause 0x3
	buffer_load_dword v193, off, s[16:19], 0 offset:944
	buffer_load_dword v194, off, s[16:19], 0 offset:948
	;; [unrolled: 1-line block ×4, first 2 shown]
	ds_read2_b64 v[215:218], v253 offset0:62 offset1:63
	s_waitcnt vmcnt(0)
	v_mul_f64 v[213:214], v[195:196], v[107:108]
	v_mul_f64 v[107:108], v[193:194], v[107:108]
	v_fma_f64 v[213:214], v[193:194], v[105:106], -v[213:214]
	v_fma_f64 v[107:108], v[195:196], v[105:106], v[107:108]
	s_waitcnt lgkmcnt(0)
	v_mul_f64 v[105:106], v[217:218], v[107:108]
	v_fma_f64 v[105:106], v[215:216], v[213:214], -v[105:106]
	v_mul_f64 v[215:216], v[215:216], v[107:108]
	v_add_f64 v[101:102], v[101:102], -v[105:106]
	v_fma_f64 v[215:216], v[217:218], v[213:214], v[215:216]
	v_add_f64 v[103:104], v[103:104], -v[215:216]
	ds_read2_b64 v[215:218], v253 offset0:64 offset1:65
	s_waitcnt lgkmcnt(0)
	v_mul_f64 v[105:106], v[217:218], v[107:108]
	v_fma_f64 v[105:106], v[215:216], v[213:214], -v[105:106]
	v_mul_f64 v[215:216], v[215:216], v[107:108]
	v_add_f64 v[97:98], v[97:98], -v[105:106]
	v_fma_f64 v[215:216], v[217:218], v[213:214], v[215:216]
	v_add_f64 v[99:100], v[99:100], -v[215:216]
	ds_read2_b64 v[215:218], v253 offset0:66 offset1:67
	;; [unrolled: 8-line block ×25, first 2 shown]
	s_waitcnt lgkmcnt(0)
	v_mul_f64 v[105:106], v[217:218], v[107:108]
	v_fma_f64 v[105:106], v[215:216], v[213:214], -v[105:106]
	v_mul_f64 v[215:216], v[215:216], v[107:108]
	v_add_f64 v[1:2], v[1:2], -v[105:106]
	v_fma_f64 v[215:216], v[217:218], v[213:214], v[215:216]
	v_mov_b32_e32 v105, v213
	v_mov_b32_e32 v106, v214
	v_add_f64 v[3:4], v[3:4], -v[215:216]
.LBB113_280:
	s_or_b32 exec_lo, exec_lo, s1
	s_mov_b32 s2, exec_lo
	s_waitcnt_vscnt null, 0x0
	s_barrier
	buffer_gl0_inv
	v_cmpx_eq_u32_e32 31, v0
	s_cbranch_execz .LBB113_287
; %bb.281:
	ds_write2_b64 v255, v[101:102], v[103:104] offset1:1
	ds_write2_b64 v253, v[97:98], v[99:100] offset0:64 offset1:65
	ds_write2_b64 v253, v[93:94], v[95:96] offset0:66 offset1:67
	;; [unrolled: 1-line block ×25, first 2 shown]
	ds_read2_b64 v[213:216], v255 offset1:1
	s_waitcnt lgkmcnt(0)
	v_cmp_neq_f64_e32 vcc_lo, 0, v[213:214]
	v_cmp_neq_f64_e64 s1, 0, v[215:216]
	s_or_b32 s1, vcc_lo, s1
	s_and_b32 exec_lo, exec_lo, s1
	s_cbranch_execz .LBB113_287
; %bb.282:
	v_cmp_ngt_f64_e64 s1, |v[213:214]|, |v[215:216]|
                                        ; implicit-def: $vgpr217_vgpr218
	s_and_saveexec_b32 s3, s1
	s_xor_b32 s1, exec_lo, s3
                                        ; implicit-def: $vgpr219_vgpr220
	s_cbranch_execz .LBB113_284
; %bb.283:
	v_div_scale_f64 v[217:218], null, v[215:216], v[215:216], v[213:214]
	v_div_scale_f64 v[223:224], vcc_lo, v[213:214], v[215:216], v[213:214]
	v_rcp_f64_e32 v[219:220], v[217:218]
	v_fma_f64 v[221:222], -v[217:218], v[219:220], 1.0
	v_fma_f64 v[219:220], v[219:220], v[221:222], v[219:220]
	v_fma_f64 v[221:222], -v[217:218], v[219:220], 1.0
	v_fma_f64 v[219:220], v[219:220], v[221:222], v[219:220]
	v_mul_f64 v[221:222], v[223:224], v[219:220]
	v_fma_f64 v[217:218], -v[217:218], v[221:222], v[223:224]
	v_div_fmas_f64 v[217:218], v[217:218], v[219:220], v[221:222]
	v_div_fixup_f64 v[217:218], v[217:218], v[215:216], v[213:214]
	v_fma_f64 v[213:214], v[213:214], v[217:218], v[215:216]
	v_div_scale_f64 v[215:216], null, v[213:214], v[213:214], 1.0
	v_rcp_f64_e32 v[219:220], v[215:216]
	v_fma_f64 v[221:222], -v[215:216], v[219:220], 1.0
	v_fma_f64 v[219:220], v[219:220], v[221:222], v[219:220]
	v_fma_f64 v[221:222], -v[215:216], v[219:220], 1.0
	v_fma_f64 v[219:220], v[219:220], v[221:222], v[219:220]
	v_div_scale_f64 v[221:222], vcc_lo, 1.0, v[213:214], 1.0
	v_mul_f64 v[223:224], v[221:222], v[219:220]
	v_fma_f64 v[215:216], -v[215:216], v[223:224], v[221:222]
	v_div_fmas_f64 v[215:216], v[215:216], v[219:220], v[223:224]
	v_div_fixup_f64 v[219:220], v[215:216], v[213:214], 1.0
                                        ; implicit-def: $vgpr213_vgpr214
	v_mul_f64 v[217:218], v[217:218], v[219:220]
	v_xor_b32_e32 v220, 0x80000000, v220
.LBB113_284:
	s_andn2_saveexec_b32 s1, s1
	s_cbranch_execz .LBB113_286
; %bb.285:
	v_div_scale_f64 v[217:218], null, v[213:214], v[213:214], v[215:216]
	v_div_scale_f64 v[223:224], vcc_lo, v[215:216], v[213:214], v[215:216]
	v_rcp_f64_e32 v[219:220], v[217:218]
	v_fma_f64 v[221:222], -v[217:218], v[219:220], 1.0
	v_fma_f64 v[219:220], v[219:220], v[221:222], v[219:220]
	v_fma_f64 v[221:222], -v[217:218], v[219:220], 1.0
	v_fma_f64 v[219:220], v[219:220], v[221:222], v[219:220]
	v_mul_f64 v[221:222], v[223:224], v[219:220]
	v_fma_f64 v[217:218], -v[217:218], v[221:222], v[223:224]
	v_div_fmas_f64 v[217:218], v[217:218], v[219:220], v[221:222]
	v_div_fixup_f64 v[219:220], v[217:218], v[213:214], v[215:216]
	v_fma_f64 v[213:214], v[215:216], v[219:220], v[213:214]
	v_div_scale_f64 v[215:216], null, v[213:214], v[213:214], 1.0
	v_rcp_f64_e32 v[217:218], v[215:216]
	v_fma_f64 v[221:222], -v[215:216], v[217:218], 1.0
	v_fma_f64 v[217:218], v[217:218], v[221:222], v[217:218]
	v_fma_f64 v[221:222], -v[215:216], v[217:218], 1.0
	v_fma_f64 v[217:218], v[217:218], v[221:222], v[217:218]
	v_div_scale_f64 v[221:222], vcc_lo, 1.0, v[213:214], 1.0
	v_mul_f64 v[223:224], v[221:222], v[217:218]
	v_fma_f64 v[215:216], -v[215:216], v[223:224], v[221:222]
	v_div_fmas_f64 v[215:216], v[215:216], v[217:218], v[223:224]
	v_div_fixup_f64 v[217:218], v[215:216], v[213:214], 1.0
	v_mul_f64 v[219:220], v[219:220], -v[217:218]
.LBB113_286:
	s_or_b32 exec_lo, exec_lo, s1
	ds_write2_b64 v255, v[217:218], v[219:220] offset1:1
.LBB113_287:
	s_or_b32 exec_lo, exec_lo, s2
	s_waitcnt lgkmcnt(0)
	s_barrier
	buffer_gl0_inv
	ds_read2_b64 v[193:196], v255 offset1:1
	s_mov_b32 s1, exec_lo
	s_waitcnt lgkmcnt(0)
	buffer_store_dword v193, off, s[16:19], 0 offset:960 ; 4-byte Folded Spill
	buffer_store_dword v194, off, s[16:19], 0 offset:964 ; 4-byte Folded Spill
	;; [unrolled: 1-line block ×4, first 2 shown]
	v_cmpx_lt_u32_e32 31, v0
	s_cbranch_execz .LBB113_289
; %bb.288:
	s_clause 0x3
	buffer_load_dword v193, off, s[16:19], 0 offset:960
	buffer_load_dword v194, off, s[16:19], 0 offset:964
	;; [unrolled: 1-line block ×4, first 2 shown]
	ds_read2_b64 v[215:218], v253 offset0:64 offset1:65
	s_waitcnt vmcnt(0)
	v_mul_f64 v[213:214], v[195:196], v[103:104]
	v_mul_f64 v[103:104], v[193:194], v[103:104]
	v_fma_f64 v[213:214], v[193:194], v[101:102], -v[213:214]
	v_fma_f64 v[103:104], v[195:196], v[101:102], v[103:104]
	s_waitcnt lgkmcnt(0)
	v_mul_f64 v[101:102], v[217:218], v[103:104]
	v_fma_f64 v[101:102], v[215:216], v[213:214], -v[101:102]
	v_mul_f64 v[215:216], v[215:216], v[103:104]
	v_add_f64 v[97:98], v[97:98], -v[101:102]
	v_fma_f64 v[215:216], v[217:218], v[213:214], v[215:216]
	v_add_f64 v[99:100], v[99:100], -v[215:216]
	ds_read2_b64 v[215:218], v253 offset0:66 offset1:67
	s_waitcnt lgkmcnt(0)
	v_mul_f64 v[101:102], v[217:218], v[103:104]
	v_fma_f64 v[101:102], v[215:216], v[213:214], -v[101:102]
	v_mul_f64 v[215:216], v[215:216], v[103:104]
	v_add_f64 v[93:94], v[93:94], -v[101:102]
	v_fma_f64 v[215:216], v[217:218], v[213:214], v[215:216]
	v_add_f64 v[95:96], v[95:96], -v[215:216]
	ds_read2_b64 v[215:218], v253 offset0:68 offset1:69
	;; [unrolled: 8-line block ×24, first 2 shown]
	s_waitcnt lgkmcnt(0)
	v_mul_f64 v[101:102], v[217:218], v[103:104]
	v_fma_f64 v[101:102], v[215:216], v[213:214], -v[101:102]
	v_mul_f64 v[215:216], v[215:216], v[103:104]
	v_add_f64 v[1:2], v[1:2], -v[101:102]
	v_fma_f64 v[215:216], v[217:218], v[213:214], v[215:216]
	v_mov_b32_e32 v101, v213
	v_mov_b32_e32 v102, v214
	v_add_f64 v[3:4], v[3:4], -v[215:216]
.LBB113_289:
	s_or_b32 exec_lo, exec_lo, s1
	s_mov_b32 s2, exec_lo
	s_waitcnt_vscnt null, 0x0
	s_barrier
	buffer_gl0_inv
	v_cmpx_eq_u32_e32 32, v0
	s_cbranch_execz .LBB113_296
; %bb.290:
	ds_write2_b64 v255, v[97:98], v[99:100] offset1:1
	ds_write2_b64 v253, v[93:94], v[95:96] offset0:66 offset1:67
	ds_write2_b64 v253, v[89:90], v[91:92] offset0:68 offset1:69
	;; [unrolled: 1-line block ×24, first 2 shown]
	ds_read2_b64 v[213:216], v255 offset1:1
	s_waitcnt lgkmcnt(0)
	v_cmp_neq_f64_e32 vcc_lo, 0, v[213:214]
	v_cmp_neq_f64_e64 s1, 0, v[215:216]
	s_or_b32 s1, vcc_lo, s1
	s_and_b32 exec_lo, exec_lo, s1
	s_cbranch_execz .LBB113_296
; %bb.291:
	v_cmp_ngt_f64_e64 s1, |v[213:214]|, |v[215:216]|
                                        ; implicit-def: $vgpr217_vgpr218
	s_and_saveexec_b32 s3, s1
	s_xor_b32 s1, exec_lo, s3
                                        ; implicit-def: $vgpr219_vgpr220
	s_cbranch_execz .LBB113_293
; %bb.292:
	v_div_scale_f64 v[217:218], null, v[215:216], v[215:216], v[213:214]
	v_div_scale_f64 v[223:224], vcc_lo, v[213:214], v[215:216], v[213:214]
	v_rcp_f64_e32 v[219:220], v[217:218]
	v_fma_f64 v[221:222], -v[217:218], v[219:220], 1.0
	v_fma_f64 v[219:220], v[219:220], v[221:222], v[219:220]
	v_fma_f64 v[221:222], -v[217:218], v[219:220], 1.0
	v_fma_f64 v[219:220], v[219:220], v[221:222], v[219:220]
	v_mul_f64 v[221:222], v[223:224], v[219:220]
	v_fma_f64 v[217:218], -v[217:218], v[221:222], v[223:224]
	v_div_fmas_f64 v[217:218], v[217:218], v[219:220], v[221:222]
	v_div_fixup_f64 v[217:218], v[217:218], v[215:216], v[213:214]
	v_fma_f64 v[213:214], v[213:214], v[217:218], v[215:216]
	v_div_scale_f64 v[215:216], null, v[213:214], v[213:214], 1.0
	v_rcp_f64_e32 v[219:220], v[215:216]
	v_fma_f64 v[221:222], -v[215:216], v[219:220], 1.0
	v_fma_f64 v[219:220], v[219:220], v[221:222], v[219:220]
	v_fma_f64 v[221:222], -v[215:216], v[219:220], 1.0
	v_fma_f64 v[219:220], v[219:220], v[221:222], v[219:220]
	v_div_scale_f64 v[221:222], vcc_lo, 1.0, v[213:214], 1.0
	v_mul_f64 v[223:224], v[221:222], v[219:220]
	v_fma_f64 v[215:216], -v[215:216], v[223:224], v[221:222]
	v_div_fmas_f64 v[215:216], v[215:216], v[219:220], v[223:224]
	v_div_fixup_f64 v[219:220], v[215:216], v[213:214], 1.0
                                        ; implicit-def: $vgpr213_vgpr214
	v_mul_f64 v[217:218], v[217:218], v[219:220]
	v_xor_b32_e32 v220, 0x80000000, v220
.LBB113_293:
	s_andn2_saveexec_b32 s1, s1
	s_cbranch_execz .LBB113_295
; %bb.294:
	v_div_scale_f64 v[217:218], null, v[213:214], v[213:214], v[215:216]
	v_div_scale_f64 v[223:224], vcc_lo, v[215:216], v[213:214], v[215:216]
	v_rcp_f64_e32 v[219:220], v[217:218]
	v_fma_f64 v[221:222], -v[217:218], v[219:220], 1.0
	v_fma_f64 v[219:220], v[219:220], v[221:222], v[219:220]
	v_fma_f64 v[221:222], -v[217:218], v[219:220], 1.0
	v_fma_f64 v[219:220], v[219:220], v[221:222], v[219:220]
	v_mul_f64 v[221:222], v[223:224], v[219:220]
	v_fma_f64 v[217:218], -v[217:218], v[221:222], v[223:224]
	v_div_fmas_f64 v[217:218], v[217:218], v[219:220], v[221:222]
	v_div_fixup_f64 v[219:220], v[217:218], v[213:214], v[215:216]
	v_fma_f64 v[213:214], v[215:216], v[219:220], v[213:214]
	v_div_scale_f64 v[215:216], null, v[213:214], v[213:214], 1.0
	v_rcp_f64_e32 v[217:218], v[215:216]
	v_fma_f64 v[221:222], -v[215:216], v[217:218], 1.0
	v_fma_f64 v[217:218], v[217:218], v[221:222], v[217:218]
	v_fma_f64 v[221:222], -v[215:216], v[217:218], 1.0
	v_fma_f64 v[217:218], v[217:218], v[221:222], v[217:218]
	v_div_scale_f64 v[221:222], vcc_lo, 1.0, v[213:214], 1.0
	v_mul_f64 v[223:224], v[221:222], v[217:218]
	v_fma_f64 v[215:216], -v[215:216], v[223:224], v[221:222]
	v_div_fmas_f64 v[215:216], v[215:216], v[217:218], v[223:224]
	v_div_fixup_f64 v[217:218], v[215:216], v[213:214], 1.0
	v_mul_f64 v[219:220], v[219:220], -v[217:218]
.LBB113_295:
	s_or_b32 exec_lo, exec_lo, s1
	ds_write2_b64 v255, v[217:218], v[219:220] offset1:1
.LBB113_296:
	s_or_b32 exec_lo, exec_lo, s2
	s_waitcnt lgkmcnt(0)
	s_barrier
	buffer_gl0_inv
	ds_read2_b64 v[193:196], v255 offset1:1
	s_mov_b32 s1, exec_lo
	s_waitcnt lgkmcnt(0)
	buffer_store_dword v193, off, s[16:19], 0 offset:976 ; 4-byte Folded Spill
	buffer_store_dword v194, off, s[16:19], 0 offset:980 ; 4-byte Folded Spill
	;; [unrolled: 1-line block ×4, first 2 shown]
	v_cmpx_lt_u32_e32 32, v0
	s_cbranch_execz .LBB113_298
; %bb.297:
	s_clause 0x3
	buffer_load_dword v193, off, s[16:19], 0 offset:976
	buffer_load_dword v194, off, s[16:19], 0 offset:980
	;; [unrolled: 1-line block ×4, first 2 shown]
	ds_read2_b64 v[215:218], v253 offset0:66 offset1:67
	s_waitcnt vmcnt(0)
	v_mul_f64 v[213:214], v[195:196], v[99:100]
	v_mul_f64 v[99:100], v[193:194], v[99:100]
	v_fma_f64 v[213:214], v[193:194], v[97:98], -v[213:214]
	v_fma_f64 v[99:100], v[195:196], v[97:98], v[99:100]
	s_waitcnt lgkmcnt(0)
	v_mul_f64 v[97:98], v[217:218], v[99:100]
	v_fma_f64 v[97:98], v[215:216], v[213:214], -v[97:98]
	v_mul_f64 v[215:216], v[215:216], v[99:100]
	v_add_f64 v[93:94], v[93:94], -v[97:98]
	v_fma_f64 v[215:216], v[217:218], v[213:214], v[215:216]
	v_add_f64 v[95:96], v[95:96], -v[215:216]
	ds_read2_b64 v[215:218], v253 offset0:68 offset1:69
	s_waitcnt lgkmcnt(0)
	v_mul_f64 v[97:98], v[217:218], v[99:100]
	v_fma_f64 v[97:98], v[215:216], v[213:214], -v[97:98]
	v_mul_f64 v[215:216], v[215:216], v[99:100]
	v_add_f64 v[89:90], v[89:90], -v[97:98]
	v_fma_f64 v[215:216], v[217:218], v[213:214], v[215:216]
	v_add_f64 v[91:92], v[91:92], -v[215:216]
	ds_read2_b64 v[215:218], v253 offset0:70 offset1:71
	;; [unrolled: 8-line block ×23, first 2 shown]
	s_waitcnt lgkmcnt(0)
	v_mul_f64 v[97:98], v[217:218], v[99:100]
	v_fma_f64 v[97:98], v[215:216], v[213:214], -v[97:98]
	v_mul_f64 v[215:216], v[215:216], v[99:100]
	v_add_f64 v[1:2], v[1:2], -v[97:98]
	v_fma_f64 v[215:216], v[217:218], v[213:214], v[215:216]
	v_mov_b32_e32 v97, v213
	v_mov_b32_e32 v98, v214
	v_add_f64 v[3:4], v[3:4], -v[215:216]
.LBB113_298:
	s_or_b32 exec_lo, exec_lo, s1
	s_mov_b32 s2, exec_lo
	s_waitcnt_vscnt null, 0x0
	s_barrier
	buffer_gl0_inv
	v_cmpx_eq_u32_e32 33, v0
	s_cbranch_execz .LBB113_305
; %bb.299:
	ds_write2_b64 v255, v[93:94], v[95:96] offset1:1
	ds_write2_b64 v253, v[89:90], v[91:92] offset0:68 offset1:69
	ds_write2_b64 v253, v[85:86], v[87:88] offset0:70 offset1:71
	;; [unrolled: 1-line block ×23, first 2 shown]
	ds_read2_b64 v[213:216], v255 offset1:1
	s_waitcnt lgkmcnt(0)
	v_cmp_neq_f64_e32 vcc_lo, 0, v[213:214]
	v_cmp_neq_f64_e64 s1, 0, v[215:216]
	s_or_b32 s1, vcc_lo, s1
	s_and_b32 exec_lo, exec_lo, s1
	s_cbranch_execz .LBB113_305
; %bb.300:
	v_cmp_ngt_f64_e64 s1, |v[213:214]|, |v[215:216]|
                                        ; implicit-def: $vgpr217_vgpr218
	s_and_saveexec_b32 s3, s1
	s_xor_b32 s1, exec_lo, s3
                                        ; implicit-def: $vgpr219_vgpr220
	s_cbranch_execz .LBB113_302
; %bb.301:
	v_div_scale_f64 v[217:218], null, v[215:216], v[215:216], v[213:214]
	v_div_scale_f64 v[223:224], vcc_lo, v[213:214], v[215:216], v[213:214]
	v_rcp_f64_e32 v[219:220], v[217:218]
	v_fma_f64 v[221:222], -v[217:218], v[219:220], 1.0
	v_fma_f64 v[219:220], v[219:220], v[221:222], v[219:220]
	v_fma_f64 v[221:222], -v[217:218], v[219:220], 1.0
	v_fma_f64 v[219:220], v[219:220], v[221:222], v[219:220]
	v_mul_f64 v[221:222], v[223:224], v[219:220]
	v_fma_f64 v[217:218], -v[217:218], v[221:222], v[223:224]
	v_div_fmas_f64 v[217:218], v[217:218], v[219:220], v[221:222]
	v_div_fixup_f64 v[217:218], v[217:218], v[215:216], v[213:214]
	v_fma_f64 v[213:214], v[213:214], v[217:218], v[215:216]
	v_div_scale_f64 v[215:216], null, v[213:214], v[213:214], 1.0
	v_rcp_f64_e32 v[219:220], v[215:216]
	v_fma_f64 v[221:222], -v[215:216], v[219:220], 1.0
	v_fma_f64 v[219:220], v[219:220], v[221:222], v[219:220]
	v_fma_f64 v[221:222], -v[215:216], v[219:220], 1.0
	v_fma_f64 v[219:220], v[219:220], v[221:222], v[219:220]
	v_div_scale_f64 v[221:222], vcc_lo, 1.0, v[213:214], 1.0
	v_mul_f64 v[223:224], v[221:222], v[219:220]
	v_fma_f64 v[215:216], -v[215:216], v[223:224], v[221:222]
	v_div_fmas_f64 v[215:216], v[215:216], v[219:220], v[223:224]
	v_div_fixup_f64 v[219:220], v[215:216], v[213:214], 1.0
                                        ; implicit-def: $vgpr213_vgpr214
	v_mul_f64 v[217:218], v[217:218], v[219:220]
	v_xor_b32_e32 v220, 0x80000000, v220
.LBB113_302:
	s_andn2_saveexec_b32 s1, s1
	s_cbranch_execz .LBB113_304
; %bb.303:
	v_div_scale_f64 v[217:218], null, v[213:214], v[213:214], v[215:216]
	v_div_scale_f64 v[223:224], vcc_lo, v[215:216], v[213:214], v[215:216]
	v_rcp_f64_e32 v[219:220], v[217:218]
	v_fma_f64 v[221:222], -v[217:218], v[219:220], 1.0
	v_fma_f64 v[219:220], v[219:220], v[221:222], v[219:220]
	v_fma_f64 v[221:222], -v[217:218], v[219:220], 1.0
	v_fma_f64 v[219:220], v[219:220], v[221:222], v[219:220]
	v_mul_f64 v[221:222], v[223:224], v[219:220]
	v_fma_f64 v[217:218], -v[217:218], v[221:222], v[223:224]
	v_div_fmas_f64 v[217:218], v[217:218], v[219:220], v[221:222]
	v_div_fixup_f64 v[219:220], v[217:218], v[213:214], v[215:216]
	v_fma_f64 v[213:214], v[215:216], v[219:220], v[213:214]
	v_div_scale_f64 v[215:216], null, v[213:214], v[213:214], 1.0
	v_rcp_f64_e32 v[217:218], v[215:216]
	v_fma_f64 v[221:222], -v[215:216], v[217:218], 1.0
	v_fma_f64 v[217:218], v[217:218], v[221:222], v[217:218]
	v_fma_f64 v[221:222], -v[215:216], v[217:218], 1.0
	v_fma_f64 v[217:218], v[217:218], v[221:222], v[217:218]
	v_div_scale_f64 v[221:222], vcc_lo, 1.0, v[213:214], 1.0
	v_mul_f64 v[223:224], v[221:222], v[217:218]
	v_fma_f64 v[215:216], -v[215:216], v[223:224], v[221:222]
	v_div_fmas_f64 v[215:216], v[215:216], v[217:218], v[223:224]
	v_div_fixup_f64 v[217:218], v[215:216], v[213:214], 1.0
	v_mul_f64 v[219:220], v[219:220], -v[217:218]
.LBB113_304:
	s_or_b32 exec_lo, exec_lo, s1
	ds_write2_b64 v255, v[217:218], v[219:220] offset1:1
.LBB113_305:
	s_or_b32 exec_lo, exec_lo, s2
	s_waitcnt lgkmcnt(0)
	s_barrier
	buffer_gl0_inv
	ds_read2_b64 v[193:196], v255 offset1:1
	s_mov_b32 s1, exec_lo
	s_waitcnt lgkmcnt(0)
	buffer_store_dword v193, off, s[16:19], 0 offset:992 ; 4-byte Folded Spill
	buffer_store_dword v194, off, s[16:19], 0 offset:996 ; 4-byte Folded Spill
	;; [unrolled: 1-line block ×4, first 2 shown]
	v_cmpx_lt_u32_e32 33, v0
	s_cbranch_execz .LBB113_307
; %bb.306:
	s_clause 0x3
	buffer_load_dword v193, off, s[16:19], 0 offset:992
	buffer_load_dword v194, off, s[16:19], 0 offset:996
	;; [unrolled: 1-line block ×4, first 2 shown]
	ds_read2_b64 v[215:218], v253 offset0:68 offset1:69
	s_waitcnt vmcnt(0)
	v_mul_f64 v[213:214], v[195:196], v[95:96]
	v_mul_f64 v[95:96], v[193:194], v[95:96]
	v_fma_f64 v[213:214], v[193:194], v[93:94], -v[213:214]
	v_fma_f64 v[95:96], v[195:196], v[93:94], v[95:96]
	s_waitcnt lgkmcnt(0)
	v_mul_f64 v[93:94], v[217:218], v[95:96]
	v_fma_f64 v[93:94], v[215:216], v[213:214], -v[93:94]
	v_mul_f64 v[215:216], v[215:216], v[95:96]
	v_add_f64 v[89:90], v[89:90], -v[93:94]
	v_fma_f64 v[215:216], v[217:218], v[213:214], v[215:216]
	v_add_f64 v[91:92], v[91:92], -v[215:216]
	ds_read2_b64 v[215:218], v253 offset0:70 offset1:71
	s_waitcnt lgkmcnt(0)
	v_mul_f64 v[93:94], v[217:218], v[95:96]
	v_fma_f64 v[93:94], v[215:216], v[213:214], -v[93:94]
	v_mul_f64 v[215:216], v[215:216], v[95:96]
	v_add_f64 v[85:86], v[85:86], -v[93:94]
	v_fma_f64 v[215:216], v[217:218], v[213:214], v[215:216]
	v_add_f64 v[87:88], v[87:88], -v[215:216]
	ds_read2_b64 v[215:218], v253 offset0:72 offset1:73
	;; [unrolled: 8-line block ×22, first 2 shown]
	s_waitcnt lgkmcnt(0)
	v_mul_f64 v[93:94], v[217:218], v[95:96]
	v_fma_f64 v[93:94], v[215:216], v[213:214], -v[93:94]
	v_mul_f64 v[215:216], v[215:216], v[95:96]
	v_add_f64 v[1:2], v[1:2], -v[93:94]
	v_fma_f64 v[215:216], v[217:218], v[213:214], v[215:216]
	v_mov_b32_e32 v93, v213
	v_mov_b32_e32 v94, v214
	v_add_f64 v[3:4], v[3:4], -v[215:216]
.LBB113_307:
	s_or_b32 exec_lo, exec_lo, s1
	s_mov_b32 s2, exec_lo
	s_waitcnt_vscnt null, 0x0
	s_barrier
	buffer_gl0_inv
	v_cmpx_eq_u32_e32 34, v0
	s_cbranch_execz .LBB113_314
; %bb.308:
	ds_write2_b64 v255, v[89:90], v[91:92] offset1:1
	ds_write2_b64 v253, v[85:86], v[87:88] offset0:70 offset1:71
	ds_write2_b64 v253, v[81:82], v[83:84] offset0:72 offset1:73
	;; [unrolled: 1-line block ×22, first 2 shown]
	ds_read2_b64 v[213:216], v255 offset1:1
	s_waitcnt lgkmcnt(0)
	v_cmp_neq_f64_e32 vcc_lo, 0, v[213:214]
	v_cmp_neq_f64_e64 s1, 0, v[215:216]
	s_or_b32 s1, vcc_lo, s1
	s_and_b32 exec_lo, exec_lo, s1
	s_cbranch_execz .LBB113_314
; %bb.309:
	v_cmp_ngt_f64_e64 s1, |v[213:214]|, |v[215:216]|
                                        ; implicit-def: $vgpr217_vgpr218
	s_and_saveexec_b32 s3, s1
	s_xor_b32 s1, exec_lo, s3
                                        ; implicit-def: $vgpr219_vgpr220
	s_cbranch_execz .LBB113_311
; %bb.310:
	v_div_scale_f64 v[217:218], null, v[215:216], v[215:216], v[213:214]
	v_div_scale_f64 v[223:224], vcc_lo, v[213:214], v[215:216], v[213:214]
	v_rcp_f64_e32 v[219:220], v[217:218]
	v_fma_f64 v[221:222], -v[217:218], v[219:220], 1.0
	v_fma_f64 v[219:220], v[219:220], v[221:222], v[219:220]
	v_fma_f64 v[221:222], -v[217:218], v[219:220], 1.0
	v_fma_f64 v[219:220], v[219:220], v[221:222], v[219:220]
	v_mul_f64 v[221:222], v[223:224], v[219:220]
	v_fma_f64 v[217:218], -v[217:218], v[221:222], v[223:224]
	v_div_fmas_f64 v[217:218], v[217:218], v[219:220], v[221:222]
	v_div_fixup_f64 v[217:218], v[217:218], v[215:216], v[213:214]
	v_fma_f64 v[213:214], v[213:214], v[217:218], v[215:216]
	v_div_scale_f64 v[215:216], null, v[213:214], v[213:214], 1.0
	v_rcp_f64_e32 v[219:220], v[215:216]
	v_fma_f64 v[221:222], -v[215:216], v[219:220], 1.0
	v_fma_f64 v[219:220], v[219:220], v[221:222], v[219:220]
	v_fma_f64 v[221:222], -v[215:216], v[219:220], 1.0
	v_fma_f64 v[219:220], v[219:220], v[221:222], v[219:220]
	v_div_scale_f64 v[221:222], vcc_lo, 1.0, v[213:214], 1.0
	v_mul_f64 v[223:224], v[221:222], v[219:220]
	v_fma_f64 v[215:216], -v[215:216], v[223:224], v[221:222]
	v_div_fmas_f64 v[215:216], v[215:216], v[219:220], v[223:224]
	v_div_fixup_f64 v[219:220], v[215:216], v[213:214], 1.0
                                        ; implicit-def: $vgpr213_vgpr214
	v_mul_f64 v[217:218], v[217:218], v[219:220]
	v_xor_b32_e32 v220, 0x80000000, v220
.LBB113_311:
	s_andn2_saveexec_b32 s1, s1
	s_cbranch_execz .LBB113_313
; %bb.312:
	v_div_scale_f64 v[217:218], null, v[213:214], v[213:214], v[215:216]
	v_div_scale_f64 v[223:224], vcc_lo, v[215:216], v[213:214], v[215:216]
	v_rcp_f64_e32 v[219:220], v[217:218]
	v_fma_f64 v[221:222], -v[217:218], v[219:220], 1.0
	v_fma_f64 v[219:220], v[219:220], v[221:222], v[219:220]
	v_fma_f64 v[221:222], -v[217:218], v[219:220], 1.0
	v_fma_f64 v[219:220], v[219:220], v[221:222], v[219:220]
	v_mul_f64 v[221:222], v[223:224], v[219:220]
	v_fma_f64 v[217:218], -v[217:218], v[221:222], v[223:224]
	v_div_fmas_f64 v[217:218], v[217:218], v[219:220], v[221:222]
	v_div_fixup_f64 v[219:220], v[217:218], v[213:214], v[215:216]
	v_fma_f64 v[213:214], v[215:216], v[219:220], v[213:214]
	v_div_scale_f64 v[215:216], null, v[213:214], v[213:214], 1.0
	v_rcp_f64_e32 v[217:218], v[215:216]
	v_fma_f64 v[221:222], -v[215:216], v[217:218], 1.0
	v_fma_f64 v[217:218], v[217:218], v[221:222], v[217:218]
	v_fma_f64 v[221:222], -v[215:216], v[217:218], 1.0
	v_fma_f64 v[217:218], v[217:218], v[221:222], v[217:218]
	v_div_scale_f64 v[221:222], vcc_lo, 1.0, v[213:214], 1.0
	v_mul_f64 v[223:224], v[221:222], v[217:218]
	v_fma_f64 v[215:216], -v[215:216], v[223:224], v[221:222]
	v_div_fmas_f64 v[215:216], v[215:216], v[217:218], v[223:224]
	v_div_fixup_f64 v[217:218], v[215:216], v[213:214], 1.0
	v_mul_f64 v[219:220], v[219:220], -v[217:218]
.LBB113_313:
	s_or_b32 exec_lo, exec_lo, s1
	ds_write2_b64 v255, v[217:218], v[219:220] offset1:1
.LBB113_314:
	s_or_b32 exec_lo, exec_lo, s2
	s_waitcnt lgkmcnt(0)
	s_barrier
	buffer_gl0_inv
	ds_read2_b64 v[193:196], v255 offset1:1
	s_mov_b32 s1, exec_lo
	s_waitcnt lgkmcnt(0)
	buffer_store_dword v193, off, s[16:19], 0 offset:1008 ; 4-byte Folded Spill
	buffer_store_dword v194, off, s[16:19], 0 offset:1012 ; 4-byte Folded Spill
	;; [unrolled: 1-line block ×4, first 2 shown]
	v_cmpx_lt_u32_e32 34, v0
	s_cbranch_execz .LBB113_316
; %bb.315:
	s_clause 0x3
	buffer_load_dword v193, off, s[16:19], 0 offset:1008
	buffer_load_dword v194, off, s[16:19], 0 offset:1012
	;; [unrolled: 1-line block ×4, first 2 shown]
	ds_read2_b64 v[215:218], v253 offset0:70 offset1:71
	s_waitcnt vmcnt(0)
	v_mul_f64 v[213:214], v[195:196], v[91:92]
	v_mul_f64 v[91:92], v[193:194], v[91:92]
	v_fma_f64 v[213:214], v[193:194], v[89:90], -v[213:214]
	v_fma_f64 v[91:92], v[195:196], v[89:90], v[91:92]
	s_waitcnt lgkmcnt(0)
	v_mul_f64 v[89:90], v[217:218], v[91:92]
	v_fma_f64 v[89:90], v[215:216], v[213:214], -v[89:90]
	v_mul_f64 v[215:216], v[215:216], v[91:92]
	v_add_f64 v[85:86], v[85:86], -v[89:90]
	v_fma_f64 v[215:216], v[217:218], v[213:214], v[215:216]
	v_add_f64 v[87:88], v[87:88], -v[215:216]
	ds_read2_b64 v[215:218], v253 offset0:72 offset1:73
	s_waitcnt lgkmcnt(0)
	v_mul_f64 v[89:90], v[217:218], v[91:92]
	v_fma_f64 v[89:90], v[215:216], v[213:214], -v[89:90]
	v_mul_f64 v[215:216], v[215:216], v[91:92]
	v_add_f64 v[81:82], v[81:82], -v[89:90]
	v_fma_f64 v[215:216], v[217:218], v[213:214], v[215:216]
	v_add_f64 v[83:84], v[83:84], -v[215:216]
	ds_read2_b64 v[215:218], v253 offset0:74 offset1:75
	;; [unrolled: 8-line block ×21, first 2 shown]
	s_waitcnt lgkmcnt(0)
	v_mul_f64 v[89:90], v[217:218], v[91:92]
	v_fma_f64 v[89:90], v[215:216], v[213:214], -v[89:90]
	v_mul_f64 v[215:216], v[215:216], v[91:92]
	v_add_f64 v[1:2], v[1:2], -v[89:90]
	v_fma_f64 v[215:216], v[217:218], v[213:214], v[215:216]
	v_mov_b32_e32 v89, v213
	v_mov_b32_e32 v90, v214
	v_add_f64 v[3:4], v[3:4], -v[215:216]
.LBB113_316:
	s_or_b32 exec_lo, exec_lo, s1
	s_mov_b32 s2, exec_lo
	s_waitcnt_vscnt null, 0x0
	s_barrier
	buffer_gl0_inv
	v_cmpx_eq_u32_e32 35, v0
	s_cbranch_execz .LBB113_323
; %bb.317:
	ds_write2_b64 v255, v[85:86], v[87:88] offset1:1
	ds_write2_b64 v253, v[81:82], v[83:84] offset0:72 offset1:73
	ds_write2_b64 v253, v[77:78], v[79:80] offset0:74 offset1:75
	ds_write2_b64 v253, v[73:74], v[75:76] offset0:76 offset1:77
	ds_write2_b64 v253, v[69:70], v[71:72] offset0:78 offset1:79
	ds_write2_b64 v253, v[65:66], v[67:68] offset0:80 offset1:81
	ds_write2_b64 v253, v[61:62], v[63:64] offset0:82 offset1:83
	ds_write2_b64 v253, v[57:58], v[59:60] offset0:84 offset1:85
	ds_write2_b64 v253, v[53:54], v[55:56] offset0:86 offset1:87
	ds_write2_b64 v253, v[49:50], v[51:52] offset0:88 offset1:89
	ds_write2_b64 v253, v[45:46], v[47:48] offset0:90 offset1:91
	ds_write2_b64 v253, v[41:42], v[43:44] offset0:92 offset1:93
	ds_write2_b64 v253, v[37:38], v[39:40] offset0:94 offset1:95
	ds_write2_b64 v253, v[33:34], v[35:36] offset0:96 offset1:97
	ds_write2_b64 v253, v[29:30], v[31:32] offset0:98 offset1:99
	ds_write2_b64 v253, v[25:26], v[27:28] offset0:100 offset1:101
	ds_write2_b64 v253, v[21:22], v[23:24] offset0:102 offset1:103
	ds_write2_b64 v253, v[17:18], v[19:20] offset0:104 offset1:105
	ds_write2_b64 v253, v[13:14], v[15:16] offset0:106 offset1:107
	ds_write2_b64 v253, v[9:10], v[11:12] offset0:108 offset1:109
	ds_write2_b64 v253, v[5:6], v[7:8] offset0:110 offset1:111
	ds_write2_b64 v253, v[1:2], v[3:4] offset0:112 offset1:113
	ds_read2_b64 v[213:216], v255 offset1:1
	s_waitcnt lgkmcnt(0)
	v_cmp_neq_f64_e32 vcc_lo, 0, v[213:214]
	v_cmp_neq_f64_e64 s1, 0, v[215:216]
	s_or_b32 s1, vcc_lo, s1
	s_and_b32 exec_lo, exec_lo, s1
	s_cbranch_execz .LBB113_323
; %bb.318:
	v_cmp_ngt_f64_e64 s1, |v[213:214]|, |v[215:216]|
                                        ; implicit-def: $vgpr217_vgpr218
	s_and_saveexec_b32 s3, s1
	s_xor_b32 s1, exec_lo, s3
                                        ; implicit-def: $vgpr219_vgpr220
	s_cbranch_execz .LBB113_320
; %bb.319:
	v_div_scale_f64 v[217:218], null, v[215:216], v[215:216], v[213:214]
	v_div_scale_f64 v[223:224], vcc_lo, v[213:214], v[215:216], v[213:214]
	v_rcp_f64_e32 v[219:220], v[217:218]
	v_fma_f64 v[221:222], -v[217:218], v[219:220], 1.0
	v_fma_f64 v[219:220], v[219:220], v[221:222], v[219:220]
	v_fma_f64 v[221:222], -v[217:218], v[219:220], 1.0
	v_fma_f64 v[219:220], v[219:220], v[221:222], v[219:220]
	v_mul_f64 v[221:222], v[223:224], v[219:220]
	v_fma_f64 v[217:218], -v[217:218], v[221:222], v[223:224]
	v_div_fmas_f64 v[217:218], v[217:218], v[219:220], v[221:222]
	v_div_fixup_f64 v[217:218], v[217:218], v[215:216], v[213:214]
	v_fma_f64 v[213:214], v[213:214], v[217:218], v[215:216]
	v_div_scale_f64 v[215:216], null, v[213:214], v[213:214], 1.0
	v_rcp_f64_e32 v[219:220], v[215:216]
	v_fma_f64 v[221:222], -v[215:216], v[219:220], 1.0
	v_fma_f64 v[219:220], v[219:220], v[221:222], v[219:220]
	v_fma_f64 v[221:222], -v[215:216], v[219:220], 1.0
	v_fma_f64 v[219:220], v[219:220], v[221:222], v[219:220]
	v_div_scale_f64 v[221:222], vcc_lo, 1.0, v[213:214], 1.0
	v_mul_f64 v[223:224], v[221:222], v[219:220]
	v_fma_f64 v[215:216], -v[215:216], v[223:224], v[221:222]
	v_div_fmas_f64 v[215:216], v[215:216], v[219:220], v[223:224]
	v_div_fixup_f64 v[219:220], v[215:216], v[213:214], 1.0
                                        ; implicit-def: $vgpr213_vgpr214
	v_mul_f64 v[217:218], v[217:218], v[219:220]
	v_xor_b32_e32 v220, 0x80000000, v220
.LBB113_320:
	s_andn2_saveexec_b32 s1, s1
	s_cbranch_execz .LBB113_322
; %bb.321:
	v_div_scale_f64 v[217:218], null, v[213:214], v[213:214], v[215:216]
	v_div_scale_f64 v[223:224], vcc_lo, v[215:216], v[213:214], v[215:216]
	v_rcp_f64_e32 v[219:220], v[217:218]
	v_fma_f64 v[221:222], -v[217:218], v[219:220], 1.0
	v_fma_f64 v[219:220], v[219:220], v[221:222], v[219:220]
	v_fma_f64 v[221:222], -v[217:218], v[219:220], 1.0
	v_fma_f64 v[219:220], v[219:220], v[221:222], v[219:220]
	v_mul_f64 v[221:222], v[223:224], v[219:220]
	v_fma_f64 v[217:218], -v[217:218], v[221:222], v[223:224]
	v_div_fmas_f64 v[217:218], v[217:218], v[219:220], v[221:222]
	v_div_fixup_f64 v[219:220], v[217:218], v[213:214], v[215:216]
	v_fma_f64 v[213:214], v[215:216], v[219:220], v[213:214]
	v_div_scale_f64 v[215:216], null, v[213:214], v[213:214], 1.0
	v_rcp_f64_e32 v[217:218], v[215:216]
	v_fma_f64 v[221:222], -v[215:216], v[217:218], 1.0
	v_fma_f64 v[217:218], v[217:218], v[221:222], v[217:218]
	v_fma_f64 v[221:222], -v[215:216], v[217:218], 1.0
	v_fma_f64 v[217:218], v[217:218], v[221:222], v[217:218]
	v_div_scale_f64 v[221:222], vcc_lo, 1.0, v[213:214], 1.0
	v_mul_f64 v[223:224], v[221:222], v[217:218]
	v_fma_f64 v[215:216], -v[215:216], v[223:224], v[221:222]
	v_div_fmas_f64 v[215:216], v[215:216], v[217:218], v[223:224]
	v_div_fixup_f64 v[217:218], v[215:216], v[213:214], 1.0
	v_mul_f64 v[219:220], v[219:220], -v[217:218]
.LBB113_322:
	s_or_b32 exec_lo, exec_lo, s1
	ds_write2_b64 v255, v[217:218], v[219:220] offset1:1
.LBB113_323:
	s_or_b32 exec_lo, exec_lo, s2
	s_waitcnt lgkmcnt(0)
	s_barrier
	buffer_gl0_inv
	ds_read2_b64 v[193:196], v255 offset1:1
	s_mov_b32 s1, exec_lo
	s_waitcnt lgkmcnt(0)
	buffer_store_dword v193, off, s[16:19], 0 offset:1024 ; 4-byte Folded Spill
	buffer_store_dword v194, off, s[16:19], 0 offset:1028 ; 4-byte Folded Spill
	;; [unrolled: 1-line block ×4, first 2 shown]
	v_cmpx_lt_u32_e32 35, v0
	s_cbranch_execz .LBB113_325
; %bb.324:
	s_clause 0x3
	buffer_load_dword v193, off, s[16:19], 0 offset:1024
	buffer_load_dword v194, off, s[16:19], 0 offset:1028
	;; [unrolled: 1-line block ×4, first 2 shown]
	ds_read2_b64 v[215:218], v253 offset0:72 offset1:73
	s_waitcnt vmcnt(0)
	v_mul_f64 v[213:214], v[195:196], v[87:88]
	v_mul_f64 v[87:88], v[193:194], v[87:88]
	v_fma_f64 v[213:214], v[193:194], v[85:86], -v[213:214]
	v_fma_f64 v[87:88], v[195:196], v[85:86], v[87:88]
	s_waitcnt lgkmcnt(0)
	v_mul_f64 v[85:86], v[217:218], v[87:88]
	v_fma_f64 v[85:86], v[215:216], v[213:214], -v[85:86]
	v_mul_f64 v[215:216], v[215:216], v[87:88]
	v_add_f64 v[81:82], v[81:82], -v[85:86]
	v_fma_f64 v[215:216], v[217:218], v[213:214], v[215:216]
	v_add_f64 v[83:84], v[83:84], -v[215:216]
	ds_read2_b64 v[215:218], v253 offset0:74 offset1:75
	s_waitcnt lgkmcnt(0)
	v_mul_f64 v[85:86], v[217:218], v[87:88]
	v_fma_f64 v[85:86], v[215:216], v[213:214], -v[85:86]
	v_mul_f64 v[215:216], v[215:216], v[87:88]
	v_add_f64 v[77:78], v[77:78], -v[85:86]
	v_fma_f64 v[215:216], v[217:218], v[213:214], v[215:216]
	v_add_f64 v[79:80], v[79:80], -v[215:216]
	ds_read2_b64 v[215:218], v253 offset0:76 offset1:77
	;; [unrolled: 8-line block ×20, first 2 shown]
	s_waitcnt lgkmcnt(0)
	v_mul_f64 v[85:86], v[217:218], v[87:88]
	v_fma_f64 v[85:86], v[215:216], v[213:214], -v[85:86]
	v_mul_f64 v[215:216], v[215:216], v[87:88]
	v_add_f64 v[1:2], v[1:2], -v[85:86]
	v_fma_f64 v[215:216], v[217:218], v[213:214], v[215:216]
	v_mov_b32_e32 v85, v213
	v_mov_b32_e32 v86, v214
	v_add_f64 v[3:4], v[3:4], -v[215:216]
.LBB113_325:
	s_or_b32 exec_lo, exec_lo, s1
	s_mov_b32 s2, exec_lo
	s_waitcnt_vscnt null, 0x0
	s_barrier
	buffer_gl0_inv
	v_cmpx_eq_u32_e32 36, v0
	s_cbranch_execz .LBB113_332
; %bb.326:
	ds_write2_b64 v255, v[81:82], v[83:84] offset1:1
	ds_write2_b64 v253, v[77:78], v[79:80] offset0:74 offset1:75
	ds_write2_b64 v253, v[73:74], v[75:76] offset0:76 offset1:77
	;; [unrolled: 1-line block ×20, first 2 shown]
	ds_read2_b64 v[213:216], v255 offset1:1
	s_waitcnt lgkmcnt(0)
	v_cmp_neq_f64_e32 vcc_lo, 0, v[213:214]
	v_cmp_neq_f64_e64 s1, 0, v[215:216]
	s_or_b32 s1, vcc_lo, s1
	s_and_b32 exec_lo, exec_lo, s1
	s_cbranch_execz .LBB113_332
; %bb.327:
	v_cmp_ngt_f64_e64 s1, |v[213:214]|, |v[215:216]|
                                        ; implicit-def: $vgpr217_vgpr218
	s_and_saveexec_b32 s3, s1
	s_xor_b32 s1, exec_lo, s3
                                        ; implicit-def: $vgpr219_vgpr220
	s_cbranch_execz .LBB113_329
; %bb.328:
	v_div_scale_f64 v[217:218], null, v[215:216], v[215:216], v[213:214]
	v_div_scale_f64 v[223:224], vcc_lo, v[213:214], v[215:216], v[213:214]
	v_rcp_f64_e32 v[219:220], v[217:218]
	v_fma_f64 v[221:222], -v[217:218], v[219:220], 1.0
	v_fma_f64 v[219:220], v[219:220], v[221:222], v[219:220]
	v_fma_f64 v[221:222], -v[217:218], v[219:220], 1.0
	v_fma_f64 v[219:220], v[219:220], v[221:222], v[219:220]
	v_mul_f64 v[221:222], v[223:224], v[219:220]
	v_fma_f64 v[217:218], -v[217:218], v[221:222], v[223:224]
	v_div_fmas_f64 v[217:218], v[217:218], v[219:220], v[221:222]
	v_div_fixup_f64 v[217:218], v[217:218], v[215:216], v[213:214]
	v_fma_f64 v[213:214], v[213:214], v[217:218], v[215:216]
	v_div_scale_f64 v[215:216], null, v[213:214], v[213:214], 1.0
	v_rcp_f64_e32 v[219:220], v[215:216]
	v_fma_f64 v[221:222], -v[215:216], v[219:220], 1.0
	v_fma_f64 v[219:220], v[219:220], v[221:222], v[219:220]
	v_fma_f64 v[221:222], -v[215:216], v[219:220], 1.0
	v_fma_f64 v[219:220], v[219:220], v[221:222], v[219:220]
	v_div_scale_f64 v[221:222], vcc_lo, 1.0, v[213:214], 1.0
	v_mul_f64 v[223:224], v[221:222], v[219:220]
	v_fma_f64 v[215:216], -v[215:216], v[223:224], v[221:222]
	v_div_fmas_f64 v[215:216], v[215:216], v[219:220], v[223:224]
	v_div_fixup_f64 v[219:220], v[215:216], v[213:214], 1.0
                                        ; implicit-def: $vgpr213_vgpr214
	v_mul_f64 v[217:218], v[217:218], v[219:220]
	v_xor_b32_e32 v220, 0x80000000, v220
.LBB113_329:
	s_andn2_saveexec_b32 s1, s1
	s_cbranch_execz .LBB113_331
; %bb.330:
	v_div_scale_f64 v[217:218], null, v[213:214], v[213:214], v[215:216]
	v_div_scale_f64 v[223:224], vcc_lo, v[215:216], v[213:214], v[215:216]
	v_rcp_f64_e32 v[219:220], v[217:218]
	v_fma_f64 v[221:222], -v[217:218], v[219:220], 1.0
	v_fma_f64 v[219:220], v[219:220], v[221:222], v[219:220]
	v_fma_f64 v[221:222], -v[217:218], v[219:220], 1.0
	v_fma_f64 v[219:220], v[219:220], v[221:222], v[219:220]
	v_mul_f64 v[221:222], v[223:224], v[219:220]
	v_fma_f64 v[217:218], -v[217:218], v[221:222], v[223:224]
	v_div_fmas_f64 v[217:218], v[217:218], v[219:220], v[221:222]
	v_div_fixup_f64 v[219:220], v[217:218], v[213:214], v[215:216]
	v_fma_f64 v[213:214], v[215:216], v[219:220], v[213:214]
	v_div_scale_f64 v[215:216], null, v[213:214], v[213:214], 1.0
	v_rcp_f64_e32 v[217:218], v[215:216]
	v_fma_f64 v[221:222], -v[215:216], v[217:218], 1.0
	v_fma_f64 v[217:218], v[217:218], v[221:222], v[217:218]
	v_fma_f64 v[221:222], -v[215:216], v[217:218], 1.0
	v_fma_f64 v[217:218], v[217:218], v[221:222], v[217:218]
	v_div_scale_f64 v[221:222], vcc_lo, 1.0, v[213:214], 1.0
	v_mul_f64 v[223:224], v[221:222], v[217:218]
	v_fma_f64 v[215:216], -v[215:216], v[223:224], v[221:222]
	v_div_fmas_f64 v[215:216], v[215:216], v[217:218], v[223:224]
	v_div_fixup_f64 v[217:218], v[215:216], v[213:214], 1.0
	v_mul_f64 v[219:220], v[219:220], -v[217:218]
.LBB113_331:
	s_or_b32 exec_lo, exec_lo, s1
	ds_write2_b64 v255, v[217:218], v[219:220] offset1:1
.LBB113_332:
	s_or_b32 exec_lo, exec_lo, s2
	s_waitcnt lgkmcnt(0)
	s_barrier
	buffer_gl0_inv
	ds_read2_b64 v[193:196], v255 offset1:1
	s_mov_b32 s1, exec_lo
	s_waitcnt lgkmcnt(0)
	buffer_store_dword v193, off, s[16:19], 0 offset:1040 ; 4-byte Folded Spill
	buffer_store_dword v194, off, s[16:19], 0 offset:1044 ; 4-byte Folded Spill
	;; [unrolled: 1-line block ×4, first 2 shown]
	v_cmpx_lt_u32_e32 36, v0
	s_cbranch_execz .LBB113_334
; %bb.333:
	s_clause 0x3
	buffer_load_dword v193, off, s[16:19], 0 offset:1040
	buffer_load_dword v194, off, s[16:19], 0 offset:1044
	buffer_load_dword v195, off, s[16:19], 0 offset:1048
	buffer_load_dword v196, off, s[16:19], 0 offset:1052
	ds_read2_b64 v[215:218], v253 offset0:74 offset1:75
	s_waitcnt vmcnt(0)
	v_mul_f64 v[213:214], v[195:196], v[83:84]
	v_mul_f64 v[83:84], v[193:194], v[83:84]
	v_fma_f64 v[213:214], v[193:194], v[81:82], -v[213:214]
	v_fma_f64 v[83:84], v[195:196], v[81:82], v[83:84]
	s_waitcnt lgkmcnt(0)
	v_mul_f64 v[81:82], v[217:218], v[83:84]
	v_fma_f64 v[81:82], v[215:216], v[213:214], -v[81:82]
	v_mul_f64 v[215:216], v[215:216], v[83:84]
	v_add_f64 v[77:78], v[77:78], -v[81:82]
	v_fma_f64 v[215:216], v[217:218], v[213:214], v[215:216]
	v_add_f64 v[79:80], v[79:80], -v[215:216]
	ds_read2_b64 v[215:218], v253 offset0:76 offset1:77
	s_waitcnt lgkmcnt(0)
	v_mul_f64 v[81:82], v[217:218], v[83:84]
	v_fma_f64 v[81:82], v[215:216], v[213:214], -v[81:82]
	v_mul_f64 v[215:216], v[215:216], v[83:84]
	v_add_f64 v[73:74], v[73:74], -v[81:82]
	v_fma_f64 v[215:216], v[217:218], v[213:214], v[215:216]
	v_add_f64 v[75:76], v[75:76], -v[215:216]
	ds_read2_b64 v[215:218], v253 offset0:78 offset1:79
	;; [unrolled: 8-line block ×19, first 2 shown]
	s_waitcnt lgkmcnt(0)
	v_mul_f64 v[81:82], v[217:218], v[83:84]
	v_fma_f64 v[81:82], v[215:216], v[213:214], -v[81:82]
	v_mul_f64 v[215:216], v[215:216], v[83:84]
	v_add_f64 v[1:2], v[1:2], -v[81:82]
	v_fma_f64 v[215:216], v[217:218], v[213:214], v[215:216]
	v_mov_b32_e32 v81, v213
	v_mov_b32_e32 v82, v214
	v_add_f64 v[3:4], v[3:4], -v[215:216]
.LBB113_334:
	s_or_b32 exec_lo, exec_lo, s1
	s_mov_b32 s2, exec_lo
	s_waitcnt_vscnt null, 0x0
	s_barrier
	buffer_gl0_inv
	v_cmpx_eq_u32_e32 37, v0
	s_cbranch_execz .LBB113_341
; %bb.335:
	ds_write2_b64 v255, v[77:78], v[79:80] offset1:1
	ds_write2_b64 v253, v[73:74], v[75:76] offset0:76 offset1:77
	ds_write2_b64 v253, v[69:70], v[71:72] offset0:78 offset1:79
	;; [unrolled: 1-line block ×19, first 2 shown]
	ds_read2_b64 v[213:216], v255 offset1:1
	s_waitcnt lgkmcnt(0)
	v_cmp_neq_f64_e32 vcc_lo, 0, v[213:214]
	v_cmp_neq_f64_e64 s1, 0, v[215:216]
	s_or_b32 s1, vcc_lo, s1
	s_and_b32 exec_lo, exec_lo, s1
	s_cbranch_execz .LBB113_341
; %bb.336:
	v_cmp_ngt_f64_e64 s1, |v[213:214]|, |v[215:216]|
                                        ; implicit-def: $vgpr217_vgpr218
	s_and_saveexec_b32 s3, s1
	s_xor_b32 s1, exec_lo, s3
                                        ; implicit-def: $vgpr219_vgpr220
	s_cbranch_execz .LBB113_338
; %bb.337:
	v_div_scale_f64 v[217:218], null, v[215:216], v[215:216], v[213:214]
	v_div_scale_f64 v[223:224], vcc_lo, v[213:214], v[215:216], v[213:214]
	v_rcp_f64_e32 v[219:220], v[217:218]
	v_fma_f64 v[221:222], -v[217:218], v[219:220], 1.0
	v_fma_f64 v[219:220], v[219:220], v[221:222], v[219:220]
	v_fma_f64 v[221:222], -v[217:218], v[219:220], 1.0
	v_fma_f64 v[219:220], v[219:220], v[221:222], v[219:220]
	v_mul_f64 v[221:222], v[223:224], v[219:220]
	v_fma_f64 v[217:218], -v[217:218], v[221:222], v[223:224]
	v_div_fmas_f64 v[217:218], v[217:218], v[219:220], v[221:222]
	v_div_fixup_f64 v[217:218], v[217:218], v[215:216], v[213:214]
	v_fma_f64 v[213:214], v[213:214], v[217:218], v[215:216]
	v_div_scale_f64 v[215:216], null, v[213:214], v[213:214], 1.0
	v_rcp_f64_e32 v[219:220], v[215:216]
	v_fma_f64 v[221:222], -v[215:216], v[219:220], 1.0
	v_fma_f64 v[219:220], v[219:220], v[221:222], v[219:220]
	v_fma_f64 v[221:222], -v[215:216], v[219:220], 1.0
	v_fma_f64 v[219:220], v[219:220], v[221:222], v[219:220]
	v_div_scale_f64 v[221:222], vcc_lo, 1.0, v[213:214], 1.0
	v_mul_f64 v[223:224], v[221:222], v[219:220]
	v_fma_f64 v[215:216], -v[215:216], v[223:224], v[221:222]
	v_div_fmas_f64 v[215:216], v[215:216], v[219:220], v[223:224]
	v_div_fixup_f64 v[219:220], v[215:216], v[213:214], 1.0
                                        ; implicit-def: $vgpr213_vgpr214
	v_mul_f64 v[217:218], v[217:218], v[219:220]
	v_xor_b32_e32 v220, 0x80000000, v220
.LBB113_338:
	s_andn2_saveexec_b32 s1, s1
	s_cbranch_execz .LBB113_340
; %bb.339:
	v_div_scale_f64 v[217:218], null, v[213:214], v[213:214], v[215:216]
	v_div_scale_f64 v[223:224], vcc_lo, v[215:216], v[213:214], v[215:216]
	v_rcp_f64_e32 v[219:220], v[217:218]
	v_fma_f64 v[221:222], -v[217:218], v[219:220], 1.0
	v_fma_f64 v[219:220], v[219:220], v[221:222], v[219:220]
	v_fma_f64 v[221:222], -v[217:218], v[219:220], 1.0
	v_fma_f64 v[219:220], v[219:220], v[221:222], v[219:220]
	v_mul_f64 v[221:222], v[223:224], v[219:220]
	v_fma_f64 v[217:218], -v[217:218], v[221:222], v[223:224]
	v_div_fmas_f64 v[217:218], v[217:218], v[219:220], v[221:222]
	v_div_fixup_f64 v[219:220], v[217:218], v[213:214], v[215:216]
	v_fma_f64 v[213:214], v[215:216], v[219:220], v[213:214]
	v_div_scale_f64 v[215:216], null, v[213:214], v[213:214], 1.0
	v_rcp_f64_e32 v[217:218], v[215:216]
	v_fma_f64 v[221:222], -v[215:216], v[217:218], 1.0
	v_fma_f64 v[217:218], v[217:218], v[221:222], v[217:218]
	v_fma_f64 v[221:222], -v[215:216], v[217:218], 1.0
	v_fma_f64 v[217:218], v[217:218], v[221:222], v[217:218]
	v_div_scale_f64 v[221:222], vcc_lo, 1.0, v[213:214], 1.0
	v_mul_f64 v[223:224], v[221:222], v[217:218]
	v_fma_f64 v[215:216], -v[215:216], v[223:224], v[221:222]
	v_div_fmas_f64 v[215:216], v[215:216], v[217:218], v[223:224]
	v_div_fixup_f64 v[217:218], v[215:216], v[213:214], 1.0
	v_mul_f64 v[219:220], v[219:220], -v[217:218]
.LBB113_340:
	s_or_b32 exec_lo, exec_lo, s1
	ds_write2_b64 v255, v[217:218], v[219:220] offset1:1
.LBB113_341:
	s_or_b32 exec_lo, exec_lo, s2
	s_waitcnt lgkmcnt(0)
	s_barrier
	buffer_gl0_inv
	ds_read2_b64 v[193:196], v255 offset1:1
	s_mov_b32 s1, exec_lo
	s_waitcnt lgkmcnt(0)
	buffer_store_dword v193, off, s[16:19], 0 offset:1056 ; 4-byte Folded Spill
	buffer_store_dword v194, off, s[16:19], 0 offset:1060 ; 4-byte Folded Spill
	;; [unrolled: 1-line block ×4, first 2 shown]
	v_cmpx_lt_u32_e32 37, v0
	s_cbranch_execz .LBB113_343
; %bb.342:
	s_clause 0x3
	buffer_load_dword v193, off, s[16:19], 0 offset:1056
	buffer_load_dword v194, off, s[16:19], 0 offset:1060
	;; [unrolled: 1-line block ×4, first 2 shown]
	ds_read2_b64 v[215:218], v253 offset0:76 offset1:77
	s_waitcnt vmcnt(0)
	v_mul_f64 v[213:214], v[195:196], v[79:80]
	v_mul_f64 v[79:80], v[193:194], v[79:80]
	v_fma_f64 v[213:214], v[193:194], v[77:78], -v[213:214]
	v_fma_f64 v[79:80], v[195:196], v[77:78], v[79:80]
	s_waitcnt lgkmcnt(0)
	v_mul_f64 v[77:78], v[217:218], v[79:80]
	v_fma_f64 v[77:78], v[215:216], v[213:214], -v[77:78]
	v_mul_f64 v[215:216], v[215:216], v[79:80]
	v_add_f64 v[73:74], v[73:74], -v[77:78]
	v_fma_f64 v[215:216], v[217:218], v[213:214], v[215:216]
	v_add_f64 v[75:76], v[75:76], -v[215:216]
	ds_read2_b64 v[215:218], v253 offset0:78 offset1:79
	s_waitcnt lgkmcnt(0)
	v_mul_f64 v[77:78], v[217:218], v[79:80]
	v_fma_f64 v[77:78], v[215:216], v[213:214], -v[77:78]
	v_mul_f64 v[215:216], v[215:216], v[79:80]
	v_add_f64 v[69:70], v[69:70], -v[77:78]
	v_fma_f64 v[215:216], v[217:218], v[213:214], v[215:216]
	v_add_f64 v[71:72], v[71:72], -v[215:216]
	ds_read2_b64 v[215:218], v253 offset0:80 offset1:81
	;; [unrolled: 8-line block ×18, first 2 shown]
	s_waitcnt lgkmcnt(0)
	v_mul_f64 v[77:78], v[217:218], v[79:80]
	v_fma_f64 v[77:78], v[215:216], v[213:214], -v[77:78]
	v_mul_f64 v[215:216], v[215:216], v[79:80]
	v_add_f64 v[1:2], v[1:2], -v[77:78]
	v_fma_f64 v[215:216], v[217:218], v[213:214], v[215:216]
	v_mov_b32_e32 v77, v213
	v_mov_b32_e32 v78, v214
	v_add_f64 v[3:4], v[3:4], -v[215:216]
.LBB113_343:
	s_or_b32 exec_lo, exec_lo, s1
	s_mov_b32 s2, exec_lo
	s_waitcnt_vscnt null, 0x0
	s_barrier
	buffer_gl0_inv
	v_cmpx_eq_u32_e32 38, v0
	s_cbranch_execz .LBB113_350
; %bb.344:
	ds_write2_b64 v255, v[73:74], v[75:76] offset1:1
	ds_write2_b64 v253, v[69:70], v[71:72] offset0:78 offset1:79
	ds_write2_b64 v253, v[65:66], v[67:68] offset0:80 offset1:81
	ds_write2_b64 v253, v[61:62], v[63:64] offset0:82 offset1:83
	ds_write2_b64 v253, v[57:58], v[59:60] offset0:84 offset1:85
	ds_write2_b64 v253, v[53:54], v[55:56] offset0:86 offset1:87
	ds_write2_b64 v253, v[49:50], v[51:52] offset0:88 offset1:89
	ds_write2_b64 v253, v[45:46], v[47:48] offset0:90 offset1:91
	ds_write2_b64 v253, v[41:42], v[43:44] offset0:92 offset1:93
	ds_write2_b64 v253, v[37:38], v[39:40] offset0:94 offset1:95
	ds_write2_b64 v253, v[33:34], v[35:36] offset0:96 offset1:97
	ds_write2_b64 v253, v[29:30], v[31:32] offset0:98 offset1:99
	ds_write2_b64 v253, v[25:26], v[27:28] offset0:100 offset1:101
	ds_write2_b64 v253, v[21:22], v[23:24] offset0:102 offset1:103
	ds_write2_b64 v253, v[17:18], v[19:20] offset0:104 offset1:105
	ds_write2_b64 v253, v[13:14], v[15:16] offset0:106 offset1:107
	ds_write2_b64 v253, v[9:10], v[11:12] offset0:108 offset1:109
	ds_write2_b64 v253, v[5:6], v[7:8] offset0:110 offset1:111
	ds_write2_b64 v253, v[1:2], v[3:4] offset0:112 offset1:113
	ds_read2_b64 v[213:216], v255 offset1:1
	s_waitcnt lgkmcnt(0)
	v_cmp_neq_f64_e32 vcc_lo, 0, v[213:214]
	v_cmp_neq_f64_e64 s1, 0, v[215:216]
	s_or_b32 s1, vcc_lo, s1
	s_and_b32 exec_lo, exec_lo, s1
	s_cbranch_execz .LBB113_350
; %bb.345:
	v_cmp_ngt_f64_e64 s1, |v[213:214]|, |v[215:216]|
                                        ; implicit-def: $vgpr217_vgpr218
	s_and_saveexec_b32 s3, s1
	s_xor_b32 s1, exec_lo, s3
                                        ; implicit-def: $vgpr219_vgpr220
	s_cbranch_execz .LBB113_347
; %bb.346:
	v_div_scale_f64 v[217:218], null, v[215:216], v[215:216], v[213:214]
	v_div_scale_f64 v[223:224], vcc_lo, v[213:214], v[215:216], v[213:214]
	v_rcp_f64_e32 v[219:220], v[217:218]
	v_fma_f64 v[221:222], -v[217:218], v[219:220], 1.0
	v_fma_f64 v[219:220], v[219:220], v[221:222], v[219:220]
	v_fma_f64 v[221:222], -v[217:218], v[219:220], 1.0
	v_fma_f64 v[219:220], v[219:220], v[221:222], v[219:220]
	v_mul_f64 v[221:222], v[223:224], v[219:220]
	v_fma_f64 v[217:218], -v[217:218], v[221:222], v[223:224]
	v_div_fmas_f64 v[217:218], v[217:218], v[219:220], v[221:222]
	v_div_fixup_f64 v[217:218], v[217:218], v[215:216], v[213:214]
	v_fma_f64 v[213:214], v[213:214], v[217:218], v[215:216]
	v_div_scale_f64 v[215:216], null, v[213:214], v[213:214], 1.0
	v_rcp_f64_e32 v[219:220], v[215:216]
	v_fma_f64 v[221:222], -v[215:216], v[219:220], 1.0
	v_fma_f64 v[219:220], v[219:220], v[221:222], v[219:220]
	v_fma_f64 v[221:222], -v[215:216], v[219:220], 1.0
	v_fma_f64 v[219:220], v[219:220], v[221:222], v[219:220]
	v_div_scale_f64 v[221:222], vcc_lo, 1.0, v[213:214], 1.0
	v_mul_f64 v[223:224], v[221:222], v[219:220]
	v_fma_f64 v[215:216], -v[215:216], v[223:224], v[221:222]
	v_div_fmas_f64 v[215:216], v[215:216], v[219:220], v[223:224]
	v_div_fixup_f64 v[219:220], v[215:216], v[213:214], 1.0
                                        ; implicit-def: $vgpr213_vgpr214
	v_mul_f64 v[217:218], v[217:218], v[219:220]
	v_xor_b32_e32 v220, 0x80000000, v220
.LBB113_347:
	s_andn2_saveexec_b32 s1, s1
	s_cbranch_execz .LBB113_349
; %bb.348:
	v_div_scale_f64 v[217:218], null, v[213:214], v[213:214], v[215:216]
	v_div_scale_f64 v[223:224], vcc_lo, v[215:216], v[213:214], v[215:216]
	v_rcp_f64_e32 v[219:220], v[217:218]
	v_fma_f64 v[221:222], -v[217:218], v[219:220], 1.0
	v_fma_f64 v[219:220], v[219:220], v[221:222], v[219:220]
	v_fma_f64 v[221:222], -v[217:218], v[219:220], 1.0
	v_fma_f64 v[219:220], v[219:220], v[221:222], v[219:220]
	v_mul_f64 v[221:222], v[223:224], v[219:220]
	v_fma_f64 v[217:218], -v[217:218], v[221:222], v[223:224]
	v_div_fmas_f64 v[217:218], v[217:218], v[219:220], v[221:222]
	v_div_fixup_f64 v[219:220], v[217:218], v[213:214], v[215:216]
	v_fma_f64 v[213:214], v[215:216], v[219:220], v[213:214]
	v_div_scale_f64 v[215:216], null, v[213:214], v[213:214], 1.0
	v_rcp_f64_e32 v[217:218], v[215:216]
	v_fma_f64 v[221:222], -v[215:216], v[217:218], 1.0
	v_fma_f64 v[217:218], v[217:218], v[221:222], v[217:218]
	v_fma_f64 v[221:222], -v[215:216], v[217:218], 1.0
	v_fma_f64 v[217:218], v[217:218], v[221:222], v[217:218]
	v_div_scale_f64 v[221:222], vcc_lo, 1.0, v[213:214], 1.0
	v_mul_f64 v[223:224], v[221:222], v[217:218]
	v_fma_f64 v[215:216], -v[215:216], v[223:224], v[221:222]
	v_div_fmas_f64 v[215:216], v[215:216], v[217:218], v[223:224]
	v_div_fixup_f64 v[217:218], v[215:216], v[213:214], 1.0
	v_mul_f64 v[219:220], v[219:220], -v[217:218]
.LBB113_349:
	s_or_b32 exec_lo, exec_lo, s1
	ds_write2_b64 v255, v[217:218], v[219:220] offset1:1
.LBB113_350:
	s_or_b32 exec_lo, exec_lo, s2
	s_waitcnt lgkmcnt(0)
	s_barrier
	buffer_gl0_inv
	ds_read2_b64 v[193:196], v255 offset1:1
	s_mov_b32 s1, exec_lo
	s_waitcnt lgkmcnt(0)
	buffer_store_dword v193, off, s[16:19], 0 offset:1072 ; 4-byte Folded Spill
	buffer_store_dword v194, off, s[16:19], 0 offset:1076 ; 4-byte Folded Spill
	buffer_store_dword v195, off, s[16:19], 0 offset:1080 ; 4-byte Folded Spill
	buffer_store_dword v196, off, s[16:19], 0 offset:1084 ; 4-byte Folded Spill
	v_cmpx_lt_u32_e32 38, v0
	s_cbranch_execz .LBB113_352
; %bb.351:
	s_clause 0x3
	buffer_load_dword v193, off, s[16:19], 0 offset:1072
	buffer_load_dword v194, off, s[16:19], 0 offset:1076
	;; [unrolled: 1-line block ×4, first 2 shown]
	ds_read2_b64 v[215:218], v253 offset0:78 offset1:79
	s_waitcnt vmcnt(0)
	v_mul_f64 v[213:214], v[195:196], v[75:76]
	v_mul_f64 v[75:76], v[193:194], v[75:76]
	v_fma_f64 v[213:214], v[193:194], v[73:74], -v[213:214]
	v_fma_f64 v[75:76], v[195:196], v[73:74], v[75:76]
	s_waitcnt lgkmcnt(0)
	v_mul_f64 v[73:74], v[217:218], v[75:76]
	v_fma_f64 v[73:74], v[215:216], v[213:214], -v[73:74]
	v_mul_f64 v[215:216], v[215:216], v[75:76]
	v_add_f64 v[69:70], v[69:70], -v[73:74]
	v_fma_f64 v[215:216], v[217:218], v[213:214], v[215:216]
	v_add_f64 v[71:72], v[71:72], -v[215:216]
	ds_read2_b64 v[215:218], v253 offset0:80 offset1:81
	s_waitcnt lgkmcnt(0)
	v_mul_f64 v[73:74], v[217:218], v[75:76]
	v_fma_f64 v[73:74], v[215:216], v[213:214], -v[73:74]
	v_mul_f64 v[215:216], v[215:216], v[75:76]
	v_add_f64 v[65:66], v[65:66], -v[73:74]
	v_fma_f64 v[215:216], v[217:218], v[213:214], v[215:216]
	v_add_f64 v[67:68], v[67:68], -v[215:216]
	ds_read2_b64 v[215:218], v253 offset0:82 offset1:83
	;; [unrolled: 8-line block ×17, first 2 shown]
	s_waitcnt lgkmcnt(0)
	v_mul_f64 v[73:74], v[217:218], v[75:76]
	v_fma_f64 v[73:74], v[215:216], v[213:214], -v[73:74]
	v_mul_f64 v[215:216], v[215:216], v[75:76]
	v_add_f64 v[1:2], v[1:2], -v[73:74]
	v_fma_f64 v[215:216], v[217:218], v[213:214], v[215:216]
	v_mov_b32_e32 v73, v213
	v_mov_b32_e32 v74, v214
	v_add_f64 v[3:4], v[3:4], -v[215:216]
.LBB113_352:
	s_or_b32 exec_lo, exec_lo, s1
	s_mov_b32 s2, exec_lo
	s_waitcnt_vscnt null, 0x0
	s_barrier
	buffer_gl0_inv
	v_cmpx_eq_u32_e32 39, v0
	s_cbranch_execz .LBB113_359
; %bb.353:
	ds_write2_b64 v255, v[69:70], v[71:72] offset1:1
	ds_write2_b64 v253, v[65:66], v[67:68] offset0:80 offset1:81
	ds_write2_b64 v253, v[61:62], v[63:64] offset0:82 offset1:83
	;; [unrolled: 1-line block ×17, first 2 shown]
	ds_read2_b64 v[213:216], v255 offset1:1
	s_waitcnt lgkmcnt(0)
	v_cmp_neq_f64_e32 vcc_lo, 0, v[213:214]
	v_cmp_neq_f64_e64 s1, 0, v[215:216]
	s_or_b32 s1, vcc_lo, s1
	s_and_b32 exec_lo, exec_lo, s1
	s_cbranch_execz .LBB113_359
; %bb.354:
	v_cmp_ngt_f64_e64 s1, |v[213:214]|, |v[215:216]|
                                        ; implicit-def: $vgpr217_vgpr218
	s_and_saveexec_b32 s3, s1
	s_xor_b32 s1, exec_lo, s3
                                        ; implicit-def: $vgpr219_vgpr220
	s_cbranch_execz .LBB113_356
; %bb.355:
	v_div_scale_f64 v[217:218], null, v[215:216], v[215:216], v[213:214]
	v_div_scale_f64 v[223:224], vcc_lo, v[213:214], v[215:216], v[213:214]
	v_rcp_f64_e32 v[219:220], v[217:218]
	v_fma_f64 v[221:222], -v[217:218], v[219:220], 1.0
	v_fma_f64 v[219:220], v[219:220], v[221:222], v[219:220]
	v_fma_f64 v[221:222], -v[217:218], v[219:220], 1.0
	v_fma_f64 v[219:220], v[219:220], v[221:222], v[219:220]
	v_mul_f64 v[221:222], v[223:224], v[219:220]
	v_fma_f64 v[217:218], -v[217:218], v[221:222], v[223:224]
	v_div_fmas_f64 v[217:218], v[217:218], v[219:220], v[221:222]
	v_div_fixup_f64 v[217:218], v[217:218], v[215:216], v[213:214]
	v_fma_f64 v[213:214], v[213:214], v[217:218], v[215:216]
	v_div_scale_f64 v[215:216], null, v[213:214], v[213:214], 1.0
	v_rcp_f64_e32 v[219:220], v[215:216]
	v_fma_f64 v[221:222], -v[215:216], v[219:220], 1.0
	v_fma_f64 v[219:220], v[219:220], v[221:222], v[219:220]
	v_fma_f64 v[221:222], -v[215:216], v[219:220], 1.0
	v_fma_f64 v[219:220], v[219:220], v[221:222], v[219:220]
	v_div_scale_f64 v[221:222], vcc_lo, 1.0, v[213:214], 1.0
	v_mul_f64 v[223:224], v[221:222], v[219:220]
	v_fma_f64 v[215:216], -v[215:216], v[223:224], v[221:222]
	v_div_fmas_f64 v[215:216], v[215:216], v[219:220], v[223:224]
	v_div_fixup_f64 v[219:220], v[215:216], v[213:214], 1.0
                                        ; implicit-def: $vgpr213_vgpr214
	v_mul_f64 v[217:218], v[217:218], v[219:220]
	v_xor_b32_e32 v220, 0x80000000, v220
.LBB113_356:
	s_andn2_saveexec_b32 s1, s1
	s_cbranch_execz .LBB113_358
; %bb.357:
	v_div_scale_f64 v[217:218], null, v[213:214], v[213:214], v[215:216]
	v_div_scale_f64 v[223:224], vcc_lo, v[215:216], v[213:214], v[215:216]
	v_rcp_f64_e32 v[219:220], v[217:218]
	v_fma_f64 v[221:222], -v[217:218], v[219:220], 1.0
	v_fma_f64 v[219:220], v[219:220], v[221:222], v[219:220]
	v_fma_f64 v[221:222], -v[217:218], v[219:220], 1.0
	v_fma_f64 v[219:220], v[219:220], v[221:222], v[219:220]
	v_mul_f64 v[221:222], v[223:224], v[219:220]
	v_fma_f64 v[217:218], -v[217:218], v[221:222], v[223:224]
	v_div_fmas_f64 v[217:218], v[217:218], v[219:220], v[221:222]
	v_div_fixup_f64 v[219:220], v[217:218], v[213:214], v[215:216]
	v_fma_f64 v[213:214], v[215:216], v[219:220], v[213:214]
	v_div_scale_f64 v[215:216], null, v[213:214], v[213:214], 1.0
	v_rcp_f64_e32 v[217:218], v[215:216]
	v_fma_f64 v[221:222], -v[215:216], v[217:218], 1.0
	v_fma_f64 v[217:218], v[217:218], v[221:222], v[217:218]
	v_fma_f64 v[221:222], -v[215:216], v[217:218], 1.0
	v_fma_f64 v[217:218], v[217:218], v[221:222], v[217:218]
	v_div_scale_f64 v[221:222], vcc_lo, 1.0, v[213:214], 1.0
	v_mul_f64 v[223:224], v[221:222], v[217:218]
	v_fma_f64 v[215:216], -v[215:216], v[223:224], v[221:222]
	v_div_fmas_f64 v[215:216], v[215:216], v[217:218], v[223:224]
	v_div_fixup_f64 v[217:218], v[215:216], v[213:214], 1.0
	v_mul_f64 v[219:220], v[219:220], -v[217:218]
.LBB113_358:
	s_or_b32 exec_lo, exec_lo, s1
	ds_write2_b64 v255, v[217:218], v[219:220] offset1:1
.LBB113_359:
	s_or_b32 exec_lo, exec_lo, s2
	s_waitcnt lgkmcnt(0)
	s_barrier
	buffer_gl0_inv
	ds_read2_b64 v[193:196], v255 offset1:1
	s_mov_b32 s1, exec_lo
	s_waitcnt lgkmcnt(0)
	buffer_store_dword v193, off, s[16:19], 0 offset:1088 ; 4-byte Folded Spill
	buffer_store_dword v194, off, s[16:19], 0 offset:1092 ; 4-byte Folded Spill
	;; [unrolled: 1-line block ×4, first 2 shown]
	v_cmpx_lt_u32_e32 39, v0
	s_cbranch_execz .LBB113_361
; %bb.360:
	s_clause 0x3
	buffer_load_dword v193, off, s[16:19], 0 offset:1088
	buffer_load_dword v194, off, s[16:19], 0 offset:1092
	;; [unrolled: 1-line block ×4, first 2 shown]
	ds_read2_b64 v[215:218], v253 offset0:80 offset1:81
	s_waitcnt vmcnt(0)
	v_mul_f64 v[213:214], v[195:196], v[71:72]
	v_mul_f64 v[71:72], v[193:194], v[71:72]
	v_fma_f64 v[213:214], v[193:194], v[69:70], -v[213:214]
	v_fma_f64 v[71:72], v[195:196], v[69:70], v[71:72]
	s_waitcnt lgkmcnt(0)
	v_mul_f64 v[69:70], v[217:218], v[71:72]
	v_fma_f64 v[69:70], v[215:216], v[213:214], -v[69:70]
	v_mul_f64 v[215:216], v[215:216], v[71:72]
	v_add_f64 v[65:66], v[65:66], -v[69:70]
	v_fma_f64 v[215:216], v[217:218], v[213:214], v[215:216]
	v_add_f64 v[67:68], v[67:68], -v[215:216]
	ds_read2_b64 v[215:218], v253 offset0:82 offset1:83
	s_waitcnt lgkmcnt(0)
	v_mul_f64 v[69:70], v[217:218], v[71:72]
	v_fma_f64 v[69:70], v[215:216], v[213:214], -v[69:70]
	v_mul_f64 v[215:216], v[215:216], v[71:72]
	v_add_f64 v[61:62], v[61:62], -v[69:70]
	v_fma_f64 v[215:216], v[217:218], v[213:214], v[215:216]
	v_add_f64 v[63:64], v[63:64], -v[215:216]
	ds_read2_b64 v[215:218], v253 offset0:84 offset1:85
	;; [unrolled: 8-line block ×16, first 2 shown]
	s_waitcnt lgkmcnt(0)
	v_mul_f64 v[69:70], v[217:218], v[71:72]
	v_fma_f64 v[69:70], v[215:216], v[213:214], -v[69:70]
	v_mul_f64 v[215:216], v[215:216], v[71:72]
	v_add_f64 v[1:2], v[1:2], -v[69:70]
	v_fma_f64 v[215:216], v[217:218], v[213:214], v[215:216]
	v_mov_b32_e32 v69, v213
	v_mov_b32_e32 v70, v214
	v_add_f64 v[3:4], v[3:4], -v[215:216]
.LBB113_361:
	s_or_b32 exec_lo, exec_lo, s1
	s_mov_b32 s2, exec_lo
	s_waitcnt_vscnt null, 0x0
	s_barrier
	buffer_gl0_inv
	v_cmpx_eq_u32_e32 40, v0
	s_cbranch_execz .LBB113_368
; %bb.362:
	ds_write2_b64 v255, v[65:66], v[67:68] offset1:1
	ds_write2_b64 v253, v[61:62], v[63:64] offset0:82 offset1:83
	ds_write2_b64 v253, v[57:58], v[59:60] offset0:84 offset1:85
	;; [unrolled: 1-line block ×16, first 2 shown]
	ds_read2_b64 v[213:216], v255 offset1:1
	s_waitcnt lgkmcnt(0)
	v_cmp_neq_f64_e32 vcc_lo, 0, v[213:214]
	v_cmp_neq_f64_e64 s1, 0, v[215:216]
	s_or_b32 s1, vcc_lo, s1
	s_and_b32 exec_lo, exec_lo, s1
	s_cbranch_execz .LBB113_368
; %bb.363:
	v_cmp_ngt_f64_e64 s1, |v[213:214]|, |v[215:216]|
                                        ; implicit-def: $vgpr217_vgpr218
	s_and_saveexec_b32 s3, s1
	s_xor_b32 s1, exec_lo, s3
                                        ; implicit-def: $vgpr219_vgpr220
	s_cbranch_execz .LBB113_365
; %bb.364:
	v_div_scale_f64 v[217:218], null, v[215:216], v[215:216], v[213:214]
	v_div_scale_f64 v[223:224], vcc_lo, v[213:214], v[215:216], v[213:214]
	v_rcp_f64_e32 v[219:220], v[217:218]
	v_fma_f64 v[221:222], -v[217:218], v[219:220], 1.0
	v_fma_f64 v[219:220], v[219:220], v[221:222], v[219:220]
	v_fma_f64 v[221:222], -v[217:218], v[219:220], 1.0
	v_fma_f64 v[219:220], v[219:220], v[221:222], v[219:220]
	v_mul_f64 v[221:222], v[223:224], v[219:220]
	v_fma_f64 v[217:218], -v[217:218], v[221:222], v[223:224]
	v_div_fmas_f64 v[217:218], v[217:218], v[219:220], v[221:222]
	v_div_fixup_f64 v[217:218], v[217:218], v[215:216], v[213:214]
	v_fma_f64 v[213:214], v[213:214], v[217:218], v[215:216]
	v_div_scale_f64 v[215:216], null, v[213:214], v[213:214], 1.0
	v_rcp_f64_e32 v[219:220], v[215:216]
	v_fma_f64 v[221:222], -v[215:216], v[219:220], 1.0
	v_fma_f64 v[219:220], v[219:220], v[221:222], v[219:220]
	v_fma_f64 v[221:222], -v[215:216], v[219:220], 1.0
	v_fma_f64 v[219:220], v[219:220], v[221:222], v[219:220]
	v_div_scale_f64 v[221:222], vcc_lo, 1.0, v[213:214], 1.0
	v_mul_f64 v[223:224], v[221:222], v[219:220]
	v_fma_f64 v[215:216], -v[215:216], v[223:224], v[221:222]
	v_div_fmas_f64 v[215:216], v[215:216], v[219:220], v[223:224]
	v_div_fixup_f64 v[219:220], v[215:216], v[213:214], 1.0
                                        ; implicit-def: $vgpr213_vgpr214
	v_mul_f64 v[217:218], v[217:218], v[219:220]
	v_xor_b32_e32 v220, 0x80000000, v220
.LBB113_365:
	s_andn2_saveexec_b32 s1, s1
	s_cbranch_execz .LBB113_367
; %bb.366:
	v_div_scale_f64 v[217:218], null, v[213:214], v[213:214], v[215:216]
	v_div_scale_f64 v[223:224], vcc_lo, v[215:216], v[213:214], v[215:216]
	v_rcp_f64_e32 v[219:220], v[217:218]
	v_fma_f64 v[221:222], -v[217:218], v[219:220], 1.0
	v_fma_f64 v[219:220], v[219:220], v[221:222], v[219:220]
	v_fma_f64 v[221:222], -v[217:218], v[219:220], 1.0
	v_fma_f64 v[219:220], v[219:220], v[221:222], v[219:220]
	v_mul_f64 v[221:222], v[223:224], v[219:220]
	v_fma_f64 v[217:218], -v[217:218], v[221:222], v[223:224]
	v_div_fmas_f64 v[217:218], v[217:218], v[219:220], v[221:222]
	v_div_fixup_f64 v[219:220], v[217:218], v[213:214], v[215:216]
	v_fma_f64 v[213:214], v[215:216], v[219:220], v[213:214]
	v_div_scale_f64 v[215:216], null, v[213:214], v[213:214], 1.0
	v_rcp_f64_e32 v[217:218], v[215:216]
	v_fma_f64 v[221:222], -v[215:216], v[217:218], 1.0
	v_fma_f64 v[217:218], v[217:218], v[221:222], v[217:218]
	v_fma_f64 v[221:222], -v[215:216], v[217:218], 1.0
	v_fma_f64 v[217:218], v[217:218], v[221:222], v[217:218]
	v_div_scale_f64 v[221:222], vcc_lo, 1.0, v[213:214], 1.0
	v_mul_f64 v[223:224], v[221:222], v[217:218]
	v_fma_f64 v[215:216], -v[215:216], v[223:224], v[221:222]
	v_div_fmas_f64 v[215:216], v[215:216], v[217:218], v[223:224]
	v_div_fixup_f64 v[217:218], v[215:216], v[213:214], 1.0
	v_mul_f64 v[219:220], v[219:220], -v[217:218]
.LBB113_367:
	s_or_b32 exec_lo, exec_lo, s1
	ds_write2_b64 v255, v[217:218], v[219:220] offset1:1
.LBB113_368:
	s_or_b32 exec_lo, exec_lo, s2
	s_waitcnt lgkmcnt(0)
	s_barrier
	buffer_gl0_inv
	ds_read2_b64 v[193:196], v255 offset1:1
	s_mov_b32 s1, exec_lo
	s_waitcnt lgkmcnt(0)
	buffer_store_dword v193, off, s[16:19], 0 offset:1104 ; 4-byte Folded Spill
	buffer_store_dword v194, off, s[16:19], 0 offset:1108 ; 4-byte Folded Spill
	;; [unrolled: 1-line block ×4, first 2 shown]
	v_cmpx_lt_u32_e32 40, v0
	s_cbranch_execz .LBB113_370
; %bb.369:
	s_clause 0x3
	buffer_load_dword v193, off, s[16:19], 0 offset:1104
	buffer_load_dword v194, off, s[16:19], 0 offset:1108
	;; [unrolled: 1-line block ×4, first 2 shown]
	ds_read2_b64 v[215:218], v253 offset0:82 offset1:83
	s_waitcnt vmcnt(2)
	v_mul_f64 v[213:214], v[193:194], v[67:68]
	s_waitcnt vmcnt(0)
	v_mul_f64 v[67:68], v[195:196], v[67:68]
	v_fma_f64 v[213:214], v[195:196], v[65:66], v[213:214]
	v_fma_f64 v[65:66], v[193:194], v[65:66], -v[67:68]
	s_waitcnt lgkmcnt(0)
	v_mul_f64 v[67:68], v[217:218], v[213:214]
	v_fma_f64 v[67:68], v[215:216], v[65:66], -v[67:68]
	v_mul_f64 v[215:216], v[215:216], v[213:214]
	v_add_f64 v[61:62], v[61:62], -v[67:68]
	v_fma_f64 v[215:216], v[217:218], v[65:66], v[215:216]
	v_add_f64 v[63:64], v[63:64], -v[215:216]
	ds_read2_b64 v[215:218], v253 offset0:84 offset1:85
	s_waitcnt lgkmcnt(0)
	v_mul_f64 v[67:68], v[217:218], v[213:214]
	v_fma_f64 v[67:68], v[215:216], v[65:66], -v[67:68]
	v_mul_f64 v[215:216], v[215:216], v[213:214]
	v_add_f64 v[57:58], v[57:58], -v[67:68]
	v_fma_f64 v[215:216], v[217:218], v[65:66], v[215:216]
	v_add_f64 v[59:60], v[59:60], -v[215:216]
	ds_read2_b64 v[215:218], v253 offset0:86 offset1:87
	;; [unrolled: 8-line block ×15, first 2 shown]
	s_waitcnt lgkmcnt(0)
	v_mul_f64 v[67:68], v[217:218], v[213:214]
	v_fma_f64 v[67:68], v[215:216], v[65:66], -v[67:68]
	v_mul_f64 v[215:216], v[215:216], v[213:214]
	v_add_f64 v[1:2], v[1:2], -v[67:68]
	v_fma_f64 v[215:216], v[217:218], v[65:66], v[215:216]
	v_mov_b32_e32 v67, v213
	v_mov_b32_e32 v68, v214
	v_add_f64 v[3:4], v[3:4], -v[215:216]
.LBB113_370:
	s_or_b32 exec_lo, exec_lo, s1
	s_mov_b32 s2, exec_lo
	s_waitcnt_vscnt null, 0x0
	s_barrier
	buffer_gl0_inv
	v_cmpx_eq_u32_e32 41, v0
	s_cbranch_execz .LBB113_377
; %bb.371:
	ds_write2_b64 v255, v[61:62], v[63:64] offset1:1
	ds_write2_b64 v253, v[57:58], v[59:60] offset0:84 offset1:85
	ds_write2_b64 v253, v[53:54], v[55:56] offset0:86 offset1:87
	ds_write2_b64 v253, v[49:50], v[51:52] offset0:88 offset1:89
	ds_write2_b64 v253, v[45:46], v[47:48] offset0:90 offset1:91
	ds_write2_b64 v253, v[41:42], v[43:44] offset0:92 offset1:93
	ds_write2_b64 v253, v[37:38], v[39:40] offset0:94 offset1:95
	ds_write2_b64 v253, v[33:34], v[35:36] offset0:96 offset1:97
	ds_write2_b64 v253, v[29:30], v[31:32] offset0:98 offset1:99
	ds_write2_b64 v253, v[25:26], v[27:28] offset0:100 offset1:101
	ds_write2_b64 v253, v[21:22], v[23:24] offset0:102 offset1:103
	ds_write2_b64 v253, v[17:18], v[19:20] offset0:104 offset1:105
	ds_write2_b64 v253, v[13:14], v[15:16] offset0:106 offset1:107
	ds_write2_b64 v253, v[9:10], v[11:12] offset0:108 offset1:109
	ds_write2_b64 v253, v[5:6], v[7:8] offset0:110 offset1:111
	ds_write2_b64 v253, v[1:2], v[3:4] offset0:112 offset1:113
	ds_read2_b64 v[213:216], v255 offset1:1
	s_waitcnt lgkmcnt(0)
	v_cmp_neq_f64_e32 vcc_lo, 0, v[213:214]
	v_cmp_neq_f64_e64 s1, 0, v[215:216]
	s_or_b32 s1, vcc_lo, s1
	s_and_b32 exec_lo, exec_lo, s1
	s_cbranch_execz .LBB113_377
; %bb.372:
	v_cmp_ngt_f64_e64 s1, |v[213:214]|, |v[215:216]|
                                        ; implicit-def: $vgpr217_vgpr218
	s_and_saveexec_b32 s3, s1
	s_xor_b32 s1, exec_lo, s3
                                        ; implicit-def: $vgpr219_vgpr220
	s_cbranch_execz .LBB113_374
; %bb.373:
	v_div_scale_f64 v[217:218], null, v[215:216], v[215:216], v[213:214]
	v_div_scale_f64 v[223:224], vcc_lo, v[213:214], v[215:216], v[213:214]
	v_rcp_f64_e32 v[219:220], v[217:218]
	v_fma_f64 v[221:222], -v[217:218], v[219:220], 1.0
	v_fma_f64 v[219:220], v[219:220], v[221:222], v[219:220]
	v_fma_f64 v[221:222], -v[217:218], v[219:220], 1.0
	v_fma_f64 v[219:220], v[219:220], v[221:222], v[219:220]
	v_mul_f64 v[221:222], v[223:224], v[219:220]
	v_fma_f64 v[217:218], -v[217:218], v[221:222], v[223:224]
	v_div_fmas_f64 v[217:218], v[217:218], v[219:220], v[221:222]
	v_div_fixup_f64 v[217:218], v[217:218], v[215:216], v[213:214]
	v_fma_f64 v[213:214], v[213:214], v[217:218], v[215:216]
	v_div_scale_f64 v[215:216], null, v[213:214], v[213:214], 1.0
	v_rcp_f64_e32 v[219:220], v[215:216]
	v_fma_f64 v[221:222], -v[215:216], v[219:220], 1.0
	v_fma_f64 v[219:220], v[219:220], v[221:222], v[219:220]
	v_fma_f64 v[221:222], -v[215:216], v[219:220], 1.0
	v_fma_f64 v[219:220], v[219:220], v[221:222], v[219:220]
	v_div_scale_f64 v[221:222], vcc_lo, 1.0, v[213:214], 1.0
	v_mul_f64 v[223:224], v[221:222], v[219:220]
	v_fma_f64 v[215:216], -v[215:216], v[223:224], v[221:222]
	v_div_fmas_f64 v[215:216], v[215:216], v[219:220], v[223:224]
	v_div_fixup_f64 v[219:220], v[215:216], v[213:214], 1.0
                                        ; implicit-def: $vgpr213_vgpr214
	v_mul_f64 v[217:218], v[217:218], v[219:220]
	v_xor_b32_e32 v220, 0x80000000, v220
.LBB113_374:
	s_andn2_saveexec_b32 s1, s1
	s_cbranch_execz .LBB113_376
; %bb.375:
	v_div_scale_f64 v[217:218], null, v[213:214], v[213:214], v[215:216]
	v_div_scale_f64 v[223:224], vcc_lo, v[215:216], v[213:214], v[215:216]
	v_rcp_f64_e32 v[219:220], v[217:218]
	v_fma_f64 v[221:222], -v[217:218], v[219:220], 1.0
	v_fma_f64 v[219:220], v[219:220], v[221:222], v[219:220]
	v_fma_f64 v[221:222], -v[217:218], v[219:220], 1.0
	v_fma_f64 v[219:220], v[219:220], v[221:222], v[219:220]
	v_mul_f64 v[221:222], v[223:224], v[219:220]
	v_fma_f64 v[217:218], -v[217:218], v[221:222], v[223:224]
	v_div_fmas_f64 v[217:218], v[217:218], v[219:220], v[221:222]
	v_div_fixup_f64 v[219:220], v[217:218], v[213:214], v[215:216]
	v_fma_f64 v[213:214], v[215:216], v[219:220], v[213:214]
	v_div_scale_f64 v[215:216], null, v[213:214], v[213:214], 1.0
	v_rcp_f64_e32 v[217:218], v[215:216]
	v_fma_f64 v[221:222], -v[215:216], v[217:218], 1.0
	v_fma_f64 v[217:218], v[217:218], v[221:222], v[217:218]
	v_fma_f64 v[221:222], -v[215:216], v[217:218], 1.0
	v_fma_f64 v[217:218], v[217:218], v[221:222], v[217:218]
	v_div_scale_f64 v[221:222], vcc_lo, 1.0, v[213:214], 1.0
	v_mul_f64 v[223:224], v[221:222], v[217:218]
	v_fma_f64 v[215:216], -v[215:216], v[223:224], v[221:222]
	v_div_fmas_f64 v[215:216], v[215:216], v[217:218], v[223:224]
	v_div_fixup_f64 v[217:218], v[215:216], v[213:214], 1.0
	v_mul_f64 v[219:220], v[219:220], -v[217:218]
.LBB113_376:
	s_or_b32 exec_lo, exec_lo, s1
	ds_write2_b64 v255, v[217:218], v[219:220] offset1:1
.LBB113_377:
	s_or_b32 exec_lo, exec_lo, s2
	s_waitcnt lgkmcnt(0)
	s_barrier
	buffer_gl0_inv
	ds_read2_b64 v[193:196], v255 offset1:1
	s_mov_b32 s1, exec_lo
	s_waitcnt lgkmcnt(0)
	buffer_store_dword v193, off, s[16:19], 0 offset:1120 ; 4-byte Folded Spill
	buffer_store_dword v194, off, s[16:19], 0 offset:1124 ; 4-byte Folded Spill
	buffer_store_dword v195, off, s[16:19], 0 offset:1128 ; 4-byte Folded Spill
	buffer_store_dword v196, off, s[16:19], 0 offset:1132 ; 4-byte Folded Spill
	v_cmpx_lt_u32_e32 41, v0
	s_cbranch_execz .LBB113_379
; %bb.378:
	s_clause 0x3
	buffer_load_dword v193, off, s[16:19], 0 offset:1120
	buffer_load_dword v194, off, s[16:19], 0 offset:1124
	;; [unrolled: 1-line block ×4, first 2 shown]
	ds_read2_b64 v[215:218], v253 offset0:84 offset1:85
	s_waitcnt vmcnt(2)
	v_mul_f64 v[213:214], v[193:194], v[63:64]
	s_waitcnt vmcnt(0)
	v_mul_f64 v[63:64], v[195:196], v[63:64]
	v_fma_f64 v[213:214], v[195:196], v[61:62], v[213:214]
	v_fma_f64 v[61:62], v[193:194], v[61:62], -v[63:64]
	s_waitcnt lgkmcnt(0)
	v_mul_f64 v[63:64], v[217:218], v[213:214]
	v_fma_f64 v[63:64], v[215:216], v[61:62], -v[63:64]
	v_mul_f64 v[215:216], v[215:216], v[213:214]
	v_add_f64 v[57:58], v[57:58], -v[63:64]
	v_fma_f64 v[215:216], v[217:218], v[61:62], v[215:216]
	v_add_f64 v[59:60], v[59:60], -v[215:216]
	ds_read2_b64 v[215:218], v253 offset0:86 offset1:87
	s_waitcnt lgkmcnt(0)
	v_mul_f64 v[63:64], v[217:218], v[213:214]
	v_fma_f64 v[63:64], v[215:216], v[61:62], -v[63:64]
	v_mul_f64 v[215:216], v[215:216], v[213:214]
	v_add_f64 v[53:54], v[53:54], -v[63:64]
	v_fma_f64 v[215:216], v[217:218], v[61:62], v[215:216]
	v_add_f64 v[55:56], v[55:56], -v[215:216]
	ds_read2_b64 v[215:218], v253 offset0:88 offset1:89
	;; [unrolled: 8-line block ×14, first 2 shown]
	s_waitcnt lgkmcnt(0)
	v_mul_f64 v[63:64], v[217:218], v[213:214]
	v_fma_f64 v[63:64], v[215:216], v[61:62], -v[63:64]
	v_mul_f64 v[215:216], v[215:216], v[213:214]
	v_add_f64 v[1:2], v[1:2], -v[63:64]
	v_fma_f64 v[215:216], v[217:218], v[61:62], v[215:216]
	v_mov_b32_e32 v63, v213
	v_mov_b32_e32 v64, v214
	v_add_f64 v[3:4], v[3:4], -v[215:216]
.LBB113_379:
	s_or_b32 exec_lo, exec_lo, s1
	s_mov_b32 s2, exec_lo
	s_waitcnt_vscnt null, 0x0
	s_barrier
	buffer_gl0_inv
	v_cmpx_eq_u32_e32 42, v0
	s_cbranch_execz .LBB113_386
; %bb.380:
	ds_write2_b64 v255, v[57:58], v[59:60] offset1:1
	ds_write2_b64 v253, v[53:54], v[55:56] offset0:86 offset1:87
	ds_write2_b64 v253, v[49:50], v[51:52] offset0:88 offset1:89
	;; [unrolled: 1-line block ×14, first 2 shown]
	ds_read2_b64 v[213:216], v255 offset1:1
	s_waitcnt lgkmcnt(0)
	v_cmp_neq_f64_e32 vcc_lo, 0, v[213:214]
	v_cmp_neq_f64_e64 s1, 0, v[215:216]
	s_or_b32 s1, vcc_lo, s1
	s_and_b32 exec_lo, exec_lo, s1
	s_cbranch_execz .LBB113_386
; %bb.381:
	v_cmp_ngt_f64_e64 s1, |v[213:214]|, |v[215:216]|
                                        ; implicit-def: $vgpr217_vgpr218
	s_and_saveexec_b32 s3, s1
	s_xor_b32 s1, exec_lo, s3
                                        ; implicit-def: $vgpr219_vgpr220
	s_cbranch_execz .LBB113_383
; %bb.382:
	v_div_scale_f64 v[217:218], null, v[215:216], v[215:216], v[213:214]
	v_div_scale_f64 v[223:224], vcc_lo, v[213:214], v[215:216], v[213:214]
	v_rcp_f64_e32 v[219:220], v[217:218]
	v_fma_f64 v[221:222], -v[217:218], v[219:220], 1.0
	v_fma_f64 v[219:220], v[219:220], v[221:222], v[219:220]
	v_fma_f64 v[221:222], -v[217:218], v[219:220], 1.0
	v_fma_f64 v[219:220], v[219:220], v[221:222], v[219:220]
	v_mul_f64 v[221:222], v[223:224], v[219:220]
	v_fma_f64 v[217:218], -v[217:218], v[221:222], v[223:224]
	v_div_fmas_f64 v[217:218], v[217:218], v[219:220], v[221:222]
	v_div_fixup_f64 v[217:218], v[217:218], v[215:216], v[213:214]
	v_fma_f64 v[213:214], v[213:214], v[217:218], v[215:216]
	v_div_scale_f64 v[215:216], null, v[213:214], v[213:214], 1.0
	v_rcp_f64_e32 v[219:220], v[215:216]
	v_fma_f64 v[221:222], -v[215:216], v[219:220], 1.0
	v_fma_f64 v[219:220], v[219:220], v[221:222], v[219:220]
	v_fma_f64 v[221:222], -v[215:216], v[219:220], 1.0
	v_fma_f64 v[219:220], v[219:220], v[221:222], v[219:220]
	v_div_scale_f64 v[221:222], vcc_lo, 1.0, v[213:214], 1.0
	v_mul_f64 v[223:224], v[221:222], v[219:220]
	v_fma_f64 v[215:216], -v[215:216], v[223:224], v[221:222]
	v_div_fmas_f64 v[215:216], v[215:216], v[219:220], v[223:224]
	v_div_fixup_f64 v[219:220], v[215:216], v[213:214], 1.0
                                        ; implicit-def: $vgpr213_vgpr214
	v_mul_f64 v[217:218], v[217:218], v[219:220]
	v_xor_b32_e32 v220, 0x80000000, v220
.LBB113_383:
	s_andn2_saveexec_b32 s1, s1
	s_cbranch_execz .LBB113_385
; %bb.384:
	v_div_scale_f64 v[217:218], null, v[213:214], v[213:214], v[215:216]
	v_div_scale_f64 v[223:224], vcc_lo, v[215:216], v[213:214], v[215:216]
	v_rcp_f64_e32 v[219:220], v[217:218]
	v_fma_f64 v[221:222], -v[217:218], v[219:220], 1.0
	v_fma_f64 v[219:220], v[219:220], v[221:222], v[219:220]
	v_fma_f64 v[221:222], -v[217:218], v[219:220], 1.0
	v_fma_f64 v[219:220], v[219:220], v[221:222], v[219:220]
	v_mul_f64 v[221:222], v[223:224], v[219:220]
	v_fma_f64 v[217:218], -v[217:218], v[221:222], v[223:224]
	v_div_fmas_f64 v[217:218], v[217:218], v[219:220], v[221:222]
	v_div_fixup_f64 v[219:220], v[217:218], v[213:214], v[215:216]
	v_fma_f64 v[213:214], v[215:216], v[219:220], v[213:214]
	v_div_scale_f64 v[215:216], null, v[213:214], v[213:214], 1.0
	v_rcp_f64_e32 v[217:218], v[215:216]
	v_fma_f64 v[221:222], -v[215:216], v[217:218], 1.0
	v_fma_f64 v[217:218], v[217:218], v[221:222], v[217:218]
	v_fma_f64 v[221:222], -v[215:216], v[217:218], 1.0
	v_fma_f64 v[217:218], v[217:218], v[221:222], v[217:218]
	v_div_scale_f64 v[221:222], vcc_lo, 1.0, v[213:214], 1.0
	v_mul_f64 v[223:224], v[221:222], v[217:218]
	v_fma_f64 v[215:216], -v[215:216], v[223:224], v[221:222]
	v_div_fmas_f64 v[215:216], v[215:216], v[217:218], v[223:224]
	v_div_fixup_f64 v[217:218], v[215:216], v[213:214], 1.0
	v_mul_f64 v[219:220], v[219:220], -v[217:218]
.LBB113_385:
	s_or_b32 exec_lo, exec_lo, s1
	ds_write2_b64 v255, v[217:218], v[219:220] offset1:1
.LBB113_386:
	s_or_b32 exec_lo, exec_lo, s2
	s_waitcnt lgkmcnt(0)
	s_barrier
	buffer_gl0_inv
	ds_read2_b64 v[193:196], v255 offset1:1
	s_mov_b32 s1, exec_lo
	s_waitcnt lgkmcnt(0)
	buffer_store_dword v193, off, s[16:19], 0 offset:1136 ; 4-byte Folded Spill
	buffer_store_dword v194, off, s[16:19], 0 offset:1140 ; 4-byte Folded Spill
	;; [unrolled: 1-line block ×4, first 2 shown]
	v_cmpx_lt_u32_e32 42, v0
	s_cbranch_execz .LBB113_388
; %bb.387:
	s_clause 0x3
	buffer_load_dword v193, off, s[16:19], 0 offset:1136
	buffer_load_dword v194, off, s[16:19], 0 offset:1140
	;; [unrolled: 1-line block ×4, first 2 shown]
	ds_read2_b64 v[215:218], v253 offset0:86 offset1:87
	s_waitcnt vmcnt(2)
	v_mul_f64 v[213:214], v[193:194], v[59:60]
	s_waitcnt vmcnt(0)
	v_mul_f64 v[59:60], v[195:196], v[59:60]
	v_fma_f64 v[213:214], v[195:196], v[57:58], v[213:214]
	v_fma_f64 v[57:58], v[193:194], v[57:58], -v[59:60]
	s_waitcnt lgkmcnt(0)
	v_mul_f64 v[59:60], v[217:218], v[213:214]
	v_fma_f64 v[59:60], v[215:216], v[57:58], -v[59:60]
	v_mul_f64 v[215:216], v[215:216], v[213:214]
	v_add_f64 v[53:54], v[53:54], -v[59:60]
	v_fma_f64 v[215:216], v[217:218], v[57:58], v[215:216]
	v_add_f64 v[55:56], v[55:56], -v[215:216]
	ds_read2_b64 v[215:218], v253 offset0:88 offset1:89
	s_waitcnt lgkmcnt(0)
	v_mul_f64 v[59:60], v[217:218], v[213:214]
	v_fma_f64 v[59:60], v[215:216], v[57:58], -v[59:60]
	v_mul_f64 v[215:216], v[215:216], v[213:214]
	v_add_f64 v[49:50], v[49:50], -v[59:60]
	v_fma_f64 v[215:216], v[217:218], v[57:58], v[215:216]
	v_add_f64 v[51:52], v[51:52], -v[215:216]
	ds_read2_b64 v[215:218], v253 offset0:90 offset1:91
	;; [unrolled: 8-line block ×13, first 2 shown]
	s_waitcnt lgkmcnt(0)
	v_mul_f64 v[59:60], v[217:218], v[213:214]
	v_fma_f64 v[59:60], v[215:216], v[57:58], -v[59:60]
	v_mul_f64 v[215:216], v[215:216], v[213:214]
	v_add_f64 v[1:2], v[1:2], -v[59:60]
	v_fma_f64 v[215:216], v[217:218], v[57:58], v[215:216]
	v_mov_b32_e32 v59, v213
	v_mov_b32_e32 v60, v214
	v_add_f64 v[3:4], v[3:4], -v[215:216]
.LBB113_388:
	s_or_b32 exec_lo, exec_lo, s1
	s_mov_b32 s2, exec_lo
	s_waitcnt_vscnt null, 0x0
	s_barrier
	buffer_gl0_inv
	v_cmpx_eq_u32_e32 43, v0
	s_cbranch_execz .LBB113_395
; %bb.389:
	ds_write2_b64 v255, v[53:54], v[55:56] offset1:1
	ds_write2_b64 v253, v[49:50], v[51:52] offset0:88 offset1:89
	ds_write2_b64 v253, v[45:46], v[47:48] offset0:90 offset1:91
	;; [unrolled: 1-line block ×13, first 2 shown]
	ds_read2_b64 v[213:216], v255 offset1:1
	s_waitcnt lgkmcnt(0)
	v_cmp_neq_f64_e32 vcc_lo, 0, v[213:214]
	v_cmp_neq_f64_e64 s1, 0, v[215:216]
	s_or_b32 s1, vcc_lo, s1
	s_and_b32 exec_lo, exec_lo, s1
	s_cbranch_execz .LBB113_395
; %bb.390:
	v_cmp_ngt_f64_e64 s1, |v[213:214]|, |v[215:216]|
                                        ; implicit-def: $vgpr217_vgpr218
	s_and_saveexec_b32 s3, s1
	s_xor_b32 s1, exec_lo, s3
                                        ; implicit-def: $vgpr219_vgpr220
	s_cbranch_execz .LBB113_392
; %bb.391:
	v_div_scale_f64 v[217:218], null, v[215:216], v[215:216], v[213:214]
	v_div_scale_f64 v[223:224], vcc_lo, v[213:214], v[215:216], v[213:214]
	v_rcp_f64_e32 v[219:220], v[217:218]
	v_fma_f64 v[221:222], -v[217:218], v[219:220], 1.0
	v_fma_f64 v[219:220], v[219:220], v[221:222], v[219:220]
	v_fma_f64 v[221:222], -v[217:218], v[219:220], 1.0
	v_fma_f64 v[219:220], v[219:220], v[221:222], v[219:220]
	v_mul_f64 v[221:222], v[223:224], v[219:220]
	v_fma_f64 v[217:218], -v[217:218], v[221:222], v[223:224]
	v_div_fmas_f64 v[217:218], v[217:218], v[219:220], v[221:222]
	v_div_fixup_f64 v[217:218], v[217:218], v[215:216], v[213:214]
	v_fma_f64 v[213:214], v[213:214], v[217:218], v[215:216]
	v_div_scale_f64 v[215:216], null, v[213:214], v[213:214], 1.0
	v_rcp_f64_e32 v[219:220], v[215:216]
	v_fma_f64 v[221:222], -v[215:216], v[219:220], 1.0
	v_fma_f64 v[219:220], v[219:220], v[221:222], v[219:220]
	v_fma_f64 v[221:222], -v[215:216], v[219:220], 1.0
	v_fma_f64 v[219:220], v[219:220], v[221:222], v[219:220]
	v_div_scale_f64 v[221:222], vcc_lo, 1.0, v[213:214], 1.0
	v_mul_f64 v[223:224], v[221:222], v[219:220]
	v_fma_f64 v[215:216], -v[215:216], v[223:224], v[221:222]
	v_div_fmas_f64 v[215:216], v[215:216], v[219:220], v[223:224]
	v_div_fixup_f64 v[219:220], v[215:216], v[213:214], 1.0
                                        ; implicit-def: $vgpr213_vgpr214
	v_mul_f64 v[217:218], v[217:218], v[219:220]
	v_xor_b32_e32 v220, 0x80000000, v220
.LBB113_392:
	s_andn2_saveexec_b32 s1, s1
	s_cbranch_execz .LBB113_394
; %bb.393:
	v_div_scale_f64 v[217:218], null, v[213:214], v[213:214], v[215:216]
	v_div_scale_f64 v[223:224], vcc_lo, v[215:216], v[213:214], v[215:216]
	v_rcp_f64_e32 v[219:220], v[217:218]
	v_fma_f64 v[221:222], -v[217:218], v[219:220], 1.0
	v_fma_f64 v[219:220], v[219:220], v[221:222], v[219:220]
	v_fma_f64 v[221:222], -v[217:218], v[219:220], 1.0
	v_fma_f64 v[219:220], v[219:220], v[221:222], v[219:220]
	v_mul_f64 v[221:222], v[223:224], v[219:220]
	v_fma_f64 v[217:218], -v[217:218], v[221:222], v[223:224]
	v_div_fmas_f64 v[217:218], v[217:218], v[219:220], v[221:222]
	v_div_fixup_f64 v[219:220], v[217:218], v[213:214], v[215:216]
	v_fma_f64 v[213:214], v[215:216], v[219:220], v[213:214]
	v_div_scale_f64 v[215:216], null, v[213:214], v[213:214], 1.0
	v_rcp_f64_e32 v[217:218], v[215:216]
	v_fma_f64 v[221:222], -v[215:216], v[217:218], 1.0
	v_fma_f64 v[217:218], v[217:218], v[221:222], v[217:218]
	v_fma_f64 v[221:222], -v[215:216], v[217:218], 1.0
	v_fma_f64 v[217:218], v[217:218], v[221:222], v[217:218]
	v_div_scale_f64 v[221:222], vcc_lo, 1.0, v[213:214], 1.0
	v_mul_f64 v[223:224], v[221:222], v[217:218]
	v_fma_f64 v[215:216], -v[215:216], v[223:224], v[221:222]
	v_div_fmas_f64 v[215:216], v[215:216], v[217:218], v[223:224]
	v_div_fixup_f64 v[217:218], v[215:216], v[213:214], 1.0
	v_mul_f64 v[219:220], v[219:220], -v[217:218]
.LBB113_394:
	s_or_b32 exec_lo, exec_lo, s1
	ds_write2_b64 v255, v[217:218], v[219:220] offset1:1
.LBB113_395:
	s_or_b32 exec_lo, exec_lo, s2
	s_waitcnt lgkmcnt(0)
	s_barrier
	buffer_gl0_inv
	ds_read2_b64 v[193:196], v255 offset1:1
	s_mov_b32 s1, exec_lo
	s_waitcnt lgkmcnt(0)
	buffer_store_dword v193, off, s[16:19], 0 offset:1152 ; 4-byte Folded Spill
	buffer_store_dword v194, off, s[16:19], 0 offset:1156 ; 4-byte Folded Spill
	;; [unrolled: 1-line block ×4, first 2 shown]
	v_cmpx_lt_u32_e32 43, v0
	s_cbranch_execz .LBB113_397
; %bb.396:
	s_clause 0x3
	buffer_load_dword v193, off, s[16:19], 0 offset:1152
	buffer_load_dword v194, off, s[16:19], 0 offset:1156
	;; [unrolled: 1-line block ×4, first 2 shown]
	ds_read2_b64 v[215:218], v253 offset0:88 offset1:89
	s_waitcnt vmcnt(2)
	v_mul_f64 v[213:214], v[193:194], v[55:56]
	s_waitcnt vmcnt(0)
	v_mul_f64 v[55:56], v[195:196], v[55:56]
	v_fma_f64 v[213:214], v[195:196], v[53:54], v[213:214]
	v_fma_f64 v[53:54], v[193:194], v[53:54], -v[55:56]
	s_waitcnt lgkmcnt(0)
	v_mul_f64 v[55:56], v[217:218], v[213:214]
	v_fma_f64 v[55:56], v[215:216], v[53:54], -v[55:56]
	v_mul_f64 v[215:216], v[215:216], v[213:214]
	v_add_f64 v[49:50], v[49:50], -v[55:56]
	v_fma_f64 v[215:216], v[217:218], v[53:54], v[215:216]
	v_add_f64 v[51:52], v[51:52], -v[215:216]
	ds_read2_b64 v[215:218], v253 offset0:90 offset1:91
	s_waitcnt lgkmcnt(0)
	v_mul_f64 v[55:56], v[217:218], v[213:214]
	v_fma_f64 v[55:56], v[215:216], v[53:54], -v[55:56]
	v_mul_f64 v[215:216], v[215:216], v[213:214]
	v_add_f64 v[45:46], v[45:46], -v[55:56]
	v_fma_f64 v[215:216], v[217:218], v[53:54], v[215:216]
	v_add_f64 v[47:48], v[47:48], -v[215:216]
	ds_read2_b64 v[215:218], v253 offset0:92 offset1:93
	;; [unrolled: 8-line block ×12, first 2 shown]
	s_waitcnt lgkmcnt(0)
	v_mul_f64 v[55:56], v[217:218], v[213:214]
	v_fma_f64 v[55:56], v[215:216], v[53:54], -v[55:56]
	v_mul_f64 v[215:216], v[215:216], v[213:214]
	v_add_f64 v[1:2], v[1:2], -v[55:56]
	v_fma_f64 v[215:216], v[217:218], v[53:54], v[215:216]
	v_mov_b32_e32 v55, v213
	v_mov_b32_e32 v56, v214
	v_add_f64 v[3:4], v[3:4], -v[215:216]
.LBB113_397:
	s_or_b32 exec_lo, exec_lo, s1
	s_mov_b32 s2, exec_lo
	s_waitcnt_vscnt null, 0x0
	s_barrier
	buffer_gl0_inv
	v_cmpx_eq_u32_e32 44, v0
	s_cbranch_execz .LBB113_404
; %bb.398:
	ds_write2_b64 v255, v[49:50], v[51:52] offset1:1
	ds_write2_b64 v253, v[45:46], v[47:48] offset0:90 offset1:91
	ds_write2_b64 v253, v[41:42], v[43:44] offset0:92 offset1:93
	;; [unrolled: 1-line block ×12, first 2 shown]
	ds_read2_b64 v[213:216], v255 offset1:1
	s_waitcnt lgkmcnt(0)
	v_cmp_neq_f64_e32 vcc_lo, 0, v[213:214]
	v_cmp_neq_f64_e64 s1, 0, v[215:216]
	s_or_b32 s1, vcc_lo, s1
	s_and_b32 exec_lo, exec_lo, s1
	s_cbranch_execz .LBB113_404
; %bb.399:
	v_cmp_ngt_f64_e64 s1, |v[213:214]|, |v[215:216]|
                                        ; implicit-def: $vgpr217_vgpr218
	s_and_saveexec_b32 s3, s1
	s_xor_b32 s1, exec_lo, s3
                                        ; implicit-def: $vgpr219_vgpr220
	s_cbranch_execz .LBB113_401
; %bb.400:
	v_div_scale_f64 v[217:218], null, v[215:216], v[215:216], v[213:214]
	v_div_scale_f64 v[223:224], vcc_lo, v[213:214], v[215:216], v[213:214]
	v_rcp_f64_e32 v[219:220], v[217:218]
	v_fma_f64 v[221:222], -v[217:218], v[219:220], 1.0
	v_fma_f64 v[219:220], v[219:220], v[221:222], v[219:220]
	v_fma_f64 v[221:222], -v[217:218], v[219:220], 1.0
	v_fma_f64 v[219:220], v[219:220], v[221:222], v[219:220]
	v_mul_f64 v[221:222], v[223:224], v[219:220]
	v_fma_f64 v[217:218], -v[217:218], v[221:222], v[223:224]
	v_div_fmas_f64 v[217:218], v[217:218], v[219:220], v[221:222]
	v_div_fixup_f64 v[217:218], v[217:218], v[215:216], v[213:214]
	v_fma_f64 v[213:214], v[213:214], v[217:218], v[215:216]
	v_div_scale_f64 v[215:216], null, v[213:214], v[213:214], 1.0
	v_rcp_f64_e32 v[219:220], v[215:216]
	v_fma_f64 v[221:222], -v[215:216], v[219:220], 1.0
	v_fma_f64 v[219:220], v[219:220], v[221:222], v[219:220]
	v_fma_f64 v[221:222], -v[215:216], v[219:220], 1.0
	v_fma_f64 v[219:220], v[219:220], v[221:222], v[219:220]
	v_div_scale_f64 v[221:222], vcc_lo, 1.0, v[213:214], 1.0
	v_mul_f64 v[223:224], v[221:222], v[219:220]
	v_fma_f64 v[215:216], -v[215:216], v[223:224], v[221:222]
	v_div_fmas_f64 v[215:216], v[215:216], v[219:220], v[223:224]
	v_div_fixup_f64 v[219:220], v[215:216], v[213:214], 1.0
                                        ; implicit-def: $vgpr213_vgpr214
	v_mul_f64 v[217:218], v[217:218], v[219:220]
	v_xor_b32_e32 v220, 0x80000000, v220
.LBB113_401:
	s_andn2_saveexec_b32 s1, s1
	s_cbranch_execz .LBB113_403
; %bb.402:
	v_div_scale_f64 v[217:218], null, v[213:214], v[213:214], v[215:216]
	v_div_scale_f64 v[223:224], vcc_lo, v[215:216], v[213:214], v[215:216]
	v_rcp_f64_e32 v[219:220], v[217:218]
	v_fma_f64 v[221:222], -v[217:218], v[219:220], 1.0
	v_fma_f64 v[219:220], v[219:220], v[221:222], v[219:220]
	v_fma_f64 v[221:222], -v[217:218], v[219:220], 1.0
	v_fma_f64 v[219:220], v[219:220], v[221:222], v[219:220]
	v_mul_f64 v[221:222], v[223:224], v[219:220]
	v_fma_f64 v[217:218], -v[217:218], v[221:222], v[223:224]
	v_div_fmas_f64 v[217:218], v[217:218], v[219:220], v[221:222]
	v_div_fixup_f64 v[219:220], v[217:218], v[213:214], v[215:216]
	v_fma_f64 v[213:214], v[215:216], v[219:220], v[213:214]
	v_div_scale_f64 v[215:216], null, v[213:214], v[213:214], 1.0
	v_rcp_f64_e32 v[217:218], v[215:216]
	v_fma_f64 v[221:222], -v[215:216], v[217:218], 1.0
	v_fma_f64 v[217:218], v[217:218], v[221:222], v[217:218]
	v_fma_f64 v[221:222], -v[215:216], v[217:218], 1.0
	v_fma_f64 v[217:218], v[217:218], v[221:222], v[217:218]
	v_div_scale_f64 v[221:222], vcc_lo, 1.0, v[213:214], 1.0
	v_mul_f64 v[223:224], v[221:222], v[217:218]
	v_fma_f64 v[215:216], -v[215:216], v[223:224], v[221:222]
	v_div_fmas_f64 v[215:216], v[215:216], v[217:218], v[223:224]
	v_div_fixup_f64 v[217:218], v[215:216], v[213:214], 1.0
	v_mul_f64 v[219:220], v[219:220], -v[217:218]
.LBB113_403:
	s_or_b32 exec_lo, exec_lo, s1
	ds_write2_b64 v255, v[217:218], v[219:220] offset1:1
.LBB113_404:
	s_or_b32 exec_lo, exec_lo, s2
	s_waitcnt lgkmcnt(0)
	s_barrier
	buffer_gl0_inv
	ds_read2_b64 v[193:196], v255 offset1:1
	s_mov_b32 s1, exec_lo
	s_waitcnt lgkmcnt(0)
	buffer_store_dword v193, off, s[16:19], 0 offset:1168 ; 4-byte Folded Spill
	buffer_store_dword v194, off, s[16:19], 0 offset:1172 ; 4-byte Folded Spill
	;; [unrolled: 1-line block ×4, first 2 shown]
	v_cmpx_lt_u32_e32 44, v0
	s_cbranch_execz .LBB113_406
; %bb.405:
	s_clause 0x3
	buffer_load_dword v193, off, s[16:19], 0 offset:1168
	buffer_load_dword v194, off, s[16:19], 0 offset:1172
	buffer_load_dword v195, off, s[16:19], 0 offset:1176
	buffer_load_dword v196, off, s[16:19], 0 offset:1180
	ds_read2_b64 v[215:218], v253 offset0:90 offset1:91
	s_waitcnt vmcnt(2)
	v_mul_f64 v[213:214], v[193:194], v[51:52]
	s_waitcnt vmcnt(0)
	v_mul_f64 v[51:52], v[195:196], v[51:52]
	v_fma_f64 v[213:214], v[195:196], v[49:50], v[213:214]
	v_fma_f64 v[49:50], v[193:194], v[49:50], -v[51:52]
	s_waitcnt lgkmcnt(0)
	v_mul_f64 v[51:52], v[217:218], v[213:214]
	v_fma_f64 v[51:52], v[215:216], v[49:50], -v[51:52]
	v_mul_f64 v[215:216], v[215:216], v[213:214]
	v_add_f64 v[45:46], v[45:46], -v[51:52]
	v_fma_f64 v[215:216], v[217:218], v[49:50], v[215:216]
	v_add_f64 v[47:48], v[47:48], -v[215:216]
	ds_read2_b64 v[215:218], v253 offset0:92 offset1:93
	s_waitcnt lgkmcnt(0)
	v_mul_f64 v[51:52], v[217:218], v[213:214]
	v_fma_f64 v[51:52], v[215:216], v[49:50], -v[51:52]
	v_mul_f64 v[215:216], v[215:216], v[213:214]
	v_add_f64 v[41:42], v[41:42], -v[51:52]
	v_fma_f64 v[215:216], v[217:218], v[49:50], v[215:216]
	v_add_f64 v[43:44], v[43:44], -v[215:216]
	ds_read2_b64 v[215:218], v253 offset0:94 offset1:95
	;; [unrolled: 8-line block ×11, first 2 shown]
	s_waitcnt lgkmcnt(0)
	v_mul_f64 v[51:52], v[217:218], v[213:214]
	v_fma_f64 v[51:52], v[215:216], v[49:50], -v[51:52]
	v_mul_f64 v[215:216], v[215:216], v[213:214]
	v_add_f64 v[1:2], v[1:2], -v[51:52]
	v_fma_f64 v[215:216], v[217:218], v[49:50], v[215:216]
	v_mov_b32_e32 v51, v213
	v_mov_b32_e32 v52, v214
	v_add_f64 v[3:4], v[3:4], -v[215:216]
.LBB113_406:
	s_or_b32 exec_lo, exec_lo, s1
	s_mov_b32 s2, exec_lo
	s_waitcnt_vscnt null, 0x0
	s_barrier
	buffer_gl0_inv
	v_cmpx_eq_u32_e32 45, v0
	s_cbranch_execz .LBB113_413
; %bb.407:
	ds_write2_b64 v255, v[45:46], v[47:48] offset1:1
	ds_write2_b64 v253, v[41:42], v[43:44] offset0:92 offset1:93
	ds_write2_b64 v253, v[37:38], v[39:40] offset0:94 offset1:95
	;; [unrolled: 1-line block ×11, first 2 shown]
	ds_read2_b64 v[213:216], v255 offset1:1
	s_waitcnt lgkmcnt(0)
	v_cmp_neq_f64_e32 vcc_lo, 0, v[213:214]
	v_cmp_neq_f64_e64 s1, 0, v[215:216]
	s_or_b32 s1, vcc_lo, s1
	s_and_b32 exec_lo, exec_lo, s1
	s_cbranch_execz .LBB113_413
; %bb.408:
	v_cmp_ngt_f64_e64 s1, |v[213:214]|, |v[215:216]|
                                        ; implicit-def: $vgpr217_vgpr218
	s_and_saveexec_b32 s3, s1
	s_xor_b32 s1, exec_lo, s3
                                        ; implicit-def: $vgpr219_vgpr220
	s_cbranch_execz .LBB113_410
; %bb.409:
	v_div_scale_f64 v[217:218], null, v[215:216], v[215:216], v[213:214]
	v_div_scale_f64 v[223:224], vcc_lo, v[213:214], v[215:216], v[213:214]
	v_rcp_f64_e32 v[219:220], v[217:218]
	v_fma_f64 v[221:222], -v[217:218], v[219:220], 1.0
	v_fma_f64 v[219:220], v[219:220], v[221:222], v[219:220]
	v_fma_f64 v[221:222], -v[217:218], v[219:220], 1.0
	v_fma_f64 v[219:220], v[219:220], v[221:222], v[219:220]
	v_mul_f64 v[221:222], v[223:224], v[219:220]
	v_fma_f64 v[217:218], -v[217:218], v[221:222], v[223:224]
	v_div_fmas_f64 v[217:218], v[217:218], v[219:220], v[221:222]
	v_div_fixup_f64 v[217:218], v[217:218], v[215:216], v[213:214]
	v_fma_f64 v[213:214], v[213:214], v[217:218], v[215:216]
	v_div_scale_f64 v[215:216], null, v[213:214], v[213:214], 1.0
	v_rcp_f64_e32 v[219:220], v[215:216]
	v_fma_f64 v[221:222], -v[215:216], v[219:220], 1.0
	v_fma_f64 v[219:220], v[219:220], v[221:222], v[219:220]
	v_fma_f64 v[221:222], -v[215:216], v[219:220], 1.0
	v_fma_f64 v[219:220], v[219:220], v[221:222], v[219:220]
	v_div_scale_f64 v[221:222], vcc_lo, 1.0, v[213:214], 1.0
	v_mul_f64 v[223:224], v[221:222], v[219:220]
	v_fma_f64 v[215:216], -v[215:216], v[223:224], v[221:222]
	v_div_fmas_f64 v[215:216], v[215:216], v[219:220], v[223:224]
	v_div_fixup_f64 v[219:220], v[215:216], v[213:214], 1.0
                                        ; implicit-def: $vgpr213_vgpr214
	v_mul_f64 v[217:218], v[217:218], v[219:220]
	v_xor_b32_e32 v220, 0x80000000, v220
.LBB113_410:
	s_andn2_saveexec_b32 s1, s1
	s_cbranch_execz .LBB113_412
; %bb.411:
	v_div_scale_f64 v[217:218], null, v[213:214], v[213:214], v[215:216]
	v_div_scale_f64 v[223:224], vcc_lo, v[215:216], v[213:214], v[215:216]
	v_rcp_f64_e32 v[219:220], v[217:218]
	v_fma_f64 v[221:222], -v[217:218], v[219:220], 1.0
	v_fma_f64 v[219:220], v[219:220], v[221:222], v[219:220]
	v_fma_f64 v[221:222], -v[217:218], v[219:220], 1.0
	v_fma_f64 v[219:220], v[219:220], v[221:222], v[219:220]
	v_mul_f64 v[221:222], v[223:224], v[219:220]
	v_fma_f64 v[217:218], -v[217:218], v[221:222], v[223:224]
	v_div_fmas_f64 v[217:218], v[217:218], v[219:220], v[221:222]
	v_div_fixup_f64 v[219:220], v[217:218], v[213:214], v[215:216]
	v_fma_f64 v[213:214], v[215:216], v[219:220], v[213:214]
	v_div_scale_f64 v[215:216], null, v[213:214], v[213:214], 1.0
	v_rcp_f64_e32 v[217:218], v[215:216]
	v_fma_f64 v[221:222], -v[215:216], v[217:218], 1.0
	v_fma_f64 v[217:218], v[217:218], v[221:222], v[217:218]
	v_fma_f64 v[221:222], -v[215:216], v[217:218], 1.0
	v_fma_f64 v[217:218], v[217:218], v[221:222], v[217:218]
	v_div_scale_f64 v[221:222], vcc_lo, 1.0, v[213:214], 1.0
	v_mul_f64 v[223:224], v[221:222], v[217:218]
	v_fma_f64 v[215:216], -v[215:216], v[223:224], v[221:222]
	v_div_fmas_f64 v[215:216], v[215:216], v[217:218], v[223:224]
	v_div_fixup_f64 v[217:218], v[215:216], v[213:214], 1.0
	v_mul_f64 v[219:220], v[219:220], -v[217:218]
.LBB113_412:
	s_or_b32 exec_lo, exec_lo, s1
	ds_write2_b64 v255, v[217:218], v[219:220] offset1:1
.LBB113_413:
	s_or_b32 exec_lo, exec_lo, s2
	s_waitcnt lgkmcnt(0)
	s_barrier
	buffer_gl0_inv
	ds_read2_b64 v[193:196], v255 offset1:1
	s_mov_b32 s1, exec_lo
	s_waitcnt lgkmcnt(0)
	buffer_store_dword v193, off, s[16:19], 0 offset:1184 ; 4-byte Folded Spill
	buffer_store_dword v194, off, s[16:19], 0 offset:1188 ; 4-byte Folded Spill
	;; [unrolled: 1-line block ×4, first 2 shown]
	v_cmpx_lt_u32_e32 45, v0
	s_cbranch_execz .LBB113_415
; %bb.414:
	s_clause 0x3
	buffer_load_dword v193, off, s[16:19], 0 offset:1184
	buffer_load_dword v194, off, s[16:19], 0 offset:1188
	;; [unrolled: 1-line block ×4, first 2 shown]
	ds_read2_b64 v[215:218], v253 offset0:92 offset1:93
	s_waitcnt vmcnt(2)
	v_mul_f64 v[213:214], v[193:194], v[47:48]
	s_waitcnt vmcnt(0)
	v_mul_f64 v[47:48], v[195:196], v[47:48]
	v_fma_f64 v[213:214], v[195:196], v[45:46], v[213:214]
	v_fma_f64 v[45:46], v[193:194], v[45:46], -v[47:48]
	s_waitcnt lgkmcnt(0)
	v_mul_f64 v[47:48], v[217:218], v[213:214]
	v_fma_f64 v[47:48], v[215:216], v[45:46], -v[47:48]
	v_mul_f64 v[215:216], v[215:216], v[213:214]
	v_add_f64 v[41:42], v[41:42], -v[47:48]
	v_fma_f64 v[215:216], v[217:218], v[45:46], v[215:216]
	v_add_f64 v[43:44], v[43:44], -v[215:216]
	ds_read2_b64 v[215:218], v253 offset0:94 offset1:95
	s_waitcnt lgkmcnt(0)
	v_mul_f64 v[47:48], v[217:218], v[213:214]
	v_fma_f64 v[47:48], v[215:216], v[45:46], -v[47:48]
	v_mul_f64 v[215:216], v[215:216], v[213:214]
	v_add_f64 v[37:38], v[37:38], -v[47:48]
	v_fma_f64 v[215:216], v[217:218], v[45:46], v[215:216]
	v_add_f64 v[39:40], v[39:40], -v[215:216]
	ds_read2_b64 v[215:218], v253 offset0:96 offset1:97
	;; [unrolled: 8-line block ×10, first 2 shown]
	s_waitcnt lgkmcnt(0)
	v_mul_f64 v[47:48], v[217:218], v[213:214]
	v_fma_f64 v[47:48], v[215:216], v[45:46], -v[47:48]
	v_mul_f64 v[215:216], v[215:216], v[213:214]
	v_add_f64 v[1:2], v[1:2], -v[47:48]
	v_fma_f64 v[215:216], v[217:218], v[45:46], v[215:216]
	v_mov_b32_e32 v47, v213
	v_mov_b32_e32 v48, v214
	v_add_f64 v[3:4], v[3:4], -v[215:216]
.LBB113_415:
	s_or_b32 exec_lo, exec_lo, s1
	s_mov_b32 s2, exec_lo
	s_waitcnt_vscnt null, 0x0
	s_barrier
	buffer_gl0_inv
	v_cmpx_eq_u32_e32 46, v0
	s_cbranch_execz .LBB113_422
; %bb.416:
	ds_write2_b64 v255, v[41:42], v[43:44] offset1:1
	ds_write2_b64 v253, v[37:38], v[39:40] offset0:94 offset1:95
	ds_write2_b64 v253, v[33:34], v[35:36] offset0:96 offset1:97
	;; [unrolled: 1-line block ×10, first 2 shown]
	ds_read2_b64 v[213:216], v255 offset1:1
	s_waitcnt lgkmcnt(0)
	v_cmp_neq_f64_e32 vcc_lo, 0, v[213:214]
	v_cmp_neq_f64_e64 s1, 0, v[215:216]
	s_or_b32 s1, vcc_lo, s1
	s_and_b32 exec_lo, exec_lo, s1
	s_cbranch_execz .LBB113_422
; %bb.417:
	v_cmp_ngt_f64_e64 s1, |v[213:214]|, |v[215:216]|
                                        ; implicit-def: $vgpr217_vgpr218
	s_and_saveexec_b32 s3, s1
	s_xor_b32 s1, exec_lo, s3
                                        ; implicit-def: $vgpr219_vgpr220
	s_cbranch_execz .LBB113_419
; %bb.418:
	v_div_scale_f64 v[217:218], null, v[215:216], v[215:216], v[213:214]
	v_div_scale_f64 v[223:224], vcc_lo, v[213:214], v[215:216], v[213:214]
	v_rcp_f64_e32 v[219:220], v[217:218]
	v_fma_f64 v[221:222], -v[217:218], v[219:220], 1.0
	v_fma_f64 v[219:220], v[219:220], v[221:222], v[219:220]
	v_fma_f64 v[221:222], -v[217:218], v[219:220], 1.0
	v_fma_f64 v[219:220], v[219:220], v[221:222], v[219:220]
	v_mul_f64 v[221:222], v[223:224], v[219:220]
	v_fma_f64 v[217:218], -v[217:218], v[221:222], v[223:224]
	v_div_fmas_f64 v[217:218], v[217:218], v[219:220], v[221:222]
	v_div_fixup_f64 v[217:218], v[217:218], v[215:216], v[213:214]
	v_fma_f64 v[213:214], v[213:214], v[217:218], v[215:216]
	v_div_scale_f64 v[215:216], null, v[213:214], v[213:214], 1.0
	v_rcp_f64_e32 v[219:220], v[215:216]
	v_fma_f64 v[221:222], -v[215:216], v[219:220], 1.0
	v_fma_f64 v[219:220], v[219:220], v[221:222], v[219:220]
	v_fma_f64 v[221:222], -v[215:216], v[219:220], 1.0
	v_fma_f64 v[219:220], v[219:220], v[221:222], v[219:220]
	v_div_scale_f64 v[221:222], vcc_lo, 1.0, v[213:214], 1.0
	v_mul_f64 v[223:224], v[221:222], v[219:220]
	v_fma_f64 v[215:216], -v[215:216], v[223:224], v[221:222]
	v_div_fmas_f64 v[215:216], v[215:216], v[219:220], v[223:224]
	v_div_fixup_f64 v[219:220], v[215:216], v[213:214], 1.0
                                        ; implicit-def: $vgpr213_vgpr214
	v_mul_f64 v[217:218], v[217:218], v[219:220]
	v_xor_b32_e32 v220, 0x80000000, v220
.LBB113_419:
	s_andn2_saveexec_b32 s1, s1
	s_cbranch_execz .LBB113_421
; %bb.420:
	v_div_scale_f64 v[217:218], null, v[213:214], v[213:214], v[215:216]
	v_div_scale_f64 v[223:224], vcc_lo, v[215:216], v[213:214], v[215:216]
	v_rcp_f64_e32 v[219:220], v[217:218]
	v_fma_f64 v[221:222], -v[217:218], v[219:220], 1.0
	v_fma_f64 v[219:220], v[219:220], v[221:222], v[219:220]
	v_fma_f64 v[221:222], -v[217:218], v[219:220], 1.0
	v_fma_f64 v[219:220], v[219:220], v[221:222], v[219:220]
	v_mul_f64 v[221:222], v[223:224], v[219:220]
	v_fma_f64 v[217:218], -v[217:218], v[221:222], v[223:224]
	v_div_fmas_f64 v[217:218], v[217:218], v[219:220], v[221:222]
	v_div_fixup_f64 v[219:220], v[217:218], v[213:214], v[215:216]
	v_fma_f64 v[213:214], v[215:216], v[219:220], v[213:214]
	v_div_scale_f64 v[215:216], null, v[213:214], v[213:214], 1.0
	v_rcp_f64_e32 v[217:218], v[215:216]
	v_fma_f64 v[221:222], -v[215:216], v[217:218], 1.0
	v_fma_f64 v[217:218], v[217:218], v[221:222], v[217:218]
	v_fma_f64 v[221:222], -v[215:216], v[217:218], 1.0
	v_fma_f64 v[217:218], v[217:218], v[221:222], v[217:218]
	v_div_scale_f64 v[221:222], vcc_lo, 1.0, v[213:214], 1.0
	v_mul_f64 v[223:224], v[221:222], v[217:218]
	v_fma_f64 v[215:216], -v[215:216], v[223:224], v[221:222]
	v_div_fmas_f64 v[215:216], v[215:216], v[217:218], v[223:224]
	v_div_fixup_f64 v[217:218], v[215:216], v[213:214], 1.0
	v_mul_f64 v[219:220], v[219:220], -v[217:218]
.LBB113_421:
	s_or_b32 exec_lo, exec_lo, s1
	ds_write2_b64 v255, v[217:218], v[219:220] offset1:1
.LBB113_422:
	s_or_b32 exec_lo, exec_lo, s2
	s_waitcnt lgkmcnt(0)
	s_barrier
	buffer_gl0_inv
	ds_read2_b64 v[193:196], v255 offset1:1
	s_mov_b32 s1, exec_lo
	s_waitcnt lgkmcnt(0)
	buffer_store_dword v193, off, s[16:19], 0 offset:1200 ; 4-byte Folded Spill
	buffer_store_dword v194, off, s[16:19], 0 offset:1204 ; 4-byte Folded Spill
	;; [unrolled: 1-line block ×4, first 2 shown]
	v_cmpx_lt_u32_e32 46, v0
	s_cbranch_execz .LBB113_424
; %bb.423:
	s_clause 0x3
	buffer_load_dword v193, off, s[16:19], 0 offset:1200
	buffer_load_dword v194, off, s[16:19], 0 offset:1204
	;; [unrolled: 1-line block ×4, first 2 shown]
	s_waitcnt vmcnt(2)
	v_mul_f64 v[213:214], v[193:194], v[43:44]
	s_waitcnt vmcnt(0)
	v_mul_f64 v[43:44], v[195:196], v[43:44]
	v_fma_f64 v[217:218], v[195:196], v[41:42], v[213:214]
	ds_read2_b64 v[213:216], v253 offset0:94 offset1:95
	v_fma_f64 v[41:42], v[193:194], v[41:42], -v[43:44]
	s_waitcnt lgkmcnt(0)
	v_mul_f64 v[43:44], v[215:216], v[217:218]
	v_fma_f64 v[43:44], v[213:214], v[41:42], -v[43:44]
	v_mul_f64 v[213:214], v[213:214], v[217:218]
	v_add_f64 v[37:38], v[37:38], -v[43:44]
	v_fma_f64 v[213:214], v[215:216], v[41:42], v[213:214]
	v_add_f64 v[39:40], v[39:40], -v[213:214]
	ds_read2_b64 v[213:216], v253 offset0:96 offset1:97
	s_waitcnt lgkmcnt(0)
	v_mul_f64 v[43:44], v[215:216], v[217:218]
	v_fma_f64 v[43:44], v[213:214], v[41:42], -v[43:44]
	v_mul_f64 v[213:214], v[213:214], v[217:218]
	v_add_f64 v[33:34], v[33:34], -v[43:44]
	v_fma_f64 v[213:214], v[215:216], v[41:42], v[213:214]
	v_add_f64 v[35:36], v[35:36], -v[213:214]
	ds_read2_b64 v[213:216], v253 offset0:98 offset1:99
	;; [unrolled: 8-line block ×9, first 2 shown]
	s_waitcnt lgkmcnt(0)
	v_mul_f64 v[43:44], v[215:216], v[217:218]
	v_fma_f64 v[43:44], v[213:214], v[41:42], -v[43:44]
	v_mul_f64 v[213:214], v[213:214], v[217:218]
	v_add_f64 v[1:2], v[1:2], -v[43:44]
	v_fma_f64 v[213:214], v[215:216], v[41:42], v[213:214]
	v_mov_b32_e32 v43, v217
	v_mov_b32_e32 v44, v218
	v_add_f64 v[3:4], v[3:4], -v[213:214]
.LBB113_424:
	s_or_b32 exec_lo, exec_lo, s1
	s_mov_b32 s2, exec_lo
	s_waitcnt_vscnt null, 0x0
	s_barrier
	buffer_gl0_inv
	v_cmpx_eq_u32_e32 47, v0
	s_cbranch_execz .LBB113_431
; %bb.425:
	ds_write2_b64 v255, v[37:38], v[39:40] offset1:1
	ds_write2_b64 v253, v[33:34], v[35:36] offset0:96 offset1:97
	ds_write2_b64 v253, v[29:30], v[31:32] offset0:98 offset1:99
	;; [unrolled: 1-line block ×9, first 2 shown]
	ds_read2_b64 v[213:216], v255 offset1:1
	s_waitcnt lgkmcnt(0)
	v_cmp_neq_f64_e32 vcc_lo, 0, v[213:214]
	v_cmp_neq_f64_e64 s1, 0, v[215:216]
	s_or_b32 s1, vcc_lo, s1
	s_and_b32 exec_lo, exec_lo, s1
	s_cbranch_execz .LBB113_431
; %bb.426:
	v_cmp_ngt_f64_e64 s1, |v[213:214]|, |v[215:216]|
                                        ; implicit-def: $vgpr217_vgpr218
	s_and_saveexec_b32 s3, s1
	s_xor_b32 s1, exec_lo, s3
                                        ; implicit-def: $vgpr219_vgpr220
	s_cbranch_execz .LBB113_428
; %bb.427:
	v_div_scale_f64 v[217:218], null, v[215:216], v[215:216], v[213:214]
	v_div_scale_f64 v[223:224], vcc_lo, v[213:214], v[215:216], v[213:214]
	v_rcp_f64_e32 v[219:220], v[217:218]
	v_fma_f64 v[221:222], -v[217:218], v[219:220], 1.0
	v_fma_f64 v[219:220], v[219:220], v[221:222], v[219:220]
	v_fma_f64 v[221:222], -v[217:218], v[219:220], 1.0
	v_fma_f64 v[219:220], v[219:220], v[221:222], v[219:220]
	v_mul_f64 v[221:222], v[223:224], v[219:220]
	v_fma_f64 v[217:218], -v[217:218], v[221:222], v[223:224]
	v_div_fmas_f64 v[217:218], v[217:218], v[219:220], v[221:222]
	v_div_fixup_f64 v[217:218], v[217:218], v[215:216], v[213:214]
	v_fma_f64 v[213:214], v[213:214], v[217:218], v[215:216]
	v_div_scale_f64 v[215:216], null, v[213:214], v[213:214], 1.0
	v_rcp_f64_e32 v[219:220], v[215:216]
	v_fma_f64 v[221:222], -v[215:216], v[219:220], 1.0
	v_fma_f64 v[219:220], v[219:220], v[221:222], v[219:220]
	v_fma_f64 v[221:222], -v[215:216], v[219:220], 1.0
	v_fma_f64 v[219:220], v[219:220], v[221:222], v[219:220]
	v_div_scale_f64 v[221:222], vcc_lo, 1.0, v[213:214], 1.0
	v_mul_f64 v[223:224], v[221:222], v[219:220]
	v_fma_f64 v[215:216], -v[215:216], v[223:224], v[221:222]
	v_div_fmas_f64 v[215:216], v[215:216], v[219:220], v[223:224]
	v_div_fixup_f64 v[219:220], v[215:216], v[213:214], 1.0
                                        ; implicit-def: $vgpr213_vgpr214
	v_mul_f64 v[217:218], v[217:218], v[219:220]
	v_xor_b32_e32 v220, 0x80000000, v220
.LBB113_428:
	s_andn2_saveexec_b32 s1, s1
	s_cbranch_execz .LBB113_430
; %bb.429:
	v_div_scale_f64 v[217:218], null, v[213:214], v[213:214], v[215:216]
	v_div_scale_f64 v[223:224], vcc_lo, v[215:216], v[213:214], v[215:216]
	v_rcp_f64_e32 v[219:220], v[217:218]
	v_fma_f64 v[221:222], -v[217:218], v[219:220], 1.0
	v_fma_f64 v[219:220], v[219:220], v[221:222], v[219:220]
	v_fma_f64 v[221:222], -v[217:218], v[219:220], 1.0
	v_fma_f64 v[219:220], v[219:220], v[221:222], v[219:220]
	v_mul_f64 v[221:222], v[223:224], v[219:220]
	v_fma_f64 v[217:218], -v[217:218], v[221:222], v[223:224]
	v_div_fmas_f64 v[217:218], v[217:218], v[219:220], v[221:222]
	v_div_fixup_f64 v[219:220], v[217:218], v[213:214], v[215:216]
	v_fma_f64 v[213:214], v[215:216], v[219:220], v[213:214]
	v_div_scale_f64 v[215:216], null, v[213:214], v[213:214], 1.0
	v_rcp_f64_e32 v[217:218], v[215:216]
	v_fma_f64 v[221:222], -v[215:216], v[217:218], 1.0
	v_fma_f64 v[217:218], v[217:218], v[221:222], v[217:218]
	v_fma_f64 v[221:222], -v[215:216], v[217:218], 1.0
	v_fma_f64 v[217:218], v[217:218], v[221:222], v[217:218]
	v_div_scale_f64 v[221:222], vcc_lo, 1.0, v[213:214], 1.0
	v_mul_f64 v[223:224], v[221:222], v[217:218]
	v_fma_f64 v[215:216], -v[215:216], v[223:224], v[221:222]
	v_div_fmas_f64 v[215:216], v[215:216], v[217:218], v[223:224]
	v_div_fixup_f64 v[217:218], v[215:216], v[213:214], 1.0
	v_mul_f64 v[219:220], v[219:220], -v[217:218]
.LBB113_430:
	s_or_b32 exec_lo, exec_lo, s1
	ds_write2_b64 v255, v[217:218], v[219:220] offset1:1
.LBB113_431:
	s_or_b32 exec_lo, exec_lo, s2
	s_waitcnt lgkmcnt(0)
	s_barrier
	buffer_gl0_inv
	ds_read2_b64 v[193:196], v255 offset1:1
	s_mov_b32 s1, exec_lo
	s_waitcnt lgkmcnt(0)
	buffer_store_dword v193, off, s[16:19], 0 offset:1216 ; 4-byte Folded Spill
	buffer_store_dword v194, off, s[16:19], 0 offset:1220 ; 4-byte Folded Spill
	;; [unrolled: 1-line block ×4, first 2 shown]
	v_cmpx_lt_u32_e32 47, v0
	s_cbranch_execz .LBB113_433
; %bb.432:
	s_clause 0x3
	buffer_load_dword v193, off, s[16:19], 0 offset:1216
	buffer_load_dword v194, off, s[16:19], 0 offset:1220
	buffer_load_dword v195, off, s[16:19], 0 offset:1224
	buffer_load_dword v196, off, s[16:19], 0 offset:1228
	s_waitcnt vmcnt(2)
	v_mul_f64 v[213:214], v[193:194], v[39:40]
	s_waitcnt vmcnt(0)
	v_mul_f64 v[39:40], v[195:196], v[39:40]
	v_fma_f64 v[217:218], v[195:196], v[37:38], v[213:214]
	ds_read2_b64 v[213:216], v253 offset0:96 offset1:97
	v_fma_f64 v[37:38], v[193:194], v[37:38], -v[39:40]
	s_waitcnt lgkmcnt(0)
	v_mul_f64 v[39:40], v[215:216], v[217:218]
	v_fma_f64 v[39:40], v[213:214], v[37:38], -v[39:40]
	v_mul_f64 v[213:214], v[213:214], v[217:218]
	v_add_f64 v[33:34], v[33:34], -v[39:40]
	v_fma_f64 v[213:214], v[215:216], v[37:38], v[213:214]
	v_add_f64 v[35:36], v[35:36], -v[213:214]
	ds_read2_b64 v[213:216], v253 offset0:98 offset1:99
	s_waitcnt lgkmcnt(0)
	v_mul_f64 v[39:40], v[215:216], v[217:218]
	v_fma_f64 v[39:40], v[213:214], v[37:38], -v[39:40]
	v_mul_f64 v[213:214], v[213:214], v[217:218]
	v_add_f64 v[29:30], v[29:30], -v[39:40]
	v_fma_f64 v[213:214], v[215:216], v[37:38], v[213:214]
	v_add_f64 v[31:32], v[31:32], -v[213:214]
	ds_read2_b64 v[213:216], v253 offset0:100 offset1:101
	s_waitcnt lgkmcnt(0)
	v_mul_f64 v[39:40], v[215:216], v[217:218]
	v_fma_f64 v[39:40], v[213:214], v[37:38], -v[39:40]
	v_mul_f64 v[213:214], v[213:214], v[217:218]
	v_add_f64 v[25:26], v[25:26], -v[39:40]
	v_fma_f64 v[213:214], v[215:216], v[37:38], v[213:214]
	v_add_f64 v[27:28], v[27:28], -v[213:214]
	ds_read2_b64 v[213:216], v253 offset0:102 offset1:103
	s_waitcnt lgkmcnt(0)
	v_mul_f64 v[39:40], v[215:216], v[217:218]
	v_fma_f64 v[39:40], v[213:214], v[37:38], -v[39:40]
	v_mul_f64 v[213:214], v[213:214], v[217:218]
	v_add_f64 v[21:22], v[21:22], -v[39:40]
	v_fma_f64 v[213:214], v[215:216], v[37:38], v[213:214]
	v_add_f64 v[23:24], v[23:24], -v[213:214]
	ds_read2_b64 v[213:216], v253 offset0:104 offset1:105
	s_waitcnt lgkmcnt(0)
	v_mul_f64 v[39:40], v[215:216], v[217:218]
	v_fma_f64 v[39:40], v[213:214], v[37:38], -v[39:40]
	v_mul_f64 v[213:214], v[213:214], v[217:218]
	v_add_f64 v[17:18], v[17:18], -v[39:40]
	v_fma_f64 v[213:214], v[215:216], v[37:38], v[213:214]
	v_add_f64 v[19:20], v[19:20], -v[213:214]
	ds_read2_b64 v[213:216], v253 offset0:106 offset1:107
	s_waitcnt lgkmcnt(0)
	v_mul_f64 v[39:40], v[215:216], v[217:218]
	v_fma_f64 v[39:40], v[213:214], v[37:38], -v[39:40]
	v_mul_f64 v[213:214], v[213:214], v[217:218]
	v_add_f64 v[13:14], v[13:14], -v[39:40]
	v_fma_f64 v[213:214], v[215:216], v[37:38], v[213:214]
	v_add_f64 v[15:16], v[15:16], -v[213:214]
	ds_read2_b64 v[213:216], v253 offset0:108 offset1:109
	s_waitcnt lgkmcnt(0)
	v_mul_f64 v[39:40], v[215:216], v[217:218]
	v_fma_f64 v[39:40], v[213:214], v[37:38], -v[39:40]
	v_mul_f64 v[213:214], v[213:214], v[217:218]
	v_add_f64 v[9:10], v[9:10], -v[39:40]
	v_fma_f64 v[213:214], v[215:216], v[37:38], v[213:214]
	v_add_f64 v[11:12], v[11:12], -v[213:214]
	ds_read2_b64 v[213:216], v253 offset0:110 offset1:111
	s_waitcnt lgkmcnt(0)
	v_mul_f64 v[39:40], v[215:216], v[217:218]
	v_fma_f64 v[39:40], v[213:214], v[37:38], -v[39:40]
	v_mul_f64 v[213:214], v[213:214], v[217:218]
	v_add_f64 v[5:6], v[5:6], -v[39:40]
	v_fma_f64 v[213:214], v[215:216], v[37:38], v[213:214]
	v_add_f64 v[7:8], v[7:8], -v[213:214]
	ds_read2_b64 v[213:216], v253 offset0:112 offset1:113
	s_waitcnt lgkmcnt(0)
	v_mul_f64 v[39:40], v[215:216], v[217:218]
	v_fma_f64 v[39:40], v[213:214], v[37:38], -v[39:40]
	v_mul_f64 v[213:214], v[213:214], v[217:218]
	v_add_f64 v[1:2], v[1:2], -v[39:40]
	v_fma_f64 v[213:214], v[215:216], v[37:38], v[213:214]
	v_mov_b32_e32 v39, v217
	v_mov_b32_e32 v40, v218
	v_add_f64 v[3:4], v[3:4], -v[213:214]
.LBB113_433:
	s_or_b32 exec_lo, exec_lo, s1
	s_mov_b32 s2, exec_lo
	s_waitcnt_vscnt null, 0x0
	s_barrier
	buffer_gl0_inv
	v_cmpx_eq_u32_e32 48, v0
	s_cbranch_execz .LBB113_440
; %bb.434:
	ds_write2_b64 v255, v[33:34], v[35:36] offset1:1
	ds_write2_b64 v253, v[29:30], v[31:32] offset0:98 offset1:99
	ds_write2_b64 v253, v[25:26], v[27:28] offset0:100 offset1:101
	;; [unrolled: 1-line block ×8, first 2 shown]
	ds_read2_b64 v[213:216], v255 offset1:1
	s_waitcnt lgkmcnt(0)
	v_cmp_neq_f64_e32 vcc_lo, 0, v[213:214]
	v_cmp_neq_f64_e64 s1, 0, v[215:216]
	s_or_b32 s1, vcc_lo, s1
	s_and_b32 exec_lo, exec_lo, s1
	s_cbranch_execz .LBB113_440
; %bb.435:
	v_cmp_ngt_f64_e64 s1, |v[213:214]|, |v[215:216]|
                                        ; implicit-def: $vgpr217_vgpr218
	s_and_saveexec_b32 s3, s1
	s_xor_b32 s1, exec_lo, s3
                                        ; implicit-def: $vgpr219_vgpr220
	s_cbranch_execz .LBB113_437
; %bb.436:
	v_div_scale_f64 v[217:218], null, v[215:216], v[215:216], v[213:214]
	v_div_scale_f64 v[223:224], vcc_lo, v[213:214], v[215:216], v[213:214]
	v_rcp_f64_e32 v[219:220], v[217:218]
	v_fma_f64 v[221:222], -v[217:218], v[219:220], 1.0
	v_fma_f64 v[219:220], v[219:220], v[221:222], v[219:220]
	v_fma_f64 v[221:222], -v[217:218], v[219:220], 1.0
	v_fma_f64 v[219:220], v[219:220], v[221:222], v[219:220]
	v_mul_f64 v[221:222], v[223:224], v[219:220]
	v_fma_f64 v[217:218], -v[217:218], v[221:222], v[223:224]
	v_div_fmas_f64 v[217:218], v[217:218], v[219:220], v[221:222]
	v_div_fixup_f64 v[217:218], v[217:218], v[215:216], v[213:214]
	v_fma_f64 v[213:214], v[213:214], v[217:218], v[215:216]
	v_div_scale_f64 v[215:216], null, v[213:214], v[213:214], 1.0
	v_rcp_f64_e32 v[219:220], v[215:216]
	v_fma_f64 v[221:222], -v[215:216], v[219:220], 1.0
	v_fma_f64 v[219:220], v[219:220], v[221:222], v[219:220]
	v_fma_f64 v[221:222], -v[215:216], v[219:220], 1.0
	v_fma_f64 v[219:220], v[219:220], v[221:222], v[219:220]
	v_div_scale_f64 v[221:222], vcc_lo, 1.0, v[213:214], 1.0
	v_mul_f64 v[223:224], v[221:222], v[219:220]
	v_fma_f64 v[215:216], -v[215:216], v[223:224], v[221:222]
	v_div_fmas_f64 v[215:216], v[215:216], v[219:220], v[223:224]
	v_div_fixup_f64 v[219:220], v[215:216], v[213:214], 1.0
                                        ; implicit-def: $vgpr213_vgpr214
	v_mul_f64 v[217:218], v[217:218], v[219:220]
	v_xor_b32_e32 v220, 0x80000000, v220
.LBB113_437:
	s_andn2_saveexec_b32 s1, s1
	s_cbranch_execz .LBB113_439
; %bb.438:
	v_div_scale_f64 v[217:218], null, v[213:214], v[213:214], v[215:216]
	v_div_scale_f64 v[223:224], vcc_lo, v[215:216], v[213:214], v[215:216]
	v_rcp_f64_e32 v[219:220], v[217:218]
	v_fma_f64 v[221:222], -v[217:218], v[219:220], 1.0
	v_fma_f64 v[219:220], v[219:220], v[221:222], v[219:220]
	v_fma_f64 v[221:222], -v[217:218], v[219:220], 1.0
	v_fma_f64 v[219:220], v[219:220], v[221:222], v[219:220]
	v_mul_f64 v[221:222], v[223:224], v[219:220]
	v_fma_f64 v[217:218], -v[217:218], v[221:222], v[223:224]
	v_div_fmas_f64 v[217:218], v[217:218], v[219:220], v[221:222]
	v_div_fixup_f64 v[219:220], v[217:218], v[213:214], v[215:216]
	v_fma_f64 v[213:214], v[215:216], v[219:220], v[213:214]
	v_div_scale_f64 v[215:216], null, v[213:214], v[213:214], 1.0
	v_rcp_f64_e32 v[217:218], v[215:216]
	v_fma_f64 v[221:222], -v[215:216], v[217:218], 1.0
	v_fma_f64 v[217:218], v[217:218], v[221:222], v[217:218]
	v_fma_f64 v[221:222], -v[215:216], v[217:218], 1.0
	v_fma_f64 v[217:218], v[217:218], v[221:222], v[217:218]
	v_div_scale_f64 v[221:222], vcc_lo, 1.0, v[213:214], 1.0
	v_mul_f64 v[223:224], v[221:222], v[217:218]
	v_fma_f64 v[215:216], -v[215:216], v[223:224], v[221:222]
	v_div_fmas_f64 v[215:216], v[215:216], v[217:218], v[223:224]
	v_div_fixup_f64 v[217:218], v[215:216], v[213:214], 1.0
	v_mul_f64 v[219:220], v[219:220], -v[217:218]
.LBB113_439:
	s_or_b32 exec_lo, exec_lo, s1
	ds_write2_b64 v255, v[217:218], v[219:220] offset1:1
.LBB113_440:
	s_or_b32 exec_lo, exec_lo, s2
	s_waitcnt lgkmcnt(0)
	s_barrier
	buffer_gl0_inv
	ds_read2_b64 v[193:196], v255 offset1:1
	s_mov_b32 s1, exec_lo
	s_waitcnt lgkmcnt(0)
	buffer_store_dword v193, off, s[16:19], 0 offset:1232 ; 4-byte Folded Spill
	buffer_store_dword v194, off, s[16:19], 0 offset:1236 ; 4-byte Folded Spill
	;; [unrolled: 1-line block ×4, first 2 shown]
	v_cmpx_lt_u32_e32 48, v0
	s_cbranch_execz .LBB113_442
; %bb.441:
	s_clause 0x3
	buffer_load_dword v193, off, s[16:19], 0 offset:1232
	buffer_load_dword v194, off, s[16:19], 0 offset:1236
	;; [unrolled: 1-line block ×4, first 2 shown]
	s_waitcnt vmcnt(2)
	v_mul_f64 v[213:214], v[193:194], v[35:36]
	s_waitcnt vmcnt(0)
	v_mul_f64 v[35:36], v[195:196], v[35:36]
	v_fma_f64 v[217:218], v[195:196], v[33:34], v[213:214]
	ds_read2_b64 v[213:216], v253 offset0:98 offset1:99
	v_fma_f64 v[33:34], v[193:194], v[33:34], -v[35:36]
	s_waitcnt lgkmcnt(0)
	v_mul_f64 v[35:36], v[215:216], v[217:218]
	v_fma_f64 v[35:36], v[213:214], v[33:34], -v[35:36]
	v_mul_f64 v[213:214], v[213:214], v[217:218]
	v_add_f64 v[29:30], v[29:30], -v[35:36]
	v_fma_f64 v[213:214], v[215:216], v[33:34], v[213:214]
	v_add_f64 v[31:32], v[31:32], -v[213:214]
	ds_read2_b64 v[213:216], v253 offset0:100 offset1:101
	s_waitcnt lgkmcnt(0)
	v_mul_f64 v[35:36], v[215:216], v[217:218]
	v_fma_f64 v[35:36], v[213:214], v[33:34], -v[35:36]
	v_mul_f64 v[213:214], v[213:214], v[217:218]
	v_add_f64 v[25:26], v[25:26], -v[35:36]
	v_fma_f64 v[213:214], v[215:216], v[33:34], v[213:214]
	v_add_f64 v[27:28], v[27:28], -v[213:214]
	ds_read2_b64 v[213:216], v253 offset0:102 offset1:103
	;; [unrolled: 8-line block ×7, first 2 shown]
	s_waitcnt lgkmcnt(0)
	v_mul_f64 v[35:36], v[215:216], v[217:218]
	v_fma_f64 v[35:36], v[213:214], v[33:34], -v[35:36]
	v_mul_f64 v[213:214], v[213:214], v[217:218]
	v_add_f64 v[1:2], v[1:2], -v[35:36]
	v_fma_f64 v[213:214], v[215:216], v[33:34], v[213:214]
	v_mov_b32_e32 v35, v217
	v_mov_b32_e32 v36, v218
	v_add_f64 v[3:4], v[3:4], -v[213:214]
.LBB113_442:
	s_or_b32 exec_lo, exec_lo, s1
	s_mov_b32 s2, exec_lo
	s_waitcnt_vscnt null, 0x0
	s_barrier
	buffer_gl0_inv
	v_cmpx_eq_u32_e32 49, v0
	s_cbranch_execz .LBB113_449
; %bb.443:
	ds_write2_b64 v255, v[29:30], v[31:32] offset1:1
	ds_write2_b64 v253, v[25:26], v[27:28] offset0:100 offset1:101
	ds_write2_b64 v253, v[21:22], v[23:24] offset0:102 offset1:103
	;; [unrolled: 1-line block ×7, first 2 shown]
	ds_read2_b64 v[213:216], v255 offset1:1
	s_waitcnt lgkmcnt(0)
	v_cmp_neq_f64_e32 vcc_lo, 0, v[213:214]
	v_cmp_neq_f64_e64 s1, 0, v[215:216]
	s_or_b32 s1, vcc_lo, s1
	s_and_b32 exec_lo, exec_lo, s1
	s_cbranch_execz .LBB113_449
; %bb.444:
	v_cmp_ngt_f64_e64 s1, |v[213:214]|, |v[215:216]|
                                        ; implicit-def: $vgpr217_vgpr218
	s_and_saveexec_b32 s3, s1
	s_xor_b32 s1, exec_lo, s3
                                        ; implicit-def: $vgpr219_vgpr220
	s_cbranch_execz .LBB113_446
; %bb.445:
	v_div_scale_f64 v[217:218], null, v[215:216], v[215:216], v[213:214]
	v_div_scale_f64 v[223:224], vcc_lo, v[213:214], v[215:216], v[213:214]
	v_rcp_f64_e32 v[219:220], v[217:218]
	v_fma_f64 v[221:222], -v[217:218], v[219:220], 1.0
	v_fma_f64 v[219:220], v[219:220], v[221:222], v[219:220]
	v_fma_f64 v[221:222], -v[217:218], v[219:220], 1.0
	v_fma_f64 v[219:220], v[219:220], v[221:222], v[219:220]
	v_mul_f64 v[221:222], v[223:224], v[219:220]
	v_fma_f64 v[217:218], -v[217:218], v[221:222], v[223:224]
	v_div_fmas_f64 v[217:218], v[217:218], v[219:220], v[221:222]
	v_div_fixup_f64 v[217:218], v[217:218], v[215:216], v[213:214]
	v_fma_f64 v[213:214], v[213:214], v[217:218], v[215:216]
	v_div_scale_f64 v[215:216], null, v[213:214], v[213:214], 1.0
	v_rcp_f64_e32 v[219:220], v[215:216]
	v_fma_f64 v[221:222], -v[215:216], v[219:220], 1.0
	v_fma_f64 v[219:220], v[219:220], v[221:222], v[219:220]
	v_fma_f64 v[221:222], -v[215:216], v[219:220], 1.0
	v_fma_f64 v[219:220], v[219:220], v[221:222], v[219:220]
	v_div_scale_f64 v[221:222], vcc_lo, 1.0, v[213:214], 1.0
	v_mul_f64 v[223:224], v[221:222], v[219:220]
	v_fma_f64 v[215:216], -v[215:216], v[223:224], v[221:222]
	v_div_fmas_f64 v[215:216], v[215:216], v[219:220], v[223:224]
	v_div_fixup_f64 v[219:220], v[215:216], v[213:214], 1.0
                                        ; implicit-def: $vgpr213_vgpr214
	v_mul_f64 v[217:218], v[217:218], v[219:220]
	v_xor_b32_e32 v220, 0x80000000, v220
.LBB113_446:
	s_andn2_saveexec_b32 s1, s1
	s_cbranch_execz .LBB113_448
; %bb.447:
	v_div_scale_f64 v[217:218], null, v[213:214], v[213:214], v[215:216]
	v_div_scale_f64 v[223:224], vcc_lo, v[215:216], v[213:214], v[215:216]
	v_rcp_f64_e32 v[219:220], v[217:218]
	v_fma_f64 v[221:222], -v[217:218], v[219:220], 1.0
	v_fma_f64 v[219:220], v[219:220], v[221:222], v[219:220]
	v_fma_f64 v[221:222], -v[217:218], v[219:220], 1.0
	v_fma_f64 v[219:220], v[219:220], v[221:222], v[219:220]
	v_mul_f64 v[221:222], v[223:224], v[219:220]
	v_fma_f64 v[217:218], -v[217:218], v[221:222], v[223:224]
	v_div_fmas_f64 v[217:218], v[217:218], v[219:220], v[221:222]
	v_div_fixup_f64 v[219:220], v[217:218], v[213:214], v[215:216]
	v_fma_f64 v[213:214], v[215:216], v[219:220], v[213:214]
	v_div_scale_f64 v[215:216], null, v[213:214], v[213:214], 1.0
	v_rcp_f64_e32 v[217:218], v[215:216]
	v_fma_f64 v[221:222], -v[215:216], v[217:218], 1.0
	v_fma_f64 v[217:218], v[217:218], v[221:222], v[217:218]
	v_fma_f64 v[221:222], -v[215:216], v[217:218], 1.0
	v_fma_f64 v[217:218], v[217:218], v[221:222], v[217:218]
	v_div_scale_f64 v[221:222], vcc_lo, 1.0, v[213:214], 1.0
	v_mul_f64 v[223:224], v[221:222], v[217:218]
	v_fma_f64 v[215:216], -v[215:216], v[223:224], v[221:222]
	v_div_fmas_f64 v[215:216], v[215:216], v[217:218], v[223:224]
	v_div_fixup_f64 v[217:218], v[215:216], v[213:214], 1.0
	v_mul_f64 v[219:220], v[219:220], -v[217:218]
.LBB113_448:
	s_or_b32 exec_lo, exec_lo, s1
	ds_write2_b64 v255, v[217:218], v[219:220] offset1:1
.LBB113_449:
	s_or_b32 exec_lo, exec_lo, s2
	s_waitcnt lgkmcnt(0)
	s_barrier
	buffer_gl0_inv
	ds_read2_b64 v[193:196], v255 offset1:1
	s_mov_b32 s1, exec_lo
	s_waitcnt lgkmcnt(0)
	buffer_store_dword v193, off, s[16:19], 0 offset:1248 ; 4-byte Folded Spill
	buffer_store_dword v194, off, s[16:19], 0 offset:1252 ; 4-byte Folded Spill
	;; [unrolled: 1-line block ×4, first 2 shown]
	v_cmpx_lt_u32_e32 49, v0
	s_cbranch_execz .LBB113_451
; %bb.450:
	s_clause 0x3
	buffer_load_dword v193, off, s[16:19], 0 offset:1248
	buffer_load_dword v194, off, s[16:19], 0 offset:1252
	;; [unrolled: 1-line block ×4, first 2 shown]
	s_waitcnt vmcnt(2)
	v_mul_f64 v[213:214], v[193:194], v[31:32]
	s_waitcnt vmcnt(0)
	v_mul_f64 v[31:32], v[195:196], v[31:32]
	v_fma_f64 v[217:218], v[195:196], v[29:30], v[213:214]
	ds_read2_b64 v[213:216], v253 offset0:100 offset1:101
	v_fma_f64 v[29:30], v[193:194], v[29:30], -v[31:32]
	s_waitcnt lgkmcnt(0)
	v_mul_f64 v[31:32], v[215:216], v[217:218]
	v_fma_f64 v[31:32], v[213:214], v[29:30], -v[31:32]
	v_mul_f64 v[213:214], v[213:214], v[217:218]
	v_add_f64 v[25:26], v[25:26], -v[31:32]
	v_fma_f64 v[213:214], v[215:216], v[29:30], v[213:214]
	v_add_f64 v[27:28], v[27:28], -v[213:214]
	ds_read2_b64 v[213:216], v253 offset0:102 offset1:103
	s_waitcnt lgkmcnt(0)
	v_mul_f64 v[31:32], v[215:216], v[217:218]
	v_fma_f64 v[31:32], v[213:214], v[29:30], -v[31:32]
	v_mul_f64 v[213:214], v[213:214], v[217:218]
	v_add_f64 v[21:22], v[21:22], -v[31:32]
	v_fma_f64 v[213:214], v[215:216], v[29:30], v[213:214]
	v_add_f64 v[23:24], v[23:24], -v[213:214]
	ds_read2_b64 v[213:216], v253 offset0:104 offset1:105
	;; [unrolled: 8-line block ×6, first 2 shown]
	s_waitcnt lgkmcnt(0)
	v_mul_f64 v[31:32], v[215:216], v[217:218]
	v_fma_f64 v[31:32], v[213:214], v[29:30], -v[31:32]
	v_mul_f64 v[213:214], v[213:214], v[217:218]
	v_add_f64 v[1:2], v[1:2], -v[31:32]
	v_fma_f64 v[213:214], v[215:216], v[29:30], v[213:214]
	v_mov_b32_e32 v31, v217
	v_mov_b32_e32 v32, v218
	v_add_f64 v[3:4], v[3:4], -v[213:214]
.LBB113_451:
	s_or_b32 exec_lo, exec_lo, s1
	s_mov_b32 s2, exec_lo
	s_waitcnt_vscnt null, 0x0
	s_barrier
	buffer_gl0_inv
	v_cmpx_eq_u32_e32 50, v0
	s_cbranch_execz .LBB113_458
; %bb.452:
	ds_write2_b64 v255, v[25:26], v[27:28] offset1:1
	ds_write2_b64 v253, v[21:22], v[23:24] offset0:102 offset1:103
	ds_write2_b64 v253, v[17:18], v[19:20] offset0:104 offset1:105
	;; [unrolled: 1-line block ×6, first 2 shown]
	ds_read2_b64 v[213:216], v255 offset1:1
	s_waitcnt lgkmcnt(0)
	v_cmp_neq_f64_e32 vcc_lo, 0, v[213:214]
	v_cmp_neq_f64_e64 s1, 0, v[215:216]
	s_or_b32 s1, vcc_lo, s1
	s_and_b32 exec_lo, exec_lo, s1
	s_cbranch_execz .LBB113_458
; %bb.453:
	v_cmp_ngt_f64_e64 s1, |v[213:214]|, |v[215:216]|
                                        ; implicit-def: $vgpr217_vgpr218
	s_and_saveexec_b32 s3, s1
	s_xor_b32 s1, exec_lo, s3
                                        ; implicit-def: $vgpr219_vgpr220
	s_cbranch_execz .LBB113_455
; %bb.454:
	v_div_scale_f64 v[217:218], null, v[215:216], v[215:216], v[213:214]
	v_div_scale_f64 v[223:224], vcc_lo, v[213:214], v[215:216], v[213:214]
	v_rcp_f64_e32 v[219:220], v[217:218]
	v_fma_f64 v[221:222], -v[217:218], v[219:220], 1.0
	v_fma_f64 v[219:220], v[219:220], v[221:222], v[219:220]
	v_fma_f64 v[221:222], -v[217:218], v[219:220], 1.0
	v_fma_f64 v[219:220], v[219:220], v[221:222], v[219:220]
	v_mul_f64 v[221:222], v[223:224], v[219:220]
	v_fma_f64 v[217:218], -v[217:218], v[221:222], v[223:224]
	v_div_fmas_f64 v[217:218], v[217:218], v[219:220], v[221:222]
	v_div_fixup_f64 v[217:218], v[217:218], v[215:216], v[213:214]
	v_fma_f64 v[213:214], v[213:214], v[217:218], v[215:216]
	v_div_scale_f64 v[215:216], null, v[213:214], v[213:214], 1.0
	v_rcp_f64_e32 v[219:220], v[215:216]
	v_fma_f64 v[221:222], -v[215:216], v[219:220], 1.0
	v_fma_f64 v[219:220], v[219:220], v[221:222], v[219:220]
	v_fma_f64 v[221:222], -v[215:216], v[219:220], 1.0
	v_fma_f64 v[219:220], v[219:220], v[221:222], v[219:220]
	v_div_scale_f64 v[221:222], vcc_lo, 1.0, v[213:214], 1.0
	v_mul_f64 v[223:224], v[221:222], v[219:220]
	v_fma_f64 v[215:216], -v[215:216], v[223:224], v[221:222]
	v_div_fmas_f64 v[215:216], v[215:216], v[219:220], v[223:224]
	v_div_fixup_f64 v[219:220], v[215:216], v[213:214], 1.0
                                        ; implicit-def: $vgpr213_vgpr214
	v_mul_f64 v[217:218], v[217:218], v[219:220]
	v_xor_b32_e32 v220, 0x80000000, v220
.LBB113_455:
	s_andn2_saveexec_b32 s1, s1
	s_cbranch_execz .LBB113_457
; %bb.456:
	v_div_scale_f64 v[217:218], null, v[213:214], v[213:214], v[215:216]
	v_div_scale_f64 v[223:224], vcc_lo, v[215:216], v[213:214], v[215:216]
	v_rcp_f64_e32 v[219:220], v[217:218]
	v_fma_f64 v[221:222], -v[217:218], v[219:220], 1.0
	v_fma_f64 v[219:220], v[219:220], v[221:222], v[219:220]
	v_fma_f64 v[221:222], -v[217:218], v[219:220], 1.0
	v_fma_f64 v[219:220], v[219:220], v[221:222], v[219:220]
	v_mul_f64 v[221:222], v[223:224], v[219:220]
	v_fma_f64 v[217:218], -v[217:218], v[221:222], v[223:224]
	v_div_fmas_f64 v[217:218], v[217:218], v[219:220], v[221:222]
	v_div_fixup_f64 v[219:220], v[217:218], v[213:214], v[215:216]
	v_fma_f64 v[213:214], v[215:216], v[219:220], v[213:214]
	v_div_scale_f64 v[215:216], null, v[213:214], v[213:214], 1.0
	v_rcp_f64_e32 v[217:218], v[215:216]
	v_fma_f64 v[221:222], -v[215:216], v[217:218], 1.0
	v_fma_f64 v[217:218], v[217:218], v[221:222], v[217:218]
	v_fma_f64 v[221:222], -v[215:216], v[217:218], 1.0
	v_fma_f64 v[217:218], v[217:218], v[221:222], v[217:218]
	v_div_scale_f64 v[221:222], vcc_lo, 1.0, v[213:214], 1.0
	v_mul_f64 v[223:224], v[221:222], v[217:218]
	v_fma_f64 v[215:216], -v[215:216], v[223:224], v[221:222]
	v_div_fmas_f64 v[215:216], v[215:216], v[217:218], v[223:224]
	v_div_fixup_f64 v[217:218], v[215:216], v[213:214], 1.0
	v_mul_f64 v[219:220], v[219:220], -v[217:218]
.LBB113_457:
	s_or_b32 exec_lo, exec_lo, s1
	ds_write2_b64 v255, v[217:218], v[219:220] offset1:1
.LBB113_458:
	s_or_b32 exec_lo, exec_lo, s2
	s_waitcnt lgkmcnt(0)
	s_barrier
	buffer_gl0_inv
	ds_read2_b64 v[193:196], v255 offset1:1
	s_mov_b32 s1, exec_lo
	s_waitcnt lgkmcnt(0)
	buffer_store_dword v193, off, s[16:19], 0 offset:1264 ; 4-byte Folded Spill
	buffer_store_dword v194, off, s[16:19], 0 offset:1268 ; 4-byte Folded Spill
	;; [unrolled: 1-line block ×4, first 2 shown]
	v_cmpx_lt_u32_e32 50, v0
	s_cbranch_execz .LBB113_460
; %bb.459:
	s_clause 0x3
	buffer_load_dword v193, off, s[16:19], 0 offset:1264
	buffer_load_dword v194, off, s[16:19], 0 offset:1268
	;; [unrolled: 1-line block ×4, first 2 shown]
	s_waitcnt vmcnt(2)
	v_mul_f64 v[213:214], v[193:194], v[27:28]
	s_waitcnt vmcnt(0)
	v_mul_f64 v[27:28], v[195:196], v[27:28]
	v_fma_f64 v[217:218], v[195:196], v[25:26], v[213:214]
	ds_read2_b64 v[213:216], v253 offset0:102 offset1:103
	v_fma_f64 v[25:26], v[193:194], v[25:26], -v[27:28]
	s_waitcnt lgkmcnt(0)
	v_mul_f64 v[27:28], v[215:216], v[217:218]
	v_fma_f64 v[27:28], v[213:214], v[25:26], -v[27:28]
	v_mul_f64 v[213:214], v[213:214], v[217:218]
	v_add_f64 v[21:22], v[21:22], -v[27:28]
	v_fma_f64 v[213:214], v[215:216], v[25:26], v[213:214]
	v_add_f64 v[23:24], v[23:24], -v[213:214]
	ds_read2_b64 v[213:216], v253 offset0:104 offset1:105
	s_waitcnt lgkmcnt(0)
	v_mul_f64 v[27:28], v[215:216], v[217:218]
	v_fma_f64 v[27:28], v[213:214], v[25:26], -v[27:28]
	v_mul_f64 v[213:214], v[213:214], v[217:218]
	v_add_f64 v[17:18], v[17:18], -v[27:28]
	v_fma_f64 v[213:214], v[215:216], v[25:26], v[213:214]
	v_add_f64 v[19:20], v[19:20], -v[213:214]
	ds_read2_b64 v[213:216], v253 offset0:106 offset1:107
	;; [unrolled: 8-line block ×5, first 2 shown]
	s_waitcnt lgkmcnt(0)
	v_mul_f64 v[27:28], v[215:216], v[217:218]
	v_fma_f64 v[27:28], v[213:214], v[25:26], -v[27:28]
	v_mul_f64 v[213:214], v[213:214], v[217:218]
	v_add_f64 v[1:2], v[1:2], -v[27:28]
	v_fma_f64 v[213:214], v[215:216], v[25:26], v[213:214]
	v_mov_b32_e32 v27, v217
	v_mov_b32_e32 v28, v218
	v_add_f64 v[3:4], v[3:4], -v[213:214]
.LBB113_460:
	s_or_b32 exec_lo, exec_lo, s1
	s_mov_b32 s2, exec_lo
	s_waitcnt_vscnt null, 0x0
	s_barrier
	buffer_gl0_inv
	v_cmpx_eq_u32_e32 51, v0
	s_cbranch_execz .LBB113_467
; %bb.461:
	ds_write2_b64 v255, v[21:22], v[23:24] offset1:1
	ds_write2_b64 v253, v[17:18], v[19:20] offset0:104 offset1:105
	ds_write2_b64 v253, v[13:14], v[15:16] offset0:106 offset1:107
	;; [unrolled: 1-line block ×5, first 2 shown]
	ds_read2_b64 v[213:216], v255 offset1:1
	s_waitcnt lgkmcnt(0)
	v_cmp_neq_f64_e32 vcc_lo, 0, v[213:214]
	v_cmp_neq_f64_e64 s1, 0, v[215:216]
	s_or_b32 s1, vcc_lo, s1
	s_and_b32 exec_lo, exec_lo, s1
	s_cbranch_execz .LBB113_467
; %bb.462:
	v_cmp_ngt_f64_e64 s1, |v[213:214]|, |v[215:216]|
                                        ; implicit-def: $vgpr217_vgpr218
	s_and_saveexec_b32 s3, s1
	s_xor_b32 s1, exec_lo, s3
                                        ; implicit-def: $vgpr219_vgpr220
	s_cbranch_execz .LBB113_464
; %bb.463:
	v_div_scale_f64 v[217:218], null, v[215:216], v[215:216], v[213:214]
	v_div_scale_f64 v[223:224], vcc_lo, v[213:214], v[215:216], v[213:214]
	v_rcp_f64_e32 v[219:220], v[217:218]
	v_fma_f64 v[221:222], -v[217:218], v[219:220], 1.0
	v_fma_f64 v[219:220], v[219:220], v[221:222], v[219:220]
	v_fma_f64 v[221:222], -v[217:218], v[219:220], 1.0
	v_fma_f64 v[219:220], v[219:220], v[221:222], v[219:220]
	v_mul_f64 v[221:222], v[223:224], v[219:220]
	v_fma_f64 v[217:218], -v[217:218], v[221:222], v[223:224]
	v_div_fmas_f64 v[217:218], v[217:218], v[219:220], v[221:222]
	v_div_fixup_f64 v[217:218], v[217:218], v[215:216], v[213:214]
	v_fma_f64 v[213:214], v[213:214], v[217:218], v[215:216]
	v_div_scale_f64 v[215:216], null, v[213:214], v[213:214], 1.0
	v_rcp_f64_e32 v[219:220], v[215:216]
	v_fma_f64 v[221:222], -v[215:216], v[219:220], 1.0
	v_fma_f64 v[219:220], v[219:220], v[221:222], v[219:220]
	v_fma_f64 v[221:222], -v[215:216], v[219:220], 1.0
	v_fma_f64 v[219:220], v[219:220], v[221:222], v[219:220]
	v_div_scale_f64 v[221:222], vcc_lo, 1.0, v[213:214], 1.0
	v_mul_f64 v[223:224], v[221:222], v[219:220]
	v_fma_f64 v[215:216], -v[215:216], v[223:224], v[221:222]
	v_div_fmas_f64 v[215:216], v[215:216], v[219:220], v[223:224]
	v_div_fixup_f64 v[219:220], v[215:216], v[213:214], 1.0
                                        ; implicit-def: $vgpr213_vgpr214
	v_mul_f64 v[217:218], v[217:218], v[219:220]
	v_xor_b32_e32 v220, 0x80000000, v220
.LBB113_464:
	s_andn2_saveexec_b32 s1, s1
	s_cbranch_execz .LBB113_466
; %bb.465:
	v_div_scale_f64 v[217:218], null, v[213:214], v[213:214], v[215:216]
	v_div_scale_f64 v[223:224], vcc_lo, v[215:216], v[213:214], v[215:216]
	v_rcp_f64_e32 v[219:220], v[217:218]
	v_fma_f64 v[221:222], -v[217:218], v[219:220], 1.0
	v_fma_f64 v[219:220], v[219:220], v[221:222], v[219:220]
	v_fma_f64 v[221:222], -v[217:218], v[219:220], 1.0
	v_fma_f64 v[219:220], v[219:220], v[221:222], v[219:220]
	v_mul_f64 v[221:222], v[223:224], v[219:220]
	v_fma_f64 v[217:218], -v[217:218], v[221:222], v[223:224]
	v_div_fmas_f64 v[217:218], v[217:218], v[219:220], v[221:222]
	v_div_fixup_f64 v[219:220], v[217:218], v[213:214], v[215:216]
	v_fma_f64 v[213:214], v[215:216], v[219:220], v[213:214]
	v_div_scale_f64 v[215:216], null, v[213:214], v[213:214], 1.0
	v_rcp_f64_e32 v[217:218], v[215:216]
	v_fma_f64 v[221:222], -v[215:216], v[217:218], 1.0
	v_fma_f64 v[217:218], v[217:218], v[221:222], v[217:218]
	v_fma_f64 v[221:222], -v[215:216], v[217:218], 1.0
	v_fma_f64 v[217:218], v[217:218], v[221:222], v[217:218]
	v_div_scale_f64 v[221:222], vcc_lo, 1.0, v[213:214], 1.0
	v_mul_f64 v[223:224], v[221:222], v[217:218]
	v_fma_f64 v[215:216], -v[215:216], v[223:224], v[221:222]
	v_div_fmas_f64 v[215:216], v[215:216], v[217:218], v[223:224]
	v_div_fixup_f64 v[217:218], v[215:216], v[213:214], 1.0
	v_mul_f64 v[219:220], v[219:220], -v[217:218]
.LBB113_466:
	s_or_b32 exec_lo, exec_lo, s1
	ds_write2_b64 v255, v[217:218], v[219:220] offset1:1
.LBB113_467:
	s_or_b32 exec_lo, exec_lo, s2
	s_waitcnt lgkmcnt(0)
	s_barrier
	buffer_gl0_inv
	ds_read2_b64 v[193:196], v255 offset1:1
	s_mov_b32 s1, exec_lo
	s_waitcnt lgkmcnt(0)
	buffer_store_dword v193, off, s[16:19], 0 offset:1280 ; 4-byte Folded Spill
	buffer_store_dword v194, off, s[16:19], 0 offset:1284 ; 4-byte Folded Spill
	;; [unrolled: 1-line block ×4, first 2 shown]
	v_cmpx_lt_u32_e32 51, v0
	s_cbranch_execz .LBB113_469
; %bb.468:
	s_clause 0x3
	buffer_load_dword v193, off, s[16:19], 0 offset:1280
	buffer_load_dword v194, off, s[16:19], 0 offset:1284
	;; [unrolled: 1-line block ×4, first 2 shown]
	s_waitcnt vmcnt(2)
	v_mul_f64 v[213:214], v[193:194], v[23:24]
	s_waitcnt vmcnt(0)
	v_mul_f64 v[23:24], v[195:196], v[23:24]
	v_fma_f64 v[217:218], v[195:196], v[21:22], v[213:214]
	ds_read2_b64 v[213:216], v253 offset0:104 offset1:105
	v_fma_f64 v[21:22], v[193:194], v[21:22], -v[23:24]
	s_waitcnt lgkmcnt(0)
	v_mul_f64 v[23:24], v[215:216], v[217:218]
	v_fma_f64 v[23:24], v[213:214], v[21:22], -v[23:24]
	v_mul_f64 v[213:214], v[213:214], v[217:218]
	v_add_f64 v[17:18], v[17:18], -v[23:24]
	v_fma_f64 v[213:214], v[215:216], v[21:22], v[213:214]
	v_add_f64 v[19:20], v[19:20], -v[213:214]
	ds_read2_b64 v[213:216], v253 offset0:106 offset1:107
	s_waitcnt lgkmcnt(0)
	v_mul_f64 v[23:24], v[215:216], v[217:218]
	v_fma_f64 v[23:24], v[213:214], v[21:22], -v[23:24]
	v_mul_f64 v[213:214], v[213:214], v[217:218]
	v_add_f64 v[13:14], v[13:14], -v[23:24]
	v_fma_f64 v[213:214], v[215:216], v[21:22], v[213:214]
	v_add_f64 v[15:16], v[15:16], -v[213:214]
	ds_read2_b64 v[213:216], v253 offset0:108 offset1:109
	;; [unrolled: 8-line block ×4, first 2 shown]
	s_waitcnt lgkmcnt(0)
	v_mul_f64 v[23:24], v[215:216], v[217:218]
	v_fma_f64 v[23:24], v[213:214], v[21:22], -v[23:24]
	v_mul_f64 v[213:214], v[213:214], v[217:218]
	v_add_f64 v[1:2], v[1:2], -v[23:24]
	v_fma_f64 v[213:214], v[215:216], v[21:22], v[213:214]
	v_mov_b32_e32 v23, v217
	v_mov_b32_e32 v24, v218
	v_add_f64 v[3:4], v[3:4], -v[213:214]
.LBB113_469:
	s_or_b32 exec_lo, exec_lo, s1
	s_mov_b32 s2, exec_lo
	s_waitcnt_vscnt null, 0x0
	s_barrier
	buffer_gl0_inv
	v_cmpx_eq_u32_e32 52, v0
	s_cbranch_execz .LBB113_476
; %bb.470:
	ds_write2_b64 v255, v[17:18], v[19:20] offset1:1
	ds_write2_b64 v253, v[13:14], v[15:16] offset0:106 offset1:107
	ds_write2_b64 v253, v[9:10], v[11:12] offset0:108 offset1:109
	;; [unrolled: 1-line block ×4, first 2 shown]
	ds_read2_b64 v[213:216], v255 offset1:1
	s_waitcnt lgkmcnt(0)
	v_cmp_neq_f64_e32 vcc_lo, 0, v[213:214]
	v_cmp_neq_f64_e64 s1, 0, v[215:216]
	s_or_b32 s1, vcc_lo, s1
	s_and_b32 exec_lo, exec_lo, s1
	s_cbranch_execz .LBB113_476
; %bb.471:
	v_cmp_ngt_f64_e64 s1, |v[213:214]|, |v[215:216]|
                                        ; implicit-def: $vgpr217_vgpr218
	s_and_saveexec_b32 s3, s1
	s_xor_b32 s1, exec_lo, s3
                                        ; implicit-def: $vgpr219_vgpr220
	s_cbranch_execz .LBB113_473
; %bb.472:
	v_div_scale_f64 v[217:218], null, v[215:216], v[215:216], v[213:214]
	v_div_scale_f64 v[223:224], vcc_lo, v[213:214], v[215:216], v[213:214]
	v_rcp_f64_e32 v[219:220], v[217:218]
	v_fma_f64 v[221:222], -v[217:218], v[219:220], 1.0
	v_fma_f64 v[219:220], v[219:220], v[221:222], v[219:220]
	v_fma_f64 v[221:222], -v[217:218], v[219:220], 1.0
	v_fma_f64 v[219:220], v[219:220], v[221:222], v[219:220]
	v_mul_f64 v[221:222], v[223:224], v[219:220]
	v_fma_f64 v[217:218], -v[217:218], v[221:222], v[223:224]
	v_div_fmas_f64 v[217:218], v[217:218], v[219:220], v[221:222]
	v_div_fixup_f64 v[217:218], v[217:218], v[215:216], v[213:214]
	v_fma_f64 v[213:214], v[213:214], v[217:218], v[215:216]
	v_div_scale_f64 v[215:216], null, v[213:214], v[213:214], 1.0
	v_rcp_f64_e32 v[219:220], v[215:216]
	v_fma_f64 v[221:222], -v[215:216], v[219:220], 1.0
	v_fma_f64 v[219:220], v[219:220], v[221:222], v[219:220]
	v_fma_f64 v[221:222], -v[215:216], v[219:220], 1.0
	v_fma_f64 v[219:220], v[219:220], v[221:222], v[219:220]
	v_div_scale_f64 v[221:222], vcc_lo, 1.0, v[213:214], 1.0
	v_mul_f64 v[223:224], v[221:222], v[219:220]
	v_fma_f64 v[215:216], -v[215:216], v[223:224], v[221:222]
	v_div_fmas_f64 v[215:216], v[215:216], v[219:220], v[223:224]
	v_div_fixup_f64 v[219:220], v[215:216], v[213:214], 1.0
                                        ; implicit-def: $vgpr213_vgpr214
	v_mul_f64 v[217:218], v[217:218], v[219:220]
	v_xor_b32_e32 v220, 0x80000000, v220
.LBB113_473:
	s_andn2_saveexec_b32 s1, s1
	s_cbranch_execz .LBB113_475
; %bb.474:
	v_div_scale_f64 v[217:218], null, v[213:214], v[213:214], v[215:216]
	v_div_scale_f64 v[223:224], vcc_lo, v[215:216], v[213:214], v[215:216]
	v_rcp_f64_e32 v[219:220], v[217:218]
	v_fma_f64 v[221:222], -v[217:218], v[219:220], 1.0
	v_fma_f64 v[219:220], v[219:220], v[221:222], v[219:220]
	v_fma_f64 v[221:222], -v[217:218], v[219:220], 1.0
	v_fma_f64 v[219:220], v[219:220], v[221:222], v[219:220]
	v_mul_f64 v[221:222], v[223:224], v[219:220]
	v_fma_f64 v[217:218], -v[217:218], v[221:222], v[223:224]
	v_div_fmas_f64 v[217:218], v[217:218], v[219:220], v[221:222]
	v_div_fixup_f64 v[219:220], v[217:218], v[213:214], v[215:216]
	v_fma_f64 v[213:214], v[215:216], v[219:220], v[213:214]
	v_div_scale_f64 v[215:216], null, v[213:214], v[213:214], 1.0
	v_rcp_f64_e32 v[217:218], v[215:216]
	v_fma_f64 v[221:222], -v[215:216], v[217:218], 1.0
	v_fma_f64 v[217:218], v[217:218], v[221:222], v[217:218]
	v_fma_f64 v[221:222], -v[215:216], v[217:218], 1.0
	v_fma_f64 v[217:218], v[217:218], v[221:222], v[217:218]
	v_div_scale_f64 v[221:222], vcc_lo, 1.0, v[213:214], 1.0
	v_mul_f64 v[223:224], v[221:222], v[217:218]
	v_fma_f64 v[215:216], -v[215:216], v[223:224], v[221:222]
	v_div_fmas_f64 v[215:216], v[215:216], v[217:218], v[223:224]
	v_div_fixup_f64 v[217:218], v[215:216], v[213:214], 1.0
	v_mul_f64 v[219:220], v[219:220], -v[217:218]
.LBB113_475:
	s_or_b32 exec_lo, exec_lo, s1
	ds_write2_b64 v255, v[217:218], v[219:220] offset1:1
.LBB113_476:
	s_or_b32 exec_lo, exec_lo, s2
	s_waitcnt lgkmcnt(0)
	s_barrier
	buffer_gl0_inv
	ds_read2_b64 v[193:196], v255 offset1:1
	s_mov_b32 s1, exec_lo
	s_waitcnt lgkmcnt(0)
	buffer_store_dword v193, off, s[16:19], 0 offset:1296 ; 4-byte Folded Spill
	buffer_store_dword v194, off, s[16:19], 0 offset:1300 ; 4-byte Folded Spill
	;; [unrolled: 1-line block ×4, first 2 shown]
	v_cmpx_lt_u32_e32 52, v0
	s_cbranch_execz .LBB113_478
; %bb.477:
	s_clause 0x3
	buffer_load_dword v193, off, s[16:19], 0 offset:1296
	buffer_load_dword v194, off, s[16:19], 0 offset:1300
	buffer_load_dword v195, off, s[16:19], 0 offset:1304
	buffer_load_dword v196, off, s[16:19], 0 offset:1308
	s_waitcnt vmcnt(2)
	v_mul_f64 v[213:214], v[193:194], v[19:20]
	s_waitcnt vmcnt(0)
	v_mul_f64 v[19:20], v[195:196], v[19:20]
	v_fma_f64 v[217:218], v[195:196], v[17:18], v[213:214]
	ds_read2_b64 v[213:216], v253 offset0:106 offset1:107
	v_fma_f64 v[17:18], v[193:194], v[17:18], -v[19:20]
	s_waitcnt lgkmcnt(0)
	v_mul_f64 v[19:20], v[215:216], v[217:218]
	v_fma_f64 v[19:20], v[213:214], v[17:18], -v[19:20]
	v_mul_f64 v[213:214], v[213:214], v[217:218]
	v_add_f64 v[13:14], v[13:14], -v[19:20]
	v_fma_f64 v[213:214], v[215:216], v[17:18], v[213:214]
	v_add_f64 v[15:16], v[15:16], -v[213:214]
	ds_read2_b64 v[213:216], v253 offset0:108 offset1:109
	s_waitcnt lgkmcnt(0)
	v_mul_f64 v[19:20], v[215:216], v[217:218]
	v_fma_f64 v[19:20], v[213:214], v[17:18], -v[19:20]
	v_mul_f64 v[213:214], v[213:214], v[217:218]
	v_add_f64 v[9:10], v[9:10], -v[19:20]
	v_fma_f64 v[213:214], v[215:216], v[17:18], v[213:214]
	v_add_f64 v[11:12], v[11:12], -v[213:214]
	ds_read2_b64 v[213:216], v253 offset0:110 offset1:111
	;; [unrolled: 8-line block ×3, first 2 shown]
	s_waitcnt lgkmcnt(0)
	v_mul_f64 v[19:20], v[215:216], v[217:218]
	v_fma_f64 v[19:20], v[213:214], v[17:18], -v[19:20]
	v_mul_f64 v[213:214], v[213:214], v[217:218]
	v_add_f64 v[1:2], v[1:2], -v[19:20]
	v_fma_f64 v[213:214], v[215:216], v[17:18], v[213:214]
	v_mov_b32_e32 v19, v217
	v_mov_b32_e32 v20, v218
	v_add_f64 v[3:4], v[3:4], -v[213:214]
.LBB113_478:
	s_or_b32 exec_lo, exec_lo, s1
	s_mov_b32 s2, exec_lo
	s_waitcnt_vscnt null, 0x0
	s_barrier
	buffer_gl0_inv
	v_cmpx_eq_u32_e32 53, v0
	s_cbranch_execz .LBB113_485
; %bb.479:
	ds_write2_b64 v255, v[13:14], v[15:16] offset1:1
	ds_write2_b64 v253, v[9:10], v[11:12] offset0:108 offset1:109
	ds_write2_b64 v253, v[5:6], v[7:8] offset0:110 offset1:111
	ds_write2_b64 v253, v[1:2], v[3:4] offset0:112 offset1:113
	ds_read2_b64 v[213:216], v255 offset1:1
	s_waitcnt lgkmcnt(0)
	v_cmp_neq_f64_e32 vcc_lo, 0, v[213:214]
	v_cmp_neq_f64_e64 s1, 0, v[215:216]
	s_or_b32 s1, vcc_lo, s1
	s_and_b32 exec_lo, exec_lo, s1
	s_cbranch_execz .LBB113_485
; %bb.480:
	v_cmp_ngt_f64_e64 s1, |v[213:214]|, |v[215:216]|
                                        ; implicit-def: $vgpr217_vgpr218
	s_and_saveexec_b32 s3, s1
	s_xor_b32 s1, exec_lo, s3
                                        ; implicit-def: $vgpr219_vgpr220
	s_cbranch_execz .LBB113_482
; %bb.481:
	v_div_scale_f64 v[217:218], null, v[215:216], v[215:216], v[213:214]
	v_div_scale_f64 v[223:224], vcc_lo, v[213:214], v[215:216], v[213:214]
	v_rcp_f64_e32 v[219:220], v[217:218]
	v_fma_f64 v[221:222], -v[217:218], v[219:220], 1.0
	v_fma_f64 v[219:220], v[219:220], v[221:222], v[219:220]
	v_fma_f64 v[221:222], -v[217:218], v[219:220], 1.0
	v_fma_f64 v[219:220], v[219:220], v[221:222], v[219:220]
	v_mul_f64 v[221:222], v[223:224], v[219:220]
	v_fma_f64 v[217:218], -v[217:218], v[221:222], v[223:224]
	v_div_fmas_f64 v[217:218], v[217:218], v[219:220], v[221:222]
	v_div_fixup_f64 v[217:218], v[217:218], v[215:216], v[213:214]
	v_fma_f64 v[213:214], v[213:214], v[217:218], v[215:216]
	v_div_scale_f64 v[215:216], null, v[213:214], v[213:214], 1.0
	v_rcp_f64_e32 v[219:220], v[215:216]
	v_fma_f64 v[221:222], -v[215:216], v[219:220], 1.0
	v_fma_f64 v[219:220], v[219:220], v[221:222], v[219:220]
	v_fma_f64 v[221:222], -v[215:216], v[219:220], 1.0
	v_fma_f64 v[219:220], v[219:220], v[221:222], v[219:220]
	v_div_scale_f64 v[221:222], vcc_lo, 1.0, v[213:214], 1.0
	v_mul_f64 v[223:224], v[221:222], v[219:220]
	v_fma_f64 v[215:216], -v[215:216], v[223:224], v[221:222]
	v_div_fmas_f64 v[215:216], v[215:216], v[219:220], v[223:224]
	v_div_fixup_f64 v[219:220], v[215:216], v[213:214], 1.0
                                        ; implicit-def: $vgpr213_vgpr214
	v_mul_f64 v[217:218], v[217:218], v[219:220]
	v_xor_b32_e32 v220, 0x80000000, v220
.LBB113_482:
	s_andn2_saveexec_b32 s1, s1
	s_cbranch_execz .LBB113_484
; %bb.483:
	v_div_scale_f64 v[217:218], null, v[213:214], v[213:214], v[215:216]
	v_div_scale_f64 v[223:224], vcc_lo, v[215:216], v[213:214], v[215:216]
	v_rcp_f64_e32 v[219:220], v[217:218]
	v_fma_f64 v[221:222], -v[217:218], v[219:220], 1.0
	v_fma_f64 v[219:220], v[219:220], v[221:222], v[219:220]
	v_fma_f64 v[221:222], -v[217:218], v[219:220], 1.0
	v_fma_f64 v[219:220], v[219:220], v[221:222], v[219:220]
	v_mul_f64 v[221:222], v[223:224], v[219:220]
	v_fma_f64 v[217:218], -v[217:218], v[221:222], v[223:224]
	v_div_fmas_f64 v[217:218], v[217:218], v[219:220], v[221:222]
	v_div_fixup_f64 v[219:220], v[217:218], v[213:214], v[215:216]
	v_fma_f64 v[213:214], v[215:216], v[219:220], v[213:214]
	v_div_scale_f64 v[215:216], null, v[213:214], v[213:214], 1.0
	v_rcp_f64_e32 v[217:218], v[215:216]
	v_fma_f64 v[221:222], -v[215:216], v[217:218], 1.0
	v_fma_f64 v[217:218], v[217:218], v[221:222], v[217:218]
	v_fma_f64 v[221:222], -v[215:216], v[217:218], 1.0
	v_fma_f64 v[217:218], v[217:218], v[221:222], v[217:218]
	v_div_scale_f64 v[221:222], vcc_lo, 1.0, v[213:214], 1.0
	v_mul_f64 v[223:224], v[221:222], v[217:218]
	v_fma_f64 v[215:216], -v[215:216], v[223:224], v[221:222]
	v_div_fmas_f64 v[215:216], v[215:216], v[217:218], v[223:224]
	v_div_fixup_f64 v[217:218], v[215:216], v[213:214], 1.0
	v_mul_f64 v[219:220], v[219:220], -v[217:218]
.LBB113_484:
	s_or_b32 exec_lo, exec_lo, s1
	ds_write2_b64 v255, v[217:218], v[219:220] offset1:1
.LBB113_485:
	s_or_b32 exec_lo, exec_lo, s2
	s_waitcnt lgkmcnt(0)
	s_barrier
	buffer_gl0_inv
	ds_read2_b64 v[221:224], v255 offset1:1
	s_mov_b32 s1, exec_lo
	v_cmpx_lt_u32_e32 53, v0
	s_cbranch_execz .LBB113_487
; %bb.486:
	s_waitcnt lgkmcnt(0)
	v_mul_f64 v[213:214], v[221:222], v[15:16]
	v_mul_f64 v[15:16], v[223:224], v[15:16]
	v_fma_f64 v[217:218], v[223:224], v[13:14], v[213:214]
	ds_read2_b64 v[213:216], v253 offset0:108 offset1:109
	v_fma_f64 v[13:14], v[221:222], v[13:14], -v[15:16]
	s_waitcnt lgkmcnt(0)
	v_mul_f64 v[15:16], v[215:216], v[217:218]
	v_fma_f64 v[15:16], v[213:214], v[13:14], -v[15:16]
	v_mul_f64 v[213:214], v[213:214], v[217:218]
	v_add_f64 v[9:10], v[9:10], -v[15:16]
	v_fma_f64 v[213:214], v[215:216], v[13:14], v[213:214]
	v_add_f64 v[11:12], v[11:12], -v[213:214]
	ds_read2_b64 v[213:216], v253 offset0:110 offset1:111
	s_waitcnt lgkmcnt(0)
	v_mul_f64 v[15:16], v[215:216], v[217:218]
	v_fma_f64 v[15:16], v[213:214], v[13:14], -v[15:16]
	v_mul_f64 v[213:214], v[213:214], v[217:218]
	v_add_f64 v[5:6], v[5:6], -v[15:16]
	v_fma_f64 v[213:214], v[215:216], v[13:14], v[213:214]
	v_add_f64 v[7:8], v[7:8], -v[213:214]
	ds_read2_b64 v[213:216], v253 offset0:112 offset1:113
	s_waitcnt lgkmcnt(0)
	v_mul_f64 v[15:16], v[215:216], v[217:218]
	v_fma_f64 v[15:16], v[213:214], v[13:14], -v[15:16]
	v_mul_f64 v[213:214], v[213:214], v[217:218]
	v_add_f64 v[1:2], v[1:2], -v[15:16]
	v_fma_f64 v[213:214], v[215:216], v[13:14], v[213:214]
	v_mov_b32_e32 v15, v217
	v_mov_b32_e32 v16, v218
	v_add_f64 v[3:4], v[3:4], -v[213:214]
.LBB113_487:
	s_or_b32 exec_lo, exec_lo, s1
	s_mov_b32 s2, exec_lo
	s_waitcnt lgkmcnt(0)
	s_barrier
	buffer_gl0_inv
	v_cmpx_eq_u32_e32 54, v0
	s_cbranch_execz .LBB113_494
; %bb.488:
	ds_write2_b64 v255, v[9:10], v[11:12] offset1:1
	ds_write2_b64 v253, v[5:6], v[7:8] offset0:110 offset1:111
	ds_write2_b64 v253, v[1:2], v[3:4] offset0:112 offset1:113
	ds_read2_b64 v[213:216], v255 offset1:1
	s_waitcnt lgkmcnt(0)
	v_cmp_neq_f64_e32 vcc_lo, 0, v[213:214]
	v_cmp_neq_f64_e64 s1, 0, v[215:216]
	s_or_b32 s1, vcc_lo, s1
	s_and_b32 exec_lo, exec_lo, s1
	s_cbranch_execz .LBB113_494
; %bb.489:
	v_cmp_ngt_f64_e64 s1, |v[213:214]|, |v[215:216]|
                                        ; implicit-def: $vgpr217_vgpr218
	s_and_saveexec_b32 s3, s1
	s_xor_b32 s1, exec_lo, s3
                                        ; implicit-def: $vgpr219_vgpr220
	s_cbranch_execz .LBB113_491
; %bb.490:
	v_div_scale_f64 v[217:218], null, v[215:216], v[215:216], v[213:214]
	v_div_scale_f64 v[247:248], vcc_lo, v[213:214], v[215:216], v[213:214]
	v_rcp_f64_e32 v[219:220], v[217:218]
	v_fma_f64 v[245:246], -v[217:218], v[219:220], 1.0
	v_fma_f64 v[219:220], v[219:220], v[245:246], v[219:220]
	v_fma_f64 v[245:246], -v[217:218], v[219:220], 1.0
	v_fma_f64 v[219:220], v[219:220], v[245:246], v[219:220]
	v_mul_f64 v[245:246], v[247:248], v[219:220]
	v_fma_f64 v[217:218], -v[217:218], v[245:246], v[247:248]
	v_div_fmas_f64 v[217:218], v[217:218], v[219:220], v[245:246]
	v_div_fixup_f64 v[217:218], v[217:218], v[215:216], v[213:214]
	v_fma_f64 v[213:214], v[213:214], v[217:218], v[215:216]
	v_div_scale_f64 v[215:216], null, v[213:214], v[213:214], 1.0
	v_rcp_f64_e32 v[219:220], v[215:216]
	v_fma_f64 v[245:246], -v[215:216], v[219:220], 1.0
	v_fma_f64 v[219:220], v[219:220], v[245:246], v[219:220]
	v_fma_f64 v[245:246], -v[215:216], v[219:220], 1.0
	v_fma_f64 v[219:220], v[219:220], v[245:246], v[219:220]
	v_div_scale_f64 v[245:246], vcc_lo, 1.0, v[213:214], 1.0
	v_mul_f64 v[247:248], v[245:246], v[219:220]
	v_fma_f64 v[215:216], -v[215:216], v[247:248], v[245:246]
	v_div_fmas_f64 v[215:216], v[215:216], v[219:220], v[247:248]
	v_div_fixup_f64 v[219:220], v[215:216], v[213:214], 1.0
                                        ; implicit-def: $vgpr213_vgpr214
	v_mul_f64 v[217:218], v[217:218], v[219:220]
	v_xor_b32_e32 v220, 0x80000000, v220
.LBB113_491:
	s_andn2_saveexec_b32 s1, s1
	s_cbranch_execz .LBB113_493
; %bb.492:
	v_div_scale_f64 v[217:218], null, v[213:214], v[213:214], v[215:216]
	v_div_scale_f64 v[247:248], vcc_lo, v[215:216], v[213:214], v[215:216]
	v_rcp_f64_e32 v[219:220], v[217:218]
	v_fma_f64 v[245:246], -v[217:218], v[219:220], 1.0
	v_fma_f64 v[219:220], v[219:220], v[245:246], v[219:220]
	v_fma_f64 v[245:246], -v[217:218], v[219:220], 1.0
	v_fma_f64 v[219:220], v[219:220], v[245:246], v[219:220]
	v_mul_f64 v[245:246], v[247:248], v[219:220]
	v_fma_f64 v[217:218], -v[217:218], v[245:246], v[247:248]
	v_div_fmas_f64 v[217:218], v[217:218], v[219:220], v[245:246]
	v_div_fixup_f64 v[219:220], v[217:218], v[213:214], v[215:216]
	v_fma_f64 v[213:214], v[215:216], v[219:220], v[213:214]
	v_div_scale_f64 v[215:216], null, v[213:214], v[213:214], 1.0
	v_rcp_f64_e32 v[217:218], v[215:216]
	v_fma_f64 v[245:246], -v[215:216], v[217:218], 1.0
	v_fma_f64 v[217:218], v[217:218], v[245:246], v[217:218]
	v_fma_f64 v[245:246], -v[215:216], v[217:218], 1.0
	v_fma_f64 v[217:218], v[217:218], v[245:246], v[217:218]
	v_div_scale_f64 v[245:246], vcc_lo, 1.0, v[213:214], 1.0
	v_mul_f64 v[247:248], v[245:246], v[217:218]
	v_fma_f64 v[215:216], -v[215:216], v[247:248], v[245:246]
	v_div_fmas_f64 v[215:216], v[215:216], v[217:218], v[247:248]
	v_div_fixup_f64 v[217:218], v[215:216], v[213:214], 1.0
	v_mul_f64 v[219:220], v[219:220], -v[217:218]
.LBB113_493:
	s_or_b32 exec_lo, exec_lo, s1
	ds_write2_b64 v255, v[217:218], v[219:220] offset1:1
.LBB113_494:
	s_or_b32 exec_lo, exec_lo, s2
	s_waitcnt lgkmcnt(0)
	s_barrier
	buffer_gl0_inv
	ds_read2_b64 v[217:220], v255 offset1:1
	s_mov_b32 s1, exec_lo
	v_cmpx_lt_u32_e32 54, v0
	s_cbranch_execz .LBB113_496
; %bb.495:
	s_waitcnt lgkmcnt(0)
	v_mul_f64 v[213:214], v[217:218], v[11:12]
	v_mul_f64 v[11:12], v[219:220], v[11:12]
	v_fma_f64 v[245:246], v[219:220], v[9:10], v[213:214]
	ds_read2_b64 v[213:216], v253 offset0:110 offset1:111
	v_fma_f64 v[9:10], v[217:218], v[9:10], -v[11:12]
	s_waitcnt lgkmcnt(0)
	v_mul_f64 v[11:12], v[215:216], v[245:246]
	v_fma_f64 v[11:12], v[213:214], v[9:10], -v[11:12]
	v_mul_f64 v[213:214], v[213:214], v[245:246]
	v_add_f64 v[5:6], v[5:6], -v[11:12]
	v_fma_f64 v[213:214], v[215:216], v[9:10], v[213:214]
	v_add_f64 v[7:8], v[7:8], -v[213:214]
	ds_read2_b64 v[213:216], v253 offset0:112 offset1:113
	s_waitcnt lgkmcnt(0)
	v_mul_f64 v[11:12], v[215:216], v[245:246]
	v_fma_f64 v[11:12], v[213:214], v[9:10], -v[11:12]
	v_mul_f64 v[213:214], v[213:214], v[245:246]
	v_add_f64 v[1:2], v[1:2], -v[11:12]
	v_fma_f64 v[213:214], v[215:216], v[9:10], v[213:214]
	v_mov_b32_e32 v11, v245
	v_mov_b32_e32 v12, v246
	v_add_f64 v[3:4], v[3:4], -v[213:214]
.LBB113_496:
	s_or_b32 exec_lo, exec_lo, s1
	s_mov_b32 s2, exec_lo
	s_waitcnt lgkmcnt(0)
	s_barrier
	buffer_gl0_inv
	v_cmpx_eq_u32_e32 55, v0
	s_cbranch_execz .LBB113_503
; %bb.497:
	ds_write2_b64 v255, v[5:6], v[7:8] offset1:1
	ds_write2_b64 v253, v[1:2], v[3:4] offset0:112 offset1:113
	ds_read2_b64 v[213:216], v255 offset1:1
	s_waitcnt lgkmcnt(0)
	v_cmp_neq_f64_e32 vcc_lo, 0, v[213:214]
	v_cmp_neq_f64_e64 s1, 0, v[215:216]
	s_or_b32 s1, vcc_lo, s1
	s_and_b32 exec_lo, exec_lo, s1
	s_cbranch_execz .LBB113_503
; %bb.498:
	v_cmp_ngt_f64_e64 s1, |v[213:214]|, |v[215:216]|
                                        ; implicit-def: $vgpr245_vgpr246
	s_and_saveexec_b32 s3, s1
	s_xor_b32 s1, exec_lo, s3
                                        ; implicit-def: $vgpr247_vgpr248
	s_cbranch_execz .LBB113_500
; %bb.499:
	v_div_scale_f64 v[245:246], null, v[215:216], v[215:216], v[213:214]
	v_mov_b32_e32 v196, v192
	v_mov_b32_e32 v195, v191
	;; [unrolled: 1-line block ×8, first 2 shown]
	v_rcp_f64_e32 v[247:248], v[245:246]
	v_fma_f64 v[209:210], -v[245:246], v[247:248], 1.0
	v_fma_f64 v[209:210], v[247:248], v[209:210], v[247:248]
	v_div_scale_f64 v[247:248], vcc_lo, v[213:214], v[215:216], v[213:214]
	v_fma_f64 v[211:212], -v[245:246], v[209:210], 1.0
	v_fma_f64 v[209:210], v[209:210], v[211:212], v[209:210]
	v_mul_f64 v[211:212], v[247:248], v[209:210]
	v_fma_f64 v[245:246], -v[245:246], v[211:212], v[247:248]
	v_div_fmas_f64 v[209:210], v[245:246], v[209:210], v[211:212]
	v_div_fixup_f64 v[209:210], v[209:210], v[215:216], v[213:214]
	v_fma_f64 v[211:212], v[213:214], v[209:210], v[215:216]
	v_div_scale_f64 v[213:214], null, v[211:212], v[211:212], 1.0
	v_rcp_f64_e32 v[215:216], v[213:214]
	v_fma_f64 v[245:246], -v[213:214], v[215:216], 1.0
	v_fma_f64 v[215:216], v[215:216], v[245:246], v[215:216]
	v_fma_f64 v[245:246], -v[213:214], v[215:216], 1.0
	v_fma_f64 v[215:216], v[215:216], v[245:246], v[215:216]
	v_div_scale_f64 v[245:246], vcc_lo, 1.0, v[211:212], 1.0
	v_mul_f64 v[247:248], v[245:246], v[215:216]
	v_fma_f64 v[213:214], -v[213:214], v[247:248], v[245:246]
	v_div_fmas_f64 v[213:214], v[213:214], v[215:216], v[247:248]
	v_div_fixup_f64 v[247:248], v[213:214], v[211:212], 1.0
                                        ; implicit-def: $vgpr213_vgpr214
	v_mul_f64 v[245:246], v[209:210], v[247:248]
	v_mov_b32_e32 v212, v192
	v_mov_b32_e32 v211, v191
	;; [unrolled: 1-line block ×8, first 2 shown]
	v_xor_b32_e32 v248, 0x80000000, v248
.LBB113_500:
	s_andn2_saveexec_b32 s1, s1
	s_cbranch_execz .LBB113_502
; %bb.501:
	v_mov_b32_e32 v196, v192
	v_mov_b32_e32 v195, v191
	;; [unrolled: 1-line block ×8, first 2 shown]
	v_div_scale_f64 v[209:210], null, v[213:214], v[213:214], v[215:216]
	v_div_scale_f64 v[247:248], vcc_lo, v[215:216], v[213:214], v[215:216]
	v_rcp_f64_e32 v[211:212], v[209:210]
	v_fma_f64 v[245:246], -v[209:210], v[211:212], 1.0
	v_fma_f64 v[211:212], v[211:212], v[245:246], v[211:212]
	v_fma_f64 v[245:246], -v[209:210], v[211:212], 1.0
	v_fma_f64 v[211:212], v[211:212], v[245:246], v[211:212]
	v_mul_f64 v[245:246], v[247:248], v[211:212]
	v_fma_f64 v[209:210], -v[209:210], v[245:246], v[247:248]
	v_div_fmas_f64 v[209:210], v[209:210], v[211:212], v[245:246]
	v_div_fixup_f64 v[209:210], v[209:210], v[213:214], v[215:216]
	v_fma_f64 v[211:212], v[215:216], v[209:210], v[213:214]
	v_div_scale_f64 v[213:214], null, v[211:212], v[211:212], 1.0
	v_rcp_f64_e32 v[215:216], v[213:214]
	v_fma_f64 v[245:246], -v[213:214], v[215:216], 1.0
	v_fma_f64 v[215:216], v[215:216], v[245:246], v[215:216]
	v_fma_f64 v[245:246], -v[213:214], v[215:216], 1.0
	v_fma_f64 v[215:216], v[215:216], v[245:246], v[215:216]
	v_div_scale_f64 v[245:246], vcc_lo, 1.0, v[211:212], 1.0
	v_mul_f64 v[247:248], v[245:246], v[215:216]
	v_fma_f64 v[213:214], -v[213:214], v[247:248], v[245:246]
	v_div_fmas_f64 v[213:214], v[213:214], v[215:216], v[247:248]
	v_div_fixup_f64 v[245:246], v[213:214], v[211:212], 1.0
	v_mul_f64 v[247:248], v[209:210], -v[245:246]
	v_mov_b32_e32 v212, v192
	v_mov_b32_e32 v211, v191
	;; [unrolled: 1-line block ×8, first 2 shown]
.LBB113_502:
	s_or_b32 exec_lo, exec_lo, s1
	ds_write2_b64 v255, v[245:246], v[247:248] offset1:1
.LBB113_503:
	s_or_b32 exec_lo, exec_lo, s2
	s_waitcnt lgkmcnt(0)
	s_barrier
	buffer_gl0_inv
	ds_read2_b64 v[245:248], v255 offset1:1
	s_mov_b32 s1, exec_lo
	v_cmpx_lt_u32_e32 55, v0
	s_cbranch_execz .LBB113_505
; %bb.504:
	v_mov_b32_e32 v193, v209
	v_mov_b32_e32 v194, v210
	;; [unrolled: 1-line block ×4, first 2 shown]
	s_waitcnt lgkmcnt(0)
	v_mul_f64 v[209:210], v[245:246], v[7:8]
	v_mul_f64 v[7:8], v[247:248], v[7:8]
	ds_read2_b64 v[213:216], v253 offset0:112 offset1:113
	v_fma_f64 v[209:210], v[247:248], v[5:6], v[209:210]
	v_fma_f64 v[5:6], v[245:246], v[5:6], -v[7:8]
	s_waitcnt lgkmcnt(0)
	v_mul_f64 v[7:8], v[215:216], v[209:210]
	v_mul_f64 v[211:212], v[213:214], v[209:210]
	v_fma_f64 v[7:8], v[213:214], v[5:6], -v[7:8]
	v_fma_f64 v[211:212], v[215:216], v[5:6], v[211:212]
	v_add_f64 v[1:2], v[1:2], -v[7:8]
	v_add_f64 v[3:4], v[3:4], -v[211:212]
	v_mov_b32_e32 v7, v209
	v_mov_b32_e32 v8, v210
	;; [unrolled: 1-line block ×6, first 2 shown]
.LBB113_505:
	s_or_b32 exec_lo, exec_lo, s1
	s_mov_b32 s2, exec_lo
	s_waitcnt lgkmcnt(0)
	s_barrier
	buffer_gl0_inv
	v_cmpx_eq_u32_e32 56, v0
	s_cbranch_execz .LBB113_512
; %bb.506:
	v_cmp_neq_f64_e32 vcc_lo, 0, v[1:2]
	v_cmp_neq_f64_e64 s1, 0, v[3:4]
	ds_write2_b64 v255, v[1:2], v[3:4] offset1:1
	s_or_b32 s1, vcc_lo, s1
	s_and_b32 exec_lo, exec_lo, s1
	s_cbranch_execz .LBB113_512
; %bb.507:
	v_cmp_ngt_f64_e64 s1, |v[1:2]|, |v[3:4]|
                                        ; implicit-def: $vgpr213_vgpr214
	s_and_saveexec_b32 s3, s1
	s_xor_b32 s1, exec_lo, s3
                                        ; implicit-def: $vgpr215_vgpr216
	s_cbranch_execz .LBB113_509
; %bb.508:
	buffer_store_dword v225, off, s[16:19], 0 offset:1312 ; 4-byte Folded Spill
	buffer_store_dword v226, off, s[16:19], 0 offset:1316 ; 4-byte Folded Spill
	;; [unrolled: 1-line block ×4, first 2 shown]
	v_mov_b32_e32 v225, v241
	v_mov_b32_e32 v226, v242
	;; [unrolled: 1-line block ×212, first 2 shown]
	v_div_scale_f64 v[209:210], null, v[3:4], v[3:4], v[1:2]
	v_div_scale_f64 v[215:216], vcc_lo, v[1:2], v[3:4], v[1:2]
	v_mov_b32_e32 v195, v203
	v_mov_b32_e32 v196, v204
	v_mov_b32_e32 v197, v205
	v_mov_b32_e32 v198, v206
	v_mov_b32_e32 v201, v207
	v_mov_b32_e32 v202, v208
	v_rcp_f64_e32 v[211:212], v[209:210]
	v_fma_f64 v[213:214], -v[209:210], v[211:212], 1.0
	v_fma_f64 v[211:212], v[211:212], v[213:214], v[211:212]
	v_fma_f64 v[213:214], -v[209:210], v[211:212], 1.0
	v_fma_f64 v[211:212], v[211:212], v[213:214], v[211:212]
	v_mul_f64 v[213:214], v[215:216], v[211:212]
	v_fma_f64 v[209:210], -v[209:210], v[213:214], v[215:216]
	v_div_fmas_f64 v[209:210], v[209:210], v[211:212], v[213:214]
	v_div_fixup_f64 v[209:210], v[209:210], v[3:4], v[1:2]
	v_fma_f64 v[211:212], v[1:2], v[209:210], v[3:4]
	v_div_scale_f64 v[213:214], null, v[211:212], v[211:212], 1.0
	v_rcp_f64_e32 v[215:216], v[213:214]
	v_fma_f64 v[253:254], -v[213:214], v[215:216], 1.0
	v_fma_f64 v[215:216], v[215:216], v[253:254], v[215:216]
	v_fma_f64 v[253:254], -v[213:214], v[215:216], 1.0
	v_fma_f64 v[215:216], v[215:216], v[253:254], v[215:216]
	v_div_scale_f64 v[253:254], vcc_lo, 1.0, v[211:212], 1.0
	v_mul_f64 v[205:206], v[253:254], v[215:216]
	v_fma_f64 v[207:208], -v[213:214], v[205:206], v[253:254]
	v_div_fmas_f64 v[205:206], v[207:208], v[215:216], v[205:206]
	v_mov_b32_e32 v208, v202
	v_mov_b32_e32 v207, v201
	v_div_fixup_f64 v[215:216], v[205:206], v[211:212], 1.0
	v_mov_b32_e32 v206, v198
	v_mov_b32_e32 v205, v197
	;; [unrolled: 1-line block ×4, first 2 shown]
	v_mul_f64 v[213:214], v[209:210], v[215:216]
	v_mov_b32_e32 v212, v192
	v_mov_b32_e32 v211, v191
	;; [unrolled: 1-line block ×212, first 2 shown]
	s_clause 0x3
	buffer_load_dword v225, off, s[16:19], 0 offset:1312
	buffer_load_dword v226, off, s[16:19], 0 offset:1316
	;; [unrolled: 1-line block ×4, first 2 shown]
	v_xor_b32_e32 v216, 0x80000000, v216
.LBB113_509:
	s_andn2_saveexec_b32 s1, s1
	s_cbranch_execz .LBB113_511
; %bb.510:
	v_mov_b32_e32 v201, v203
	v_mov_b32_e32 v202, v204
	;; [unrolled: 1-line block ×4, first 2 shown]
	v_div_scale_f64 v[205:206], null, v[1:2], v[1:2], v[3:4]
	v_mov_b32_e32 v254, v208
	v_mov_b32_e32 v253, v207
	;; [unrolled: 1-line block ×10, first 2 shown]
	v_div_scale_f64 v[211:212], vcc_lo, v[3:4], v[1:2], v[3:4]
	v_rcp_f64_e32 v[207:208], v[205:206]
	v_fma_f64 v[209:210], -v[205:206], v[207:208], 1.0
	v_fma_f64 v[207:208], v[207:208], v[209:210], v[207:208]
	v_fma_f64 v[209:210], -v[205:206], v[207:208], 1.0
	v_fma_f64 v[207:208], v[207:208], v[209:210], v[207:208]
	v_mul_f64 v[209:210], v[211:212], v[207:208]
	v_fma_f64 v[205:206], -v[205:206], v[209:210], v[211:212]
	v_div_fmas_f64 v[205:206], v[205:206], v[207:208], v[209:210]
	v_div_fixup_f64 v[205:206], v[205:206], v[1:2], v[3:4]
	v_fma_f64 v[207:208], v[3:4], v[205:206], v[1:2]
	v_div_scale_f64 v[209:210], null, v[207:208], v[207:208], 1.0
	v_rcp_f64_e32 v[211:212], v[209:210]
	v_fma_f64 v[213:214], -v[209:210], v[211:212], 1.0
	v_fma_f64 v[211:212], v[211:212], v[213:214], v[211:212]
	v_fma_f64 v[213:214], -v[209:210], v[211:212], 1.0
	v_fma_f64 v[211:212], v[211:212], v[213:214], v[211:212]
	v_div_scale_f64 v[213:214], vcc_lo, 1.0, v[207:208], 1.0
	v_mul_f64 v[215:216], v[213:214], v[211:212]
	v_fma_f64 v[209:210], -v[209:210], v[215:216], v[213:214]
	v_div_fmas_f64 v[209:210], v[209:210], v[211:212], v[215:216]
	v_div_fixup_f64 v[213:214], v[209:210], v[207:208], 1.0
	v_mov_b32_e32 v212, v192
	v_mov_b32_e32 v211, v191
	;; [unrolled: 1-line block ×10, first 2 shown]
	v_mul_f64 v[215:216], v[205:206], -v[213:214]
	v_mov_b32_e32 v206, v204
	v_mov_b32_e32 v205, v203
	;; [unrolled: 1-line block ×4, first 2 shown]
.LBB113_511:
	s_or_b32 exec_lo, exec_lo, s1
	ds_write2_b64 v255, v[213:214], v[215:216] offset1:1
.LBB113_512:
	s_or_b32 exec_lo, exec_lo, s2
	s_waitcnt vmcnt(0) lgkmcnt(0)
	s_waitcnt_vscnt null, 0x0
	s_barrier
	buffer_gl0_inv
	ds_read2_b64 v[213:216], v255 offset1:1
	s_mov_b32 s1, exec_lo
	v_cmpx_lt_u32_e32 56, v0
	s_cbranch_execz .LBB113_514
; %bb.513:
	v_mov_b32_e32 v193, v203
	v_mov_b32_e32 v194, v204
	;; [unrolled: 1-line block ×4, first 2 shown]
	s_waitcnt lgkmcnt(0)
	v_mul_f64 v[205:206], v[215:216], v[3:4]
	v_mul_f64 v[3:4], v[213:214], v[3:4]
	v_fma_f64 v[205:206], v[213:214], v[1:2], -v[205:206]
	v_fma_f64 v[3:4], v[215:216], v[1:2], v[3:4]
	v_mov_b32_e32 v1, v205
	v_mov_b32_e32 v2, v206
	;; [unrolled: 1-line block ×6, first 2 shown]
.LBB113_514:
	s_or_b32 exec_lo, exec_lo, s1
	s_waitcnt lgkmcnt(0)
	s_barrier
	buffer_gl0_inv
	s_and_saveexec_b32 s7, s0
	s_cbranch_execz .LBB113_517
; %bb.515:
	s_clause 0x3
	buffer_load_dword v193, off, s[16:19], 0 offset:464
	buffer_load_dword v194, off, s[16:19], 0 offset:468
	;; [unrolled: 1-line block ×4, first 2 shown]
	s_waitcnt vmcnt(2)
	v_cmp_eq_f64_e32 vcc_lo, 0, v[193:194]
	s_waitcnt vmcnt(0)
	v_cmp_eq_f64_e64 s0, 0, v[195:196]
	s_clause 0x3
	buffer_load_dword v193, off, s[16:19], 0 offset:480
	buffer_load_dword v194, off, s[16:19], 0 offset:484
	;; [unrolled: 1-line block ×4, first 2 shown]
	s_and_b32 s0, vcc_lo, s0
	v_cndmask_b32_e64 v0, 0, 1, s0
	s_waitcnt vmcnt(2)
	v_cmp_neq_f64_e64 s1, 0, v[193:194]
	s_waitcnt vmcnt(0)
	v_cmp_neq_f64_e64 s2, 0, v[195:196]
	s_clause 0x3
	buffer_load_dword v193, off, s[16:19], 0 offset:496
	buffer_load_dword v194, off, s[16:19], 0 offset:500
	;; [unrolled: 1-line block ×4, first 2 shown]
	s_or_b32 s1, s1, s2
	s_or_b32 s0, s1, s0
	v_cndmask_b32_e64 v0, 2, v0, s0
	v_cmp_eq_u32_e64 s0, 0, v0
	s_waitcnt vmcnt(2)
	v_cmp_eq_f64_e64 s3, 0, v[193:194]
	s_waitcnt vmcnt(0)
	v_cmp_eq_f64_e64 s4, 0, v[195:196]
	s_clause 0x3
	buffer_load_dword v193, off, s[16:19], 0 offset:512
	buffer_load_dword v194, off, s[16:19], 0 offset:516
	;; [unrolled: 1-line block ×4, first 2 shown]
	s_and_b32 s3, s3, s4
	s_and_b32 s0, s3, s0
	v_cndmask_b32_e64 v0, v0, 3, s0
	v_cmp_eq_u32_e64 s0, 0, v0
	s_waitcnt vmcnt(2)
	v_cmp_eq_f64_e64 s5, 0, v[193:194]
	s_waitcnt vmcnt(0)
	v_cmp_eq_f64_e32 vcc_lo, 0, v[195:196]
	s_clause 0x3
	buffer_load_dword v193, off, s[16:19], 0 offset:528
	buffer_load_dword v194, off, s[16:19], 0 offset:532
	;; [unrolled: 1-line block ×4, first 2 shown]
	s_and_b32 s5, s5, vcc_lo
	s_and_b32 s0, s5, s0
	v_cndmask_b32_e64 v0, v0, 4, s0
	v_cmp_eq_u32_e32 vcc_lo, 0, v0
	s_waitcnt vmcnt(2)
	v_cmp_eq_f64_e64 s1, 0, v[193:194]
	s_waitcnt vmcnt(0)
	v_cmp_eq_f64_e64 s2, 0, v[195:196]
	s_clause 0x3
	buffer_load_dword v193, off, s[16:19], 0 offset:544
	buffer_load_dword v194, off, s[16:19], 0 offset:548
	;; [unrolled: 1-line block ×4, first 2 shown]
	s_and_b32 s1, s1, s2
	s_and_b32 s1, s1, vcc_lo
	v_cndmask_b32_e64 v0, v0, 5, s1
	v_cmp_eq_u32_e32 vcc_lo, 0, v0
	s_waitcnt vmcnt(2)
	v_cmp_eq_f64_e64 s3, 0, v[193:194]
	s_waitcnt vmcnt(0)
	v_cmp_eq_f64_e64 s4, 0, v[195:196]
	s_clause 0x3
	buffer_load_dword v193, off, s[16:19], 0 offset:560
	buffer_load_dword v194, off, s[16:19], 0 offset:564
	;; [unrolled: 1-line block ×4, first 2 shown]
	s_and_b32 s3, s3, s4
	v_cmp_eq_f64_e64 s4, 0, v[205:206]
	s_and_b32 s3, s3, vcc_lo
	v_lshlrev_b64 v[205:206], 2, v[199:200]
	v_cndmask_b32_e64 v0, v0, 6, s3
	v_cmp_eq_f64_e64 s3, 0, v[203:204]
	v_cmp_eq_u32_e32 vcc_lo, 0, v0
	s_and_b32 s3, s3, s4
	s_waitcnt vmcnt(2)
	v_cmp_eq_f64_e64 s0, 0, v[193:194]
	s_waitcnt vmcnt(0)
	v_cmp_eq_f64_e64 s5, 0, v[195:196]
	s_clause 0x3
	buffer_load_dword v193, off, s[16:19], 0 offset:576
	buffer_load_dword v194, off, s[16:19], 0 offset:580
	;; [unrolled: 1-line block ×4, first 2 shown]
	s_and_b32 s0, s0, s5
	s_and_b32 s0, s0, vcc_lo
	v_cndmask_b32_e64 v0, v0, 7, s0
	v_cmp_eq_u32_e32 vcc_lo, 0, v0
	s_waitcnt vmcnt(2)
	v_cmp_eq_f64_e64 s1, 0, v[193:194]
	s_waitcnt vmcnt(0)
	v_cmp_eq_f64_e64 s2, 0, v[195:196]
	s_clause 0x3
	buffer_load_dword v193, off, s[16:19], 0 offset:608
	buffer_load_dword v194, off, s[16:19], 0 offset:612
	buffer_load_dword v195, off, s[16:19], 0 offset:616
	buffer_load_dword v196, off, s[16:19], 0 offset:620
	s_and_b32 s1, s1, s2
	s_and_b32 s1, s1, vcc_lo
	v_cndmask_b32_e64 v0, v0, 8, s1
	v_cmp_eq_u32_e32 vcc_lo, 0, v0
	s_and_b32 s3, s3, vcc_lo
	v_cndmask_b32_e64 v0, v0, 9, s3
	v_cmp_eq_u32_e32 vcc_lo, 0, v0
	s_waitcnt vmcnt(2)
	v_cmp_eq_f64_e64 s0, 0, v[193:194]
	s_waitcnt vmcnt(0)
	v_cmp_eq_f64_e64 s5, 0, v[195:196]
	s_clause 0x3
	buffer_load_dword v193, off, s[16:19], 0 offset:624
	buffer_load_dword v194, off, s[16:19], 0 offset:628
	buffer_load_dword v195, off, s[16:19], 0 offset:632
	buffer_load_dword v196, off, s[16:19], 0 offset:636
	s_and_b32 s0, s0, s5
	s_and_b32 s0, s0, vcc_lo
	v_cndmask_b32_e64 v0, v0, 10, s0
	v_cmp_eq_u32_e32 vcc_lo, 0, v0
	s_waitcnt vmcnt(2)
	v_cmp_eq_f64_e64 s1, 0, v[193:194]
	s_waitcnt vmcnt(0)
	v_cmp_eq_f64_e64 s2, 0, v[195:196]
	s_clause 0x3
	buffer_load_dword v193, off, s[16:19], 0 offset:640
	buffer_load_dword v194, off, s[16:19], 0 offset:644
	buffer_load_dword v195, off, s[16:19], 0 offset:648
	buffer_load_dword v196, off, s[16:19], 0 offset:652
	s_and_b32 s1, s1, s2
	;; [unrolled: 13-line block ×18, first 2 shown]
	v_add_co_u32 v253, s4, s10, v205
	v_add_co_ci_u32_e64 v254, null, s11, v206, s4
	s_and_b32 s0, s0, vcc_lo
	v_cndmask_b32_e64 v0, v0, 27, s0
	v_cmp_eq_u32_e64 s3, 0, v0
	s_waitcnt vmcnt(2)
	v_cmp_eq_f64_e64 s5, 0, v[193:194]
	s_waitcnt vmcnt(0)
	v_cmp_eq_f64_e64 s6, 0, v[195:196]
	s_clause 0x3
	buffer_load_dword v193, off, s[16:19], 0 offset:912
	buffer_load_dword v194, off, s[16:19], 0 offset:916
	buffer_load_dword v195, off, s[16:19], 0 offset:920
	buffer_load_dword v196, off, s[16:19], 0 offset:924
	s_and_b32 s5, s5, s6
	s_and_b32 s3, s5, s3
	v_cndmask_b32_e64 v0, v0, 28, s3
	v_cmp_eq_u32_e64 s3, 0, v0
	s_waitcnt vmcnt(2)
	v_cmp_eq_f64_e64 s1, 0, v[193:194]
	s_waitcnt vmcnt(0)
	v_cmp_eq_f64_e64 s2, 0, v[195:196]
	s_clause 0x3
	buffer_load_dword v193, off, s[16:19], 0 offset:928
	buffer_load_dword v194, off, s[16:19], 0 offset:932
	;; [unrolled: 1-line block ×4, first 2 shown]
	global_load_dword v205, v[253:254], off
	s_and_b32 s1, s1, s2
	s_and_b32 s1, s1, s3
	v_cndmask_b32_e64 v0, v0, 29, s1
	v_cmp_eq_u32_e64 s1, 0, v0
	s_waitcnt vmcnt(3)
	v_cmp_eq_f64_e32 vcc_lo, 0, v[193:194]
	s_waitcnt vmcnt(1)
	v_cmp_eq_f64_e64 s0, 0, v[195:196]
	s_clause 0x3
	buffer_load_dword v193, off, s[16:19], 0 offset:944
	buffer_load_dword v194, off, s[16:19], 0 offset:948
	;; [unrolled: 1-line block ×4, first 2 shown]
	s_and_b32 s0, vcc_lo, s0
	s_and_b32 s0, s0, s1
	v_cndmask_b32_e64 v0, v0, 30, s0
	v_cmp_eq_u32_e32 vcc_lo, 0, v0
	s_waitcnt vmcnt(2)
	v_cmp_eq_f64_e64 s4, 0, v[193:194]
	s_waitcnt vmcnt(0)
	v_cmp_eq_f64_e64 s5, 0, v[195:196]
	s_clause 0x3
	buffer_load_dword v193, off, s[16:19], 0 offset:960
	buffer_load_dword v194, off, s[16:19], 0 offset:964
	buffer_load_dword v195, off, s[16:19], 0 offset:968
	buffer_load_dword v196, off, s[16:19], 0 offset:972
	s_and_b32 s4, s4, s5
	s_and_b32 s4, s4, vcc_lo
	v_cndmask_b32_e64 v0, v0, 31, s4
	v_cmp_eq_u32_e32 vcc_lo, 0, v0
	s_waitcnt vmcnt(2)
	v_cmp_eq_f64_e64 s2, 0, v[193:194]
	s_waitcnt vmcnt(0)
	v_cmp_eq_f64_e64 s3, 0, v[195:196]
	s_clause 0x3
	buffer_load_dword v193, off, s[16:19], 0 offset:976
	buffer_load_dword v194, off, s[16:19], 0 offset:980
	buffer_load_dword v195, off, s[16:19], 0 offset:984
	buffer_load_dword v196, off, s[16:19], 0 offset:988
	s_and_b32 s2, s2, s3
	s_and_b32 s2, s2, vcc_lo
	;; [unrolled: 13-line block ×20, first 2 shown]
	v_cndmask_b32_e64 v0, v0, 50, s2
	v_cmp_eq_u32_e32 vcc_lo, 0, v0
	s_waitcnt vmcnt(2)
	v_cmp_eq_f64_e64 s0, 0, v[193:194]
	s_waitcnt vmcnt(0)
	v_cmp_eq_f64_e64 s1, 0, v[195:196]
	s_clause 0x3
	buffer_load_dword v193, off, s[16:19], 0 offset:1280
	buffer_load_dword v194, off, s[16:19], 0 offset:1284
	;; [unrolled: 1-line block ×4, first 2 shown]
	s_and_b32 s0, s0, s1
	v_cmp_eq_f64_e64 s1, 0, v[223:224]
	s_and_b32 s0, s0, vcc_lo
	v_cndmask_b32_e64 v0, v0, 51, s0
	v_cmp_eq_f64_e64 s0, 0, v[221:222]
	v_cmp_eq_u32_e32 vcc_lo, 0, v0
	s_and_b32 s0, s0, s1
	v_cmp_eq_f64_e64 s1, 0, v[215:216]
	s_waitcnt vmcnt(2)
	v_cmp_eq_f64_e64 s4, 0, v[193:194]
	s_waitcnt vmcnt(0)
	v_cmp_eq_f64_e64 s5, 0, v[195:196]
	s_clause 0x3
	buffer_load_dword v193, off, s[16:19], 0 offset:1296
	buffer_load_dword v194, off, s[16:19], 0 offset:1300
	;; [unrolled: 1-line block ×4, first 2 shown]
	s_and_b32 s4, s4, s5
	v_cmp_eq_f64_e64 s5, 0, v[219:220]
	s_and_b32 s4, s4, vcc_lo
	v_cndmask_b32_e64 v0, v0, 52, s4
	v_cmp_eq_f64_e64 s4, 0, v[217:218]
	v_cmp_eq_u32_e32 vcc_lo, 0, v0
	s_and_b32 s4, s4, s5
	s_waitcnt vmcnt(2)
	v_cmp_eq_f64_e64 s2, 0, v[193:194]
	s_waitcnt vmcnt(0)
	v_cmp_eq_f64_e64 s3, 0, v[195:196]
	s_and_b32 s2, s2, s3
	v_cmp_eq_f64_e64 s3, 0, v[247:248]
	s_and_b32 s2, s2, vcc_lo
	v_cndmask_b32_e64 v0, v0, 53, s2
	v_cmp_eq_f64_e64 s2, 0, v[245:246]
	v_cmp_eq_u32_e32 vcc_lo, 0, v0
	s_and_b32 s0, s0, vcc_lo
	v_cndmask_b32_e64 v0, v0, 54, s0
	v_cmp_eq_f64_e64 s0, 0, v[213:214]
	v_cmp_eq_u32_e32 vcc_lo, 0, v0
	s_and_b32 s4, s4, vcc_lo
	s_and_b32 s2, s2, s3
	v_cndmask_b32_e64 v0, v0, 55, s4
	v_cmp_eq_u32_e32 vcc_lo, 0, v0
	s_and_b32 s2, s2, vcc_lo
	s_and_b32 s0, s0, s1
	v_cndmask_b32_e64 v0, v0, 56, s2
	v_cmp_eq_u32_e32 vcc_lo, 0, v0
	s_and_b32 s0, s0, vcc_lo
	v_cmp_eq_u32_e32 vcc_lo, 0, v205
	v_cndmask_b32_e64 v0, v0, 57, s0
	v_cmp_ne_u32_e64 s0, 0, v0
	s_and_b32 s0, vcc_lo, s0
	s_and_b32 exec_lo, exec_lo, s0
	s_cbranch_execz .LBB113_517
; %bb.516:
	v_add_nc_u32_e32 v0, s13, v0
	global_store_dword v[253:254], v0, off
.LBB113_517:
	s_or_b32 exec_lo, exec_lo, s7
	s_clause 0x5
	buffer_load_dword v193, off, s[16:19], 0 offset:440
	buffer_load_dword v194, off, s[16:19], 0 offset:444
	;; [unrolled: 1-line block ×6, first 2 shown]
	s_waitcnt vmcnt(0)
	global_store_dwordx4 v[193:194], v[203:206], off
	s_clause 0x5
	buffer_load_dword v193, off, s[16:19], 0 offset:448
	buffer_load_dword v194, off, s[16:19], 0 offset:452
	buffer_load_dword v203, off, s[16:19], 0
	buffer_load_dword v204, off, s[16:19], 0 offset:4
	buffer_load_dword v205, off, s[16:19], 0 offset:8
	;; [unrolled: 1-line block ×3, first 2 shown]
	s_waitcnt vmcnt(0)
	global_store_dwordx4 v[193:194], v[203:206], off
	s_clause 0x1
	buffer_load_dword v193, off, s[16:19], 0 offset:592
	buffer_load_dword v194, off, s[16:19], 0 offset:596
	s_waitcnt vmcnt(0)
	global_store_dwordx4 v[193:194], v[225:228], off
	s_clause 0x1
	buffer_load_dword v201, off, s[16:19], 0 offset:32
	buffer_load_dword v202, off, s[16:19], 0 offset:36
	s_waitcnt vmcnt(0)
	global_store_dwordx4 v[201:202], v[241:244], off
	global_store_dwordx4 v[207:208], v[237:240], off
	s_clause 0x1
	buffer_load_dword v193, off, s[16:19], 0 offset:456
	buffer_load_dword v194, off, s[16:19], 0 offset:460
	s_waitcnt vmcnt(0)
	global_store_dwordx4 v[193:194], v[233:236], off
	s_clause 0x1
	buffer_load_dword v199, off, s[16:19], 0 offset:40
	buffer_load_dword v200, off, s[16:19], 0 offset:44
	s_waitcnt vmcnt(0)
	;; [unrolled: 5-line block ×52, first 2 shown]
	global_store_dwordx4 v[5:6], v[1:4], off
.LBB113_518:
	s_endpgm
	.section	.rodata,"a",@progbits
	.p2align	6, 0x0
	.amdhsa_kernel _ZN9rocsolver6v33100L23getf2_npvt_small_kernelILi57E19rocblas_complex_numIdEiiPS3_EEvT1_T3_lS5_lPT2_S5_S5_
		.amdhsa_group_segment_fixed_size 0
		.amdhsa_private_segment_fixed_size 1332
		.amdhsa_kernarg_size 312
		.amdhsa_user_sgpr_count 6
		.amdhsa_user_sgpr_private_segment_buffer 1
		.amdhsa_user_sgpr_dispatch_ptr 0
		.amdhsa_user_sgpr_queue_ptr 0
		.amdhsa_user_sgpr_kernarg_segment_ptr 1
		.amdhsa_user_sgpr_dispatch_id 0
		.amdhsa_user_sgpr_flat_scratch_init 0
		.amdhsa_user_sgpr_private_segment_size 0
		.amdhsa_wavefront_size32 1
		.amdhsa_uses_dynamic_stack 0
		.amdhsa_system_sgpr_private_segment_wavefront_offset 1
		.amdhsa_system_sgpr_workgroup_id_x 1
		.amdhsa_system_sgpr_workgroup_id_y 1
		.amdhsa_system_sgpr_workgroup_id_z 0
		.amdhsa_system_sgpr_workgroup_info 0
		.amdhsa_system_vgpr_workitem_id 1
		.amdhsa_next_free_vgpr 256
		.amdhsa_next_free_sgpr 22
		.amdhsa_reserve_vcc 1
		.amdhsa_reserve_flat_scratch 0
		.amdhsa_float_round_mode_32 0
		.amdhsa_float_round_mode_16_64 0
		.amdhsa_float_denorm_mode_32 3
		.amdhsa_float_denorm_mode_16_64 3
		.amdhsa_dx10_clamp 1
		.amdhsa_ieee_mode 1
		.amdhsa_fp16_overflow 0
		.amdhsa_workgroup_processor_mode 1
		.amdhsa_memory_ordered 1
		.amdhsa_forward_progress 1
		.amdhsa_shared_vgpr_count 0
		.amdhsa_exception_fp_ieee_invalid_op 0
		.amdhsa_exception_fp_denorm_src 0
		.amdhsa_exception_fp_ieee_div_zero 0
		.amdhsa_exception_fp_ieee_overflow 0
		.amdhsa_exception_fp_ieee_underflow 0
		.amdhsa_exception_fp_ieee_inexact 0
		.amdhsa_exception_int_div_zero 0
	.end_amdhsa_kernel
	.section	.text._ZN9rocsolver6v33100L23getf2_npvt_small_kernelILi57E19rocblas_complex_numIdEiiPS3_EEvT1_T3_lS5_lPT2_S5_S5_,"axG",@progbits,_ZN9rocsolver6v33100L23getf2_npvt_small_kernelILi57E19rocblas_complex_numIdEiiPS3_EEvT1_T3_lS5_lPT2_S5_S5_,comdat
.Lfunc_end113:
	.size	_ZN9rocsolver6v33100L23getf2_npvt_small_kernelILi57E19rocblas_complex_numIdEiiPS3_EEvT1_T3_lS5_lPT2_S5_S5_, .Lfunc_end113-_ZN9rocsolver6v33100L23getf2_npvt_small_kernelILi57E19rocblas_complex_numIdEiiPS3_EEvT1_T3_lS5_lPT2_S5_S5_
                                        ; -- End function
	.set _ZN9rocsolver6v33100L23getf2_npvt_small_kernelILi57E19rocblas_complex_numIdEiiPS3_EEvT1_T3_lS5_lPT2_S5_S5_.num_vgpr, 256
	.set _ZN9rocsolver6v33100L23getf2_npvt_small_kernelILi57E19rocblas_complex_numIdEiiPS3_EEvT1_T3_lS5_lPT2_S5_S5_.num_agpr, 0
	.set _ZN9rocsolver6v33100L23getf2_npvt_small_kernelILi57E19rocblas_complex_numIdEiiPS3_EEvT1_T3_lS5_lPT2_S5_S5_.numbered_sgpr, 22
	.set _ZN9rocsolver6v33100L23getf2_npvt_small_kernelILi57E19rocblas_complex_numIdEiiPS3_EEvT1_T3_lS5_lPT2_S5_S5_.num_named_barrier, 0
	.set _ZN9rocsolver6v33100L23getf2_npvt_small_kernelILi57E19rocblas_complex_numIdEiiPS3_EEvT1_T3_lS5_lPT2_S5_S5_.private_seg_size, 1332
	.set _ZN9rocsolver6v33100L23getf2_npvt_small_kernelILi57E19rocblas_complex_numIdEiiPS3_EEvT1_T3_lS5_lPT2_S5_S5_.uses_vcc, 1
	.set _ZN9rocsolver6v33100L23getf2_npvt_small_kernelILi57E19rocblas_complex_numIdEiiPS3_EEvT1_T3_lS5_lPT2_S5_S5_.uses_flat_scratch, 0
	.set _ZN9rocsolver6v33100L23getf2_npvt_small_kernelILi57E19rocblas_complex_numIdEiiPS3_EEvT1_T3_lS5_lPT2_S5_S5_.has_dyn_sized_stack, 0
	.set _ZN9rocsolver6v33100L23getf2_npvt_small_kernelILi57E19rocblas_complex_numIdEiiPS3_EEvT1_T3_lS5_lPT2_S5_S5_.has_recursion, 0
	.set _ZN9rocsolver6v33100L23getf2_npvt_small_kernelILi57E19rocblas_complex_numIdEiiPS3_EEvT1_T3_lS5_lPT2_S5_S5_.has_indirect_call, 0
	.section	.AMDGPU.csdata,"",@progbits
; Kernel info:
; codeLenInByte = 157732
; TotalNumSgprs: 24
; NumVgprs: 256
; ScratchSize: 1332
; MemoryBound: 1
; FloatMode: 240
; IeeeMode: 1
; LDSByteSize: 0 bytes/workgroup (compile time only)
; SGPRBlocks: 0
; VGPRBlocks: 31
; NumSGPRsForWavesPerEU: 24
; NumVGPRsForWavesPerEU: 256
; Occupancy: 4
; WaveLimiterHint : 0
; COMPUTE_PGM_RSRC2:SCRATCH_EN: 1
; COMPUTE_PGM_RSRC2:USER_SGPR: 6
; COMPUTE_PGM_RSRC2:TRAP_HANDLER: 0
; COMPUTE_PGM_RSRC2:TGID_X_EN: 1
; COMPUTE_PGM_RSRC2:TGID_Y_EN: 1
; COMPUTE_PGM_RSRC2:TGID_Z_EN: 0
; COMPUTE_PGM_RSRC2:TIDIG_COMP_CNT: 1
	.section	.text._ZN9rocsolver6v33100L18getf2_small_kernelILi58E19rocblas_complex_numIdEiiPS3_EEvT1_T3_lS5_lPS5_llPT2_S5_S5_S7_l,"axG",@progbits,_ZN9rocsolver6v33100L18getf2_small_kernelILi58E19rocblas_complex_numIdEiiPS3_EEvT1_T3_lS5_lPS5_llPT2_S5_S5_S7_l,comdat
	.globl	_ZN9rocsolver6v33100L18getf2_small_kernelILi58E19rocblas_complex_numIdEiiPS3_EEvT1_T3_lS5_lPS5_llPT2_S5_S5_S7_l ; -- Begin function _ZN9rocsolver6v33100L18getf2_small_kernelILi58E19rocblas_complex_numIdEiiPS3_EEvT1_T3_lS5_lPS5_llPT2_S5_S5_S7_l
	.p2align	8
	.type	_ZN9rocsolver6v33100L18getf2_small_kernelILi58E19rocblas_complex_numIdEiiPS3_EEvT1_T3_lS5_lPS5_llPT2_S5_S5_S7_l,@function
_ZN9rocsolver6v33100L18getf2_small_kernelILi58E19rocblas_complex_numIdEiiPS3_EEvT1_T3_lS5_lPS5_llPT2_S5_S5_S7_l: ; @_ZN9rocsolver6v33100L18getf2_small_kernelILi58E19rocblas_complex_numIdEiiPS3_EEvT1_T3_lS5_lPS5_llPT2_S5_S5_S7_l
; %bb.0:
	s_mov_b64 s[22:23], s[2:3]
	s_mov_b64 s[20:21], s[0:1]
	s_clause 0x1
	s_load_dword s0, s[4:5], 0x6c
	s_load_dwordx2 s[16:17], s[4:5], 0x48
	s_add_u32 s20, s20, s8
	s_addc_u32 s21, s21, 0
	s_waitcnt lgkmcnt(0)
	s_lshr_b32 s0, s0, 16
	v_mad_u64_u32 v[8:9], null, s7, s0, v[1:2]
	s_mov_b32 s0, exec_lo
	v_cmpx_gt_i32_e64 s16, v8
	s_cbranch_execnz .LBB114_1
; %bb.1222:
	s_getpc_b64 s[18:19]
.Lpost_getpc16:
	s_add_u32 s18, s18, (.LBB114_1221-.Lpost_getpc16)&4294967295
	s_addc_u32 s19, s19, (.LBB114_1221-.Lpost_getpc16)>>32
	s_setpc_b64 s[18:19]
.LBB114_1:
	s_load_dwordx4 s[0:3], s[4:5], 0x50
	v_mov_b32_e32 v2, 0
	v_ashrrev_i32_e32 v9, 31, v8
	v_mov_b32_e32 v3, 0
	buffer_store_dword v2, off, s[20:23], 0 ; 4-byte Folded Spill
	buffer_store_dword v3, off, s[20:23], 0 offset:4 ; 4-byte Folded Spill
	s_waitcnt lgkmcnt(0)
	s_cmp_eq_u64 s[0:1], 0
	s_cselect_b32 s16, -1, 0
	s_and_b32 vcc_lo, exec_lo, s16
	s_cbranch_vccnz .LBB114_3
; %bb.2:
	v_mul_lo_u32 v4, s3, v8
	v_mul_lo_u32 v5, s2, v9
	v_mad_u64_u32 v[2:3], null, s2, v8, 0
	v_add3_u32 v3, v3, v5, v4
	v_lshlrev_b64 v[2:3], 2, v[2:3]
	v_add_co_u32 v2, vcc_lo, s0, v2
	v_add_co_ci_u32_e64 v3, null, s1, v3, vcc_lo
	buffer_store_dword v2, off, s[20:23], 0 ; 4-byte Folded Spill
	buffer_store_dword v3, off, s[20:23], 0 offset:4 ; 4-byte Folded Spill
.LBB114_3:
	s_clause 0x2
	s_load_dwordx8 s[8:15], s[4:5], 0x20
	s_load_dword s6, s[4:5], 0x18
	s_load_dwordx4 s[0:3], s[4:5], 0x8
	v_mov_b32_e32 v245, v9
	v_mov_b32_e32 v244, v8
	v_lshlrev_b32_e32 v216, 4, v0
	s_waitcnt lgkmcnt(0)
	v_mul_lo_u32 v5, s9, v8
	v_mul_lo_u32 v7, s8, v9
	v_mad_u64_u32 v[2:3], null, s8, v8, 0
	v_add3_u32 v4, s6, s6, v0
	s_lshl_b64 s[2:3], s[2:3], 4
	s_ashr_i32 s7, s6, 31
	s_clause 0x1
	s_load_dword s8, s[4:5], 0x0
	s_load_dwordx2 s[4:5], s[4:5], 0x40
	v_add_nc_u32_e32 v6, s6, v4
	v_add3_u32 v3, v3, v7, v5
	v_ashrrev_i32_e32 v5, 31, v4
	v_add_nc_u32_e32 v8, s6, v6
	v_lshlrev_b64 v[2:3], 4, v[2:3]
	v_ashrrev_i32_e32 v7, 31, v6
	v_lshlrev_b64 v[4:5], 4, v[4:5]
	v_ashrrev_i32_e32 v9, 31, v8
	v_add_nc_u32_e32 v10, s6, v8
	v_add_co_u32 v12, vcc_lo, s0, v2
	v_add_co_ci_u32_e64 v13, null, s1, v3, vcc_lo
	v_lshlrev_b64 v[2:3], 4, v[8:9]
	v_add_nc_u32_e32 v8, s6, v10
	v_add_co_u32 v255, vcc_lo, v12, s2
	v_ashrrev_i32_e32 v11, 31, v10
	v_lshlrev_b64 v[6:7], 4, v[6:7]
	v_add_nc_u32_e32 v12, s6, v8
	v_add_co_ci_u32_e64 v246, null, s3, v13, vcc_lo
	v_ashrrev_i32_e32 v9, 31, v8
	v_lshlrev_b64 v[10:11], 4, v[10:11]
	v_add_nc_u32_e32 v14, s6, v12
	v_ashrrev_i32_e32 v13, 31, v12
	v_add_co_u32 v4, vcc_lo, v255, v4
	v_add_co_ci_u32_e64 v5, null, v246, v5, vcc_lo
	v_add_nc_u32_e32 v16, s6, v14
	v_ashrrev_i32_e32 v15, 31, v14
	v_add_co_u32 v6, vcc_lo, v255, v6
	v_lshlrev_b64 v[8:9], 4, v[8:9]
	v_add_nc_u32_e32 v18, s6, v16
	v_ashrrev_i32_e32 v17, 31, v16
	v_add_co_ci_u32_e64 v7, null, v246, v7, vcc_lo
	v_add_co_u32 v2, vcc_lo, v255, v2
	v_add_nc_u32_e32 v20, s6, v18
	v_lshlrev_b64 v[12:13], 4, v[12:13]
	v_ashrrev_i32_e32 v19, 31, v18
	v_add_co_ci_u32_e64 v3, null, v246, v3, vcc_lo
	v_add_nc_u32_e32 v22, s6, v20
	v_add_co_u32 v10, vcc_lo, v255, v10
	v_lshlrev_b64 v[14:15], 4, v[14:15]
	v_ashrrev_i32_e32 v21, 31, v20
	v_add_nc_u32_e32 v24, s6, v22
	v_add_co_ci_u32_e64 v11, null, v246, v11, vcc_lo
	v_add_co_u32 v8, vcc_lo, v255, v8
	v_add_nc_u32_e32 v26, s6, v24
	v_lshlrev_b64 v[16:17], 4, v[16:17]
	v_ashrrev_i32_e32 v23, 31, v22
	v_add_co_ci_u32_e64 v9, null, v246, v9, vcc_lo
	v_add_nc_u32_e32 v28, s6, v26
	v_add_co_u32 v12, vcc_lo, v255, v12
	v_lshlrev_b64 v[18:19], 4, v[18:19]
	v_ashrrev_i32_e32 v25, 31, v24
	v_add_nc_u32_e32 v30, s6, v28
	;; [unrolled: 11-line block ×8, first 2 shown]
	v_add_co_ci_u32_e64 v37, null, v246, v37, vcc_lo
	v_add_co_u32 v38, vcc_lo, v255, v38
	v_add_nc_u32_e32 v68, s6, v66
	v_lshlrev_b64 v[44:45], 4, v[44:45]
	v_ashrrev_i32_e32 v51, 31, v50
	v_add_co_ci_u32_e64 v39, null, v246, v39, vcc_lo
	v_add_co_u32 v40, vcc_lo, v255, v40
	v_lshlrev_b64 v[46:47], 4, v[46:47]
	v_add_nc_u32_e32 v70, s6, v68
	v_ashrrev_i32_e32 v53, 31, v52
	v_add_co_ci_u32_e64 v41, null, v246, v41, vcc_lo
	v_add_co_u32 v42, vcc_lo, v255, v42
	v_lshlrev_b64 v[48:49], 4, v[48:49]
	v_ashrrev_i32_e32 v55, 31, v54
	v_add_co_ci_u32_e64 v43, null, v246, v43, vcc_lo
	v_add_co_u32 v44, vcc_lo, v255, v44
	v_lshlrev_b64 v[50:51], 4, v[50:51]
	v_ashrrev_i32_e32 v57, 31, v56
	v_add_nc_u32_e32 v72, s6, v70
	v_add_co_ci_u32_e64 v45, null, v246, v45, vcc_lo
	v_add_co_u32 v46, vcc_lo, v255, v46
	v_lshlrev_b64 v[52:53], 4, v[52:53]
	v_ashrrev_i32_e32 v59, 31, v58
	v_add_co_ci_u32_e64 v47, null, v246, v47, vcc_lo
	v_add_co_u32 v48, vcc_lo, v255, v48
	v_lshlrev_b64 v[54:55], 4, v[54:55]
	v_ashrrev_i32_e32 v61, 31, v60
	v_add_co_ci_u32_e64 v49, null, v246, v49, vcc_lo
	v_add_co_u32 v50, vcc_lo, v255, v50
	v_lshlrev_b64 v[56:57], 4, v[56:57]
	v_add_nc_u32_e32 v74, s6, v72
	v_ashrrev_i32_e32 v63, 31, v62
	v_add_co_ci_u32_e64 v51, null, v246, v51, vcc_lo
	v_add_co_u32 v52, vcc_lo, v255, v52
	v_lshlrev_b64 v[58:59], 4, v[58:59]
	v_ashrrev_i32_e32 v65, 31, v64
	v_add_co_ci_u32_e64 v53, null, v246, v53, vcc_lo
	v_add_co_u32 v54, vcc_lo, v255, v54
	v_lshlrev_b64 v[60:61], 4, v[60:61]
	v_ashrrev_i32_e32 v67, 31, v66
	v_add_nc_u32_e32 v76, s6, v74
	v_add_co_ci_u32_e64 v55, null, v246, v55, vcc_lo
	v_add_co_u32 v56, vcc_lo, v255, v56
	v_lshlrev_b64 v[62:63], 4, v[62:63]
	v_ashrrev_i32_e32 v69, 31, v68
	v_add_co_ci_u32_e64 v57, null, v246, v57, vcc_lo
	v_add_co_u32 v58, vcc_lo, v255, v58
	;; [unrolled: 22-line block ×3, first 2 shown]
	v_lshlrev_b64 v[74:75], 4, v[74:75]
	v_add_co_ci_u32_e64 v69, null, v246, v69, vcc_lo
	v_add_co_u32 v70, vcc_lo, v255, v70
	v_lshlrev_b64 v[76:77], 4, v[76:77]
	v_add_nc_u32_e32 v82, s6, v80
	v_add_co_ci_u32_e64 v71, null, v246, v71, vcc_lo
	v_add_co_u32 v72, vcc_lo, v255, v72
	v_lshlrev_b64 v[78:79], 4, v[78:79]
	v_ashrrev_i32_e32 v81, 31, v80
	v_add_co_ci_u32_e64 v73, null, v246, v73, vcc_lo
	v_add_co_u32 v74, vcc_lo, v255, v74
	v_ashrrev_i32_e32 v83, 31, v82
	v_add_nc_u32_e32 v84, s6, v82
	v_add_co_ci_u32_e64 v75, null, v246, v75, vcc_lo
	v_add_co_u32 v76, vcc_lo, v255, v76
	v_lshlrev_b64 v[80:81], 4, v[80:81]
	v_add_co_ci_u32_e64 v77, null, v246, v77, vcc_lo
	v_add_co_u32 v234, vcc_lo, v255, v78
	v_add_co_ci_u32_e64 v235, null, v246, v79, vcc_lo
	v_lshlrev_b64 v[78:79], 4, v[82:83]
	v_ashrrev_i32_e32 v85, 31, v84
	v_add_nc_u32_e32 v82, s6, v84
	v_add_co_u32 v236, vcc_lo, v255, v80
	v_add_co_ci_u32_e64 v237, null, v246, v81, vcc_lo
	v_lshlrev_b64 v[80:81], 4, v[84:85]
	v_ashrrev_i32_e32 v83, 31, v82
	v_add_nc_u32_e32 v84, s6, v82
	;; [unrolled: 5-line block ×12, first 2 shown]
	v_add_co_u32 v224, vcc_lo, v255, v78
	v_add_co_ci_u32_e64 v225, null, v246, v79, vcc_lo
	v_lshlrev_b64 v[78:79], 4, v[82:83]
	v_add_nc_u32_e32 v82, s6, v84
	v_ashrrev_i32_e32 v85, 31, v84
	v_add_co_u32 v226, vcc_lo, v255, v80
	v_add_co_ci_u32_e64 v227, null, v246, v81, vcc_lo
	v_ashrrev_i32_e32 v83, 31, v82
	v_lshlrev_b64 v[80:81], 4, v[84:85]
	v_add_co_u32 v228, vcc_lo, v255, v78
	v_add_co_ci_u32_e64 v229, null, v246, v79, vcc_lo
	v_lshlrev_b64 v[78:79], 4, v[82:83]
	v_add_nc_u32_e32 v82, s6, v82
	v_add_co_u32 v218, vcc_lo, v255, v80
	v_add_co_ci_u32_e64 v219, null, v246, v81, vcc_lo
	v_ashrrev_i32_e32 v83, 31, v82
	v_add_co_u32 v220, vcc_lo, v255, v78
	v_add_co_ci_u32_e64 v221, null, v246, v79, vcc_lo
	v_add_co_u32 v80, vcc_lo, v255, v216
	v_add_co_ci_u32_e64 v81, null, 0, v246, vcc_lo
	v_lshlrev_b64 v[78:79], 4, v[82:83]
	s_lshl_b64 s[2:3], s[6:7], 4
	s_waitcnt lgkmcnt(0)
	s_max_i32 s0, s8, 58
	v_add_co_u32 v82, vcc_lo, v80, s2
	v_add_co_ci_u32_e64 v83, null, s3, v81, vcc_lo
	v_add_co_u32 v214, vcc_lo, v255, v78
	v_add_co_ci_u32_e64 v215, null, v246, v79, vcc_lo
	s_clause 0x1
	global_load_dwordx4 v[210:213], v[80:81], off
	global_load_dwordx4 v[78:81], v[82:83], off
	s_cmp_lt_i32 s8, 2
	s_waitcnt vmcnt(0)
	buffer_store_dword v78, off, s[20:23], 0 offset:24 ; 4-byte Folded Spill
	buffer_store_dword v79, off, s[20:23], 0 offset:28 ; 4-byte Folded Spill
	;; [unrolled: 1-line block ×4, first 2 shown]
	global_load_dwordx4 v[78:81], v[4:5], off
	s_waitcnt vmcnt(0)
	buffer_store_dword v78, off, s[20:23], 0 offset:8 ; 4-byte Folded Spill
	buffer_store_dword v79, off, s[20:23], 0 offset:12 ; 4-byte Folded Spill
	;; [unrolled: 1-line block ×4, first 2 shown]
	global_load_dwordx4 v[4:7], v[6:7], off
	s_waitcnt vmcnt(0)
	buffer_store_dword v4, off, s[20:23], 0 offset:56 ; 4-byte Folded Spill
	buffer_store_dword v5, off, s[20:23], 0 offset:60 ; 4-byte Folded Spill
	;; [unrolled: 1-line block ×4, first 2 shown]
	s_clause 0x35
	global_load_dwordx4 v[2:5], v[2:3], off
	global_load_dwordx4 v[206:209], v[10:11], off
	global_load_dwordx4 v[6:9], v[8:9], off
	global_load_dwordx4 v[202:205], v[12:13], off
	global_load_dwordx4 v[198:201], v[14:15], off
	global_load_dwordx4 v[194:197], v[16:17], off
	global_load_dwordx4 v[190:193], v[18:19], off
	global_load_dwordx4 v[186:189], v[20:21], off
	global_load_dwordx4 v[182:185], v[22:23], off
	global_load_dwordx4 v[178:181], v[24:25], off
	global_load_dwordx4 v[174:177], v[26:27], off
	global_load_dwordx4 v[170:173], v[28:29], off
	global_load_dwordx4 v[166:169], v[30:31], off
	global_load_dwordx4 v[162:165], v[32:33], off
	global_load_dwordx4 v[158:161], v[34:35], off
	global_load_dwordx4 v[154:157], v[36:37], off
	global_load_dwordx4 v[150:153], v[38:39], off
	global_load_dwordx4 v[146:149], v[40:41], off
	global_load_dwordx4 v[142:145], v[42:43], off
	global_load_dwordx4 v[138:141], v[44:45], off
	global_load_dwordx4 v[134:137], v[46:47], off
	global_load_dwordx4 v[130:133], v[48:49], off
	global_load_dwordx4 v[126:129], v[50:51], off
	global_load_dwordx4 v[122:125], v[52:53], off
	global_load_dwordx4 v[118:121], v[54:55], off
	global_load_dwordx4 v[114:117], v[56:57], off
	global_load_dwordx4 v[110:113], v[58:59], off
	global_load_dwordx4 v[106:109], v[60:61], off
	global_load_dwordx4 v[102:105], v[62:63], off
	global_load_dwordx4 v[98:101], v[64:65], off
	global_load_dwordx4 v[94:97], v[66:67], off
	global_load_dwordx4 v[90:93], v[68:69], off
	global_load_dwordx4 v[86:89], v[70:71], off
	global_load_dwordx4 v[82:85], v[72:73], off
	global_load_dwordx4 v[78:81], v[74:75], off
	global_load_dwordx4 v[74:77], v[76:77], off
	global_load_dwordx4 v[70:73], v[234:235], off
	global_load_dwordx4 v[66:69], v[236:237], off
	global_load_dwordx4 v[62:65], v[242:243], off
	global_load_dwordx4 v[58:61], v[247:248], off
	global_load_dwordx4 v[54:57], v[249:250], off
	global_load_dwordx4 v[50:53], v[251:252], off
	global_load_dwordx4 v[46:49], v[253:254], off
	global_load_dwordx4 v[42:45], v[238:239], off
	global_load_dwordx4 v[38:41], v[240:241], off
	global_load_dwordx4 v[34:37], v[230:231], off
	global_load_dwordx4 v[30:33], v[232:233], off
	global_load_dwordx4 v[26:29], v[222:223], off
	global_load_dwordx4 v[22:25], v[224:225], off
	global_load_dwordx4 v[18:21], v[226:227], off
	global_load_dwordx4 v[14:17], v[228:229], off
	global_load_dwordx4 v[10:13], v[218:219], off
	global_load_dwordx4 v[238:241], v[220:221], off
	global_load_dwordx4 v[226:229], v[214:215], off
	buffer_store_dword v210, off, s[20:23], 0 offset:40 ; 4-byte Folded Spill
	buffer_store_dword v211, off, s[20:23], 0 offset:44 ; 4-byte Folded Spill
	;; [unrolled: 1-line block ×4, first 2 shown]
	v_mul_lo_u32 v214, s0, v1
	v_mov_b32_e32 v242, 0
	v_lshl_add_u32 v1, v214, 4, 0
	v_lshlrev_b32_e32 v254, 4, v214
	v_add_nc_u32_e32 v215, v1, v216
	ds_write2_b64 v215, v[210:211], v[212:213] offset1:1
	s_waitcnt vmcnt(0) lgkmcnt(0)
	s_waitcnt_vscnt null, 0x0
	s_barrier
	buffer_gl0_inv
	ds_read2_b64 v[234:237], v1 offset1:1
	buffer_store_dword v244, off, s[20:23], 0 offset:72 ; 4-byte Folded Spill
	buffer_store_dword v245, off, s[20:23], 0 offset:76 ; 4-byte Folded Spill
	s_cbranch_scc1 .LBB114_6
; %bb.4:
	v_add3_u32 v243, v254, 0, 16
	v_mov_b32_e32 v242, 0
	s_mov_b32 s0, 1
	s_inst_prefetch 0x1
	.p2align	6
.LBB114_5:                              ; =>This Inner Loop Header: Depth=1
	s_waitcnt lgkmcnt(0)
	v_cmp_gt_f64_e32 vcc_lo, 0, v[234:235]
	v_xor_b32_e32 v214, 0x80000000, v235
	ds_read2_b64 v[247:250], v243 offset1:1
	v_xor_b32_e32 v216, 0x80000000, v237
	v_add_nc_u32_e32 v243, 16, v243
	s_waitcnt lgkmcnt(0)
	v_xor_b32_e32 v218, 0x80000000, v250
	v_cndmask_b32_e32 v215, v235, v214, vcc_lo
	v_cmp_gt_f64_e32 vcc_lo, 0, v[236:237]
	v_mov_b32_e32 v214, v234
	v_cndmask_b32_e32 v217, v237, v216, vcc_lo
	v_cmp_gt_f64_e32 vcc_lo, 0, v[247:248]
	v_mov_b32_e32 v216, v236
	v_add_f64 v[214:215], v[214:215], v[216:217]
	v_xor_b32_e32 v216, 0x80000000, v248
	v_cndmask_b32_e32 v217, v248, v216, vcc_lo
	v_cmp_gt_f64_e32 vcc_lo, 0, v[249:250]
	v_mov_b32_e32 v216, v247
	v_cndmask_b32_e32 v219, v250, v218, vcc_lo
	v_mov_b32_e32 v218, v249
	v_add_f64 v[216:217], v[216:217], v[218:219]
	v_cmp_lt_f64_e32 vcc_lo, v[214:215], v[216:217]
	v_cndmask_b32_e32 v235, v235, v248, vcc_lo
	v_cndmask_b32_e32 v234, v234, v247, vcc_lo
	;; [unrolled: 1-line block ×4, first 2 shown]
	v_cndmask_b32_e64 v242, v242, s0, vcc_lo
	s_add_i32 s0, s0, 1
	s_cmp_eq_u32 s8, s0
	s_cbranch_scc0 .LBB114_5
.LBB114_6:
	s_inst_prefetch 0x2
	s_waitcnt lgkmcnt(0)
	v_cmp_neq_f64_e32 vcc_lo, 0, v[234:235]
	v_cmp_neq_f64_e64 s0, 0, v[236:237]
	v_mov_b32_e32 v233, v209
	v_mov_b32_e32 v232, v208
	v_mov_b32_e32 v231, v207
	v_mov_b32_e32 v230, v206
	v_mov_b32_e32 v209, v9
	v_mov_b32_e32 v208, v8
	v_mov_b32_e32 v207, v7
	v_mov_b32_e32 v206, v6
	v_mov_b32_e32 v9, v5
	v_mov_b32_e32 v8, v4
	v_mov_b32_e32 v7, v3
	v_mov_b32_e32 v6, v2
	v_mov_b32_e32 v247, 1
	v_mov_b32_e32 v249, 1
	s_or_b32 s1, vcc_lo, s0
	s_mov_b32 s0, exec_lo
	s_clause 0x3
	buffer_load_dword v2, off, s[20:23], 0 offset:56
	buffer_load_dword v3, off, s[20:23], 0 offset:60
	;; [unrolled: 1-line block ×4, first 2 shown]
	s_and_b32 s1, s0, s1
	s_mov_b32 exec_lo, s1
	s_cbranch_execz .LBB114_12
; %bb.7:
	v_cmp_ngt_f64_e64 s1, |v[234:235]|, |v[236:237]|
	s_and_saveexec_b32 s7, s1
	s_xor_b32 s1, exec_lo, s7
	s_cbranch_execz .LBB114_9
; %bb.8:
	v_div_scale_f64 v[214:215], null, v[236:237], v[236:237], v[234:235]
	v_div_scale_f64 v[220:221], vcc_lo, v[234:235], v[236:237], v[234:235]
	v_rcp_f64_e32 v[216:217], v[214:215]
	v_fma_f64 v[218:219], -v[214:215], v[216:217], 1.0
	v_fma_f64 v[216:217], v[216:217], v[218:219], v[216:217]
	v_fma_f64 v[218:219], -v[214:215], v[216:217], 1.0
	v_fma_f64 v[216:217], v[216:217], v[218:219], v[216:217]
	v_mul_f64 v[218:219], v[220:221], v[216:217]
	v_fma_f64 v[214:215], -v[214:215], v[218:219], v[220:221]
	v_div_fmas_f64 v[214:215], v[214:215], v[216:217], v[218:219]
	v_div_fixup_f64 v[214:215], v[214:215], v[236:237], v[234:235]
	v_fma_f64 v[216:217], v[234:235], v[214:215], v[236:237]
	v_div_scale_f64 v[218:219], null, v[216:217], v[216:217], 1.0
	v_rcp_f64_e32 v[220:221], v[218:219]
	v_fma_f64 v[222:223], -v[218:219], v[220:221], 1.0
	v_fma_f64 v[220:221], v[220:221], v[222:223], v[220:221]
	v_fma_f64 v[222:223], -v[218:219], v[220:221], 1.0
	v_fma_f64 v[220:221], v[220:221], v[222:223], v[220:221]
	v_div_scale_f64 v[222:223], vcc_lo, 1.0, v[216:217], 1.0
	v_mul_f64 v[224:225], v[222:223], v[220:221]
	v_fma_f64 v[218:219], -v[218:219], v[224:225], v[222:223]
	v_div_fmas_f64 v[218:219], v[218:219], v[220:221], v[224:225]
	v_div_fixup_f64 v[236:237], v[218:219], v[216:217], 1.0
	v_mul_f64 v[234:235], v[214:215], v[236:237]
	v_xor_b32_e32 v237, 0x80000000, v237
.LBB114_9:
	s_andn2_saveexec_b32 s1, s1
	s_cbranch_execz .LBB114_11
; %bb.10:
	v_div_scale_f64 v[214:215], null, v[234:235], v[234:235], v[236:237]
	v_div_scale_f64 v[220:221], vcc_lo, v[236:237], v[234:235], v[236:237]
	v_rcp_f64_e32 v[216:217], v[214:215]
	v_fma_f64 v[218:219], -v[214:215], v[216:217], 1.0
	v_fma_f64 v[216:217], v[216:217], v[218:219], v[216:217]
	v_fma_f64 v[218:219], -v[214:215], v[216:217], 1.0
	v_fma_f64 v[216:217], v[216:217], v[218:219], v[216:217]
	v_mul_f64 v[218:219], v[220:221], v[216:217]
	v_fma_f64 v[214:215], -v[214:215], v[218:219], v[220:221]
	v_div_fmas_f64 v[214:215], v[214:215], v[216:217], v[218:219]
	v_div_fixup_f64 v[214:215], v[214:215], v[234:235], v[236:237]
	v_fma_f64 v[216:217], v[236:237], v[214:215], v[234:235]
	v_div_scale_f64 v[218:219], null, v[216:217], v[216:217], 1.0
	v_rcp_f64_e32 v[220:221], v[218:219]
	v_fma_f64 v[222:223], -v[218:219], v[220:221], 1.0
	v_fma_f64 v[220:221], v[220:221], v[222:223], v[220:221]
	v_fma_f64 v[222:223], -v[218:219], v[220:221], 1.0
	v_fma_f64 v[220:221], v[220:221], v[222:223], v[220:221]
	v_div_scale_f64 v[222:223], vcc_lo, 1.0, v[216:217], 1.0
	v_mul_f64 v[224:225], v[222:223], v[220:221]
	v_fma_f64 v[218:219], -v[218:219], v[224:225], v[222:223]
	v_div_fmas_f64 v[218:219], v[218:219], v[220:221], v[224:225]
	v_div_fixup_f64 v[234:235], v[218:219], v[216:217], 1.0
	v_mul_f64 v[236:237], v[214:215], -v[234:235]
.LBB114_11:
	s_or_b32 exec_lo, exec_lo, s1
	v_mov_b32_e32 v249, 0
	v_mov_b32_e32 v247, 2
.LBB114_12:
	s_or_b32 exec_lo, exec_lo, s0
	s_mov_b32 s0, exec_lo
	v_cmpx_ne_u32_e64 v0, v242
	s_xor_b32 s0, exec_lo, s0
	s_cbranch_execz .LBB114_18
; %bb.13:
	s_mov_b32 s1, exec_lo
	v_cmpx_eq_u32_e32 0, v0
	s_cbranch_execz .LBB114_17
; %bb.14:
	v_cmp_ne_u32_e32 vcc_lo, 0, v242
	s_xor_b32 s7, s16, -1
	s_and_b32 s9, s7, vcc_lo
	s_and_saveexec_b32 s7, s9
	s_cbranch_execz .LBB114_16
; %bb.15:
	s_clause 0x1
	buffer_load_dword v210, off, s[20:23], 0
	buffer_load_dword v211, off, s[20:23], 0 offset:4
	v_ashrrev_i32_e32 v243, 31, v242
	v_lshlrev_b64 v[214:215], 2, v[242:243]
	s_waitcnt vmcnt(1)
	v_add_co_u32 v214, vcc_lo, v210, v214
	s_waitcnt vmcnt(0)
	v_add_co_ci_u32_e64 v215, null, v211, v215, vcc_lo
	s_clause 0x1
	global_load_dword v0, v[214:215], off
	global_load_dword v216, v[210:211], off
	s_waitcnt vmcnt(1)
	global_store_dword v[210:211], v0, off
	s_waitcnt vmcnt(0)
	global_store_dword v[214:215], v216, off
.LBB114_16:
	s_or_b32 exec_lo, exec_lo, s7
	v_mov_b32_e32 v0, v242
.LBB114_17:
	s_or_b32 exec_lo, exec_lo, s1
.LBB114_18:
	s_or_saveexec_b32 s0, s0
	v_mov_b32_e32 v248, v0
	s_xor_b32 exec_lo, exec_lo, s0
	s_cbranch_execz .LBB114_20
; %bb.19:
	s_clause 0x3
	buffer_load_dword v210, off, s[20:23], 0 offset:24
	buffer_load_dword v211, off, s[20:23], 0 offset:28
	buffer_load_dword v212, off, s[20:23], 0 offset:32
	buffer_load_dword v213, off, s[20:23], 0 offset:36
	v_mov_b32_e32 v248, 0
	s_waitcnt vmcnt(0)
	ds_write2_b64 v1, v[210:211], v[212:213] offset0:2 offset1:3
	s_clause 0x3
	buffer_load_dword v210, off, s[20:23], 0 offset:8
	buffer_load_dword v211, off, s[20:23], 0 offset:12
	;; [unrolled: 1-line block ×4, first 2 shown]
	s_waitcnt vmcnt(0)
	ds_write2_b64 v1, v[210:211], v[212:213] offset0:4 offset1:5
	ds_write2_b64 v1, v[2:3], v[4:5] offset0:6 offset1:7
	;; [unrolled: 1-line block ×56, first 2 shown]
.LBB114_20:
	s_or_b32 exec_lo, exec_lo, s0
	s_mov_b32 s0, exec_lo
	s_waitcnt vmcnt(0) lgkmcnt(0)
	s_waitcnt_vscnt null, 0x0
	s_barrier
	buffer_gl0_inv
	v_cmpx_lt_i32_e32 0, v248
	s_cbranch_execz .LBB114_22
; %bb.21:
	s_clause 0x3
	buffer_load_dword v216, off, s[20:23], 0 offset:40
	buffer_load_dword v217, off, s[20:23], 0 offset:44
	;; [unrolled: 1-line block ×4, first 2 shown]
	s_waitcnt vmcnt(0)
	v_mul_f64 v[214:215], v[236:237], v[218:219]
	v_fma_f64 v[242:243], v[234:235], v[216:217], -v[214:215]
	v_mul_f64 v[214:215], v[234:235], v[218:219]
	v_fma_f64 v[218:219], v[236:237], v[216:217], v[214:215]
	ds_read2_b64 v[234:237], v1 offset0:2 offset1:3
	s_clause 0x3
	buffer_load_dword v210, off, s[20:23], 0 offset:24
	buffer_load_dword v211, off, s[20:23], 0 offset:28
	;; [unrolled: 1-line block ×4, first 2 shown]
	s_waitcnt lgkmcnt(0)
	v_mul_f64 v[214:215], v[236:237], v[218:219]
	v_mul_f64 v[216:217], v[234:235], v[218:219]
	v_fma_f64 v[214:215], v[234:235], v[242:243], -v[214:215]
	v_fma_f64 v[216:217], v[236:237], v[242:243], v[216:217]
	s_waitcnt vmcnt(2)
	v_add_f64 v[210:211], v[210:211], -v[214:215]
	s_waitcnt vmcnt(0)
	v_add_f64 v[212:213], v[212:213], -v[216:217]
	buffer_store_dword v210, off, s[20:23], 0 offset:24 ; 4-byte Folded Spill
	buffer_store_dword v211, off, s[20:23], 0 offset:28 ; 4-byte Folded Spill
	;; [unrolled: 1-line block ×4, first 2 shown]
	ds_read2_b64 v[234:237], v1 offset0:4 offset1:5
	s_clause 0x3
	buffer_load_dword v210, off, s[20:23], 0 offset:8
	buffer_load_dword v211, off, s[20:23], 0 offset:12
	;; [unrolled: 1-line block ×4, first 2 shown]
	s_waitcnt lgkmcnt(0)
	v_mul_f64 v[214:215], v[236:237], v[218:219]
	v_mul_f64 v[216:217], v[234:235], v[218:219]
	v_fma_f64 v[214:215], v[234:235], v[242:243], -v[214:215]
	v_fma_f64 v[216:217], v[236:237], v[242:243], v[216:217]
	s_waitcnt vmcnt(2)
	v_add_f64 v[210:211], v[210:211], -v[214:215]
	s_waitcnt vmcnt(0)
	v_add_f64 v[212:213], v[212:213], -v[216:217]
	buffer_store_dword v210, off, s[20:23], 0 offset:8 ; 4-byte Folded Spill
	buffer_store_dword v211, off, s[20:23], 0 offset:12 ; 4-byte Folded Spill
	;; [unrolled: 1-line block ×4, first 2 shown]
	ds_read2_b64 v[234:237], v1 offset0:6 offset1:7
	s_waitcnt lgkmcnt(0)
	v_mul_f64 v[214:215], v[236:237], v[218:219]
	v_mul_f64 v[216:217], v[234:235], v[218:219]
	v_fma_f64 v[214:215], v[234:235], v[242:243], -v[214:215]
	v_fma_f64 v[216:217], v[236:237], v[242:243], v[216:217]
	ds_read2_b64 v[234:237], v1 offset0:8 offset1:9
	v_add_f64 v[2:3], v[2:3], -v[214:215]
	v_add_f64 v[4:5], v[4:5], -v[216:217]
	s_waitcnt lgkmcnt(0)
	v_mul_f64 v[214:215], v[236:237], v[218:219]
	v_mul_f64 v[216:217], v[234:235], v[218:219]
	v_fma_f64 v[214:215], v[234:235], v[242:243], -v[214:215]
	v_fma_f64 v[216:217], v[236:237], v[242:243], v[216:217]
	ds_read2_b64 v[234:237], v1 offset0:10 offset1:11
	v_add_f64 v[6:7], v[6:7], -v[214:215]
	v_add_f64 v[8:9], v[8:9], -v[216:217]
	;; [unrolled: 8-line block ×54, first 2 shown]
	s_waitcnt lgkmcnt(0)
	v_mul_f64 v[214:215], v[236:237], v[218:219]
	v_mul_f64 v[216:217], v[234:235], v[218:219]
	v_fma_f64 v[214:215], v[234:235], v[242:243], -v[214:215]
	v_fma_f64 v[216:217], v[236:237], v[242:243], v[216:217]
	v_add_f64 v[226:227], v[226:227], -v[214:215]
	v_add_f64 v[228:229], v[228:229], -v[216:217]
	v_mov_b32_e32 v216, v242
	v_mov_b32_e32 v217, v243
	buffer_store_dword v216, off, s[20:23], 0 offset:40 ; 4-byte Folded Spill
	buffer_store_dword v217, off, s[20:23], 0 offset:44 ; 4-byte Folded Spill
	;; [unrolled: 1-line block ×4, first 2 shown]
.LBB114_22:
	s_or_b32 exec_lo, exec_lo, s0
	s_waitcnt_vscnt null, 0x0
	s_barrier
	buffer_gl0_inv
	s_clause 0x3
	buffer_load_dword v210, off, s[20:23], 0 offset:24
	buffer_load_dword v211, off, s[20:23], 0 offset:28
	;; [unrolled: 1-line block ×4, first 2 shown]
	v_lshl_add_u32 v214, v248, 4, v1
	v_mov_b32_e32 v242, 1
	s_cmp_lt_i32 s8, 3
	s_waitcnt vmcnt(0)
	ds_write2_b64 v214, v[210:211], v[212:213] offset1:1
	s_waitcnt lgkmcnt(0)
	s_barrier
	buffer_gl0_inv
	ds_read2_b64 v[234:237], v1 offset0:2 offset1:3
	s_cbranch_scc1 .LBB114_25
; %bb.23:
	v_add3_u32 v243, v254, 0, 32
	v_mov_b32_e32 v242, 1
	s_mov_b32 s0, 2
	s_inst_prefetch 0x1
	.p2align	6
.LBB114_24:                             ; =>This Inner Loop Header: Depth=1
	s_waitcnt lgkmcnt(0)
	v_cmp_gt_f64_e32 vcc_lo, 0, v[234:235]
	v_xor_b32_e32 v214, 0x80000000, v235
	ds_read2_b64 v[250:253], v243 offset1:1
	v_xor_b32_e32 v216, 0x80000000, v237
	v_add_nc_u32_e32 v243, 16, v243
	s_waitcnt lgkmcnt(0)
	v_xor_b32_e32 v218, 0x80000000, v253
	v_cndmask_b32_e32 v215, v235, v214, vcc_lo
	v_cmp_gt_f64_e32 vcc_lo, 0, v[236:237]
	v_mov_b32_e32 v214, v234
	v_cndmask_b32_e32 v217, v237, v216, vcc_lo
	v_cmp_gt_f64_e32 vcc_lo, 0, v[250:251]
	v_mov_b32_e32 v216, v236
	v_add_f64 v[214:215], v[214:215], v[216:217]
	v_xor_b32_e32 v216, 0x80000000, v251
	v_cndmask_b32_e32 v217, v251, v216, vcc_lo
	v_cmp_gt_f64_e32 vcc_lo, 0, v[252:253]
	v_mov_b32_e32 v216, v250
	v_cndmask_b32_e32 v219, v253, v218, vcc_lo
	v_mov_b32_e32 v218, v252
	v_add_f64 v[216:217], v[216:217], v[218:219]
	v_cmp_lt_f64_e32 vcc_lo, v[214:215], v[216:217]
	v_cndmask_b32_e32 v235, v235, v251, vcc_lo
	v_cndmask_b32_e32 v234, v234, v250, vcc_lo
	v_cndmask_b32_e32 v237, v237, v253, vcc_lo
	v_cndmask_b32_e32 v236, v236, v252, vcc_lo
	v_cndmask_b32_e64 v242, v242, s0, vcc_lo
	s_add_i32 s0, s0, 1
	s_cmp_lg_u32 s8, s0
	s_cbranch_scc1 .LBB114_24
.LBB114_25:
	s_inst_prefetch 0x2
	s_waitcnt lgkmcnt(0)
	v_cmp_neq_f64_e32 vcc_lo, 0, v[234:235]
	v_cmp_neq_f64_e64 s0, 0, v[236:237]
	s_or_b32 s1, vcc_lo, s0
	s_and_saveexec_b32 s0, s1
	s_cbranch_execz .LBB114_31
; %bb.26:
	v_cmp_ngt_f64_e64 s1, |v[234:235]|, |v[236:237]|
	s_and_saveexec_b32 s7, s1
	s_xor_b32 s1, exec_lo, s7
	s_cbranch_execz .LBB114_28
; %bb.27:
	v_div_scale_f64 v[214:215], null, v[236:237], v[236:237], v[234:235]
	v_div_scale_f64 v[220:221], vcc_lo, v[234:235], v[236:237], v[234:235]
	v_rcp_f64_e32 v[216:217], v[214:215]
	v_fma_f64 v[218:219], -v[214:215], v[216:217], 1.0
	v_fma_f64 v[216:217], v[216:217], v[218:219], v[216:217]
	v_fma_f64 v[218:219], -v[214:215], v[216:217], 1.0
	v_fma_f64 v[216:217], v[216:217], v[218:219], v[216:217]
	v_mul_f64 v[218:219], v[220:221], v[216:217]
	v_fma_f64 v[214:215], -v[214:215], v[218:219], v[220:221]
	v_div_fmas_f64 v[214:215], v[214:215], v[216:217], v[218:219]
	v_div_fixup_f64 v[214:215], v[214:215], v[236:237], v[234:235]
	v_fma_f64 v[216:217], v[234:235], v[214:215], v[236:237]
	v_div_scale_f64 v[218:219], null, v[216:217], v[216:217], 1.0
	v_rcp_f64_e32 v[220:221], v[218:219]
	v_fma_f64 v[222:223], -v[218:219], v[220:221], 1.0
	v_fma_f64 v[220:221], v[220:221], v[222:223], v[220:221]
	v_fma_f64 v[222:223], -v[218:219], v[220:221], 1.0
	v_fma_f64 v[220:221], v[220:221], v[222:223], v[220:221]
	v_div_scale_f64 v[222:223], vcc_lo, 1.0, v[216:217], 1.0
	v_mul_f64 v[224:225], v[222:223], v[220:221]
	v_fma_f64 v[218:219], -v[218:219], v[224:225], v[222:223]
	v_div_fmas_f64 v[218:219], v[218:219], v[220:221], v[224:225]
	v_div_fixup_f64 v[236:237], v[218:219], v[216:217], 1.0
	v_mul_f64 v[234:235], v[214:215], v[236:237]
	v_xor_b32_e32 v237, 0x80000000, v237
.LBB114_28:
	s_andn2_saveexec_b32 s1, s1
	s_cbranch_execz .LBB114_30
; %bb.29:
	v_div_scale_f64 v[214:215], null, v[234:235], v[234:235], v[236:237]
	v_div_scale_f64 v[220:221], vcc_lo, v[236:237], v[234:235], v[236:237]
	v_rcp_f64_e32 v[216:217], v[214:215]
	v_fma_f64 v[218:219], -v[214:215], v[216:217], 1.0
	v_fma_f64 v[216:217], v[216:217], v[218:219], v[216:217]
	v_fma_f64 v[218:219], -v[214:215], v[216:217], 1.0
	v_fma_f64 v[216:217], v[216:217], v[218:219], v[216:217]
	v_mul_f64 v[218:219], v[220:221], v[216:217]
	v_fma_f64 v[214:215], -v[214:215], v[218:219], v[220:221]
	v_div_fmas_f64 v[214:215], v[214:215], v[216:217], v[218:219]
	v_div_fixup_f64 v[214:215], v[214:215], v[234:235], v[236:237]
	v_fma_f64 v[216:217], v[236:237], v[214:215], v[234:235]
	v_div_scale_f64 v[218:219], null, v[216:217], v[216:217], 1.0
	v_rcp_f64_e32 v[220:221], v[218:219]
	v_fma_f64 v[222:223], -v[218:219], v[220:221], 1.0
	v_fma_f64 v[220:221], v[220:221], v[222:223], v[220:221]
	v_fma_f64 v[222:223], -v[218:219], v[220:221], 1.0
	v_fma_f64 v[220:221], v[220:221], v[222:223], v[220:221]
	v_div_scale_f64 v[222:223], vcc_lo, 1.0, v[216:217], 1.0
	v_mul_f64 v[224:225], v[222:223], v[220:221]
	v_fma_f64 v[218:219], -v[218:219], v[224:225], v[222:223]
	v_div_fmas_f64 v[218:219], v[218:219], v[220:221], v[224:225]
	v_div_fixup_f64 v[234:235], v[218:219], v[216:217], 1.0
	v_mul_f64 v[236:237], v[214:215], -v[234:235]
.LBB114_30:
	s_or_b32 exec_lo, exec_lo, s1
	v_mov_b32_e32 v247, v249
.LBB114_31:
	s_or_b32 exec_lo, exec_lo, s0
	s_mov_b32 s0, exec_lo
	v_cmpx_ne_u32_e64 v248, v242
	s_xor_b32 s0, exec_lo, s0
	s_cbranch_execz .LBB114_37
; %bb.32:
	s_mov_b32 s1, exec_lo
	v_cmpx_eq_u32_e32 1, v248
	s_cbranch_execz .LBB114_36
; %bb.33:
	v_cmp_ne_u32_e32 vcc_lo, 1, v242
	s_xor_b32 s7, s16, -1
	s_and_b32 s9, s7, vcc_lo
	s_and_saveexec_b32 s7, s9
	s_cbranch_execz .LBB114_35
; %bb.34:
	s_clause 0x1
	buffer_load_dword v210, off, s[20:23], 0
	buffer_load_dword v211, off, s[20:23], 0 offset:4
	v_ashrrev_i32_e32 v243, 31, v242
	v_lshlrev_b64 v[214:215], 2, v[242:243]
	s_waitcnt vmcnt(1)
	v_add_co_u32 v214, vcc_lo, v210, v214
	s_waitcnt vmcnt(0)
	v_add_co_ci_u32_e64 v215, null, v211, v215, vcc_lo
	s_clause 0x1
	global_load_dword v0, v[214:215], off
	global_load_dword v216, v[210:211], off offset:4
	s_waitcnt vmcnt(1)
	global_store_dword v[210:211], v0, off offset:4
	s_waitcnt vmcnt(0)
	global_store_dword v[214:215], v216, off
.LBB114_35:
	s_or_b32 exec_lo, exec_lo, s7
	v_mov_b32_e32 v248, v242
	v_mov_b32_e32 v0, v242
.LBB114_36:
	s_or_b32 exec_lo, exec_lo, s1
.LBB114_37:
	s_andn2_saveexec_b32 s0, s0
	s_cbranch_execz .LBB114_39
; %bb.38:
	s_clause 0x3
	buffer_load_dword v210, off, s[20:23], 0 offset:8
	buffer_load_dword v211, off, s[20:23], 0 offset:12
	;; [unrolled: 1-line block ×4, first 2 shown]
	v_mov_b32_e32 v248, 1
	s_waitcnt vmcnt(0)
	ds_write2_b64 v1, v[210:211], v[212:213] offset0:4 offset1:5
	ds_write2_b64 v1, v[2:3], v[4:5] offset0:6 offset1:7
	ds_write2_b64 v1, v[6:7], v[8:9] offset0:8 offset1:9
	ds_write2_b64 v1, v[230:231], v[232:233] offset0:10 offset1:11
	ds_write2_b64 v1, v[206:207], v[208:209] offset0:12 offset1:13
	ds_write2_b64 v1, v[202:203], v[204:205] offset0:14 offset1:15
	ds_write2_b64 v1, v[198:199], v[200:201] offset0:16 offset1:17
	ds_write2_b64 v1, v[194:195], v[196:197] offset0:18 offset1:19
	ds_write2_b64 v1, v[190:191], v[192:193] offset0:20 offset1:21
	ds_write2_b64 v1, v[186:187], v[188:189] offset0:22 offset1:23
	ds_write2_b64 v1, v[182:183], v[184:185] offset0:24 offset1:25
	ds_write2_b64 v1, v[178:179], v[180:181] offset0:26 offset1:27
	ds_write2_b64 v1, v[174:175], v[176:177] offset0:28 offset1:29
	ds_write2_b64 v1, v[170:171], v[172:173] offset0:30 offset1:31
	ds_write2_b64 v1, v[166:167], v[168:169] offset0:32 offset1:33
	ds_write2_b64 v1, v[162:163], v[164:165] offset0:34 offset1:35
	ds_write2_b64 v1, v[158:159], v[160:161] offset0:36 offset1:37
	ds_write2_b64 v1, v[154:155], v[156:157] offset0:38 offset1:39
	ds_write2_b64 v1, v[150:151], v[152:153] offset0:40 offset1:41
	ds_write2_b64 v1, v[146:147], v[148:149] offset0:42 offset1:43
	ds_write2_b64 v1, v[142:143], v[144:145] offset0:44 offset1:45
	ds_write2_b64 v1, v[138:139], v[140:141] offset0:46 offset1:47
	ds_write2_b64 v1, v[134:135], v[136:137] offset0:48 offset1:49
	ds_write2_b64 v1, v[130:131], v[132:133] offset0:50 offset1:51
	ds_write2_b64 v1, v[126:127], v[128:129] offset0:52 offset1:53
	ds_write2_b64 v1, v[122:123], v[124:125] offset0:54 offset1:55
	ds_write2_b64 v1, v[118:119], v[120:121] offset0:56 offset1:57
	ds_write2_b64 v1, v[114:115], v[116:117] offset0:58 offset1:59
	ds_write2_b64 v1, v[110:111], v[112:113] offset0:60 offset1:61
	ds_write2_b64 v1, v[106:107], v[108:109] offset0:62 offset1:63
	ds_write2_b64 v1, v[102:103], v[104:105] offset0:64 offset1:65
	ds_write2_b64 v1, v[98:99], v[100:101] offset0:66 offset1:67
	ds_write2_b64 v1, v[94:95], v[96:97] offset0:68 offset1:69
	ds_write2_b64 v1, v[90:91], v[92:93] offset0:70 offset1:71
	ds_write2_b64 v1, v[86:87], v[88:89] offset0:72 offset1:73
	ds_write2_b64 v1, v[82:83], v[84:85] offset0:74 offset1:75
	ds_write2_b64 v1, v[78:79], v[80:81] offset0:76 offset1:77
	ds_write2_b64 v1, v[74:75], v[76:77] offset0:78 offset1:79
	ds_write2_b64 v1, v[70:71], v[72:73] offset0:80 offset1:81
	ds_write2_b64 v1, v[66:67], v[68:69] offset0:82 offset1:83
	ds_write2_b64 v1, v[62:63], v[64:65] offset0:84 offset1:85
	ds_write2_b64 v1, v[58:59], v[60:61] offset0:86 offset1:87
	ds_write2_b64 v1, v[54:55], v[56:57] offset0:88 offset1:89
	ds_write2_b64 v1, v[50:51], v[52:53] offset0:90 offset1:91
	ds_write2_b64 v1, v[46:47], v[48:49] offset0:92 offset1:93
	ds_write2_b64 v1, v[42:43], v[44:45] offset0:94 offset1:95
	ds_write2_b64 v1, v[38:39], v[40:41] offset0:96 offset1:97
	ds_write2_b64 v1, v[34:35], v[36:37] offset0:98 offset1:99
	ds_write2_b64 v1, v[30:31], v[32:33] offset0:100 offset1:101
	ds_write2_b64 v1, v[26:27], v[28:29] offset0:102 offset1:103
	ds_write2_b64 v1, v[22:23], v[24:25] offset0:104 offset1:105
	ds_write2_b64 v1, v[18:19], v[20:21] offset0:106 offset1:107
	ds_write2_b64 v1, v[14:15], v[16:17] offset0:108 offset1:109
	ds_write2_b64 v1, v[10:11], v[12:13] offset0:110 offset1:111
	ds_write2_b64 v1, v[238:239], v[240:241] offset0:112 offset1:113
	ds_write2_b64 v1, v[226:227], v[228:229] offset0:114 offset1:115
.LBB114_39:
	s_or_b32 exec_lo, exec_lo, s0
	s_mov_b32 s0, exec_lo
	s_waitcnt lgkmcnt(0)
	s_waitcnt_vscnt null, 0x0
	s_barrier
	buffer_gl0_inv
	v_cmpx_lt_i32_e32 1, v248
	s_cbranch_execz .LBB114_41
; %bb.40:
	s_clause 0x3
	buffer_load_dword v210, off, s[20:23], 0 offset:24
	buffer_load_dword v211, off, s[20:23], 0 offset:28
	buffer_load_dword v212, off, s[20:23], 0 offset:32
	buffer_load_dword v213, off, s[20:23], 0 offset:36
	s_waitcnt vmcnt(0)
	v_mul_f64 v[214:215], v[236:237], v[212:213]
	v_fma_f64 v[242:243], v[234:235], v[210:211], -v[214:215]
	v_mul_f64 v[214:215], v[234:235], v[212:213]
	v_fma_f64 v[212:213], v[236:237], v[210:211], v[214:215]
	ds_read2_b64 v[234:237], v1 offset0:4 offset1:5
	s_clause 0x3
	buffer_load_dword v218, off, s[20:23], 0 offset:8
	buffer_load_dword v219, off, s[20:23], 0 offset:12
	buffer_load_dword v220, off, s[20:23], 0 offset:16
	buffer_load_dword v221, off, s[20:23], 0 offset:20
	v_mov_b32_e32 v210, v242
	v_mov_b32_e32 v211, v243
	s_waitcnt lgkmcnt(0)
	v_mul_f64 v[214:215], v[236:237], v[212:213]
	v_mul_f64 v[216:217], v[234:235], v[212:213]
	v_fma_f64 v[214:215], v[234:235], v[242:243], -v[214:215]
	v_fma_f64 v[216:217], v[236:237], v[242:243], v[216:217]
	s_waitcnt vmcnt(2)
	v_add_f64 v[218:219], v[218:219], -v[214:215]
	s_waitcnt vmcnt(0)
	v_add_f64 v[220:221], v[220:221], -v[216:217]
	buffer_store_dword v218, off, s[20:23], 0 offset:8 ; 4-byte Folded Spill
	buffer_store_dword v219, off, s[20:23], 0 offset:12 ; 4-byte Folded Spill
	;; [unrolled: 1-line block ×4, first 2 shown]
	ds_read2_b64 v[234:237], v1 offset0:6 offset1:7
	s_waitcnt lgkmcnt(0)
	v_mul_f64 v[214:215], v[236:237], v[212:213]
	v_mul_f64 v[216:217], v[234:235], v[212:213]
	v_fma_f64 v[214:215], v[234:235], v[242:243], -v[214:215]
	v_fma_f64 v[216:217], v[236:237], v[242:243], v[216:217]
	ds_read2_b64 v[234:237], v1 offset0:8 offset1:9
	v_add_f64 v[2:3], v[2:3], -v[214:215]
	v_add_f64 v[4:5], v[4:5], -v[216:217]
	s_waitcnt lgkmcnt(0)
	v_mul_f64 v[214:215], v[236:237], v[212:213]
	v_mul_f64 v[216:217], v[234:235], v[212:213]
	v_fma_f64 v[214:215], v[234:235], v[242:243], -v[214:215]
	v_fma_f64 v[216:217], v[236:237], v[242:243], v[216:217]
	ds_read2_b64 v[234:237], v1 offset0:10 offset1:11
	v_add_f64 v[6:7], v[6:7], -v[214:215]
	v_add_f64 v[8:9], v[8:9], -v[216:217]
	;; [unrolled: 8-line block ×54, first 2 shown]
	s_waitcnt lgkmcnt(0)
	v_mul_f64 v[214:215], v[236:237], v[212:213]
	v_mul_f64 v[216:217], v[234:235], v[212:213]
	buffer_store_dword v210, off, s[20:23], 0 offset:24 ; 4-byte Folded Spill
	buffer_store_dword v211, off, s[20:23], 0 offset:28 ; 4-byte Folded Spill
	;; [unrolled: 1-line block ×4, first 2 shown]
	v_fma_f64 v[214:215], v[234:235], v[242:243], -v[214:215]
	v_fma_f64 v[216:217], v[236:237], v[242:243], v[216:217]
	v_add_f64 v[226:227], v[226:227], -v[214:215]
	v_add_f64 v[228:229], v[228:229], -v[216:217]
.LBB114_41:
	s_or_b32 exec_lo, exec_lo, s0
	s_waitcnt_vscnt null, 0x0
	s_barrier
	buffer_gl0_inv
	s_clause 0x3
	buffer_load_dword v210, off, s[20:23], 0 offset:8
	buffer_load_dword v211, off, s[20:23], 0 offset:12
	;; [unrolled: 1-line block ×4, first 2 shown]
	v_lshl_add_u32 v214, v248, 4, v1
	v_mov_b32_e32 v242, 2
	s_cmp_lt_i32 s8, 4
	s_waitcnt vmcnt(0)
	ds_write2_b64 v214, v[210:211], v[212:213] offset1:1
	s_waitcnt lgkmcnt(0)
	s_barrier
	buffer_gl0_inv
	ds_read2_b64 v[234:237], v1 offset0:4 offset1:5
	s_cbranch_scc1 .LBB114_44
; %bb.42:
	v_add3_u32 v243, v254, 0, 48
	v_mov_b32_e32 v242, 2
	s_mov_b32 s0, 3
	s_inst_prefetch 0x1
	.p2align	6
.LBB114_43:                             ; =>This Inner Loop Header: Depth=1
	s_waitcnt lgkmcnt(0)
	v_cmp_gt_f64_e32 vcc_lo, 0, v[234:235]
	v_xor_b32_e32 v214, 0x80000000, v235
	ds_read2_b64 v[249:252], v243 offset1:1
	v_xor_b32_e32 v216, 0x80000000, v237
	v_add_nc_u32_e32 v243, 16, v243
	s_waitcnt lgkmcnt(0)
	v_xor_b32_e32 v218, 0x80000000, v252
	v_cndmask_b32_e32 v215, v235, v214, vcc_lo
	v_cmp_gt_f64_e32 vcc_lo, 0, v[236:237]
	v_mov_b32_e32 v214, v234
	v_cndmask_b32_e32 v217, v237, v216, vcc_lo
	v_cmp_gt_f64_e32 vcc_lo, 0, v[249:250]
	v_mov_b32_e32 v216, v236
	v_add_f64 v[214:215], v[214:215], v[216:217]
	v_xor_b32_e32 v216, 0x80000000, v250
	v_cndmask_b32_e32 v217, v250, v216, vcc_lo
	v_cmp_gt_f64_e32 vcc_lo, 0, v[251:252]
	v_mov_b32_e32 v216, v249
	v_cndmask_b32_e32 v219, v252, v218, vcc_lo
	v_mov_b32_e32 v218, v251
	v_add_f64 v[216:217], v[216:217], v[218:219]
	v_cmp_lt_f64_e32 vcc_lo, v[214:215], v[216:217]
	v_cndmask_b32_e32 v235, v235, v250, vcc_lo
	v_cndmask_b32_e32 v234, v234, v249, vcc_lo
	;; [unrolled: 1-line block ×4, first 2 shown]
	v_cndmask_b32_e64 v242, v242, s0, vcc_lo
	s_add_i32 s0, s0, 1
	s_cmp_lg_u32 s8, s0
	s_cbranch_scc1 .LBB114_43
.LBB114_44:
	s_inst_prefetch 0x2
	s_waitcnt lgkmcnt(0)
	v_cmp_eq_f64_e32 vcc_lo, 0, v[234:235]
	v_cmp_eq_f64_e64 s0, 0, v[236:237]
	s_and_b32 s0, vcc_lo, s0
	s_and_saveexec_b32 s1, s0
	s_xor_b32 s0, exec_lo, s1
; %bb.45:
	v_cmp_ne_u32_e32 vcc_lo, 0, v247
	v_cndmask_b32_e32 v247, 3, v247, vcc_lo
; %bb.46:
	s_andn2_saveexec_b32 s0, s0
	s_cbranch_execz .LBB114_52
; %bb.47:
	v_cmp_ngt_f64_e64 s1, |v[234:235]|, |v[236:237]|
	s_and_saveexec_b32 s7, s1
	s_xor_b32 s1, exec_lo, s7
	s_cbranch_execz .LBB114_49
; %bb.48:
	v_div_scale_f64 v[214:215], null, v[236:237], v[236:237], v[234:235]
	v_div_scale_f64 v[220:221], vcc_lo, v[234:235], v[236:237], v[234:235]
	v_rcp_f64_e32 v[216:217], v[214:215]
	v_fma_f64 v[218:219], -v[214:215], v[216:217], 1.0
	v_fma_f64 v[216:217], v[216:217], v[218:219], v[216:217]
	v_fma_f64 v[218:219], -v[214:215], v[216:217], 1.0
	v_fma_f64 v[216:217], v[216:217], v[218:219], v[216:217]
	v_mul_f64 v[218:219], v[220:221], v[216:217]
	v_fma_f64 v[214:215], -v[214:215], v[218:219], v[220:221]
	v_div_fmas_f64 v[214:215], v[214:215], v[216:217], v[218:219]
	v_div_fixup_f64 v[214:215], v[214:215], v[236:237], v[234:235]
	v_fma_f64 v[216:217], v[234:235], v[214:215], v[236:237]
	v_div_scale_f64 v[218:219], null, v[216:217], v[216:217], 1.0
	v_rcp_f64_e32 v[220:221], v[218:219]
	v_fma_f64 v[222:223], -v[218:219], v[220:221], 1.0
	v_fma_f64 v[220:221], v[220:221], v[222:223], v[220:221]
	v_fma_f64 v[222:223], -v[218:219], v[220:221], 1.0
	v_fma_f64 v[220:221], v[220:221], v[222:223], v[220:221]
	v_div_scale_f64 v[222:223], vcc_lo, 1.0, v[216:217], 1.0
	v_mul_f64 v[224:225], v[222:223], v[220:221]
	v_fma_f64 v[218:219], -v[218:219], v[224:225], v[222:223]
	v_div_fmas_f64 v[218:219], v[218:219], v[220:221], v[224:225]
	v_div_fixup_f64 v[236:237], v[218:219], v[216:217], 1.0
	v_mul_f64 v[234:235], v[214:215], v[236:237]
	v_xor_b32_e32 v237, 0x80000000, v237
.LBB114_49:
	s_andn2_saveexec_b32 s1, s1
	s_cbranch_execz .LBB114_51
; %bb.50:
	v_div_scale_f64 v[214:215], null, v[234:235], v[234:235], v[236:237]
	v_div_scale_f64 v[220:221], vcc_lo, v[236:237], v[234:235], v[236:237]
	v_rcp_f64_e32 v[216:217], v[214:215]
	v_fma_f64 v[218:219], -v[214:215], v[216:217], 1.0
	v_fma_f64 v[216:217], v[216:217], v[218:219], v[216:217]
	v_fma_f64 v[218:219], -v[214:215], v[216:217], 1.0
	v_fma_f64 v[216:217], v[216:217], v[218:219], v[216:217]
	v_mul_f64 v[218:219], v[220:221], v[216:217]
	v_fma_f64 v[214:215], -v[214:215], v[218:219], v[220:221]
	v_div_fmas_f64 v[214:215], v[214:215], v[216:217], v[218:219]
	v_div_fixup_f64 v[214:215], v[214:215], v[234:235], v[236:237]
	v_fma_f64 v[216:217], v[236:237], v[214:215], v[234:235]
	v_div_scale_f64 v[218:219], null, v[216:217], v[216:217], 1.0
	v_rcp_f64_e32 v[220:221], v[218:219]
	v_fma_f64 v[222:223], -v[218:219], v[220:221], 1.0
	v_fma_f64 v[220:221], v[220:221], v[222:223], v[220:221]
	v_fma_f64 v[222:223], -v[218:219], v[220:221], 1.0
	v_fma_f64 v[220:221], v[220:221], v[222:223], v[220:221]
	v_div_scale_f64 v[222:223], vcc_lo, 1.0, v[216:217], 1.0
	v_mul_f64 v[224:225], v[222:223], v[220:221]
	v_fma_f64 v[218:219], -v[218:219], v[224:225], v[222:223]
	v_div_fmas_f64 v[218:219], v[218:219], v[220:221], v[224:225]
	v_div_fixup_f64 v[234:235], v[218:219], v[216:217], 1.0
	v_mul_f64 v[236:237], v[214:215], -v[234:235]
.LBB114_51:
	s_or_b32 exec_lo, exec_lo, s1
.LBB114_52:
	s_or_b32 exec_lo, exec_lo, s0
	s_mov_b32 s0, exec_lo
	v_cmpx_ne_u32_e64 v248, v242
	s_xor_b32 s0, exec_lo, s0
	s_cbranch_execz .LBB114_58
; %bb.53:
	s_mov_b32 s1, exec_lo
	v_cmpx_eq_u32_e32 2, v248
	s_cbranch_execz .LBB114_57
; %bb.54:
	v_cmp_ne_u32_e32 vcc_lo, 2, v242
	s_xor_b32 s7, s16, -1
	s_and_b32 s9, s7, vcc_lo
	s_and_saveexec_b32 s7, s9
	s_cbranch_execz .LBB114_56
; %bb.55:
	s_clause 0x1
	buffer_load_dword v210, off, s[20:23], 0
	buffer_load_dword v211, off, s[20:23], 0 offset:4
	v_ashrrev_i32_e32 v243, 31, v242
	v_lshlrev_b64 v[214:215], 2, v[242:243]
	s_waitcnt vmcnt(1)
	v_add_co_u32 v214, vcc_lo, v210, v214
	s_waitcnt vmcnt(0)
	v_add_co_ci_u32_e64 v215, null, v211, v215, vcc_lo
	s_clause 0x1
	global_load_dword v0, v[214:215], off
	global_load_dword v216, v[210:211], off offset:8
	s_waitcnt vmcnt(1)
	global_store_dword v[210:211], v0, off offset:8
	s_waitcnt vmcnt(0)
	global_store_dword v[214:215], v216, off
.LBB114_56:
	s_or_b32 exec_lo, exec_lo, s7
	v_mov_b32_e32 v248, v242
	v_mov_b32_e32 v0, v242
.LBB114_57:
	s_or_b32 exec_lo, exec_lo, s1
.LBB114_58:
	s_andn2_saveexec_b32 s0, s0
	s_cbranch_execz .LBB114_60
; %bb.59:
	v_mov_b32_e32 v248, 2
	ds_write2_b64 v1, v[2:3], v[4:5] offset0:6 offset1:7
	ds_write2_b64 v1, v[6:7], v[8:9] offset0:8 offset1:9
	;; [unrolled: 1-line block ×55, first 2 shown]
.LBB114_60:
	s_or_b32 exec_lo, exec_lo, s0
	s_mov_b32 s0, exec_lo
	s_waitcnt lgkmcnt(0)
	s_waitcnt_vscnt null, 0x0
	s_barrier
	buffer_gl0_inv
	v_cmpx_lt_i32_e32 2, v248
	s_cbranch_execz .LBB114_62
; %bb.61:
	s_clause 0x3
	buffer_load_dword v210, off, s[20:23], 0 offset:8
	buffer_load_dword v211, off, s[20:23], 0 offset:12
	;; [unrolled: 1-line block ×4, first 2 shown]
	s_waitcnt vmcnt(0)
	v_mul_f64 v[214:215], v[236:237], v[212:213]
	v_fma_f64 v[242:243], v[234:235], v[210:211], -v[214:215]
	v_mul_f64 v[214:215], v[234:235], v[212:213]
	v_fma_f64 v[212:213], v[236:237], v[210:211], v[214:215]
	ds_read2_b64 v[234:237], v1 offset0:6 offset1:7
	v_mov_b32_e32 v210, v242
	v_mov_b32_e32 v211, v243
	s_waitcnt lgkmcnt(0)
	v_mul_f64 v[214:215], v[236:237], v[212:213]
	v_mul_f64 v[216:217], v[234:235], v[212:213]
	v_fma_f64 v[214:215], v[234:235], v[242:243], -v[214:215]
	v_fma_f64 v[216:217], v[236:237], v[242:243], v[216:217]
	ds_read2_b64 v[234:237], v1 offset0:8 offset1:9
	v_add_f64 v[2:3], v[2:3], -v[214:215]
	v_add_f64 v[4:5], v[4:5], -v[216:217]
	s_waitcnt lgkmcnt(0)
	v_mul_f64 v[214:215], v[236:237], v[212:213]
	v_mul_f64 v[216:217], v[234:235], v[212:213]
	v_fma_f64 v[214:215], v[234:235], v[242:243], -v[214:215]
	v_fma_f64 v[216:217], v[236:237], v[242:243], v[216:217]
	ds_read2_b64 v[234:237], v1 offset0:10 offset1:11
	v_add_f64 v[6:7], v[6:7], -v[214:215]
	v_add_f64 v[8:9], v[8:9], -v[216:217]
	;; [unrolled: 8-line block ×54, first 2 shown]
	s_waitcnt lgkmcnt(0)
	v_mul_f64 v[214:215], v[236:237], v[212:213]
	v_mul_f64 v[216:217], v[234:235], v[212:213]
	buffer_store_dword v210, off, s[20:23], 0 offset:8 ; 4-byte Folded Spill
	buffer_store_dword v211, off, s[20:23], 0 offset:12 ; 4-byte Folded Spill
	;; [unrolled: 1-line block ×4, first 2 shown]
	v_fma_f64 v[214:215], v[234:235], v[242:243], -v[214:215]
	v_fma_f64 v[216:217], v[236:237], v[242:243], v[216:217]
	v_add_f64 v[226:227], v[226:227], -v[214:215]
	v_add_f64 v[228:229], v[228:229], -v[216:217]
.LBB114_62:
	s_or_b32 exec_lo, exec_lo, s0
	v_lshl_add_u32 v214, v248, 4, v1
	s_waitcnt_vscnt null, 0x0
	s_barrier
	buffer_gl0_inv
	v_mov_b32_e32 v242, 3
	ds_write2_b64 v214, v[2:3], v[4:5] offset1:1
	s_waitcnt lgkmcnt(0)
	s_barrier
	buffer_gl0_inv
	ds_read2_b64 v[234:237], v1 offset0:6 offset1:7
	s_cmp_lt_i32 s8, 5
	s_mov_b32 s0, 4
	s_cbranch_scc1 .LBB114_65
; %bb.63:
	v_add3_u32 v243, v254, 0, 64
	v_mov_b32_e32 v242, 3
	s_inst_prefetch 0x1
	.p2align	6
.LBB114_64:                             ; =>This Inner Loop Header: Depth=1
	s_waitcnt lgkmcnt(0)
	v_cmp_gt_f64_e32 vcc_lo, 0, v[234:235]
	v_xor_b32_e32 v214, 0x80000000, v235
	ds_read2_b64 v[249:252], v243 offset1:1
	v_xor_b32_e32 v216, 0x80000000, v237
	v_add_nc_u32_e32 v243, 16, v243
	s_waitcnt lgkmcnt(0)
	v_xor_b32_e32 v218, 0x80000000, v252
	v_cndmask_b32_e32 v215, v235, v214, vcc_lo
	v_cmp_gt_f64_e32 vcc_lo, 0, v[236:237]
	v_mov_b32_e32 v214, v234
	v_cndmask_b32_e32 v217, v237, v216, vcc_lo
	v_cmp_gt_f64_e32 vcc_lo, 0, v[249:250]
	v_mov_b32_e32 v216, v236
	v_add_f64 v[214:215], v[214:215], v[216:217]
	v_xor_b32_e32 v216, 0x80000000, v250
	v_cndmask_b32_e32 v217, v250, v216, vcc_lo
	v_cmp_gt_f64_e32 vcc_lo, 0, v[251:252]
	v_mov_b32_e32 v216, v249
	v_cndmask_b32_e32 v219, v252, v218, vcc_lo
	v_mov_b32_e32 v218, v251
	v_add_f64 v[216:217], v[216:217], v[218:219]
	v_cmp_lt_f64_e32 vcc_lo, v[214:215], v[216:217]
	v_cndmask_b32_e32 v235, v235, v250, vcc_lo
	v_cndmask_b32_e32 v234, v234, v249, vcc_lo
	;; [unrolled: 1-line block ×4, first 2 shown]
	v_cndmask_b32_e64 v242, v242, s0, vcc_lo
	s_add_i32 s0, s0, 1
	s_cmp_lg_u32 s8, s0
	s_cbranch_scc1 .LBB114_64
.LBB114_65:
	s_inst_prefetch 0x2
	s_waitcnt lgkmcnt(0)
	v_cmp_eq_f64_e32 vcc_lo, 0, v[234:235]
	v_cmp_eq_f64_e64 s0, 0, v[236:237]
	s_and_b32 s0, vcc_lo, s0
	s_and_saveexec_b32 s1, s0
	s_xor_b32 s0, exec_lo, s1
; %bb.66:
	v_cmp_ne_u32_e32 vcc_lo, 0, v247
	v_cndmask_b32_e32 v247, 4, v247, vcc_lo
; %bb.67:
	s_andn2_saveexec_b32 s0, s0
	s_cbranch_execz .LBB114_73
; %bb.68:
	v_cmp_ngt_f64_e64 s1, |v[234:235]|, |v[236:237]|
	s_and_saveexec_b32 s7, s1
	s_xor_b32 s1, exec_lo, s7
	s_cbranch_execz .LBB114_70
; %bb.69:
	v_div_scale_f64 v[214:215], null, v[236:237], v[236:237], v[234:235]
	v_div_scale_f64 v[220:221], vcc_lo, v[234:235], v[236:237], v[234:235]
	v_rcp_f64_e32 v[216:217], v[214:215]
	v_fma_f64 v[218:219], -v[214:215], v[216:217], 1.0
	v_fma_f64 v[216:217], v[216:217], v[218:219], v[216:217]
	v_fma_f64 v[218:219], -v[214:215], v[216:217], 1.0
	v_fma_f64 v[216:217], v[216:217], v[218:219], v[216:217]
	v_mul_f64 v[218:219], v[220:221], v[216:217]
	v_fma_f64 v[214:215], -v[214:215], v[218:219], v[220:221]
	v_div_fmas_f64 v[214:215], v[214:215], v[216:217], v[218:219]
	v_div_fixup_f64 v[214:215], v[214:215], v[236:237], v[234:235]
	v_fma_f64 v[216:217], v[234:235], v[214:215], v[236:237]
	v_div_scale_f64 v[218:219], null, v[216:217], v[216:217], 1.0
	v_rcp_f64_e32 v[220:221], v[218:219]
	v_fma_f64 v[222:223], -v[218:219], v[220:221], 1.0
	v_fma_f64 v[220:221], v[220:221], v[222:223], v[220:221]
	v_fma_f64 v[222:223], -v[218:219], v[220:221], 1.0
	v_fma_f64 v[220:221], v[220:221], v[222:223], v[220:221]
	v_div_scale_f64 v[222:223], vcc_lo, 1.0, v[216:217], 1.0
	v_mul_f64 v[224:225], v[222:223], v[220:221]
	v_fma_f64 v[218:219], -v[218:219], v[224:225], v[222:223]
	v_div_fmas_f64 v[218:219], v[218:219], v[220:221], v[224:225]
	v_div_fixup_f64 v[236:237], v[218:219], v[216:217], 1.0
	v_mul_f64 v[234:235], v[214:215], v[236:237]
	v_xor_b32_e32 v237, 0x80000000, v237
.LBB114_70:
	s_andn2_saveexec_b32 s1, s1
	s_cbranch_execz .LBB114_72
; %bb.71:
	v_div_scale_f64 v[214:215], null, v[234:235], v[234:235], v[236:237]
	v_div_scale_f64 v[220:221], vcc_lo, v[236:237], v[234:235], v[236:237]
	v_rcp_f64_e32 v[216:217], v[214:215]
	v_fma_f64 v[218:219], -v[214:215], v[216:217], 1.0
	v_fma_f64 v[216:217], v[216:217], v[218:219], v[216:217]
	v_fma_f64 v[218:219], -v[214:215], v[216:217], 1.0
	v_fma_f64 v[216:217], v[216:217], v[218:219], v[216:217]
	v_mul_f64 v[218:219], v[220:221], v[216:217]
	v_fma_f64 v[214:215], -v[214:215], v[218:219], v[220:221]
	v_div_fmas_f64 v[214:215], v[214:215], v[216:217], v[218:219]
	v_div_fixup_f64 v[214:215], v[214:215], v[234:235], v[236:237]
	v_fma_f64 v[216:217], v[236:237], v[214:215], v[234:235]
	v_div_scale_f64 v[218:219], null, v[216:217], v[216:217], 1.0
	v_rcp_f64_e32 v[220:221], v[218:219]
	v_fma_f64 v[222:223], -v[218:219], v[220:221], 1.0
	v_fma_f64 v[220:221], v[220:221], v[222:223], v[220:221]
	v_fma_f64 v[222:223], -v[218:219], v[220:221], 1.0
	v_fma_f64 v[220:221], v[220:221], v[222:223], v[220:221]
	v_div_scale_f64 v[222:223], vcc_lo, 1.0, v[216:217], 1.0
	v_mul_f64 v[224:225], v[222:223], v[220:221]
	v_fma_f64 v[218:219], -v[218:219], v[224:225], v[222:223]
	v_div_fmas_f64 v[218:219], v[218:219], v[220:221], v[224:225]
	v_div_fixup_f64 v[234:235], v[218:219], v[216:217], 1.0
	v_mul_f64 v[236:237], v[214:215], -v[234:235]
.LBB114_72:
	s_or_b32 exec_lo, exec_lo, s1
.LBB114_73:
	s_or_b32 exec_lo, exec_lo, s0
	s_mov_b32 s0, exec_lo
	v_cmpx_ne_u32_e64 v248, v242
	s_xor_b32 s0, exec_lo, s0
	s_cbranch_execz .LBB114_79
; %bb.74:
	s_mov_b32 s1, exec_lo
	v_cmpx_eq_u32_e32 3, v248
	s_cbranch_execz .LBB114_78
; %bb.75:
	v_cmp_ne_u32_e32 vcc_lo, 3, v242
	s_xor_b32 s7, s16, -1
	s_and_b32 s9, s7, vcc_lo
	s_and_saveexec_b32 s7, s9
	s_cbranch_execz .LBB114_77
; %bb.76:
	s_clause 0x1
	buffer_load_dword v210, off, s[20:23], 0
	buffer_load_dword v211, off, s[20:23], 0 offset:4
	v_ashrrev_i32_e32 v243, 31, v242
	v_lshlrev_b64 v[214:215], 2, v[242:243]
	s_waitcnt vmcnt(1)
	v_add_co_u32 v214, vcc_lo, v210, v214
	s_waitcnt vmcnt(0)
	v_add_co_ci_u32_e64 v215, null, v211, v215, vcc_lo
	s_clause 0x1
	global_load_dword v0, v[214:215], off
	global_load_dword v216, v[210:211], off offset:12
	s_waitcnt vmcnt(1)
	global_store_dword v[210:211], v0, off offset:12
	s_waitcnt vmcnt(0)
	global_store_dword v[214:215], v216, off
.LBB114_77:
	s_or_b32 exec_lo, exec_lo, s7
	v_mov_b32_e32 v248, v242
	v_mov_b32_e32 v0, v242
.LBB114_78:
	s_or_b32 exec_lo, exec_lo, s1
.LBB114_79:
	s_andn2_saveexec_b32 s0, s0
	s_cbranch_execz .LBB114_81
; %bb.80:
	v_mov_b32_e32 v248, 3
	ds_write2_b64 v1, v[6:7], v[8:9] offset0:8 offset1:9
	ds_write2_b64 v1, v[230:231], v[232:233] offset0:10 offset1:11
	;; [unrolled: 1-line block ×54, first 2 shown]
.LBB114_81:
	s_or_b32 exec_lo, exec_lo, s0
	s_mov_b32 s0, exec_lo
	s_waitcnt lgkmcnt(0)
	s_waitcnt_vscnt null, 0x0
	s_barrier
	buffer_gl0_inv
	v_cmpx_lt_i32_e32 3, v248
	s_cbranch_execz .LBB114_83
; %bb.82:
	v_mul_f64 v[214:215], v[236:237], v[4:5]
	v_fma_f64 v[242:243], v[234:235], v[2:3], -v[214:215]
	v_mul_f64 v[214:215], v[234:235], v[4:5]
	v_fma_f64 v[4:5], v[236:237], v[2:3], v[214:215]
	ds_read2_b64 v[234:237], v1 offset0:8 offset1:9
	v_mov_b32_e32 v2, v242
	v_mov_b32_e32 v3, v243
	s_waitcnt lgkmcnt(0)
	v_mul_f64 v[214:215], v[236:237], v[4:5]
	v_mul_f64 v[216:217], v[234:235], v[4:5]
	v_fma_f64 v[214:215], v[234:235], v[242:243], -v[214:215]
	v_fma_f64 v[216:217], v[236:237], v[242:243], v[216:217]
	ds_read2_b64 v[234:237], v1 offset0:10 offset1:11
	v_add_f64 v[6:7], v[6:7], -v[214:215]
	v_add_f64 v[8:9], v[8:9], -v[216:217]
	s_waitcnt lgkmcnt(0)
	v_mul_f64 v[214:215], v[236:237], v[4:5]
	v_mul_f64 v[216:217], v[234:235], v[4:5]
	v_fma_f64 v[214:215], v[234:235], v[242:243], -v[214:215]
	v_fma_f64 v[216:217], v[236:237], v[242:243], v[216:217]
	ds_read2_b64 v[234:237], v1 offset0:12 offset1:13
	v_add_f64 v[230:231], v[230:231], -v[214:215]
	v_add_f64 v[232:233], v[232:233], -v[216:217]
	s_waitcnt lgkmcnt(0)
	v_mul_f64 v[214:215], v[236:237], v[4:5]
	v_mul_f64 v[216:217], v[234:235], v[4:5]
	v_fma_f64 v[214:215], v[234:235], v[242:243], -v[214:215]
	v_fma_f64 v[216:217], v[236:237], v[242:243], v[216:217]
	ds_read2_b64 v[234:237], v1 offset0:14 offset1:15
	v_add_f64 v[206:207], v[206:207], -v[214:215]
	v_add_f64 v[208:209], v[208:209], -v[216:217]
	s_waitcnt lgkmcnt(0)
	v_mul_f64 v[214:215], v[236:237], v[4:5]
	v_mul_f64 v[216:217], v[234:235], v[4:5]
	v_fma_f64 v[214:215], v[234:235], v[242:243], -v[214:215]
	v_fma_f64 v[216:217], v[236:237], v[242:243], v[216:217]
	ds_read2_b64 v[234:237], v1 offset0:16 offset1:17
	v_add_f64 v[202:203], v[202:203], -v[214:215]
	v_add_f64 v[204:205], v[204:205], -v[216:217]
	s_waitcnt lgkmcnt(0)
	v_mul_f64 v[214:215], v[236:237], v[4:5]
	v_mul_f64 v[216:217], v[234:235], v[4:5]
	v_fma_f64 v[214:215], v[234:235], v[242:243], -v[214:215]
	v_fma_f64 v[216:217], v[236:237], v[242:243], v[216:217]
	ds_read2_b64 v[234:237], v1 offset0:18 offset1:19
	v_add_f64 v[198:199], v[198:199], -v[214:215]
	v_add_f64 v[200:201], v[200:201], -v[216:217]
	s_waitcnt lgkmcnt(0)
	v_mul_f64 v[214:215], v[236:237], v[4:5]
	v_mul_f64 v[216:217], v[234:235], v[4:5]
	v_fma_f64 v[214:215], v[234:235], v[242:243], -v[214:215]
	v_fma_f64 v[216:217], v[236:237], v[242:243], v[216:217]
	ds_read2_b64 v[234:237], v1 offset0:20 offset1:21
	v_add_f64 v[194:195], v[194:195], -v[214:215]
	v_add_f64 v[196:197], v[196:197], -v[216:217]
	s_waitcnt lgkmcnt(0)
	v_mul_f64 v[214:215], v[236:237], v[4:5]
	v_mul_f64 v[216:217], v[234:235], v[4:5]
	v_fma_f64 v[214:215], v[234:235], v[242:243], -v[214:215]
	v_fma_f64 v[216:217], v[236:237], v[242:243], v[216:217]
	ds_read2_b64 v[234:237], v1 offset0:22 offset1:23
	v_add_f64 v[190:191], v[190:191], -v[214:215]
	v_add_f64 v[192:193], v[192:193], -v[216:217]
	s_waitcnt lgkmcnt(0)
	v_mul_f64 v[214:215], v[236:237], v[4:5]
	v_mul_f64 v[216:217], v[234:235], v[4:5]
	v_fma_f64 v[214:215], v[234:235], v[242:243], -v[214:215]
	v_fma_f64 v[216:217], v[236:237], v[242:243], v[216:217]
	ds_read2_b64 v[234:237], v1 offset0:24 offset1:25
	v_add_f64 v[186:187], v[186:187], -v[214:215]
	v_add_f64 v[188:189], v[188:189], -v[216:217]
	s_waitcnt lgkmcnt(0)
	v_mul_f64 v[214:215], v[236:237], v[4:5]
	v_mul_f64 v[216:217], v[234:235], v[4:5]
	v_fma_f64 v[214:215], v[234:235], v[242:243], -v[214:215]
	v_fma_f64 v[216:217], v[236:237], v[242:243], v[216:217]
	ds_read2_b64 v[234:237], v1 offset0:26 offset1:27
	v_add_f64 v[182:183], v[182:183], -v[214:215]
	v_add_f64 v[184:185], v[184:185], -v[216:217]
	s_waitcnt lgkmcnt(0)
	v_mul_f64 v[214:215], v[236:237], v[4:5]
	v_mul_f64 v[216:217], v[234:235], v[4:5]
	v_fma_f64 v[214:215], v[234:235], v[242:243], -v[214:215]
	v_fma_f64 v[216:217], v[236:237], v[242:243], v[216:217]
	ds_read2_b64 v[234:237], v1 offset0:28 offset1:29
	v_add_f64 v[178:179], v[178:179], -v[214:215]
	v_add_f64 v[180:181], v[180:181], -v[216:217]
	s_waitcnt lgkmcnt(0)
	v_mul_f64 v[214:215], v[236:237], v[4:5]
	v_mul_f64 v[216:217], v[234:235], v[4:5]
	v_fma_f64 v[214:215], v[234:235], v[242:243], -v[214:215]
	v_fma_f64 v[216:217], v[236:237], v[242:243], v[216:217]
	ds_read2_b64 v[234:237], v1 offset0:30 offset1:31
	v_add_f64 v[174:175], v[174:175], -v[214:215]
	v_add_f64 v[176:177], v[176:177], -v[216:217]
	s_waitcnt lgkmcnt(0)
	v_mul_f64 v[214:215], v[236:237], v[4:5]
	v_mul_f64 v[216:217], v[234:235], v[4:5]
	v_fma_f64 v[214:215], v[234:235], v[242:243], -v[214:215]
	v_fma_f64 v[216:217], v[236:237], v[242:243], v[216:217]
	ds_read2_b64 v[234:237], v1 offset0:32 offset1:33
	v_add_f64 v[170:171], v[170:171], -v[214:215]
	v_add_f64 v[172:173], v[172:173], -v[216:217]
	s_waitcnt lgkmcnt(0)
	v_mul_f64 v[214:215], v[236:237], v[4:5]
	v_mul_f64 v[216:217], v[234:235], v[4:5]
	v_fma_f64 v[214:215], v[234:235], v[242:243], -v[214:215]
	v_fma_f64 v[216:217], v[236:237], v[242:243], v[216:217]
	ds_read2_b64 v[234:237], v1 offset0:34 offset1:35
	v_add_f64 v[166:167], v[166:167], -v[214:215]
	v_add_f64 v[168:169], v[168:169], -v[216:217]
	s_waitcnt lgkmcnt(0)
	v_mul_f64 v[214:215], v[236:237], v[4:5]
	v_mul_f64 v[216:217], v[234:235], v[4:5]
	v_fma_f64 v[214:215], v[234:235], v[242:243], -v[214:215]
	v_fma_f64 v[216:217], v[236:237], v[242:243], v[216:217]
	ds_read2_b64 v[234:237], v1 offset0:36 offset1:37
	v_add_f64 v[162:163], v[162:163], -v[214:215]
	v_add_f64 v[164:165], v[164:165], -v[216:217]
	s_waitcnt lgkmcnt(0)
	v_mul_f64 v[214:215], v[236:237], v[4:5]
	v_mul_f64 v[216:217], v[234:235], v[4:5]
	v_fma_f64 v[214:215], v[234:235], v[242:243], -v[214:215]
	v_fma_f64 v[216:217], v[236:237], v[242:243], v[216:217]
	ds_read2_b64 v[234:237], v1 offset0:38 offset1:39
	v_add_f64 v[158:159], v[158:159], -v[214:215]
	v_add_f64 v[160:161], v[160:161], -v[216:217]
	s_waitcnt lgkmcnt(0)
	v_mul_f64 v[214:215], v[236:237], v[4:5]
	v_mul_f64 v[216:217], v[234:235], v[4:5]
	v_fma_f64 v[214:215], v[234:235], v[242:243], -v[214:215]
	v_fma_f64 v[216:217], v[236:237], v[242:243], v[216:217]
	ds_read2_b64 v[234:237], v1 offset0:40 offset1:41
	v_add_f64 v[154:155], v[154:155], -v[214:215]
	v_add_f64 v[156:157], v[156:157], -v[216:217]
	s_waitcnt lgkmcnt(0)
	v_mul_f64 v[214:215], v[236:237], v[4:5]
	v_mul_f64 v[216:217], v[234:235], v[4:5]
	v_fma_f64 v[214:215], v[234:235], v[242:243], -v[214:215]
	v_fma_f64 v[216:217], v[236:237], v[242:243], v[216:217]
	ds_read2_b64 v[234:237], v1 offset0:42 offset1:43
	v_add_f64 v[150:151], v[150:151], -v[214:215]
	v_add_f64 v[152:153], v[152:153], -v[216:217]
	s_waitcnt lgkmcnt(0)
	v_mul_f64 v[214:215], v[236:237], v[4:5]
	v_mul_f64 v[216:217], v[234:235], v[4:5]
	v_fma_f64 v[214:215], v[234:235], v[242:243], -v[214:215]
	v_fma_f64 v[216:217], v[236:237], v[242:243], v[216:217]
	ds_read2_b64 v[234:237], v1 offset0:44 offset1:45
	v_add_f64 v[146:147], v[146:147], -v[214:215]
	v_add_f64 v[148:149], v[148:149], -v[216:217]
	s_waitcnt lgkmcnt(0)
	v_mul_f64 v[214:215], v[236:237], v[4:5]
	v_mul_f64 v[216:217], v[234:235], v[4:5]
	v_fma_f64 v[214:215], v[234:235], v[242:243], -v[214:215]
	v_fma_f64 v[216:217], v[236:237], v[242:243], v[216:217]
	ds_read2_b64 v[234:237], v1 offset0:46 offset1:47
	v_add_f64 v[142:143], v[142:143], -v[214:215]
	v_add_f64 v[144:145], v[144:145], -v[216:217]
	s_waitcnt lgkmcnt(0)
	v_mul_f64 v[214:215], v[236:237], v[4:5]
	v_mul_f64 v[216:217], v[234:235], v[4:5]
	v_fma_f64 v[214:215], v[234:235], v[242:243], -v[214:215]
	v_fma_f64 v[216:217], v[236:237], v[242:243], v[216:217]
	ds_read2_b64 v[234:237], v1 offset0:48 offset1:49
	v_add_f64 v[138:139], v[138:139], -v[214:215]
	v_add_f64 v[140:141], v[140:141], -v[216:217]
	s_waitcnt lgkmcnt(0)
	v_mul_f64 v[214:215], v[236:237], v[4:5]
	v_mul_f64 v[216:217], v[234:235], v[4:5]
	v_fma_f64 v[214:215], v[234:235], v[242:243], -v[214:215]
	v_fma_f64 v[216:217], v[236:237], v[242:243], v[216:217]
	ds_read2_b64 v[234:237], v1 offset0:50 offset1:51
	v_add_f64 v[134:135], v[134:135], -v[214:215]
	v_add_f64 v[136:137], v[136:137], -v[216:217]
	s_waitcnt lgkmcnt(0)
	v_mul_f64 v[214:215], v[236:237], v[4:5]
	v_mul_f64 v[216:217], v[234:235], v[4:5]
	v_fma_f64 v[214:215], v[234:235], v[242:243], -v[214:215]
	v_fma_f64 v[216:217], v[236:237], v[242:243], v[216:217]
	ds_read2_b64 v[234:237], v1 offset0:52 offset1:53
	v_add_f64 v[130:131], v[130:131], -v[214:215]
	v_add_f64 v[132:133], v[132:133], -v[216:217]
	s_waitcnt lgkmcnt(0)
	v_mul_f64 v[214:215], v[236:237], v[4:5]
	v_mul_f64 v[216:217], v[234:235], v[4:5]
	v_fma_f64 v[214:215], v[234:235], v[242:243], -v[214:215]
	v_fma_f64 v[216:217], v[236:237], v[242:243], v[216:217]
	ds_read2_b64 v[234:237], v1 offset0:54 offset1:55
	v_add_f64 v[126:127], v[126:127], -v[214:215]
	v_add_f64 v[128:129], v[128:129], -v[216:217]
	s_waitcnt lgkmcnt(0)
	v_mul_f64 v[214:215], v[236:237], v[4:5]
	v_mul_f64 v[216:217], v[234:235], v[4:5]
	v_fma_f64 v[214:215], v[234:235], v[242:243], -v[214:215]
	v_fma_f64 v[216:217], v[236:237], v[242:243], v[216:217]
	ds_read2_b64 v[234:237], v1 offset0:56 offset1:57
	v_add_f64 v[122:123], v[122:123], -v[214:215]
	v_add_f64 v[124:125], v[124:125], -v[216:217]
	s_waitcnt lgkmcnt(0)
	v_mul_f64 v[214:215], v[236:237], v[4:5]
	v_mul_f64 v[216:217], v[234:235], v[4:5]
	v_fma_f64 v[214:215], v[234:235], v[242:243], -v[214:215]
	v_fma_f64 v[216:217], v[236:237], v[242:243], v[216:217]
	ds_read2_b64 v[234:237], v1 offset0:58 offset1:59
	v_add_f64 v[118:119], v[118:119], -v[214:215]
	v_add_f64 v[120:121], v[120:121], -v[216:217]
	s_waitcnt lgkmcnt(0)
	v_mul_f64 v[214:215], v[236:237], v[4:5]
	v_mul_f64 v[216:217], v[234:235], v[4:5]
	v_fma_f64 v[214:215], v[234:235], v[242:243], -v[214:215]
	v_fma_f64 v[216:217], v[236:237], v[242:243], v[216:217]
	ds_read2_b64 v[234:237], v1 offset0:60 offset1:61
	v_add_f64 v[114:115], v[114:115], -v[214:215]
	v_add_f64 v[116:117], v[116:117], -v[216:217]
	s_waitcnt lgkmcnt(0)
	v_mul_f64 v[214:215], v[236:237], v[4:5]
	v_mul_f64 v[216:217], v[234:235], v[4:5]
	v_fma_f64 v[214:215], v[234:235], v[242:243], -v[214:215]
	v_fma_f64 v[216:217], v[236:237], v[242:243], v[216:217]
	ds_read2_b64 v[234:237], v1 offset0:62 offset1:63
	v_add_f64 v[110:111], v[110:111], -v[214:215]
	v_add_f64 v[112:113], v[112:113], -v[216:217]
	s_waitcnt lgkmcnt(0)
	v_mul_f64 v[214:215], v[236:237], v[4:5]
	v_mul_f64 v[216:217], v[234:235], v[4:5]
	v_fma_f64 v[214:215], v[234:235], v[242:243], -v[214:215]
	v_fma_f64 v[216:217], v[236:237], v[242:243], v[216:217]
	ds_read2_b64 v[234:237], v1 offset0:64 offset1:65
	v_add_f64 v[106:107], v[106:107], -v[214:215]
	v_add_f64 v[108:109], v[108:109], -v[216:217]
	s_waitcnt lgkmcnt(0)
	v_mul_f64 v[214:215], v[236:237], v[4:5]
	v_mul_f64 v[216:217], v[234:235], v[4:5]
	v_fma_f64 v[214:215], v[234:235], v[242:243], -v[214:215]
	v_fma_f64 v[216:217], v[236:237], v[242:243], v[216:217]
	ds_read2_b64 v[234:237], v1 offset0:66 offset1:67
	v_add_f64 v[102:103], v[102:103], -v[214:215]
	v_add_f64 v[104:105], v[104:105], -v[216:217]
	s_waitcnt lgkmcnt(0)
	v_mul_f64 v[214:215], v[236:237], v[4:5]
	v_mul_f64 v[216:217], v[234:235], v[4:5]
	v_fma_f64 v[214:215], v[234:235], v[242:243], -v[214:215]
	v_fma_f64 v[216:217], v[236:237], v[242:243], v[216:217]
	ds_read2_b64 v[234:237], v1 offset0:68 offset1:69
	v_add_f64 v[98:99], v[98:99], -v[214:215]
	v_add_f64 v[100:101], v[100:101], -v[216:217]
	s_waitcnt lgkmcnt(0)
	v_mul_f64 v[214:215], v[236:237], v[4:5]
	v_mul_f64 v[216:217], v[234:235], v[4:5]
	v_fma_f64 v[214:215], v[234:235], v[242:243], -v[214:215]
	v_fma_f64 v[216:217], v[236:237], v[242:243], v[216:217]
	ds_read2_b64 v[234:237], v1 offset0:70 offset1:71
	v_add_f64 v[94:95], v[94:95], -v[214:215]
	v_add_f64 v[96:97], v[96:97], -v[216:217]
	s_waitcnt lgkmcnt(0)
	v_mul_f64 v[214:215], v[236:237], v[4:5]
	v_mul_f64 v[216:217], v[234:235], v[4:5]
	v_fma_f64 v[214:215], v[234:235], v[242:243], -v[214:215]
	v_fma_f64 v[216:217], v[236:237], v[242:243], v[216:217]
	ds_read2_b64 v[234:237], v1 offset0:72 offset1:73
	v_add_f64 v[90:91], v[90:91], -v[214:215]
	v_add_f64 v[92:93], v[92:93], -v[216:217]
	s_waitcnt lgkmcnt(0)
	v_mul_f64 v[214:215], v[236:237], v[4:5]
	v_mul_f64 v[216:217], v[234:235], v[4:5]
	v_fma_f64 v[214:215], v[234:235], v[242:243], -v[214:215]
	v_fma_f64 v[216:217], v[236:237], v[242:243], v[216:217]
	ds_read2_b64 v[234:237], v1 offset0:74 offset1:75
	v_add_f64 v[86:87], v[86:87], -v[214:215]
	v_add_f64 v[88:89], v[88:89], -v[216:217]
	s_waitcnt lgkmcnt(0)
	v_mul_f64 v[214:215], v[236:237], v[4:5]
	v_mul_f64 v[216:217], v[234:235], v[4:5]
	v_fma_f64 v[214:215], v[234:235], v[242:243], -v[214:215]
	v_fma_f64 v[216:217], v[236:237], v[242:243], v[216:217]
	ds_read2_b64 v[234:237], v1 offset0:76 offset1:77
	v_add_f64 v[82:83], v[82:83], -v[214:215]
	v_add_f64 v[84:85], v[84:85], -v[216:217]
	s_waitcnt lgkmcnt(0)
	v_mul_f64 v[214:215], v[236:237], v[4:5]
	v_mul_f64 v[216:217], v[234:235], v[4:5]
	v_fma_f64 v[214:215], v[234:235], v[242:243], -v[214:215]
	v_fma_f64 v[216:217], v[236:237], v[242:243], v[216:217]
	ds_read2_b64 v[234:237], v1 offset0:78 offset1:79
	v_add_f64 v[78:79], v[78:79], -v[214:215]
	v_add_f64 v[80:81], v[80:81], -v[216:217]
	s_waitcnt lgkmcnt(0)
	v_mul_f64 v[214:215], v[236:237], v[4:5]
	v_mul_f64 v[216:217], v[234:235], v[4:5]
	v_fma_f64 v[214:215], v[234:235], v[242:243], -v[214:215]
	v_fma_f64 v[216:217], v[236:237], v[242:243], v[216:217]
	ds_read2_b64 v[234:237], v1 offset0:80 offset1:81
	v_add_f64 v[74:75], v[74:75], -v[214:215]
	v_add_f64 v[76:77], v[76:77], -v[216:217]
	s_waitcnt lgkmcnt(0)
	v_mul_f64 v[214:215], v[236:237], v[4:5]
	v_mul_f64 v[216:217], v[234:235], v[4:5]
	v_fma_f64 v[214:215], v[234:235], v[242:243], -v[214:215]
	v_fma_f64 v[216:217], v[236:237], v[242:243], v[216:217]
	ds_read2_b64 v[234:237], v1 offset0:82 offset1:83
	v_add_f64 v[70:71], v[70:71], -v[214:215]
	v_add_f64 v[72:73], v[72:73], -v[216:217]
	s_waitcnt lgkmcnt(0)
	v_mul_f64 v[214:215], v[236:237], v[4:5]
	v_mul_f64 v[216:217], v[234:235], v[4:5]
	v_fma_f64 v[214:215], v[234:235], v[242:243], -v[214:215]
	v_fma_f64 v[216:217], v[236:237], v[242:243], v[216:217]
	ds_read2_b64 v[234:237], v1 offset0:84 offset1:85
	v_add_f64 v[66:67], v[66:67], -v[214:215]
	v_add_f64 v[68:69], v[68:69], -v[216:217]
	s_waitcnt lgkmcnt(0)
	v_mul_f64 v[214:215], v[236:237], v[4:5]
	v_mul_f64 v[216:217], v[234:235], v[4:5]
	v_fma_f64 v[214:215], v[234:235], v[242:243], -v[214:215]
	v_fma_f64 v[216:217], v[236:237], v[242:243], v[216:217]
	ds_read2_b64 v[234:237], v1 offset0:86 offset1:87
	v_add_f64 v[62:63], v[62:63], -v[214:215]
	v_add_f64 v[64:65], v[64:65], -v[216:217]
	s_waitcnt lgkmcnt(0)
	v_mul_f64 v[214:215], v[236:237], v[4:5]
	v_mul_f64 v[216:217], v[234:235], v[4:5]
	v_fma_f64 v[214:215], v[234:235], v[242:243], -v[214:215]
	v_fma_f64 v[216:217], v[236:237], v[242:243], v[216:217]
	ds_read2_b64 v[234:237], v1 offset0:88 offset1:89
	v_add_f64 v[58:59], v[58:59], -v[214:215]
	v_add_f64 v[60:61], v[60:61], -v[216:217]
	s_waitcnt lgkmcnt(0)
	v_mul_f64 v[214:215], v[236:237], v[4:5]
	v_mul_f64 v[216:217], v[234:235], v[4:5]
	v_fma_f64 v[214:215], v[234:235], v[242:243], -v[214:215]
	v_fma_f64 v[216:217], v[236:237], v[242:243], v[216:217]
	ds_read2_b64 v[234:237], v1 offset0:90 offset1:91
	v_add_f64 v[54:55], v[54:55], -v[214:215]
	v_add_f64 v[56:57], v[56:57], -v[216:217]
	s_waitcnt lgkmcnt(0)
	v_mul_f64 v[214:215], v[236:237], v[4:5]
	v_mul_f64 v[216:217], v[234:235], v[4:5]
	v_fma_f64 v[214:215], v[234:235], v[242:243], -v[214:215]
	v_fma_f64 v[216:217], v[236:237], v[242:243], v[216:217]
	ds_read2_b64 v[234:237], v1 offset0:92 offset1:93
	v_add_f64 v[50:51], v[50:51], -v[214:215]
	v_add_f64 v[52:53], v[52:53], -v[216:217]
	s_waitcnt lgkmcnt(0)
	v_mul_f64 v[214:215], v[236:237], v[4:5]
	v_mul_f64 v[216:217], v[234:235], v[4:5]
	v_fma_f64 v[214:215], v[234:235], v[242:243], -v[214:215]
	v_fma_f64 v[216:217], v[236:237], v[242:243], v[216:217]
	ds_read2_b64 v[234:237], v1 offset0:94 offset1:95
	v_add_f64 v[46:47], v[46:47], -v[214:215]
	v_add_f64 v[48:49], v[48:49], -v[216:217]
	s_waitcnt lgkmcnt(0)
	v_mul_f64 v[214:215], v[236:237], v[4:5]
	v_mul_f64 v[216:217], v[234:235], v[4:5]
	v_fma_f64 v[214:215], v[234:235], v[242:243], -v[214:215]
	v_fma_f64 v[216:217], v[236:237], v[242:243], v[216:217]
	ds_read2_b64 v[234:237], v1 offset0:96 offset1:97
	v_add_f64 v[42:43], v[42:43], -v[214:215]
	v_add_f64 v[44:45], v[44:45], -v[216:217]
	s_waitcnt lgkmcnt(0)
	v_mul_f64 v[214:215], v[236:237], v[4:5]
	v_mul_f64 v[216:217], v[234:235], v[4:5]
	v_fma_f64 v[214:215], v[234:235], v[242:243], -v[214:215]
	v_fma_f64 v[216:217], v[236:237], v[242:243], v[216:217]
	ds_read2_b64 v[234:237], v1 offset0:98 offset1:99
	v_add_f64 v[38:39], v[38:39], -v[214:215]
	v_add_f64 v[40:41], v[40:41], -v[216:217]
	s_waitcnt lgkmcnt(0)
	v_mul_f64 v[214:215], v[236:237], v[4:5]
	v_mul_f64 v[216:217], v[234:235], v[4:5]
	v_fma_f64 v[214:215], v[234:235], v[242:243], -v[214:215]
	v_fma_f64 v[216:217], v[236:237], v[242:243], v[216:217]
	ds_read2_b64 v[234:237], v1 offset0:100 offset1:101
	v_add_f64 v[34:35], v[34:35], -v[214:215]
	v_add_f64 v[36:37], v[36:37], -v[216:217]
	s_waitcnt lgkmcnt(0)
	v_mul_f64 v[214:215], v[236:237], v[4:5]
	v_mul_f64 v[216:217], v[234:235], v[4:5]
	v_fma_f64 v[214:215], v[234:235], v[242:243], -v[214:215]
	v_fma_f64 v[216:217], v[236:237], v[242:243], v[216:217]
	ds_read2_b64 v[234:237], v1 offset0:102 offset1:103
	v_add_f64 v[30:31], v[30:31], -v[214:215]
	v_add_f64 v[32:33], v[32:33], -v[216:217]
	s_waitcnt lgkmcnt(0)
	v_mul_f64 v[214:215], v[236:237], v[4:5]
	v_mul_f64 v[216:217], v[234:235], v[4:5]
	v_fma_f64 v[214:215], v[234:235], v[242:243], -v[214:215]
	v_fma_f64 v[216:217], v[236:237], v[242:243], v[216:217]
	ds_read2_b64 v[234:237], v1 offset0:104 offset1:105
	v_add_f64 v[26:27], v[26:27], -v[214:215]
	v_add_f64 v[28:29], v[28:29], -v[216:217]
	s_waitcnt lgkmcnt(0)
	v_mul_f64 v[214:215], v[236:237], v[4:5]
	v_mul_f64 v[216:217], v[234:235], v[4:5]
	v_fma_f64 v[214:215], v[234:235], v[242:243], -v[214:215]
	v_fma_f64 v[216:217], v[236:237], v[242:243], v[216:217]
	ds_read2_b64 v[234:237], v1 offset0:106 offset1:107
	v_add_f64 v[22:23], v[22:23], -v[214:215]
	v_add_f64 v[24:25], v[24:25], -v[216:217]
	s_waitcnt lgkmcnt(0)
	v_mul_f64 v[214:215], v[236:237], v[4:5]
	v_mul_f64 v[216:217], v[234:235], v[4:5]
	v_fma_f64 v[214:215], v[234:235], v[242:243], -v[214:215]
	v_fma_f64 v[216:217], v[236:237], v[242:243], v[216:217]
	ds_read2_b64 v[234:237], v1 offset0:108 offset1:109
	v_add_f64 v[18:19], v[18:19], -v[214:215]
	v_add_f64 v[20:21], v[20:21], -v[216:217]
	s_waitcnt lgkmcnt(0)
	v_mul_f64 v[214:215], v[236:237], v[4:5]
	v_mul_f64 v[216:217], v[234:235], v[4:5]
	v_fma_f64 v[214:215], v[234:235], v[242:243], -v[214:215]
	v_fma_f64 v[216:217], v[236:237], v[242:243], v[216:217]
	ds_read2_b64 v[234:237], v1 offset0:110 offset1:111
	v_add_f64 v[14:15], v[14:15], -v[214:215]
	v_add_f64 v[16:17], v[16:17], -v[216:217]
	s_waitcnt lgkmcnt(0)
	v_mul_f64 v[214:215], v[236:237], v[4:5]
	v_mul_f64 v[216:217], v[234:235], v[4:5]
	v_fma_f64 v[214:215], v[234:235], v[242:243], -v[214:215]
	v_fma_f64 v[216:217], v[236:237], v[242:243], v[216:217]
	ds_read2_b64 v[234:237], v1 offset0:112 offset1:113
	v_add_f64 v[10:11], v[10:11], -v[214:215]
	v_add_f64 v[12:13], v[12:13], -v[216:217]
	s_waitcnt lgkmcnt(0)
	v_mul_f64 v[214:215], v[236:237], v[4:5]
	v_mul_f64 v[216:217], v[234:235], v[4:5]
	v_fma_f64 v[214:215], v[234:235], v[242:243], -v[214:215]
	v_fma_f64 v[216:217], v[236:237], v[242:243], v[216:217]
	ds_read2_b64 v[234:237], v1 offset0:114 offset1:115
	v_add_f64 v[238:239], v[238:239], -v[214:215]
	v_add_f64 v[240:241], v[240:241], -v[216:217]
	s_waitcnt lgkmcnt(0)
	v_mul_f64 v[214:215], v[236:237], v[4:5]
	v_mul_f64 v[216:217], v[234:235], v[4:5]
	v_fma_f64 v[214:215], v[234:235], v[242:243], -v[214:215]
	v_fma_f64 v[216:217], v[236:237], v[242:243], v[216:217]
	v_add_f64 v[226:227], v[226:227], -v[214:215]
	v_add_f64 v[228:229], v[228:229], -v[216:217]
.LBB114_83:
	s_or_b32 exec_lo, exec_lo, s0
	v_lshl_add_u32 v214, v248, 4, v1
	s_barrier
	buffer_gl0_inv
	v_mov_b32_e32 v242, 4
	ds_write2_b64 v214, v[6:7], v[8:9] offset1:1
	s_waitcnt lgkmcnt(0)
	s_barrier
	buffer_gl0_inv
	ds_read2_b64 v[234:237], v1 offset0:8 offset1:9
	s_cmp_lt_i32 s8, 6
	s_cbranch_scc1 .LBB114_86
; %bb.84:
	v_mov_b32_e32 v242, 4
	v_add3_u32 v243, v254, 0, 0x50
	s_mov_b32 s0, 5
	s_inst_prefetch 0x1
	.p2align	6
.LBB114_85:                             ; =>This Inner Loop Header: Depth=1
	s_waitcnt lgkmcnt(0)
	v_cmp_gt_f64_e32 vcc_lo, 0, v[234:235]
	v_xor_b32_e32 v214, 0x80000000, v235
	ds_read2_b64 v[249:252], v243 offset1:1
	v_xor_b32_e32 v216, 0x80000000, v237
	v_add_nc_u32_e32 v243, 16, v243
	s_waitcnt lgkmcnt(0)
	v_xor_b32_e32 v218, 0x80000000, v252
	v_cndmask_b32_e32 v215, v235, v214, vcc_lo
	v_cmp_gt_f64_e32 vcc_lo, 0, v[236:237]
	v_mov_b32_e32 v214, v234
	v_cndmask_b32_e32 v217, v237, v216, vcc_lo
	v_cmp_gt_f64_e32 vcc_lo, 0, v[249:250]
	v_mov_b32_e32 v216, v236
	v_add_f64 v[214:215], v[214:215], v[216:217]
	v_xor_b32_e32 v216, 0x80000000, v250
	v_cndmask_b32_e32 v217, v250, v216, vcc_lo
	v_cmp_gt_f64_e32 vcc_lo, 0, v[251:252]
	v_mov_b32_e32 v216, v249
	v_cndmask_b32_e32 v219, v252, v218, vcc_lo
	v_mov_b32_e32 v218, v251
	v_add_f64 v[216:217], v[216:217], v[218:219]
	v_cmp_lt_f64_e32 vcc_lo, v[214:215], v[216:217]
	v_cndmask_b32_e32 v235, v235, v250, vcc_lo
	v_cndmask_b32_e32 v234, v234, v249, vcc_lo
	;; [unrolled: 1-line block ×4, first 2 shown]
	v_cndmask_b32_e64 v242, v242, s0, vcc_lo
	s_add_i32 s0, s0, 1
	s_cmp_lg_u32 s8, s0
	s_cbranch_scc1 .LBB114_85
.LBB114_86:
	s_inst_prefetch 0x2
	s_waitcnt lgkmcnt(0)
	v_cmp_eq_f64_e32 vcc_lo, 0, v[234:235]
	v_cmp_eq_f64_e64 s0, 0, v[236:237]
	s_and_b32 s0, vcc_lo, s0
	s_and_saveexec_b32 s1, s0
	s_xor_b32 s0, exec_lo, s1
; %bb.87:
	v_cmp_ne_u32_e32 vcc_lo, 0, v247
	v_cndmask_b32_e32 v247, 5, v247, vcc_lo
; %bb.88:
	s_andn2_saveexec_b32 s0, s0
	s_cbranch_execz .LBB114_94
; %bb.89:
	v_cmp_ngt_f64_e64 s1, |v[234:235]|, |v[236:237]|
	s_and_saveexec_b32 s7, s1
	s_xor_b32 s1, exec_lo, s7
	s_cbranch_execz .LBB114_91
; %bb.90:
	v_div_scale_f64 v[214:215], null, v[236:237], v[236:237], v[234:235]
	v_div_scale_f64 v[220:221], vcc_lo, v[234:235], v[236:237], v[234:235]
	v_rcp_f64_e32 v[216:217], v[214:215]
	v_fma_f64 v[218:219], -v[214:215], v[216:217], 1.0
	v_fma_f64 v[216:217], v[216:217], v[218:219], v[216:217]
	v_fma_f64 v[218:219], -v[214:215], v[216:217], 1.0
	v_fma_f64 v[216:217], v[216:217], v[218:219], v[216:217]
	v_mul_f64 v[218:219], v[220:221], v[216:217]
	v_fma_f64 v[214:215], -v[214:215], v[218:219], v[220:221]
	v_div_fmas_f64 v[214:215], v[214:215], v[216:217], v[218:219]
	v_div_fixup_f64 v[214:215], v[214:215], v[236:237], v[234:235]
	v_fma_f64 v[216:217], v[234:235], v[214:215], v[236:237]
	v_div_scale_f64 v[218:219], null, v[216:217], v[216:217], 1.0
	v_rcp_f64_e32 v[220:221], v[218:219]
	v_fma_f64 v[222:223], -v[218:219], v[220:221], 1.0
	v_fma_f64 v[220:221], v[220:221], v[222:223], v[220:221]
	v_fma_f64 v[222:223], -v[218:219], v[220:221], 1.0
	v_fma_f64 v[220:221], v[220:221], v[222:223], v[220:221]
	v_div_scale_f64 v[222:223], vcc_lo, 1.0, v[216:217], 1.0
	v_mul_f64 v[224:225], v[222:223], v[220:221]
	v_fma_f64 v[218:219], -v[218:219], v[224:225], v[222:223]
	v_div_fmas_f64 v[218:219], v[218:219], v[220:221], v[224:225]
	v_div_fixup_f64 v[236:237], v[218:219], v[216:217], 1.0
	v_mul_f64 v[234:235], v[214:215], v[236:237]
	v_xor_b32_e32 v237, 0x80000000, v237
.LBB114_91:
	s_andn2_saveexec_b32 s1, s1
	s_cbranch_execz .LBB114_93
; %bb.92:
	v_div_scale_f64 v[214:215], null, v[234:235], v[234:235], v[236:237]
	v_div_scale_f64 v[220:221], vcc_lo, v[236:237], v[234:235], v[236:237]
	v_rcp_f64_e32 v[216:217], v[214:215]
	v_fma_f64 v[218:219], -v[214:215], v[216:217], 1.0
	v_fma_f64 v[216:217], v[216:217], v[218:219], v[216:217]
	v_fma_f64 v[218:219], -v[214:215], v[216:217], 1.0
	v_fma_f64 v[216:217], v[216:217], v[218:219], v[216:217]
	v_mul_f64 v[218:219], v[220:221], v[216:217]
	v_fma_f64 v[214:215], -v[214:215], v[218:219], v[220:221]
	v_div_fmas_f64 v[214:215], v[214:215], v[216:217], v[218:219]
	v_div_fixup_f64 v[214:215], v[214:215], v[234:235], v[236:237]
	v_fma_f64 v[216:217], v[236:237], v[214:215], v[234:235]
	v_div_scale_f64 v[218:219], null, v[216:217], v[216:217], 1.0
	v_rcp_f64_e32 v[220:221], v[218:219]
	v_fma_f64 v[222:223], -v[218:219], v[220:221], 1.0
	v_fma_f64 v[220:221], v[220:221], v[222:223], v[220:221]
	v_fma_f64 v[222:223], -v[218:219], v[220:221], 1.0
	v_fma_f64 v[220:221], v[220:221], v[222:223], v[220:221]
	v_div_scale_f64 v[222:223], vcc_lo, 1.0, v[216:217], 1.0
	v_mul_f64 v[224:225], v[222:223], v[220:221]
	v_fma_f64 v[218:219], -v[218:219], v[224:225], v[222:223]
	v_div_fmas_f64 v[218:219], v[218:219], v[220:221], v[224:225]
	v_div_fixup_f64 v[234:235], v[218:219], v[216:217], 1.0
	v_mul_f64 v[236:237], v[214:215], -v[234:235]
.LBB114_93:
	s_or_b32 exec_lo, exec_lo, s1
.LBB114_94:
	s_or_b32 exec_lo, exec_lo, s0
	s_mov_b32 s0, exec_lo
	v_cmpx_ne_u32_e64 v248, v242
	s_xor_b32 s0, exec_lo, s0
	s_cbranch_execz .LBB114_100
; %bb.95:
	s_mov_b32 s1, exec_lo
	v_cmpx_eq_u32_e32 4, v248
	s_cbranch_execz .LBB114_99
; %bb.96:
	v_cmp_ne_u32_e32 vcc_lo, 4, v242
	s_xor_b32 s7, s16, -1
	s_and_b32 s9, s7, vcc_lo
	s_and_saveexec_b32 s7, s9
	s_cbranch_execz .LBB114_98
; %bb.97:
	s_clause 0x1
	buffer_load_dword v210, off, s[20:23], 0
	buffer_load_dword v211, off, s[20:23], 0 offset:4
	v_ashrrev_i32_e32 v243, 31, v242
	v_lshlrev_b64 v[214:215], 2, v[242:243]
	s_waitcnt vmcnt(1)
	v_add_co_u32 v214, vcc_lo, v210, v214
	s_waitcnt vmcnt(0)
	v_add_co_ci_u32_e64 v215, null, v211, v215, vcc_lo
	s_clause 0x1
	global_load_dword v0, v[214:215], off
	global_load_dword v216, v[210:211], off offset:16
	s_waitcnt vmcnt(1)
	global_store_dword v[210:211], v0, off offset:16
	s_waitcnt vmcnt(0)
	global_store_dword v[214:215], v216, off
.LBB114_98:
	s_or_b32 exec_lo, exec_lo, s7
	v_mov_b32_e32 v248, v242
	v_mov_b32_e32 v0, v242
.LBB114_99:
	s_or_b32 exec_lo, exec_lo, s1
.LBB114_100:
	s_andn2_saveexec_b32 s0, s0
	s_cbranch_execz .LBB114_102
; %bb.101:
	v_mov_b32_e32 v248, 4
	ds_write2_b64 v1, v[230:231], v[232:233] offset0:10 offset1:11
	ds_write2_b64 v1, v[206:207], v[208:209] offset0:12 offset1:13
	;; [unrolled: 1-line block ×53, first 2 shown]
.LBB114_102:
	s_or_b32 exec_lo, exec_lo, s0
	s_mov_b32 s0, exec_lo
	s_waitcnt lgkmcnt(0)
	s_waitcnt_vscnt null, 0x0
	s_barrier
	buffer_gl0_inv
	v_cmpx_lt_i32_e32 4, v248
	s_cbranch_execz .LBB114_104
; %bb.103:
	v_mul_f64 v[214:215], v[236:237], v[8:9]
	v_fma_f64 v[242:243], v[234:235], v[6:7], -v[214:215]
	v_mul_f64 v[214:215], v[234:235], v[8:9]
	v_fma_f64 v[8:9], v[236:237], v[6:7], v[214:215]
	ds_read2_b64 v[234:237], v1 offset0:10 offset1:11
	v_mov_b32_e32 v6, v242
	v_mov_b32_e32 v7, v243
	s_waitcnt lgkmcnt(0)
	v_mul_f64 v[214:215], v[236:237], v[8:9]
	v_mul_f64 v[216:217], v[234:235], v[8:9]
	v_fma_f64 v[214:215], v[234:235], v[242:243], -v[214:215]
	v_fma_f64 v[216:217], v[236:237], v[242:243], v[216:217]
	ds_read2_b64 v[234:237], v1 offset0:12 offset1:13
	v_add_f64 v[230:231], v[230:231], -v[214:215]
	v_add_f64 v[232:233], v[232:233], -v[216:217]
	s_waitcnt lgkmcnt(0)
	v_mul_f64 v[214:215], v[236:237], v[8:9]
	v_mul_f64 v[216:217], v[234:235], v[8:9]
	v_fma_f64 v[214:215], v[234:235], v[242:243], -v[214:215]
	v_fma_f64 v[216:217], v[236:237], v[242:243], v[216:217]
	ds_read2_b64 v[234:237], v1 offset0:14 offset1:15
	v_add_f64 v[206:207], v[206:207], -v[214:215]
	v_add_f64 v[208:209], v[208:209], -v[216:217]
	;; [unrolled: 8-line block ×52, first 2 shown]
	s_waitcnt lgkmcnt(0)
	v_mul_f64 v[214:215], v[236:237], v[8:9]
	v_mul_f64 v[216:217], v[234:235], v[8:9]
	v_fma_f64 v[214:215], v[234:235], v[242:243], -v[214:215]
	v_fma_f64 v[216:217], v[236:237], v[242:243], v[216:217]
	v_add_f64 v[226:227], v[226:227], -v[214:215]
	v_add_f64 v[228:229], v[228:229], -v[216:217]
.LBB114_104:
	s_or_b32 exec_lo, exec_lo, s0
	v_lshl_add_u32 v214, v248, 4, v1
	s_barrier
	buffer_gl0_inv
	v_mov_b32_e32 v242, 5
	ds_write2_b64 v214, v[230:231], v[232:233] offset1:1
	s_waitcnt lgkmcnt(0)
	s_barrier
	buffer_gl0_inv
	ds_read2_b64 v[234:237], v1 offset0:10 offset1:11
	s_cmp_lt_i32 s8, 7
	s_cbranch_scc1 .LBB114_107
; %bb.105:
	v_add3_u32 v243, v254, 0, 0x60
	v_mov_b32_e32 v242, 5
	s_mov_b32 s0, 6
	s_inst_prefetch 0x1
	.p2align	6
.LBB114_106:                            ; =>This Inner Loop Header: Depth=1
	s_waitcnt lgkmcnt(0)
	v_cmp_gt_f64_e32 vcc_lo, 0, v[234:235]
	v_xor_b32_e32 v214, 0x80000000, v235
	ds_read2_b64 v[249:252], v243 offset1:1
	v_xor_b32_e32 v216, 0x80000000, v237
	v_add_nc_u32_e32 v243, 16, v243
	s_waitcnt lgkmcnt(0)
	v_xor_b32_e32 v218, 0x80000000, v252
	v_cndmask_b32_e32 v215, v235, v214, vcc_lo
	v_cmp_gt_f64_e32 vcc_lo, 0, v[236:237]
	v_mov_b32_e32 v214, v234
	v_cndmask_b32_e32 v217, v237, v216, vcc_lo
	v_cmp_gt_f64_e32 vcc_lo, 0, v[249:250]
	v_mov_b32_e32 v216, v236
	v_add_f64 v[214:215], v[214:215], v[216:217]
	v_xor_b32_e32 v216, 0x80000000, v250
	v_cndmask_b32_e32 v217, v250, v216, vcc_lo
	v_cmp_gt_f64_e32 vcc_lo, 0, v[251:252]
	v_mov_b32_e32 v216, v249
	v_cndmask_b32_e32 v219, v252, v218, vcc_lo
	v_mov_b32_e32 v218, v251
	v_add_f64 v[216:217], v[216:217], v[218:219]
	v_cmp_lt_f64_e32 vcc_lo, v[214:215], v[216:217]
	v_cndmask_b32_e32 v235, v235, v250, vcc_lo
	v_cndmask_b32_e32 v234, v234, v249, vcc_lo
	;; [unrolled: 1-line block ×4, first 2 shown]
	v_cndmask_b32_e64 v242, v242, s0, vcc_lo
	s_add_i32 s0, s0, 1
	s_cmp_lg_u32 s8, s0
	s_cbranch_scc1 .LBB114_106
.LBB114_107:
	s_inst_prefetch 0x2
	s_waitcnt lgkmcnt(0)
	v_cmp_eq_f64_e32 vcc_lo, 0, v[234:235]
	v_cmp_eq_f64_e64 s0, 0, v[236:237]
	s_and_b32 s0, vcc_lo, s0
	s_and_saveexec_b32 s1, s0
	s_xor_b32 s0, exec_lo, s1
; %bb.108:
	v_cmp_ne_u32_e32 vcc_lo, 0, v247
	v_cndmask_b32_e32 v247, 6, v247, vcc_lo
; %bb.109:
	s_andn2_saveexec_b32 s0, s0
	s_cbranch_execz .LBB114_115
; %bb.110:
	v_cmp_ngt_f64_e64 s1, |v[234:235]|, |v[236:237]|
	s_and_saveexec_b32 s7, s1
	s_xor_b32 s1, exec_lo, s7
	s_cbranch_execz .LBB114_112
; %bb.111:
	v_div_scale_f64 v[214:215], null, v[236:237], v[236:237], v[234:235]
	v_div_scale_f64 v[220:221], vcc_lo, v[234:235], v[236:237], v[234:235]
	v_rcp_f64_e32 v[216:217], v[214:215]
	v_fma_f64 v[218:219], -v[214:215], v[216:217], 1.0
	v_fma_f64 v[216:217], v[216:217], v[218:219], v[216:217]
	v_fma_f64 v[218:219], -v[214:215], v[216:217], 1.0
	v_fma_f64 v[216:217], v[216:217], v[218:219], v[216:217]
	v_mul_f64 v[218:219], v[220:221], v[216:217]
	v_fma_f64 v[214:215], -v[214:215], v[218:219], v[220:221]
	v_div_fmas_f64 v[214:215], v[214:215], v[216:217], v[218:219]
	v_div_fixup_f64 v[214:215], v[214:215], v[236:237], v[234:235]
	v_fma_f64 v[216:217], v[234:235], v[214:215], v[236:237]
	v_div_scale_f64 v[218:219], null, v[216:217], v[216:217], 1.0
	v_rcp_f64_e32 v[220:221], v[218:219]
	v_fma_f64 v[222:223], -v[218:219], v[220:221], 1.0
	v_fma_f64 v[220:221], v[220:221], v[222:223], v[220:221]
	v_fma_f64 v[222:223], -v[218:219], v[220:221], 1.0
	v_fma_f64 v[220:221], v[220:221], v[222:223], v[220:221]
	v_div_scale_f64 v[222:223], vcc_lo, 1.0, v[216:217], 1.0
	v_mul_f64 v[224:225], v[222:223], v[220:221]
	v_fma_f64 v[218:219], -v[218:219], v[224:225], v[222:223]
	v_div_fmas_f64 v[218:219], v[218:219], v[220:221], v[224:225]
	v_div_fixup_f64 v[236:237], v[218:219], v[216:217], 1.0
	v_mul_f64 v[234:235], v[214:215], v[236:237]
	v_xor_b32_e32 v237, 0x80000000, v237
.LBB114_112:
	s_andn2_saveexec_b32 s1, s1
	s_cbranch_execz .LBB114_114
; %bb.113:
	v_div_scale_f64 v[214:215], null, v[234:235], v[234:235], v[236:237]
	v_div_scale_f64 v[220:221], vcc_lo, v[236:237], v[234:235], v[236:237]
	v_rcp_f64_e32 v[216:217], v[214:215]
	v_fma_f64 v[218:219], -v[214:215], v[216:217], 1.0
	v_fma_f64 v[216:217], v[216:217], v[218:219], v[216:217]
	v_fma_f64 v[218:219], -v[214:215], v[216:217], 1.0
	v_fma_f64 v[216:217], v[216:217], v[218:219], v[216:217]
	v_mul_f64 v[218:219], v[220:221], v[216:217]
	v_fma_f64 v[214:215], -v[214:215], v[218:219], v[220:221]
	v_div_fmas_f64 v[214:215], v[214:215], v[216:217], v[218:219]
	v_div_fixup_f64 v[214:215], v[214:215], v[234:235], v[236:237]
	v_fma_f64 v[216:217], v[236:237], v[214:215], v[234:235]
	v_div_scale_f64 v[218:219], null, v[216:217], v[216:217], 1.0
	v_rcp_f64_e32 v[220:221], v[218:219]
	v_fma_f64 v[222:223], -v[218:219], v[220:221], 1.0
	v_fma_f64 v[220:221], v[220:221], v[222:223], v[220:221]
	v_fma_f64 v[222:223], -v[218:219], v[220:221], 1.0
	v_fma_f64 v[220:221], v[220:221], v[222:223], v[220:221]
	v_div_scale_f64 v[222:223], vcc_lo, 1.0, v[216:217], 1.0
	v_mul_f64 v[224:225], v[222:223], v[220:221]
	v_fma_f64 v[218:219], -v[218:219], v[224:225], v[222:223]
	v_div_fmas_f64 v[218:219], v[218:219], v[220:221], v[224:225]
	v_div_fixup_f64 v[234:235], v[218:219], v[216:217], 1.0
	v_mul_f64 v[236:237], v[214:215], -v[234:235]
.LBB114_114:
	s_or_b32 exec_lo, exec_lo, s1
.LBB114_115:
	s_or_b32 exec_lo, exec_lo, s0
	s_mov_b32 s0, exec_lo
	v_cmpx_ne_u32_e64 v248, v242
	s_xor_b32 s0, exec_lo, s0
	s_cbranch_execz .LBB114_121
; %bb.116:
	s_mov_b32 s1, exec_lo
	v_cmpx_eq_u32_e32 5, v248
	s_cbranch_execz .LBB114_120
; %bb.117:
	v_cmp_ne_u32_e32 vcc_lo, 5, v242
	s_xor_b32 s7, s16, -1
	s_and_b32 s9, s7, vcc_lo
	s_and_saveexec_b32 s7, s9
	s_cbranch_execz .LBB114_119
; %bb.118:
	s_clause 0x1
	buffer_load_dword v210, off, s[20:23], 0
	buffer_load_dword v211, off, s[20:23], 0 offset:4
	v_ashrrev_i32_e32 v243, 31, v242
	v_lshlrev_b64 v[214:215], 2, v[242:243]
	s_waitcnt vmcnt(1)
	v_add_co_u32 v214, vcc_lo, v210, v214
	s_waitcnt vmcnt(0)
	v_add_co_ci_u32_e64 v215, null, v211, v215, vcc_lo
	s_clause 0x1
	global_load_dword v0, v[214:215], off
	global_load_dword v216, v[210:211], off offset:20
	s_waitcnt vmcnt(1)
	global_store_dword v[210:211], v0, off offset:20
	s_waitcnt vmcnt(0)
	global_store_dword v[214:215], v216, off
.LBB114_119:
	s_or_b32 exec_lo, exec_lo, s7
	v_mov_b32_e32 v248, v242
	v_mov_b32_e32 v0, v242
.LBB114_120:
	s_or_b32 exec_lo, exec_lo, s1
.LBB114_121:
	s_andn2_saveexec_b32 s0, s0
	s_cbranch_execz .LBB114_123
; %bb.122:
	v_mov_b32_e32 v248, 5
	ds_write2_b64 v1, v[206:207], v[208:209] offset0:12 offset1:13
	ds_write2_b64 v1, v[202:203], v[204:205] offset0:14 offset1:15
	;; [unrolled: 1-line block ×52, first 2 shown]
.LBB114_123:
	s_or_b32 exec_lo, exec_lo, s0
	s_mov_b32 s0, exec_lo
	s_waitcnt lgkmcnt(0)
	s_waitcnt_vscnt null, 0x0
	s_barrier
	buffer_gl0_inv
	v_cmpx_lt_i32_e32 5, v248
	s_cbranch_execz .LBB114_125
; %bb.124:
	v_mul_f64 v[212:213], v[234:235], v[232:233]
	v_mul_f64 v[214:215], v[236:237], v[232:233]
	v_fma_f64 v[232:233], v[236:237], v[230:231], v[212:213]
	v_fma_f64 v[242:243], v[234:235], v[230:231], -v[214:215]
	ds_read2_b64 v[234:237], v1 offset0:12 offset1:13
	s_waitcnt lgkmcnt(0)
	v_mul_f64 v[210:211], v[236:237], v[232:233]
	v_mul_f64 v[214:215], v[234:235], v[232:233]
	v_mov_b32_e32 v230, v242
	v_mov_b32_e32 v231, v243
	v_fma_f64 v[210:211], v[234:235], v[242:243], -v[210:211]
	v_fma_f64 v[214:215], v[236:237], v[242:243], v[214:215]
	ds_read2_b64 v[234:237], v1 offset0:14 offset1:15
	v_add_f64 v[206:207], v[206:207], -v[210:211]
	v_add_f64 v[208:209], v[208:209], -v[214:215]
	s_waitcnt lgkmcnt(0)
	v_mul_f64 v[210:211], v[236:237], v[232:233]
	v_mul_f64 v[214:215], v[234:235], v[232:233]
	v_fma_f64 v[210:211], v[234:235], v[242:243], -v[210:211]
	v_fma_f64 v[214:215], v[236:237], v[242:243], v[214:215]
	ds_read2_b64 v[234:237], v1 offset0:16 offset1:17
	v_add_f64 v[202:203], v[202:203], -v[210:211]
	v_add_f64 v[204:205], v[204:205], -v[214:215]
	s_waitcnt lgkmcnt(0)
	v_mul_f64 v[210:211], v[236:237], v[232:233]
	v_mul_f64 v[214:215], v[234:235], v[232:233]
	;; [unrolled: 8-line block ×51, first 2 shown]
	v_fma_f64 v[210:211], v[234:235], v[242:243], -v[210:211]
	v_fma_f64 v[214:215], v[236:237], v[242:243], v[214:215]
	v_add_f64 v[226:227], v[226:227], -v[210:211]
	v_add_f64 v[228:229], v[228:229], -v[214:215]
.LBB114_125:
	s_or_b32 exec_lo, exec_lo, s0
	v_lshl_add_u32 v214, v248, 4, v1
	s_barrier
	buffer_gl0_inv
	v_mov_b32_e32 v242, 6
	ds_write2_b64 v214, v[206:207], v[208:209] offset1:1
	s_waitcnt lgkmcnt(0)
	s_barrier
	buffer_gl0_inv
	ds_read2_b64 v[234:237], v1 offset0:12 offset1:13
	s_cmp_lt_i32 s8, 8
	s_cbranch_scc1 .LBB114_128
; %bb.126:
	v_add3_u32 v243, v254, 0, 0x70
	v_mov_b32_e32 v242, 6
	s_mov_b32 s0, 7
	s_inst_prefetch 0x1
	.p2align	6
.LBB114_127:                            ; =>This Inner Loop Header: Depth=1
	s_waitcnt lgkmcnt(0)
	v_cmp_gt_f64_e32 vcc_lo, 0, v[234:235]
	v_xor_b32_e32 v214, 0x80000000, v235
	ds_read2_b64 v[249:252], v243 offset1:1
	v_xor_b32_e32 v216, 0x80000000, v237
	v_add_nc_u32_e32 v243, 16, v243
	s_waitcnt lgkmcnt(0)
	v_xor_b32_e32 v218, 0x80000000, v252
	v_cndmask_b32_e32 v215, v235, v214, vcc_lo
	v_cmp_gt_f64_e32 vcc_lo, 0, v[236:237]
	v_mov_b32_e32 v214, v234
	v_cndmask_b32_e32 v217, v237, v216, vcc_lo
	v_cmp_gt_f64_e32 vcc_lo, 0, v[249:250]
	v_mov_b32_e32 v216, v236
	v_add_f64 v[214:215], v[214:215], v[216:217]
	v_xor_b32_e32 v216, 0x80000000, v250
	v_cndmask_b32_e32 v217, v250, v216, vcc_lo
	v_cmp_gt_f64_e32 vcc_lo, 0, v[251:252]
	v_mov_b32_e32 v216, v249
	v_cndmask_b32_e32 v219, v252, v218, vcc_lo
	v_mov_b32_e32 v218, v251
	v_add_f64 v[216:217], v[216:217], v[218:219]
	v_cmp_lt_f64_e32 vcc_lo, v[214:215], v[216:217]
	v_cndmask_b32_e32 v235, v235, v250, vcc_lo
	v_cndmask_b32_e32 v234, v234, v249, vcc_lo
	;; [unrolled: 1-line block ×4, first 2 shown]
	v_cndmask_b32_e64 v242, v242, s0, vcc_lo
	s_add_i32 s0, s0, 1
	s_cmp_lg_u32 s8, s0
	s_cbranch_scc1 .LBB114_127
.LBB114_128:
	s_inst_prefetch 0x2
	s_waitcnt lgkmcnt(0)
	v_cmp_eq_f64_e32 vcc_lo, 0, v[234:235]
	v_cmp_eq_f64_e64 s0, 0, v[236:237]
	s_and_b32 s0, vcc_lo, s0
	s_and_saveexec_b32 s1, s0
	s_xor_b32 s0, exec_lo, s1
; %bb.129:
	v_cmp_ne_u32_e32 vcc_lo, 0, v247
	v_cndmask_b32_e32 v247, 7, v247, vcc_lo
; %bb.130:
	s_andn2_saveexec_b32 s0, s0
	s_cbranch_execz .LBB114_136
; %bb.131:
	v_cmp_ngt_f64_e64 s1, |v[234:235]|, |v[236:237]|
	s_and_saveexec_b32 s7, s1
	s_xor_b32 s1, exec_lo, s7
	s_cbranch_execz .LBB114_133
; %bb.132:
	v_div_scale_f64 v[214:215], null, v[236:237], v[236:237], v[234:235]
	v_div_scale_f64 v[220:221], vcc_lo, v[234:235], v[236:237], v[234:235]
	v_rcp_f64_e32 v[216:217], v[214:215]
	v_fma_f64 v[218:219], -v[214:215], v[216:217], 1.0
	v_fma_f64 v[216:217], v[216:217], v[218:219], v[216:217]
	v_fma_f64 v[218:219], -v[214:215], v[216:217], 1.0
	v_fma_f64 v[216:217], v[216:217], v[218:219], v[216:217]
	v_mul_f64 v[218:219], v[220:221], v[216:217]
	v_fma_f64 v[214:215], -v[214:215], v[218:219], v[220:221]
	v_div_fmas_f64 v[214:215], v[214:215], v[216:217], v[218:219]
	v_div_fixup_f64 v[214:215], v[214:215], v[236:237], v[234:235]
	v_fma_f64 v[216:217], v[234:235], v[214:215], v[236:237]
	v_div_scale_f64 v[218:219], null, v[216:217], v[216:217], 1.0
	v_rcp_f64_e32 v[220:221], v[218:219]
	v_fma_f64 v[222:223], -v[218:219], v[220:221], 1.0
	v_fma_f64 v[220:221], v[220:221], v[222:223], v[220:221]
	v_fma_f64 v[222:223], -v[218:219], v[220:221], 1.0
	v_fma_f64 v[220:221], v[220:221], v[222:223], v[220:221]
	v_div_scale_f64 v[222:223], vcc_lo, 1.0, v[216:217], 1.0
	v_mul_f64 v[224:225], v[222:223], v[220:221]
	v_fma_f64 v[218:219], -v[218:219], v[224:225], v[222:223]
	v_div_fmas_f64 v[218:219], v[218:219], v[220:221], v[224:225]
	v_div_fixup_f64 v[236:237], v[218:219], v[216:217], 1.0
	v_mul_f64 v[234:235], v[214:215], v[236:237]
	v_xor_b32_e32 v237, 0x80000000, v237
.LBB114_133:
	s_andn2_saveexec_b32 s1, s1
	s_cbranch_execz .LBB114_135
; %bb.134:
	v_div_scale_f64 v[214:215], null, v[234:235], v[234:235], v[236:237]
	v_div_scale_f64 v[220:221], vcc_lo, v[236:237], v[234:235], v[236:237]
	v_rcp_f64_e32 v[216:217], v[214:215]
	v_fma_f64 v[218:219], -v[214:215], v[216:217], 1.0
	v_fma_f64 v[216:217], v[216:217], v[218:219], v[216:217]
	v_fma_f64 v[218:219], -v[214:215], v[216:217], 1.0
	v_fma_f64 v[216:217], v[216:217], v[218:219], v[216:217]
	v_mul_f64 v[218:219], v[220:221], v[216:217]
	v_fma_f64 v[214:215], -v[214:215], v[218:219], v[220:221]
	v_div_fmas_f64 v[214:215], v[214:215], v[216:217], v[218:219]
	v_div_fixup_f64 v[214:215], v[214:215], v[234:235], v[236:237]
	v_fma_f64 v[216:217], v[236:237], v[214:215], v[234:235]
	v_div_scale_f64 v[218:219], null, v[216:217], v[216:217], 1.0
	v_rcp_f64_e32 v[220:221], v[218:219]
	v_fma_f64 v[222:223], -v[218:219], v[220:221], 1.0
	v_fma_f64 v[220:221], v[220:221], v[222:223], v[220:221]
	v_fma_f64 v[222:223], -v[218:219], v[220:221], 1.0
	v_fma_f64 v[220:221], v[220:221], v[222:223], v[220:221]
	v_div_scale_f64 v[222:223], vcc_lo, 1.0, v[216:217], 1.0
	v_mul_f64 v[224:225], v[222:223], v[220:221]
	v_fma_f64 v[218:219], -v[218:219], v[224:225], v[222:223]
	v_div_fmas_f64 v[218:219], v[218:219], v[220:221], v[224:225]
	v_div_fixup_f64 v[234:235], v[218:219], v[216:217], 1.0
	v_mul_f64 v[236:237], v[214:215], -v[234:235]
.LBB114_135:
	s_or_b32 exec_lo, exec_lo, s1
.LBB114_136:
	s_or_b32 exec_lo, exec_lo, s0
	s_mov_b32 s0, exec_lo
	v_cmpx_ne_u32_e64 v248, v242
	s_xor_b32 s0, exec_lo, s0
	s_cbranch_execz .LBB114_142
; %bb.137:
	s_mov_b32 s1, exec_lo
	v_cmpx_eq_u32_e32 6, v248
	s_cbranch_execz .LBB114_141
; %bb.138:
	v_cmp_ne_u32_e32 vcc_lo, 6, v242
	s_xor_b32 s7, s16, -1
	s_and_b32 s9, s7, vcc_lo
	s_and_saveexec_b32 s7, s9
	s_cbranch_execz .LBB114_140
; %bb.139:
	s_clause 0x1
	buffer_load_dword v210, off, s[20:23], 0
	buffer_load_dword v211, off, s[20:23], 0 offset:4
	v_ashrrev_i32_e32 v243, 31, v242
	v_lshlrev_b64 v[214:215], 2, v[242:243]
	s_waitcnt vmcnt(1)
	v_add_co_u32 v214, vcc_lo, v210, v214
	s_waitcnt vmcnt(0)
	v_add_co_ci_u32_e64 v215, null, v211, v215, vcc_lo
	s_clause 0x1
	global_load_dword v0, v[214:215], off
	global_load_dword v216, v[210:211], off offset:24
	s_waitcnt vmcnt(1)
	global_store_dword v[210:211], v0, off offset:24
	s_waitcnt vmcnt(0)
	global_store_dword v[214:215], v216, off
.LBB114_140:
	s_or_b32 exec_lo, exec_lo, s7
	v_mov_b32_e32 v248, v242
	v_mov_b32_e32 v0, v242
.LBB114_141:
	s_or_b32 exec_lo, exec_lo, s1
.LBB114_142:
	s_andn2_saveexec_b32 s0, s0
	s_cbranch_execz .LBB114_144
; %bb.143:
	v_mov_b32_e32 v248, 6
	ds_write2_b64 v1, v[202:203], v[204:205] offset0:14 offset1:15
	ds_write2_b64 v1, v[198:199], v[200:201] offset0:16 offset1:17
	;; [unrolled: 1-line block ×51, first 2 shown]
.LBB114_144:
	s_or_b32 exec_lo, exec_lo, s0
	s_mov_b32 s0, exec_lo
	s_waitcnt lgkmcnt(0)
	s_waitcnt_vscnt null, 0x0
	s_barrier
	buffer_gl0_inv
	v_cmpx_lt_i32_e32 6, v248
	s_cbranch_execz .LBB114_146
; %bb.145:
	v_mul_f64 v[214:215], v[236:237], v[208:209]
	v_mul_f64 v[208:209], v[234:235], v[208:209]
	v_fma_f64 v[242:243], v[234:235], v[206:207], -v[214:215]
	v_fma_f64 v[208:209], v[236:237], v[206:207], v[208:209]
	ds_read2_b64 v[234:237], v1 offset0:14 offset1:15
	s_waitcnt lgkmcnt(0)
	v_mul_f64 v[206:207], v[236:237], v[208:209]
	v_mul_f64 v[214:215], v[234:235], v[208:209]
	v_fma_f64 v[206:207], v[234:235], v[242:243], -v[206:207]
	v_fma_f64 v[214:215], v[236:237], v[242:243], v[214:215]
	ds_read2_b64 v[234:237], v1 offset0:16 offset1:17
	v_add_f64 v[202:203], v[202:203], -v[206:207]
	v_add_f64 v[204:205], v[204:205], -v[214:215]
	s_waitcnt lgkmcnt(0)
	v_mul_f64 v[206:207], v[236:237], v[208:209]
	v_mul_f64 v[214:215], v[234:235], v[208:209]
	v_fma_f64 v[206:207], v[234:235], v[242:243], -v[206:207]
	v_fma_f64 v[214:215], v[236:237], v[242:243], v[214:215]
	ds_read2_b64 v[234:237], v1 offset0:18 offset1:19
	v_add_f64 v[198:199], v[198:199], -v[206:207]
	v_add_f64 v[200:201], v[200:201], -v[214:215]
	;; [unrolled: 8-line block ×50, first 2 shown]
	s_waitcnt lgkmcnt(0)
	v_mul_f64 v[206:207], v[236:237], v[208:209]
	v_mul_f64 v[214:215], v[234:235], v[208:209]
	v_fma_f64 v[206:207], v[234:235], v[242:243], -v[206:207]
	v_fma_f64 v[214:215], v[236:237], v[242:243], v[214:215]
	v_add_f64 v[226:227], v[226:227], -v[206:207]
	v_add_f64 v[228:229], v[228:229], -v[214:215]
	v_mov_b32_e32 v206, v242
	v_mov_b32_e32 v207, v243
.LBB114_146:
	s_or_b32 exec_lo, exec_lo, s0
	v_lshl_add_u32 v214, v248, 4, v1
	s_barrier
	buffer_gl0_inv
	v_mov_b32_e32 v242, 7
	ds_write2_b64 v214, v[202:203], v[204:205] offset1:1
	s_waitcnt lgkmcnt(0)
	s_barrier
	buffer_gl0_inv
	ds_read2_b64 v[234:237], v1 offset0:14 offset1:15
	s_cmp_lt_i32 s8, 9
	s_cbranch_scc1 .LBB114_149
; %bb.147:
	v_add3_u32 v243, v254, 0, 0x80
	v_mov_b32_e32 v242, 7
	s_mov_b32 s0, 8
	s_inst_prefetch 0x1
	.p2align	6
.LBB114_148:                            ; =>This Inner Loop Header: Depth=1
	s_waitcnt lgkmcnt(0)
	v_cmp_gt_f64_e32 vcc_lo, 0, v[234:235]
	v_xor_b32_e32 v214, 0x80000000, v235
	ds_read2_b64 v[249:252], v243 offset1:1
	v_xor_b32_e32 v216, 0x80000000, v237
	v_add_nc_u32_e32 v243, 16, v243
	s_waitcnt lgkmcnt(0)
	v_xor_b32_e32 v218, 0x80000000, v252
	v_cndmask_b32_e32 v215, v235, v214, vcc_lo
	v_cmp_gt_f64_e32 vcc_lo, 0, v[236:237]
	v_mov_b32_e32 v214, v234
	v_cndmask_b32_e32 v217, v237, v216, vcc_lo
	v_cmp_gt_f64_e32 vcc_lo, 0, v[249:250]
	v_mov_b32_e32 v216, v236
	v_add_f64 v[214:215], v[214:215], v[216:217]
	v_xor_b32_e32 v216, 0x80000000, v250
	v_cndmask_b32_e32 v217, v250, v216, vcc_lo
	v_cmp_gt_f64_e32 vcc_lo, 0, v[251:252]
	v_mov_b32_e32 v216, v249
	v_cndmask_b32_e32 v219, v252, v218, vcc_lo
	v_mov_b32_e32 v218, v251
	v_add_f64 v[216:217], v[216:217], v[218:219]
	v_cmp_lt_f64_e32 vcc_lo, v[214:215], v[216:217]
	v_cndmask_b32_e32 v235, v235, v250, vcc_lo
	v_cndmask_b32_e32 v234, v234, v249, vcc_lo
	;; [unrolled: 1-line block ×4, first 2 shown]
	v_cndmask_b32_e64 v242, v242, s0, vcc_lo
	s_add_i32 s0, s0, 1
	s_cmp_lg_u32 s8, s0
	s_cbranch_scc1 .LBB114_148
.LBB114_149:
	s_inst_prefetch 0x2
	s_waitcnt lgkmcnt(0)
	v_cmp_eq_f64_e32 vcc_lo, 0, v[234:235]
	v_cmp_eq_f64_e64 s0, 0, v[236:237]
	s_and_b32 s0, vcc_lo, s0
	s_and_saveexec_b32 s1, s0
	s_xor_b32 s0, exec_lo, s1
; %bb.150:
	v_cmp_ne_u32_e32 vcc_lo, 0, v247
	v_cndmask_b32_e32 v247, 8, v247, vcc_lo
; %bb.151:
	s_andn2_saveexec_b32 s0, s0
	s_cbranch_execz .LBB114_157
; %bb.152:
	v_cmp_ngt_f64_e64 s1, |v[234:235]|, |v[236:237]|
	s_and_saveexec_b32 s7, s1
	s_xor_b32 s1, exec_lo, s7
	s_cbranch_execz .LBB114_154
; %bb.153:
	v_div_scale_f64 v[214:215], null, v[236:237], v[236:237], v[234:235]
	v_div_scale_f64 v[220:221], vcc_lo, v[234:235], v[236:237], v[234:235]
	v_rcp_f64_e32 v[216:217], v[214:215]
	v_fma_f64 v[218:219], -v[214:215], v[216:217], 1.0
	v_fma_f64 v[216:217], v[216:217], v[218:219], v[216:217]
	v_fma_f64 v[218:219], -v[214:215], v[216:217], 1.0
	v_fma_f64 v[216:217], v[216:217], v[218:219], v[216:217]
	v_mul_f64 v[218:219], v[220:221], v[216:217]
	v_fma_f64 v[214:215], -v[214:215], v[218:219], v[220:221]
	v_div_fmas_f64 v[214:215], v[214:215], v[216:217], v[218:219]
	v_div_fixup_f64 v[214:215], v[214:215], v[236:237], v[234:235]
	v_fma_f64 v[216:217], v[234:235], v[214:215], v[236:237]
	v_div_scale_f64 v[218:219], null, v[216:217], v[216:217], 1.0
	v_rcp_f64_e32 v[220:221], v[218:219]
	v_fma_f64 v[222:223], -v[218:219], v[220:221], 1.0
	v_fma_f64 v[220:221], v[220:221], v[222:223], v[220:221]
	v_fma_f64 v[222:223], -v[218:219], v[220:221], 1.0
	v_fma_f64 v[220:221], v[220:221], v[222:223], v[220:221]
	v_div_scale_f64 v[222:223], vcc_lo, 1.0, v[216:217], 1.0
	v_mul_f64 v[224:225], v[222:223], v[220:221]
	v_fma_f64 v[218:219], -v[218:219], v[224:225], v[222:223]
	v_div_fmas_f64 v[218:219], v[218:219], v[220:221], v[224:225]
	v_div_fixup_f64 v[236:237], v[218:219], v[216:217], 1.0
	v_mul_f64 v[234:235], v[214:215], v[236:237]
	v_xor_b32_e32 v237, 0x80000000, v237
.LBB114_154:
	s_andn2_saveexec_b32 s1, s1
	s_cbranch_execz .LBB114_156
; %bb.155:
	v_div_scale_f64 v[214:215], null, v[234:235], v[234:235], v[236:237]
	v_div_scale_f64 v[220:221], vcc_lo, v[236:237], v[234:235], v[236:237]
	v_rcp_f64_e32 v[216:217], v[214:215]
	v_fma_f64 v[218:219], -v[214:215], v[216:217], 1.0
	v_fma_f64 v[216:217], v[216:217], v[218:219], v[216:217]
	v_fma_f64 v[218:219], -v[214:215], v[216:217], 1.0
	v_fma_f64 v[216:217], v[216:217], v[218:219], v[216:217]
	v_mul_f64 v[218:219], v[220:221], v[216:217]
	v_fma_f64 v[214:215], -v[214:215], v[218:219], v[220:221]
	v_div_fmas_f64 v[214:215], v[214:215], v[216:217], v[218:219]
	v_div_fixup_f64 v[214:215], v[214:215], v[234:235], v[236:237]
	v_fma_f64 v[216:217], v[236:237], v[214:215], v[234:235]
	v_div_scale_f64 v[218:219], null, v[216:217], v[216:217], 1.0
	v_rcp_f64_e32 v[220:221], v[218:219]
	v_fma_f64 v[222:223], -v[218:219], v[220:221], 1.0
	v_fma_f64 v[220:221], v[220:221], v[222:223], v[220:221]
	v_fma_f64 v[222:223], -v[218:219], v[220:221], 1.0
	v_fma_f64 v[220:221], v[220:221], v[222:223], v[220:221]
	v_div_scale_f64 v[222:223], vcc_lo, 1.0, v[216:217], 1.0
	v_mul_f64 v[224:225], v[222:223], v[220:221]
	v_fma_f64 v[218:219], -v[218:219], v[224:225], v[222:223]
	v_div_fmas_f64 v[218:219], v[218:219], v[220:221], v[224:225]
	v_div_fixup_f64 v[234:235], v[218:219], v[216:217], 1.0
	v_mul_f64 v[236:237], v[214:215], -v[234:235]
.LBB114_156:
	s_or_b32 exec_lo, exec_lo, s1
.LBB114_157:
	s_or_b32 exec_lo, exec_lo, s0
	s_mov_b32 s0, exec_lo
	v_cmpx_ne_u32_e64 v248, v242
	s_xor_b32 s0, exec_lo, s0
	s_cbranch_execz .LBB114_163
; %bb.158:
	s_mov_b32 s1, exec_lo
	v_cmpx_eq_u32_e32 7, v248
	s_cbranch_execz .LBB114_162
; %bb.159:
	v_cmp_ne_u32_e32 vcc_lo, 7, v242
	s_xor_b32 s7, s16, -1
	s_and_b32 s9, s7, vcc_lo
	s_and_saveexec_b32 s7, s9
	s_cbranch_execz .LBB114_161
; %bb.160:
	s_clause 0x1
	buffer_load_dword v210, off, s[20:23], 0
	buffer_load_dword v211, off, s[20:23], 0 offset:4
	v_ashrrev_i32_e32 v243, 31, v242
	v_lshlrev_b64 v[214:215], 2, v[242:243]
	s_waitcnt vmcnt(1)
	v_add_co_u32 v214, vcc_lo, v210, v214
	s_waitcnt vmcnt(0)
	v_add_co_ci_u32_e64 v215, null, v211, v215, vcc_lo
	s_clause 0x1
	global_load_dword v0, v[214:215], off
	global_load_dword v216, v[210:211], off offset:28
	s_waitcnt vmcnt(1)
	global_store_dword v[210:211], v0, off offset:28
	s_waitcnt vmcnt(0)
	global_store_dword v[214:215], v216, off
.LBB114_161:
	s_or_b32 exec_lo, exec_lo, s7
	v_mov_b32_e32 v248, v242
	v_mov_b32_e32 v0, v242
.LBB114_162:
	s_or_b32 exec_lo, exec_lo, s1
.LBB114_163:
	s_andn2_saveexec_b32 s0, s0
	s_cbranch_execz .LBB114_165
; %bb.164:
	v_mov_b32_e32 v248, 7
	ds_write2_b64 v1, v[198:199], v[200:201] offset0:16 offset1:17
	ds_write2_b64 v1, v[194:195], v[196:197] offset0:18 offset1:19
	ds_write2_b64 v1, v[190:191], v[192:193] offset0:20 offset1:21
	ds_write2_b64 v1, v[186:187], v[188:189] offset0:22 offset1:23
	ds_write2_b64 v1, v[182:183], v[184:185] offset0:24 offset1:25
	ds_write2_b64 v1, v[178:179], v[180:181] offset0:26 offset1:27
	ds_write2_b64 v1, v[174:175], v[176:177] offset0:28 offset1:29
	ds_write2_b64 v1, v[170:171], v[172:173] offset0:30 offset1:31
	ds_write2_b64 v1, v[166:167], v[168:169] offset0:32 offset1:33
	ds_write2_b64 v1, v[162:163], v[164:165] offset0:34 offset1:35
	ds_write2_b64 v1, v[158:159], v[160:161] offset0:36 offset1:37
	ds_write2_b64 v1, v[154:155], v[156:157] offset0:38 offset1:39
	ds_write2_b64 v1, v[150:151], v[152:153] offset0:40 offset1:41
	ds_write2_b64 v1, v[146:147], v[148:149] offset0:42 offset1:43
	ds_write2_b64 v1, v[142:143], v[144:145] offset0:44 offset1:45
	ds_write2_b64 v1, v[138:139], v[140:141] offset0:46 offset1:47
	ds_write2_b64 v1, v[134:135], v[136:137] offset0:48 offset1:49
	ds_write2_b64 v1, v[130:131], v[132:133] offset0:50 offset1:51
	ds_write2_b64 v1, v[126:127], v[128:129] offset0:52 offset1:53
	ds_write2_b64 v1, v[122:123], v[124:125] offset0:54 offset1:55
	ds_write2_b64 v1, v[118:119], v[120:121] offset0:56 offset1:57
	ds_write2_b64 v1, v[114:115], v[116:117] offset0:58 offset1:59
	ds_write2_b64 v1, v[110:111], v[112:113] offset0:60 offset1:61
	ds_write2_b64 v1, v[106:107], v[108:109] offset0:62 offset1:63
	ds_write2_b64 v1, v[102:103], v[104:105] offset0:64 offset1:65
	ds_write2_b64 v1, v[98:99], v[100:101] offset0:66 offset1:67
	ds_write2_b64 v1, v[94:95], v[96:97] offset0:68 offset1:69
	ds_write2_b64 v1, v[90:91], v[92:93] offset0:70 offset1:71
	ds_write2_b64 v1, v[86:87], v[88:89] offset0:72 offset1:73
	ds_write2_b64 v1, v[82:83], v[84:85] offset0:74 offset1:75
	ds_write2_b64 v1, v[78:79], v[80:81] offset0:76 offset1:77
	ds_write2_b64 v1, v[74:75], v[76:77] offset0:78 offset1:79
	ds_write2_b64 v1, v[70:71], v[72:73] offset0:80 offset1:81
	ds_write2_b64 v1, v[66:67], v[68:69] offset0:82 offset1:83
	ds_write2_b64 v1, v[62:63], v[64:65] offset0:84 offset1:85
	ds_write2_b64 v1, v[58:59], v[60:61] offset0:86 offset1:87
	ds_write2_b64 v1, v[54:55], v[56:57] offset0:88 offset1:89
	ds_write2_b64 v1, v[50:51], v[52:53] offset0:90 offset1:91
	ds_write2_b64 v1, v[46:47], v[48:49] offset0:92 offset1:93
	ds_write2_b64 v1, v[42:43], v[44:45] offset0:94 offset1:95
	ds_write2_b64 v1, v[38:39], v[40:41] offset0:96 offset1:97
	ds_write2_b64 v1, v[34:35], v[36:37] offset0:98 offset1:99
	ds_write2_b64 v1, v[30:31], v[32:33] offset0:100 offset1:101
	ds_write2_b64 v1, v[26:27], v[28:29] offset0:102 offset1:103
	ds_write2_b64 v1, v[22:23], v[24:25] offset0:104 offset1:105
	ds_write2_b64 v1, v[18:19], v[20:21] offset0:106 offset1:107
	ds_write2_b64 v1, v[14:15], v[16:17] offset0:108 offset1:109
	ds_write2_b64 v1, v[10:11], v[12:13] offset0:110 offset1:111
	ds_write2_b64 v1, v[238:239], v[240:241] offset0:112 offset1:113
	ds_write2_b64 v1, v[226:227], v[228:229] offset0:114 offset1:115
.LBB114_165:
	s_or_b32 exec_lo, exec_lo, s0
	s_mov_b32 s0, exec_lo
	s_waitcnt lgkmcnt(0)
	s_waitcnt_vscnt null, 0x0
	s_barrier
	buffer_gl0_inv
	v_cmpx_lt_i32_e32 7, v248
	s_cbranch_execz .LBB114_167
; %bb.166:
	v_mul_f64 v[214:215], v[236:237], v[204:205]
	v_mul_f64 v[204:205], v[234:235], v[204:205]
	v_fma_f64 v[242:243], v[234:235], v[202:203], -v[214:215]
	v_fma_f64 v[204:205], v[236:237], v[202:203], v[204:205]
	ds_read2_b64 v[234:237], v1 offset0:16 offset1:17
	s_waitcnt lgkmcnt(0)
	v_mul_f64 v[202:203], v[236:237], v[204:205]
	v_mul_f64 v[214:215], v[234:235], v[204:205]
	v_fma_f64 v[202:203], v[234:235], v[242:243], -v[202:203]
	v_fma_f64 v[214:215], v[236:237], v[242:243], v[214:215]
	ds_read2_b64 v[234:237], v1 offset0:18 offset1:19
	v_add_f64 v[198:199], v[198:199], -v[202:203]
	v_add_f64 v[200:201], v[200:201], -v[214:215]
	s_waitcnt lgkmcnt(0)
	v_mul_f64 v[202:203], v[236:237], v[204:205]
	v_mul_f64 v[214:215], v[234:235], v[204:205]
	v_fma_f64 v[202:203], v[234:235], v[242:243], -v[202:203]
	v_fma_f64 v[214:215], v[236:237], v[242:243], v[214:215]
	ds_read2_b64 v[234:237], v1 offset0:20 offset1:21
	v_add_f64 v[194:195], v[194:195], -v[202:203]
	v_add_f64 v[196:197], v[196:197], -v[214:215]
	;; [unrolled: 8-line block ×49, first 2 shown]
	s_waitcnt lgkmcnt(0)
	v_mul_f64 v[202:203], v[236:237], v[204:205]
	v_mul_f64 v[214:215], v[234:235], v[204:205]
	v_fma_f64 v[202:203], v[234:235], v[242:243], -v[202:203]
	v_fma_f64 v[214:215], v[236:237], v[242:243], v[214:215]
	v_add_f64 v[226:227], v[226:227], -v[202:203]
	v_add_f64 v[228:229], v[228:229], -v[214:215]
	v_mov_b32_e32 v202, v242
	v_mov_b32_e32 v203, v243
.LBB114_167:
	s_or_b32 exec_lo, exec_lo, s0
	v_lshl_add_u32 v214, v248, 4, v1
	s_barrier
	buffer_gl0_inv
	v_mov_b32_e32 v242, 8
	ds_write2_b64 v214, v[198:199], v[200:201] offset1:1
	s_waitcnt lgkmcnt(0)
	s_barrier
	buffer_gl0_inv
	ds_read2_b64 v[234:237], v1 offset0:16 offset1:17
	s_cmp_lt_i32 s8, 10
	s_cbranch_scc1 .LBB114_170
; %bb.168:
	v_add3_u32 v243, v254, 0, 0x90
	v_mov_b32_e32 v242, 8
	s_mov_b32 s0, 9
	s_inst_prefetch 0x1
	.p2align	6
.LBB114_169:                            ; =>This Inner Loop Header: Depth=1
	s_waitcnt lgkmcnt(0)
	v_cmp_gt_f64_e32 vcc_lo, 0, v[234:235]
	v_xor_b32_e32 v214, 0x80000000, v235
	ds_read2_b64 v[249:252], v243 offset1:1
	v_xor_b32_e32 v216, 0x80000000, v237
	v_add_nc_u32_e32 v243, 16, v243
	s_waitcnt lgkmcnt(0)
	v_xor_b32_e32 v218, 0x80000000, v252
	v_cndmask_b32_e32 v215, v235, v214, vcc_lo
	v_cmp_gt_f64_e32 vcc_lo, 0, v[236:237]
	v_mov_b32_e32 v214, v234
	v_cndmask_b32_e32 v217, v237, v216, vcc_lo
	v_cmp_gt_f64_e32 vcc_lo, 0, v[249:250]
	v_mov_b32_e32 v216, v236
	v_add_f64 v[214:215], v[214:215], v[216:217]
	v_xor_b32_e32 v216, 0x80000000, v250
	v_cndmask_b32_e32 v217, v250, v216, vcc_lo
	v_cmp_gt_f64_e32 vcc_lo, 0, v[251:252]
	v_mov_b32_e32 v216, v249
	v_cndmask_b32_e32 v219, v252, v218, vcc_lo
	v_mov_b32_e32 v218, v251
	v_add_f64 v[216:217], v[216:217], v[218:219]
	v_cmp_lt_f64_e32 vcc_lo, v[214:215], v[216:217]
	v_cndmask_b32_e32 v235, v235, v250, vcc_lo
	v_cndmask_b32_e32 v234, v234, v249, vcc_lo
	;; [unrolled: 1-line block ×4, first 2 shown]
	v_cndmask_b32_e64 v242, v242, s0, vcc_lo
	s_add_i32 s0, s0, 1
	s_cmp_lg_u32 s8, s0
	s_cbranch_scc1 .LBB114_169
.LBB114_170:
	s_inst_prefetch 0x2
	s_waitcnt lgkmcnt(0)
	v_cmp_eq_f64_e32 vcc_lo, 0, v[234:235]
	v_cmp_eq_f64_e64 s0, 0, v[236:237]
	s_and_b32 s0, vcc_lo, s0
	s_and_saveexec_b32 s1, s0
	s_xor_b32 s0, exec_lo, s1
; %bb.171:
	v_cmp_ne_u32_e32 vcc_lo, 0, v247
	v_cndmask_b32_e32 v247, 9, v247, vcc_lo
; %bb.172:
	s_andn2_saveexec_b32 s0, s0
	s_cbranch_execz .LBB114_178
; %bb.173:
	v_cmp_ngt_f64_e64 s1, |v[234:235]|, |v[236:237]|
	s_and_saveexec_b32 s7, s1
	s_xor_b32 s1, exec_lo, s7
	s_cbranch_execz .LBB114_175
; %bb.174:
	v_div_scale_f64 v[214:215], null, v[236:237], v[236:237], v[234:235]
	v_div_scale_f64 v[220:221], vcc_lo, v[234:235], v[236:237], v[234:235]
	v_rcp_f64_e32 v[216:217], v[214:215]
	v_fma_f64 v[218:219], -v[214:215], v[216:217], 1.0
	v_fma_f64 v[216:217], v[216:217], v[218:219], v[216:217]
	v_fma_f64 v[218:219], -v[214:215], v[216:217], 1.0
	v_fma_f64 v[216:217], v[216:217], v[218:219], v[216:217]
	v_mul_f64 v[218:219], v[220:221], v[216:217]
	v_fma_f64 v[214:215], -v[214:215], v[218:219], v[220:221]
	v_div_fmas_f64 v[214:215], v[214:215], v[216:217], v[218:219]
	v_div_fixup_f64 v[214:215], v[214:215], v[236:237], v[234:235]
	v_fma_f64 v[216:217], v[234:235], v[214:215], v[236:237]
	v_div_scale_f64 v[218:219], null, v[216:217], v[216:217], 1.0
	v_rcp_f64_e32 v[220:221], v[218:219]
	v_fma_f64 v[222:223], -v[218:219], v[220:221], 1.0
	v_fma_f64 v[220:221], v[220:221], v[222:223], v[220:221]
	v_fma_f64 v[222:223], -v[218:219], v[220:221], 1.0
	v_fma_f64 v[220:221], v[220:221], v[222:223], v[220:221]
	v_div_scale_f64 v[222:223], vcc_lo, 1.0, v[216:217], 1.0
	v_mul_f64 v[224:225], v[222:223], v[220:221]
	v_fma_f64 v[218:219], -v[218:219], v[224:225], v[222:223]
	v_div_fmas_f64 v[218:219], v[218:219], v[220:221], v[224:225]
	v_div_fixup_f64 v[236:237], v[218:219], v[216:217], 1.0
	v_mul_f64 v[234:235], v[214:215], v[236:237]
	v_xor_b32_e32 v237, 0x80000000, v237
.LBB114_175:
	s_andn2_saveexec_b32 s1, s1
	s_cbranch_execz .LBB114_177
; %bb.176:
	v_div_scale_f64 v[214:215], null, v[234:235], v[234:235], v[236:237]
	v_div_scale_f64 v[220:221], vcc_lo, v[236:237], v[234:235], v[236:237]
	v_rcp_f64_e32 v[216:217], v[214:215]
	v_fma_f64 v[218:219], -v[214:215], v[216:217], 1.0
	v_fma_f64 v[216:217], v[216:217], v[218:219], v[216:217]
	v_fma_f64 v[218:219], -v[214:215], v[216:217], 1.0
	v_fma_f64 v[216:217], v[216:217], v[218:219], v[216:217]
	v_mul_f64 v[218:219], v[220:221], v[216:217]
	v_fma_f64 v[214:215], -v[214:215], v[218:219], v[220:221]
	v_div_fmas_f64 v[214:215], v[214:215], v[216:217], v[218:219]
	v_div_fixup_f64 v[214:215], v[214:215], v[234:235], v[236:237]
	v_fma_f64 v[216:217], v[236:237], v[214:215], v[234:235]
	v_div_scale_f64 v[218:219], null, v[216:217], v[216:217], 1.0
	v_rcp_f64_e32 v[220:221], v[218:219]
	v_fma_f64 v[222:223], -v[218:219], v[220:221], 1.0
	v_fma_f64 v[220:221], v[220:221], v[222:223], v[220:221]
	v_fma_f64 v[222:223], -v[218:219], v[220:221], 1.0
	v_fma_f64 v[220:221], v[220:221], v[222:223], v[220:221]
	v_div_scale_f64 v[222:223], vcc_lo, 1.0, v[216:217], 1.0
	v_mul_f64 v[224:225], v[222:223], v[220:221]
	v_fma_f64 v[218:219], -v[218:219], v[224:225], v[222:223]
	v_div_fmas_f64 v[218:219], v[218:219], v[220:221], v[224:225]
	v_div_fixup_f64 v[234:235], v[218:219], v[216:217], 1.0
	v_mul_f64 v[236:237], v[214:215], -v[234:235]
.LBB114_177:
	s_or_b32 exec_lo, exec_lo, s1
.LBB114_178:
	s_or_b32 exec_lo, exec_lo, s0
	s_mov_b32 s0, exec_lo
	v_cmpx_ne_u32_e64 v248, v242
	s_xor_b32 s0, exec_lo, s0
	s_cbranch_execz .LBB114_184
; %bb.179:
	s_mov_b32 s1, exec_lo
	v_cmpx_eq_u32_e32 8, v248
	s_cbranch_execz .LBB114_183
; %bb.180:
	v_cmp_ne_u32_e32 vcc_lo, 8, v242
	s_xor_b32 s7, s16, -1
	s_and_b32 s9, s7, vcc_lo
	s_and_saveexec_b32 s7, s9
	s_cbranch_execz .LBB114_182
; %bb.181:
	s_clause 0x1
	buffer_load_dword v210, off, s[20:23], 0
	buffer_load_dword v211, off, s[20:23], 0 offset:4
	v_ashrrev_i32_e32 v243, 31, v242
	v_lshlrev_b64 v[214:215], 2, v[242:243]
	s_waitcnt vmcnt(1)
	v_add_co_u32 v214, vcc_lo, v210, v214
	s_waitcnt vmcnt(0)
	v_add_co_ci_u32_e64 v215, null, v211, v215, vcc_lo
	s_clause 0x1
	global_load_dword v0, v[214:215], off
	global_load_dword v216, v[210:211], off offset:32
	s_waitcnt vmcnt(1)
	global_store_dword v[210:211], v0, off offset:32
	s_waitcnt vmcnt(0)
	global_store_dword v[214:215], v216, off
.LBB114_182:
	s_or_b32 exec_lo, exec_lo, s7
	v_mov_b32_e32 v248, v242
	v_mov_b32_e32 v0, v242
.LBB114_183:
	s_or_b32 exec_lo, exec_lo, s1
.LBB114_184:
	s_andn2_saveexec_b32 s0, s0
	s_cbranch_execz .LBB114_186
; %bb.185:
	v_mov_b32_e32 v248, 8
	ds_write2_b64 v1, v[194:195], v[196:197] offset0:18 offset1:19
	ds_write2_b64 v1, v[190:191], v[192:193] offset0:20 offset1:21
	;; [unrolled: 1-line block ×49, first 2 shown]
.LBB114_186:
	s_or_b32 exec_lo, exec_lo, s0
	s_mov_b32 s0, exec_lo
	s_waitcnt lgkmcnt(0)
	s_waitcnt_vscnt null, 0x0
	s_barrier
	buffer_gl0_inv
	v_cmpx_lt_i32_e32 8, v248
	s_cbranch_execz .LBB114_188
; %bb.187:
	v_mul_f64 v[214:215], v[236:237], v[200:201]
	v_mul_f64 v[200:201], v[234:235], v[200:201]
	v_fma_f64 v[242:243], v[234:235], v[198:199], -v[214:215]
	v_fma_f64 v[200:201], v[236:237], v[198:199], v[200:201]
	ds_read2_b64 v[234:237], v1 offset0:18 offset1:19
	s_waitcnt lgkmcnt(0)
	v_mul_f64 v[198:199], v[236:237], v[200:201]
	v_mul_f64 v[214:215], v[234:235], v[200:201]
	v_fma_f64 v[198:199], v[234:235], v[242:243], -v[198:199]
	v_fma_f64 v[214:215], v[236:237], v[242:243], v[214:215]
	ds_read2_b64 v[234:237], v1 offset0:20 offset1:21
	v_add_f64 v[194:195], v[194:195], -v[198:199]
	v_add_f64 v[196:197], v[196:197], -v[214:215]
	s_waitcnt lgkmcnt(0)
	v_mul_f64 v[198:199], v[236:237], v[200:201]
	v_mul_f64 v[214:215], v[234:235], v[200:201]
	v_fma_f64 v[198:199], v[234:235], v[242:243], -v[198:199]
	v_fma_f64 v[214:215], v[236:237], v[242:243], v[214:215]
	ds_read2_b64 v[234:237], v1 offset0:22 offset1:23
	v_add_f64 v[190:191], v[190:191], -v[198:199]
	v_add_f64 v[192:193], v[192:193], -v[214:215]
	;; [unrolled: 8-line block ×48, first 2 shown]
	s_waitcnt lgkmcnt(0)
	v_mul_f64 v[198:199], v[236:237], v[200:201]
	v_mul_f64 v[214:215], v[234:235], v[200:201]
	v_fma_f64 v[198:199], v[234:235], v[242:243], -v[198:199]
	v_fma_f64 v[214:215], v[236:237], v[242:243], v[214:215]
	v_add_f64 v[226:227], v[226:227], -v[198:199]
	v_add_f64 v[228:229], v[228:229], -v[214:215]
	v_mov_b32_e32 v198, v242
	v_mov_b32_e32 v199, v243
.LBB114_188:
	s_or_b32 exec_lo, exec_lo, s0
	v_lshl_add_u32 v214, v248, 4, v1
	s_barrier
	buffer_gl0_inv
	v_mov_b32_e32 v242, 9
	ds_write2_b64 v214, v[194:195], v[196:197] offset1:1
	s_waitcnt lgkmcnt(0)
	s_barrier
	buffer_gl0_inv
	ds_read2_b64 v[234:237], v1 offset0:18 offset1:19
	s_cmp_lt_i32 s8, 11
	s_cbranch_scc1 .LBB114_191
; %bb.189:
	v_add3_u32 v243, v254, 0, 0xa0
	v_mov_b32_e32 v242, 9
	s_mov_b32 s0, 10
	s_inst_prefetch 0x1
	.p2align	6
.LBB114_190:                            ; =>This Inner Loop Header: Depth=1
	s_waitcnt lgkmcnt(0)
	v_cmp_gt_f64_e32 vcc_lo, 0, v[234:235]
	v_xor_b32_e32 v214, 0x80000000, v235
	ds_read2_b64 v[249:252], v243 offset1:1
	v_xor_b32_e32 v216, 0x80000000, v237
	v_add_nc_u32_e32 v243, 16, v243
	s_waitcnt lgkmcnt(0)
	v_xor_b32_e32 v218, 0x80000000, v252
	v_cndmask_b32_e32 v215, v235, v214, vcc_lo
	v_cmp_gt_f64_e32 vcc_lo, 0, v[236:237]
	v_mov_b32_e32 v214, v234
	v_cndmask_b32_e32 v217, v237, v216, vcc_lo
	v_cmp_gt_f64_e32 vcc_lo, 0, v[249:250]
	v_mov_b32_e32 v216, v236
	v_add_f64 v[214:215], v[214:215], v[216:217]
	v_xor_b32_e32 v216, 0x80000000, v250
	v_cndmask_b32_e32 v217, v250, v216, vcc_lo
	v_cmp_gt_f64_e32 vcc_lo, 0, v[251:252]
	v_mov_b32_e32 v216, v249
	v_cndmask_b32_e32 v219, v252, v218, vcc_lo
	v_mov_b32_e32 v218, v251
	v_add_f64 v[216:217], v[216:217], v[218:219]
	v_cmp_lt_f64_e32 vcc_lo, v[214:215], v[216:217]
	v_cndmask_b32_e32 v235, v235, v250, vcc_lo
	v_cndmask_b32_e32 v234, v234, v249, vcc_lo
	;; [unrolled: 1-line block ×4, first 2 shown]
	v_cndmask_b32_e64 v242, v242, s0, vcc_lo
	s_add_i32 s0, s0, 1
	s_cmp_lg_u32 s8, s0
	s_cbranch_scc1 .LBB114_190
.LBB114_191:
	s_inst_prefetch 0x2
	s_waitcnt lgkmcnt(0)
	v_cmp_eq_f64_e32 vcc_lo, 0, v[234:235]
	v_cmp_eq_f64_e64 s0, 0, v[236:237]
	s_and_b32 s0, vcc_lo, s0
	s_and_saveexec_b32 s1, s0
	s_xor_b32 s0, exec_lo, s1
; %bb.192:
	v_cmp_ne_u32_e32 vcc_lo, 0, v247
	v_cndmask_b32_e32 v247, 10, v247, vcc_lo
; %bb.193:
	s_andn2_saveexec_b32 s0, s0
	s_cbranch_execz .LBB114_199
; %bb.194:
	v_cmp_ngt_f64_e64 s1, |v[234:235]|, |v[236:237]|
	s_and_saveexec_b32 s7, s1
	s_xor_b32 s1, exec_lo, s7
	s_cbranch_execz .LBB114_196
; %bb.195:
	v_div_scale_f64 v[214:215], null, v[236:237], v[236:237], v[234:235]
	v_div_scale_f64 v[220:221], vcc_lo, v[234:235], v[236:237], v[234:235]
	v_rcp_f64_e32 v[216:217], v[214:215]
	v_fma_f64 v[218:219], -v[214:215], v[216:217], 1.0
	v_fma_f64 v[216:217], v[216:217], v[218:219], v[216:217]
	v_fma_f64 v[218:219], -v[214:215], v[216:217], 1.0
	v_fma_f64 v[216:217], v[216:217], v[218:219], v[216:217]
	v_mul_f64 v[218:219], v[220:221], v[216:217]
	v_fma_f64 v[214:215], -v[214:215], v[218:219], v[220:221]
	v_div_fmas_f64 v[214:215], v[214:215], v[216:217], v[218:219]
	v_div_fixup_f64 v[214:215], v[214:215], v[236:237], v[234:235]
	v_fma_f64 v[216:217], v[234:235], v[214:215], v[236:237]
	v_div_scale_f64 v[218:219], null, v[216:217], v[216:217], 1.0
	v_rcp_f64_e32 v[220:221], v[218:219]
	v_fma_f64 v[222:223], -v[218:219], v[220:221], 1.0
	v_fma_f64 v[220:221], v[220:221], v[222:223], v[220:221]
	v_fma_f64 v[222:223], -v[218:219], v[220:221], 1.0
	v_fma_f64 v[220:221], v[220:221], v[222:223], v[220:221]
	v_div_scale_f64 v[222:223], vcc_lo, 1.0, v[216:217], 1.0
	v_mul_f64 v[224:225], v[222:223], v[220:221]
	v_fma_f64 v[218:219], -v[218:219], v[224:225], v[222:223]
	v_div_fmas_f64 v[218:219], v[218:219], v[220:221], v[224:225]
	v_div_fixup_f64 v[236:237], v[218:219], v[216:217], 1.0
	v_mul_f64 v[234:235], v[214:215], v[236:237]
	v_xor_b32_e32 v237, 0x80000000, v237
.LBB114_196:
	s_andn2_saveexec_b32 s1, s1
	s_cbranch_execz .LBB114_198
; %bb.197:
	v_div_scale_f64 v[214:215], null, v[234:235], v[234:235], v[236:237]
	v_div_scale_f64 v[220:221], vcc_lo, v[236:237], v[234:235], v[236:237]
	v_rcp_f64_e32 v[216:217], v[214:215]
	v_fma_f64 v[218:219], -v[214:215], v[216:217], 1.0
	v_fma_f64 v[216:217], v[216:217], v[218:219], v[216:217]
	v_fma_f64 v[218:219], -v[214:215], v[216:217], 1.0
	v_fma_f64 v[216:217], v[216:217], v[218:219], v[216:217]
	v_mul_f64 v[218:219], v[220:221], v[216:217]
	v_fma_f64 v[214:215], -v[214:215], v[218:219], v[220:221]
	v_div_fmas_f64 v[214:215], v[214:215], v[216:217], v[218:219]
	v_div_fixup_f64 v[214:215], v[214:215], v[234:235], v[236:237]
	v_fma_f64 v[216:217], v[236:237], v[214:215], v[234:235]
	v_div_scale_f64 v[218:219], null, v[216:217], v[216:217], 1.0
	v_rcp_f64_e32 v[220:221], v[218:219]
	v_fma_f64 v[222:223], -v[218:219], v[220:221], 1.0
	v_fma_f64 v[220:221], v[220:221], v[222:223], v[220:221]
	v_fma_f64 v[222:223], -v[218:219], v[220:221], 1.0
	v_fma_f64 v[220:221], v[220:221], v[222:223], v[220:221]
	v_div_scale_f64 v[222:223], vcc_lo, 1.0, v[216:217], 1.0
	v_mul_f64 v[224:225], v[222:223], v[220:221]
	v_fma_f64 v[218:219], -v[218:219], v[224:225], v[222:223]
	v_div_fmas_f64 v[218:219], v[218:219], v[220:221], v[224:225]
	v_div_fixup_f64 v[234:235], v[218:219], v[216:217], 1.0
	v_mul_f64 v[236:237], v[214:215], -v[234:235]
.LBB114_198:
	s_or_b32 exec_lo, exec_lo, s1
.LBB114_199:
	s_or_b32 exec_lo, exec_lo, s0
	s_mov_b32 s0, exec_lo
	v_cmpx_ne_u32_e64 v248, v242
	s_xor_b32 s0, exec_lo, s0
	s_cbranch_execz .LBB114_205
; %bb.200:
	s_mov_b32 s1, exec_lo
	v_cmpx_eq_u32_e32 9, v248
	s_cbranch_execz .LBB114_204
; %bb.201:
	v_cmp_ne_u32_e32 vcc_lo, 9, v242
	s_xor_b32 s7, s16, -1
	s_and_b32 s9, s7, vcc_lo
	s_and_saveexec_b32 s7, s9
	s_cbranch_execz .LBB114_203
; %bb.202:
	s_clause 0x1
	buffer_load_dword v210, off, s[20:23], 0
	buffer_load_dword v211, off, s[20:23], 0 offset:4
	v_ashrrev_i32_e32 v243, 31, v242
	v_lshlrev_b64 v[214:215], 2, v[242:243]
	s_waitcnt vmcnt(1)
	v_add_co_u32 v214, vcc_lo, v210, v214
	s_waitcnt vmcnt(0)
	v_add_co_ci_u32_e64 v215, null, v211, v215, vcc_lo
	s_clause 0x1
	global_load_dword v0, v[214:215], off
	global_load_dword v216, v[210:211], off offset:36
	s_waitcnt vmcnt(1)
	global_store_dword v[210:211], v0, off offset:36
	s_waitcnt vmcnt(0)
	global_store_dword v[214:215], v216, off
.LBB114_203:
	s_or_b32 exec_lo, exec_lo, s7
	v_mov_b32_e32 v248, v242
	v_mov_b32_e32 v0, v242
.LBB114_204:
	s_or_b32 exec_lo, exec_lo, s1
.LBB114_205:
	s_andn2_saveexec_b32 s0, s0
	s_cbranch_execz .LBB114_207
; %bb.206:
	v_mov_b32_e32 v248, 9
	ds_write2_b64 v1, v[190:191], v[192:193] offset0:20 offset1:21
	ds_write2_b64 v1, v[186:187], v[188:189] offset0:22 offset1:23
	;; [unrolled: 1-line block ×48, first 2 shown]
.LBB114_207:
	s_or_b32 exec_lo, exec_lo, s0
	s_mov_b32 s0, exec_lo
	s_waitcnt lgkmcnt(0)
	s_waitcnt_vscnt null, 0x0
	s_barrier
	buffer_gl0_inv
	v_cmpx_lt_i32_e32 9, v248
	s_cbranch_execz .LBB114_209
; %bb.208:
	v_mul_f64 v[214:215], v[236:237], v[196:197]
	v_mul_f64 v[196:197], v[234:235], v[196:197]
	v_fma_f64 v[242:243], v[234:235], v[194:195], -v[214:215]
	v_fma_f64 v[196:197], v[236:237], v[194:195], v[196:197]
	ds_read2_b64 v[234:237], v1 offset0:20 offset1:21
	s_waitcnt lgkmcnt(0)
	v_mul_f64 v[194:195], v[236:237], v[196:197]
	v_mul_f64 v[214:215], v[234:235], v[196:197]
	v_fma_f64 v[194:195], v[234:235], v[242:243], -v[194:195]
	v_fma_f64 v[214:215], v[236:237], v[242:243], v[214:215]
	ds_read2_b64 v[234:237], v1 offset0:22 offset1:23
	v_add_f64 v[190:191], v[190:191], -v[194:195]
	v_add_f64 v[192:193], v[192:193], -v[214:215]
	s_waitcnt lgkmcnt(0)
	v_mul_f64 v[194:195], v[236:237], v[196:197]
	v_mul_f64 v[214:215], v[234:235], v[196:197]
	v_fma_f64 v[194:195], v[234:235], v[242:243], -v[194:195]
	v_fma_f64 v[214:215], v[236:237], v[242:243], v[214:215]
	ds_read2_b64 v[234:237], v1 offset0:24 offset1:25
	v_add_f64 v[186:187], v[186:187], -v[194:195]
	v_add_f64 v[188:189], v[188:189], -v[214:215]
	;; [unrolled: 8-line block ×47, first 2 shown]
	s_waitcnt lgkmcnt(0)
	v_mul_f64 v[194:195], v[236:237], v[196:197]
	v_mul_f64 v[214:215], v[234:235], v[196:197]
	v_fma_f64 v[194:195], v[234:235], v[242:243], -v[194:195]
	v_fma_f64 v[214:215], v[236:237], v[242:243], v[214:215]
	v_add_f64 v[226:227], v[226:227], -v[194:195]
	v_add_f64 v[228:229], v[228:229], -v[214:215]
	v_mov_b32_e32 v194, v242
	v_mov_b32_e32 v195, v243
.LBB114_209:
	s_or_b32 exec_lo, exec_lo, s0
	v_lshl_add_u32 v214, v248, 4, v1
	s_barrier
	buffer_gl0_inv
	v_mov_b32_e32 v242, 10
	ds_write2_b64 v214, v[190:191], v[192:193] offset1:1
	s_waitcnt lgkmcnt(0)
	s_barrier
	buffer_gl0_inv
	ds_read2_b64 v[234:237], v1 offset0:20 offset1:21
	s_cmp_lt_i32 s8, 12
	s_cbranch_scc1 .LBB114_212
; %bb.210:
	v_add3_u32 v243, v254, 0, 0xb0
	v_mov_b32_e32 v242, 10
	s_mov_b32 s0, 11
	s_inst_prefetch 0x1
	.p2align	6
.LBB114_211:                            ; =>This Inner Loop Header: Depth=1
	s_waitcnt lgkmcnt(0)
	v_cmp_gt_f64_e32 vcc_lo, 0, v[234:235]
	v_xor_b32_e32 v214, 0x80000000, v235
	ds_read2_b64 v[249:252], v243 offset1:1
	v_xor_b32_e32 v216, 0x80000000, v237
	v_add_nc_u32_e32 v243, 16, v243
	s_waitcnt lgkmcnt(0)
	v_xor_b32_e32 v218, 0x80000000, v252
	v_cndmask_b32_e32 v215, v235, v214, vcc_lo
	v_cmp_gt_f64_e32 vcc_lo, 0, v[236:237]
	v_mov_b32_e32 v214, v234
	v_cndmask_b32_e32 v217, v237, v216, vcc_lo
	v_cmp_gt_f64_e32 vcc_lo, 0, v[249:250]
	v_mov_b32_e32 v216, v236
	v_add_f64 v[214:215], v[214:215], v[216:217]
	v_xor_b32_e32 v216, 0x80000000, v250
	v_cndmask_b32_e32 v217, v250, v216, vcc_lo
	v_cmp_gt_f64_e32 vcc_lo, 0, v[251:252]
	v_mov_b32_e32 v216, v249
	v_cndmask_b32_e32 v219, v252, v218, vcc_lo
	v_mov_b32_e32 v218, v251
	v_add_f64 v[216:217], v[216:217], v[218:219]
	v_cmp_lt_f64_e32 vcc_lo, v[214:215], v[216:217]
	v_cndmask_b32_e32 v235, v235, v250, vcc_lo
	v_cndmask_b32_e32 v234, v234, v249, vcc_lo
	;; [unrolled: 1-line block ×4, first 2 shown]
	v_cndmask_b32_e64 v242, v242, s0, vcc_lo
	s_add_i32 s0, s0, 1
	s_cmp_lg_u32 s8, s0
	s_cbranch_scc1 .LBB114_211
.LBB114_212:
	s_inst_prefetch 0x2
	s_waitcnt lgkmcnt(0)
	v_cmp_eq_f64_e32 vcc_lo, 0, v[234:235]
	v_cmp_eq_f64_e64 s0, 0, v[236:237]
	s_and_b32 s0, vcc_lo, s0
	s_and_saveexec_b32 s1, s0
	s_xor_b32 s0, exec_lo, s1
; %bb.213:
	v_cmp_ne_u32_e32 vcc_lo, 0, v247
	v_cndmask_b32_e32 v247, 11, v247, vcc_lo
; %bb.214:
	s_andn2_saveexec_b32 s0, s0
	s_cbranch_execz .LBB114_220
; %bb.215:
	v_cmp_ngt_f64_e64 s1, |v[234:235]|, |v[236:237]|
	s_and_saveexec_b32 s7, s1
	s_xor_b32 s1, exec_lo, s7
	s_cbranch_execz .LBB114_217
; %bb.216:
	v_div_scale_f64 v[214:215], null, v[236:237], v[236:237], v[234:235]
	v_div_scale_f64 v[220:221], vcc_lo, v[234:235], v[236:237], v[234:235]
	v_rcp_f64_e32 v[216:217], v[214:215]
	v_fma_f64 v[218:219], -v[214:215], v[216:217], 1.0
	v_fma_f64 v[216:217], v[216:217], v[218:219], v[216:217]
	v_fma_f64 v[218:219], -v[214:215], v[216:217], 1.0
	v_fma_f64 v[216:217], v[216:217], v[218:219], v[216:217]
	v_mul_f64 v[218:219], v[220:221], v[216:217]
	v_fma_f64 v[214:215], -v[214:215], v[218:219], v[220:221]
	v_div_fmas_f64 v[214:215], v[214:215], v[216:217], v[218:219]
	v_div_fixup_f64 v[214:215], v[214:215], v[236:237], v[234:235]
	v_fma_f64 v[216:217], v[234:235], v[214:215], v[236:237]
	v_div_scale_f64 v[218:219], null, v[216:217], v[216:217], 1.0
	v_rcp_f64_e32 v[220:221], v[218:219]
	v_fma_f64 v[222:223], -v[218:219], v[220:221], 1.0
	v_fma_f64 v[220:221], v[220:221], v[222:223], v[220:221]
	v_fma_f64 v[222:223], -v[218:219], v[220:221], 1.0
	v_fma_f64 v[220:221], v[220:221], v[222:223], v[220:221]
	v_div_scale_f64 v[222:223], vcc_lo, 1.0, v[216:217], 1.0
	v_mul_f64 v[224:225], v[222:223], v[220:221]
	v_fma_f64 v[218:219], -v[218:219], v[224:225], v[222:223]
	v_div_fmas_f64 v[218:219], v[218:219], v[220:221], v[224:225]
	v_div_fixup_f64 v[236:237], v[218:219], v[216:217], 1.0
	v_mul_f64 v[234:235], v[214:215], v[236:237]
	v_xor_b32_e32 v237, 0x80000000, v237
.LBB114_217:
	s_andn2_saveexec_b32 s1, s1
	s_cbranch_execz .LBB114_219
; %bb.218:
	v_div_scale_f64 v[214:215], null, v[234:235], v[234:235], v[236:237]
	v_div_scale_f64 v[220:221], vcc_lo, v[236:237], v[234:235], v[236:237]
	v_rcp_f64_e32 v[216:217], v[214:215]
	v_fma_f64 v[218:219], -v[214:215], v[216:217], 1.0
	v_fma_f64 v[216:217], v[216:217], v[218:219], v[216:217]
	v_fma_f64 v[218:219], -v[214:215], v[216:217], 1.0
	v_fma_f64 v[216:217], v[216:217], v[218:219], v[216:217]
	v_mul_f64 v[218:219], v[220:221], v[216:217]
	v_fma_f64 v[214:215], -v[214:215], v[218:219], v[220:221]
	v_div_fmas_f64 v[214:215], v[214:215], v[216:217], v[218:219]
	v_div_fixup_f64 v[214:215], v[214:215], v[234:235], v[236:237]
	v_fma_f64 v[216:217], v[236:237], v[214:215], v[234:235]
	v_div_scale_f64 v[218:219], null, v[216:217], v[216:217], 1.0
	v_rcp_f64_e32 v[220:221], v[218:219]
	v_fma_f64 v[222:223], -v[218:219], v[220:221], 1.0
	v_fma_f64 v[220:221], v[220:221], v[222:223], v[220:221]
	v_fma_f64 v[222:223], -v[218:219], v[220:221], 1.0
	v_fma_f64 v[220:221], v[220:221], v[222:223], v[220:221]
	v_div_scale_f64 v[222:223], vcc_lo, 1.0, v[216:217], 1.0
	v_mul_f64 v[224:225], v[222:223], v[220:221]
	v_fma_f64 v[218:219], -v[218:219], v[224:225], v[222:223]
	v_div_fmas_f64 v[218:219], v[218:219], v[220:221], v[224:225]
	v_div_fixup_f64 v[234:235], v[218:219], v[216:217], 1.0
	v_mul_f64 v[236:237], v[214:215], -v[234:235]
.LBB114_219:
	s_or_b32 exec_lo, exec_lo, s1
.LBB114_220:
	s_or_b32 exec_lo, exec_lo, s0
	s_mov_b32 s0, exec_lo
	v_cmpx_ne_u32_e64 v248, v242
	s_xor_b32 s0, exec_lo, s0
	s_cbranch_execz .LBB114_226
; %bb.221:
	s_mov_b32 s1, exec_lo
	v_cmpx_eq_u32_e32 10, v248
	s_cbranch_execz .LBB114_225
; %bb.222:
	v_cmp_ne_u32_e32 vcc_lo, 10, v242
	s_xor_b32 s7, s16, -1
	s_and_b32 s9, s7, vcc_lo
	s_and_saveexec_b32 s7, s9
	s_cbranch_execz .LBB114_224
; %bb.223:
	s_clause 0x1
	buffer_load_dword v210, off, s[20:23], 0
	buffer_load_dword v211, off, s[20:23], 0 offset:4
	v_ashrrev_i32_e32 v243, 31, v242
	v_lshlrev_b64 v[214:215], 2, v[242:243]
	s_waitcnt vmcnt(1)
	v_add_co_u32 v214, vcc_lo, v210, v214
	s_waitcnt vmcnt(0)
	v_add_co_ci_u32_e64 v215, null, v211, v215, vcc_lo
	s_clause 0x1
	global_load_dword v0, v[214:215], off
	global_load_dword v216, v[210:211], off offset:40
	s_waitcnt vmcnt(1)
	global_store_dword v[210:211], v0, off offset:40
	s_waitcnt vmcnt(0)
	global_store_dword v[214:215], v216, off
.LBB114_224:
	s_or_b32 exec_lo, exec_lo, s7
	v_mov_b32_e32 v248, v242
	v_mov_b32_e32 v0, v242
.LBB114_225:
	s_or_b32 exec_lo, exec_lo, s1
.LBB114_226:
	s_andn2_saveexec_b32 s0, s0
	s_cbranch_execz .LBB114_228
; %bb.227:
	v_mov_b32_e32 v248, 10
	ds_write2_b64 v1, v[186:187], v[188:189] offset0:22 offset1:23
	ds_write2_b64 v1, v[182:183], v[184:185] offset0:24 offset1:25
	;; [unrolled: 1-line block ×47, first 2 shown]
.LBB114_228:
	s_or_b32 exec_lo, exec_lo, s0
	s_mov_b32 s0, exec_lo
	s_waitcnt lgkmcnt(0)
	s_waitcnt_vscnt null, 0x0
	s_barrier
	buffer_gl0_inv
	v_cmpx_lt_i32_e32 10, v248
	s_cbranch_execz .LBB114_230
; %bb.229:
	v_mul_f64 v[214:215], v[236:237], v[192:193]
	v_mul_f64 v[192:193], v[234:235], v[192:193]
	v_fma_f64 v[242:243], v[234:235], v[190:191], -v[214:215]
	v_fma_f64 v[192:193], v[236:237], v[190:191], v[192:193]
	ds_read2_b64 v[234:237], v1 offset0:22 offset1:23
	s_waitcnt lgkmcnt(0)
	v_mul_f64 v[190:191], v[236:237], v[192:193]
	v_mul_f64 v[214:215], v[234:235], v[192:193]
	v_fma_f64 v[190:191], v[234:235], v[242:243], -v[190:191]
	v_fma_f64 v[214:215], v[236:237], v[242:243], v[214:215]
	ds_read2_b64 v[234:237], v1 offset0:24 offset1:25
	v_add_f64 v[186:187], v[186:187], -v[190:191]
	v_add_f64 v[188:189], v[188:189], -v[214:215]
	s_waitcnt lgkmcnt(0)
	v_mul_f64 v[190:191], v[236:237], v[192:193]
	v_mul_f64 v[214:215], v[234:235], v[192:193]
	v_fma_f64 v[190:191], v[234:235], v[242:243], -v[190:191]
	v_fma_f64 v[214:215], v[236:237], v[242:243], v[214:215]
	ds_read2_b64 v[234:237], v1 offset0:26 offset1:27
	v_add_f64 v[182:183], v[182:183], -v[190:191]
	v_add_f64 v[184:185], v[184:185], -v[214:215]
	;; [unrolled: 8-line block ×46, first 2 shown]
	s_waitcnt lgkmcnt(0)
	v_mul_f64 v[190:191], v[236:237], v[192:193]
	v_mul_f64 v[214:215], v[234:235], v[192:193]
	v_fma_f64 v[190:191], v[234:235], v[242:243], -v[190:191]
	v_fma_f64 v[214:215], v[236:237], v[242:243], v[214:215]
	v_add_f64 v[226:227], v[226:227], -v[190:191]
	v_add_f64 v[228:229], v[228:229], -v[214:215]
	v_mov_b32_e32 v190, v242
	v_mov_b32_e32 v191, v243
.LBB114_230:
	s_or_b32 exec_lo, exec_lo, s0
	v_lshl_add_u32 v214, v248, 4, v1
	s_barrier
	buffer_gl0_inv
	v_mov_b32_e32 v242, 11
	ds_write2_b64 v214, v[186:187], v[188:189] offset1:1
	s_waitcnt lgkmcnt(0)
	s_barrier
	buffer_gl0_inv
	ds_read2_b64 v[234:237], v1 offset0:22 offset1:23
	s_cmp_lt_i32 s8, 13
	s_cbranch_scc1 .LBB114_233
; %bb.231:
	v_add3_u32 v243, v254, 0, 0xc0
	v_mov_b32_e32 v242, 11
	s_mov_b32 s0, 12
	s_inst_prefetch 0x1
	.p2align	6
.LBB114_232:                            ; =>This Inner Loop Header: Depth=1
	s_waitcnt lgkmcnt(0)
	v_cmp_gt_f64_e32 vcc_lo, 0, v[234:235]
	v_xor_b32_e32 v214, 0x80000000, v235
	ds_read2_b64 v[249:252], v243 offset1:1
	v_xor_b32_e32 v216, 0x80000000, v237
	v_add_nc_u32_e32 v243, 16, v243
	s_waitcnt lgkmcnt(0)
	v_xor_b32_e32 v218, 0x80000000, v252
	v_cndmask_b32_e32 v215, v235, v214, vcc_lo
	v_cmp_gt_f64_e32 vcc_lo, 0, v[236:237]
	v_mov_b32_e32 v214, v234
	v_cndmask_b32_e32 v217, v237, v216, vcc_lo
	v_cmp_gt_f64_e32 vcc_lo, 0, v[249:250]
	v_mov_b32_e32 v216, v236
	v_add_f64 v[214:215], v[214:215], v[216:217]
	v_xor_b32_e32 v216, 0x80000000, v250
	v_cndmask_b32_e32 v217, v250, v216, vcc_lo
	v_cmp_gt_f64_e32 vcc_lo, 0, v[251:252]
	v_mov_b32_e32 v216, v249
	v_cndmask_b32_e32 v219, v252, v218, vcc_lo
	v_mov_b32_e32 v218, v251
	v_add_f64 v[216:217], v[216:217], v[218:219]
	v_cmp_lt_f64_e32 vcc_lo, v[214:215], v[216:217]
	v_cndmask_b32_e32 v235, v235, v250, vcc_lo
	v_cndmask_b32_e32 v234, v234, v249, vcc_lo
	;; [unrolled: 1-line block ×4, first 2 shown]
	v_cndmask_b32_e64 v242, v242, s0, vcc_lo
	s_add_i32 s0, s0, 1
	s_cmp_lg_u32 s8, s0
	s_cbranch_scc1 .LBB114_232
.LBB114_233:
	s_inst_prefetch 0x2
	s_waitcnt lgkmcnt(0)
	v_cmp_eq_f64_e32 vcc_lo, 0, v[234:235]
	v_cmp_eq_f64_e64 s0, 0, v[236:237]
	s_and_b32 s0, vcc_lo, s0
	s_and_saveexec_b32 s1, s0
	s_xor_b32 s0, exec_lo, s1
; %bb.234:
	v_cmp_ne_u32_e32 vcc_lo, 0, v247
	v_cndmask_b32_e32 v247, 12, v247, vcc_lo
; %bb.235:
	s_andn2_saveexec_b32 s0, s0
	s_cbranch_execz .LBB114_241
; %bb.236:
	v_cmp_ngt_f64_e64 s1, |v[234:235]|, |v[236:237]|
	s_and_saveexec_b32 s7, s1
	s_xor_b32 s1, exec_lo, s7
	s_cbranch_execz .LBB114_238
; %bb.237:
	v_div_scale_f64 v[214:215], null, v[236:237], v[236:237], v[234:235]
	v_div_scale_f64 v[220:221], vcc_lo, v[234:235], v[236:237], v[234:235]
	v_rcp_f64_e32 v[216:217], v[214:215]
	v_fma_f64 v[218:219], -v[214:215], v[216:217], 1.0
	v_fma_f64 v[216:217], v[216:217], v[218:219], v[216:217]
	v_fma_f64 v[218:219], -v[214:215], v[216:217], 1.0
	v_fma_f64 v[216:217], v[216:217], v[218:219], v[216:217]
	v_mul_f64 v[218:219], v[220:221], v[216:217]
	v_fma_f64 v[214:215], -v[214:215], v[218:219], v[220:221]
	v_div_fmas_f64 v[214:215], v[214:215], v[216:217], v[218:219]
	v_div_fixup_f64 v[214:215], v[214:215], v[236:237], v[234:235]
	v_fma_f64 v[216:217], v[234:235], v[214:215], v[236:237]
	v_div_scale_f64 v[218:219], null, v[216:217], v[216:217], 1.0
	v_rcp_f64_e32 v[220:221], v[218:219]
	v_fma_f64 v[222:223], -v[218:219], v[220:221], 1.0
	v_fma_f64 v[220:221], v[220:221], v[222:223], v[220:221]
	v_fma_f64 v[222:223], -v[218:219], v[220:221], 1.0
	v_fma_f64 v[220:221], v[220:221], v[222:223], v[220:221]
	v_div_scale_f64 v[222:223], vcc_lo, 1.0, v[216:217], 1.0
	v_mul_f64 v[224:225], v[222:223], v[220:221]
	v_fma_f64 v[218:219], -v[218:219], v[224:225], v[222:223]
	v_div_fmas_f64 v[218:219], v[218:219], v[220:221], v[224:225]
	v_div_fixup_f64 v[236:237], v[218:219], v[216:217], 1.0
	v_mul_f64 v[234:235], v[214:215], v[236:237]
	v_xor_b32_e32 v237, 0x80000000, v237
.LBB114_238:
	s_andn2_saveexec_b32 s1, s1
	s_cbranch_execz .LBB114_240
; %bb.239:
	v_div_scale_f64 v[214:215], null, v[234:235], v[234:235], v[236:237]
	v_div_scale_f64 v[220:221], vcc_lo, v[236:237], v[234:235], v[236:237]
	v_rcp_f64_e32 v[216:217], v[214:215]
	v_fma_f64 v[218:219], -v[214:215], v[216:217], 1.0
	v_fma_f64 v[216:217], v[216:217], v[218:219], v[216:217]
	v_fma_f64 v[218:219], -v[214:215], v[216:217], 1.0
	v_fma_f64 v[216:217], v[216:217], v[218:219], v[216:217]
	v_mul_f64 v[218:219], v[220:221], v[216:217]
	v_fma_f64 v[214:215], -v[214:215], v[218:219], v[220:221]
	v_div_fmas_f64 v[214:215], v[214:215], v[216:217], v[218:219]
	v_div_fixup_f64 v[214:215], v[214:215], v[234:235], v[236:237]
	v_fma_f64 v[216:217], v[236:237], v[214:215], v[234:235]
	v_div_scale_f64 v[218:219], null, v[216:217], v[216:217], 1.0
	v_rcp_f64_e32 v[220:221], v[218:219]
	v_fma_f64 v[222:223], -v[218:219], v[220:221], 1.0
	v_fma_f64 v[220:221], v[220:221], v[222:223], v[220:221]
	v_fma_f64 v[222:223], -v[218:219], v[220:221], 1.0
	v_fma_f64 v[220:221], v[220:221], v[222:223], v[220:221]
	v_div_scale_f64 v[222:223], vcc_lo, 1.0, v[216:217], 1.0
	v_mul_f64 v[224:225], v[222:223], v[220:221]
	v_fma_f64 v[218:219], -v[218:219], v[224:225], v[222:223]
	v_div_fmas_f64 v[218:219], v[218:219], v[220:221], v[224:225]
	v_div_fixup_f64 v[234:235], v[218:219], v[216:217], 1.0
	v_mul_f64 v[236:237], v[214:215], -v[234:235]
.LBB114_240:
	s_or_b32 exec_lo, exec_lo, s1
.LBB114_241:
	s_or_b32 exec_lo, exec_lo, s0
	s_mov_b32 s0, exec_lo
	v_cmpx_ne_u32_e64 v248, v242
	s_xor_b32 s0, exec_lo, s0
	s_cbranch_execz .LBB114_247
; %bb.242:
	s_mov_b32 s1, exec_lo
	v_cmpx_eq_u32_e32 11, v248
	s_cbranch_execz .LBB114_246
; %bb.243:
	v_cmp_ne_u32_e32 vcc_lo, 11, v242
	s_xor_b32 s7, s16, -1
	s_and_b32 s9, s7, vcc_lo
	s_and_saveexec_b32 s7, s9
	s_cbranch_execz .LBB114_245
; %bb.244:
	s_clause 0x1
	buffer_load_dword v210, off, s[20:23], 0
	buffer_load_dword v211, off, s[20:23], 0 offset:4
	v_ashrrev_i32_e32 v243, 31, v242
	v_lshlrev_b64 v[214:215], 2, v[242:243]
	s_waitcnt vmcnt(1)
	v_add_co_u32 v214, vcc_lo, v210, v214
	s_waitcnt vmcnt(0)
	v_add_co_ci_u32_e64 v215, null, v211, v215, vcc_lo
	s_clause 0x1
	global_load_dword v0, v[214:215], off
	global_load_dword v216, v[210:211], off offset:44
	s_waitcnt vmcnt(1)
	global_store_dword v[210:211], v0, off offset:44
	s_waitcnt vmcnt(0)
	global_store_dword v[214:215], v216, off
.LBB114_245:
	s_or_b32 exec_lo, exec_lo, s7
	v_mov_b32_e32 v248, v242
	v_mov_b32_e32 v0, v242
.LBB114_246:
	s_or_b32 exec_lo, exec_lo, s1
.LBB114_247:
	s_andn2_saveexec_b32 s0, s0
	s_cbranch_execz .LBB114_249
; %bb.248:
	v_mov_b32_e32 v248, 11
	ds_write2_b64 v1, v[182:183], v[184:185] offset0:24 offset1:25
	ds_write2_b64 v1, v[178:179], v[180:181] offset0:26 offset1:27
	;; [unrolled: 1-line block ×46, first 2 shown]
.LBB114_249:
	s_or_b32 exec_lo, exec_lo, s0
	s_mov_b32 s0, exec_lo
	s_waitcnt lgkmcnt(0)
	s_waitcnt_vscnt null, 0x0
	s_barrier
	buffer_gl0_inv
	v_cmpx_lt_i32_e32 11, v248
	s_cbranch_execz .LBB114_251
; %bb.250:
	v_mul_f64 v[214:215], v[236:237], v[188:189]
	v_mul_f64 v[188:189], v[234:235], v[188:189]
	v_fma_f64 v[242:243], v[234:235], v[186:187], -v[214:215]
	v_fma_f64 v[188:189], v[236:237], v[186:187], v[188:189]
	ds_read2_b64 v[234:237], v1 offset0:24 offset1:25
	s_waitcnt lgkmcnt(0)
	v_mul_f64 v[186:187], v[236:237], v[188:189]
	v_mul_f64 v[214:215], v[234:235], v[188:189]
	v_fma_f64 v[186:187], v[234:235], v[242:243], -v[186:187]
	v_fma_f64 v[214:215], v[236:237], v[242:243], v[214:215]
	ds_read2_b64 v[234:237], v1 offset0:26 offset1:27
	v_add_f64 v[182:183], v[182:183], -v[186:187]
	v_add_f64 v[184:185], v[184:185], -v[214:215]
	s_waitcnt lgkmcnt(0)
	v_mul_f64 v[186:187], v[236:237], v[188:189]
	v_mul_f64 v[214:215], v[234:235], v[188:189]
	v_fma_f64 v[186:187], v[234:235], v[242:243], -v[186:187]
	v_fma_f64 v[214:215], v[236:237], v[242:243], v[214:215]
	ds_read2_b64 v[234:237], v1 offset0:28 offset1:29
	v_add_f64 v[178:179], v[178:179], -v[186:187]
	v_add_f64 v[180:181], v[180:181], -v[214:215]
	;; [unrolled: 8-line block ×45, first 2 shown]
	s_waitcnt lgkmcnt(0)
	v_mul_f64 v[186:187], v[236:237], v[188:189]
	v_mul_f64 v[214:215], v[234:235], v[188:189]
	v_fma_f64 v[186:187], v[234:235], v[242:243], -v[186:187]
	v_fma_f64 v[214:215], v[236:237], v[242:243], v[214:215]
	v_add_f64 v[226:227], v[226:227], -v[186:187]
	v_add_f64 v[228:229], v[228:229], -v[214:215]
	v_mov_b32_e32 v186, v242
	v_mov_b32_e32 v187, v243
.LBB114_251:
	s_or_b32 exec_lo, exec_lo, s0
	v_lshl_add_u32 v214, v248, 4, v1
	s_barrier
	buffer_gl0_inv
	v_mov_b32_e32 v242, 12
	ds_write2_b64 v214, v[182:183], v[184:185] offset1:1
	s_waitcnt lgkmcnt(0)
	s_barrier
	buffer_gl0_inv
	ds_read2_b64 v[234:237], v1 offset0:24 offset1:25
	s_cmp_lt_i32 s8, 14
	s_cbranch_scc1 .LBB114_254
; %bb.252:
	v_add3_u32 v243, v254, 0, 0xd0
	v_mov_b32_e32 v242, 12
	s_mov_b32 s0, 13
	s_inst_prefetch 0x1
	.p2align	6
.LBB114_253:                            ; =>This Inner Loop Header: Depth=1
	s_waitcnt lgkmcnt(0)
	v_cmp_gt_f64_e32 vcc_lo, 0, v[234:235]
	v_xor_b32_e32 v214, 0x80000000, v235
	ds_read2_b64 v[249:252], v243 offset1:1
	v_xor_b32_e32 v216, 0x80000000, v237
	v_add_nc_u32_e32 v243, 16, v243
	s_waitcnt lgkmcnt(0)
	v_xor_b32_e32 v218, 0x80000000, v252
	v_cndmask_b32_e32 v215, v235, v214, vcc_lo
	v_cmp_gt_f64_e32 vcc_lo, 0, v[236:237]
	v_mov_b32_e32 v214, v234
	v_cndmask_b32_e32 v217, v237, v216, vcc_lo
	v_cmp_gt_f64_e32 vcc_lo, 0, v[249:250]
	v_mov_b32_e32 v216, v236
	v_add_f64 v[214:215], v[214:215], v[216:217]
	v_xor_b32_e32 v216, 0x80000000, v250
	v_cndmask_b32_e32 v217, v250, v216, vcc_lo
	v_cmp_gt_f64_e32 vcc_lo, 0, v[251:252]
	v_mov_b32_e32 v216, v249
	v_cndmask_b32_e32 v219, v252, v218, vcc_lo
	v_mov_b32_e32 v218, v251
	v_add_f64 v[216:217], v[216:217], v[218:219]
	v_cmp_lt_f64_e32 vcc_lo, v[214:215], v[216:217]
	v_cndmask_b32_e32 v235, v235, v250, vcc_lo
	v_cndmask_b32_e32 v234, v234, v249, vcc_lo
	;; [unrolled: 1-line block ×4, first 2 shown]
	v_cndmask_b32_e64 v242, v242, s0, vcc_lo
	s_add_i32 s0, s0, 1
	s_cmp_lg_u32 s8, s0
	s_cbranch_scc1 .LBB114_253
.LBB114_254:
	s_inst_prefetch 0x2
	s_waitcnt lgkmcnt(0)
	v_cmp_eq_f64_e32 vcc_lo, 0, v[234:235]
	v_cmp_eq_f64_e64 s0, 0, v[236:237]
	s_and_b32 s0, vcc_lo, s0
	s_and_saveexec_b32 s1, s0
	s_xor_b32 s0, exec_lo, s1
; %bb.255:
	v_cmp_ne_u32_e32 vcc_lo, 0, v247
	v_cndmask_b32_e32 v247, 13, v247, vcc_lo
; %bb.256:
	s_andn2_saveexec_b32 s0, s0
	s_cbranch_execz .LBB114_262
; %bb.257:
	v_cmp_ngt_f64_e64 s1, |v[234:235]|, |v[236:237]|
	s_and_saveexec_b32 s7, s1
	s_xor_b32 s1, exec_lo, s7
	s_cbranch_execz .LBB114_259
; %bb.258:
	v_div_scale_f64 v[214:215], null, v[236:237], v[236:237], v[234:235]
	v_div_scale_f64 v[220:221], vcc_lo, v[234:235], v[236:237], v[234:235]
	v_rcp_f64_e32 v[216:217], v[214:215]
	v_fma_f64 v[218:219], -v[214:215], v[216:217], 1.0
	v_fma_f64 v[216:217], v[216:217], v[218:219], v[216:217]
	v_fma_f64 v[218:219], -v[214:215], v[216:217], 1.0
	v_fma_f64 v[216:217], v[216:217], v[218:219], v[216:217]
	v_mul_f64 v[218:219], v[220:221], v[216:217]
	v_fma_f64 v[214:215], -v[214:215], v[218:219], v[220:221]
	v_div_fmas_f64 v[214:215], v[214:215], v[216:217], v[218:219]
	v_div_fixup_f64 v[214:215], v[214:215], v[236:237], v[234:235]
	v_fma_f64 v[216:217], v[234:235], v[214:215], v[236:237]
	v_div_scale_f64 v[218:219], null, v[216:217], v[216:217], 1.0
	v_rcp_f64_e32 v[220:221], v[218:219]
	v_fma_f64 v[222:223], -v[218:219], v[220:221], 1.0
	v_fma_f64 v[220:221], v[220:221], v[222:223], v[220:221]
	v_fma_f64 v[222:223], -v[218:219], v[220:221], 1.0
	v_fma_f64 v[220:221], v[220:221], v[222:223], v[220:221]
	v_div_scale_f64 v[222:223], vcc_lo, 1.0, v[216:217], 1.0
	v_mul_f64 v[224:225], v[222:223], v[220:221]
	v_fma_f64 v[218:219], -v[218:219], v[224:225], v[222:223]
	v_div_fmas_f64 v[218:219], v[218:219], v[220:221], v[224:225]
	v_div_fixup_f64 v[236:237], v[218:219], v[216:217], 1.0
	v_mul_f64 v[234:235], v[214:215], v[236:237]
	v_xor_b32_e32 v237, 0x80000000, v237
.LBB114_259:
	s_andn2_saveexec_b32 s1, s1
	s_cbranch_execz .LBB114_261
; %bb.260:
	v_div_scale_f64 v[214:215], null, v[234:235], v[234:235], v[236:237]
	v_div_scale_f64 v[220:221], vcc_lo, v[236:237], v[234:235], v[236:237]
	v_rcp_f64_e32 v[216:217], v[214:215]
	v_fma_f64 v[218:219], -v[214:215], v[216:217], 1.0
	v_fma_f64 v[216:217], v[216:217], v[218:219], v[216:217]
	v_fma_f64 v[218:219], -v[214:215], v[216:217], 1.0
	v_fma_f64 v[216:217], v[216:217], v[218:219], v[216:217]
	v_mul_f64 v[218:219], v[220:221], v[216:217]
	v_fma_f64 v[214:215], -v[214:215], v[218:219], v[220:221]
	v_div_fmas_f64 v[214:215], v[214:215], v[216:217], v[218:219]
	v_div_fixup_f64 v[214:215], v[214:215], v[234:235], v[236:237]
	v_fma_f64 v[216:217], v[236:237], v[214:215], v[234:235]
	v_div_scale_f64 v[218:219], null, v[216:217], v[216:217], 1.0
	v_rcp_f64_e32 v[220:221], v[218:219]
	v_fma_f64 v[222:223], -v[218:219], v[220:221], 1.0
	v_fma_f64 v[220:221], v[220:221], v[222:223], v[220:221]
	v_fma_f64 v[222:223], -v[218:219], v[220:221], 1.0
	v_fma_f64 v[220:221], v[220:221], v[222:223], v[220:221]
	v_div_scale_f64 v[222:223], vcc_lo, 1.0, v[216:217], 1.0
	v_mul_f64 v[224:225], v[222:223], v[220:221]
	v_fma_f64 v[218:219], -v[218:219], v[224:225], v[222:223]
	v_div_fmas_f64 v[218:219], v[218:219], v[220:221], v[224:225]
	v_div_fixup_f64 v[234:235], v[218:219], v[216:217], 1.0
	v_mul_f64 v[236:237], v[214:215], -v[234:235]
.LBB114_261:
	s_or_b32 exec_lo, exec_lo, s1
.LBB114_262:
	s_or_b32 exec_lo, exec_lo, s0
	s_mov_b32 s0, exec_lo
	v_cmpx_ne_u32_e64 v248, v242
	s_xor_b32 s0, exec_lo, s0
	s_cbranch_execz .LBB114_268
; %bb.263:
	s_mov_b32 s1, exec_lo
	v_cmpx_eq_u32_e32 12, v248
	s_cbranch_execz .LBB114_267
; %bb.264:
	v_cmp_ne_u32_e32 vcc_lo, 12, v242
	s_xor_b32 s7, s16, -1
	s_and_b32 s9, s7, vcc_lo
	s_and_saveexec_b32 s7, s9
	s_cbranch_execz .LBB114_266
; %bb.265:
	s_clause 0x1
	buffer_load_dword v210, off, s[20:23], 0
	buffer_load_dword v211, off, s[20:23], 0 offset:4
	v_ashrrev_i32_e32 v243, 31, v242
	v_lshlrev_b64 v[214:215], 2, v[242:243]
	s_waitcnt vmcnt(1)
	v_add_co_u32 v214, vcc_lo, v210, v214
	s_waitcnt vmcnt(0)
	v_add_co_ci_u32_e64 v215, null, v211, v215, vcc_lo
	s_clause 0x1
	global_load_dword v0, v[214:215], off
	global_load_dword v216, v[210:211], off offset:48
	s_waitcnt vmcnt(1)
	global_store_dword v[210:211], v0, off offset:48
	s_waitcnt vmcnt(0)
	global_store_dword v[214:215], v216, off
.LBB114_266:
	s_or_b32 exec_lo, exec_lo, s7
	v_mov_b32_e32 v248, v242
	v_mov_b32_e32 v0, v242
.LBB114_267:
	s_or_b32 exec_lo, exec_lo, s1
.LBB114_268:
	s_andn2_saveexec_b32 s0, s0
	s_cbranch_execz .LBB114_270
; %bb.269:
	v_mov_b32_e32 v248, 12
	ds_write2_b64 v1, v[178:179], v[180:181] offset0:26 offset1:27
	ds_write2_b64 v1, v[174:175], v[176:177] offset0:28 offset1:29
	;; [unrolled: 1-line block ×45, first 2 shown]
.LBB114_270:
	s_or_b32 exec_lo, exec_lo, s0
	s_mov_b32 s0, exec_lo
	s_waitcnt lgkmcnt(0)
	s_waitcnt_vscnt null, 0x0
	s_barrier
	buffer_gl0_inv
	v_cmpx_lt_i32_e32 12, v248
	s_cbranch_execz .LBB114_272
; %bb.271:
	v_mul_f64 v[214:215], v[236:237], v[184:185]
	v_mul_f64 v[184:185], v[234:235], v[184:185]
	v_fma_f64 v[242:243], v[234:235], v[182:183], -v[214:215]
	v_fma_f64 v[184:185], v[236:237], v[182:183], v[184:185]
	ds_read2_b64 v[234:237], v1 offset0:26 offset1:27
	s_waitcnt lgkmcnt(0)
	v_mul_f64 v[182:183], v[236:237], v[184:185]
	v_mul_f64 v[214:215], v[234:235], v[184:185]
	v_fma_f64 v[182:183], v[234:235], v[242:243], -v[182:183]
	v_fma_f64 v[214:215], v[236:237], v[242:243], v[214:215]
	ds_read2_b64 v[234:237], v1 offset0:28 offset1:29
	v_add_f64 v[178:179], v[178:179], -v[182:183]
	v_add_f64 v[180:181], v[180:181], -v[214:215]
	s_waitcnt lgkmcnt(0)
	v_mul_f64 v[182:183], v[236:237], v[184:185]
	v_mul_f64 v[214:215], v[234:235], v[184:185]
	v_fma_f64 v[182:183], v[234:235], v[242:243], -v[182:183]
	v_fma_f64 v[214:215], v[236:237], v[242:243], v[214:215]
	ds_read2_b64 v[234:237], v1 offset0:30 offset1:31
	v_add_f64 v[174:175], v[174:175], -v[182:183]
	v_add_f64 v[176:177], v[176:177], -v[214:215]
	;; [unrolled: 8-line block ×44, first 2 shown]
	s_waitcnt lgkmcnt(0)
	v_mul_f64 v[182:183], v[236:237], v[184:185]
	v_mul_f64 v[214:215], v[234:235], v[184:185]
	v_fma_f64 v[182:183], v[234:235], v[242:243], -v[182:183]
	v_fma_f64 v[214:215], v[236:237], v[242:243], v[214:215]
	v_add_f64 v[226:227], v[226:227], -v[182:183]
	v_add_f64 v[228:229], v[228:229], -v[214:215]
	v_mov_b32_e32 v182, v242
	v_mov_b32_e32 v183, v243
.LBB114_272:
	s_or_b32 exec_lo, exec_lo, s0
	v_lshl_add_u32 v214, v248, 4, v1
	s_barrier
	buffer_gl0_inv
	v_mov_b32_e32 v242, 13
	ds_write2_b64 v214, v[178:179], v[180:181] offset1:1
	s_waitcnt lgkmcnt(0)
	s_barrier
	buffer_gl0_inv
	ds_read2_b64 v[234:237], v1 offset0:26 offset1:27
	s_cmp_lt_i32 s8, 15
	s_cbranch_scc1 .LBB114_275
; %bb.273:
	v_add3_u32 v243, v254, 0, 0xe0
	v_mov_b32_e32 v242, 13
	s_mov_b32 s0, 14
	s_inst_prefetch 0x1
	.p2align	6
.LBB114_274:                            ; =>This Inner Loop Header: Depth=1
	s_waitcnt lgkmcnt(0)
	v_cmp_gt_f64_e32 vcc_lo, 0, v[234:235]
	v_xor_b32_e32 v214, 0x80000000, v235
	ds_read2_b64 v[249:252], v243 offset1:1
	v_xor_b32_e32 v216, 0x80000000, v237
	v_add_nc_u32_e32 v243, 16, v243
	s_waitcnt lgkmcnt(0)
	v_xor_b32_e32 v218, 0x80000000, v252
	v_cndmask_b32_e32 v215, v235, v214, vcc_lo
	v_cmp_gt_f64_e32 vcc_lo, 0, v[236:237]
	v_mov_b32_e32 v214, v234
	v_cndmask_b32_e32 v217, v237, v216, vcc_lo
	v_cmp_gt_f64_e32 vcc_lo, 0, v[249:250]
	v_mov_b32_e32 v216, v236
	v_add_f64 v[214:215], v[214:215], v[216:217]
	v_xor_b32_e32 v216, 0x80000000, v250
	v_cndmask_b32_e32 v217, v250, v216, vcc_lo
	v_cmp_gt_f64_e32 vcc_lo, 0, v[251:252]
	v_mov_b32_e32 v216, v249
	v_cndmask_b32_e32 v219, v252, v218, vcc_lo
	v_mov_b32_e32 v218, v251
	v_add_f64 v[216:217], v[216:217], v[218:219]
	v_cmp_lt_f64_e32 vcc_lo, v[214:215], v[216:217]
	v_cndmask_b32_e32 v235, v235, v250, vcc_lo
	v_cndmask_b32_e32 v234, v234, v249, vcc_lo
	;; [unrolled: 1-line block ×4, first 2 shown]
	v_cndmask_b32_e64 v242, v242, s0, vcc_lo
	s_add_i32 s0, s0, 1
	s_cmp_lg_u32 s8, s0
	s_cbranch_scc1 .LBB114_274
.LBB114_275:
	s_inst_prefetch 0x2
	s_waitcnt lgkmcnt(0)
	v_cmp_eq_f64_e32 vcc_lo, 0, v[234:235]
	v_cmp_eq_f64_e64 s0, 0, v[236:237]
	s_and_b32 s0, vcc_lo, s0
	s_and_saveexec_b32 s1, s0
	s_xor_b32 s0, exec_lo, s1
; %bb.276:
	v_cmp_ne_u32_e32 vcc_lo, 0, v247
	v_cndmask_b32_e32 v247, 14, v247, vcc_lo
; %bb.277:
	s_andn2_saveexec_b32 s0, s0
	s_cbranch_execz .LBB114_283
; %bb.278:
	v_cmp_ngt_f64_e64 s1, |v[234:235]|, |v[236:237]|
	s_and_saveexec_b32 s7, s1
	s_xor_b32 s1, exec_lo, s7
	s_cbranch_execz .LBB114_280
; %bb.279:
	v_div_scale_f64 v[214:215], null, v[236:237], v[236:237], v[234:235]
	v_div_scale_f64 v[220:221], vcc_lo, v[234:235], v[236:237], v[234:235]
	v_rcp_f64_e32 v[216:217], v[214:215]
	v_fma_f64 v[218:219], -v[214:215], v[216:217], 1.0
	v_fma_f64 v[216:217], v[216:217], v[218:219], v[216:217]
	v_fma_f64 v[218:219], -v[214:215], v[216:217], 1.0
	v_fma_f64 v[216:217], v[216:217], v[218:219], v[216:217]
	v_mul_f64 v[218:219], v[220:221], v[216:217]
	v_fma_f64 v[214:215], -v[214:215], v[218:219], v[220:221]
	v_div_fmas_f64 v[214:215], v[214:215], v[216:217], v[218:219]
	v_div_fixup_f64 v[214:215], v[214:215], v[236:237], v[234:235]
	v_fma_f64 v[216:217], v[234:235], v[214:215], v[236:237]
	v_div_scale_f64 v[218:219], null, v[216:217], v[216:217], 1.0
	v_rcp_f64_e32 v[220:221], v[218:219]
	v_fma_f64 v[222:223], -v[218:219], v[220:221], 1.0
	v_fma_f64 v[220:221], v[220:221], v[222:223], v[220:221]
	v_fma_f64 v[222:223], -v[218:219], v[220:221], 1.0
	v_fma_f64 v[220:221], v[220:221], v[222:223], v[220:221]
	v_div_scale_f64 v[222:223], vcc_lo, 1.0, v[216:217], 1.0
	v_mul_f64 v[224:225], v[222:223], v[220:221]
	v_fma_f64 v[218:219], -v[218:219], v[224:225], v[222:223]
	v_div_fmas_f64 v[218:219], v[218:219], v[220:221], v[224:225]
	v_div_fixup_f64 v[236:237], v[218:219], v[216:217], 1.0
	v_mul_f64 v[234:235], v[214:215], v[236:237]
	v_xor_b32_e32 v237, 0x80000000, v237
.LBB114_280:
	s_andn2_saveexec_b32 s1, s1
	s_cbranch_execz .LBB114_282
; %bb.281:
	v_div_scale_f64 v[214:215], null, v[234:235], v[234:235], v[236:237]
	v_div_scale_f64 v[220:221], vcc_lo, v[236:237], v[234:235], v[236:237]
	v_rcp_f64_e32 v[216:217], v[214:215]
	v_fma_f64 v[218:219], -v[214:215], v[216:217], 1.0
	v_fma_f64 v[216:217], v[216:217], v[218:219], v[216:217]
	v_fma_f64 v[218:219], -v[214:215], v[216:217], 1.0
	v_fma_f64 v[216:217], v[216:217], v[218:219], v[216:217]
	v_mul_f64 v[218:219], v[220:221], v[216:217]
	v_fma_f64 v[214:215], -v[214:215], v[218:219], v[220:221]
	v_div_fmas_f64 v[214:215], v[214:215], v[216:217], v[218:219]
	v_div_fixup_f64 v[214:215], v[214:215], v[234:235], v[236:237]
	v_fma_f64 v[216:217], v[236:237], v[214:215], v[234:235]
	v_div_scale_f64 v[218:219], null, v[216:217], v[216:217], 1.0
	v_rcp_f64_e32 v[220:221], v[218:219]
	v_fma_f64 v[222:223], -v[218:219], v[220:221], 1.0
	v_fma_f64 v[220:221], v[220:221], v[222:223], v[220:221]
	v_fma_f64 v[222:223], -v[218:219], v[220:221], 1.0
	v_fma_f64 v[220:221], v[220:221], v[222:223], v[220:221]
	v_div_scale_f64 v[222:223], vcc_lo, 1.0, v[216:217], 1.0
	v_mul_f64 v[224:225], v[222:223], v[220:221]
	v_fma_f64 v[218:219], -v[218:219], v[224:225], v[222:223]
	v_div_fmas_f64 v[218:219], v[218:219], v[220:221], v[224:225]
	v_div_fixup_f64 v[234:235], v[218:219], v[216:217], 1.0
	v_mul_f64 v[236:237], v[214:215], -v[234:235]
.LBB114_282:
	s_or_b32 exec_lo, exec_lo, s1
.LBB114_283:
	s_or_b32 exec_lo, exec_lo, s0
	s_mov_b32 s0, exec_lo
	v_cmpx_ne_u32_e64 v248, v242
	s_xor_b32 s0, exec_lo, s0
	s_cbranch_execz .LBB114_289
; %bb.284:
	s_mov_b32 s1, exec_lo
	v_cmpx_eq_u32_e32 13, v248
	s_cbranch_execz .LBB114_288
; %bb.285:
	v_cmp_ne_u32_e32 vcc_lo, 13, v242
	s_xor_b32 s7, s16, -1
	s_and_b32 s9, s7, vcc_lo
	s_and_saveexec_b32 s7, s9
	s_cbranch_execz .LBB114_287
; %bb.286:
	s_clause 0x1
	buffer_load_dword v210, off, s[20:23], 0
	buffer_load_dword v211, off, s[20:23], 0 offset:4
	v_ashrrev_i32_e32 v243, 31, v242
	v_lshlrev_b64 v[214:215], 2, v[242:243]
	s_waitcnt vmcnt(1)
	v_add_co_u32 v214, vcc_lo, v210, v214
	s_waitcnt vmcnt(0)
	v_add_co_ci_u32_e64 v215, null, v211, v215, vcc_lo
	s_clause 0x1
	global_load_dword v0, v[214:215], off
	global_load_dword v216, v[210:211], off offset:52
	s_waitcnt vmcnt(1)
	global_store_dword v[210:211], v0, off offset:52
	s_waitcnt vmcnt(0)
	global_store_dword v[214:215], v216, off
.LBB114_287:
	s_or_b32 exec_lo, exec_lo, s7
	v_mov_b32_e32 v248, v242
	v_mov_b32_e32 v0, v242
.LBB114_288:
	s_or_b32 exec_lo, exec_lo, s1
.LBB114_289:
	s_andn2_saveexec_b32 s0, s0
	s_cbranch_execz .LBB114_291
; %bb.290:
	v_mov_b32_e32 v248, 13
	ds_write2_b64 v1, v[174:175], v[176:177] offset0:28 offset1:29
	ds_write2_b64 v1, v[170:171], v[172:173] offset0:30 offset1:31
	;; [unrolled: 1-line block ×44, first 2 shown]
.LBB114_291:
	s_or_b32 exec_lo, exec_lo, s0
	s_mov_b32 s0, exec_lo
	s_waitcnt lgkmcnt(0)
	s_waitcnt_vscnt null, 0x0
	s_barrier
	buffer_gl0_inv
	v_cmpx_lt_i32_e32 13, v248
	s_cbranch_execz .LBB114_293
; %bb.292:
	v_mul_f64 v[214:215], v[236:237], v[180:181]
	v_mul_f64 v[180:181], v[234:235], v[180:181]
	v_fma_f64 v[242:243], v[234:235], v[178:179], -v[214:215]
	v_fma_f64 v[180:181], v[236:237], v[178:179], v[180:181]
	ds_read2_b64 v[234:237], v1 offset0:28 offset1:29
	s_waitcnt lgkmcnt(0)
	v_mul_f64 v[178:179], v[236:237], v[180:181]
	v_mul_f64 v[214:215], v[234:235], v[180:181]
	v_fma_f64 v[178:179], v[234:235], v[242:243], -v[178:179]
	v_fma_f64 v[214:215], v[236:237], v[242:243], v[214:215]
	ds_read2_b64 v[234:237], v1 offset0:30 offset1:31
	v_add_f64 v[174:175], v[174:175], -v[178:179]
	v_add_f64 v[176:177], v[176:177], -v[214:215]
	s_waitcnt lgkmcnt(0)
	v_mul_f64 v[178:179], v[236:237], v[180:181]
	v_mul_f64 v[214:215], v[234:235], v[180:181]
	v_fma_f64 v[178:179], v[234:235], v[242:243], -v[178:179]
	v_fma_f64 v[214:215], v[236:237], v[242:243], v[214:215]
	ds_read2_b64 v[234:237], v1 offset0:32 offset1:33
	v_add_f64 v[170:171], v[170:171], -v[178:179]
	v_add_f64 v[172:173], v[172:173], -v[214:215]
	;; [unrolled: 8-line block ×43, first 2 shown]
	s_waitcnt lgkmcnt(0)
	v_mul_f64 v[178:179], v[236:237], v[180:181]
	v_mul_f64 v[214:215], v[234:235], v[180:181]
	v_fma_f64 v[178:179], v[234:235], v[242:243], -v[178:179]
	v_fma_f64 v[214:215], v[236:237], v[242:243], v[214:215]
	v_add_f64 v[226:227], v[226:227], -v[178:179]
	v_add_f64 v[228:229], v[228:229], -v[214:215]
	v_mov_b32_e32 v178, v242
	v_mov_b32_e32 v179, v243
.LBB114_293:
	s_or_b32 exec_lo, exec_lo, s0
	v_lshl_add_u32 v214, v248, 4, v1
	s_barrier
	buffer_gl0_inv
	v_mov_b32_e32 v242, 14
	ds_write2_b64 v214, v[174:175], v[176:177] offset1:1
	s_waitcnt lgkmcnt(0)
	s_barrier
	buffer_gl0_inv
	ds_read2_b64 v[234:237], v1 offset0:28 offset1:29
	s_cmp_lt_i32 s8, 16
	s_cbranch_scc1 .LBB114_296
; %bb.294:
	v_add3_u32 v243, v254, 0, 0xf0
	v_mov_b32_e32 v242, 14
	s_mov_b32 s0, 15
	s_inst_prefetch 0x1
	.p2align	6
.LBB114_295:                            ; =>This Inner Loop Header: Depth=1
	s_waitcnt lgkmcnt(0)
	v_cmp_gt_f64_e32 vcc_lo, 0, v[234:235]
	v_xor_b32_e32 v214, 0x80000000, v235
	ds_read2_b64 v[249:252], v243 offset1:1
	v_xor_b32_e32 v216, 0x80000000, v237
	v_add_nc_u32_e32 v243, 16, v243
	s_waitcnt lgkmcnt(0)
	v_xor_b32_e32 v218, 0x80000000, v252
	v_cndmask_b32_e32 v215, v235, v214, vcc_lo
	v_cmp_gt_f64_e32 vcc_lo, 0, v[236:237]
	v_mov_b32_e32 v214, v234
	v_cndmask_b32_e32 v217, v237, v216, vcc_lo
	v_cmp_gt_f64_e32 vcc_lo, 0, v[249:250]
	v_mov_b32_e32 v216, v236
	v_add_f64 v[214:215], v[214:215], v[216:217]
	v_xor_b32_e32 v216, 0x80000000, v250
	v_cndmask_b32_e32 v217, v250, v216, vcc_lo
	v_cmp_gt_f64_e32 vcc_lo, 0, v[251:252]
	v_mov_b32_e32 v216, v249
	v_cndmask_b32_e32 v219, v252, v218, vcc_lo
	v_mov_b32_e32 v218, v251
	v_add_f64 v[216:217], v[216:217], v[218:219]
	v_cmp_lt_f64_e32 vcc_lo, v[214:215], v[216:217]
	v_cndmask_b32_e32 v235, v235, v250, vcc_lo
	v_cndmask_b32_e32 v234, v234, v249, vcc_lo
	;; [unrolled: 1-line block ×4, first 2 shown]
	v_cndmask_b32_e64 v242, v242, s0, vcc_lo
	s_add_i32 s0, s0, 1
	s_cmp_lg_u32 s8, s0
	s_cbranch_scc1 .LBB114_295
.LBB114_296:
	s_inst_prefetch 0x2
	s_waitcnt lgkmcnt(0)
	v_cmp_eq_f64_e32 vcc_lo, 0, v[234:235]
	v_cmp_eq_f64_e64 s0, 0, v[236:237]
	s_and_b32 s0, vcc_lo, s0
	s_and_saveexec_b32 s1, s0
	s_xor_b32 s0, exec_lo, s1
; %bb.297:
	v_cmp_ne_u32_e32 vcc_lo, 0, v247
	v_cndmask_b32_e32 v247, 15, v247, vcc_lo
; %bb.298:
	s_andn2_saveexec_b32 s0, s0
	s_cbranch_execz .LBB114_304
; %bb.299:
	v_cmp_ngt_f64_e64 s1, |v[234:235]|, |v[236:237]|
	s_and_saveexec_b32 s7, s1
	s_xor_b32 s1, exec_lo, s7
	s_cbranch_execz .LBB114_301
; %bb.300:
	v_div_scale_f64 v[214:215], null, v[236:237], v[236:237], v[234:235]
	v_div_scale_f64 v[220:221], vcc_lo, v[234:235], v[236:237], v[234:235]
	v_rcp_f64_e32 v[216:217], v[214:215]
	v_fma_f64 v[218:219], -v[214:215], v[216:217], 1.0
	v_fma_f64 v[216:217], v[216:217], v[218:219], v[216:217]
	v_fma_f64 v[218:219], -v[214:215], v[216:217], 1.0
	v_fma_f64 v[216:217], v[216:217], v[218:219], v[216:217]
	v_mul_f64 v[218:219], v[220:221], v[216:217]
	v_fma_f64 v[214:215], -v[214:215], v[218:219], v[220:221]
	v_div_fmas_f64 v[214:215], v[214:215], v[216:217], v[218:219]
	v_div_fixup_f64 v[214:215], v[214:215], v[236:237], v[234:235]
	v_fma_f64 v[216:217], v[234:235], v[214:215], v[236:237]
	v_div_scale_f64 v[218:219], null, v[216:217], v[216:217], 1.0
	v_rcp_f64_e32 v[220:221], v[218:219]
	v_fma_f64 v[222:223], -v[218:219], v[220:221], 1.0
	v_fma_f64 v[220:221], v[220:221], v[222:223], v[220:221]
	v_fma_f64 v[222:223], -v[218:219], v[220:221], 1.0
	v_fma_f64 v[220:221], v[220:221], v[222:223], v[220:221]
	v_div_scale_f64 v[222:223], vcc_lo, 1.0, v[216:217], 1.0
	v_mul_f64 v[224:225], v[222:223], v[220:221]
	v_fma_f64 v[218:219], -v[218:219], v[224:225], v[222:223]
	v_div_fmas_f64 v[218:219], v[218:219], v[220:221], v[224:225]
	v_div_fixup_f64 v[236:237], v[218:219], v[216:217], 1.0
	v_mul_f64 v[234:235], v[214:215], v[236:237]
	v_xor_b32_e32 v237, 0x80000000, v237
.LBB114_301:
	s_andn2_saveexec_b32 s1, s1
	s_cbranch_execz .LBB114_303
; %bb.302:
	v_div_scale_f64 v[214:215], null, v[234:235], v[234:235], v[236:237]
	v_div_scale_f64 v[220:221], vcc_lo, v[236:237], v[234:235], v[236:237]
	v_rcp_f64_e32 v[216:217], v[214:215]
	v_fma_f64 v[218:219], -v[214:215], v[216:217], 1.0
	v_fma_f64 v[216:217], v[216:217], v[218:219], v[216:217]
	v_fma_f64 v[218:219], -v[214:215], v[216:217], 1.0
	v_fma_f64 v[216:217], v[216:217], v[218:219], v[216:217]
	v_mul_f64 v[218:219], v[220:221], v[216:217]
	v_fma_f64 v[214:215], -v[214:215], v[218:219], v[220:221]
	v_div_fmas_f64 v[214:215], v[214:215], v[216:217], v[218:219]
	v_div_fixup_f64 v[214:215], v[214:215], v[234:235], v[236:237]
	v_fma_f64 v[216:217], v[236:237], v[214:215], v[234:235]
	v_div_scale_f64 v[218:219], null, v[216:217], v[216:217], 1.0
	v_rcp_f64_e32 v[220:221], v[218:219]
	v_fma_f64 v[222:223], -v[218:219], v[220:221], 1.0
	v_fma_f64 v[220:221], v[220:221], v[222:223], v[220:221]
	v_fma_f64 v[222:223], -v[218:219], v[220:221], 1.0
	v_fma_f64 v[220:221], v[220:221], v[222:223], v[220:221]
	v_div_scale_f64 v[222:223], vcc_lo, 1.0, v[216:217], 1.0
	v_mul_f64 v[224:225], v[222:223], v[220:221]
	v_fma_f64 v[218:219], -v[218:219], v[224:225], v[222:223]
	v_div_fmas_f64 v[218:219], v[218:219], v[220:221], v[224:225]
	v_div_fixup_f64 v[234:235], v[218:219], v[216:217], 1.0
	v_mul_f64 v[236:237], v[214:215], -v[234:235]
.LBB114_303:
	s_or_b32 exec_lo, exec_lo, s1
.LBB114_304:
	s_or_b32 exec_lo, exec_lo, s0
	s_mov_b32 s0, exec_lo
	v_cmpx_ne_u32_e64 v248, v242
	s_xor_b32 s0, exec_lo, s0
	s_cbranch_execz .LBB114_310
; %bb.305:
	s_mov_b32 s1, exec_lo
	v_cmpx_eq_u32_e32 14, v248
	s_cbranch_execz .LBB114_309
; %bb.306:
	v_cmp_ne_u32_e32 vcc_lo, 14, v242
	s_xor_b32 s7, s16, -1
	s_and_b32 s9, s7, vcc_lo
	s_and_saveexec_b32 s7, s9
	s_cbranch_execz .LBB114_308
; %bb.307:
	s_clause 0x1
	buffer_load_dword v210, off, s[20:23], 0
	buffer_load_dword v211, off, s[20:23], 0 offset:4
	v_ashrrev_i32_e32 v243, 31, v242
	v_lshlrev_b64 v[214:215], 2, v[242:243]
	s_waitcnt vmcnt(1)
	v_add_co_u32 v214, vcc_lo, v210, v214
	s_waitcnt vmcnt(0)
	v_add_co_ci_u32_e64 v215, null, v211, v215, vcc_lo
	s_clause 0x1
	global_load_dword v0, v[214:215], off
	global_load_dword v216, v[210:211], off offset:56
	s_waitcnt vmcnt(1)
	global_store_dword v[210:211], v0, off offset:56
	s_waitcnt vmcnt(0)
	global_store_dword v[214:215], v216, off
.LBB114_308:
	s_or_b32 exec_lo, exec_lo, s7
	v_mov_b32_e32 v248, v242
	v_mov_b32_e32 v0, v242
.LBB114_309:
	s_or_b32 exec_lo, exec_lo, s1
.LBB114_310:
	s_andn2_saveexec_b32 s0, s0
	s_cbranch_execz .LBB114_312
; %bb.311:
	v_mov_b32_e32 v248, 14
	ds_write2_b64 v1, v[170:171], v[172:173] offset0:30 offset1:31
	ds_write2_b64 v1, v[166:167], v[168:169] offset0:32 offset1:33
	;; [unrolled: 1-line block ×43, first 2 shown]
.LBB114_312:
	s_or_b32 exec_lo, exec_lo, s0
	s_mov_b32 s0, exec_lo
	s_waitcnt lgkmcnt(0)
	s_waitcnt_vscnt null, 0x0
	s_barrier
	buffer_gl0_inv
	v_cmpx_lt_i32_e32 14, v248
	s_cbranch_execz .LBB114_314
; %bb.313:
	v_mul_f64 v[214:215], v[236:237], v[176:177]
	v_mul_f64 v[176:177], v[234:235], v[176:177]
	v_fma_f64 v[242:243], v[234:235], v[174:175], -v[214:215]
	v_fma_f64 v[176:177], v[236:237], v[174:175], v[176:177]
	ds_read2_b64 v[234:237], v1 offset0:30 offset1:31
	s_waitcnt lgkmcnt(0)
	v_mul_f64 v[174:175], v[236:237], v[176:177]
	v_mul_f64 v[214:215], v[234:235], v[176:177]
	v_fma_f64 v[174:175], v[234:235], v[242:243], -v[174:175]
	v_fma_f64 v[214:215], v[236:237], v[242:243], v[214:215]
	ds_read2_b64 v[234:237], v1 offset0:32 offset1:33
	v_add_f64 v[170:171], v[170:171], -v[174:175]
	v_add_f64 v[172:173], v[172:173], -v[214:215]
	s_waitcnt lgkmcnt(0)
	v_mul_f64 v[174:175], v[236:237], v[176:177]
	v_mul_f64 v[214:215], v[234:235], v[176:177]
	v_fma_f64 v[174:175], v[234:235], v[242:243], -v[174:175]
	v_fma_f64 v[214:215], v[236:237], v[242:243], v[214:215]
	ds_read2_b64 v[234:237], v1 offset0:34 offset1:35
	v_add_f64 v[166:167], v[166:167], -v[174:175]
	v_add_f64 v[168:169], v[168:169], -v[214:215]
	;; [unrolled: 8-line block ×42, first 2 shown]
	s_waitcnt lgkmcnt(0)
	v_mul_f64 v[174:175], v[236:237], v[176:177]
	v_mul_f64 v[214:215], v[234:235], v[176:177]
	v_fma_f64 v[174:175], v[234:235], v[242:243], -v[174:175]
	v_fma_f64 v[214:215], v[236:237], v[242:243], v[214:215]
	v_add_f64 v[226:227], v[226:227], -v[174:175]
	v_add_f64 v[228:229], v[228:229], -v[214:215]
	v_mov_b32_e32 v174, v242
	v_mov_b32_e32 v175, v243
.LBB114_314:
	s_or_b32 exec_lo, exec_lo, s0
	v_lshl_add_u32 v214, v248, 4, v1
	s_barrier
	buffer_gl0_inv
	v_mov_b32_e32 v242, 15
	ds_write2_b64 v214, v[170:171], v[172:173] offset1:1
	s_waitcnt lgkmcnt(0)
	s_barrier
	buffer_gl0_inv
	ds_read2_b64 v[234:237], v1 offset0:30 offset1:31
	s_cmp_lt_i32 s8, 17
	s_cbranch_scc1 .LBB114_317
; %bb.315:
	v_add3_u32 v243, v254, 0, 0x100
	v_mov_b32_e32 v242, 15
	s_mov_b32 s0, 16
	s_inst_prefetch 0x1
	.p2align	6
.LBB114_316:                            ; =>This Inner Loop Header: Depth=1
	s_waitcnt lgkmcnt(0)
	v_cmp_gt_f64_e32 vcc_lo, 0, v[234:235]
	v_xor_b32_e32 v214, 0x80000000, v235
	ds_read2_b64 v[249:252], v243 offset1:1
	v_xor_b32_e32 v216, 0x80000000, v237
	v_add_nc_u32_e32 v243, 16, v243
	s_waitcnt lgkmcnt(0)
	v_xor_b32_e32 v218, 0x80000000, v252
	v_cndmask_b32_e32 v215, v235, v214, vcc_lo
	v_cmp_gt_f64_e32 vcc_lo, 0, v[236:237]
	v_mov_b32_e32 v214, v234
	v_cndmask_b32_e32 v217, v237, v216, vcc_lo
	v_cmp_gt_f64_e32 vcc_lo, 0, v[249:250]
	v_mov_b32_e32 v216, v236
	v_add_f64 v[214:215], v[214:215], v[216:217]
	v_xor_b32_e32 v216, 0x80000000, v250
	v_cndmask_b32_e32 v217, v250, v216, vcc_lo
	v_cmp_gt_f64_e32 vcc_lo, 0, v[251:252]
	v_mov_b32_e32 v216, v249
	v_cndmask_b32_e32 v219, v252, v218, vcc_lo
	v_mov_b32_e32 v218, v251
	v_add_f64 v[216:217], v[216:217], v[218:219]
	v_cmp_lt_f64_e32 vcc_lo, v[214:215], v[216:217]
	v_cndmask_b32_e32 v235, v235, v250, vcc_lo
	v_cndmask_b32_e32 v234, v234, v249, vcc_lo
	;; [unrolled: 1-line block ×4, first 2 shown]
	v_cndmask_b32_e64 v242, v242, s0, vcc_lo
	s_add_i32 s0, s0, 1
	s_cmp_lg_u32 s8, s0
	s_cbranch_scc1 .LBB114_316
.LBB114_317:
	s_inst_prefetch 0x2
	s_waitcnt lgkmcnt(0)
	v_cmp_eq_f64_e32 vcc_lo, 0, v[234:235]
	v_cmp_eq_f64_e64 s0, 0, v[236:237]
	s_and_b32 s0, vcc_lo, s0
	s_and_saveexec_b32 s1, s0
	s_xor_b32 s0, exec_lo, s1
; %bb.318:
	v_cmp_ne_u32_e32 vcc_lo, 0, v247
	v_cndmask_b32_e32 v247, 16, v247, vcc_lo
; %bb.319:
	s_andn2_saveexec_b32 s0, s0
	s_cbranch_execz .LBB114_325
; %bb.320:
	v_cmp_ngt_f64_e64 s1, |v[234:235]|, |v[236:237]|
	s_and_saveexec_b32 s7, s1
	s_xor_b32 s1, exec_lo, s7
	s_cbranch_execz .LBB114_322
; %bb.321:
	v_div_scale_f64 v[214:215], null, v[236:237], v[236:237], v[234:235]
	v_div_scale_f64 v[220:221], vcc_lo, v[234:235], v[236:237], v[234:235]
	v_rcp_f64_e32 v[216:217], v[214:215]
	v_fma_f64 v[218:219], -v[214:215], v[216:217], 1.0
	v_fma_f64 v[216:217], v[216:217], v[218:219], v[216:217]
	v_fma_f64 v[218:219], -v[214:215], v[216:217], 1.0
	v_fma_f64 v[216:217], v[216:217], v[218:219], v[216:217]
	v_mul_f64 v[218:219], v[220:221], v[216:217]
	v_fma_f64 v[214:215], -v[214:215], v[218:219], v[220:221]
	v_div_fmas_f64 v[214:215], v[214:215], v[216:217], v[218:219]
	v_div_fixup_f64 v[214:215], v[214:215], v[236:237], v[234:235]
	v_fma_f64 v[216:217], v[234:235], v[214:215], v[236:237]
	v_div_scale_f64 v[218:219], null, v[216:217], v[216:217], 1.0
	v_rcp_f64_e32 v[220:221], v[218:219]
	v_fma_f64 v[222:223], -v[218:219], v[220:221], 1.0
	v_fma_f64 v[220:221], v[220:221], v[222:223], v[220:221]
	v_fma_f64 v[222:223], -v[218:219], v[220:221], 1.0
	v_fma_f64 v[220:221], v[220:221], v[222:223], v[220:221]
	v_div_scale_f64 v[222:223], vcc_lo, 1.0, v[216:217], 1.0
	v_mul_f64 v[224:225], v[222:223], v[220:221]
	v_fma_f64 v[218:219], -v[218:219], v[224:225], v[222:223]
	v_div_fmas_f64 v[218:219], v[218:219], v[220:221], v[224:225]
	v_div_fixup_f64 v[236:237], v[218:219], v[216:217], 1.0
	v_mul_f64 v[234:235], v[214:215], v[236:237]
	v_xor_b32_e32 v237, 0x80000000, v237
.LBB114_322:
	s_andn2_saveexec_b32 s1, s1
	s_cbranch_execz .LBB114_324
; %bb.323:
	v_div_scale_f64 v[214:215], null, v[234:235], v[234:235], v[236:237]
	v_div_scale_f64 v[220:221], vcc_lo, v[236:237], v[234:235], v[236:237]
	v_rcp_f64_e32 v[216:217], v[214:215]
	v_fma_f64 v[218:219], -v[214:215], v[216:217], 1.0
	v_fma_f64 v[216:217], v[216:217], v[218:219], v[216:217]
	v_fma_f64 v[218:219], -v[214:215], v[216:217], 1.0
	v_fma_f64 v[216:217], v[216:217], v[218:219], v[216:217]
	v_mul_f64 v[218:219], v[220:221], v[216:217]
	v_fma_f64 v[214:215], -v[214:215], v[218:219], v[220:221]
	v_div_fmas_f64 v[214:215], v[214:215], v[216:217], v[218:219]
	v_div_fixup_f64 v[214:215], v[214:215], v[234:235], v[236:237]
	v_fma_f64 v[216:217], v[236:237], v[214:215], v[234:235]
	v_div_scale_f64 v[218:219], null, v[216:217], v[216:217], 1.0
	v_rcp_f64_e32 v[220:221], v[218:219]
	v_fma_f64 v[222:223], -v[218:219], v[220:221], 1.0
	v_fma_f64 v[220:221], v[220:221], v[222:223], v[220:221]
	v_fma_f64 v[222:223], -v[218:219], v[220:221], 1.0
	v_fma_f64 v[220:221], v[220:221], v[222:223], v[220:221]
	v_div_scale_f64 v[222:223], vcc_lo, 1.0, v[216:217], 1.0
	v_mul_f64 v[224:225], v[222:223], v[220:221]
	v_fma_f64 v[218:219], -v[218:219], v[224:225], v[222:223]
	v_div_fmas_f64 v[218:219], v[218:219], v[220:221], v[224:225]
	v_div_fixup_f64 v[234:235], v[218:219], v[216:217], 1.0
	v_mul_f64 v[236:237], v[214:215], -v[234:235]
.LBB114_324:
	s_or_b32 exec_lo, exec_lo, s1
.LBB114_325:
	s_or_b32 exec_lo, exec_lo, s0
	s_mov_b32 s0, exec_lo
	v_cmpx_ne_u32_e64 v248, v242
	s_xor_b32 s0, exec_lo, s0
	s_cbranch_execz .LBB114_331
; %bb.326:
	s_mov_b32 s1, exec_lo
	v_cmpx_eq_u32_e32 15, v248
	s_cbranch_execz .LBB114_330
; %bb.327:
	v_cmp_ne_u32_e32 vcc_lo, 15, v242
	s_xor_b32 s7, s16, -1
	s_and_b32 s9, s7, vcc_lo
	s_and_saveexec_b32 s7, s9
	s_cbranch_execz .LBB114_329
; %bb.328:
	s_clause 0x1
	buffer_load_dword v210, off, s[20:23], 0
	buffer_load_dword v211, off, s[20:23], 0 offset:4
	v_ashrrev_i32_e32 v243, 31, v242
	v_lshlrev_b64 v[214:215], 2, v[242:243]
	s_waitcnt vmcnt(1)
	v_add_co_u32 v214, vcc_lo, v210, v214
	s_waitcnt vmcnt(0)
	v_add_co_ci_u32_e64 v215, null, v211, v215, vcc_lo
	s_clause 0x1
	global_load_dword v0, v[214:215], off
	global_load_dword v216, v[210:211], off offset:60
	s_waitcnt vmcnt(1)
	global_store_dword v[210:211], v0, off offset:60
	s_waitcnt vmcnt(0)
	global_store_dword v[214:215], v216, off
.LBB114_329:
	s_or_b32 exec_lo, exec_lo, s7
	v_mov_b32_e32 v248, v242
	v_mov_b32_e32 v0, v242
.LBB114_330:
	s_or_b32 exec_lo, exec_lo, s1
.LBB114_331:
	s_andn2_saveexec_b32 s0, s0
	s_cbranch_execz .LBB114_333
; %bb.332:
	v_mov_b32_e32 v248, 15
	ds_write2_b64 v1, v[166:167], v[168:169] offset0:32 offset1:33
	ds_write2_b64 v1, v[162:163], v[164:165] offset0:34 offset1:35
	;; [unrolled: 1-line block ×42, first 2 shown]
.LBB114_333:
	s_or_b32 exec_lo, exec_lo, s0
	s_mov_b32 s0, exec_lo
	s_waitcnt lgkmcnt(0)
	s_waitcnt_vscnt null, 0x0
	s_barrier
	buffer_gl0_inv
	v_cmpx_lt_i32_e32 15, v248
	s_cbranch_execz .LBB114_335
; %bb.334:
	v_mul_f64 v[214:215], v[236:237], v[172:173]
	v_mul_f64 v[172:173], v[234:235], v[172:173]
	v_fma_f64 v[242:243], v[234:235], v[170:171], -v[214:215]
	v_fma_f64 v[172:173], v[236:237], v[170:171], v[172:173]
	ds_read2_b64 v[234:237], v1 offset0:32 offset1:33
	s_waitcnt lgkmcnt(0)
	v_mul_f64 v[170:171], v[236:237], v[172:173]
	v_mul_f64 v[214:215], v[234:235], v[172:173]
	v_fma_f64 v[170:171], v[234:235], v[242:243], -v[170:171]
	v_fma_f64 v[214:215], v[236:237], v[242:243], v[214:215]
	ds_read2_b64 v[234:237], v1 offset0:34 offset1:35
	v_add_f64 v[166:167], v[166:167], -v[170:171]
	v_add_f64 v[168:169], v[168:169], -v[214:215]
	s_waitcnt lgkmcnt(0)
	v_mul_f64 v[170:171], v[236:237], v[172:173]
	v_mul_f64 v[214:215], v[234:235], v[172:173]
	v_fma_f64 v[170:171], v[234:235], v[242:243], -v[170:171]
	v_fma_f64 v[214:215], v[236:237], v[242:243], v[214:215]
	ds_read2_b64 v[234:237], v1 offset0:36 offset1:37
	v_add_f64 v[162:163], v[162:163], -v[170:171]
	v_add_f64 v[164:165], v[164:165], -v[214:215]
	;; [unrolled: 8-line block ×41, first 2 shown]
	s_waitcnt lgkmcnt(0)
	v_mul_f64 v[170:171], v[236:237], v[172:173]
	v_mul_f64 v[214:215], v[234:235], v[172:173]
	v_fma_f64 v[170:171], v[234:235], v[242:243], -v[170:171]
	v_fma_f64 v[214:215], v[236:237], v[242:243], v[214:215]
	v_add_f64 v[226:227], v[226:227], -v[170:171]
	v_add_f64 v[228:229], v[228:229], -v[214:215]
	v_mov_b32_e32 v170, v242
	v_mov_b32_e32 v171, v243
.LBB114_335:
	s_or_b32 exec_lo, exec_lo, s0
	v_lshl_add_u32 v214, v248, 4, v1
	s_barrier
	buffer_gl0_inv
	v_mov_b32_e32 v242, 16
	ds_write2_b64 v214, v[166:167], v[168:169] offset1:1
	s_waitcnt lgkmcnt(0)
	s_barrier
	buffer_gl0_inv
	ds_read2_b64 v[234:237], v1 offset0:32 offset1:33
	s_cmp_lt_i32 s8, 18
	s_cbranch_scc1 .LBB114_338
; %bb.336:
	v_add3_u32 v243, v254, 0, 0x110
	v_mov_b32_e32 v242, 16
	s_mov_b32 s0, 17
	s_inst_prefetch 0x1
	.p2align	6
.LBB114_337:                            ; =>This Inner Loop Header: Depth=1
	s_waitcnt lgkmcnt(0)
	v_cmp_gt_f64_e32 vcc_lo, 0, v[234:235]
	v_xor_b32_e32 v214, 0x80000000, v235
	ds_read2_b64 v[249:252], v243 offset1:1
	v_xor_b32_e32 v216, 0x80000000, v237
	v_add_nc_u32_e32 v243, 16, v243
	s_waitcnt lgkmcnt(0)
	v_xor_b32_e32 v218, 0x80000000, v252
	v_cndmask_b32_e32 v215, v235, v214, vcc_lo
	v_cmp_gt_f64_e32 vcc_lo, 0, v[236:237]
	v_mov_b32_e32 v214, v234
	v_cndmask_b32_e32 v217, v237, v216, vcc_lo
	v_cmp_gt_f64_e32 vcc_lo, 0, v[249:250]
	v_mov_b32_e32 v216, v236
	v_add_f64 v[214:215], v[214:215], v[216:217]
	v_xor_b32_e32 v216, 0x80000000, v250
	v_cndmask_b32_e32 v217, v250, v216, vcc_lo
	v_cmp_gt_f64_e32 vcc_lo, 0, v[251:252]
	v_mov_b32_e32 v216, v249
	v_cndmask_b32_e32 v219, v252, v218, vcc_lo
	v_mov_b32_e32 v218, v251
	v_add_f64 v[216:217], v[216:217], v[218:219]
	v_cmp_lt_f64_e32 vcc_lo, v[214:215], v[216:217]
	v_cndmask_b32_e32 v235, v235, v250, vcc_lo
	v_cndmask_b32_e32 v234, v234, v249, vcc_lo
	;; [unrolled: 1-line block ×4, first 2 shown]
	v_cndmask_b32_e64 v242, v242, s0, vcc_lo
	s_add_i32 s0, s0, 1
	s_cmp_lg_u32 s8, s0
	s_cbranch_scc1 .LBB114_337
.LBB114_338:
	s_inst_prefetch 0x2
	s_waitcnt lgkmcnt(0)
	v_cmp_eq_f64_e32 vcc_lo, 0, v[234:235]
	v_cmp_eq_f64_e64 s0, 0, v[236:237]
	s_and_b32 s0, vcc_lo, s0
	s_and_saveexec_b32 s1, s0
	s_xor_b32 s0, exec_lo, s1
; %bb.339:
	v_cmp_ne_u32_e32 vcc_lo, 0, v247
	v_cndmask_b32_e32 v247, 17, v247, vcc_lo
; %bb.340:
	s_andn2_saveexec_b32 s0, s0
	s_cbranch_execz .LBB114_346
; %bb.341:
	v_cmp_ngt_f64_e64 s1, |v[234:235]|, |v[236:237]|
	s_and_saveexec_b32 s7, s1
	s_xor_b32 s1, exec_lo, s7
	s_cbranch_execz .LBB114_343
; %bb.342:
	v_div_scale_f64 v[214:215], null, v[236:237], v[236:237], v[234:235]
	v_div_scale_f64 v[220:221], vcc_lo, v[234:235], v[236:237], v[234:235]
	v_rcp_f64_e32 v[216:217], v[214:215]
	v_fma_f64 v[218:219], -v[214:215], v[216:217], 1.0
	v_fma_f64 v[216:217], v[216:217], v[218:219], v[216:217]
	v_fma_f64 v[218:219], -v[214:215], v[216:217], 1.0
	v_fma_f64 v[216:217], v[216:217], v[218:219], v[216:217]
	v_mul_f64 v[218:219], v[220:221], v[216:217]
	v_fma_f64 v[214:215], -v[214:215], v[218:219], v[220:221]
	v_div_fmas_f64 v[214:215], v[214:215], v[216:217], v[218:219]
	v_div_fixup_f64 v[214:215], v[214:215], v[236:237], v[234:235]
	v_fma_f64 v[216:217], v[234:235], v[214:215], v[236:237]
	v_div_scale_f64 v[218:219], null, v[216:217], v[216:217], 1.0
	v_rcp_f64_e32 v[220:221], v[218:219]
	v_fma_f64 v[222:223], -v[218:219], v[220:221], 1.0
	v_fma_f64 v[220:221], v[220:221], v[222:223], v[220:221]
	v_fma_f64 v[222:223], -v[218:219], v[220:221], 1.0
	v_fma_f64 v[220:221], v[220:221], v[222:223], v[220:221]
	v_div_scale_f64 v[222:223], vcc_lo, 1.0, v[216:217], 1.0
	v_mul_f64 v[224:225], v[222:223], v[220:221]
	v_fma_f64 v[218:219], -v[218:219], v[224:225], v[222:223]
	v_div_fmas_f64 v[218:219], v[218:219], v[220:221], v[224:225]
	v_div_fixup_f64 v[236:237], v[218:219], v[216:217], 1.0
	v_mul_f64 v[234:235], v[214:215], v[236:237]
	v_xor_b32_e32 v237, 0x80000000, v237
.LBB114_343:
	s_andn2_saveexec_b32 s1, s1
	s_cbranch_execz .LBB114_345
; %bb.344:
	v_div_scale_f64 v[214:215], null, v[234:235], v[234:235], v[236:237]
	v_div_scale_f64 v[220:221], vcc_lo, v[236:237], v[234:235], v[236:237]
	v_rcp_f64_e32 v[216:217], v[214:215]
	v_fma_f64 v[218:219], -v[214:215], v[216:217], 1.0
	v_fma_f64 v[216:217], v[216:217], v[218:219], v[216:217]
	v_fma_f64 v[218:219], -v[214:215], v[216:217], 1.0
	v_fma_f64 v[216:217], v[216:217], v[218:219], v[216:217]
	v_mul_f64 v[218:219], v[220:221], v[216:217]
	v_fma_f64 v[214:215], -v[214:215], v[218:219], v[220:221]
	v_div_fmas_f64 v[214:215], v[214:215], v[216:217], v[218:219]
	v_div_fixup_f64 v[214:215], v[214:215], v[234:235], v[236:237]
	v_fma_f64 v[216:217], v[236:237], v[214:215], v[234:235]
	v_div_scale_f64 v[218:219], null, v[216:217], v[216:217], 1.0
	v_rcp_f64_e32 v[220:221], v[218:219]
	v_fma_f64 v[222:223], -v[218:219], v[220:221], 1.0
	v_fma_f64 v[220:221], v[220:221], v[222:223], v[220:221]
	v_fma_f64 v[222:223], -v[218:219], v[220:221], 1.0
	v_fma_f64 v[220:221], v[220:221], v[222:223], v[220:221]
	v_div_scale_f64 v[222:223], vcc_lo, 1.0, v[216:217], 1.0
	v_mul_f64 v[224:225], v[222:223], v[220:221]
	v_fma_f64 v[218:219], -v[218:219], v[224:225], v[222:223]
	v_div_fmas_f64 v[218:219], v[218:219], v[220:221], v[224:225]
	v_div_fixup_f64 v[234:235], v[218:219], v[216:217], 1.0
	v_mul_f64 v[236:237], v[214:215], -v[234:235]
.LBB114_345:
	s_or_b32 exec_lo, exec_lo, s1
.LBB114_346:
	s_or_b32 exec_lo, exec_lo, s0
	s_mov_b32 s0, exec_lo
	v_cmpx_ne_u32_e64 v248, v242
	s_xor_b32 s0, exec_lo, s0
	s_cbranch_execz .LBB114_352
; %bb.347:
	s_mov_b32 s1, exec_lo
	v_cmpx_eq_u32_e32 16, v248
	s_cbranch_execz .LBB114_351
; %bb.348:
	v_cmp_ne_u32_e32 vcc_lo, 16, v242
	s_xor_b32 s7, s16, -1
	s_and_b32 s9, s7, vcc_lo
	s_and_saveexec_b32 s7, s9
	s_cbranch_execz .LBB114_350
; %bb.349:
	s_clause 0x1
	buffer_load_dword v210, off, s[20:23], 0
	buffer_load_dword v211, off, s[20:23], 0 offset:4
	v_ashrrev_i32_e32 v243, 31, v242
	v_lshlrev_b64 v[214:215], 2, v[242:243]
	s_waitcnt vmcnt(1)
	v_add_co_u32 v214, vcc_lo, v210, v214
	s_waitcnt vmcnt(0)
	v_add_co_ci_u32_e64 v215, null, v211, v215, vcc_lo
	s_clause 0x1
	global_load_dword v0, v[214:215], off
	global_load_dword v216, v[210:211], off offset:64
	s_waitcnt vmcnt(1)
	global_store_dword v[210:211], v0, off offset:64
	s_waitcnt vmcnt(0)
	global_store_dword v[214:215], v216, off
.LBB114_350:
	s_or_b32 exec_lo, exec_lo, s7
	v_mov_b32_e32 v248, v242
	v_mov_b32_e32 v0, v242
.LBB114_351:
	s_or_b32 exec_lo, exec_lo, s1
.LBB114_352:
	s_andn2_saveexec_b32 s0, s0
	s_cbranch_execz .LBB114_354
; %bb.353:
	v_mov_b32_e32 v248, 16
	ds_write2_b64 v1, v[162:163], v[164:165] offset0:34 offset1:35
	ds_write2_b64 v1, v[158:159], v[160:161] offset0:36 offset1:37
	;; [unrolled: 1-line block ×41, first 2 shown]
.LBB114_354:
	s_or_b32 exec_lo, exec_lo, s0
	s_mov_b32 s0, exec_lo
	s_waitcnt lgkmcnt(0)
	s_waitcnt_vscnt null, 0x0
	s_barrier
	buffer_gl0_inv
	v_cmpx_lt_i32_e32 16, v248
	s_cbranch_execz .LBB114_356
; %bb.355:
	v_mul_f64 v[214:215], v[236:237], v[168:169]
	v_mul_f64 v[168:169], v[234:235], v[168:169]
	v_fma_f64 v[242:243], v[234:235], v[166:167], -v[214:215]
	v_fma_f64 v[168:169], v[236:237], v[166:167], v[168:169]
	ds_read2_b64 v[234:237], v1 offset0:34 offset1:35
	s_waitcnt lgkmcnt(0)
	v_mul_f64 v[166:167], v[236:237], v[168:169]
	v_mul_f64 v[214:215], v[234:235], v[168:169]
	v_fma_f64 v[166:167], v[234:235], v[242:243], -v[166:167]
	v_fma_f64 v[214:215], v[236:237], v[242:243], v[214:215]
	ds_read2_b64 v[234:237], v1 offset0:36 offset1:37
	v_add_f64 v[162:163], v[162:163], -v[166:167]
	v_add_f64 v[164:165], v[164:165], -v[214:215]
	s_waitcnt lgkmcnt(0)
	v_mul_f64 v[166:167], v[236:237], v[168:169]
	v_mul_f64 v[214:215], v[234:235], v[168:169]
	v_fma_f64 v[166:167], v[234:235], v[242:243], -v[166:167]
	v_fma_f64 v[214:215], v[236:237], v[242:243], v[214:215]
	ds_read2_b64 v[234:237], v1 offset0:38 offset1:39
	v_add_f64 v[158:159], v[158:159], -v[166:167]
	v_add_f64 v[160:161], v[160:161], -v[214:215]
	;; [unrolled: 8-line block ×40, first 2 shown]
	s_waitcnt lgkmcnt(0)
	v_mul_f64 v[166:167], v[236:237], v[168:169]
	v_mul_f64 v[214:215], v[234:235], v[168:169]
	v_fma_f64 v[166:167], v[234:235], v[242:243], -v[166:167]
	v_fma_f64 v[214:215], v[236:237], v[242:243], v[214:215]
	v_add_f64 v[226:227], v[226:227], -v[166:167]
	v_add_f64 v[228:229], v[228:229], -v[214:215]
	v_mov_b32_e32 v166, v242
	v_mov_b32_e32 v167, v243
.LBB114_356:
	s_or_b32 exec_lo, exec_lo, s0
	v_lshl_add_u32 v214, v248, 4, v1
	s_barrier
	buffer_gl0_inv
	v_mov_b32_e32 v242, 17
	ds_write2_b64 v214, v[162:163], v[164:165] offset1:1
	s_waitcnt lgkmcnt(0)
	s_barrier
	buffer_gl0_inv
	ds_read2_b64 v[234:237], v1 offset0:34 offset1:35
	s_cmp_lt_i32 s8, 19
	s_cbranch_scc1 .LBB114_359
; %bb.357:
	v_add3_u32 v243, v254, 0, 0x120
	v_mov_b32_e32 v242, 17
	s_mov_b32 s0, 18
	s_inst_prefetch 0x1
	.p2align	6
.LBB114_358:                            ; =>This Inner Loop Header: Depth=1
	s_waitcnt lgkmcnt(0)
	v_cmp_gt_f64_e32 vcc_lo, 0, v[234:235]
	v_xor_b32_e32 v214, 0x80000000, v235
	ds_read2_b64 v[249:252], v243 offset1:1
	v_xor_b32_e32 v216, 0x80000000, v237
	v_add_nc_u32_e32 v243, 16, v243
	s_waitcnt lgkmcnt(0)
	v_xor_b32_e32 v218, 0x80000000, v252
	v_cndmask_b32_e32 v215, v235, v214, vcc_lo
	v_cmp_gt_f64_e32 vcc_lo, 0, v[236:237]
	v_mov_b32_e32 v214, v234
	v_cndmask_b32_e32 v217, v237, v216, vcc_lo
	v_cmp_gt_f64_e32 vcc_lo, 0, v[249:250]
	v_mov_b32_e32 v216, v236
	v_add_f64 v[214:215], v[214:215], v[216:217]
	v_xor_b32_e32 v216, 0x80000000, v250
	v_cndmask_b32_e32 v217, v250, v216, vcc_lo
	v_cmp_gt_f64_e32 vcc_lo, 0, v[251:252]
	v_mov_b32_e32 v216, v249
	v_cndmask_b32_e32 v219, v252, v218, vcc_lo
	v_mov_b32_e32 v218, v251
	v_add_f64 v[216:217], v[216:217], v[218:219]
	v_cmp_lt_f64_e32 vcc_lo, v[214:215], v[216:217]
	v_cndmask_b32_e32 v235, v235, v250, vcc_lo
	v_cndmask_b32_e32 v234, v234, v249, vcc_lo
	;; [unrolled: 1-line block ×4, first 2 shown]
	v_cndmask_b32_e64 v242, v242, s0, vcc_lo
	s_add_i32 s0, s0, 1
	s_cmp_lg_u32 s8, s0
	s_cbranch_scc1 .LBB114_358
.LBB114_359:
	s_inst_prefetch 0x2
	s_waitcnt lgkmcnt(0)
	v_cmp_eq_f64_e32 vcc_lo, 0, v[234:235]
	v_cmp_eq_f64_e64 s0, 0, v[236:237]
	s_and_b32 s0, vcc_lo, s0
	s_and_saveexec_b32 s1, s0
	s_xor_b32 s0, exec_lo, s1
; %bb.360:
	v_cmp_ne_u32_e32 vcc_lo, 0, v247
	v_cndmask_b32_e32 v247, 18, v247, vcc_lo
; %bb.361:
	s_andn2_saveexec_b32 s0, s0
	s_cbranch_execz .LBB114_367
; %bb.362:
	v_cmp_ngt_f64_e64 s1, |v[234:235]|, |v[236:237]|
	s_and_saveexec_b32 s7, s1
	s_xor_b32 s1, exec_lo, s7
	s_cbranch_execz .LBB114_364
; %bb.363:
	v_div_scale_f64 v[214:215], null, v[236:237], v[236:237], v[234:235]
	v_div_scale_f64 v[220:221], vcc_lo, v[234:235], v[236:237], v[234:235]
	v_rcp_f64_e32 v[216:217], v[214:215]
	v_fma_f64 v[218:219], -v[214:215], v[216:217], 1.0
	v_fma_f64 v[216:217], v[216:217], v[218:219], v[216:217]
	v_fma_f64 v[218:219], -v[214:215], v[216:217], 1.0
	v_fma_f64 v[216:217], v[216:217], v[218:219], v[216:217]
	v_mul_f64 v[218:219], v[220:221], v[216:217]
	v_fma_f64 v[214:215], -v[214:215], v[218:219], v[220:221]
	v_div_fmas_f64 v[214:215], v[214:215], v[216:217], v[218:219]
	v_div_fixup_f64 v[214:215], v[214:215], v[236:237], v[234:235]
	v_fma_f64 v[216:217], v[234:235], v[214:215], v[236:237]
	v_div_scale_f64 v[218:219], null, v[216:217], v[216:217], 1.0
	v_rcp_f64_e32 v[220:221], v[218:219]
	v_fma_f64 v[222:223], -v[218:219], v[220:221], 1.0
	v_fma_f64 v[220:221], v[220:221], v[222:223], v[220:221]
	v_fma_f64 v[222:223], -v[218:219], v[220:221], 1.0
	v_fma_f64 v[220:221], v[220:221], v[222:223], v[220:221]
	v_div_scale_f64 v[222:223], vcc_lo, 1.0, v[216:217], 1.0
	v_mul_f64 v[224:225], v[222:223], v[220:221]
	v_fma_f64 v[218:219], -v[218:219], v[224:225], v[222:223]
	v_div_fmas_f64 v[218:219], v[218:219], v[220:221], v[224:225]
	v_div_fixup_f64 v[236:237], v[218:219], v[216:217], 1.0
	v_mul_f64 v[234:235], v[214:215], v[236:237]
	v_xor_b32_e32 v237, 0x80000000, v237
.LBB114_364:
	s_andn2_saveexec_b32 s1, s1
	s_cbranch_execz .LBB114_366
; %bb.365:
	v_div_scale_f64 v[214:215], null, v[234:235], v[234:235], v[236:237]
	v_div_scale_f64 v[220:221], vcc_lo, v[236:237], v[234:235], v[236:237]
	v_rcp_f64_e32 v[216:217], v[214:215]
	v_fma_f64 v[218:219], -v[214:215], v[216:217], 1.0
	v_fma_f64 v[216:217], v[216:217], v[218:219], v[216:217]
	v_fma_f64 v[218:219], -v[214:215], v[216:217], 1.0
	v_fma_f64 v[216:217], v[216:217], v[218:219], v[216:217]
	v_mul_f64 v[218:219], v[220:221], v[216:217]
	v_fma_f64 v[214:215], -v[214:215], v[218:219], v[220:221]
	v_div_fmas_f64 v[214:215], v[214:215], v[216:217], v[218:219]
	v_div_fixup_f64 v[214:215], v[214:215], v[234:235], v[236:237]
	v_fma_f64 v[216:217], v[236:237], v[214:215], v[234:235]
	v_div_scale_f64 v[218:219], null, v[216:217], v[216:217], 1.0
	v_rcp_f64_e32 v[220:221], v[218:219]
	v_fma_f64 v[222:223], -v[218:219], v[220:221], 1.0
	v_fma_f64 v[220:221], v[220:221], v[222:223], v[220:221]
	v_fma_f64 v[222:223], -v[218:219], v[220:221], 1.0
	v_fma_f64 v[220:221], v[220:221], v[222:223], v[220:221]
	v_div_scale_f64 v[222:223], vcc_lo, 1.0, v[216:217], 1.0
	v_mul_f64 v[224:225], v[222:223], v[220:221]
	v_fma_f64 v[218:219], -v[218:219], v[224:225], v[222:223]
	v_div_fmas_f64 v[218:219], v[218:219], v[220:221], v[224:225]
	v_div_fixup_f64 v[234:235], v[218:219], v[216:217], 1.0
	v_mul_f64 v[236:237], v[214:215], -v[234:235]
.LBB114_366:
	s_or_b32 exec_lo, exec_lo, s1
.LBB114_367:
	s_or_b32 exec_lo, exec_lo, s0
	s_mov_b32 s0, exec_lo
	v_cmpx_ne_u32_e64 v248, v242
	s_xor_b32 s0, exec_lo, s0
	s_cbranch_execz .LBB114_373
; %bb.368:
	s_mov_b32 s1, exec_lo
	v_cmpx_eq_u32_e32 17, v248
	s_cbranch_execz .LBB114_372
; %bb.369:
	v_cmp_ne_u32_e32 vcc_lo, 17, v242
	s_xor_b32 s7, s16, -1
	s_and_b32 s9, s7, vcc_lo
	s_and_saveexec_b32 s7, s9
	s_cbranch_execz .LBB114_371
; %bb.370:
	s_clause 0x1
	buffer_load_dword v210, off, s[20:23], 0
	buffer_load_dword v211, off, s[20:23], 0 offset:4
	v_ashrrev_i32_e32 v243, 31, v242
	v_lshlrev_b64 v[214:215], 2, v[242:243]
	s_waitcnt vmcnt(1)
	v_add_co_u32 v214, vcc_lo, v210, v214
	s_waitcnt vmcnt(0)
	v_add_co_ci_u32_e64 v215, null, v211, v215, vcc_lo
	s_clause 0x1
	global_load_dword v0, v[214:215], off
	global_load_dword v216, v[210:211], off offset:68
	s_waitcnt vmcnt(1)
	global_store_dword v[210:211], v0, off offset:68
	s_waitcnt vmcnt(0)
	global_store_dword v[214:215], v216, off
.LBB114_371:
	s_or_b32 exec_lo, exec_lo, s7
	v_mov_b32_e32 v248, v242
	v_mov_b32_e32 v0, v242
.LBB114_372:
	s_or_b32 exec_lo, exec_lo, s1
.LBB114_373:
	s_andn2_saveexec_b32 s0, s0
	s_cbranch_execz .LBB114_375
; %bb.374:
	v_mov_b32_e32 v248, 17
	ds_write2_b64 v1, v[158:159], v[160:161] offset0:36 offset1:37
	ds_write2_b64 v1, v[154:155], v[156:157] offset0:38 offset1:39
	;; [unrolled: 1-line block ×40, first 2 shown]
.LBB114_375:
	s_or_b32 exec_lo, exec_lo, s0
	s_mov_b32 s0, exec_lo
	s_waitcnt lgkmcnt(0)
	s_waitcnt_vscnt null, 0x0
	s_barrier
	buffer_gl0_inv
	v_cmpx_lt_i32_e32 17, v248
	s_cbranch_execz .LBB114_377
; %bb.376:
	v_mul_f64 v[214:215], v[236:237], v[164:165]
	v_mul_f64 v[164:165], v[234:235], v[164:165]
	v_fma_f64 v[242:243], v[234:235], v[162:163], -v[214:215]
	v_fma_f64 v[164:165], v[236:237], v[162:163], v[164:165]
	ds_read2_b64 v[234:237], v1 offset0:36 offset1:37
	s_waitcnt lgkmcnt(0)
	v_mul_f64 v[162:163], v[236:237], v[164:165]
	v_mul_f64 v[214:215], v[234:235], v[164:165]
	v_fma_f64 v[162:163], v[234:235], v[242:243], -v[162:163]
	v_fma_f64 v[214:215], v[236:237], v[242:243], v[214:215]
	ds_read2_b64 v[234:237], v1 offset0:38 offset1:39
	v_add_f64 v[158:159], v[158:159], -v[162:163]
	v_add_f64 v[160:161], v[160:161], -v[214:215]
	s_waitcnt lgkmcnt(0)
	v_mul_f64 v[162:163], v[236:237], v[164:165]
	v_mul_f64 v[214:215], v[234:235], v[164:165]
	v_fma_f64 v[162:163], v[234:235], v[242:243], -v[162:163]
	v_fma_f64 v[214:215], v[236:237], v[242:243], v[214:215]
	ds_read2_b64 v[234:237], v1 offset0:40 offset1:41
	v_add_f64 v[154:155], v[154:155], -v[162:163]
	v_add_f64 v[156:157], v[156:157], -v[214:215]
	;; [unrolled: 8-line block ×39, first 2 shown]
	s_waitcnt lgkmcnt(0)
	v_mul_f64 v[162:163], v[236:237], v[164:165]
	v_mul_f64 v[214:215], v[234:235], v[164:165]
	v_fma_f64 v[162:163], v[234:235], v[242:243], -v[162:163]
	v_fma_f64 v[214:215], v[236:237], v[242:243], v[214:215]
	v_add_f64 v[226:227], v[226:227], -v[162:163]
	v_add_f64 v[228:229], v[228:229], -v[214:215]
	v_mov_b32_e32 v162, v242
	v_mov_b32_e32 v163, v243
.LBB114_377:
	s_or_b32 exec_lo, exec_lo, s0
	v_lshl_add_u32 v214, v248, 4, v1
	s_barrier
	buffer_gl0_inv
	v_mov_b32_e32 v242, 18
	ds_write2_b64 v214, v[158:159], v[160:161] offset1:1
	s_waitcnt lgkmcnt(0)
	s_barrier
	buffer_gl0_inv
	ds_read2_b64 v[234:237], v1 offset0:36 offset1:37
	s_cmp_lt_i32 s8, 20
	s_cbranch_scc1 .LBB114_380
; %bb.378:
	v_add3_u32 v243, v254, 0, 0x130
	v_mov_b32_e32 v242, 18
	s_mov_b32 s0, 19
	s_inst_prefetch 0x1
	.p2align	6
.LBB114_379:                            ; =>This Inner Loop Header: Depth=1
	s_waitcnt lgkmcnt(0)
	v_cmp_gt_f64_e32 vcc_lo, 0, v[234:235]
	v_xor_b32_e32 v214, 0x80000000, v235
	ds_read2_b64 v[249:252], v243 offset1:1
	v_xor_b32_e32 v216, 0x80000000, v237
	v_add_nc_u32_e32 v243, 16, v243
	s_waitcnt lgkmcnt(0)
	v_xor_b32_e32 v218, 0x80000000, v252
	v_cndmask_b32_e32 v215, v235, v214, vcc_lo
	v_cmp_gt_f64_e32 vcc_lo, 0, v[236:237]
	v_mov_b32_e32 v214, v234
	v_cndmask_b32_e32 v217, v237, v216, vcc_lo
	v_cmp_gt_f64_e32 vcc_lo, 0, v[249:250]
	v_mov_b32_e32 v216, v236
	v_add_f64 v[214:215], v[214:215], v[216:217]
	v_xor_b32_e32 v216, 0x80000000, v250
	v_cndmask_b32_e32 v217, v250, v216, vcc_lo
	v_cmp_gt_f64_e32 vcc_lo, 0, v[251:252]
	v_mov_b32_e32 v216, v249
	v_cndmask_b32_e32 v219, v252, v218, vcc_lo
	v_mov_b32_e32 v218, v251
	v_add_f64 v[216:217], v[216:217], v[218:219]
	v_cmp_lt_f64_e32 vcc_lo, v[214:215], v[216:217]
	v_cndmask_b32_e32 v235, v235, v250, vcc_lo
	v_cndmask_b32_e32 v234, v234, v249, vcc_lo
	;; [unrolled: 1-line block ×4, first 2 shown]
	v_cndmask_b32_e64 v242, v242, s0, vcc_lo
	s_add_i32 s0, s0, 1
	s_cmp_lg_u32 s8, s0
	s_cbranch_scc1 .LBB114_379
.LBB114_380:
	s_inst_prefetch 0x2
	s_waitcnt lgkmcnt(0)
	v_cmp_eq_f64_e32 vcc_lo, 0, v[234:235]
	v_cmp_eq_f64_e64 s0, 0, v[236:237]
	s_and_b32 s0, vcc_lo, s0
	s_and_saveexec_b32 s1, s0
	s_xor_b32 s0, exec_lo, s1
; %bb.381:
	v_cmp_ne_u32_e32 vcc_lo, 0, v247
	v_cndmask_b32_e32 v247, 19, v247, vcc_lo
; %bb.382:
	s_andn2_saveexec_b32 s0, s0
	s_cbranch_execz .LBB114_388
; %bb.383:
	v_cmp_ngt_f64_e64 s1, |v[234:235]|, |v[236:237]|
	s_and_saveexec_b32 s7, s1
	s_xor_b32 s1, exec_lo, s7
	s_cbranch_execz .LBB114_385
; %bb.384:
	v_div_scale_f64 v[214:215], null, v[236:237], v[236:237], v[234:235]
	v_div_scale_f64 v[220:221], vcc_lo, v[234:235], v[236:237], v[234:235]
	v_rcp_f64_e32 v[216:217], v[214:215]
	v_fma_f64 v[218:219], -v[214:215], v[216:217], 1.0
	v_fma_f64 v[216:217], v[216:217], v[218:219], v[216:217]
	v_fma_f64 v[218:219], -v[214:215], v[216:217], 1.0
	v_fma_f64 v[216:217], v[216:217], v[218:219], v[216:217]
	v_mul_f64 v[218:219], v[220:221], v[216:217]
	v_fma_f64 v[214:215], -v[214:215], v[218:219], v[220:221]
	v_div_fmas_f64 v[214:215], v[214:215], v[216:217], v[218:219]
	v_div_fixup_f64 v[214:215], v[214:215], v[236:237], v[234:235]
	v_fma_f64 v[216:217], v[234:235], v[214:215], v[236:237]
	v_div_scale_f64 v[218:219], null, v[216:217], v[216:217], 1.0
	v_rcp_f64_e32 v[220:221], v[218:219]
	v_fma_f64 v[222:223], -v[218:219], v[220:221], 1.0
	v_fma_f64 v[220:221], v[220:221], v[222:223], v[220:221]
	v_fma_f64 v[222:223], -v[218:219], v[220:221], 1.0
	v_fma_f64 v[220:221], v[220:221], v[222:223], v[220:221]
	v_div_scale_f64 v[222:223], vcc_lo, 1.0, v[216:217], 1.0
	v_mul_f64 v[224:225], v[222:223], v[220:221]
	v_fma_f64 v[218:219], -v[218:219], v[224:225], v[222:223]
	v_div_fmas_f64 v[218:219], v[218:219], v[220:221], v[224:225]
	v_div_fixup_f64 v[236:237], v[218:219], v[216:217], 1.0
	v_mul_f64 v[234:235], v[214:215], v[236:237]
	v_xor_b32_e32 v237, 0x80000000, v237
.LBB114_385:
	s_andn2_saveexec_b32 s1, s1
	s_cbranch_execz .LBB114_387
; %bb.386:
	v_div_scale_f64 v[214:215], null, v[234:235], v[234:235], v[236:237]
	v_div_scale_f64 v[220:221], vcc_lo, v[236:237], v[234:235], v[236:237]
	v_rcp_f64_e32 v[216:217], v[214:215]
	v_fma_f64 v[218:219], -v[214:215], v[216:217], 1.0
	v_fma_f64 v[216:217], v[216:217], v[218:219], v[216:217]
	v_fma_f64 v[218:219], -v[214:215], v[216:217], 1.0
	v_fma_f64 v[216:217], v[216:217], v[218:219], v[216:217]
	v_mul_f64 v[218:219], v[220:221], v[216:217]
	v_fma_f64 v[214:215], -v[214:215], v[218:219], v[220:221]
	v_div_fmas_f64 v[214:215], v[214:215], v[216:217], v[218:219]
	v_div_fixup_f64 v[214:215], v[214:215], v[234:235], v[236:237]
	v_fma_f64 v[216:217], v[236:237], v[214:215], v[234:235]
	v_div_scale_f64 v[218:219], null, v[216:217], v[216:217], 1.0
	v_rcp_f64_e32 v[220:221], v[218:219]
	v_fma_f64 v[222:223], -v[218:219], v[220:221], 1.0
	v_fma_f64 v[220:221], v[220:221], v[222:223], v[220:221]
	v_fma_f64 v[222:223], -v[218:219], v[220:221], 1.0
	v_fma_f64 v[220:221], v[220:221], v[222:223], v[220:221]
	v_div_scale_f64 v[222:223], vcc_lo, 1.0, v[216:217], 1.0
	v_mul_f64 v[224:225], v[222:223], v[220:221]
	v_fma_f64 v[218:219], -v[218:219], v[224:225], v[222:223]
	v_div_fmas_f64 v[218:219], v[218:219], v[220:221], v[224:225]
	v_div_fixup_f64 v[234:235], v[218:219], v[216:217], 1.0
	v_mul_f64 v[236:237], v[214:215], -v[234:235]
.LBB114_387:
	s_or_b32 exec_lo, exec_lo, s1
.LBB114_388:
	s_or_b32 exec_lo, exec_lo, s0
	s_mov_b32 s0, exec_lo
	v_cmpx_ne_u32_e64 v248, v242
	s_xor_b32 s0, exec_lo, s0
	s_cbranch_execz .LBB114_394
; %bb.389:
	s_mov_b32 s1, exec_lo
	v_cmpx_eq_u32_e32 18, v248
	s_cbranch_execz .LBB114_393
; %bb.390:
	v_cmp_ne_u32_e32 vcc_lo, 18, v242
	s_xor_b32 s7, s16, -1
	s_and_b32 s9, s7, vcc_lo
	s_and_saveexec_b32 s7, s9
	s_cbranch_execz .LBB114_392
; %bb.391:
	s_clause 0x1
	buffer_load_dword v210, off, s[20:23], 0
	buffer_load_dword v211, off, s[20:23], 0 offset:4
	v_ashrrev_i32_e32 v243, 31, v242
	v_lshlrev_b64 v[214:215], 2, v[242:243]
	s_waitcnt vmcnt(1)
	v_add_co_u32 v214, vcc_lo, v210, v214
	s_waitcnt vmcnt(0)
	v_add_co_ci_u32_e64 v215, null, v211, v215, vcc_lo
	s_clause 0x1
	global_load_dword v0, v[214:215], off
	global_load_dword v216, v[210:211], off offset:72
	s_waitcnt vmcnt(1)
	global_store_dword v[210:211], v0, off offset:72
	s_waitcnt vmcnt(0)
	global_store_dword v[214:215], v216, off
.LBB114_392:
	s_or_b32 exec_lo, exec_lo, s7
	v_mov_b32_e32 v248, v242
	v_mov_b32_e32 v0, v242
.LBB114_393:
	s_or_b32 exec_lo, exec_lo, s1
.LBB114_394:
	s_andn2_saveexec_b32 s0, s0
	s_cbranch_execz .LBB114_396
; %bb.395:
	v_mov_b32_e32 v248, 18
	ds_write2_b64 v1, v[154:155], v[156:157] offset0:38 offset1:39
	ds_write2_b64 v1, v[150:151], v[152:153] offset0:40 offset1:41
	ds_write2_b64 v1, v[146:147], v[148:149] offset0:42 offset1:43
	ds_write2_b64 v1, v[142:143], v[144:145] offset0:44 offset1:45
	ds_write2_b64 v1, v[138:139], v[140:141] offset0:46 offset1:47
	ds_write2_b64 v1, v[134:135], v[136:137] offset0:48 offset1:49
	ds_write2_b64 v1, v[130:131], v[132:133] offset0:50 offset1:51
	ds_write2_b64 v1, v[126:127], v[128:129] offset0:52 offset1:53
	ds_write2_b64 v1, v[122:123], v[124:125] offset0:54 offset1:55
	ds_write2_b64 v1, v[118:119], v[120:121] offset0:56 offset1:57
	ds_write2_b64 v1, v[114:115], v[116:117] offset0:58 offset1:59
	ds_write2_b64 v1, v[110:111], v[112:113] offset0:60 offset1:61
	ds_write2_b64 v1, v[106:107], v[108:109] offset0:62 offset1:63
	ds_write2_b64 v1, v[102:103], v[104:105] offset0:64 offset1:65
	ds_write2_b64 v1, v[98:99], v[100:101] offset0:66 offset1:67
	ds_write2_b64 v1, v[94:95], v[96:97] offset0:68 offset1:69
	ds_write2_b64 v1, v[90:91], v[92:93] offset0:70 offset1:71
	ds_write2_b64 v1, v[86:87], v[88:89] offset0:72 offset1:73
	ds_write2_b64 v1, v[82:83], v[84:85] offset0:74 offset1:75
	ds_write2_b64 v1, v[78:79], v[80:81] offset0:76 offset1:77
	ds_write2_b64 v1, v[74:75], v[76:77] offset0:78 offset1:79
	ds_write2_b64 v1, v[70:71], v[72:73] offset0:80 offset1:81
	ds_write2_b64 v1, v[66:67], v[68:69] offset0:82 offset1:83
	ds_write2_b64 v1, v[62:63], v[64:65] offset0:84 offset1:85
	ds_write2_b64 v1, v[58:59], v[60:61] offset0:86 offset1:87
	ds_write2_b64 v1, v[54:55], v[56:57] offset0:88 offset1:89
	ds_write2_b64 v1, v[50:51], v[52:53] offset0:90 offset1:91
	ds_write2_b64 v1, v[46:47], v[48:49] offset0:92 offset1:93
	ds_write2_b64 v1, v[42:43], v[44:45] offset0:94 offset1:95
	ds_write2_b64 v1, v[38:39], v[40:41] offset0:96 offset1:97
	ds_write2_b64 v1, v[34:35], v[36:37] offset0:98 offset1:99
	ds_write2_b64 v1, v[30:31], v[32:33] offset0:100 offset1:101
	ds_write2_b64 v1, v[26:27], v[28:29] offset0:102 offset1:103
	ds_write2_b64 v1, v[22:23], v[24:25] offset0:104 offset1:105
	ds_write2_b64 v1, v[18:19], v[20:21] offset0:106 offset1:107
	ds_write2_b64 v1, v[14:15], v[16:17] offset0:108 offset1:109
	ds_write2_b64 v1, v[10:11], v[12:13] offset0:110 offset1:111
	ds_write2_b64 v1, v[238:239], v[240:241] offset0:112 offset1:113
	ds_write2_b64 v1, v[226:227], v[228:229] offset0:114 offset1:115
.LBB114_396:
	s_or_b32 exec_lo, exec_lo, s0
	s_mov_b32 s0, exec_lo
	s_waitcnt lgkmcnt(0)
	s_waitcnt_vscnt null, 0x0
	s_barrier
	buffer_gl0_inv
	v_cmpx_lt_i32_e32 18, v248
	s_cbranch_execz .LBB114_398
; %bb.397:
	v_mul_f64 v[214:215], v[236:237], v[160:161]
	v_mul_f64 v[160:161], v[234:235], v[160:161]
	v_fma_f64 v[242:243], v[234:235], v[158:159], -v[214:215]
	v_fma_f64 v[160:161], v[236:237], v[158:159], v[160:161]
	ds_read2_b64 v[234:237], v1 offset0:38 offset1:39
	s_waitcnt lgkmcnt(0)
	v_mul_f64 v[158:159], v[236:237], v[160:161]
	v_mul_f64 v[214:215], v[234:235], v[160:161]
	v_fma_f64 v[158:159], v[234:235], v[242:243], -v[158:159]
	v_fma_f64 v[214:215], v[236:237], v[242:243], v[214:215]
	ds_read2_b64 v[234:237], v1 offset0:40 offset1:41
	v_add_f64 v[154:155], v[154:155], -v[158:159]
	v_add_f64 v[156:157], v[156:157], -v[214:215]
	s_waitcnt lgkmcnt(0)
	v_mul_f64 v[158:159], v[236:237], v[160:161]
	v_mul_f64 v[214:215], v[234:235], v[160:161]
	v_fma_f64 v[158:159], v[234:235], v[242:243], -v[158:159]
	v_fma_f64 v[214:215], v[236:237], v[242:243], v[214:215]
	ds_read2_b64 v[234:237], v1 offset0:42 offset1:43
	v_add_f64 v[150:151], v[150:151], -v[158:159]
	v_add_f64 v[152:153], v[152:153], -v[214:215]
	;; [unrolled: 8-line block ×38, first 2 shown]
	s_waitcnt lgkmcnt(0)
	v_mul_f64 v[158:159], v[236:237], v[160:161]
	v_mul_f64 v[214:215], v[234:235], v[160:161]
	v_fma_f64 v[158:159], v[234:235], v[242:243], -v[158:159]
	v_fma_f64 v[214:215], v[236:237], v[242:243], v[214:215]
	v_add_f64 v[226:227], v[226:227], -v[158:159]
	v_add_f64 v[228:229], v[228:229], -v[214:215]
	v_mov_b32_e32 v158, v242
	v_mov_b32_e32 v159, v243
.LBB114_398:
	s_or_b32 exec_lo, exec_lo, s0
	v_lshl_add_u32 v214, v248, 4, v1
	s_barrier
	buffer_gl0_inv
	v_mov_b32_e32 v242, 19
	ds_write2_b64 v214, v[154:155], v[156:157] offset1:1
	s_waitcnt lgkmcnt(0)
	s_barrier
	buffer_gl0_inv
	ds_read2_b64 v[234:237], v1 offset0:38 offset1:39
	s_cmp_lt_i32 s8, 21
	s_cbranch_scc1 .LBB114_401
; %bb.399:
	v_add3_u32 v243, v254, 0, 0x140
	v_mov_b32_e32 v242, 19
	s_mov_b32 s0, 20
	s_inst_prefetch 0x1
	.p2align	6
.LBB114_400:                            ; =>This Inner Loop Header: Depth=1
	s_waitcnt lgkmcnt(0)
	v_cmp_gt_f64_e32 vcc_lo, 0, v[234:235]
	v_xor_b32_e32 v214, 0x80000000, v235
	ds_read2_b64 v[249:252], v243 offset1:1
	v_xor_b32_e32 v216, 0x80000000, v237
	v_add_nc_u32_e32 v243, 16, v243
	s_waitcnt lgkmcnt(0)
	v_xor_b32_e32 v218, 0x80000000, v252
	v_cndmask_b32_e32 v215, v235, v214, vcc_lo
	v_cmp_gt_f64_e32 vcc_lo, 0, v[236:237]
	v_mov_b32_e32 v214, v234
	v_cndmask_b32_e32 v217, v237, v216, vcc_lo
	v_cmp_gt_f64_e32 vcc_lo, 0, v[249:250]
	v_mov_b32_e32 v216, v236
	v_add_f64 v[214:215], v[214:215], v[216:217]
	v_xor_b32_e32 v216, 0x80000000, v250
	v_cndmask_b32_e32 v217, v250, v216, vcc_lo
	v_cmp_gt_f64_e32 vcc_lo, 0, v[251:252]
	v_mov_b32_e32 v216, v249
	v_cndmask_b32_e32 v219, v252, v218, vcc_lo
	v_mov_b32_e32 v218, v251
	v_add_f64 v[216:217], v[216:217], v[218:219]
	v_cmp_lt_f64_e32 vcc_lo, v[214:215], v[216:217]
	v_cndmask_b32_e32 v235, v235, v250, vcc_lo
	v_cndmask_b32_e32 v234, v234, v249, vcc_lo
	;; [unrolled: 1-line block ×4, first 2 shown]
	v_cndmask_b32_e64 v242, v242, s0, vcc_lo
	s_add_i32 s0, s0, 1
	s_cmp_lg_u32 s8, s0
	s_cbranch_scc1 .LBB114_400
.LBB114_401:
	s_inst_prefetch 0x2
	s_waitcnt lgkmcnt(0)
	v_cmp_eq_f64_e32 vcc_lo, 0, v[234:235]
	v_cmp_eq_f64_e64 s0, 0, v[236:237]
	s_and_b32 s0, vcc_lo, s0
	s_and_saveexec_b32 s1, s0
	s_xor_b32 s0, exec_lo, s1
; %bb.402:
	v_cmp_ne_u32_e32 vcc_lo, 0, v247
	v_cndmask_b32_e32 v247, 20, v247, vcc_lo
; %bb.403:
	s_andn2_saveexec_b32 s0, s0
	s_cbranch_execz .LBB114_409
; %bb.404:
	v_cmp_ngt_f64_e64 s1, |v[234:235]|, |v[236:237]|
	s_and_saveexec_b32 s7, s1
	s_xor_b32 s1, exec_lo, s7
	s_cbranch_execz .LBB114_406
; %bb.405:
	v_div_scale_f64 v[214:215], null, v[236:237], v[236:237], v[234:235]
	v_div_scale_f64 v[220:221], vcc_lo, v[234:235], v[236:237], v[234:235]
	v_rcp_f64_e32 v[216:217], v[214:215]
	v_fma_f64 v[218:219], -v[214:215], v[216:217], 1.0
	v_fma_f64 v[216:217], v[216:217], v[218:219], v[216:217]
	v_fma_f64 v[218:219], -v[214:215], v[216:217], 1.0
	v_fma_f64 v[216:217], v[216:217], v[218:219], v[216:217]
	v_mul_f64 v[218:219], v[220:221], v[216:217]
	v_fma_f64 v[214:215], -v[214:215], v[218:219], v[220:221]
	v_div_fmas_f64 v[214:215], v[214:215], v[216:217], v[218:219]
	v_div_fixup_f64 v[214:215], v[214:215], v[236:237], v[234:235]
	v_fma_f64 v[216:217], v[234:235], v[214:215], v[236:237]
	v_div_scale_f64 v[218:219], null, v[216:217], v[216:217], 1.0
	v_rcp_f64_e32 v[220:221], v[218:219]
	v_fma_f64 v[222:223], -v[218:219], v[220:221], 1.0
	v_fma_f64 v[220:221], v[220:221], v[222:223], v[220:221]
	v_fma_f64 v[222:223], -v[218:219], v[220:221], 1.0
	v_fma_f64 v[220:221], v[220:221], v[222:223], v[220:221]
	v_div_scale_f64 v[222:223], vcc_lo, 1.0, v[216:217], 1.0
	v_mul_f64 v[224:225], v[222:223], v[220:221]
	v_fma_f64 v[218:219], -v[218:219], v[224:225], v[222:223]
	v_div_fmas_f64 v[218:219], v[218:219], v[220:221], v[224:225]
	v_div_fixup_f64 v[236:237], v[218:219], v[216:217], 1.0
	v_mul_f64 v[234:235], v[214:215], v[236:237]
	v_xor_b32_e32 v237, 0x80000000, v237
.LBB114_406:
	s_andn2_saveexec_b32 s1, s1
	s_cbranch_execz .LBB114_408
; %bb.407:
	v_div_scale_f64 v[214:215], null, v[234:235], v[234:235], v[236:237]
	v_div_scale_f64 v[220:221], vcc_lo, v[236:237], v[234:235], v[236:237]
	v_rcp_f64_e32 v[216:217], v[214:215]
	v_fma_f64 v[218:219], -v[214:215], v[216:217], 1.0
	v_fma_f64 v[216:217], v[216:217], v[218:219], v[216:217]
	v_fma_f64 v[218:219], -v[214:215], v[216:217], 1.0
	v_fma_f64 v[216:217], v[216:217], v[218:219], v[216:217]
	v_mul_f64 v[218:219], v[220:221], v[216:217]
	v_fma_f64 v[214:215], -v[214:215], v[218:219], v[220:221]
	v_div_fmas_f64 v[214:215], v[214:215], v[216:217], v[218:219]
	v_div_fixup_f64 v[214:215], v[214:215], v[234:235], v[236:237]
	v_fma_f64 v[216:217], v[236:237], v[214:215], v[234:235]
	v_div_scale_f64 v[218:219], null, v[216:217], v[216:217], 1.0
	v_rcp_f64_e32 v[220:221], v[218:219]
	v_fma_f64 v[222:223], -v[218:219], v[220:221], 1.0
	v_fma_f64 v[220:221], v[220:221], v[222:223], v[220:221]
	v_fma_f64 v[222:223], -v[218:219], v[220:221], 1.0
	v_fma_f64 v[220:221], v[220:221], v[222:223], v[220:221]
	v_div_scale_f64 v[222:223], vcc_lo, 1.0, v[216:217], 1.0
	v_mul_f64 v[224:225], v[222:223], v[220:221]
	v_fma_f64 v[218:219], -v[218:219], v[224:225], v[222:223]
	v_div_fmas_f64 v[218:219], v[218:219], v[220:221], v[224:225]
	v_div_fixup_f64 v[234:235], v[218:219], v[216:217], 1.0
	v_mul_f64 v[236:237], v[214:215], -v[234:235]
.LBB114_408:
	s_or_b32 exec_lo, exec_lo, s1
.LBB114_409:
	s_or_b32 exec_lo, exec_lo, s0
	s_mov_b32 s0, exec_lo
	v_cmpx_ne_u32_e64 v248, v242
	s_xor_b32 s0, exec_lo, s0
	s_cbranch_execz .LBB114_415
; %bb.410:
	s_mov_b32 s1, exec_lo
	v_cmpx_eq_u32_e32 19, v248
	s_cbranch_execz .LBB114_414
; %bb.411:
	v_cmp_ne_u32_e32 vcc_lo, 19, v242
	s_xor_b32 s7, s16, -1
	s_and_b32 s9, s7, vcc_lo
	s_and_saveexec_b32 s7, s9
	s_cbranch_execz .LBB114_413
; %bb.412:
	s_clause 0x1
	buffer_load_dword v210, off, s[20:23], 0
	buffer_load_dword v211, off, s[20:23], 0 offset:4
	v_ashrrev_i32_e32 v243, 31, v242
	v_lshlrev_b64 v[214:215], 2, v[242:243]
	s_waitcnt vmcnt(1)
	v_add_co_u32 v214, vcc_lo, v210, v214
	s_waitcnt vmcnt(0)
	v_add_co_ci_u32_e64 v215, null, v211, v215, vcc_lo
	s_clause 0x1
	global_load_dword v0, v[214:215], off
	global_load_dword v216, v[210:211], off offset:76
	s_waitcnt vmcnt(1)
	global_store_dword v[210:211], v0, off offset:76
	s_waitcnt vmcnt(0)
	global_store_dword v[214:215], v216, off
.LBB114_413:
	s_or_b32 exec_lo, exec_lo, s7
	v_mov_b32_e32 v248, v242
	v_mov_b32_e32 v0, v242
.LBB114_414:
	s_or_b32 exec_lo, exec_lo, s1
.LBB114_415:
	s_andn2_saveexec_b32 s0, s0
	s_cbranch_execz .LBB114_417
; %bb.416:
	v_mov_b32_e32 v248, 19
	ds_write2_b64 v1, v[150:151], v[152:153] offset0:40 offset1:41
	ds_write2_b64 v1, v[146:147], v[148:149] offset0:42 offset1:43
	;; [unrolled: 1-line block ×38, first 2 shown]
.LBB114_417:
	s_or_b32 exec_lo, exec_lo, s0
	s_mov_b32 s0, exec_lo
	s_waitcnt lgkmcnt(0)
	s_waitcnt_vscnt null, 0x0
	s_barrier
	buffer_gl0_inv
	v_cmpx_lt_i32_e32 19, v248
	s_cbranch_execz .LBB114_419
; %bb.418:
	v_mul_f64 v[214:215], v[236:237], v[156:157]
	v_mul_f64 v[156:157], v[234:235], v[156:157]
	v_fma_f64 v[242:243], v[234:235], v[154:155], -v[214:215]
	v_fma_f64 v[156:157], v[236:237], v[154:155], v[156:157]
	ds_read2_b64 v[234:237], v1 offset0:40 offset1:41
	s_waitcnt lgkmcnt(0)
	v_mul_f64 v[154:155], v[236:237], v[156:157]
	v_mul_f64 v[214:215], v[234:235], v[156:157]
	v_fma_f64 v[154:155], v[234:235], v[242:243], -v[154:155]
	v_fma_f64 v[214:215], v[236:237], v[242:243], v[214:215]
	ds_read2_b64 v[234:237], v1 offset0:42 offset1:43
	v_add_f64 v[150:151], v[150:151], -v[154:155]
	v_add_f64 v[152:153], v[152:153], -v[214:215]
	s_waitcnt lgkmcnt(0)
	v_mul_f64 v[154:155], v[236:237], v[156:157]
	v_mul_f64 v[214:215], v[234:235], v[156:157]
	v_fma_f64 v[154:155], v[234:235], v[242:243], -v[154:155]
	v_fma_f64 v[214:215], v[236:237], v[242:243], v[214:215]
	ds_read2_b64 v[234:237], v1 offset0:44 offset1:45
	v_add_f64 v[146:147], v[146:147], -v[154:155]
	v_add_f64 v[148:149], v[148:149], -v[214:215]
	;; [unrolled: 8-line block ×37, first 2 shown]
	s_waitcnt lgkmcnt(0)
	v_mul_f64 v[154:155], v[236:237], v[156:157]
	v_mul_f64 v[214:215], v[234:235], v[156:157]
	v_fma_f64 v[154:155], v[234:235], v[242:243], -v[154:155]
	v_fma_f64 v[214:215], v[236:237], v[242:243], v[214:215]
	v_add_f64 v[226:227], v[226:227], -v[154:155]
	v_add_f64 v[228:229], v[228:229], -v[214:215]
	v_mov_b32_e32 v154, v242
	v_mov_b32_e32 v155, v243
.LBB114_419:
	s_or_b32 exec_lo, exec_lo, s0
	v_lshl_add_u32 v214, v248, 4, v1
	s_barrier
	buffer_gl0_inv
	v_mov_b32_e32 v242, 20
	ds_write2_b64 v214, v[150:151], v[152:153] offset1:1
	s_waitcnt lgkmcnt(0)
	s_barrier
	buffer_gl0_inv
	ds_read2_b64 v[234:237], v1 offset0:40 offset1:41
	s_cmp_lt_i32 s8, 22
	s_cbranch_scc1 .LBB114_422
; %bb.420:
	v_add3_u32 v243, v254, 0, 0x150
	v_mov_b32_e32 v242, 20
	s_mov_b32 s0, 21
	s_inst_prefetch 0x1
	.p2align	6
.LBB114_421:                            ; =>This Inner Loop Header: Depth=1
	s_waitcnt lgkmcnt(0)
	v_cmp_gt_f64_e32 vcc_lo, 0, v[234:235]
	v_xor_b32_e32 v214, 0x80000000, v235
	ds_read2_b64 v[249:252], v243 offset1:1
	v_xor_b32_e32 v216, 0x80000000, v237
	v_add_nc_u32_e32 v243, 16, v243
	s_waitcnt lgkmcnt(0)
	v_xor_b32_e32 v218, 0x80000000, v252
	v_cndmask_b32_e32 v215, v235, v214, vcc_lo
	v_cmp_gt_f64_e32 vcc_lo, 0, v[236:237]
	v_mov_b32_e32 v214, v234
	v_cndmask_b32_e32 v217, v237, v216, vcc_lo
	v_cmp_gt_f64_e32 vcc_lo, 0, v[249:250]
	v_mov_b32_e32 v216, v236
	v_add_f64 v[214:215], v[214:215], v[216:217]
	v_xor_b32_e32 v216, 0x80000000, v250
	v_cndmask_b32_e32 v217, v250, v216, vcc_lo
	v_cmp_gt_f64_e32 vcc_lo, 0, v[251:252]
	v_mov_b32_e32 v216, v249
	v_cndmask_b32_e32 v219, v252, v218, vcc_lo
	v_mov_b32_e32 v218, v251
	v_add_f64 v[216:217], v[216:217], v[218:219]
	v_cmp_lt_f64_e32 vcc_lo, v[214:215], v[216:217]
	v_cndmask_b32_e32 v235, v235, v250, vcc_lo
	v_cndmask_b32_e32 v234, v234, v249, vcc_lo
	;; [unrolled: 1-line block ×4, first 2 shown]
	v_cndmask_b32_e64 v242, v242, s0, vcc_lo
	s_add_i32 s0, s0, 1
	s_cmp_lg_u32 s8, s0
	s_cbranch_scc1 .LBB114_421
.LBB114_422:
	s_inst_prefetch 0x2
	s_waitcnt lgkmcnt(0)
	v_cmp_eq_f64_e32 vcc_lo, 0, v[234:235]
	v_cmp_eq_f64_e64 s0, 0, v[236:237]
	s_and_b32 s0, vcc_lo, s0
	s_and_saveexec_b32 s1, s0
	s_xor_b32 s0, exec_lo, s1
; %bb.423:
	v_cmp_ne_u32_e32 vcc_lo, 0, v247
	v_cndmask_b32_e32 v247, 21, v247, vcc_lo
; %bb.424:
	s_andn2_saveexec_b32 s0, s0
	s_cbranch_execz .LBB114_430
; %bb.425:
	v_cmp_ngt_f64_e64 s1, |v[234:235]|, |v[236:237]|
	s_and_saveexec_b32 s7, s1
	s_xor_b32 s1, exec_lo, s7
	s_cbranch_execz .LBB114_427
; %bb.426:
	v_div_scale_f64 v[214:215], null, v[236:237], v[236:237], v[234:235]
	v_div_scale_f64 v[220:221], vcc_lo, v[234:235], v[236:237], v[234:235]
	v_rcp_f64_e32 v[216:217], v[214:215]
	v_fma_f64 v[218:219], -v[214:215], v[216:217], 1.0
	v_fma_f64 v[216:217], v[216:217], v[218:219], v[216:217]
	v_fma_f64 v[218:219], -v[214:215], v[216:217], 1.0
	v_fma_f64 v[216:217], v[216:217], v[218:219], v[216:217]
	v_mul_f64 v[218:219], v[220:221], v[216:217]
	v_fma_f64 v[214:215], -v[214:215], v[218:219], v[220:221]
	v_div_fmas_f64 v[214:215], v[214:215], v[216:217], v[218:219]
	v_div_fixup_f64 v[214:215], v[214:215], v[236:237], v[234:235]
	v_fma_f64 v[216:217], v[234:235], v[214:215], v[236:237]
	v_div_scale_f64 v[218:219], null, v[216:217], v[216:217], 1.0
	v_rcp_f64_e32 v[220:221], v[218:219]
	v_fma_f64 v[222:223], -v[218:219], v[220:221], 1.0
	v_fma_f64 v[220:221], v[220:221], v[222:223], v[220:221]
	v_fma_f64 v[222:223], -v[218:219], v[220:221], 1.0
	v_fma_f64 v[220:221], v[220:221], v[222:223], v[220:221]
	v_div_scale_f64 v[222:223], vcc_lo, 1.0, v[216:217], 1.0
	v_mul_f64 v[224:225], v[222:223], v[220:221]
	v_fma_f64 v[218:219], -v[218:219], v[224:225], v[222:223]
	v_div_fmas_f64 v[218:219], v[218:219], v[220:221], v[224:225]
	v_div_fixup_f64 v[236:237], v[218:219], v[216:217], 1.0
	v_mul_f64 v[234:235], v[214:215], v[236:237]
	v_xor_b32_e32 v237, 0x80000000, v237
.LBB114_427:
	s_andn2_saveexec_b32 s1, s1
	s_cbranch_execz .LBB114_429
; %bb.428:
	v_div_scale_f64 v[214:215], null, v[234:235], v[234:235], v[236:237]
	v_div_scale_f64 v[220:221], vcc_lo, v[236:237], v[234:235], v[236:237]
	v_rcp_f64_e32 v[216:217], v[214:215]
	v_fma_f64 v[218:219], -v[214:215], v[216:217], 1.0
	v_fma_f64 v[216:217], v[216:217], v[218:219], v[216:217]
	v_fma_f64 v[218:219], -v[214:215], v[216:217], 1.0
	v_fma_f64 v[216:217], v[216:217], v[218:219], v[216:217]
	v_mul_f64 v[218:219], v[220:221], v[216:217]
	v_fma_f64 v[214:215], -v[214:215], v[218:219], v[220:221]
	v_div_fmas_f64 v[214:215], v[214:215], v[216:217], v[218:219]
	v_div_fixup_f64 v[214:215], v[214:215], v[234:235], v[236:237]
	v_fma_f64 v[216:217], v[236:237], v[214:215], v[234:235]
	v_div_scale_f64 v[218:219], null, v[216:217], v[216:217], 1.0
	v_rcp_f64_e32 v[220:221], v[218:219]
	v_fma_f64 v[222:223], -v[218:219], v[220:221], 1.0
	v_fma_f64 v[220:221], v[220:221], v[222:223], v[220:221]
	v_fma_f64 v[222:223], -v[218:219], v[220:221], 1.0
	v_fma_f64 v[220:221], v[220:221], v[222:223], v[220:221]
	v_div_scale_f64 v[222:223], vcc_lo, 1.0, v[216:217], 1.0
	v_mul_f64 v[224:225], v[222:223], v[220:221]
	v_fma_f64 v[218:219], -v[218:219], v[224:225], v[222:223]
	v_div_fmas_f64 v[218:219], v[218:219], v[220:221], v[224:225]
	v_div_fixup_f64 v[234:235], v[218:219], v[216:217], 1.0
	v_mul_f64 v[236:237], v[214:215], -v[234:235]
.LBB114_429:
	s_or_b32 exec_lo, exec_lo, s1
.LBB114_430:
	s_or_b32 exec_lo, exec_lo, s0
	s_mov_b32 s0, exec_lo
	v_cmpx_ne_u32_e64 v248, v242
	s_xor_b32 s0, exec_lo, s0
	s_cbranch_execz .LBB114_436
; %bb.431:
	s_mov_b32 s1, exec_lo
	v_cmpx_eq_u32_e32 20, v248
	s_cbranch_execz .LBB114_435
; %bb.432:
	v_cmp_ne_u32_e32 vcc_lo, 20, v242
	s_xor_b32 s7, s16, -1
	s_and_b32 s9, s7, vcc_lo
	s_and_saveexec_b32 s7, s9
	s_cbranch_execz .LBB114_434
; %bb.433:
	s_clause 0x1
	buffer_load_dword v210, off, s[20:23], 0
	buffer_load_dword v211, off, s[20:23], 0 offset:4
	v_ashrrev_i32_e32 v243, 31, v242
	v_lshlrev_b64 v[214:215], 2, v[242:243]
	s_waitcnt vmcnt(1)
	v_add_co_u32 v214, vcc_lo, v210, v214
	s_waitcnt vmcnt(0)
	v_add_co_ci_u32_e64 v215, null, v211, v215, vcc_lo
	s_clause 0x1
	global_load_dword v0, v[214:215], off
	global_load_dword v216, v[210:211], off offset:80
	s_waitcnt vmcnt(1)
	global_store_dword v[210:211], v0, off offset:80
	s_waitcnt vmcnt(0)
	global_store_dword v[214:215], v216, off
.LBB114_434:
	s_or_b32 exec_lo, exec_lo, s7
	v_mov_b32_e32 v248, v242
	v_mov_b32_e32 v0, v242
.LBB114_435:
	s_or_b32 exec_lo, exec_lo, s1
.LBB114_436:
	s_andn2_saveexec_b32 s0, s0
	s_cbranch_execz .LBB114_438
; %bb.437:
	v_mov_b32_e32 v248, 20
	ds_write2_b64 v1, v[146:147], v[148:149] offset0:42 offset1:43
	ds_write2_b64 v1, v[142:143], v[144:145] offset0:44 offset1:45
	;; [unrolled: 1-line block ×37, first 2 shown]
.LBB114_438:
	s_or_b32 exec_lo, exec_lo, s0
	s_mov_b32 s0, exec_lo
	s_waitcnt lgkmcnt(0)
	s_waitcnt_vscnt null, 0x0
	s_barrier
	buffer_gl0_inv
	v_cmpx_lt_i32_e32 20, v248
	s_cbranch_execz .LBB114_440
; %bb.439:
	v_mul_f64 v[214:215], v[236:237], v[152:153]
	v_mul_f64 v[152:153], v[234:235], v[152:153]
	v_fma_f64 v[242:243], v[234:235], v[150:151], -v[214:215]
	v_fma_f64 v[152:153], v[236:237], v[150:151], v[152:153]
	ds_read2_b64 v[234:237], v1 offset0:42 offset1:43
	s_waitcnt lgkmcnt(0)
	v_mul_f64 v[150:151], v[236:237], v[152:153]
	v_mul_f64 v[214:215], v[234:235], v[152:153]
	v_fma_f64 v[150:151], v[234:235], v[242:243], -v[150:151]
	v_fma_f64 v[214:215], v[236:237], v[242:243], v[214:215]
	ds_read2_b64 v[234:237], v1 offset0:44 offset1:45
	v_add_f64 v[146:147], v[146:147], -v[150:151]
	v_add_f64 v[148:149], v[148:149], -v[214:215]
	s_waitcnt lgkmcnt(0)
	v_mul_f64 v[150:151], v[236:237], v[152:153]
	v_mul_f64 v[214:215], v[234:235], v[152:153]
	v_fma_f64 v[150:151], v[234:235], v[242:243], -v[150:151]
	v_fma_f64 v[214:215], v[236:237], v[242:243], v[214:215]
	ds_read2_b64 v[234:237], v1 offset0:46 offset1:47
	v_add_f64 v[142:143], v[142:143], -v[150:151]
	v_add_f64 v[144:145], v[144:145], -v[214:215]
	;; [unrolled: 8-line block ×36, first 2 shown]
	s_waitcnt lgkmcnt(0)
	v_mul_f64 v[150:151], v[236:237], v[152:153]
	v_mul_f64 v[214:215], v[234:235], v[152:153]
	v_fma_f64 v[150:151], v[234:235], v[242:243], -v[150:151]
	v_fma_f64 v[214:215], v[236:237], v[242:243], v[214:215]
	v_add_f64 v[226:227], v[226:227], -v[150:151]
	v_add_f64 v[228:229], v[228:229], -v[214:215]
	v_mov_b32_e32 v150, v242
	v_mov_b32_e32 v151, v243
.LBB114_440:
	s_or_b32 exec_lo, exec_lo, s0
	v_lshl_add_u32 v214, v248, 4, v1
	s_barrier
	buffer_gl0_inv
	v_mov_b32_e32 v242, 21
	ds_write2_b64 v214, v[146:147], v[148:149] offset1:1
	s_waitcnt lgkmcnt(0)
	s_barrier
	buffer_gl0_inv
	ds_read2_b64 v[234:237], v1 offset0:42 offset1:43
	s_cmp_lt_i32 s8, 23
	s_cbranch_scc1 .LBB114_443
; %bb.441:
	v_add3_u32 v243, v254, 0, 0x160
	v_mov_b32_e32 v242, 21
	s_mov_b32 s0, 22
	s_inst_prefetch 0x1
	.p2align	6
.LBB114_442:                            ; =>This Inner Loop Header: Depth=1
	s_waitcnt lgkmcnt(0)
	v_cmp_gt_f64_e32 vcc_lo, 0, v[234:235]
	v_xor_b32_e32 v214, 0x80000000, v235
	ds_read2_b64 v[249:252], v243 offset1:1
	v_xor_b32_e32 v216, 0x80000000, v237
	v_add_nc_u32_e32 v243, 16, v243
	s_waitcnt lgkmcnt(0)
	v_xor_b32_e32 v218, 0x80000000, v252
	v_cndmask_b32_e32 v215, v235, v214, vcc_lo
	v_cmp_gt_f64_e32 vcc_lo, 0, v[236:237]
	v_mov_b32_e32 v214, v234
	v_cndmask_b32_e32 v217, v237, v216, vcc_lo
	v_cmp_gt_f64_e32 vcc_lo, 0, v[249:250]
	v_mov_b32_e32 v216, v236
	v_add_f64 v[214:215], v[214:215], v[216:217]
	v_xor_b32_e32 v216, 0x80000000, v250
	v_cndmask_b32_e32 v217, v250, v216, vcc_lo
	v_cmp_gt_f64_e32 vcc_lo, 0, v[251:252]
	v_mov_b32_e32 v216, v249
	v_cndmask_b32_e32 v219, v252, v218, vcc_lo
	v_mov_b32_e32 v218, v251
	v_add_f64 v[216:217], v[216:217], v[218:219]
	v_cmp_lt_f64_e32 vcc_lo, v[214:215], v[216:217]
	v_cndmask_b32_e32 v235, v235, v250, vcc_lo
	v_cndmask_b32_e32 v234, v234, v249, vcc_lo
	;; [unrolled: 1-line block ×4, first 2 shown]
	v_cndmask_b32_e64 v242, v242, s0, vcc_lo
	s_add_i32 s0, s0, 1
	s_cmp_lg_u32 s8, s0
	s_cbranch_scc1 .LBB114_442
.LBB114_443:
	s_inst_prefetch 0x2
	s_waitcnt lgkmcnt(0)
	v_cmp_eq_f64_e32 vcc_lo, 0, v[234:235]
	v_cmp_eq_f64_e64 s0, 0, v[236:237]
	s_and_b32 s0, vcc_lo, s0
	s_and_saveexec_b32 s1, s0
	s_xor_b32 s0, exec_lo, s1
; %bb.444:
	v_cmp_ne_u32_e32 vcc_lo, 0, v247
	v_cndmask_b32_e32 v247, 22, v247, vcc_lo
; %bb.445:
	s_andn2_saveexec_b32 s0, s0
	s_cbranch_execz .LBB114_451
; %bb.446:
	v_cmp_ngt_f64_e64 s1, |v[234:235]|, |v[236:237]|
	s_and_saveexec_b32 s7, s1
	s_xor_b32 s1, exec_lo, s7
	s_cbranch_execz .LBB114_448
; %bb.447:
	v_div_scale_f64 v[214:215], null, v[236:237], v[236:237], v[234:235]
	v_div_scale_f64 v[220:221], vcc_lo, v[234:235], v[236:237], v[234:235]
	v_rcp_f64_e32 v[216:217], v[214:215]
	v_fma_f64 v[218:219], -v[214:215], v[216:217], 1.0
	v_fma_f64 v[216:217], v[216:217], v[218:219], v[216:217]
	v_fma_f64 v[218:219], -v[214:215], v[216:217], 1.0
	v_fma_f64 v[216:217], v[216:217], v[218:219], v[216:217]
	v_mul_f64 v[218:219], v[220:221], v[216:217]
	v_fma_f64 v[214:215], -v[214:215], v[218:219], v[220:221]
	v_div_fmas_f64 v[214:215], v[214:215], v[216:217], v[218:219]
	v_div_fixup_f64 v[214:215], v[214:215], v[236:237], v[234:235]
	v_fma_f64 v[216:217], v[234:235], v[214:215], v[236:237]
	v_div_scale_f64 v[218:219], null, v[216:217], v[216:217], 1.0
	v_rcp_f64_e32 v[220:221], v[218:219]
	v_fma_f64 v[222:223], -v[218:219], v[220:221], 1.0
	v_fma_f64 v[220:221], v[220:221], v[222:223], v[220:221]
	v_fma_f64 v[222:223], -v[218:219], v[220:221], 1.0
	v_fma_f64 v[220:221], v[220:221], v[222:223], v[220:221]
	v_div_scale_f64 v[222:223], vcc_lo, 1.0, v[216:217], 1.0
	v_mul_f64 v[224:225], v[222:223], v[220:221]
	v_fma_f64 v[218:219], -v[218:219], v[224:225], v[222:223]
	v_div_fmas_f64 v[218:219], v[218:219], v[220:221], v[224:225]
	v_div_fixup_f64 v[236:237], v[218:219], v[216:217], 1.0
	v_mul_f64 v[234:235], v[214:215], v[236:237]
	v_xor_b32_e32 v237, 0x80000000, v237
.LBB114_448:
	s_andn2_saveexec_b32 s1, s1
	s_cbranch_execz .LBB114_450
; %bb.449:
	v_div_scale_f64 v[214:215], null, v[234:235], v[234:235], v[236:237]
	v_div_scale_f64 v[220:221], vcc_lo, v[236:237], v[234:235], v[236:237]
	v_rcp_f64_e32 v[216:217], v[214:215]
	v_fma_f64 v[218:219], -v[214:215], v[216:217], 1.0
	v_fma_f64 v[216:217], v[216:217], v[218:219], v[216:217]
	v_fma_f64 v[218:219], -v[214:215], v[216:217], 1.0
	v_fma_f64 v[216:217], v[216:217], v[218:219], v[216:217]
	v_mul_f64 v[218:219], v[220:221], v[216:217]
	v_fma_f64 v[214:215], -v[214:215], v[218:219], v[220:221]
	v_div_fmas_f64 v[214:215], v[214:215], v[216:217], v[218:219]
	v_div_fixup_f64 v[214:215], v[214:215], v[234:235], v[236:237]
	v_fma_f64 v[216:217], v[236:237], v[214:215], v[234:235]
	v_div_scale_f64 v[218:219], null, v[216:217], v[216:217], 1.0
	v_rcp_f64_e32 v[220:221], v[218:219]
	v_fma_f64 v[222:223], -v[218:219], v[220:221], 1.0
	v_fma_f64 v[220:221], v[220:221], v[222:223], v[220:221]
	v_fma_f64 v[222:223], -v[218:219], v[220:221], 1.0
	v_fma_f64 v[220:221], v[220:221], v[222:223], v[220:221]
	v_div_scale_f64 v[222:223], vcc_lo, 1.0, v[216:217], 1.0
	v_mul_f64 v[224:225], v[222:223], v[220:221]
	v_fma_f64 v[218:219], -v[218:219], v[224:225], v[222:223]
	v_div_fmas_f64 v[218:219], v[218:219], v[220:221], v[224:225]
	v_div_fixup_f64 v[234:235], v[218:219], v[216:217], 1.0
	v_mul_f64 v[236:237], v[214:215], -v[234:235]
.LBB114_450:
	s_or_b32 exec_lo, exec_lo, s1
.LBB114_451:
	s_or_b32 exec_lo, exec_lo, s0
	s_mov_b32 s0, exec_lo
	v_cmpx_ne_u32_e64 v248, v242
	s_xor_b32 s0, exec_lo, s0
	s_cbranch_execz .LBB114_457
; %bb.452:
	s_mov_b32 s1, exec_lo
	v_cmpx_eq_u32_e32 21, v248
	s_cbranch_execz .LBB114_456
; %bb.453:
	v_cmp_ne_u32_e32 vcc_lo, 21, v242
	s_xor_b32 s7, s16, -1
	s_and_b32 s9, s7, vcc_lo
	s_and_saveexec_b32 s7, s9
	s_cbranch_execz .LBB114_455
; %bb.454:
	s_clause 0x1
	buffer_load_dword v210, off, s[20:23], 0
	buffer_load_dword v211, off, s[20:23], 0 offset:4
	v_ashrrev_i32_e32 v243, 31, v242
	v_lshlrev_b64 v[214:215], 2, v[242:243]
	s_waitcnt vmcnt(1)
	v_add_co_u32 v214, vcc_lo, v210, v214
	s_waitcnt vmcnt(0)
	v_add_co_ci_u32_e64 v215, null, v211, v215, vcc_lo
	s_clause 0x1
	global_load_dword v0, v[214:215], off
	global_load_dword v216, v[210:211], off offset:84
	s_waitcnt vmcnt(1)
	global_store_dword v[210:211], v0, off offset:84
	s_waitcnt vmcnt(0)
	global_store_dword v[214:215], v216, off
.LBB114_455:
	s_or_b32 exec_lo, exec_lo, s7
	v_mov_b32_e32 v248, v242
	v_mov_b32_e32 v0, v242
.LBB114_456:
	s_or_b32 exec_lo, exec_lo, s1
.LBB114_457:
	s_andn2_saveexec_b32 s0, s0
	s_cbranch_execz .LBB114_459
; %bb.458:
	v_mov_b32_e32 v248, 21
	ds_write2_b64 v1, v[142:143], v[144:145] offset0:44 offset1:45
	ds_write2_b64 v1, v[138:139], v[140:141] offset0:46 offset1:47
	;; [unrolled: 1-line block ×36, first 2 shown]
.LBB114_459:
	s_or_b32 exec_lo, exec_lo, s0
	s_mov_b32 s0, exec_lo
	s_waitcnt lgkmcnt(0)
	s_waitcnt_vscnt null, 0x0
	s_barrier
	buffer_gl0_inv
	v_cmpx_lt_i32_e32 21, v248
	s_cbranch_execz .LBB114_461
; %bb.460:
	v_mul_f64 v[214:215], v[236:237], v[148:149]
	v_mul_f64 v[148:149], v[234:235], v[148:149]
	v_fma_f64 v[242:243], v[234:235], v[146:147], -v[214:215]
	v_fma_f64 v[148:149], v[236:237], v[146:147], v[148:149]
	ds_read2_b64 v[234:237], v1 offset0:44 offset1:45
	s_waitcnt lgkmcnt(0)
	v_mul_f64 v[146:147], v[236:237], v[148:149]
	v_mul_f64 v[214:215], v[234:235], v[148:149]
	v_fma_f64 v[146:147], v[234:235], v[242:243], -v[146:147]
	v_fma_f64 v[214:215], v[236:237], v[242:243], v[214:215]
	ds_read2_b64 v[234:237], v1 offset0:46 offset1:47
	v_add_f64 v[142:143], v[142:143], -v[146:147]
	v_add_f64 v[144:145], v[144:145], -v[214:215]
	s_waitcnt lgkmcnt(0)
	v_mul_f64 v[146:147], v[236:237], v[148:149]
	v_mul_f64 v[214:215], v[234:235], v[148:149]
	v_fma_f64 v[146:147], v[234:235], v[242:243], -v[146:147]
	v_fma_f64 v[214:215], v[236:237], v[242:243], v[214:215]
	ds_read2_b64 v[234:237], v1 offset0:48 offset1:49
	v_add_f64 v[138:139], v[138:139], -v[146:147]
	v_add_f64 v[140:141], v[140:141], -v[214:215]
	;; [unrolled: 8-line block ×35, first 2 shown]
	s_waitcnt lgkmcnt(0)
	v_mul_f64 v[146:147], v[236:237], v[148:149]
	v_mul_f64 v[214:215], v[234:235], v[148:149]
	v_fma_f64 v[146:147], v[234:235], v[242:243], -v[146:147]
	v_fma_f64 v[214:215], v[236:237], v[242:243], v[214:215]
	v_add_f64 v[226:227], v[226:227], -v[146:147]
	v_add_f64 v[228:229], v[228:229], -v[214:215]
	v_mov_b32_e32 v146, v242
	v_mov_b32_e32 v147, v243
.LBB114_461:
	s_or_b32 exec_lo, exec_lo, s0
	v_lshl_add_u32 v214, v248, 4, v1
	s_barrier
	buffer_gl0_inv
	v_mov_b32_e32 v242, 22
	ds_write2_b64 v214, v[142:143], v[144:145] offset1:1
	s_waitcnt lgkmcnt(0)
	s_barrier
	buffer_gl0_inv
	ds_read2_b64 v[234:237], v1 offset0:44 offset1:45
	s_cmp_lt_i32 s8, 24
	s_cbranch_scc1 .LBB114_464
; %bb.462:
	v_add3_u32 v243, v254, 0, 0x170
	v_mov_b32_e32 v242, 22
	s_mov_b32 s0, 23
	s_inst_prefetch 0x1
	.p2align	6
.LBB114_463:                            ; =>This Inner Loop Header: Depth=1
	s_waitcnt lgkmcnt(0)
	v_cmp_gt_f64_e32 vcc_lo, 0, v[234:235]
	v_xor_b32_e32 v214, 0x80000000, v235
	ds_read2_b64 v[249:252], v243 offset1:1
	v_xor_b32_e32 v216, 0x80000000, v237
	v_add_nc_u32_e32 v243, 16, v243
	s_waitcnt lgkmcnt(0)
	v_xor_b32_e32 v218, 0x80000000, v252
	v_cndmask_b32_e32 v215, v235, v214, vcc_lo
	v_cmp_gt_f64_e32 vcc_lo, 0, v[236:237]
	v_mov_b32_e32 v214, v234
	v_cndmask_b32_e32 v217, v237, v216, vcc_lo
	v_cmp_gt_f64_e32 vcc_lo, 0, v[249:250]
	v_mov_b32_e32 v216, v236
	v_add_f64 v[214:215], v[214:215], v[216:217]
	v_xor_b32_e32 v216, 0x80000000, v250
	v_cndmask_b32_e32 v217, v250, v216, vcc_lo
	v_cmp_gt_f64_e32 vcc_lo, 0, v[251:252]
	v_mov_b32_e32 v216, v249
	v_cndmask_b32_e32 v219, v252, v218, vcc_lo
	v_mov_b32_e32 v218, v251
	v_add_f64 v[216:217], v[216:217], v[218:219]
	v_cmp_lt_f64_e32 vcc_lo, v[214:215], v[216:217]
	v_cndmask_b32_e32 v235, v235, v250, vcc_lo
	v_cndmask_b32_e32 v234, v234, v249, vcc_lo
	;; [unrolled: 1-line block ×4, first 2 shown]
	v_cndmask_b32_e64 v242, v242, s0, vcc_lo
	s_add_i32 s0, s0, 1
	s_cmp_lg_u32 s8, s0
	s_cbranch_scc1 .LBB114_463
.LBB114_464:
	s_inst_prefetch 0x2
	s_waitcnt lgkmcnt(0)
	v_cmp_eq_f64_e32 vcc_lo, 0, v[234:235]
	v_cmp_eq_f64_e64 s0, 0, v[236:237]
	s_and_b32 s0, vcc_lo, s0
	s_and_saveexec_b32 s1, s0
	s_xor_b32 s0, exec_lo, s1
; %bb.465:
	v_cmp_ne_u32_e32 vcc_lo, 0, v247
	v_cndmask_b32_e32 v247, 23, v247, vcc_lo
; %bb.466:
	s_andn2_saveexec_b32 s0, s0
	s_cbranch_execz .LBB114_472
; %bb.467:
	v_cmp_ngt_f64_e64 s1, |v[234:235]|, |v[236:237]|
	s_and_saveexec_b32 s7, s1
	s_xor_b32 s1, exec_lo, s7
	s_cbranch_execz .LBB114_469
; %bb.468:
	v_div_scale_f64 v[214:215], null, v[236:237], v[236:237], v[234:235]
	v_div_scale_f64 v[220:221], vcc_lo, v[234:235], v[236:237], v[234:235]
	v_rcp_f64_e32 v[216:217], v[214:215]
	v_fma_f64 v[218:219], -v[214:215], v[216:217], 1.0
	v_fma_f64 v[216:217], v[216:217], v[218:219], v[216:217]
	v_fma_f64 v[218:219], -v[214:215], v[216:217], 1.0
	v_fma_f64 v[216:217], v[216:217], v[218:219], v[216:217]
	v_mul_f64 v[218:219], v[220:221], v[216:217]
	v_fma_f64 v[214:215], -v[214:215], v[218:219], v[220:221]
	v_div_fmas_f64 v[214:215], v[214:215], v[216:217], v[218:219]
	v_div_fixup_f64 v[214:215], v[214:215], v[236:237], v[234:235]
	v_fma_f64 v[216:217], v[234:235], v[214:215], v[236:237]
	v_div_scale_f64 v[218:219], null, v[216:217], v[216:217], 1.0
	v_rcp_f64_e32 v[220:221], v[218:219]
	v_fma_f64 v[222:223], -v[218:219], v[220:221], 1.0
	v_fma_f64 v[220:221], v[220:221], v[222:223], v[220:221]
	v_fma_f64 v[222:223], -v[218:219], v[220:221], 1.0
	v_fma_f64 v[220:221], v[220:221], v[222:223], v[220:221]
	v_div_scale_f64 v[222:223], vcc_lo, 1.0, v[216:217], 1.0
	v_mul_f64 v[224:225], v[222:223], v[220:221]
	v_fma_f64 v[218:219], -v[218:219], v[224:225], v[222:223]
	v_div_fmas_f64 v[218:219], v[218:219], v[220:221], v[224:225]
	v_div_fixup_f64 v[236:237], v[218:219], v[216:217], 1.0
	v_mul_f64 v[234:235], v[214:215], v[236:237]
	v_xor_b32_e32 v237, 0x80000000, v237
.LBB114_469:
	s_andn2_saveexec_b32 s1, s1
	s_cbranch_execz .LBB114_471
; %bb.470:
	v_div_scale_f64 v[214:215], null, v[234:235], v[234:235], v[236:237]
	v_div_scale_f64 v[220:221], vcc_lo, v[236:237], v[234:235], v[236:237]
	v_rcp_f64_e32 v[216:217], v[214:215]
	v_fma_f64 v[218:219], -v[214:215], v[216:217], 1.0
	v_fma_f64 v[216:217], v[216:217], v[218:219], v[216:217]
	v_fma_f64 v[218:219], -v[214:215], v[216:217], 1.0
	v_fma_f64 v[216:217], v[216:217], v[218:219], v[216:217]
	v_mul_f64 v[218:219], v[220:221], v[216:217]
	v_fma_f64 v[214:215], -v[214:215], v[218:219], v[220:221]
	v_div_fmas_f64 v[214:215], v[214:215], v[216:217], v[218:219]
	v_div_fixup_f64 v[214:215], v[214:215], v[234:235], v[236:237]
	v_fma_f64 v[216:217], v[236:237], v[214:215], v[234:235]
	v_div_scale_f64 v[218:219], null, v[216:217], v[216:217], 1.0
	v_rcp_f64_e32 v[220:221], v[218:219]
	v_fma_f64 v[222:223], -v[218:219], v[220:221], 1.0
	v_fma_f64 v[220:221], v[220:221], v[222:223], v[220:221]
	v_fma_f64 v[222:223], -v[218:219], v[220:221], 1.0
	v_fma_f64 v[220:221], v[220:221], v[222:223], v[220:221]
	v_div_scale_f64 v[222:223], vcc_lo, 1.0, v[216:217], 1.0
	v_mul_f64 v[224:225], v[222:223], v[220:221]
	v_fma_f64 v[218:219], -v[218:219], v[224:225], v[222:223]
	v_div_fmas_f64 v[218:219], v[218:219], v[220:221], v[224:225]
	v_div_fixup_f64 v[234:235], v[218:219], v[216:217], 1.0
	v_mul_f64 v[236:237], v[214:215], -v[234:235]
.LBB114_471:
	s_or_b32 exec_lo, exec_lo, s1
.LBB114_472:
	s_or_b32 exec_lo, exec_lo, s0
	s_mov_b32 s0, exec_lo
	v_cmpx_ne_u32_e64 v248, v242
	s_xor_b32 s0, exec_lo, s0
	s_cbranch_execz .LBB114_478
; %bb.473:
	s_mov_b32 s1, exec_lo
	v_cmpx_eq_u32_e32 22, v248
	s_cbranch_execz .LBB114_477
; %bb.474:
	v_cmp_ne_u32_e32 vcc_lo, 22, v242
	s_xor_b32 s7, s16, -1
	s_and_b32 s9, s7, vcc_lo
	s_and_saveexec_b32 s7, s9
	s_cbranch_execz .LBB114_476
; %bb.475:
	s_clause 0x1
	buffer_load_dword v210, off, s[20:23], 0
	buffer_load_dword v211, off, s[20:23], 0 offset:4
	v_ashrrev_i32_e32 v243, 31, v242
	v_lshlrev_b64 v[214:215], 2, v[242:243]
	s_waitcnt vmcnt(1)
	v_add_co_u32 v214, vcc_lo, v210, v214
	s_waitcnt vmcnt(0)
	v_add_co_ci_u32_e64 v215, null, v211, v215, vcc_lo
	s_clause 0x1
	global_load_dword v0, v[214:215], off
	global_load_dword v216, v[210:211], off offset:88
	s_waitcnt vmcnt(1)
	global_store_dword v[210:211], v0, off offset:88
	s_waitcnt vmcnt(0)
	global_store_dword v[214:215], v216, off
.LBB114_476:
	s_or_b32 exec_lo, exec_lo, s7
	v_mov_b32_e32 v248, v242
	v_mov_b32_e32 v0, v242
.LBB114_477:
	s_or_b32 exec_lo, exec_lo, s1
.LBB114_478:
	s_andn2_saveexec_b32 s0, s0
	s_cbranch_execz .LBB114_480
; %bb.479:
	v_mov_b32_e32 v248, 22
	ds_write2_b64 v1, v[138:139], v[140:141] offset0:46 offset1:47
	ds_write2_b64 v1, v[134:135], v[136:137] offset0:48 offset1:49
	ds_write2_b64 v1, v[130:131], v[132:133] offset0:50 offset1:51
	ds_write2_b64 v1, v[126:127], v[128:129] offset0:52 offset1:53
	ds_write2_b64 v1, v[122:123], v[124:125] offset0:54 offset1:55
	ds_write2_b64 v1, v[118:119], v[120:121] offset0:56 offset1:57
	ds_write2_b64 v1, v[114:115], v[116:117] offset0:58 offset1:59
	ds_write2_b64 v1, v[110:111], v[112:113] offset0:60 offset1:61
	ds_write2_b64 v1, v[106:107], v[108:109] offset0:62 offset1:63
	ds_write2_b64 v1, v[102:103], v[104:105] offset0:64 offset1:65
	ds_write2_b64 v1, v[98:99], v[100:101] offset0:66 offset1:67
	ds_write2_b64 v1, v[94:95], v[96:97] offset0:68 offset1:69
	ds_write2_b64 v1, v[90:91], v[92:93] offset0:70 offset1:71
	ds_write2_b64 v1, v[86:87], v[88:89] offset0:72 offset1:73
	ds_write2_b64 v1, v[82:83], v[84:85] offset0:74 offset1:75
	ds_write2_b64 v1, v[78:79], v[80:81] offset0:76 offset1:77
	ds_write2_b64 v1, v[74:75], v[76:77] offset0:78 offset1:79
	ds_write2_b64 v1, v[70:71], v[72:73] offset0:80 offset1:81
	ds_write2_b64 v1, v[66:67], v[68:69] offset0:82 offset1:83
	ds_write2_b64 v1, v[62:63], v[64:65] offset0:84 offset1:85
	ds_write2_b64 v1, v[58:59], v[60:61] offset0:86 offset1:87
	ds_write2_b64 v1, v[54:55], v[56:57] offset0:88 offset1:89
	ds_write2_b64 v1, v[50:51], v[52:53] offset0:90 offset1:91
	ds_write2_b64 v1, v[46:47], v[48:49] offset0:92 offset1:93
	ds_write2_b64 v1, v[42:43], v[44:45] offset0:94 offset1:95
	ds_write2_b64 v1, v[38:39], v[40:41] offset0:96 offset1:97
	ds_write2_b64 v1, v[34:35], v[36:37] offset0:98 offset1:99
	ds_write2_b64 v1, v[30:31], v[32:33] offset0:100 offset1:101
	ds_write2_b64 v1, v[26:27], v[28:29] offset0:102 offset1:103
	ds_write2_b64 v1, v[22:23], v[24:25] offset0:104 offset1:105
	ds_write2_b64 v1, v[18:19], v[20:21] offset0:106 offset1:107
	ds_write2_b64 v1, v[14:15], v[16:17] offset0:108 offset1:109
	ds_write2_b64 v1, v[10:11], v[12:13] offset0:110 offset1:111
	ds_write2_b64 v1, v[238:239], v[240:241] offset0:112 offset1:113
	ds_write2_b64 v1, v[226:227], v[228:229] offset0:114 offset1:115
.LBB114_480:
	s_or_b32 exec_lo, exec_lo, s0
	s_mov_b32 s0, exec_lo
	s_waitcnt lgkmcnt(0)
	s_waitcnt_vscnt null, 0x0
	s_barrier
	buffer_gl0_inv
	v_cmpx_lt_i32_e32 22, v248
	s_cbranch_execz .LBB114_482
; %bb.481:
	v_mul_f64 v[214:215], v[236:237], v[144:145]
	v_mul_f64 v[144:145], v[234:235], v[144:145]
	v_fma_f64 v[242:243], v[234:235], v[142:143], -v[214:215]
	v_fma_f64 v[144:145], v[236:237], v[142:143], v[144:145]
	ds_read2_b64 v[234:237], v1 offset0:46 offset1:47
	s_waitcnt lgkmcnt(0)
	v_mul_f64 v[142:143], v[236:237], v[144:145]
	v_mul_f64 v[214:215], v[234:235], v[144:145]
	v_fma_f64 v[142:143], v[234:235], v[242:243], -v[142:143]
	v_fma_f64 v[214:215], v[236:237], v[242:243], v[214:215]
	ds_read2_b64 v[234:237], v1 offset0:48 offset1:49
	v_add_f64 v[138:139], v[138:139], -v[142:143]
	v_add_f64 v[140:141], v[140:141], -v[214:215]
	s_waitcnt lgkmcnt(0)
	v_mul_f64 v[142:143], v[236:237], v[144:145]
	v_mul_f64 v[214:215], v[234:235], v[144:145]
	v_fma_f64 v[142:143], v[234:235], v[242:243], -v[142:143]
	v_fma_f64 v[214:215], v[236:237], v[242:243], v[214:215]
	ds_read2_b64 v[234:237], v1 offset0:50 offset1:51
	v_add_f64 v[134:135], v[134:135], -v[142:143]
	v_add_f64 v[136:137], v[136:137], -v[214:215]
	;; [unrolled: 8-line block ×34, first 2 shown]
	s_waitcnt lgkmcnt(0)
	v_mul_f64 v[142:143], v[236:237], v[144:145]
	v_mul_f64 v[214:215], v[234:235], v[144:145]
	v_fma_f64 v[142:143], v[234:235], v[242:243], -v[142:143]
	v_fma_f64 v[214:215], v[236:237], v[242:243], v[214:215]
	v_add_f64 v[226:227], v[226:227], -v[142:143]
	v_add_f64 v[228:229], v[228:229], -v[214:215]
	v_mov_b32_e32 v142, v242
	v_mov_b32_e32 v143, v243
.LBB114_482:
	s_or_b32 exec_lo, exec_lo, s0
	v_lshl_add_u32 v214, v248, 4, v1
	s_barrier
	buffer_gl0_inv
	v_mov_b32_e32 v242, 23
	ds_write2_b64 v214, v[138:139], v[140:141] offset1:1
	s_waitcnt lgkmcnt(0)
	s_barrier
	buffer_gl0_inv
	ds_read2_b64 v[234:237], v1 offset0:46 offset1:47
	s_cmp_lt_i32 s8, 25
	s_cbranch_scc1 .LBB114_485
; %bb.483:
	v_add3_u32 v243, v254, 0, 0x180
	v_mov_b32_e32 v242, 23
	s_mov_b32 s0, 24
	s_inst_prefetch 0x1
	.p2align	6
.LBB114_484:                            ; =>This Inner Loop Header: Depth=1
	s_waitcnt lgkmcnt(0)
	v_cmp_gt_f64_e32 vcc_lo, 0, v[234:235]
	v_xor_b32_e32 v214, 0x80000000, v235
	ds_read2_b64 v[249:252], v243 offset1:1
	v_xor_b32_e32 v216, 0x80000000, v237
	v_add_nc_u32_e32 v243, 16, v243
	s_waitcnt lgkmcnt(0)
	v_xor_b32_e32 v218, 0x80000000, v252
	v_cndmask_b32_e32 v215, v235, v214, vcc_lo
	v_cmp_gt_f64_e32 vcc_lo, 0, v[236:237]
	v_mov_b32_e32 v214, v234
	v_cndmask_b32_e32 v217, v237, v216, vcc_lo
	v_cmp_gt_f64_e32 vcc_lo, 0, v[249:250]
	v_mov_b32_e32 v216, v236
	v_add_f64 v[214:215], v[214:215], v[216:217]
	v_xor_b32_e32 v216, 0x80000000, v250
	v_cndmask_b32_e32 v217, v250, v216, vcc_lo
	v_cmp_gt_f64_e32 vcc_lo, 0, v[251:252]
	v_mov_b32_e32 v216, v249
	v_cndmask_b32_e32 v219, v252, v218, vcc_lo
	v_mov_b32_e32 v218, v251
	v_add_f64 v[216:217], v[216:217], v[218:219]
	v_cmp_lt_f64_e32 vcc_lo, v[214:215], v[216:217]
	v_cndmask_b32_e32 v235, v235, v250, vcc_lo
	v_cndmask_b32_e32 v234, v234, v249, vcc_lo
	;; [unrolled: 1-line block ×4, first 2 shown]
	v_cndmask_b32_e64 v242, v242, s0, vcc_lo
	s_add_i32 s0, s0, 1
	s_cmp_lg_u32 s8, s0
	s_cbranch_scc1 .LBB114_484
.LBB114_485:
	s_inst_prefetch 0x2
	s_waitcnt lgkmcnt(0)
	v_cmp_eq_f64_e32 vcc_lo, 0, v[234:235]
	v_cmp_eq_f64_e64 s0, 0, v[236:237]
	s_and_b32 s0, vcc_lo, s0
	s_and_saveexec_b32 s1, s0
	s_xor_b32 s0, exec_lo, s1
; %bb.486:
	v_cmp_ne_u32_e32 vcc_lo, 0, v247
	v_cndmask_b32_e32 v247, 24, v247, vcc_lo
; %bb.487:
	s_andn2_saveexec_b32 s0, s0
	s_cbranch_execz .LBB114_493
; %bb.488:
	v_cmp_ngt_f64_e64 s1, |v[234:235]|, |v[236:237]|
	s_and_saveexec_b32 s7, s1
	s_xor_b32 s1, exec_lo, s7
	s_cbranch_execz .LBB114_490
; %bb.489:
	v_div_scale_f64 v[214:215], null, v[236:237], v[236:237], v[234:235]
	v_div_scale_f64 v[220:221], vcc_lo, v[234:235], v[236:237], v[234:235]
	v_rcp_f64_e32 v[216:217], v[214:215]
	v_fma_f64 v[218:219], -v[214:215], v[216:217], 1.0
	v_fma_f64 v[216:217], v[216:217], v[218:219], v[216:217]
	v_fma_f64 v[218:219], -v[214:215], v[216:217], 1.0
	v_fma_f64 v[216:217], v[216:217], v[218:219], v[216:217]
	v_mul_f64 v[218:219], v[220:221], v[216:217]
	v_fma_f64 v[214:215], -v[214:215], v[218:219], v[220:221]
	v_div_fmas_f64 v[214:215], v[214:215], v[216:217], v[218:219]
	v_div_fixup_f64 v[214:215], v[214:215], v[236:237], v[234:235]
	v_fma_f64 v[216:217], v[234:235], v[214:215], v[236:237]
	v_div_scale_f64 v[218:219], null, v[216:217], v[216:217], 1.0
	v_rcp_f64_e32 v[220:221], v[218:219]
	v_fma_f64 v[222:223], -v[218:219], v[220:221], 1.0
	v_fma_f64 v[220:221], v[220:221], v[222:223], v[220:221]
	v_fma_f64 v[222:223], -v[218:219], v[220:221], 1.0
	v_fma_f64 v[220:221], v[220:221], v[222:223], v[220:221]
	v_div_scale_f64 v[222:223], vcc_lo, 1.0, v[216:217], 1.0
	v_mul_f64 v[224:225], v[222:223], v[220:221]
	v_fma_f64 v[218:219], -v[218:219], v[224:225], v[222:223]
	v_div_fmas_f64 v[218:219], v[218:219], v[220:221], v[224:225]
	v_div_fixup_f64 v[236:237], v[218:219], v[216:217], 1.0
	v_mul_f64 v[234:235], v[214:215], v[236:237]
	v_xor_b32_e32 v237, 0x80000000, v237
.LBB114_490:
	s_andn2_saveexec_b32 s1, s1
	s_cbranch_execz .LBB114_492
; %bb.491:
	v_div_scale_f64 v[214:215], null, v[234:235], v[234:235], v[236:237]
	v_div_scale_f64 v[220:221], vcc_lo, v[236:237], v[234:235], v[236:237]
	v_rcp_f64_e32 v[216:217], v[214:215]
	v_fma_f64 v[218:219], -v[214:215], v[216:217], 1.0
	v_fma_f64 v[216:217], v[216:217], v[218:219], v[216:217]
	v_fma_f64 v[218:219], -v[214:215], v[216:217], 1.0
	v_fma_f64 v[216:217], v[216:217], v[218:219], v[216:217]
	v_mul_f64 v[218:219], v[220:221], v[216:217]
	v_fma_f64 v[214:215], -v[214:215], v[218:219], v[220:221]
	v_div_fmas_f64 v[214:215], v[214:215], v[216:217], v[218:219]
	v_div_fixup_f64 v[214:215], v[214:215], v[234:235], v[236:237]
	v_fma_f64 v[216:217], v[236:237], v[214:215], v[234:235]
	v_div_scale_f64 v[218:219], null, v[216:217], v[216:217], 1.0
	v_rcp_f64_e32 v[220:221], v[218:219]
	v_fma_f64 v[222:223], -v[218:219], v[220:221], 1.0
	v_fma_f64 v[220:221], v[220:221], v[222:223], v[220:221]
	v_fma_f64 v[222:223], -v[218:219], v[220:221], 1.0
	v_fma_f64 v[220:221], v[220:221], v[222:223], v[220:221]
	v_div_scale_f64 v[222:223], vcc_lo, 1.0, v[216:217], 1.0
	v_mul_f64 v[224:225], v[222:223], v[220:221]
	v_fma_f64 v[218:219], -v[218:219], v[224:225], v[222:223]
	v_div_fmas_f64 v[218:219], v[218:219], v[220:221], v[224:225]
	v_div_fixup_f64 v[234:235], v[218:219], v[216:217], 1.0
	v_mul_f64 v[236:237], v[214:215], -v[234:235]
.LBB114_492:
	s_or_b32 exec_lo, exec_lo, s1
.LBB114_493:
	s_or_b32 exec_lo, exec_lo, s0
	s_mov_b32 s0, exec_lo
	v_cmpx_ne_u32_e64 v248, v242
	s_xor_b32 s0, exec_lo, s0
	s_cbranch_execz .LBB114_499
; %bb.494:
	s_mov_b32 s1, exec_lo
	v_cmpx_eq_u32_e32 23, v248
	s_cbranch_execz .LBB114_498
; %bb.495:
	v_cmp_ne_u32_e32 vcc_lo, 23, v242
	s_xor_b32 s7, s16, -1
	s_and_b32 s9, s7, vcc_lo
	s_and_saveexec_b32 s7, s9
	s_cbranch_execz .LBB114_497
; %bb.496:
	s_clause 0x1
	buffer_load_dword v210, off, s[20:23], 0
	buffer_load_dword v211, off, s[20:23], 0 offset:4
	v_ashrrev_i32_e32 v243, 31, v242
	v_lshlrev_b64 v[214:215], 2, v[242:243]
	s_waitcnt vmcnt(1)
	v_add_co_u32 v214, vcc_lo, v210, v214
	s_waitcnt vmcnt(0)
	v_add_co_ci_u32_e64 v215, null, v211, v215, vcc_lo
	s_clause 0x1
	global_load_dword v0, v[214:215], off
	global_load_dword v216, v[210:211], off offset:92
	s_waitcnt vmcnt(1)
	global_store_dword v[210:211], v0, off offset:92
	s_waitcnt vmcnt(0)
	global_store_dword v[214:215], v216, off
.LBB114_497:
	s_or_b32 exec_lo, exec_lo, s7
	v_mov_b32_e32 v248, v242
	v_mov_b32_e32 v0, v242
.LBB114_498:
	s_or_b32 exec_lo, exec_lo, s1
.LBB114_499:
	s_andn2_saveexec_b32 s0, s0
	s_cbranch_execz .LBB114_501
; %bb.500:
	v_mov_b32_e32 v248, 23
	ds_write2_b64 v1, v[134:135], v[136:137] offset0:48 offset1:49
	ds_write2_b64 v1, v[130:131], v[132:133] offset0:50 offset1:51
	;; [unrolled: 1-line block ×34, first 2 shown]
.LBB114_501:
	s_or_b32 exec_lo, exec_lo, s0
	s_mov_b32 s0, exec_lo
	s_waitcnt lgkmcnt(0)
	s_waitcnt_vscnt null, 0x0
	s_barrier
	buffer_gl0_inv
	v_cmpx_lt_i32_e32 23, v248
	s_cbranch_execz .LBB114_503
; %bb.502:
	v_mul_f64 v[214:215], v[236:237], v[140:141]
	v_mul_f64 v[140:141], v[234:235], v[140:141]
	v_fma_f64 v[242:243], v[234:235], v[138:139], -v[214:215]
	v_fma_f64 v[140:141], v[236:237], v[138:139], v[140:141]
	ds_read2_b64 v[234:237], v1 offset0:48 offset1:49
	s_waitcnt lgkmcnt(0)
	v_mul_f64 v[138:139], v[236:237], v[140:141]
	v_mul_f64 v[214:215], v[234:235], v[140:141]
	v_fma_f64 v[138:139], v[234:235], v[242:243], -v[138:139]
	v_fma_f64 v[214:215], v[236:237], v[242:243], v[214:215]
	ds_read2_b64 v[234:237], v1 offset0:50 offset1:51
	v_add_f64 v[134:135], v[134:135], -v[138:139]
	v_add_f64 v[136:137], v[136:137], -v[214:215]
	s_waitcnt lgkmcnt(0)
	v_mul_f64 v[138:139], v[236:237], v[140:141]
	v_mul_f64 v[214:215], v[234:235], v[140:141]
	v_fma_f64 v[138:139], v[234:235], v[242:243], -v[138:139]
	v_fma_f64 v[214:215], v[236:237], v[242:243], v[214:215]
	ds_read2_b64 v[234:237], v1 offset0:52 offset1:53
	v_add_f64 v[130:131], v[130:131], -v[138:139]
	v_add_f64 v[132:133], v[132:133], -v[214:215]
	;; [unrolled: 8-line block ×33, first 2 shown]
	s_waitcnt lgkmcnt(0)
	v_mul_f64 v[138:139], v[236:237], v[140:141]
	v_mul_f64 v[214:215], v[234:235], v[140:141]
	v_fma_f64 v[138:139], v[234:235], v[242:243], -v[138:139]
	v_fma_f64 v[214:215], v[236:237], v[242:243], v[214:215]
	v_add_f64 v[226:227], v[226:227], -v[138:139]
	v_add_f64 v[228:229], v[228:229], -v[214:215]
	v_mov_b32_e32 v138, v242
	v_mov_b32_e32 v139, v243
.LBB114_503:
	s_or_b32 exec_lo, exec_lo, s0
	v_lshl_add_u32 v214, v248, 4, v1
	s_barrier
	buffer_gl0_inv
	v_mov_b32_e32 v242, 24
	ds_write2_b64 v214, v[134:135], v[136:137] offset1:1
	s_waitcnt lgkmcnt(0)
	s_barrier
	buffer_gl0_inv
	ds_read2_b64 v[234:237], v1 offset0:48 offset1:49
	s_cmp_lt_i32 s8, 26
	s_cbranch_scc1 .LBB114_506
; %bb.504:
	v_add3_u32 v243, v254, 0, 0x190
	v_mov_b32_e32 v242, 24
	s_mov_b32 s0, 25
	s_inst_prefetch 0x1
	.p2align	6
.LBB114_505:                            ; =>This Inner Loop Header: Depth=1
	s_waitcnt lgkmcnt(0)
	v_cmp_gt_f64_e32 vcc_lo, 0, v[234:235]
	v_xor_b32_e32 v214, 0x80000000, v235
	ds_read2_b64 v[249:252], v243 offset1:1
	v_xor_b32_e32 v216, 0x80000000, v237
	v_add_nc_u32_e32 v243, 16, v243
	s_waitcnt lgkmcnt(0)
	v_xor_b32_e32 v218, 0x80000000, v252
	v_cndmask_b32_e32 v215, v235, v214, vcc_lo
	v_cmp_gt_f64_e32 vcc_lo, 0, v[236:237]
	v_mov_b32_e32 v214, v234
	v_cndmask_b32_e32 v217, v237, v216, vcc_lo
	v_cmp_gt_f64_e32 vcc_lo, 0, v[249:250]
	v_mov_b32_e32 v216, v236
	v_add_f64 v[214:215], v[214:215], v[216:217]
	v_xor_b32_e32 v216, 0x80000000, v250
	v_cndmask_b32_e32 v217, v250, v216, vcc_lo
	v_cmp_gt_f64_e32 vcc_lo, 0, v[251:252]
	v_mov_b32_e32 v216, v249
	v_cndmask_b32_e32 v219, v252, v218, vcc_lo
	v_mov_b32_e32 v218, v251
	v_add_f64 v[216:217], v[216:217], v[218:219]
	v_cmp_lt_f64_e32 vcc_lo, v[214:215], v[216:217]
	v_cndmask_b32_e32 v235, v235, v250, vcc_lo
	v_cndmask_b32_e32 v234, v234, v249, vcc_lo
	;; [unrolled: 1-line block ×4, first 2 shown]
	v_cndmask_b32_e64 v242, v242, s0, vcc_lo
	s_add_i32 s0, s0, 1
	s_cmp_lg_u32 s8, s0
	s_cbranch_scc1 .LBB114_505
.LBB114_506:
	s_inst_prefetch 0x2
	s_waitcnt lgkmcnt(0)
	v_cmp_eq_f64_e32 vcc_lo, 0, v[234:235]
	v_cmp_eq_f64_e64 s0, 0, v[236:237]
	s_and_b32 s0, vcc_lo, s0
	s_and_saveexec_b32 s1, s0
	s_xor_b32 s0, exec_lo, s1
; %bb.507:
	v_cmp_ne_u32_e32 vcc_lo, 0, v247
	v_cndmask_b32_e32 v247, 25, v247, vcc_lo
; %bb.508:
	s_andn2_saveexec_b32 s0, s0
	s_cbranch_execz .LBB114_514
; %bb.509:
	v_cmp_ngt_f64_e64 s1, |v[234:235]|, |v[236:237]|
	s_and_saveexec_b32 s7, s1
	s_xor_b32 s1, exec_lo, s7
	s_cbranch_execz .LBB114_511
; %bb.510:
	v_div_scale_f64 v[214:215], null, v[236:237], v[236:237], v[234:235]
	v_div_scale_f64 v[220:221], vcc_lo, v[234:235], v[236:237], v[234:235]
	v_rcp_f64_e32 v[216:217], v[214:215]
	v_fma_f64 v[218:219], -v[214:215], v[216:217], 1.0
	v_fma_f64 v[216:217], v[216:217], v[218:219], v[216:217]
	v_fma_f64 v[218:219], -v[214:215], v[216:217], 1.0
	v_fma_f64 v[216:217], v[216:217], v[218:219], v[216:217]
	v_mul_f64 v[218:219], v[220:221], v[216:217]
	v_fma_f64 v[214:215], -v[214:215], v[218:219], v[220:221]
	v_div_fmas_f64 v[214:215], v[214:215], v[216:217], v[218:219]
	v_div_fixup_f64 v[214:215], v[214:215], v[236:237], v[234:235]
	v_fma_f64 v[216:217], v[234:235], v[214:215], v[236:237]
	v_div_scale_f64 v[218:219], null, v[216:217], v[216:217], 1.0
	v_rcp_f64_e32 v[220:221], v[218:219]
	v_fma_f64 v[222:223], -v[218:219], v[220:221], 1.0
	v_fma_f64 v[220:221], v[220:221], v[222:223], v[220:221]
	v_fma_f64 v[222:223], -v[218:219], v[220:221], 1.0
	v_fma_f64 v[220:221], v[220:221], v[222:223], v[220:221]
	v_div_scale_f64 v[222:223], vcc_lo, 1.0, v[216:217], 1.0
	v_mul_f64 v[224:225], v[222:223], v[220:221]
	v_fma_f64 v[218:219], -v[218:219], v[224:225], v[222:223]
	v_div_fmas_f64 v[218:219], v[218:219], v[220:221], v[224:225]
	v_div_fixup_f64 v[236:237], v[218:219], v[216:217], 1.0
	v_mul_f64 v[234:235], v[214:215], v[236:237]
	v_xor_b32_e32 v237, 0x80000000, v237
.LBB114_511:
	s_andn2_saveexec_b32 s1, s1
	s_cbranch_execz .LBB114_513
; %bb.512:
	v_div_scale_f64 v[214:215], null, v[234:235], v[234:235], v[236:237]
	v_div_scale_f64 v[220:221], vcc_lo, v[236:237], v[234:235], v[236:237]
	v_rcp_f64_e32 v[216:217], v[214:215]
	v_fma_f64 v[218:219], -v[214:215], v[216:217], 1.0
	v_fma_f64 v[216:217], v[216:217], v[218:219], v[216:217]
	v_fma_f64 v[218:219], -v[214:215], v[216:217], 1.0
	v_fma_f64 v[216:217], v[216:217], v[218:219], v[216:217]
	v_mul_f64 v[218:219], v[220:221], v[216:217]
	v_fma_f64 v[214:215], -v[214:215], v[218:219], v[220:221]
	v_div_fmas_f64 v[214:215], v[214:215], v[216:217], v[218:219]
	v_div_fixup_f64 v[214:215], v[214:215], v[234:235], v[236:237]
	v_fma_f64 v[216:217], v[236:237], v[214:215], v[234:235]
	v_div_scale_f64 v[218:219], null, v[216:217], v[216:217], 1.0
	v_rcp_f64_e32 v[220:221], v[218:219]
	v_fma_f64 v[222:223], -v[218:219], v[220:221], 1.0
	v_fma_f64 v[220:221], v[220:221], v[222:223], v[220:221]
	v_fma_f64 v[222:223], -v[218:219], v[220:221], 1.0
	v_fma_f64 v[220:221], v[220:221], v[222:223], v[220:221]
	v_div_scale_f64 v[222:223], vcc_lo, 1.0, v[216:217], 1.0
	v_mul_f64 v[224:225], v[222:223], v[220:221]
	v_fma_f64 v[218:219], -v[218:219], v[224:225], v[222:223]
	v_div_fmas_f64 v[218:219], v[218:219], v[220:221], v[224:225]
	v_div_fixup_f64 v[234:235], v[218:219], v[216:217], 1.0
	v_mul_f64 v[236:237], v[214:215], -v[234:235]
.LBB114_513:
	s_or_b32 exec_lo, exec_lo, s1
.LBB114_514:
	s_or_b32 exec_lo, exec_lo, s0
	s_mov_b32 s0, exec_lo
	v_cmpx_ne_u32_e64 v248, v242
	s_xor_b32 s0, exec_lo, s0
	s_cbranch_execz .LBB114_520
; %bb.515:
	s_mov_b32 s1, exec_lo
	v_cmpx_eq_u32_e32 24, v248
	s_cbranch_execz .LBB114_519
; %bb.516:
	v_cmp_ne_u32_e32 vcc_lo, 24, v242
	s_xor_b32 s7, s16, -1
	s_and_b32 s9, s7, vcc_lo
	s_and_saveexec_b32 s7, s9
	s_cbranch_execz .LBB114_518
; %bb.517:
	s_clause 0x1
	buffer_load_dword v210, off, s[20:23], 0
	buffer_load_dword v211, off, s[20:23], 0 offset:4
	v_ashrrev_i32_e32 v243, 31, v242
	v_lshlrev_b64 v[214:215], 2, v[242:243]
	s_waitcnt vmcnt(1)
	v_add_co_u32 v214, vcc_lo, v210, v214
	s_waitcnt vmcnt(0)
	v_add_co_ci_u32_e64 v215, null, v211, v215, vcc_lo
	s_clause 0x1
	global_load_dword v0, v[214:215], off
	global_load_dword v216, v[210:211], off offset:96
	s_waitcnt vmcnt(1)
	global_store_dword v[210:211], v0, off offset:96
	s_waitcnt vmcnt(0)
	global_store_dword v[214:215], v216, off
.LBB114_518:
	s_or_b32 exec_lo, exec_lo, s7
	v_mov_b32_e32 v248, v242
	v_mov_b32_e32 v0, v242
.LBB114_519:
	s_or_b32 exec_lo, exec_lo, s1
.LBB114_520:
	s_andn2_saveexec_b32 s0, s0
	s_cbranch_execz .LBB114_522
; %bb.521:
	v_mov_b32_e32 v248, 24
	ds_write2_b64 v1, v[130:131], v[132:133] offset0:50 offset1:51
	ds_write2_b64 v1, v[126:127], v[128:129] offset0:52 offset1:53
	;; [unrolled: 1-line block ×33, first 2 shown]
.LBB114_522:
	s_or_b32 exec_lo, exec_lo, s0
	s_mov_b32 s0, exec_lo
	s_waitcnt lgkmcnt(0)
	s_waitcnt_vscnt null, 0x0
	s_barrier
	buffer_gl0_inv
	v_cmpx_lt_i32_e32 24, v248
	s_cbranch_execz .LBB114_524
; %bb.523:
	v_mul_f64 v[214:215], v[236:237], v[136:137]
	v_mul_f64 v[136:137], v[234:235], v[136:137]
	v_fma_f64 v[242:243], v[234:235], v[134:135], -v[214:215]
	v_fma_f64 v[136:137], v[236:237], v[134:135], v[136:137]
	ds_read2_b64 v[234:237], v1 offset0:50 offset1:51
	s_waitcnt lgkmcnt(0)
	v_mul_f64 v[134:135], v[236:237], v[136:137]
	v_mul_f64 v[214:215], v[234:235], v[136:137]
	v_fma_f64 v[134:135], v[234:235], v[242:243], -v[134:135]
	v_fma_f64 v[214:215], v[236:237], v[242:243], v[214:215]
	ds_read2_b64 v[234:237], v1 offset0:52 offset1:53
	v_add_f64 v[130:131], v[130:131], -v[134:135]
	v_add_f64 v[132:133], v[132:133], -v[214:215]
	s_waitcnt lgkmcnt(0)
	v_mul_f64 v[134:135], v[236:237], v[136:137]
	v_mul_f64 v[214:215], v[234:235], v[136:137]
	v_fma_f64 v[134:135], v[234:235], v[242:243], -v[134:135]
	v_fma_f64 v[214:215], v[236:237], v[242:243], v[214:215]
	ds_read2_b64 v[234:237], v1 offset0:54 offset1:55
	v_add_f64 v[126:127], v[126:127], -v[134:135]
	v_add_f64 v[128:129], v[128:129], -v[214:215]
	s_waitcnt lgkmcnt(0)
	v_mul_f64 v[134:135], v[236:237], v[136:137]
	v_mul_f64 v[214:215], v[234:235], v[136:137]
	v_fma_f64 v[134:135], v[234:235], v[242:243], -v[134:135]
	v_fma_f64 v[214:215], v[236:237], v[242:243], v[214:215]
	ds_read2_b64 v[234:237], v1 offset0:56 offset1:57
	v_add_f64 v[122:123], v[122:123], -v[134:135]
	v_add_f64 v[124:125], v[124:125], -v[214:215]
	s_waitcnt lgkmcnt(0)
	v_mul_f64 v[134:135], v[236:237], v[136:137]
	v_mul_f64 v[214:215], v[234:235], v[136:137]
	v_fma_f64 v[134:135], v[234:235], v[242:243], -v[134:135]
	v_fma_f64 v[214:215], v[236:237], v[242:243], v[214:215]
	ds_read2_b64 v[234:237], v1 offset0:58 offset1:59
	v_add_f64 v[118:119], v[118:119], -v[134:135]
	v_add_f64 v[120:121], v[120:121], -v[214:215]
	s_waitcnt lgkmcnt(0)
	v_mul_f64 v[134:135], v[236:237], v[136:137]
	v_mul_f64 v[214:215], v[234:235], v[136:137]
	v_fma_f64 v[134:135], v[234:235], v[242:243], -v[134:135]
	v_fma_f64 v[214:215], v[236:237], v[242:243], v[214:215]
	ds_read2_b64 v[234:237], v1 offset0:60 offset1:61
	v_add_f64 v[114:115], v[114:115], -v[134:135]
	v_add_f64 v[116:117], v[116:117], -v[214:215]
	s_waitcnt lgkmcnt(0)
	v_mul_f64 v[134:135], v[236:237], v[136:137]
	v_mul_f64 v[214:215], v[234:235], v[136:137]
	v_fma_f64 v[134:135], v[234:235], v[242:243], -v[134:135]
	v_fma_f64 v[214:215], v[236:237], v[242:243], v[214:215]
	ds_read2_b64 v[234:237], v1 offset0:62 offset1:63
	v_add_f64 v[110:111], v[110:111], -v[134:135]
	v_add_f64 v[112:113], v[112:113], -v[214:215]
	s_waitcnt lgkmcnt(0)
	v_mul_f64 v[134:135], v[236:237], v[136:137]
	v_mul_f64 v[214:215], v[234:235], v[136:137]
	v_fma_f64 v[134:135], v[234:235], v[242:243], -v[134:135]
	v_fma_f64 v[214:215], v[236:237], v[242:243], v[214:215]
	ds_read2_b64 v[234:237], v1 offset0:64 offset1:65
	v_add_f64 v[106:107], v[106:107], -v[134:135]
	v_add_f64 v[108:109], v[108:109], -v[214:215]
	s_waitcnt lgkmcnt(0)
	v_mul_f64 v[134:135], v[236:237], v[136:137]
	v_mul_f64 v[214:215], v[234:235], v[136:137]
	v_fma_f64 v[134:135], v[234:235], v[242:243], -v[134:135]
	v_fma_f64 v[214:215], v[236:237], v[242:243], v[214:215]
	ds_read2_b64 v[234:237], v1 offset0:66 offset1:67
	v_add_f64 v[102:103], v[102:103], -v[134:135]
	v_add_f64 v[104:105], v[104:105], -v[214:215]
	s_waitcnt lgkmcnt(0)
	v_mul_f64 v[134:135], v[236:237], v[136:137]
	v_mul_f64 v[214:215], v[234:235], v[136:137]
	v_fma_f64 v[134:135], v[234:235], v[242:243], -v[134:135]
	v_fma_f64 v[214:215], v[236:237], v[242:243], v[214:215]
	ds_read2_b64 v[234:237], v1 offset0:68 offset1:69
	v_add_f64 v[98:99], v[98:99], -v[134:135]
	v_add_f64 v[100:101], v[100:101], -v[214:215]
	s_waitcnt lgkmcnt(0)
	v_mul_f64 v[134:135], v[236:237], v[136:137]
	v_mul_f64 v[214:215], v[234:235], v[136:137]
	v_fma_f64 v[134:135], v[234:235], v[242:243], -v[134:135]
	v_fma_f64 v[214:215], v[236:237], v[242:243], v[214:215]
	ds_read2_b64 v[234:237], v1 offset0:70 offset1:71
	v_add_f64 v[94:95], v[94:95], -v[134:135]
	v_add_f64 v[96:97], v[96:97], -v[214:215]
	s_waitcnt lgkmcnt(0)
	v_mul_f64 v[134:135], v[236:237], v[136:137]
	v_mul_f64 v[214:215], v[234:235], v[136:137]
	v_fma_f64 v[134:135], v[234:235], v[242:243], -v[134:135]
	v_fma_f64 v[214:215], v[236:237], v[242:243], v[214:215]
	ds_read2_b64 v[234:237], v1 offset0:72 offset1:73
	v_add_f64 v[90:91], v[90:91], -v[134:135]
	v_add_f64 v[92:93], v[92:93], -v[214:215]
	s_waitcnt lgkmcnt(0)
	v_mul_f64 v[134:135], v[236:237], v[136:137]
	v_mul_f64 v[214:215], v[234:235], v[136:137]
	v_fma_f64 v[134:135], v[234:235], v[242:243], -v[134:135]
	v_fma_f64 v[214:215], v[236:237], v[242:243], v[214:215]
	ds_read2_b64 v[234:237], v1 offset0:74 offset1:75
	v_add_f64 v[86:87], v[86:87], -v[134:135]
	v_add_f64 v[88:89], v[88:89], -v[214:215]
	s_waitcnt lgkmcnt(0)
	v_mul_f64 v[134:135], v[236:237], v[136:137]
	v_mul_f64 v[214:215], v[234:235], v[136:137]
	v_fma_f64 v[134:135], v[234:235], v[242:243], -v[134:135]
	v_fma_f64 v[214:215], v[236:237], v[242:243], v[214:215]
	ds_read2_b64 v[234:237], v1 offset0:76 offset1:77
	v_add_f64 v[82:83], v[82:83], -v[134:135]
	v_add_f64 v[84:85], v[84:85], -v[214:215]
	s_waitcnt lgkmcnt(0)
	v_mul_f64 v[134:135], v[236:237], v[136:137]
	v_mul_f64 v[214:215], v[234:235], v[136:137]
	v_fma_f64 v[134:135], v[234:235], v[242:243], -v[134:135]
	v_fma_f64 v[214:215], v[236:237], v[242:243], v[214:215]
	ds_read2_b64 v[234:237], v1 offset0:78 offset1:79
	v_add_f64 v[78:79], v[78:79], -v[134:135]
	v_add_f64 v[80:81], v[80:81], -v[214:215]
	s_waitcnt lgkmcnt(0)
	v_mul_f64 v[134:135], v[236:237], v[136:137]
	v_mul_f64 v[214:215], v[234:235], v[136:137]
	v_fma_f64 v[134:135], v[234:235], v[242:243], -v[134:135]
	v_fma_f64 v[214:215], v[236:237], v[242:243], v[214:215]
	ds_read2_b64 v[234:237], v1 offset0:80 offset1:81
	v_add_f64 v[74:75], v[74:75], -v[134:135]
	v_add_f64 v[76:77], v[76:77], -v[214:215]
	s_waitcnt lgkmcnt(0)
	v_mul_f64 v[134:135], v[236:237], v[136:137]
	v_mul_f64 v[214:215], v[234:235], v[136:137]
	v_fma_f64 v[134:135], v[234:235], v[242:243], -v[134:135]
	v_fma_f64 v[214:215], v[236:237], v[242:243], v[214:215]
	ds_read2_b64 v[234:237], v1 offset0:82 offset1:83
	v_add_f64 v[70:71], v[70:71], -v[134:135]
	v_add_f64 v[72:73], v[72:73], -v[214:215]
	s_waitcnt lgkmcnt(0)
	v_mul_f64 v[134:135], v[236:237], v[136:137]
	v_mul_f64 v[214:215], v[234:235], v[136:137]
	v_fma_f64 v[134:135], v[234:235], v[242:243], -v[134:135]
	v_fma_f64 v[214:215], v[236:237], v[242:243], v[214:215]
	ds_read2_b64 v[234:237], v1 offset0:84 offset1:85
	v_add_f64 v[66:67], v[66:67], -v[134:135]
	v_add_f64 v[68:69], v[68:69], -v[214:215]
	s_waitcnt lgkmcnt(0)
	v_mul_f64 v[134:135], v[236:237], v[136:137]
	v_mul_f64 v[214:215], v[234:235], v[136:137]
	v_fma_f64 v[134:135], v[234:235], v[242:243], -v[134:135]
	v_fma_f64 v[214:215], v[236:237], v[242:243], v[214:215]
	ds_read2_b64 v[234:237], v1 offset0:86 offset1:87
	v_add_f64 v[62:63], v[62:63], -v[134:135]
	v_add_f64 v[64:65], v[64:65], -v[214:215]
	s_waitcnt lgkmcnt(0)
	v_mul_f64 v[134:135], v[236:237], v[136:137]
	v_mul_f64 v[214:215], v[234:235], v[136:137]
	v_fma_f64 v[134:135], v[234:235], v[242:243], -v[134:135]
	v_fma_f64 v[214:215], v[236:237], v[242:243], v[214:215]
	ds_read2_b64 v[234:237], v1 offset0:88 offset1:89
	v_add_f64 v[58:59], v[58:59], -v[134:135]
	v_add_f64 v[60:61], v[60:61], -v[214:215]
	s_waitcnt lgkmcnt(0)
	v_mul_f64 v[134:135], v[236:237], v[136:137]
	v_mul_f64 v[214:215], v[234:235], v[136:137]
	v_fma_f64 v[134:135], v[234:235], v[242:243], -v[134:135]
	v_fma_f64 v[214:215], v[236:237], v[242:243], v[214:215]
	ds_read2_b64 v[234:237], v1 offset0:90 offset1:91
	v_add_f64 v[54:55], v[54:55], -v[134:135]
	v_add_f64 v[56:57], v[56:57], -v[214:215]
	s_waitcnt lgkmcnt(0)
	v_mul_f64 v[134:135], v[236:237], v[136:137]
	v_mul_f64 v[214:215], v[234:235], v[136:137]
	v_fma_f64 v[134:135], v[234:235], v[242:243], -v[134:135]
	v_fma_f64 v[214:215], v[236:237], v[242:243], v[214:215]
	ds_read2_b64 v[234:237], v1 offset0:92 offset1:93
	v_add_f64 v[50:51], v[50:51], -v[134:135]
	v_add_f64 v[52:53], v[52:53], -v[214:215]
	s_waitcnt lgkmcnt(0)
	v_mul_f64 v[134:135], v[236:237], v[136:137]
	v_mul_f64 v[214:215], v[234:235], v[136:137]
	v_fma_f64 v[134:135], v[234:235], v[242:243], -v[134:135]
	v_fma_f64 v[214:215], v[236:237], v[242:243], v[214:215]
	ds_read2_b64 v[234:237], v1 offset0:94 offset1:95
	v_add_f64 v[46:47], v[46:47], -v[134:135]
	v_add_f64 v[48:49], v[48:49], -v[214:215]
	s_waitcnt lgkmcnt(0)
	v_mul_f64 v[134:135], v[236:237], v[136:137]
	v_mul_f64 v[214:215], v[234:235], v[136:137]
	v_fma_f64 v[134:135], v[234:235], v[242:243], -v[134:135]
	v_fma_f64 v[214:215], v[236:237], v[242:243], v[214:215]
	ds_read2_b64 v[234:237], v1 offset0:96 offset1:97
	v_add_f64 v[42:43], v[42:43], -v[134:135]
	v_add_f64 v[44:45], v[44:45], -v[214:215]
	s_waitcnt lgkmcnt(0)
	v_mul_f64 v[134:135], v[236:237], v[136:137]
	v_mul_f64 v[214:215], v[234:235], v[136:137]
	v_fma_f64 v[134:135], v[234:235], v[242:243], -v[134:135]
	v_fma_f64 v[214:215], v[236:237], v[242:243], v[214:215]
	ds_read2_b64 v[234:237], v1 offset0:98 offset1:99
	v_add_f64 v[38:39], v[38:39], -v[134:135]
	v_add_f64 v[40:41], v[40:41], -v[214:215]
	s_waitcnt lgkmcnt(0)
	v_mul_f64 v[134:135], v[236:237], v[136:137]
	v_mul_f64 v[214:215], v[234:235], v[136:137]
	v_fma_f64 v[134:135], v[234:235], v[242:243], -v[134:135]
	v_fma_f64 v[214:215], v[236:237], v[242:243], v[214:215]
	ds_read2_b64 v[234:237], v1 offset0:100 offset1:101
	v_add_f64 v[34:35], v[34:35], -v[134:135]
	v_add_f64 v[36:37], v[36:37], -v[214:215]
	s_waitcnt lgkmcnt(0)
	v_mul_f64 v[134:135], v[236:237], v[136:137]
	v_mul_f64 v[214:215], v[234:235], v[136:137]
	v_fma_f64 v[134:135], v[234:235], v[242:243], -v[134:135]
	v_fma_f64 v[214:215], v[236:237], v[242:243], v[214:215]
	ds_read2_b64 v[234:237], v1 offset0:102 offset1:103
	v_add_f64 v[30:31], v[30:31], -v[134:135]
	v_add_f64 v[32:33], v[32:33], -v[214:215]
	s_waitcnt lgkmcnt(0)
	v_mul_f64 v[134:135], v[236:237], v[136:137]
	v_mul_f64 v[214:215], v[234:235], v[136:137]
	v_fma_f64 v[134:135], v[234:235], v[242:243], -v[134:135]
	v_fma_f64 v[214:215], v[236:237], v[242:243], v[214:215]
	ds_read2_b64 v[234:237], v1 offset0:104 offset1:105
	v_add_f64 v[26:27], v[26:27], -v[134:135]
	v_add_f64 v[28:29], v[28:29], -v[214:215]
	s_waitcnt lgkmcnt(0)
	v_mul_f64 v[134:135], v[236:237], v[136:137]
	v_mul_f64 v[214:215], v[234:235], v[136:137]
	v_fma_f64 v[134:135], v[234:235], v[242:243], -v[134:135]
	v_fma_f64 v[214:215], v[236:237], v[242:243], v[214:215]
	ds_read2_b64 v[234:237], v1 offset0:106 offset1:107
	v_add_f64 v[22:23], v[22:23], -v[134:135]
	v_add_f64 v[24:25], v[24:25], -v[214:215]
	s_waitcnt lgkmcnt(0)
	v_mul_f64 v[134:135], v[236:237], v[136:137]
	v_mul_f64 v[214:215], v[234:235], v[136:137]
	v_fma_f64 v[134:135], v[234:235], v[242:243], -v[134:135]
	v_fma_f64 v[214:215], v[236:237], v[242:243], v[214:215]
	ds_read2_b64 v[234:237], v1 offset0:108 offset1:109
	v_add_f64 v[18:19], v[18:19], -v[134:135]
	v_add_f64 v[20:21], v[20:21], -v[214:215]
	s_waitcnt lgkmcnt(0)
	v_mul_f64 v[134:135], v[236:237], v[136:137]
	v_mul_f64 v[214:215], v[234:235], v[136:137]
	v_fma_f64 v[134:135], v[234:235], v[242:243], -v[134:135]
	v_fma_f64 v[214:215], v[236:237], v[242:243], v[214:215]
	ds_read2_b64 v[234:237], v1 offset0:110 offset1:111
	v_add_f64 v[14:15], v[14:15], -v[134:135]
	v_add_f64 v[16:17], v[16:17], -v[214:215]
	s_waitcnt lgkmcnt(0)
	v_mul_f64 v[134:135], v[236:237], v[136:137]
	v_mul_f64 v[214:215], v[234:235], v[136:137]
	v_fma_f64 v[134:135], v[234:235], v[242:243], -v[134:135]
	v_fma_f64 v[214:215], v[236:237], v[242:243], v[214:215]
	ds_read2_b64 v[234:237], v1 offset0:112 offset1:113
	v_add_f64 v[10:11], v[10:11], -v[134:135]
	v_add_f64 v[12:13], v[12:13], -v[214:215]
	s_waitcnt lgkmcnt(0)
	v_mul_f64 v[134:135], v[236:237], v[136:137]
	v_mul_f64 v[214:215], v[234:235], v[136:137]
	v_fma_f64 v[134:135], v[234:235], v[242:243], -v[134:135]
	v_fma_f64 v[214:215], v[236:237], v[242:243], v[214:215]
	ds_read2_b64 v[234:237], v1 offset0:114 offset1:115
	v_add_f64 v[238:239], v[238:239], -v[134:135]
	v_add_f64 v[240:241], v[240:241], -v[214:215]
	s_waitcnt lgkmcnt(0)
	v_mul_f64 v[134:135], v[236:237], v[136:137]
	v_mul_f64 v[214:215], v[234:235], v[136:137]
	v_fma_f64 v[134:135], v[234:235], v[242:243], -v[134:135]
	v_fma_f64 v[214:215], v[236:237], v[242:243], v[214:215]
	v_add_f64 v[226:227], v[226:227], -v[134:135]
	v_add_f64 v[228:229], v[228:229], -v[214:215]
	v_mov_b32_e32 v134, v242
	v_mov_b32_e32 v135, v243
.LBB114_524:
	s_or_b32 exec_lo, exec_lo, s0
	v_lshl_add_u32 v214, v248, 4, v1
	s_barrier
	buffer_gl0_inv
	v_mov_b32_e32 v242, 25
	ds_write2_b64 v214, v[130:131], v[132:133] offset1:1
	s_waitcnt lgkmcnt(0)
	s_barrier
	buffer_gl0_inv
	ds_read2_b64 v[234:237], v1 offset0:50 offset1:51
	s_cmp_lt_i32 s8, 27
	s_cbranch_scc1 .LBB114_527
; %bb.525:
	v_add3_u32 v243, v254, 0, 0x1a0
	v_mov_b32_e32 v242, 25
	s_mov_b32 s0, 26
	s_inst_prefetch 0x1
	.p2align	6
.LBB114_526:                            ; =>This Inner Loop Header: Depth=1
	s_waitcnt lgkmcnt(0)
	v_cmp_gt_f64_e32 vcc_lo, 0, v[234:235]
	v_xor_b32_e32 v214, 0x80000000, v235
	ds_read2_b64 v[249:252], v243 offset1:1
	v_xor_b32_e32 v216, 0x80000000, v237
	v_add_nc_u32_e32 v243, 16, v243
	s_waitcnt lgkmcnt(0)
	v_xor_b32_e32 v218, 0x80000000, v252
	v_cndmask_b32_e32 v215, v235, v214, vcc_lo
	v_cmp_gt_f64_e32 vcc_lo, 0, v[236:237]
	v_mov_b32_e32 v214, v234
	v_cndmask_b32_e32 v217, v237, v216, vcc_lo
	v_cmp_gt_f64_e32 vcc_lo, 0, v[249:250]
	v_mov_b32_e32 v216, v236
	v_add_f64 v[214:215], v[214:215], v[216:217]
	v_xor_b32_e32 v216, 0x80000000, v250
	v_cndmask_b32_e32 v217, v250, v216, vcc_lo
	v_cmp_gt_f64_e32 vcc_lo, 0, v[251:252]
	v_mov_b32_e32 v216, v249
	v_cndmask_b32_e32 v219, v252, v218, vcc_lo
	v_mov_b32_e32 v218, v251
	v_add_f64 v[216:217], v[216:217], v[218:219]
	v_cmp_lt_f64_e32 vcc_lo, v[214:215], v[216:217]
	v_cndmask_b32_e32 v235, v235, v250, vcc_lo
	v_cndmask_b32_e32 v234, v234, v249, vcc_lo
	;; [unrolled: 1-line block ×4, first 2 shown]
	v_cndmask_b32_e64 v242, v242, s0, vcc_lo
	s_add_i32 s0, s0, 1
	s_cmp_lg_u32 s8, s0
	s_cbranch_scc1 .LBB114_526
.LBB114_527:
	s_inst_prefetch 0x2
	s_waitcnt lgkmcnt(0)
	v_cmp_eq_f64_e32 vcc_lo, 0, v[234:235]
	v_cmp_eq_f64_e64 s0, 0, v[236:237]
	s_and_b32 s0, vcc_lo, s0
	s_and_saveexec_b32 s1, s0
	s_xor_b32 s0, exec_lo, s1
; %bb.528:
	v_cmp_ne_u32_e32 vcc_lo, 0, v247
	v_cndmask_b32_e32 v247, 26, v247, vcc_lo
; %bb.529:
	s_andn2_saveexec_b32 s0, s0
	s_cbranch_execz .LBB114_535
; %bb.530:
	v_cmp_ngt_f64_e64 s1, |v[234:235]|, |v[236:237]|
	s_and_saveexec_b32 s7, s1
	s_xor_b32 s1, exec_lo, s7
	s_cbranch_execz .LBB114_532
; %bb.531:
	v_div_scale_f64 v[214:215], null, v[236:237], v[236:237], v[234:235]
	v_div_scale_f64 v[220:221], vcc_lo, v[234:235], v[236:237], v[234:235]
	v_rcp_f64_e32 v[216:217], v[214:215]
	v_fma_f64 v[218:219], -v[214:215], v[216:217], 1.0
	v_fma_f64 v[216:217], v[216:217], v[218:219], v[216:217]
	v_fma_f64 v[218:219], -v[214:215], v[216:217], 1.0
	v_fma_f64 v[216:217], v[216:217], v[218:219], v[216:217]
	v_mul_f64 v[218:219], v[220:221], v[216:217]
	v_fma_f64 v[214:215], -v[214:215], v[218:219], v[220:221]
	v_div_fmas_f64 v[214:215], v[214:215], v[216:217], v[218:219]
	v_div_fixup_f64 v[214:215], v[214:215], v[236:237], v[234:235]
	v_fma_f64 v[216:217], v[234:235], v[214:215], v[236:237]
	v_div_scale_f64 v[218:219], null, v[216:217], v[216:217], 1.0
	v_rcp_f64_e32 v[220:221], v[218:219]
	v_fma_f64 v[222:223], -v[218:219], v[220:221], 1.0
	v_fma_f64 v[220:221], v[220:221], v[222:223], v[220:221]
	v_fma_f64 v[222:223], -v[218:219], v[220:221], 1.0
	v_fma_f64 v[220:221], v[220:221], v[222:223], v[220:221]
	v_div_scale_f64 v[222:223], vcc_lo, 1.0, v[216:217], 1.0
	v_mul_f64 v[224:225], v[222:223], v[220:221]
	v_fma_f64 v[218:219], -v[218:219], v[224:225], v[222:223]
	v_div_fmas_f64 v[218:219], v[218:219], v[220:221], v[224:225]
	v_div_fixup_f64 v[236:237], v[218:219], v[216:217], 1.0
	v_mul_f64 v[234:235], v[214:215], v[236:237]
	v_xor_b32_e32 v237, 0x80000000, v237
.LBB114_532:
	s_andn2_saveexec_b32 s1, s1
	s_cbranch_execz .LBB114_534
; %bb.533:
	v_div_scale_f64 v[214:215], null, v[234:235], v[234:235], v[236:237]
	v_div_scale_f64 v[220:221], vcc_lo, v[236:237], v[234:235], v[236:237]
	v_rcp_f64_e32 v[216:217], v[214:215]
	v_fma_f64 v[218:219], -v[214:215], v[216:217], 1.0
	v_fma_f64 v[216:217], v[216:217], v[218:219], v[216:217]
	v_fma_f64 v[218:219], -v[214:215], v[216:217], 1.0
	v_fma_f64 v[216:217], v[216:217], v[218:219], v[216:217]
	v_mul_f64 v[218:219], v[220:221], v[216:217]
	v_fma_f64 v[214:215], -v[214:215], v[218:219], v[220:221]
	v_div_fmas_f64 v[214:215], v[214:215], v[216:217], v[218:219]
	v_div_fixup_f64 v[214:215], v[214:215], v[234:235], v[236:237]
	v_fma_f64 v[216:217], v[236:237], v[214:215], v[234:235]
	v_div_scale_f64 v[218:219], null, v[216:217], v[216:217], 1.0
	v_rcp_f64_e32 v[220:221], v[218:219]
	v_fma_f64 v[222:223], -v[218:219], v[220:221], 1.0
	v_fma_f64 v[220:221], v[220:221], v[222:223], v[220:221]
	v_fma_f64 v[222:223], -v[218:219], v[220:221], 1.0
	v_fma_f64 v[220:221], v[220:221], v[222:223], v[220:221]
	v_div_scale_f64 v[222:223], vcc_lo, 1.0, v[216:217], 1.0
	v_mul_f64 v[224:225], v[222:223], v[220:221]
	v_fma_f64 v[218:219], -v[218:219], v[224:225], v[222:223]
	v_div_fmas_f64 v[218:219], v[218:219], v[220:221], v[224:225]
	v_div_fixup_f64 v[234:235], v[218:219], v[216:217], 1.0
	v_mul_f64 v[236:237], v[214:215], -v[234:235]
.LBB114_534:
	s_or_b32 exec_lo, exec_lo, s1
.LBB114_535:
	s_or_b32 exec_lo, exec_lo, s0
	s_mov_b32 s0, exec_lo
	v_cmpx_ne_u32_e64 v248, v242
	s_xor_b32 s0, exec_lo, s0
	s_cbranch_execz .LBB114_541
; %bb.536:
	s_mov_b32 s1, exec_lo
	v_cmpx_eq_u32_e32 25, v248
	s_cbranch_execz .LBB114_540
; %bb.537:
	v_cmp_ne_u32_e32 vcc_lo, 25, v242
	s_xor_b32 s7, s16, -1
	s_and_b32 s9, s7, vcc_lo
	s_and_saveexec_b32 s7, s9
	s_cbranch_execz .LBB114_539
; %bb.538:
	s_clause 0x1
	buffer_load_dword v210, off, s[20:23], 0
	buffer_load_dword v211, off, s[20:23], 0 offset:4
	v_ashrrev_i32_e32 v243, 31, v242
	v_lshlrev_b64 v[214:215], 2, v[242:243]
	s_waitcnt vmcnt(1)
	v_add_co_u32 v214, vcc_lo, v210, v214
	s_waitcnt vmcnt(0)
	v_add_co_ci_u32_e64 v215, null, v211, v215, vcc_lo
	s_clause 0x1
	global_load_dword v0, v[214:215], off
	global_load_dword v216, v[210:211], off offset:100
	s_waitcnt vmcnt(1)
	global_store_dword v[210:211], v0, off offset:100
	s_waitcnt vmcnt(0)
	global_store_dword v[214:215], v216, off
.LBB114_539:
	s_or_b32 exec_lo, exec_lo, s7
	v_mov_b32_e32 v248, v242
	v_mov_b32_e32 v0, v242
.LBB114_540:
	s_or_b32 exec_lo, exec_lo, s1
.LBB114_541:
	s_andn2_saveexec_b32 s0, s0
	s_cbranch_execz .LBB114_543
; %bb.542:
	v_mov_b32_e32 v248, 25
	ds_write2_b64 v1, v[126:127], v[128:129] offset0:52 offset1:53
	ds_write2_b64 v1, v[122:123], v[124:125] offset0:54 offset1:55
	;; [unrolled: 1-line block ×32, first 2 shown]
.LBB114_543:
	s_or_b32 exec_lo, exec_lo, s0
	s_mov_b32 s0, exec_lo
	s_waitcnt lgkmcnt(0)
	s_waitcnt_vscnt null, 0x0
	s_barrier
	buffer_gl0_inv
	v_cmpx_lt_i32_e32 25, v248
	s_cbranch_execz .LBB114_545
; %bb.544:
	v_mul_f64 v[214:215], v[236:237], v[132:133]
	v_mul_f64 v[132:133], v[234:235], v[132:133]
	v_fma_f64 v[242:243], v[234:235], v[130:131], -v[214:215]
	v_fma_f64 v[132:133], v[236:237], v[130:131], v[132:133]
	ds_read2_b64 v[234:237], v1 offset0:52 offset1:53
	s_waitcnt lgkmcnt(0)
	v_mul_f64 v[130:131], v[236:237], v[132:133]
	v_mul_f64 v[214:215], v[234:235], v[132:133]
	v_fma_f64 v[130:131], v[234:235], v[242:243], -v[130:131]
	v_fma_f64 v[214:215], v[236:237], v[242:243], v[214:215]
	ds_read2_b64 v[234:237], v1 offset0:54 offset1:55
	v_add_f64 v[126:127], v[126:127], -v[130:131]
	v_add_f64 v[128:129], v[128:129], -v[214:215]
	s_waitcnt lgkmcnt(0)
	v_mul_f64 v[130:131], v[236:237], v[132:133]
	v_mul_f64 v[214:215], v[234:235], v[132:133]
	v_fma_f64 v[130:131], v[234:235], v[242:243], -v[130:131]
	v_fma_f64 v[214:215], v[236:237], v[242:243], v[214:215]
	ds_read2_b64 v[234:237], v1 offset0:56 offset1:57
	v_add_f64 v[122:123], v[122:123], -v[130:131]
	v_add_f64 v[124:125], v[124:125], -v[214:215]
	;; [unrolled: 8-line block ×31, first 2 shown]
	s_waitcnt lgkmcnt(0)
	v_mul_f64 v[130:131], v[236:237], v[132:133]
	v_mul_f64 v[214:215], v[234:235], v[132:133]
	v_fma_f64 v[130:131], v[234:235], v[242:243], -v[130:131]
	v_fma_f64 v[214:215], v[236:237], v[242:243], v[214:215]
	v_add_f64 v[226:227], v[226:227], -v[130:131]
	v_add_f64 v[228:229], v[228:229], -v[214:215]
	v_mov_b32_e32 v130, v242
	v_mov_b32_e32 v131, v243
.LBB114_545:
	s_or_b32 exec_lo, exec_lo, s0
	v_lshl_add_u32 v214, v248, 4, v1
	s_barrier
	buffer_gl0_inv
	v_mov_b32_e32 v242, 26
	ds_write2_b64 v214, v[126:127], v[128:129] offset1:1
	s_waitcnt lgkmcnt(0)
	s_barrier
	buffer_gl0_inv
	ds_read2_b64 v[234:237], v1 offset0:52 offset1:53
	s_cmp_lt_i32 s8, 28
	s_cbranch_scc1 .LBB114_548
; %bb.546:
	v_add3_u32 v243, v254, 0, 0x1b0
	v_mov_b32_e32 v242, 26
	s_mov_b32 s0, 27
	s_inst_prefetch 0x1
	.p2align	6
.LBB114_547:                            ; =>This Inner Loop Header: Depth=1
	s_waitcnt lgkmcnt(0)
	v_cmp_gt_f64_e32 vcc_lo, 0, v[234:235]
	v_xor_b32_e32 v214, 0x80000000, v235
	ds_read2_b64 v[249:252], v243 offset1:1
	v_xor_b32_e32 v216, 0x80000000, v237
	v_add_nc_u32_e32 v243, 16, v243
	s_waitcnt lgkmcnt(0)
	v_xor_b32_e32 v218, 0x80000000, v252
	v_cndmask_b32_e32 v215, v235, v214, vcc_lo
	v_cmp_gt_f64_e32 vcc_lo, 0, v[236:237]
	v_mov_b32_e32 v214, v234
	v_cndmask_b32_e32 v217, v237, v216, vcc_lo
	v_cmp_gt_f64_e32 vcc_lo, 0, v[249:250]
	v_mov_b32_e32 v216, v236
	v_add_f64 v[214:215], v[214:215], v[216:217]
	v_xor_b32_e32 v216, 0x80000000, v250
	v_cndmask_b32_e32 v217, v250, v216, vcc_lo
	v_cmp_gt_f64_e32 vcc_lo, 0, v[251:252]
	v_mov_b32_e32 v216, v249
	v_cndmask_b32_e32 v219, v252, v218, vcc_lo
	v_mov_b32_e32 v218, v251
	v_add_f64 v[216:217], v[216:217], v[218:219]
	v_cmp_lt_f64_e32 vcc_lo, v[214:215], v[216:217]
	v_cndmask_b32_e32 v235, v235, v250, vcc_lo
	v_cndmask_b32_e32 v234, v234, v249, vcc_lo
	;; [unrolled: 1-line block ×4, first 2 shown]
	v_cndmask_b32_e64 v242, v242, s0, vcc_lo
	s_add_i32 s0, s0, 1
	s_cmp_lg_u32 s8, s0
	s_cbranch_scc1 .LBB114_547
.LBB114_548:
	s_inst_prefetch 0x2
	s_waitcnt lgkmcnt(0)
	v_cmp_eq_f64_e32 vcc_lo, 0, v[234:235]
	v_cmp_eq_f64_e64 s0, 0, v[236:237]
	s_and_b32 s0, vcc_lo, s0
	s_and_saveexec_b32 s1, s0
	s_xor_b32 s0, exec_lo, s1
; %bb.549:
	v_cmp_ne_u32_e32 vcc_lo, 0, v247
	v_cndmask_b32_e32 v247, 27, v247, vcc_lo
; %bb.550:
	s_andn2_saveexec_b32 s0, s0
	s_cbranch_execz .LBB114_556
; %bb.551:
	v_cmp_ngt_f64_e64 s1, |v[234:235]|, |v[236:237]|
	s_and_saveexec_b32 s7, s1
	s_xor_b32 s1, exec_lo, s7
	s_cbranch_execz .LBB114_553
; %bb.552:
	v_div_scale_f64 v[214:215], null, v[236:237], v[236:237], v[234:235]
	v_div_scale_f64 v[220:221], vcc_lo, v[234:235], v[236:237], v[234:235]
	v_rcp_f64_e32 v[216:217], v[214:215]
	v_fma_f64 v[218:219], -v[214:215], v[216:217], 1.0
	v_fma_f64 v[216:217], v[216:217], v[218:219], v[216:217]
	v_fma_f64 v[218:219], -v[214:215], v[216:217], 1.0
	v_fma_f64 v[216:217], v[216:217], v[218:219], v[216:217]
	v_mul_f64 v[218:219], v[220:221], v[216:217]
	v_fma_f64 v[214:215], -v[214:215], v[218:219], v[220:221]
	v_div_fmas_f64 v[214:215], v[214:215], v[216:217], v[218:219]
	v_div_fixup_f64 v[214:215], v[214:215], v[236:237], v[234:235]
	v_fma_f64 v[216:217], v[234:235], v[214:215], v[236:237]
	v_div_scale_f64 v[218:219], null, v[216:217], v[216:217], 1.0
	v_rcp_f64_e32 v[220:221], v[218:219]
	v_fma_f64 v[222:223], -v[218:219], v[220:221], 1.0
	v_fma_f64 v[220:221], v[220:221], v[222:223], v[220:221]
	v_fma_f64 v[222:223], -v[218:219], v[220:221], 1.0
	v_fma_f64 v[220:221], v[220:221], v[222:223], v[220:221]
	v_div_scale_f64 v[222:223], vcc_lo, 1.0, v[216:217], 1.0
	v_mul_f64 v[224:225], v[222:223], v[220:221]
	v_fma_f64 v[218:219], -v[218:219], v[224:225], v[222:223]
	v_div_fmas_f64 v[218:219], v[218:219], v[220:221], v[224:225]
	v_div_fixup_f64 v[236:237], v[218:219], v[216:217], 1.0
	v_mul_f64 v[234:235], v[214:215], v[236:237]
	v_xor_b32_e32 v237, 0x80000000, v237
.LBB114_553:
	s_andn2_saveexec_b32 s1, s1
	s_cbranch_execz .LBB114_555
; %bb.554:
	v_div_scale_f64 v[214:215], null, v[234:235], v[234:235], v[236:237]
	v_div_scale_f64 v[220:221], vcc_lo, v[236:237], v[234:235], v[236:237]
	v_rcp_f64_e32 v[216:217], v[214:215]
	v_fma_f64 v[218:219], -v[214:215], v[216:217], 1.0
	v_fma_f64 v[216:217], v[216:217], v[218:219], v[216:217]
	v_fma_f64 v[218:219], -v[214:215], v[216:217], 1.0
	v_fma_f64 v[216:217], v[216:217], v[218:219], v[216:217]
	v_mul_f64 v[218:219], v[220:221], v[216:217]
	v_fma_f64 v[214:215], -v[214:215], v[218:219], v[220:221]
	v_div_fmas_f64 v[214:215], v[214:215], v[216:217], v[218:219]
	v_div_fixup_f64 v[214:215], v[214:215], v[234:235], v[236:237]
	v_fma_f64 v[216:217], v[236:237], v[214:215], v[234:235]
	v_div_scale_f64 v[218:219], null, v[216:217], v[216:217], 1.0
	v_rcp_f64_e32 v[220:221], v[218:219]
	v_fma_f64 v[222:223], -v[218:219], v[220:221], 1.0
	v_fma_f64 v[220:221], v[220:221], v[222:223], v[220:221]
	v_fma_f64 v[222:223], -v[218:219], v[220:221], 1.0
	v_fma_f64 v[220:221], v[220:221], v[222:223], v[220:221]
	v_div_scale_f64 v[222:223], vcc_lo, 1.0, v[216:217], 1.0
	v_mul_f64 v[224:225], v[222:223], v[220:221]
	v_fma_f64 v[218:219], -v[218:219], v[224:225], v[222:223]
	v_div_fmas_f64 v[218:219], v[218:219], v[220:221], v[224:225]
	v_div_fixup_f64 v[234:235], v[218:219], v[216:217], 1.0
	v_mul_f64 v[236:237], v[214:215], -v[234:235]
.LBB114_555:
	s_or_b32 exec_lo, exec_lo, s1
.LBB114_556:
	s_or_b32 exec_lo, exec_lo, s0
	s_mov_b32 s0, exec_lo
	v_cmpx_ne_u32_e64 v248, v242
	s_xor_b32 s0, exec_lo, s0
	s_cbranch_execz .LBB114_562
; %bb.557:
	s_mov_b32 s1, exec_lo
	v_cmpx_eq_u32_e32 26, v248
	s_cbranch_execz .LBB114_561
; %bb.558:
	v_cmp_ne_u32_e32 vcc_lo, 26, v242
	s_xor_b32 s7, s16, -1
	s_and_b32 s9, s7, vcc_lo
	s_and_saveexec_b32 s7, s9
	s_cbranch_execz .LBB114_560
; %bb.559:
	s_clause 0x1
	buffer_load_dword v210, off, s[20:23], 0
	buffer_load_dword v211, off, s[20:23], 0 offset:4
	v_ashrrev_i32_e32 v243, 31, v242
	v_lshlrev_b64 v[214:215], 2, v[242:243]
	s_waitcnt vmcnt(1)
	v_add_co_u32 v214, vcc_lo, v210, v214
	s_waitcnt vmcnt(0)
	v_add_co_ci_u32_e64 v215, null, v211, v215, vcc_lo
	s_clause 0x1
	global_load_dword v0, v[214:215], off
	global_load_dword v216, v[210:211], off offset:104
	s_waitcnt vmcnt(1)
	global_store_dword v[210:211], v0, off offset:104
	s_waitcnt vmcnt(0)
	global_store_dword v[214:215], v216, off
.LBB114_560:
	s_or_b32 exec_lo, exec_lo, s7
	v_mov_b32_e32 v248, v242
	v_mov_b32_e32 v0, v242
.LBB114_561:
	s_or_b32 exec_lo, exec_lo, s1
.LBB114_562:
	s_andn2_saveexec_b32 s0, s0
	s_cbranch_execz .LBB114_564
; %bb.563:
	v_mov_b32_e32 v248, 26
	ds_write2_b64 v1, v[122:123], v[124:125] offset0:54 offset1:55
	ds_write2_b64 v1, v[118:119], v[120:121] offset0:56 offset1:57
	;; [unrolled: 1-line block ×31, first 2 shown]
.LBB114_564:
	s_or_b32 exec_lo, exec_lo, s0
	s_mov_b32 s0, exec_lo
	s_waitcnt lgkmcnt(0)
	s_waitcnt_vscnt null, 0x0
	s_barrier
	buffer_gl0_inv
	v_cmpx_lt_i32_e32 26, v248
	s_cbranch_execz .LBB114_566
; %bb.565:
	v_mul_f64 v[214:215], v[236:237], v[128:129]
	v_mul_f64 v[128:129], v[234:235], v[128:129]
	v_fma_f64 v[242:243], v[234:235], v[126:127], -v[214:215]
	v_fma_f64 v[128:129], v[236:237], v[126:127], v[128:129]
	ds_read2_b64 v[234:237], v1 offset0:54 offset1:55
	s_waitcnt lgkmcnt(0)
	v_mul_f64 v[126:127], v[236:237], v[128:129]
	v_mul_f64 v[214:215], v[234:235], v[128:129]
	v_fma_f64 v[126:127], v[234:235], v[242:243], -v[126:127]
	v_fma_f64 v[214:215], v[236:237], v[242:243], v[214:215]
	ds_read2_b64 v[234:237], v1 offset0:56 offset1:57
	v_add_f64 v[122:123], v[122:123], -v[126:127]
	v_add_f64 v[124:125], v[124:125], -v[214:215]
	s_waitcnt lgkmcnt(0)
	v_mul_f64 v[126:127], v[236:237], v[128:129]
	v_mul_f64 v[214:215], v[234:235], v[128:129]
	v_fma_f64 v[126:127], v[234:235], v[242:243], -v[126:127]
	v_fma_f64 v[214:215], v[236:237], v[242:243], v[214:215]
	ds_read2_b64 v[234:237], v1 offset0:58 offset1:59
	v_add_f64 v[118:119], v[118:119], -v[126:127]
	v_add_f64 v[120:121], v[120:121], -v[214:215]
	;; [unrolled: 8-line block ×30, first 2 shown]
	s_waitcnt lgkmcnt(0)
	v_mul_f64 v[126:127], v[236:237], v[128:129]
	v_mul_f64 v[214:215], v[234:235], v[128:129]
	v_fma_f64 v[126:127], v[234:235], v[242:243], -v[126:127]
	v_fma_f64 v[214:215], v[236:237], v[242:243], v[214:215]
	v_add_f64 v[226:227], v[226:227], -v[126:127]
	v_add_f64 v[228:229], v[228:229], -v[214:215]
	v_mov_b32_e32 v126, v242
	v_mov_b32_e32 v127, v243
.LBB114_566:
	s_or_b32 exec_lo, exec_lo, s0
	v_lshl_add_u32 v214, v248, 4, v1
	s_barrier
	buffer_gl0_inv
	v_mov_b32_e32 v242, 27
	ds_write2_b64 v214, v[122:123], v[124:125] offset1:1
	s_waitcnt lgkmcnt(0)
	s_barrier
	buffer_gl0_inv
	ds_read2_b64 v[234:237], v1 offset0:54 offset1:55
	s_cmp_lt_i32 s8, 29
	s_cbranch_scc1 .LBB114_569
; %bb.567:
	v_add3_u32 v243, v254, 0, 0x1c0
	v_mov_b32_e32 v242, 27
	s_mov_b32 s0, 28
	s_inst_prefetch 0x1
	.p2align	6
.LBB114_568:                            ; =>This Inner Loop Header: Depth=1
	s_waitcnt lgkmcnt(0)
	v_cmp_gt_f64_e32 vcc_lo, 0, v[234:235]
	v_xor_b32_e32 v214, 0x80000000, v235
	ds_read2_b64 v[249:252], v243 offset1:1
	v_xor_b32_e32 v216, 0x80000000, v237
	v_add_nc_u32_e32 v243, 16, v243
	s_waitcnt lgkmcnt(0)
	v_xor_b32_e32 v218, 0x80000000, v252
	v_cndmask_b32_e32 v215, v235, v214, vcc_lo
	v_cmp_gt_f64_e32 vcc_lo, 0, v[236:237]
	v_mov_b32_e32 v214, v234
	v_cndmask_b32_e32 v217, v237, v216, vcc_lo
	v_cmp_gt_f64_e32 vcc_lo, 0, v[249:250]
	v_mov_b32_e32 v216, v236
	v_add_f64 v[214:215], v[214:215], v[216:217]
	v_xor_b32_e32 v216, 0x80000000, v250
	v_cndmask_b32_e32 v217, v250, v216, vcc_lo
	v_cmp_gt_f64_e32 vcc_lo, 0, v[251:252]
	v_mov_b32_e32 v216, v249
	v_cndmask_b32_e32 v219, v252, v218, vcc_lo
	v_mov_b32_e32 v218, v251
	v_add_f64 v[216:217], v[216:217], v[218:219]
	v_cmp_lt_f64_e32 vcc_lo, v[214:215], v[216:217]
	v_cndmask_b32_e32 v235, v235, v250, vcc_lo
	v_cndmask_b32_e32 v234, v234, v249, vcc_lo
	;; [unrolled: 1-line block ×4, first 2 shown]
	v_cndmask_b32_e64 v242, v242, s0, vcc_lo
	s_add_i32 s0, s0, 1
	s_cmp_lg_u32 s8, s0
	s_cbranch_scc1 .LBB114_568
.LBB114_569:
	s_inst_prefetch 0x2
	s_waitcnt lgkmcnt(0)
	v_cmp_eq_f64_e32 vcc_lo, 0, v[234:235]
	v_cmp_eq_f64_e64 s0, 0, v[236:237]
	s_and_b32 s0, vcc_lo, s0
	s_and_saveexec_b32 s1, s0
	s_xor_b32 s0, exec_lo, s1
; %bb.570:
	v_cmp_ne_u32_e32 vcc_lo, 0, v247
	v_cndmask_b32_e32 v247, 28, v247, vcc_lo
; %bb.571:
	s_andn2_saveexec_b32 s0, s0
	s_cbranch_execz .LBB114_577
; %bb.572:
	v_cmp_ngt_f64_e64 s1, |v[234:235]|, |v[236:237]|
	s_and_saveexec_b32 s7, s1
	s_xor_b32 s1, exec_lo, s7
	s_cbranch_execz .LBB114_574
; %bb.573:
	v_div_scale_f64 v[214:215], null, v[236:237], v[236:237], v[234:235]
	v_div_scale_f64 v[220:221], vcc_lo, v[234:235], v[236:237], v[234:235]
	v_rcp_f64_e32 v[216:217], v[214:215]
	v_fma_f64 v[218:219], -v[214:215], v[216:217], 1.0
	v_fma_f64 v[216:217], v[216:217], v[218:219], v[216:217]
	v_fma_f64 v[218:219], -v[214:215], v[216:217], 1.0
	v_fma_f64 v[216:217], v[216:217], v[218:219], v[216:217]
	v_mul_f64 v[218:219], v[220:221], v[216:217]
	v_fma_f64 v[214:215], -v[214:215], v[218:219], v[220:221]
	v_div_fmas_f64 v[214:215], v[214:215], v[216:217], v[218:219]
	v_div_fixup_f64 v[214:215], v[214:215], v[236:237], v[234:235]
	v_fma_f64 v[216:217], v[234:235], v[214:215], v[236:237]
	v_div_scale_f64 v[218:219], null, v[216:217], v[216:217], 1.0
	v_rcp_f64_e32 v[220:221], v[218:219]
	v_fma_f64 v[222:223], -v[218:219], v[220:221], 1.0
	v_fma_f64 v[220:221], v[220:221], v[222:223], v[220:221]
	v_fma_f64 v[222:223], -v[218:219], v[220:221], 1.0
	v_fma_f64 v[220:221], v[220:221], v[222:223], v[220:221]
	v_div_scale_f64 v[222:223], vcc_lo, 1.0, v[216:217], 1.0
	v_mul_f64 v[224:225], v[222:223], v[220:221]
	v_fma_f64 v[218:219], -v[218:219], v[224:225], v[222:223]
	v_div_fmas_f64 v[218:219], v[218:219], v[220:221], v[224:225]
	v_div_fixup_f64 v[236:237], v[218:219], v[216:217], 1.0
	v_mul_f64 v[234:235], v[214:215], v[236:237]
	v_xor_b32_e32 v237, 0x80000000, v237
.LBB114_574:
	s_andn2_saveexec_b32 s1, s1
	s_cbranch_execz .LBB114_576
; %bb.575:
	v_div_scale_f64 v[214:215], null, v[234:235], v[234:235], v[236:237]
	v_div_scale_f64 v[220:221], vcc_lo, v[236:237], v[234:235], v[236:237]
	v_rcp_f64_e32 v[216:217], v[214:215]
	v_fma_f64 v[218:219], -v[214:215], v[216:217], 1.0
	v_fma_f64 v[216:217], v[216:217], v[218:219], v[216:217]
	v_fma_f64 v[218:219], -v[214:215], v[216:217], 1.0
	v_fma_f64 v[216:217], v[216:217], v[218:219], v[216:217]
	v_mul_f64 v[218:219], v[220:221], v[216:217]
	v_fma_f64 v[214:215], -v[214:215], v[218:219], v[220:221]
	v_div_fmas_f64 v[214:215], v[214:215], v[216:217], v[218:219]
	v_div_fixup_f64 v[214:215], v[214:215], v[234:235], v[236:237]
	v_fma_f64 v[216:217], v[236:237], v[214:215], v[234:235]
	v_div_scale_f64 v[218:219], null, v[216:217], v[216:217], 1.0
	v_rcp_f64_e32 v[220:221], v[218:219]
	v_fma_f64 v[222:223], -v[218:219], v[220:221], 1.0
	v_fma_f64 v[220:221], v[220:221], v[222:223], v[220:221]
	v_fma_f64 v[222:223], -v[218:219], v[220:221], 1.0
	v_fma_f64 v[220:221], v[220:221], v[222:223], v[220:221]
	v_div_scale_f64 v[222:223], vcc_lo, 1.0, v[216:217], 1.0
	v_mul_f64 v[224:225], v[222:223], v[220:221]
	v_fma_f64 v[218:219], -v[218:219], v[224:225], v[222:223]
	v_div_fmas_f64 v[218:219], v[218:219], v[220:221], v[224:225]
	v_div_fixup_f64 v[234:235], v[218:219], v[216:217], 1.0
	v_mul_f64 v[236:237], v[214:215], -v[234:235]
.LBB114_576:
	s_or_b32 exec_lo, exec_lo, s1
.LBB114_577:
	s_or_b32 exec_lo, exec_lo, s0
	s_mov_b32 s0, exec_lo
	v_cmpx_ne_u32_e64 v248, v242
	s_xor_b32 s0, exec_lo, s0
	s_cbranch_execz .LBB114_583
; %bb.578:
	s_mov_b32 s1, exec_lo
	v_cmpx_eq_u32_e32 27, v248
	s_cbranch_execz .LBB114_582
; %bb.579:
	v_cmp_ne_u32_e32 vcc_lo, 27, v242
	s_xor_b32 s7, s16, -1
	s_and_b32 s9, s7, vcc_lo
	s_and_saveexec_b32 s7, s9
	s_cbranch_execz .LBB114_581
; %bb.580:
	s_clause 0x1
	buffer_load_dword v210, off, s[20:23], 0
	buffer_load_dword v211, off, s[20:23], 0 offset:4
	v_ashrrev_i32_e32 v243, 31, v242
	v_lshlrev_b64 v[214:215], 2, v[242:243]
	s_waitcnt vmcnt(1)
	v_add_co_u32 v214, vcc_lo, v210, v214
	s_waitcnt vmcnt(0)
	v_add_co_ci_u32_e64 v215, null, v211, v215, vcc_lo
	s_clause 0x1
	global_load_dword v0, v[214:215], off
	global_load_dword v216, v[210:211], off offset:108
	s_waitcnt vmcnt(1)
	global_store_dword v[210:211], v0, off offset:108
	s_waitcnt vmcnt(0)
	global_store_dword v[214:215], v216, off
.LBB114_581:
	s_or_b32 exec_lo, exec_lo, s7
	v_mov_b32_e32 v248, v242
	v_mov_b32_e32 v0, v242
.LBB114_582:
	s_or_b32 exec_lo, exec_lo, s1
.LBB114_583:
	s_andn2_saveexec_b32 s0, s0
	s_cbranch_execz .LBB114_585
; %bb.584:
	v_mov_b32_e32 v248, 27
	ds_write2_b64 v1, v[118:119], v[120:121] offset0:56 offset1:57
	ds_write2_b64 v1, v[114:115], v[116:117] offset0:58 offset1:59
	;; [unrolled: 1-line block ×30, first 2 shown]
.LBB114_585:
	s_or_b32 exec_lo, exec_lo, s0
	s_mov_b32 s0, exec_lo
	s_waitcnt lgkmcnt(0)
	s_waitcnt_vscnt null, 0x0
	s_barrier
	buffer_gl0_inv
	v_cmpx_lt_i32_e32 27, v248
	s_cbranch_execz .LBB114_587
; %bb.586:
	v_mul_f64 v[214:215], v[236:237], v[124:125]
	v_mul_f64 v[124:125], v[234:235], v[124:125]
	v_fma_f64 v[242:243], v[234:235], v[122:123], -v[214:215]
	v_fma_f64 v[124:125], v[236:237], v[122:123], v[124:125]
	ds_read2_b64 v[234:237], v1 offset0:56 offset1:57
	s_waitcnt lgkmcnt(0)
	v_mul_f64 v[122:123], v[236:237], v[124:125]
	v_mul_f64 v[214:215], v[234:235], v[124:125]
	v_fma_f64 v[122:123], v[234:235], v[242:243], -v[122:123]
	v_fma_f64 v[214:215], v[236:237], v[242:243], v[214:215]
	ds_read2_b64 v[234:237], v1 offset0:58 offset1:59
	v_add_f64 v[118:119], v[118:119], -v[122:123]
	v_add_f64 v[120:121], v[120:121], -v[214:215]
	s_waitcnt lgkmcnt(0)
	v_mul_f64 v[122:123], v[236:237], v[124:125]
	v_mul_f64 v[214:215], v[234:235], v[124:125]
	v_fma_f64 v[122:123], v[234:235], v[242:243], -v[122:123]
	v_fma_f64 v[214:215], v[236:237], v[242:243], v[214:215]
	ds_read2_b64 v[234:237], v1 offset0:60 offset1:61
	v_add_f64 v[114:115], v[114:115], -v[122:123]
	v_add_f64 v[116:117], v[116:117], -v[214:215]
	;; [unrolled: 8-line block ×29, first 2 shown]
	s_waitcnt lgkmcnt(0)
	v_mul_f64 v[122:123], v[236:237], v[124:125]
	v_mul_f64 v[214:215], v[234:235], v[124:125]
	v_fma_f64 v[122:123], v[234:235], v[242:243], -v[122:123]
	v_fma_f64 v[214:215], v[236:237], v[242:243], v[214:215]
	v_add_f64 v[226:227], v[226:227], -v[122:123]
	v_add_f64 v[228:229], v[228:229], -v[214:215]
	v_mov_b32_e32 v122, v242
	v_mov_b32_e32 v123, v243
.LBB114_587:
	s_or_b32 exec_lo, exec_lo, s0
	v_lshl_add_u32 v214, v248, 4, v1
	s_barrier
	buffer_gl0_inv
	v_mov_b32_e32 v242, 28
	ds_write2_b64 v214, v[118:119], v[120:121] offset1:1
	s_waitcnt lgkmcnt(0)
	s_barrier
	buffer_gl0_inv
	ds_read2_b64 v[234:237], v1 offset0:56 offset1:57
	s_cmp_lt_i32 s8, 30
	s_cbranch_scc1 .LBB114_590
; %bb.588:
	v_add3_u32 v243, v254, 0, 0x1d0
	v_mov_b32_e32 v242, 28
	s_mov_b32 s0, 29
	s_inst_prefetch 0x1
	.p2align	6
.LBB114_589:                            ; =>This Inner Loop Header: Depth=1
	s_waitcnt lgkmcnt(0)
	v_cmp_gt_f64_e32 vcc_lo, 0, v[234:235]
	v_xor_b32_e32 v214, 0x80000000, v235
	ds_read2_b64 v[249:252], v243 offset1:1
	v_xor_b32_e32 v216, 0x80000000, v237
	v_add_nc_u32_e32 v243, 16, v243
	s_waitcnt lgkmcnt(0)
	v_xor_b32_e32 v218, 0x80000000, v252
	v_cndmask_b32_e32 v215, v235, v214, vcc_lo
	v_cmp_gt_f64_e32 vcc_lo, 0, v[236:237]
	v_mov_b32_e32 v214, v234
	v_cndmask_b32_e32 v217, v237, v216, vcc_lo
	v_cmp_gt_f64_e32 vcc_lo, 0, v[249:250]
	v_mov_b32_e32 v216, v236
	v_add_f64 v[214:215], v[214:215], v[216:217]
	v_xor_b32_e32 v216, 0x80000000, v250
	v_cndmask_b32_e32 v217, v250, v216, vcc_lo
	v_cmp_gt_f64_e32 vcc_lo, 0, v[251:252]
	v_mov_b32_e32 v216, v249
	v_cndmask_b32_e32 v219, v252, v218, vcc_lo
	v_mov_b32_e32 v218, v251
	v_add_f64 v[216:217], v[216:217], v[218:219]
	v_cmp_lt_f64_e32 vcc_lo, v[214:215], v[216:217]
	v_cndmask_b32_e32 v235, v235, v250, vcc_lo
	v_cndmask_b32_e32 v234, v234, v249, vcc_lo
	;; [unrolled: 1-line block ×4, first 2 shown]
	v_cndmask_b32_e64 v242, v242, s0, vcc_lo
	s_add_i32 s0, s0, 1
	s_cmp_lg_u32 s8, s0
	s_cbranch_scc1 .LBB114_589
.LBB114_590:
	s_inst_prefetch 0x2
	s_waitcnt lgkmcnt(0)
	v_cmp_eq_f64_e32 vcc_lo, 0, v[234:235]
	v_cmp_eq_f64_e64 s0, 0, v[236:237]
	s_and_b32 s0, vcc_lo, s0
	s_and_saveexec_b32 s1, s0
	s_xor_b32 s0, exec_lo, s1
; %bb.591:
	v_cmp_ne_u32_e32 vcc_lo, 0, v247
	v_cndmask_b32_e32 v247, 29, v247, vcc_lo
; %bb.592:
	s_andn2_saveexec_b32 s0, s0
	s_cbranch_execz .LBB114_598
; %bb.593:
	v_cmp_ngt_f64_e64 s1, |v[234:235]|, |v[236:237]|
	s_and_saveexec_b32 s7, s1
	s_xor_b32 s1, exec_lo, s7
	s_cbranch_execz .LBB114_595
; %bb.594:
	v_div_scale_f64 v[214:215], null, v[236:237], v[236:237], v[234:235]
	v_div_scale_f64 v[220:221], vcc_lo, v[234:235], v[236:237], v[234:235]
	v_rcp_f64_e32 v[216:217], v[214:215]
	v_fma_f64 v[218:219], -v[214:215], v[216:217], 1.0
	v_fma_f64 v[216:217], v[216:217], v[218:219], v[216:217]
	v_fma_f64 v[218:219], -v[214:215], v[216:217], 1.0
	v_fma_f64 v[216:217], v[216:217], v[218:219], v[216:217]
	v_mul_f64 v[218:219], v[220:221], v[216:217]
	v_fma_f64 v[214:215], -v[214:215], v[218:219], v[220:221]
	v_div_fmas_f64 v[214:215], v[214:215], v[216:217], v[218:219]
	v_div_fixup_f64 v[214:215], v[214:215], v[236:237], v[234:235]
	v_fma_f64 v[216:217], v[234:235], v[214:215], v[236:237]
	v_div_scale_f64 v[218:219], null, v[216:217], v[216:217], 1.0
	v_rcp_f64_e32 v[220:221], v[218:219]
	v_fma_f64 v[222:223], -v[218:219], v[220:221], 1.0
	v_fma_f64 v[220:221], v[220:221], v[222:223], v[220:221]
	v_fma_f64 v[222:223], -v[218:219], v[220:221], 1.0
	v_fma_f64 v[220:221], v[220:221], v[222:223], v[220:221]
	v_div_scale_f64 v[222:223], vcc_lo, 1.0, v[216:217], 1.0
	v_mul_f64 v[224:225], v[222:223], v[220:221]
	v_fma_f64 v[218:219], -v[218:219], v[224:225], v[222:223]
	v_div_fmas_f64 v[218:219], v[218:219], v[220:221], v[224:225]
	v_div_fixup_f64 v[236:237], v[218:219], v[216:217], 1.0
	v_mul_f64 v[234:235], v[214:215], v[236:237]
	v_xor_b32_e32 v237, 0x80000000, v237
.LBB114_595:
	s_andn2_saveexec_b32 s1, s1
	s_cbranch_execz .LBB114_597
; %bb.596:
	v_div_scale_f64 v[214:215], null, v[234:235], v[234:235], v[236:237]
	v_div_scale_f64 v[220:221], vcc_lo, v[236:237], v[234:235], v[236:237]
	v_rcp_f64_e32 v[216:217], v[214:215]
	v_fma_f64 v[218:219], -v[214:215], v[216:217], 1.0
	v_fma_f64 v[216:217], v[216:217], v[218:219], v[216:217]
	v_fma_f64 v[218:219], -v[214:215], v[216:217], 1.0
	v_fma_f64 v[216:217], v[216:217], v[218:219], v[216:217]
	v_mul_f64 v[218:219], v[220:221], v[216:217]
	v_fma_f64 v[214:215], -v[214:215], v[218:219], v[220:221]
	v_div_fmas_f64 v[214:215], v[214:215], v[216:217], v[218:219]
	v_div_fixup_f64 v[214:215], v[214:215], v[234:235], v[236:237]
	v_fma_f64 v[216:217], v[236:237], v[214:215], v[234:235]
	v_div_scale_f64 v[218:219], null, v[216:217], v[216:217], 1.0
	v_rcp_f64_e32 v[220:221], v[218:219]
	v_fma_f64 v[222:223], -v[218:219], v[220:221], 1.0
	v_fma_f64 v[220:221], v[220:221], v[222:223], v[220:221]
	v_fma_f64 v[222:223], -v[218:219], v[220:221], 1.0
	v_fma_f64 v[220:221], v[220:221], v[222:223], v[220:221]
	v_div_scale_f64 v[222:223], vcc_lo, 1.0, v[216:217], 1.0
	v_mul_f64 v[224:225], v[222:223], v[220:221]
	v_fma_f64 v[218:219], -v[218:219], v[224:225], v[222:223]
	v_div_fmas_f64 v[218:219], v[218:219], v[220:221], v[224:225]
	v_div_fixup_f64 v[234:235], v[218:219], v[216:217], 1.0
	v_mul_f64 v[236:237], v[214:215], -v[234:235]
.LBB114_597:
	s_or_b32 exec_lo, exec_lo, s1
.LBB114_598:
	s_or_b32 exec_lo, exec_lo, s0
	s_mov_b32 s0, exec_lo
	v_cmpx_ne_u32_e64 v248, v242
	s_xor_b32 s0, exec_lo, s0
	s_cbranch_execz .LBB114_604
; %bb.599:
	s_mov_b32 s1, exec_lo
	v_cmpx_eq_u32_e32 28, v248
	s_cbranch_execz .LBB114_603
; %bb.600:
	v_cmp_ne_u32_e32 vcc_lo, 28, v242
	s_xor_b32 s7, s16, -1
	s_and_b32 s9, s7, vcc_lo
	s_and_saveexec_b32 s7, s9
	s_cbranch_execz .LBB114_602
; %bb.601:
	s_clause 0x1
	buffer_load_dword v210, off, s[20:23], 0
	buffer_load_dword v211, off, s[20:23], 0 offset:4
	v_ashrrev_i32_e32 v243, 31, v242
	v_lshlrev_b64 v[214:215], 2, v[242:243]
	s_waitcnt vmcnt(1)
	v_add_co_u32 v214, vcc_lo, v210, v214
	s_waitcnt vmcnt(0)
	v_add_co_ci_u32_e64 v215, null, v211, v215, vcc_lo
	s_clause 0x1
	global_load_dword v0, v[214:215], off
	global_load_dword v216, v[210:211], off offset:112
	s_waitcnt vmcnt(1)
	global_store_dword v[210:211], v0, off offset:112
	s_waitcnt vmcnt(0)
	global_store_dword v[214:215], v216, off
.LBB114_602:
	s_or_b32 exec_lo, exec_lo, s7
	v_mov_b32_e32 v248, v242
	v_mov_b32_e32 v0, v242
.LBB114_603:
	s_or_b32 exec_lo, exec_lo, s1
.LBB114_604:
	s_andn2_saveexec_b32 s0, s0
	s_cbranch_execz .LBB114_606
; %bb.605:
	v_mov_b32_e32 v248, 28
	ds_write2_b64 v1, v[114:115], v[116:117] offset0:58 offset1:59
	ds_write2_b64 v1, v[110:111], v[112:113] offset0:60 offset1:61
	ds_write2_b64 v1, v[106:107], v[108:109] offset0:62 offset1:63
	ds_write2_b64 v1, v[102:103], v[104:105] offset0:64 offset1:65
	ds_write2_b64 v1, v[98:99], v[100:101] offset0:66 offset1:67
	ds_write2_b64 v1, v[94:95], v[96:97] offset0:68 offset1:69
	ds_write2_b64 v1, v[90:91], v[92:93] offset0:70 offset1:71
	ds_write2_b64 v1, v[86:87], v[88:89] offset0:72 offset1:73
	ds_write2_b64 v1, v[82:83], v[84:85] offset0:74 offset1:75
	ds_write2_b64 v1, v[78:79], v[80:81] offset0:76 offset1:77
	ds_write2_b64 v1, v[74:75], v[76:77] offset0:78 offset1:79
	ds_write2_b64 v1, v[70:71], v[72:73] offset0:80 offset1:81
	ds_write2_b64 v1, v[66:67], v[68:69] offset0:82 offset1:83
	ds_write2_b64 v1, v[62:63], v[64:65] offset0:84 offset1:85
	ds_write2_b64 v1, v[58:59], v[60:61] offset0:86 offset1:87
	ds_write2_b64 v1, v[54:55], v[56:57] offset0:88 offset1:89
	ds_write2_b64 v1, v[50:51], v[52:53] offset0:90 offset1:91
	ds_write2_b64 v1, v[46:47], v[48:49] offset0:92 offset1:93
	ds_write2_b64 v1, v[42:43], v[44:45] offset0:94 offset1:95
	ds_write2_b64 v1, v[38:39], v[40:41] offset0:96 offset1:97
	ds_write2_b64 v1, v[34:35], v[36:37] offset0:98 offset1:99
	ds_write2_b64 v1, v[30:31], v[32:33] offset0:100 offset1:101
	ds_write2_b64 v1, v[26:27], v[28:29] offset0:102 offset1:103
	ds_write2_b64 v1, v[22:23], v[24:25] offset0:104 offset1:105
	ds_write2_b64 v1, v[18:19], v[20:21] offset0:106 offset1:107
	ds_write2_b64 v1, v[14:15], v[16:17] offset0:108 offset1:109
	ds_write2_b64 v1, v[10:11], v[12:13] offset0:110 offset1:111
	ds_write2_b64 v1, v[238:239], v[240:241] offset0:112 offset1:113
	ds_write2_b64 v1, v[226:227], v[228:229] offset0:114 offset1:115
.LBB114_606:
	s_or_b32 exec_lo, exec_lo, s0
	s_mov_b32 s0, exec_lo
	s_waitcnt lgkmcnt(0)
	s_waitcnt_vscnt null, 0x0
	s_barrier
	buffer_gl0_inv
	v_cmpx_lt_i32_e32 28, v248
	s_cbranch_execz .LBB114_608
; %bb.607:
	v_mul_f64 v[214:215], v[236:237], v[120:121]
	v_mul_f64 v[120:121], v[234:235], v[120:121]
	v_fma_f64 v[242:243], v[234:235], v[118:119], -v[214:215]
	v_fma_f64 v[120:121], v[236:237], v[118:119], v[120:121]
	ds_read2_b64 v[234:237], v1 offset0:58 offset1:59
	s_waitcnt lgkmcnt(0)
	v_mul_f64 v[118:119], v[236:237], v[120:121]
	v_mul_f64 v[214:215], v[234:235], v[120:121]
	v_fma_f64 v[118:119], v[234:235], v[242:243], -v[118:119]
	v_fma_f64 v[214:215], v[236:237], v[242:243], v[214:215]
	ds_read2_b64 v[234:237], v1 offset0:60 offset1:61
	v_add_f64 v[114:115], v[114:115], -v[118:119]
	v_add_f64 v[116:117], v[116:117], -v[214:215]
	s_waitcnt lgkmcnt(0)
	v_mul_f64 v[118:119], v[236:237], v[120:121]
	v_mul_f64 v[214:215], v[234:235], v[120:121]
	v_fma_f64 v[118:119], v[234:235], v[242:243], -v[118:119]
	v_fma_f64 v[214:215], v[236:237], v[242:243], v[214:215]
	ds_read2_b64 v[234:237], v1 offset0:62 offset1:63
	v_add_f64 v[110:111], v[110:111], -v[118:119]
	v_add_f64 v[112:113], v[112:113], -v[214:215]
	;; [unrolled: 8-line block ×28, first 2 shown]
	s_waitcnt lgkmcnt(0)
	v_mul_f64 v[118:119], v[236:237], v[120:121]
	v_mul_f64 v[214:215], v[234:235], v[120:121]
	v_fma_f64 v[118:119], v[234:235], v[242:243], -v[118:119]
	v_fma_f64 v[214:215], v[236:237], v[242:243], v[214:215]
	v_add_f64 v[226:227], v[226:227], -v[118:119]
	v_add_f64 v[228:229], v[228:229], -v[214:215]
	v_mov_b32_e32 v118, v242
	v_mov_b32_e32 v119, v243
.LBB114_608:
	s_or_b32 exec_lo, exec_lo, s0
	v_lshl_add_u32 v214, v248, 4, v1
	s_barrier
	buffer_gl0_inv
	v_mov_b32_e32 v242, 29
	ds_write2_b64 v214, v[114:115], v[116:117] offset1:1
	s_waitcnt lgkmcnt(0)
	s_barrier
	buffer_gl0_inv
	ds_read2_b64 v[234:237], v1 offset0:58 offset1:59
	s_cmp_lt_i32 s8, 31
	s_cbranch_scc1 .LBB114_611
; %bb.609:
	v_add3_u32 v243, v254, 0, 0x1e0
	v_mov_b32_e32 v242, 29
	s_mov_b32 s0, 30
	s_inst_prefetch 0x1
	.p2align	6
.LBB114_610:                            ; =>This Inner Loop Header: Depth=1
	s_waitcnt lgkmcnt(0)
	v_cmp_gt_f64_e32 vcc_lo, 0, v[234:235]
	v_xor_b32_e32 v214, 0x80000000, v235
	ds_read2_b64 v[249:252], v243 offset1:1
	v_xor_b32_e32 v216, 0x80000000, v237
	v_add_nc_u32_e32 v243, 16, v243
	s_waitcnt lgkmcnt(0)
	v_xor_b32_e32 v218, 0x80000000, v252
	v_cndmask_b32_e32 v215, v235, v214, vcc_lo
	v_cmp_gt_f64_e32 vcc_lo, 0, v[236:237]
	v_mov_b32_e32 v214, v234
	v_cndmask_b32_e32 v217, v237, v216, vcc_lo
	v_cmp_gt_f64_e32 vcc_lo, 0, v[249:250]
	v_mov_b32_e32 v216, v236
	v_add_f64 v[214:215], v[214:215], v[216:217]
	v_xor_b32_e32 v216, 0x80000000, v250
	v_cndmask_b32_e32 v217, v250, v216, vcc_lo
	v_cmp_gt_f64_e32 vcc_lo, 0, v[251:252]
	v_mov_b32_e32 v216, v249
	v_cndmask_b32_e32 v219, v252, v218, vcc_lo
	v_mov_b32_e32 v218, v251
	v_add_f64 v[216:217], v[216:217], v[218:219]
	v_cmp_lt_f64_e32 vcc_lo, v[214:215], v[216:217]
	v_cndmask_b32_e32 v235, v235, v250, vcc_lo
	v_cndmask_b32_e32 v234, v234, v249, vcc_lo
	;; [unrolled: 1-line block ×4, first 2 shown]
	v_cndmask_b32_e64 v242, v242, s0, vcc_lo
	s_add_i32 s0, s0, 1
	s_cmp_lg_u32 s8, s0
	s_cbranch_scc1 .LBB114_610
.LBB114_611:
	s_inst_prefetch 0x2
	s_waitcnt lgkmcnt(0)
	v_cmp_eq_f64_e32 vcc_lo, 0, v[234:235]
	v_cmp_eq_f64_e64 s0, 0, v[236:237]
	s_and_b32 s0, vcc_lo, s0
	s_and_saveexec_b32 s1, s0
	s_xor_b32 s0, exec_lo, s1
; %bb.612:
	v_cmp_ne_u32_e32 vcc_lo, 0, v247
	v_cndmask_b32_e32 v247, 30, v247, vcc_lo
; %bb.613:
	s_andn2_saveexec_b32 s0, s0
	s_cbranch_execz .LBB114_619
; %bb.614:
	v_cmp_ngt_f64_e64 s1, |v[234:235]|, |v[236:237]|
	s_and_saveexec_b32 s7, s1
	s_xor_b32 s1, exec_lo, s7
	s_cbranch_execz .LBB114_616
; %bb.615:
	v_div_scale_f64 v[214:215], null, v[236:237], v[236:237], v[234:235]
	v_div_scale_f64 v[220:221], vcc_lo, v[234:235], v[236:237], v[234:235]
	v_rcp_f64_e32 v[216:217], v[214:215]
	v_fma_f64 v[218:219], -v[214:215], v[216:217], 1.0
	v_fma_f64 v[216:217], v[216:217], v[218:219], v[216:217]
	v_fma_f64 v[218:219], -v[214:215], v[216:217], 1.0
	v_fma_f64 v[216:217], v[216:217], v[218:219], v[216:217]
	v_mul_f64 v[218:219], v[220:221], v[216:217]
	v_fma_f64 v[214:215], -v[214:215], v[218:219], v[220:221]
	v_div_fmas_f64 v[214:215], v[214:215], v[216:217], v[218:219]
	v_div_fixup_f64 v[214:215], v[214:215], v[236:237], v[234:235]
	v_fma_f64 v[216:217], v[234:235], v[214:215], v[236:237]
	v_div_scale_f64 v[218:219], null, v[216:217], v[216:217], 1.0
	v_rcp_f64_e32 v[220:221], v[218:219]
	v_fma_f64 v[222:223], -v[218:219], v[220:221], 1.0
	v_fma_f64 v[220:221], v[220:221], v[222:223], v[220:221]
	v_fma_f64 v[222:223], -v[218:219], v[220:221], 1.0
	v_fma_f64 v[220:221], v[220:221], v[222:223], v[220:221]
	v_div_scale_f64 v[222:223], vcc_lo, 1.0, v[216:217], 1.0
	v_mul_f64 v[224:225], v[222:223], v[220:221]
	v_fma_f64 v[218:219], -v[218:219], v[224:225], v[222:223]
	v_div_fmas_f64 v[218:219], v[218:219], v[220:221], v[224:225]
	v_div_fixup_f64 v[236:237], v[218:219], v[216:217], 1.0
	v_mul_f64 v[234:235], v[214:215], v[236:237]
	v_xor_b32_e32 v237, 0x80000000, v237
.LBB114_616:
	s_andn2_saveexec_b32 s1, s1
	s_cbranch_execz .LBB114_618
; %bb.617:
	v_div_scale_f64 v[214:215], null, v[234:235], v[234:235], v[236:237]
	v_div_scale_f64 v[220:221], vcc_lo, v[236:237], v[234:235], v[236:237]
	v_rcp_f64_e32 v[216:217], v[214:215]
	v_fma_f64 v[218:219], -v[214:215], v[216:217], 1.0
	v_fma_f64 v[216:217], v[216:217], v[218:219], v[216:217]
	v_fma_f64 v[218:219], -v[214:215], v[216:217], 1.0
	v_fma_f64 v[216:217], v[216:217], v[218:219], v[216:217]
	v_mul_f64 v[218:219], v[220:221], v[216:217]
	v_fma_f64 v[214:215], -v[214:215], v[218:219], v[220:221]
	v_div_fmas_f64 v[214:215], v[214:215], v[216:217], v[218:219]
	v_div_fixup_f64 v[214:215], v[214:215], v[234:235], v[236:237]
	v_fma_f64 v[216:217], v[236:237], v[214:215], v[234:235]
	v_div_scale_f64 v[218:219], null, v[216:217], v[216:217], 1.0
	v_rcp_f64_e32 v[220:221], v[218:219]
	v_fma_f64 v[222:223], -v[218:219], v[220:221], 1.0
	v_fma_f64 v[220:221], v[220:221], v[222:223], v[220:221]
	v_fma_f64 v[222:223], -v[218:219], v[220:221], 1.0
	v_fma_f64 v[220:221], v[220:221], v[222:223], v[220:221]
	v_div_scale_f64 v[222:223], vcc_lo, 1.0, v[216:217], 1.0
	v_mul_f64 v[224:225], v[222:223], v[220:221]
	v_fma_f64 v[218:219], -v[218:219], v[224:225], v[222:223]
	v_div_fmas_f64 v[218:219], v[218:219], v[220:221], v[224:225]
	v_div_fixup_f64 v[234:235], v[218:219], v[216:217], 1.0
	v_mul_f64 v[236:237], v[214:215], -v[234:235]
.LBB114_618:
	s_or_b32 exec_lo, exec_lo, s1
.LBB114_619:
	s_or_b32 exec_lo, exec_lo, s0
	s_mov_b32 s0, exec_lo
	v_cmpx_ne_u32_e64 v248, v242
	s_xor_b32 s0, exec_lo, s0
	s_cbranch_execz .LBB114_625
; %bb.620:
	s_mov_b32 s1, exec_lo
	v_cmpx_eq_u32_e32 29, v248
	s_cbranch_execz .LBB114_624
; %bb.621:
	v_cmp_ne_u32_e32 vcc_lo, 29, v242
	s_xor_b32 s7, s16, -1
	s_and_b32 s9, s7, vcc_lo
	s_and_saveexec_b32 s7, s9
	s_cbranch_execz .LBB114_623
; %bb.622:
	s_clause 0x1
	buffer_load_dword v210, off, s[20:23], 0
	buffer_load_dword v211, off, s[20:23], 0 offset:4
	v_ashrrev_i32_e32 v243, 31, v242
	v_lshlrev_b64 v[214:215], 2, v[242:243]
	s_waitcnt vmcnt(1)
	v_add_co_u32 v214, vcc_lo, v210, v214
	s_waitcnt vmcnt(0)
	v_add_co_ci_u32_e64 v215, null, v211, v215, vcc_lo
	s_clause 0x1
	global_load_dword v0, v[214:215], off
	global_load_dword v216, v[210:211], off offset:116
	s_waitcnt vmcnt(1)
	global_store_dword v[210:211], v0, off offset:116
	s_waitcnt vmcnt(0)
	global_store_dword v[214:215], v216, off
.LBB114_623:
	s_or_b32 exec_lo, exec_lo, s7
	v_mov_b32_e32 v248, v242
	v_mov_b32_e32 v0, v242
.LBB114_624:
	s_or_b32 exec_lo, exec_lo, s1
.LBB114_625:
	s_andn2_saveexec_b32 s0, s0
	s_cbranch_execz .LBB114_627
; %bb.626:
	v_mov_b32_e32 v248, 29
	ds_write2_b64 v1, v[110:111], v[112:113] offset0:60 offset1:61
	ds_write2_b64 v1, v[106:107], v[108:109] offset0:62 offset1:63
	;; [unrolled: 1-line block ×28, first 2 shown]
.LBB114_627:
	s_or_b32 exec_lo, exec_lo, s0
	s_mov_b32 s0, exec_lo
	s_waitcnt lgkmcnt(0)
	s_waitcnt_vscnt null, 0x0
	s_barrier
	buffer_gl0_inv
	v_cmpx_lt_i32_e32 29, v248
	s_cbranch_execz .LBB114_629
; %bb.628:
	v_mul_f64 v[214:215], v[236:237], v[116:117]
	v_mul_f64 v[116:117], v[234:235], v[116:117]
	v_fma_f64 v[242:243], v[234:235], v[114:115], -v[214:215]
	v_fma_f64 v[116:117], v[236:237], v[114:115], v[116:117]
	ds_read2_b64 v[234:237], v1 offset0:60 offset1:61
	s_waitcnt lgkmcnt(0)
	v_mul_f64 v[114:115], v[236:237], v[116:117]
	v_mul_f64 v[214:215], v[234:235], v[116:117]
	v_fma_f64 v[114:115], v[234:235], v[242:243], -v[114:115]
	v_fma_f64 v[214:215], v[236:237], v[242:243], v[214:215]
	ds_read2_b64 v[234:237], v1 offset0:62 offset1:63
	v_add_f64 v[110:111], v[110:111], -v[114:115]
	v_add_f64 v[112:113], v[112:113], -v[214:215]
	s_waitcnt lgkmcnt(0)
	v_mul_f64 v[114:115], v[236:237], v[116:117]
	v_mul_f64 v[214:215], v[234:235], v[116:117]
	v_fma_f64 v[114:115], v[234:235], v[242:243], -v[114:115]
	v_fma_f64 v[214:215], v[236:237], v[242:243], v[214:215]
	ds_read2_b64 v[234:237], v1 offset0:64 offset1:65
	v_add_f64 v[106:107], v[106:107], -v[114:115]
	v_add_f64 v[108:109], v[108:109], -v[214:215]
	;; [unrolled: 8-line block ×27, first 2 shown]
	s_waitcnt lgkmcnt(0)
	v_mul_f64 v[114:115], v[236:237], v[116:117]
	v_mul_f64 v[214:215], v[234:235], v[116:117]
	v_fma_f64 v[114:115], v[234:235], v[242:243], -v[114:115]
	v_fma_f64 v[214:215], v[236:237], v[242:243], v[214:215]
	v_add_f64 v[226:227], v[226:227], -v[114:115]
	v_add_f64 v[228:229], v[228:229], -v[214:215]
	v_mov_b32_e32 v114, v242
	v_mov_b32_e32 v115, v243
.LBB114_629:
	s_or_b32 exec_lo, exec_lo, s0
	v_lshl_add_u32 v214, v248, 4, v1
	s_barrier
	buffer_gl0_inv
	v_mov_b32_e32 v242, 30
	ds_write2_b64 v214, v[110:111], v[112:113] offset1:1
	s_waitcnt lgkmcnt(0)
	s_barrier
	buffer_gl0_inv
	ds_read2_b64 v[234:237], v1 offset0:60 offset1:61
	s_cmp_lt_i32 s8, 32
	s_cbranch_scc1 .LBB114_632
; %bb.630:
	v_add3_u32 v243, v254, 0, 0x1f0
	v_mov_b32_e32 v242, 30
	s_mov_b32 s0, 31
	s_inst_prefetch 0x1
	.p2align	6
.LBB114_631:                            ; =>This Inner Loop Header: Depth=1
	s_waitcnt lgkmcnt(0)
	v_cmp_gt_f64_e32 vcc_lo, 0, v[234:235]
	v_xor_b32_e32 v214, 0x80000000, v235
	ds_read2_b64 v[249:252], v243 offset1:1
	v_xor_b32_e32 v216, 0x80000000, v237
	v_add_nc_u32_e32 v243, 16, v243
	s_waitcnt lgkmcnt(0)
	v_xor_b32_e32 v218, 0x80000000, v252
	v_cndmask_b32_e32 v215, v235, v214, vcc_lo
	v_cmp_gt_f64_e32 vcc_lo, 0, v[236:237]
	v_mov_b32_e32 v214, v234
	v_cndmask_b32_e32 v217, v237, v216, vcc_lo
	v_cmp_gt_f64_e32 vcc_lo, 0, v[249:250]
	v_mov_b32_e32 v216, v236
	v_add_f64 v[214:215], v[214:215], v[216:217]
	v_xor_b32_e32 v216, 0x80000000, v250
	v_cndmask_b32_e32 v217, v250, v216, vcc_lo
	v_cmp_gt_f64_e32 vcc_lo, 0, v[251:252]
	v_mov_b32_e32 v216, v249
	v_cndmask_b32_e32 v219, v252, v218, vcc_lo
	v_mov_b32_e32 v218, v251
	v_add_f64 v[216:217], v[216:217], v[218:219]
	v_cmp_lt_f64_e32 vcc_lo, v[214:215], v[216:217]
	v_cndmask_b32_e32 v235, v235, v250, vcc_lo
	v_cndmask_b32_e32 v234, v234, v249, vcc_lo
	;; [unrolled: 1-line block ×4, first 2 shown]
	v_cndmask_b32_e64 v242, v242, s0, vcc_lo
	s_add_i32 s0, s0, 1
	s_cmp_lg_u32 s8, s0
	s_cbranch_scc1 .LBB114_631
.LBB114_632:
	s_inst_prefetch 0x2
	s_waitcnt lgkmcnt(0)
	v_cmp_eq_f64_e32 vcc_lo, 0, v[234:235]
	v_cmp_eq_f64_e64 s0, 0, v[236:237]
	s_and_b32 s0, vcc_lo, s0
	s_and_saveexec_b32 s1, s0
	s_xor_b32 s0, exec_lo, s1
; %bb.633:
	v_cmp_ne_u32_e32 vcc_lo, 0, v247
	v_cndmask_b32_e32 v247, 31, v247, vcc_lo
; %bb.634:
	s_andn2_saveexec_b32 s0, s0
	s_cbranch_execz .LBB114_640
; %bb.635:
	v_cmp_ngt_f64_e64 s1, |v[234:235]|, |v[236:237]|
	s_and_saveexec_b32 s7, s1
	s_xor_b32 s1, exec_lo, s7
	s_cbranch_execz .LBB114_637
; %bb.636:
	v_div_scale_f64 v[214:215], null, v[236:237], v[236:237], v[234:235]
	v_div_scale_f64 v[220:221], vcc_lo, v[234:235], v[236:237], v[234:235]
	v_rcp_f64_e32 v[216:217], v[214:215]
	v_fma_f64 v[218:219], -v[214:215], v[216:217], 1.0
	v_fma_f64 v[216:217], v[216:217], v[218:219], v[216:217]
	v_fma_f64 v[218:219], -v[214:215], v[216:217], 1.0
	v_fma_f64 v[216:217], v[216:217], v[218:219], v[216:217]
	v_mul_f64 v[218:219], v[220:221], v[216:217]
	v_fma_f64 v[214:215], -v[214:215], v[218:219], v[220:221]
	v_div_fmas_f64 v[214:215], v[214:215], v[216:217], v[218:219]
	v_div_fixup_f64 v[214:215], v[214:215], v[236:237], v[234:235]
	v_fma_f64 v[216:217], v[234:235], v[214:215], v[236:237]
	v_div_scale_f64 v[218:219], null, v[216:217], v[216:217], 1.0
	v_rcp_f64_e32 v[220:221], v[218:219]
	v_fma_f64 v[222:223], -v[218:219], v[220:221], 1.0
	v_fma_f64 v[220:221], v[220:221], v[222:223], v[220:221]
	v_fma_f64 v[222:223], -v[218:219], v[220:221], 1.0
	v_fma_f64 v[220:221], v[220:221], v[222:223], v[220:221]
	v_div_scale_f64 v[222:223], vcc_lo, 1.0, v[216:217], 1.0
	v_mul_f64 v[224:225], v[222:223], v[220:221]
	v_fma_f64 v[218:219], -v[218:219], v[224:225], v[222:223]
	v_div_fmas_f64 v[218:219], v[218:219], v[220:221], v[224:225]
	v_div_fixup_f64 v[236:237], v[218:219], v[216:217], 1.0
	v_mul_f64 v[234:235], v[214:215], v[236:237]
	v_xor_b32_e32 v237, 0x80000000, v237
.LBB114_637:
	s_andn2_saveexec_b32 s1, s1
	s_cbranch_execz .LBB114_639
; %bb.638:
	v_div_scale_f64 v[214:215], null, v[234:235], v[234:235], v[236:237]
	v_div_scale_f64 v[220:221], vcc_lo, v[236:237], v[234:235], v[236:237]
	v_rcp_f64_e32 v[216:217], v[214:215]
	v_fma_f64 v[218:219], -v[214:215], v[216:217], 1.0
	v_fma_f64 v[216:217], v[216:217], v[218:219], v[216:217]
	v_fma_f64 v[218:219], -v[214:215], v[216:217], 1.0
	v_fma_f64 v[216:217], v[216:217], v[218:219], v[216:217]
	v_mul_f64 v[218:219], v[220:221], v[216:217]
	v_fma_f64 v[214:215], -v[214:215], v[218:219], v[220:221]
	v_div_fmas_f64 v[214:215], v[214:215], v[216:217], v[218:219]
	v_div_fixup_f64 v[214:215], v[214:215], v[234:235], v[236:237]
	v_fma_f64 v[216:217], v[236:237], v[214:215], v[234:235]
	v_div_scale_f64 v[218:219], null, v[216:217], v[216:217], 1.0
	v_rcp_f64_e32 v[220:221], v[218:219]
	v_fma_f64 v[222:223], -v[218:219], v[220:221], 1.0
	v_fma_f64 v[220:221], v[220:221], v[222:223], v[220:221]
	v_fma_f64 v[222:223], -v[218:219], v[220:221], 1.0
	v_fma_f64 v[220:221], v[220:221], v[222:223], v[220:221]
	v_div_scale_f64 v[222:223], vcc_lo, 1.0, v[216:217], 1.0
	v_mul_f64 v[224:225], v[222:223], v[220:221]
	v_fma_f64 v[218:219], -v[218:219], v[224:225], v[222:223]
	v_div_fmas_f64 v[218:219], v[218:219], v[220:221], v[224:225]
	v_div_fixup_f64 v[234:235], v[218:219], v[216:217], 1.0
	v_mul_f64 v[236:237], v[214:215], -v[234:235]
.LBB114_639:
	s_or_b32 exec_lo, exec_lo, s1
.LBB114_640:
	s_or_b32 exec_lo, exec_lo, s0
	s_mov_b32 s0, exec_lo
	v_cmpx_ne_u32_e64 v248, v242
	s_xor_b32 s0, exec_lo, s0
	s_cbranch_execz .LBB114_646
; %bb.641:
	s_mov_b32 s1, exec_lo
	v_cmpx_eq_u32_e32 30, v248
	s_cbranch_execz .LBB114_645
; %bb.642:
	v_cmp_ne_u32_e32 vcc_lo, 30, v242
	s_xor_b32 s7, s16, -1
	s_and_b32 s9, s7, vcc_lo
	s_and_saveexec_b32 s7, s9
	s_cbranch_execz .LBB114_644
; %bb.643:
	s_clause 0x1
	buffer_load_dword v210, off, s[20:23], 0
	buffer_load_dword v211, off, s[20:23], 0 offset:4
	v_ashrrev_i32_e32 v243, 31, v242
	v_lshlrev_b64 v[214:215], 2, v[242:243]
	s_waitcnt vmcnt(1)
	v_add_co_u32 v214, vcc_lo, v210, v214
	s_waitcnt vmcnt(0)
	v_add_co_ci_u32_e64 v215, null, v211, v215, vcc_lo
	s_clause 0x1
	global_load_dword v0, v[214:215], off
	global_load_dword v216, v[210:211], off offset:120
	s_waitcnt vmcnt(1)
	global_store_dword v[210:211], v0, off offset:120
	s_waitcnt vmcnt(0)
	global_store_dword v[214:215], v216, off
.LBB114_644:
	s_or_b32 exec_lo, exec_lo, s7
	v_mov_b32_e32 v248, v242
	v_mov_b32_e32 v0, v242
.LBB114_645:
	s_or_b32 exec_lo, exec_lo, s1
.LBB114_646:
	s_andn2_saveexec_b32 s0, s0
	s_cbranch_execz .LBB114_648
; %bb.647:
	v_mov_b32_e32 v248, 30
	ds_write2_b64 v1, v[106:107], v[108:109] offset0:62 offset1:63
	ds_write2_b64 v1, v[102:103], v[104:105] offset0:64 offset1:65
	;; [unrolled: 1-line block ×27, first 2 shown]
.LBB114_648:
	s_or_b32 exec_lo, exec_lo, s0
	s_mov_b32 s0, exec_lo
	s_waitcnt lgkmcnt(0)
	s_waitcnt_vscnt null, 0x0
	s_barrier
	buffer_gl0_inv
	v_cmpx_lt_i32_e32 30, v248
	s_cbranch_execz .LBB114_650
; %bb.649:
	v_mul_f64 v[214:215], v[236:237], v[112:113]
	v_mul_f64 v[112:113], v[234:235], v[112:113]
	v_fma_f64 v[242:243], v[234:235], v[110:111], -v[214:215]
	v_fma_f64 v[112:113], v[236:237], v[110:111], v[112:113]
	ds_read2_b64 v[234:237], v1 offset0:62 offset1:63
	s_waitcnt lgkmcnt(0)
	v_mul_f64 v[110:111], v[236:237], v[112:113]
	v_mul_f64 v[214:215], v[234:235], v[112:113]
	v_fma_f64 v[110:111], v[234:235], v[242:243], -v[110:111]
	v_fma_f64 v[214:215], v[236:237], v[242:243], v[214:215]
	ds_read2_b64 v[234:237], v1 offset0:64 offset1:65
	v_add_f64 v[106:107], v[106:107], -v[110:111]
	v_add_f64 v[108:109], v[108:109], -v[214:215]
	s_waitcnt lgkmcnt(0)
	v_mul_f64 v[110:111], v[236:237], v[112:113]
	v_mul_f64 v[214:215], v[234:235], v[112:113]
	v_fma_f64 v[110:111], v[234:235], v[242:243], -v[110:111]
	v_fma_f64 v[214:215], v[236:237], v[242:243], v[214:215]
	ds_read2_b64 v[234:237], v1 offset0:66 offset1:67
	v_add_f64 v[102:103], v[102:103], -v[110:111]
	v_add_f64 v[104:105], v[104:105], -v[214:215]
	;; [unrolled: 8-line block ×26, first 2 shown]
	s_waitcnt lgkmcnt(0)
	v_mul_f64 v[110:111], v[236:237], v[112:113]
	v_mul_f64 v[214:215], v[234:235], v[112:113]
	v_fma_f64 v[110:111], v[234:235], v[242:243], -v[110:111]
	v_fma_f64 v[214:215], v[236:237], v[242:243], v[214:215]
	v_add_f64 v[226:227], v[226:227], -v[110:111]
	v_add_f64 v[228:229], v[228:229], -v[214:215]
	v_mov_b32_e32 v110, v242
	v_mov_b32_e32 v111, v243
.LBB114_650:
	s_or_b32 exec_lo, exec_lo, s0
	v_lshl_add_u32 v214, v248, 4, v1
	s_barrier
	buffer_gl0_inv
	v_mov_b32_e32 v242, 31
	ds_write2_b64 v214, v[106:107], v[108:109] offset1:1
	s_waitcnt lgkmcnt(0)
	s_barrier
	buffer_gl0_inv
	ds_read2_b64 v[234:237], v1 offset0:62 offset1:63
	s_cmp_lt_i32 s8, 33
	s_cbranch_scc1 .LBB114_653
; %bb.651:
	v_add3_u32 v243, v254, 0, 0x200
	v_mov_b32_e32 v242, 31
	s_mov_b32 s0, 32
	s_inst_prefetch 0x1
	.p2align	6
.LBB114_652:                            ; =>This Inner Loop Header: Depth=1
	s_waitcnt lgkmcnt(0)
	v_cmp_gt_f64_e32 vcc_lo, 0, v[234:235]
	v_xor_b32_e32 v214, 0x80000000, v235
	ds_read2_b64 v[249:252], v243 offset1:1
	v_xor_b32_e32 v216, 0x80000000, v237
	v_add_nc_u32_e32 v243, 16, v243
	s_waitcnt lgkmcnt(0)
	v_xor_b32_e32 v218, 0x80000000, v252
	v_cndmask_b32_e32 v215, v235, v214, vcc_lo
	v_cmp_gt_f64_e32 vcc_lo, 0, v[236:237]
	v_mov_b32_e32 v214, v234
	v_cndmask_b32_e32 v217, v237, v216, vcc_lo
	v_cmp_gt_f64_e32 vcc_lo, 0, v[249:250]
	v_mov_b32_e32 v216, v236
	v_add_f64 v[214:215], v[214:215], v[216:217]
	v_xor_b32_e32 v216, 0x80000000, v250
	v_cndmask_b32_e32 v217, v250, v216, vcc_lo
	v_cmp_gt_f64_e32 vcc_lo, 0, v[251:252]
	v_mov_b32_e32 v216, v249
	v_cndmask_b32_e32 v219, v252, v218, vcc_lo
	v_mov_b32_e32 v218, v251
	v_add_f64 v[216:217], v[216:217], v[218:219]
	v_cmp_lt_f64_e32 vcc_lo, v[214:215], v[216:217]
	v_cndmask_b32_e32 v235, v235, v250, vcc_lo
	v_cndmask_b32_e32 v234, v234, v249, vcc_lo
	;; [unrolled: 1-line block ×4, first 2 shown]
	v_cndmask_b32_e64 v242, v242, s0, vcc_lo
	s_add_i32 s0, s0, 1
	s_cmp_lg_u32 s8, s0
	s_cbranch_scc1 .LBB114_652
.LBB114_653:
	s_inst_prefetch 0x2
	s_waitcnt lgkmcnt(0)
	v_cmp_eq_f64_e32 vcc_lo, 0, v[234:235]
	v_cmp_eq_f64_e64 s0, 0, v[236:237]
	s_and_b32 s0, vcc_lo, s0
	s_and_saveexec_b32 s1, s0
	s_xor_b32 s0, exec_lo, s1
; %bb.654:
	v_cmp_ne_u32_e32 vcc_lo, 0, v247
	v_cndmask_b32_e32 v247, 32, v247, vcc_lo
; %bb.655:
	s_andn2_saveexec_b32 s0, s0
	s_cbranch_execz .LBB114_661
; %bb.656:
	v_cmp_ngt_f64_e64 s1, |v[234:235]|, |v[236:237]|
	s_and_saveexec_b32 s7, s1
	s_xor_b32 s1, exec_lo, s7
	s_cbranch_execz .LBB114_658
; %bb.657:
	v_div_scale_f64 v[214:215], null, v[236:237], v[236:237], v[234:235]
	v_div_scale_f64 v[220:221], vcc_lo, v[234:235], v[236:237], v[234:235]
	v_rcp_f64_e32 v[216:217], v[214:215]
	v_fma_f64 v[218:219], -v[214:215], v[216:217], 1.0
	v_fma_f64 v[216:217], v[216:217], v[218:219], v[216:217]
	v_fma_f64 v[218:219], -v[214:215], v[216:217], 1.0
	v_fma_f64 v[216:217], v[216:217], v[218:219], v[216:217]
	v_mul_f64 v[218:219], v[220:221], v[216:217]
	v_fma_f64 v[214:215], -v[214:215], v[218:219], v[220:221]
	v_div_fmas_f64 v[214:215], v[214:215], v[216:217], v[218:219]
	v_div_fixup_f64 v[214:215], v[214:215], v[236:237], v[234:235]
	v_fma_f64 v[216:217], v[234:235], v[214:215], v[236:237]
	v_div_scale_f64 v[218:219], null, v[216:217], v[216:217], 1.0
	v_rcp_f64_e32 v[220:221], v[218:219]
	v_fma_f64 v[222:223], -v[218:219], v[220:221], 1.0
	v_fma_f64 v[220:221], v[220:221], v[222:223], v[220:221]
	v_fma_f64 v[222:223], -v[218:219], v[220:221], 1.0
	v_fma_f64 v[220:221], v[220:221], v[222:223], v[220:221]
	v_div_scale_f64 v[222:223], vcc_lo, 1.0, v[216:217], 1.0
	v_mul_f64 v[224:225], v[222:223], v[220:221]
	v_fma_f64 v[218:219], -v[218:219], v[224:225], v[222:223]
	v_div_fmas_f64 v[218:219], v[218:219], v[220:221], v[224:225]
	v_div_fixup_f64 v[236:237], v[218:219], v[216:217], 1.0
	v_mul_f64 v[234:235], v[214:215], v[236:237]
	v_xor_b32_e32 v237, 0x80000000, v237
.LBB114_658:
	s_andn2_saveexec_b32 s1, s1
	s_cbranch_execz .LBB114_660
; %bb.659:
	v_div_scale_f64 v[214:215], null, v[234:235], v[234:235], v[236:237]
	v_div_scale_f64 v[220:221], vcc_lo, v[236:237], v[234:235], v[236:237]
	v_rcp_f64_e32 v[216:217], v[214:215]
	v_fma_f64 v[218:219], -v[214:215], v[216:217], 1.0
	v_fma_f64 v[216:217], v[216:217], v[218:219], v[216:217]
	v_fma_f64 v[218:219], -v[214:215], v[216:217], 1.0
	v_fma_f64 v[216:217], v[216:217], v[218:219], v[216:217]
	v_mul_f64 v[218:219], v[220:221], v[216:217]
	v_fma_f64 v[214:215], -v[214:215], v[218:219], v[220:221]
	v_div_fmas_f64 v[214:215], v[214:215], v[216:217], v[218:219]
	v_div_fixup_f64 v[214:215], v[214:215], v[234:235], v[236:237]
	v_fma_f64 v[216:217], v[236:237], v[214:215], v[234:235]
	v_div_scale_f64 v[218:219], null, v[216:217], v[216:217], 1.0
	v_rcp_f64_e32 v[220:221], v[218:219]
	v_fma_f64 v[222:223], -v[218:219], v[220:221], 1.0
	v_fma_f64 v[220:221], v[220:221], v[222:223], v[220:221]
	v_fma_f64 v[222:223], -v[218:219], v[220:221], 1.0
	v_fma_f64 v[220:221], v[220:221], v[222:223], v[220:221]
	v_div_scale_f64 v[222:223], vcc_lo, 1.0, v[216:217], 1.0
	v_mul_f64 v[224:225], v[222:223], v[220:221]
	v_fma_f64 v[218:219], -v[218:219], v[224:225], v[222:223]
	v_div_fmas_f64 v[218:219], v[218:219], v[220:221], v[224:225]
	v_div_fixup_f64 v[234:235], v[218:219], v[216:217], 1.0
	v_mul_f64 v[236:237], v[214:215], -v[234:235]
.LBB114_660:
	s_or_b32 exec_lo, exec_lo, s1
.LBB114_661:
	s_or_b32 exec_lo, exec_lo, s0
	s_mov_b32 s0, exec_lo
	v_cmpx_ne_u32_e64 v248, v242
	s_xor_b32 s0, exec_lo, s0
	s_cbranch_execz .LBB114_667
; %bb.662:
	s_mov_b32 s1, exec_lo
	v_cmpx_eq_u32_e32 31, v248
	s_cbranch_execz .LBB114_666
; %bb.663:
	v_cmp_ne_u32_e32 vcc_lo, 31, v242
	s_xor_b32 s7, s16, -1
	s_and_b32 s9, s7, vcc_lo
	s_and_saveexec_b32 s7, s9
	s_cbranch_execz .LBB114_665
; %bb.664:
	s_clause 0x1
	buffer_load_dword v210, off, s[20:23], 0
	buffer_load_dword v211, off, s[20:23], 0 offset:4
	v_ashrrev_i32_e32 v243, 31, v242
	v_lshlrev_b64 v[214:215], 2, v[242:243]
	s_waitcnt vmcnt(1)
	v_add_co_u32 v214, vcc_lo, v210, v214
	s_waitcnt vmcnt(0)
	v_add_co_ci_u32_e64 v215, null, v211, v215, vcc_lo
	s_clause 0x1
	global_load_dword v0, v[214:215], off
	global_load_dword v216, v[210:211], off offset:124
	s_waitcnt vmcnt(1)
	global_store_dword v[210:211], v0, off offset:124
	s_waitcnt vmcnt(0)
	global_store_dword v[214:215], v216, off
.LBB114_665:
	s_or_b32 exec_lo, exec_lo, s7
	v_mov_b32_e32 v248, v242
	v_mov_b32_e32 v0, v242
.LBB114_666:
	s_or_b32 exec_lo, exec_lo, s1
.LBB114_667:
	s_andn2_saveexec_b32 s0, s0
	s_cbranch_execz .LBB114_669
; %bb.668:
	v_mov_b32_e32 v248, 31
	ds_write2_b64 v1, v[102:103], v[104:105] offset0:64 offset1:65
	ds_write2_b64 v1, v[98:99], v[100:101] offset0:66 offset1:67
	;; [unrolled: 1-line block ×26, first 2 shown]
.LBB114_669:
	s_or_b32 exec_lo, exec_lo, s0
	s_mov_b32 s0, exec_lo
	s_waitcnt lgkmcnt(0)
	s_waitcnt_vscnt null, 0x0
	s_barrier
	buffer_gl0_inv
	v_cmpx_lt_i32_e32 31, v248
	s_cbranch_execz .LBB114_671
; %bb.670:
	v_mul_f64 v[214:215], v[236:237], v[108:109]
	v_mul_f64 v[108:109], v[234:235], v[108:109]
	v_fma_f64 v[242:243], v[234:235], v[106:107], -v[214:215]
	v_fma_f64 v[108:109], v[236:237], v[106:107], v[108:109]
	ds_read2_b64 v[234:237], v1 offset0:64 offset1:65
	s_waitcnt lgkmcnt(0)
	v_mul_f64 v[106:107], v[236:237], v[108:109]
	v_mul_f64 v[214:215], v[234:235], v[108:109]
	v_fma_f64 v[106:107], v[234:235], v[242:243], -v[106:107]
	v_fma_f64 v[214:215], v[236:237], v[242:243], v[214:215]
	ds_read2_b64 v[234:237], v1 offset0:66 offset1:67
	v_add_f64 v[102:103], v[102:103], -v[106:107]
	v_add_f64 v[104:105], v[104:105], -v[214:215]
	s_waitcnt lgkmcnt(0)
	v_mul_f64 v[106:107], v[236:237], v[108:109]
	v_mul_f64 v[214:215], v[234:235], v[108:109]
	v_fma_f64 v[106:107], v[234:235], v[242:243], -v[106:107]
	v_fma_f64 v[214:215], v[236:237], v[242:243], v[214:215]
	ds_read2_b64 v[234:237], v1 offset0:68 offset1:69
	v_add_f64 v[98:99], v[98:99], -v[106:107]
	v_add_f64 v[100:101], v[100:101], -v[214:215]
	;; [unrolled: 8-line block ×25, first 2 shown]
	s_waitcnt lgkmcnt(0)
	v_mul_f64 v[106:107], v[236:237], v[108:109]
	v_mul_f64 v[214:215], v[234:235], v[108:109]
	v_fma_f64 v[106:107], v[234:235], v[242:243], -v[106:107]
	v_fma_f64 v[214:215], v[236:237], v[242:243], v[214:215]
	v_add_f64 v[226:227], v[226:227], -v[106:107]
	v_add_f64 v[228:229], v[228:229], -v[214:215]
	v_mov_b32_e32 v106, v242
	v_mov_b32_e32 v107, v243
.LBB114_671:
	s_or_b32 exec_lo, exec_lo, s0
	v_lshl_add_u32 v214, v248, 4, v1
	s_barrier
	buffer_gl0_inv
	v_mov_b32_e32 v242, 32
	ds_write2_b64 v214, v[102:103], v[104:105] offset1:1
	s_waitcnt lgkmcnt(0)
	s_barrier
	buffer_gl0_inv
	ds_read2_b64 v[234:237], v1 offset0:64 offset1:65
	s_cmp_lt_i32 s8, 34
	s_cbranch_scc1 .LBB114_674
; %bb.672:
	v_add3_u32 v243, v254, 0, 0x210
	v_mov_b32_e32 v242, 32
	s_mov_b32 s0, 33
	s_inst_prefetch 0x1
	.p2align	6
.LBB114_673:                            ; =>This Inner Loop Header: Depth=1
	s_waitcnt lgkmcnt(0)
	v_cmp_gt_f64_e32 vcc_lo, 0, v[234:235]
	v_xor_b32_e32 v214, 0x80000000, v235
	ds_read2_b64 v[249:252], v243 offset1:1
	v_xor_b32_e32 v216, 0x80000000, v237
	v_add_nc_u32_e32 v243, 16, v243
	s_waitcnt lgkmcnt(0)
	v_xor_b32_e32 v218, 0x80000000, v252
	v_cndmask_b32_e32 v215, v235, v214, vcc_lo
	v_cmp_gt_f64_e32 vcc_lo, 0, v[236:237]
	v_mov_b32_e32 v214, v234
	v_cndmask_b32_e32 v217, v237, v216, vcc_lo
	v_cmp_gt_f64_e32 vcc_lo, 0, v[249:250]
	v_mov_b32_e32 v216, v236
	v_add_f64 v[214:215], v[214:215], v[216:217]
	v_xor_b32_e32 v216, 0x80000000, v250
	v_cndmask_b32_e32 v217, v250, v216, vcc_lo
	v_cmp_gt_f64_e32 vcc_lo, 0, v[251:252]
	v_mov_b32_e32 v216, v249
	v_cndmask_b32_e32 v219, v252, v218, vcc_lo
	v_mov_b32_e32 v218, v251
	v_add_f64 v[216:217], v[216:217], v[218:219]
	v_cmp_lt_f64_e32 vcc_lo, v[214:215], v[216:217]
	v_cndmask_b32_e32 v235, v235, v250, vcc_lo
	v_cndmask_b32_e32 v234, v234, v249, vcc_lo
	;; [unrolled: 1-line block ×4, first 2 shown]
	v_cndmask_b32_e64 v242, v242, s0, vcc_lo
	s_add_i32 s0, s0, 1
	s_cmp_lg_u32 s8, s0
	s_cbranch_scc1 .LBB114_673
.LBB114_674:
	s_inst_prefetch 0x2
	s_waitcnt lgkmcnt(0)
	v_cmp_eq_f64_e32 vcc_lo, 0, v[234:235]
	v_cmp_eq_f64_e64 s0, 0, v[236:237]
	s_and_b32 s0, vcc_lo, s0
	s_and_saveexec_b32 s1, s0
	s_xor_b32 s0, exec_lo, s1
; %bb.675:
	v_cmp_ne_u32_e32 vcc_lo, 0, v247
	v_cndmask_b32_e32 v247, 33, v247, vcc_lo
; %bb.676:
	s_andn2_saveexec_b32 s0, s0
	s_cbranch_execz .LBB114_682
; %bb.677:
	v_cmp_ngt_f64_e64 s1, |v[234:235]|, |v[236:237]|
	s_and_saveexec_b32 s7, s1
	s_xor_b32 s1, exec_lo, s7
	s_cbranch_execz .LBB114_679
; %bb.678:
	v_div_scale_f64 v[214:215], null, v[236:237], v[236:237], v[234:235]
	v_div_scale_f64 v[220:221], vcc_lo, v[234:235], v[236:237], v[234:235]
	v_rcp_f64_e32 v[216:217], v[214:215]
	v_fma_f64 v[218:219], -v[214:215], v[216:217], 1.0
	v_fma_f64 v[216:217], v[216:217], v[218:219], v[216:217]
	v_fma_f64 v[218:219], -v[214:215], v[216:217], 1.0
	v_fma_f64 v[216:217], v[216:217], v[218:219], v[216:217]
	v_mul_f64 v[218:219], v[220:221], v[216:217]
	v_fma_f64 v[214:215], -v[214:215], v[218:219], v[220:221]
	v_div_fmas_f64 v[214:215], v[214:215], v[216:217], v[218:219]
	v_div_fixup_f64 v[214:215], v[214:215], v[236:237], v[234:235]
	v_fma_f64 v[216:217], v[234:235], v[214:215], v[236:237]
	v_div_scale_f64 v[218:219], null, v[216:217], v[216:217], 1.0
	v_rcp_f64_e32 v[220:221], v[218:219]
	v_fma_f64 v[222:223], -v[218:219], v[220:221], 1.0
	v_fma_f64 v[220:221], v[220:221], v[222:223], v[220:221]
	v_fma_f64 v[222:223], -v[218:219], v[220:221], 1.0
	v_fma_f64 v[220:221], v[220:221], v[222:223], v[220:221]
	v_div_scale_f64 v[222:223], vcc_lo, 1.0, v[216:217], 1.0
	v_mul_f64 v[224:225], v[222:223], v[220:221]
	v_fma_f64 v[218:219], -v[218:219], v[224:225], v[222:223]
	v_div_fmas_f64 v[218:219], v[218:219], v[220:221], v[224:225]
	v_div_fixup_f64 v[236:237], v[218:219], v[216:217], 1.0
	v_mul_f64 v[234:235], v[214:215], v[236:237]
	v_xor_b32_e32 v237, 0x80000000, v237
.LBB114_679:
	s_andn2_saveexec_b32 s1, s1
	s_cbranch_execz .LBB114_681
; %bb.680:
	v_div_scale_f64 v[214:215], null, v[234:235], v[234:235], v[236:237]
	v_div_scale_f64 v[220:221], vcc_lo, v[236:237], v[234:235], v[236:237]
	v_rcp_f64_e32 v[216:217], v[214:215]
	v_fma_f64 v[218:219], -v[214:215], v[216:217], 1.0
	v_fma_f64 v[216:217], v[216:217], v[218:219], v[216:217]
	v_fma_f64 v[218:219], -v[214:215], v[216:217], 1.0
	v_fma_f64 v[216:217], v[216:217], v[218:219], v[216:217]
	v_mul_f64 v[218:219], v[220:221], v[216:217]
	v_fma_f64 v[214:215], -v[214:215], v[218:219], v[220:221]
	v_div_fmas_f64 v[214:215], v[214:215], v[216:217], v[218:219]
	v_div_fixup_f64 v[214:215], v[214:215], v[234:235], v[236:237]
	v_fma_f64 v[216:217], v[236:237], v[214:215], v[234:235]
	v_div_scale_f64 v[218:219], null, v[216:217], v[216:217], 1.0
	v_rcp_f64_e32 v[220:221], v[218:219]
	v_fma_f64 v[222:223], -v[218:219], v[220:221], 1.0
	v_fma_f64 v[220:221], v[220:221], v[222:223], v[220:221]
	v_fma_f64 v[222:223], -v[218:219], v[220:221], 1.0
	v_fma_f64 v[220:221], v[220:221], v[222:223], v[220:221]
	v_div_scale_f64 v[222:223], vcc_lo, 1.0, v[216:217], 1.0
	v_mul_f64 v[224:225], v[222:223], v[220:221]
	v_fma_f64 v[218:219], -v[218:219], v[224:225], v[222:223]
	v_div_fmas_f64 v[218:219], v[218:219], v[220:221], v[224:225]
	v_div_fixup_f64 v[234:235], v[218:219], v[216:217], 1.0
	v_mul_f64 v[236:237], v[214:215], -v[234:235]
.LBB114_681:
	s_or_b32 exec_lo, exec_lo, s1
.LBB114_682:
	s_or_b32 exec_lo, exec_lo, s0
	s_mov_b32 s0, exec_lo
	v_cmpx_ne_u32_e64 v248, v242
	s_xor_b32 s0, exec_lo, s0
	s_cbranch_execz .LBB114_688
; %bb.683:
	s_mov_b32 s1, exec_lo
	v_cmpx_eq_u32_e32 32, v248
	s_cbranch_execz .LBB114_687
; %bb.684:
	v_cmp_ne_u32_e32 vcc_lo, 32, v242
	s_xor_b32 s7, s16, -1
	s_and_b32 s9, s7, vcc_lo
	s_and_saveexec_b32 s7, s9
	s_cbranch_execz .LBB114_686
; %bb.685:
	s_clause 0x1
	buffer_load_dword v210, off, s[20:23], 0
	buffer_load_dword v211, off, s[20:23], 0 offset:4
	v_ashrrev_i32_e32 v243, 31, v242
	v_lshlrev_b64 v[214:215], 2, v[242:243]
	s_waitcnt vmcnt(1)
	v_add_co_u32 v214, vcc_lo, v210, v214
	s_waitcnt vmcnt(0)
	v_add_co_ci_u32_e64 v215, null, v211, v215, vcc_lo
	s_clause 0x1
	global_load_dword v0, v[214:215], off
	global_load_dword v216, v[210:211], off offset:128
	s_waitcnt vmcnt(1)
	global_store_dword v[210:211], v0, off offset:128
	s_waitcnt vmcnt(0)
	global_store_dword v[214:215], v216, off
.LBB114_686:
	s_or_b32 exec_lo, exec_lo, s7
	v_mov_b32_e32 v248, v242
	v_mov_b32_e32 v0, v242
.LBB114_687:
	s_or_b32 exec_lo, exec_lo, s1
.LBB114_688:
	s_andn2_saveexec_b32 s0, s0
	s_cbranch_execz .LBB114_690
; %bb.689:
	v_mov_b32_e32 v248, 32
	ds_write2_b64 v1, v[98:99], v[100:101] offset0:66 offset1:67
	ds_write2_b64 v1, v[94:95], v[96:97] offset0:68 offset1:69
	;; [unrolled: 1-line block ×25, first 2 shown]
.LBB114_690:
	s_or_b32 exec_lo, exec_lo, s0
	s_mov_b32 s0, exec_lo
	s_waitcnt lgkmcnt(0)
	s_waitcnt_vscnt null, 0x0
	s_barrier
	buffer_gl0_inv
	v_cmpx_lt_i32_e32 32, v248
	s_cbranch_execz .LBB114_692
; %bb.691:
	v_mul_f64 v[214:215], v[236:237], v[104:105]
	v_mul_f64 v[104:105], v[234:235], v[104:105]
	v_fma_f64 v[242:243], v[234:235], v[102:103], -v[214:215]
	v_fma_f64 v[104:105], v[236:237], v[102:103], v[104:105]
	ds_read2_b64 v[234:237], v1 offset0:66 offset1:67
	s_waitcnt lgkmcnt(0)
	v_mul_f64 v[102:103], v[236:237], v[104:105]
	v_mul_f64 v[214:215], v[234:235], v[104:105]
	v_fma_f64 v[102:103], v[234:235], v[242:243], -v[102:103]
	v_fma_f64 v[214:215], v[236:237], v[242:243], v[214:215]
	ds_read2_b64 v[234:237], v1 offset0:68 offset1:69
	v_add_f64 v[98:99], v[98:99], -v[102:103]
	v_add_f64 v[100:101], v[100:101], -v[214:215]
	s_waitcnt lgkmcnt(0)
	v_mul_f64 v[102:103], v[236:237], v[104:105]
	v_mul_f64 v[214:215], v[234:235], v[104:105]
	v_fma_f64 v[102:103], v[234:235], v[242:243], -v[102:103]
	v_fma_f64 v[214:215], v[236:237], v[242:243], v[214:215]
	ds_read2_b64 v[234:237], v1 offset0:70 offset1:71
	v_add_f64 v[94:95], v[94:95], -v[102:103]
	v_add_f64 v[96:97], v[96:97], -v[214:215]
	;; [unrolled: 8-line block ×24, first 2 shown]
	s_waitcnt lgkmcnt(0)
	v_mul_f64 v[102:103], v[236:237], v[104:105]
	v_mul_f64 v[214:215], v[234:235], v[104:105]
	v_fma_f64 v[102:103], v[234:235], v[242:243], -v[102:103]
	v_fma_f64 v[214:215], v[236:237], v[242:243], v[214:215]
	v_add_f64 v[226:227], v[226:227], -v[102:103]
	v_add_f64 v[228:229], v[228:229], -v[214:215]
	v_mov_b32_e32 v102, v242
	v_mov_b32_e32 v103, v243
.LBB114_692:
	s_or_b32 exec_lo, exec_lo, s0
	v_lshl_add_u32 v214, v248, 4, v1
	s_barrier
	buffer_gl0_inv
	v_mov_b32_e32 v242, 33
	ds_write2_b64 v214, v[98:99], v[100:101] offset1:1
	s_waitcnt lgkmcnt(0)
	s_barrier
	buffer_gl0_inv
	ds_read2_b64 v[234:237], v1 offset0:66 offset1:67
	s_cmp_lt_i32 s8, 35
	s_cbranch_scc1 .LBB114_695
; %bb.693:
	v_add3_u32 v243, v254, 0, 0x220
	v_mov_b32_e32 v242, 33
	s_mov_b32 s0, 34
	s_inst_prefetch 0x1
	.p2align	6
.LBB114_694:                            ; =>This Inner Loop Header: Depth=1
	s_waitcnt lgkmcnt(0)
	v_cmp_gt_f64_e32 vcc_lo, 0, v[234:235]
	v_xor_b32_e32 v214, 0x80000000, v235
	ds_read2_b64 v[249:252], v243 offset1:1
	v_xor_b32_e32 v216, 0x80000000, v237
	v_add_nc_u32_e32 v243, 16, v243
	s_waitcnt lgkmcnt(0)
	v_xor_b32_e32 v218, 0x80000000, v252
	v_cndmask_b32_e32 v215, v235, v214, vcc_lo
	v_cmp_gt_f64_e32 vcc_lo, 0, v[236:237]
	v_mov_b32_e32 v214, v234
	v_cndmask_b32_e32 v217, v237, v216, vcc_lo
	v_cmp_gt_f64_e32 vcc_lo, 0, v[249:250]
	v_mov_b32_e32 v216, v236
	v_add_f64 v[214:215], v[214:215], v[216:217]
	v_xor_b32_e32 v216, 0x80000000, v250
	v_cndmask_b32_e32 v217, v250, v216, vcc_lo
	v_cmp_gt_f64_e32 vcc_lo, 0, v[251:252]
	v_mov_b32_e32 v216, v249
	v_cndmask_b32_e32 v219, v252, v218, vcc_lo
	v_mov_b32_e32 v218, v251
	v_add_f64 v[216:217], v[216:217], v[218:219]
	v_cmp_lt_f64_e32 vcc_lo, v[214:215], v[216:217]
	v_cndmask_b32_e32 v235, v235, v250, vcc_lo
	v_cndmask_b32_e32 v234, v234, v249, vcc_lo
	;; [unrolled: 1-line block ×4, first 2 shown]
	v_cndmask_b32_e64 v242, v242, s0, vcc_lo
	s_add_i32 s0, s0, 1
	s_cmp_lg_u32 s8, s0
	s_cbranch_scc1 .LBB114_694
.LBB114_695:
	s_inst_prefetch 0x2
	s_waitcnt lgkmcnt(0)
	v_cmp_eq_f64_e32 vcc_lo, 0, v[234:235]
	v_cmp_eq_f64_e64 s0, 0, v[236:237]
	s_and_b32 s0, vcc_lo, s0
	s_and_saveexec_b32 s1, s0
	s_xor_b32 s0, exec_lo, s1
; %bb.696:
	v_cmp_ne_u32_e32 vcc_lo, 0, v247
	v_cndmask_b32_e32 v247, 34, v247, vcc_lo
; %bb.697:
	s_andn2_saveexec_b32 s0, s0
	s_cbranch_execz .LBB114_703
; %bb.698:
	v_cmp_ngt_f64_e64 s1, |v[234:235]|, |v[236:237]|
	s_and_saveexec_b32 s7, s1
	s_xor_b32 s1, exec_lo, s7
	s_cbranch_execz .LBB114_700
; %bb.699:
	v_div_scale_f64 v[214:215], null, v[236:237], v[236:237], v[234:235]
	v_div_scale_f64 v[220:221], vcc_lo, v[234:235], v[236:237], v[234:235]
	v_rcp_f64_e32 v[216:217], v[214:215]
	v_fma_f64 v[218:219], -v[214:215], v[216:217], 1.0
	v_fma_f64 v[216:217], v[216:217], v[218:219], v[216:217]
	v_fma_f64 v[218:219], -v[214:215], v[216:217], 1.0
	v_fma_f64 v[216:217], v[216:217], v[218:219], v[216:217]
	v_mul_f64 v[218:219], v[220:221], v[216:217]
	v_fma_f64 v[214:215], -v[214:215], v[218:219], v[220:221]
	v_div_fmas_f64 v[214:215], v[214:215], v[216:217], v[218:219]
	v_div_fixup_f64 v[214:215], v[214:215], v[236:237], v[234:235]
	v_fma_f64 v[216:217], v[234:235], v[214:215], v[236:237]
	v_div_scale_f64 v[218:219], null, v[216:217], v[216:217], 1.0
	v_rcp_f64_e32 v[220:221], v[218:219]
	v_fma_f64 v[222:223], -v[218:219], v[220:221], 1.0
	v_fma_f64 v[220:221], v[220:221], v[222:223], v[220:221]
	v_fma_f64 v[222:223], -v[218:219], v[220:221], 1.0
	v_fma_f64 v[220:221], v[220:221], v[222:223], v[220:221]
	v_div_scale_f64 v[222:223], vcc_lo, 1.0, v[216:217], 1.0
	v_mul_f64 v[224:225], v[222:223], v[220:221]
	v_fma_f64 v[218:219], -v[218:219], v[224:225], v[222:223]
	v_div_fmas_f64 v[218:219], v[218:219], v[220:221], v[224:225]
	v_div_fixup_f64 v[236:237], v[218:219], v[216:217], 1.0
	v_mul_f64 v[234:235], v[214:215], v[236:237]
	v_xor_b32_e32 v237, 0x80000000, v237
.LBB114_700:
	s_andn2_saveexec_b32 s1, s1
	s_cbranch_execz .LBB114_702
; %bb.701:
	v_div_scale_f64 v[214:215], null, v[234:235], v[234:235], v[236:237]
	v_div_scale_f64 v[220:221], vcc_lo, v[236:237], v[234:235], v[236:237]
	v_rcp_f64_e32 v[216:217], v[214:215]
	v_fma_f64 v[218:219], -v[214:215], v[216:217], 1.0
	v_fma_f64 v[216:217], v[216:217], v[218:219], v[216:217]
	v_fma_f64 v[218:219], -v[214:215], v[216:217], 1.0
	v_fma_f64 v[216:217], v[216:217], v[218:219], v[216:217]
	v_mul_f64 v[218:219], v[220:221], v[216:217]
	v_fma_f64 v[214:215], -v[214:215], v[218:219], v[220:221]
	v_div_fmas_f64 v[214:215], v[214:215], v[216:217], v[218:219]
	v_div_fixup_f64 v[214:215], v[214:215], v[234:235], v[236:237]
	v_fma_f64 v[216:217], v[236:237], v[214:215], v[234:235]
	v_div_scale_f64 v[218:219], null, v[216:217], v[216:217], 1.0
	v_rcp_f64_e32 v[220:221], v[218:219]
	v_fma_f64 v[222:223], -v[218:219], v[220:221], 1.0
	v_fma_f64 v[220:221], v[220:221], v[222:223], v[220:221]
	v_fma_f64 v[222:223], -v[218:219], v[220:221], 1.0
	v_fma_f64 v[220:221], v[220:221], v[222:223], v[220:221]
	v_div_scale_f64 v[222:223], vcc_lo, 1.0, v[216:217], 1.0
	v_mul_f64 v[224:225], v[222:223], v[220:221]
	v_fma_f64 v[218:219], -v[218:219], v[224:225], v[222:223]
	v_div_fmas_f64 v[218:219], v[218:219], v[220:221], v[224:225]
	v_div_fixup_f64 v[234:235], v[218:219], v[216:217], 1.0
	v_mul_f64 v[236:237], v[214:215], -v[234:235]
.LBB114_702:
	s_or_b32 exec_lo, exec_lo, s1
.LBB114_703:
	s_or_b32 exec_lo, exec_lo, s0
	s_mov_b32 s0, exec_lo
	v_cmpx_ne_u32_e64 v248, v242
	s_xor_b32 s0, exec_lo, s0
	s_cbranch_execz .LBB114_709
; %bb.704:
	s_mov_b32 s1, exec_lo
	v_cmpx_eq_u32_e32 33, v248
	s_cbranch_execz .LBB114_708
; %bb.705:
	v_cmp_ne_u32_e32 vcc_lo, 33, v242
	s_xor_b32 s7, s16, -1
	s_and_b32 s9, s7, vcc_lo
	s_and_saveexec_b32 s7, s9
	s_cbranch_execz .LBB114_707
; %bb.706:
	s_clause 0x1
	buffer_load_dword v210, off, s[20:23], 0
	buffer_load_dword v211, off, s[20:23], 0 offset:4
	v_ashrrev_i32_e32 v243, 31, v242
	v_lshlrev_b64 v[214:215], 2, v[242:243]
	s_waitcnt vmcnt(1)
	v_add_co_u32 v214, vcc_lo, v210, v214
	s_waitcnt vmcnt(0)
	v_add_co_ci_u32_e64 v215, null, v211, v215, vcc_lo
	s_clause 0x1
	global_load_dword v0, v[214:215], off
	global_load_dword v216, v[210:211], off offset:132
	s_waitcnt vmcnt(1)
	global_store_dword v[210:211], v0, off offset:132
	s_waitcnt vmcnt(0)
	global_store_dword v[214:215], v216, off
.LBB114_707:
	s_or_b32 exec_lo, exec_lo, s7
	v_mov_b32_e32 v248, v242
	v_mov_b32_e32 v0, v242
.LBB114_708:
	s_or_b32 exec_lo, exec_lo, s1
.LBB114_709:
	s_andn2_saveexec_b32 s0, s0
	s_cbranch_execz .LBB114_711
; %bb.710:
	v_mov_b32_e32 v248, 33
	ds_write2_b64 v1, v[94:95], v[96:97] offset0:68 offset1:69
	ds_write2_b64 v1, v[90:91], v[92:93] offset0:70 offset1:71
	;; [unrolled: 1-line block ×24, first 2 shown]
.LBB114_711:
	s_or_b32 exec_lo, exec_lo, s0
	s_mov_b32 s0, exec_lo
	s_waitcnt lgkmcnt(0)
	s_waitcnt_vscnt null, 0x0
	s_barrier
	buffer_gl0_inv
	v_cmpx_lt_i32_e32 33, v248
	s_cbranch_execz .LBB114_713
; %bb.712:
	v_mul_f64 v[214:215], v[236:237], v[100:101]
	v_mul_f64 v[100:101], v[234:235], v[100:101]
	v_fma_f64 v[242:243], v[234:235], v[98:99], -v[214:215]
	v_fma_f64 v[100:101], v[236:237], v[98:99], v[100:101]
	ds_read2_b64 v[234:237], v1 offset0:68 offset1:69
	s_waitcnt lgkmcnt(0)
	v_mul_f64 v[98:99], v[236:237], v[100:101]
	v_mul_f64 v[214:215], v[234:235], v[100:101]
	v_fma_f64 v[98:99], v[234:235], v[242:243], -v[98:99]
	v_fma_f64 v[214:215], v[236:237], v[242:243], v[214:215]
	ds_read2_b64 v[234:237], v1 offset0:70 offset1:71
	v_add_f64 v[94:95], v[94:95], -v[98:99]
	v_add_f64 v[96:97], v[96:97], -v[214:215]
	s_waitcnt lgkmcnt(0)
	v_mul_f64 v[98:99], v[236:237], v[100:101]
	v_mul_f64 v[214:215], v[234:235], v[100:101]
	v_fma_f64 v[98:99], v[234:235], v[242:243], -v[98:99]
	v_fma_f64 v[214:215], v[236:237], v[242:243], v[214:215]
	ds_read2_b64 v[234:237], v1 offset0:72 offset1:73
	v_add_f64 v[90:91], v[90:91], -v[98:99]
	v_add_f64 v[92:93], v[92:93], -v[214:215]
	;; [unrolled: 8-line block ×23, first 2 shown]
	s_waitcnt lgkmcnt(0)
	v_mul_f64 v[98:99], v[236:237], v[100:101]
	v_mul_f64 v[214:215], v[234:235], v[100:101]
	v_fma_f64 v[98:99], v[234:235], v[242:243], -v[98:99]
	v_fma_f64 v[214:215], v[236:237], v[242:243], v[214:215]
	v_add_f64 v[226:227], v[226:227], -v[98:99]
	v_add_f64 v[228:229], v[228:229], -v[214:215]
	v_mov_b32_e32 v98, v242
	v_mov_b32_e32 v99, v243
.LBB114_713:
	s_or_b32 exec_lo, exec_lo, s0
	v_lshl_add_u32 v214, v248, 4, v1
	s_barrier
	buffer_gl0_inv
	v_mov_b32_e32 v242, 34
	ds_write2_b64 v214, v[94:95], v[96:97] offset1:1
	s_waitcnt lgkmcnt(0)
	s_barrier
	buffer_gl0_inv
	ds_read2_b64 v[234:237], v1 offset0:68 offset1:69
	s_cmp_lt_i32 s8, 36
	s_cbranch_scc1 .LBB114_716
; %bb.714:
	v_add3_u32 v243, v254, 0, 0x230
	v_mov_b32_e32 v242, 34
	s_mov_b32 s0, 35
	s_inst_prefetch 0x1
	.p2align	6
.LBB114_715:                            ; =>This Inner Loop Header: Depth=1
	s_waitcnt lgkmcnt(0)
	v_cmp_gt_f64_e32 vcc_lo, 0, v[234:235]
	v_xor_b32_e32 v214, 0x80000000, v235
	ds_read2_b64 v[249:252], v243 offset1:1
	v_xor_b32_e32 v216, 0x80000000, v237
	v_add_nc_u32_e32 v243, 16, v243
	s_waitcnt lgkmcnt(0)
	v_xor_b32_e32 v218, 0x80000000, v252
	v_cndmask_b32_e32 v215, v235, v214, vcc_lo
	v_cmp_gt_f64_e32 vcc_lo, 0, v[236:237]
	v_mov_b32_e32 v214, v234
	v_cndmask_b32_e32 v217, v237, v216, vcc_lo
	v_cmp_gt_f64_e32 vcc_lo, 0, v[249:250]
	v_mov_b32_e32 v216, v236
	v_add_f64 v[214:215], v[214:215], v[216:217]
	v_xor_b32_e32 v216, 0x80000000, v250
	v_cndmask_b32_e32 v217, v250, v216, vcc_lo
	v_cmp_gt_f64_e32 vcc_lo, 0, v[251:252]
	v_mov_b32_e32 v216, v249
	v_cndmask_b32_e32 v219, v252, v218, vcc_lo
	v_mov_b32_e32 v218, v251
	v_add_f64 v[216:217], v[216:217], v[218:219]
	v_cmp_lt_f64_e32 vcc_lo, v[214:215], v[216:217]
	v_cndmask_b32_e32 v235, v235, v250, vcc_lo
	v_cndmask_b32_e32 v234, v234, v249, vcc_lo
	;; [unrolled: 1-line block ×4, first 2 shown]
	v_cndmask_b32_e64 v242, v242, s0, vcc_lo
	s_add_i32 s0, s0, 1
	s_cmp_lg_u32 s8, s0
	s_cbranch_scc1 .LBB114_715
.LBB114_716:
	s_inst_prefetch 0x2
	s_waitcnt lgkmcnt(0)
	v_cmp_eq_f64_e32 vcc_lo, 0, v[234:235]
	v_cmp_eq_f64_e64 s0, 0, v[236:237]
	s_and_b32 s0, vcc_lo, s0
	s_and_saveexec_b32 s1, s0
	s_xor_b32 s0, exec_lo, s1
; %bb.717:
	v_cmp_ne_u32_e32 vcc_lo, 0, v247
	v_cndmask_b32_e32 v247, 35, v247, vcc_lo
; %bb.718:
	s_andn2_saveexec_b32 s0, s0
	s_cbranch_execz .LBB114_724
; %bb.719:
	v_cmp_ngt_f64_e64 s1, |v[234:235]|, |v[236:237]|
	s_and_saveexec_b32 s7, s1
	s_xor_b32 s1, exec_lo, s7
	s_cbranch_execz .LBB114_721
; %bb.720:
	v_div_scale_f64 v[214:215], null, v[236:237], v[236:237], v[234:235]
	v_div_scale_f64 v[220:221], vcc_lo, v[234:235], v[236:237], v[234:235]
	v_rcp_f64_e32 v[216:217], v[214:215]
	v_fma_f64 v[218:219], -v[214:215], v[216:217], 1.0
	v_fma_f64 v[216:217], v[216:217], v[218:219], v[216:217]
	v_fma_f64 v[218:219], -v[214:215], v[216:217], 1.0
	v_fma_f64 v[216:217], v[216:217], v[218:219], v[216:217]
	v_mul_f64 v[218:219], v[220:221], v[216:217]
	v_fma_f64 v[214:215], -v[214:215], v[218:219], v[220:221]
	v_div_fmas_f64 v[214:215], v[214:215], v[216:217], v[218:219]
	v_div_fixup_f64 v[214:215], v[214:215], v[236:237], v[234:235]
	v_fma_f64 v[216:217], v[234:235], v[214:215], v[236:237]
	v_div_scale_f64 v[218:219], null, v[216:217], v[216:217], 1.0
	v_rcp_f64_e32 v[220:221], v[218:219]
	v_fma_f64 v[222:223], -v[218:219], v[220:221], 1.0
	v_fma_f64 v[220:221], v[220:221], v[222:223], v[220:221]
	v_fma_f64 v[222:223], -v[218:219], v[220:221], 1.0
	v_fma_f64 v[220:221], v[220:221], v[222:223], v[220:221]
	v_div_scale_f64 v[222:223], vcc_lo, 1.0, v[216:217], 1.0
	v_mul_f64 v[224:225], v[222:223], v[220:221]
	v_fma_f64 v[218:219], -v[218:219], v[224:225], v[222:223]
	v_div_fmas_f64 v[218:219], v[218:219], v[220:221], v[224:225]
	v_div_fixup_f64 v[236:237], v[218:219], v[216:217], 1.0
	v_mul_f64 v[234:235], v[214:215], v[236:237]
	v_xor_b32_e32 v237, 0x80000000, v237
.LBB114_721:
	s_andn2_saveexec_b32 s1, s1
	s_cbranch_execz .LBB114_723
; %bb.722:
	v_div_scale_f64 v[214:215], null, v[234:235], v[234:235], v[236:237]
	v_div_scale_f64 v[220:221], vcc_lo, v[236:237], v[234:235], v[236:237]
	v_rcp_f64_e32 v[216:217], v[214:215]
	v_fma_f64 v[218:219], -v[214:215], v[216:217], 1.0
	v_fma_f64 v[216:217], v[216:217], v[218:219], v[216:217]
	v_fma_f64 v[218:219], -v[214:215], v[216:217], 1.0
	v_fma_f64 v[216:217], v[216:217], v[218:219], v[216:217]
	v_mul_f64 v[218:219], v[220:221], v[216:217]
	v_fma_f64 v[214:215], -v[214:215], v[218:219], v[220:221]
	v_div_fmas_f64 v[214:215], v[214:215], v[216:217], v[218:219]
	v_div_fixup_f64 v[214:215], v[214:215], v[234:235], v[236:237]
	v_fma_f64 v[216:217], v[236:237], v[214:215], v[234:235]
	v_div_scale_f64 v[218:219], null, v[216:217], v[216:217], 1.0
	v_rcp_f64_e32 v[220:221], v[218:219]
	v_fma_f64 v[222:223], -v[218:219], v[220:221], 1.0
	v_fma_f64 v[220:221], v[220:221], v[222:223], v[220:221]
	v_fma_f64 v[222:223], -v[218:219], v[220:221], 1.0
	v_fma_f64 v[220:221], v[220:221], v[222:223], v[220:221]
	v_div_scale_f64 v[222:223], vcc_lo, 1.0, v[216:217], 1.0
	v_mul_f64 v[224:225], v[222:223], v[220:221]
	v_fma_f64 v[218:219], -v[218:219], v[224:225], v[222:223]
	v_div_fmas_f64 v[218:219], v[218:219], v[220:221], v[224:225]
	v_div_fixup_f64 v[234:235], v[218:219], v[216:217], 1.0
	v_mul_f64 v[236:237], v[214:215], -v[234:235]
.LBB114_723:
	s_or_b32 exec_lo, exec_lo, s1
.LBB114_724:
	s_or_b32 exec_lo, exec_lo, s0
	s_mov_b32 s0, exec_lo
	v_cmpx_ne_u32_e64 v248, v242
	s_xor_b32 s0, exec_lo, s0
	s_cbranch_execz .LBB114_730
; %bb.725:
	s_mov_b32 s1, exec_lo
	v_cmpx_eq_u32_e32 34, v248
	s_cbranch_execz .LBB114_729
; %bb.726:
	v_cmp_ne_u32_e32 vcc_lo, 34, v242
	s_xor_b32 s7, s16, -1
	s_and_b32 s9, s7, vcc_lo
	s_and_saveexec_b32 s7, s9
	s_cbranch_execz .LBB114_728
; %bb.727:
	s_clause 0x1
	buffer_load_dword v210, off, s[20:23], 0
	buffer_load_dword v211, off, s[20:23], 0 offset:4
	v_ashrrev_i32_e32 v243, 31, v242
	v_lshlrev_b64 v[214:215], 2, v[242:243]
	s_waitcnt vmcnt(1)
	v_add_co_u32 v214, vcc_lo, v210, v214
	s_waitcnt vmcnt(0)
	v_add_co_ci_u32_e64 v215, null, v211, v215, vcc_lo
	s_clause 0x1
	global_load_dword v0, v[214:215], off
	global_load_dword v216, v[210:211], off offset:136
	s_waitcnt vmcnt(1)
	global_store_dword v[210:211], v0, off offset:136
	s_waitcnt vmcnt(0)
	global_store_dword v[214:215], v216, off
.LBB114_728:
	s_or_b32 exec_lo, exec_lo, s7
	v_mov_b32_e32 v248, v242
	v_mov_b32_e32 v0, v242
.LBB114_729:
	s_or_b32 exec_lo, exec_lo, s1
.LBB114_730:
	s_andn2_saveexec_b32 s0, s0
	s_cbranch_execz .LBB114_732
; %bb.731:
	v_mov_b32_e32 v248, 34
	ds_write2_b64 v1, v[90:91], v[92:93] offset0:70 offset1:71
	ds_write2_b64 v1, v[86:87], v[88:89] offset0:72 offset1:73
	;; [unrolled: 1-line block ×23, first 2 shown]
.LBB114_732:
	s_or_b32 exec_lo, exec_lo, s0
	s_mov_b32 s0, exec_lo
	s_waitcnt lgkmcnt(0)
	s_waitcnt_vscnt null, 0x0
	s_barrier
	buffer_gl0_inv
	v_cmpx_lt_i32_e32 34, v248
	s_cbranch_execz .LBB114_734
; %bb.733:
	v_mul_f64 v[214:215], v[236:237], v[96:97]
	v_mul_f64 v[96:97], v[234:235], v[96:97]
	v_fma_f64 v[242:243], v[234:235], v[94:95], -v[214:215]
	v_fma_f64 v[96:97], v[236:237], v[94:95], v[96:97]
	ds_read2_b64 v[234:237], v1 offset0:70 offset1:71
	s_waitcnt lgkmcnt(0)
	v_mul_f64 v[94:95], v[236:237], v[96:97]
	v_mul_f64 v[214:215], v[234:235], v[96:97]
	v_fma_f64 v[94:95], v[234:235], v[242:243], -v[94:95]
	v_fma_f64 v[214:215], v[236:237], v[242:243], v[214:215]
	ds_read2_b64 v[234:237], v1 offset0:72 offset1:73
	v_add_f64 v[90:91], v[90:91], -v[94:95]
	v_add_f64 v[92:93], v[92:93], -v[214:215]
	s_waitcnt lgkmcnt(0)
	v_mul_f64 v[94:95], v[236:237], v[96:97]
	v_mul_f64 v[214:215], v[234:235], v[96:97]
	v_fma_f64 v[94:95], v[234:235], v[242:243], -v[94:95]
	v_fma_f64 v[214:215], v[236:237], v[242:243], v[214:215]
	ds_read2_b64 v[234:237], v1 offset0:74 offset1:75
	v_add_f64 v[86:87], v[86:87], -v[94:95]
	v_add_f64 v[88:89], v[88:89], -v[214:215]
	;; [unrolled: 8-line block ×22, first 2 shown]
	s_waitcnt lgkmcnt(0)
	v_mul_f64 v[94:95], v[236:237], v[96:97]
	v_mul_f64 v[214:215], v[234:235], v[96:97]
	v_fma_f64 v[94:95], v[234:235], v[242:243], -v[94:95]
	v_fma_f64 v[214:215], v[236:237], v[242:243], v[214:215]
	v_add_f64 v[226:227], v[226:227], -v[94:95]
	v_add_f64 v[228:229], v[228:229], -v[214:215]
	v_mov_b32_e32 v94, v242
	v_mov_b32_e32 v95, v243
.LBB114_734:
	s_or_b32 exec_lo, exec_lo, s0
	v_lshl_add_u32 v214, v248, 4, v1
	s_barrier
	buffer_gl0_inv
	v_mov_b32_e32 v242, 35
	ds_write2_b64 v214, v[90:91], v[92:93] offset1:1
	s_waitcnt lgkmcnt(0)
	s_barrier
	buffer_gl0_inv
	ds_read2_b64 v[234:237], v1 offset0:70 offset1:71
	s_cmp_lt_i32 s8, 37
	s_cbranch_scc1 .LBB114_737
; %bb.735:
	v_add3_u32 v243, v254, 0, 0x240
	v_mov_b32_e32 v242, 35
	s_mov_b32 s0, 36
	s_inst_prefetch 0x1
	.p2align	6
.LBB114_736:                            ; =>This Inner Loop Header: Depth=1
	s_waitcnt lgkmcnt(0)
	v_cmp_gt_f64_e32 vcc_lo, 0, v[234:235]
	v_xor_b32_e32 v214, 0x80000000, v235
	ds_read2_b64 v[249:252], v243 offset1:1
	v_xor_b32_e32 v216, 0x80000000, v237
	v_add_nc_u32_e32 v243, 16, v243
	s_waitcnt lgkmcnt(0)
	v_xor_b32_e32 v218, 0x80000000, v252
	v_cndmask_b32_e32 v215, v235, v214, vcc_lo
	v_cmp_gt_f64_e32 vcc_lo, 0, v[236:237]
	v_mov_b32_e32 v214, v234
	v_cndmask_b32_e32 v217, v237, v216, vcc_lo
	v_cmp_gt_f64_e32 vcc_lo, 0, v[249:250]
	v_mov_b32_e32 v216, v236
	v_add_f64 v[214:215], v[214:215], v[216:217]
	v_xor_b32_e32 v216, 0x80000000, v250
	v_cndmask_b32_e32 v217, v250, v216, vcc_lo
	v_cmp_gt_f64_e32 vcc_lo, 0, v[251:252]
	v_mov_b32_e32 v216, v249
	v_cndmask_b32_e32 v219, v252, v218, vcc_lo
	v_mov_b32_e32 v218, v251
	v_add_f64 v[216:217], v[216:217], v[218:219]
	v_cmp_lt_f64_e32 vcc_lo, v[214:215], v[216:217]
	v_cndmask_b32_e32 v235, v235, v250, vcc_lo
	v_cndmask_b32_e32 v234, v234, v249, vcc_lo
	;; [unrolled: 1-line block ×4, first 2 shown]
	v_cndmask_b32_e64 v242, v242, s0, vcc_lo
	s_add_i32 s0, s0, 1
	s_cmp_lg_u32 s8, s0
	s_cbranch_scc1 .LBB114_736
.LBB114_737:
	s_inst_prefetch 0x2
	s_waitcnt lgkmcnt(0)
	v_cmp_eq_f64_e32 vcc_lo, 0, v[234:235]
	v_cmp_eq_f64_e64 s0, 0, v[236:237]
	s_and_b32 s0, vcc_lo, s0
	s_and_saveexec_b32 s1, s0
	s_xor_b32 s0, exec_lo, s1
; %bb.738:
	v_cmp_ne_u32_e32 vcc_lo, 0, v247
	v_cndmask_b32_e32 v247, 36, v247, vcc_lo
; %bb.739:
	s_andn2_saveexec_b32 s0, s0
	s_cbranch_execz .LBB114_745
; %bb.740:
	v_cmp_ngt_f64_e64 s1, |v[234:235]|, |v[236:237]|
	s_and_saveexec_b32 s7, s1
	s_xor_b32 s1, exec_lo, s7
	s_cbranch_execz .LBB114_742
; %bb.741:
	v_div_scale_f64 v[214:215], null, v[236:237], v[236:237], v[234:235]
	v_div_scale_f64 v[220:221], vcc_lo, v[234:235], v[236:237], v[234:235]
	v_rcp_f64_e32 v[216:217], v[214:215]
	v_fma_f64 v[218:219], -v[214:215], v[216:217], 1.0
	v_fma_f64 v[216:217], v[216:217], v[218:219], v[216:217]
	v_fma_f64 v[218:219], -v[214:215], v[216:217], 1.0
	v_fma_f64 v[216:217], v[216:217], v[218:219], v[216:217]
	v_mul_f64 v[218:219], v[220:221], v[216:217]
	v_fma_f64 v[214:215], -v[214:215], v[218:219], v[220:221]
	v_div_fmas_f64 v[214:215], v[214:215], v[216:217], v[218:219]
	v_div_fixup_f64 v[214:215], v[214:215], v[236:237], v[234:235]
	v_fma_f64 v[216:217], v[234:235], v[214:215], v[236:237]
	v_div_scale_f64 v[218:219], null, v[216:217], v[216:217], 1.0
	v_rcp_f64_e32 v[220:221], v[218:219]
	v_fma_f64 v[222:223], -v[218:219], v[220:221], 1.0
	v_fma_f64 v[220:221], v[220:221], v[222:223], v[220:221]
	v_fma_f64 v[222:223], -v[218:219], v[220:221], 1.0
	v_fma_f64 v[220:221], v[220:221], v[222:223], v[220:221]
	v_div_scale_f64 v[222:223], vcc_lo, 1.0, v[216:217], 1.0
	v_mul_f64 v[224:225], v[222:223], v[220:221]
	v_fma_f64 v[218:219], -v[218:219], v[224:225], v[222:223]
	v_div_fmas_f64 v[218:219], v[218:219], v[220:221], v[224:225]
	v_div_fixup_f64 v[236:237], v[218:219], v[216:217], 1.0
	v_mul_f64 v[234:235], v[214:215], v[236:237]
	v_xor_b32_e32 v237, 0x80000000, v237
.LBB114_742:
	s_andn2_saveexec_b32 s1, s1
	s_cbranch_execz .LBB114_744
; %bb.743:
	v_div_scale_f64 v[214:215], null, v[234:235], v[234:235], v[236:237]
	v_div_scale_f64 v[220:221], vcc_lo, v[236:237], v[234:235], v[236:237]
	v_rcp_f64_e32 v[216:217], v[214:215]
	v_fma_f64 v[218:219], -v[214:215], v[216:217], 1.0
	v_fma_f64 v[216:217], v[216:217], v[218:219], v[216:217]
	v_fma_f64 v[218:219], -v[214:215], v[216:217], 1.0
	v_fma_f64 v[216:217], v[216:217], v[218:219], v[216:217]
	v_mul_f64 v[218:219], v[220:221], v[216:217]
	v_fma_f64 v[214:215], -v[214:215], v[218:219], v[220:221]
	v_div_fmas_f64 v[214:215], v[214:215], v[216:217], v[218:219]
	v_div_fixup_f64 v[214:215], v[214:215], v[234:235], v[236:237]
	v_fma_f64 v[216:217], v[236:237], v[214:215], v[234:235]
	v_div_scale_f64 v[218:219], null, v[216:217], v[216:217], 1.0
	v_rcp_f64_e32 v[220:221], v[218:219]
	v_fma_f64 v[222:223], -v[218:219], v[220:221], 1.0
	v_fma_f64 v[220:221], v[220:221], v[222:223], v[220:221]
	v_fma_f64 v[222:223], -v[218:219], v[220:221], 1.0
	v_fma_f64 v[220:221], v[220:221], v[222:223], v[220:221]
	v_div_scale_f64 v[222:223], vcc_lo, 1.0, v[216:217], 1.0
	v_mul_f64 v[224:225], v[222:223], v[220:221]
	v_fma_f64 v[218:219], -v[218:219], v[224:225], v[222:223]
	v_div_fmas_f64 v[218:219], v[218:219], v[220:221], v[224:225]
	v_div_fixup_f64 v[234:235], v[218:219], v[216:217], 1.0
	v_mul_f64 v[236:237], v[214:215], -v[234:235]
.LBB114_744:
	s_or_b32 exec_lo, exec_lo, s1
.LBB114_745:
	s_or_b32 exec_lo, exec_lo, s0
	s_mov_b32 s0, exec_lo
	v_cmpx_ne_u32_e64 v248, v242
	s_xor_b32 s0, exec_lo, s0
	s_cbranch_execz .LBB114_751
; %bb.746:
	s_mov_b32 s1, exec_lo
	v_cmpx_eq_u32_e32 35, v248
	s_cbranch_execz .LBB114_750
; %bb.747:
	v_cmp_ne_u32_e32 vcc_lo, 35, v242
	s_xor_b32 s7, s16, -1
	s_and_b32 s9, s7, vcc_lo
	s_and_saveexec_b32 s7, s9
	s_cbranch_execz .LBB114_749
; %bb.748:
	s_clause 0x1
	buffer_load_dword v210, off, s[20:23], 0
	buffer_load_dword v211, off, s[20:23], 0 offset:4
	v_ashrrev_i32_e32 v243, 31, v242
	v_lshlrev_b64 v[214:215], 2, v[242:243]
	s_waitcnt vmcnt(1)
	v_add_co_u32 v214, vcc_lo, v210, v214
	s_waitcnt vmcnt(0)
	v_add_co_ci_u32_e64 v215, null, v211, v215, vcc_lo
	s_clause 0x1
	global_load_dword v0, v[214:215], off
	global_load_dword v216, v[210:211], off offset:140
	s_waitcnt vmcnt(1)
	global_store_dword v[210:211], v0, off offset:140
	s_waitcnt vmcnt(0)
	global_store_dword v[214:215], v216, off
.LBB114_749:
	s_or_b32 exec_lo, exec_lo, s7
	v_mov_b32_e32 v248, v242
	v_mov_b32_e32 v0, v242
.LBB114_750:
	s_or_b32 exec_lo, exec_lo, s1
.LBB114_751:
	s_andn2_saveexec_b32 s0, s0
	s_cbranch_execz .LBB114_753
; %bb.752:
	v_mov_b32_e32 v248, 35
	ds_write2_b64 v1, v[86:87], v[88:89] offset0:72 offset1:73
	ds_write2_b64 v1, v[82:83], v[84:85] offset0:74 offset1:75
	;; [unrolled: 1-line block ×22, first 2 shown]
.LBB114_753:
	s_or_b32 exec_lo, exec_lo, s0
	s_mov_b32 s0, exec_lo
	s_waitcnt lgkmcnt(0)
	s_waitcnt_vscnt null, 0x0
	s_barrier
	buffer_gl0_inv
	v_cmpx_lt_i32_e32 35, v248
	s_cbranch_execz .LBB114_755
; %bb.754:
	v_mul_f64 v[214:215], v[236:237], v[92:93]
	v_mul_f64 v[92:93], v[234:235], v[92:93]
	v_fma_f64 v[242:243], v[234:235], v[90:91], -v[214:215]
	v_fma_f64 v[92:93], v[236:237], v[90:91], v[92:93]
	ds_read2_b64 v[234:237], v1 offset0:72 offset1:73
	s_waitcnt lgkmcnt(0)
	v_mul_f64 v[90:91], v[236:237], v[92:93]
	v_mul_f64 v[214:215], v[234:235], v[92:93]
	v_fma_f64 v[90:91], v[234:235], v[242:243], -v[90:91]
	v_fma_f64 v[214:215], v[236:237], v[242:243], v[214:215]
	ds_read2_b64 v[234:237], v1 offset0:74 offset1:75
	v_add_f64 v[86:87], v[86:87], -v[90:91]
	v_add_f64 v[88:89], v[88:89], -v[214:215]
	s_waitcnt lgkmcnt(0)
	v_mul_f64 v[90:91], v[236:237], v[92:93]
	v_mul_f64 v[214:215], v[234:235], v[92:93]
	v_fma_f64 v[90:91], v[234:235], v[242:243], -v[90:91]
	v_fma_f64 v[214:215], v[236:237], v[242:243], v[214:215]
	ds_read2_b64 v[234:237], v1 offset0:76 offset1:77
	v_add_f64 v[82:83], v[82:83], -v[90:91]
	v_add_f64 v[84:85], v[84:85], -v[214:215]
	;; [unrolled: 8-line block ×21, first 2 shown]
	s_waitcnt lgkmcnt(0)
	v_mul_f64 v[90:91], v[236:237], v[92:93]
	v_mul_f64 v[214:215], v[234:235], v[92:93]
	v_fma_f64 v[90:91], v[234:235], v[242:243], -v[90:91]
	v_fma_f64 v[214:215], v[236:237], v[242:243], v[214:215]
	v_add_f64 v[226:227], v[226:227], -v[90:91]
	v_add_f64 v[228:229], v[228:229], -v[214:215]
	v_mov_b32_e32 v90, v242
	v_mov_b32_e32 v91, v243
.LBB114_755:
	s_or_b32 exec_lo, exec_lo, s0
	v_lshl_add_u32 v214, v248, 4, v1
	s_barrier
	buffer_gl0_inv
	v_mov_b32_e32 v242, 36
	ds_write2_b64 v214, v[86:87], v[88:89] offset1:1
	s_waitcnt lgkmcnt(0)
	s_barrier
	buffer_gl0_inv
	ds_read2_b64 v[234:237], v1 offset0:72 offset1:73
	s_cmp_lt_i32 s8, 38
	s_cbranch_scc1 .LBB114_758
; %bb.756:
	v_add3_u32 v243, v254, 0, 0x250
	v_mov_b32_e32 v242, 36
	s_mov_b32 s0, 37
	s_inst_prefetch 0x1
	.p2align	6
.LBB114_757:                            ; =>This Inner Loop Header: Depth=1
	s_waitcnt lgkmcnt(0)
	v_cmp_gt_f64_e32 vcc_lo, 0, v[234:235]
	v_xor_b32_e32 v214, 0x80000000, v235
	ds_read2_b64 v[249:252], v243 offset1:1
	v_xor_b32_e32 v216, 0x80000000, v237
	v_add_nc_u32_e32 v243, 16, v243
	s_waitcnt lgkmcnt(0)
	v_xor_b32_e32 v218, 0x80000000, v252
	v_cndmask_b32_e32 v215, v235, v214, vcc_lo
	v_cmp_gt_f64_e32 vcc_lo, 0, v[236:237]
	v_mov_b32_e32 v214, v234
	v_cndmask_b32_e32 v217, v237, v216, vcc_lo
	v_cmp_gt_f64_e32 vcc_lo, 0, v[249:250]
	v_mov_b32_e32 v216, v236
	v_add_f64 v[214:215], v[214:215], v[216:217]
	v_xor_b32_e32 v216, 0x80000000, v250
	v_cndmask_b32_e32 v217, v250, v216, vcc_lo
	v_cmp_gt_f64_e32 vcc_lo, 0, v[251:252]
	v_mov_b32_e32 v216, v249
	v_cndmask_b32_e32 v219, v252, v218, vcc_lo
	v_mov_b32_e32 v218, v251
	v_add_f64 v[216:217], v[216:217], v[218:219]
	v_cmp_lt_f64_e32 vcc_lo, v[214:215], v[216:217]
	v_cndmask_b32_e32 v235, v235, v250, vcc_lo
	v_cndmask_b32_e32 v234, v234, v249, vcc_lo
	;; [unrolled: 1-line block ×4, first 2 shown]
	v_cndmask_b32_e64 v242, v242, s0, vcc_lo
	s_add_i32 s0, s0, 1
	s_cmp_lg_u32 s8, s0
	s_cbranch_scc1 .LBB114_757
.LBB114_758:
	s_inst_prefetch 0x2
	s_waitcnt lgkmcnt(0)
	v_cmp_eq_f64_e32 vcc_lo, 0, v[234:235]
	v_cmp_eq_f64_e64 s0, 0, v[236:237]
	s_and_b32 s0, vcc_lo, s0
	s_and_saveexec_b32 s1, s0
	s_xor_b32 s0, exec_lo, s1
; %bb.759:
	v_cmp_ne_u32_e32 vcc_lo, 0, v247
	v_cndmask_b32_e32 v247, 37, v247, vcc_lo
; %bb.760:
	s_andn2_saveexec_b32 s0, s0
	s_cbranch_execz .LBB114_766
; %bb.761:
	v_cmp_ngt_f64_e64 s1, |v[234:235]|, |v[236:237]|
	s_and_saveexec_b32 s7, s1
	s_xor_b32 s1, exec_lo, s7
	s_cbranch_execz .LBB114_763
; %bb.762:
	v_div_scale_f64 v[214:215], null, v[236:237], v[236:237], v[234:235]
	v_div_scale_f64 v[220:221], vcc_lo, v[234:235], v[236:237], v[234:235]
	v_rcp_f64_e32 v[216:217], v[214:215]
	v_fma_f64 v[218:219], -v[214:215], v[216:217], 1.0
	v_fma_f64 v[216:217], v[216:217], v[218:219], v[216:217]
	v_fma_f64 v[218:219], -v[214:215], v[216:217], 1.0
	v_fma_f64 v[216:217], v[216:217], v[218:219], v[216:217]
	v_mul_f64 v[218:219], v[220:221], v[216:217]
	v_fma_f64 v[214:215], -v[214:215], v[218:219], v[220:221]
	v_div_fmas_f64 v[214:215], v[214:215], v[216:217], v[218:219]
	v_div_fixup_f64 v[214:215], v[214:215], v[236:237], v[234:235]
	v_fma_f64 v[216:217], v[234:235], v[214:215], v[236:237]
	v_div_scale_f64 v[218:219], null, v[216:217], v[216:217], 1.0
	v_rcp_f64_e32 v[220:221], v[218:219]
	v_fma_f64 v[222:223], -v[218:219], v[220:221], 1.0
	v_fma_f64 v[220:221], v[220:221], v[222:223], v[220:221]
	v_fma_f64 v[222:223], -v[218:219], v[220:221], 1.0
	v_fma_f64 v[220:221], v[220:221], v[222:223], v[220:221]
	v_div_scale_f64 v[222:223], vcc_lo, 1.0, v[216:217], 1.0
	v_mul_f64 v[224:225], v[222:223], v[220:221]
	v_fma_f64 v[218:219], -v[218:219], v[224:225], v[222:223]
	v_div_fmas_f64 v[218:219], v[218:219], v[220:221], v[224:225]
	v_div_fixup_f64 v[236:237], v[218:219], v[216:217], 1.0
	v_mul_f64 v[234:235], v[214:215], v[236:237]
	v_xor_b32_e32 v237, 0x80000000, v237
.LBB114_763:
	s_andn2_saveexec_b32 s1, s1
	s_cbranch_execz .LBB114_765
; %bb.764:
	v_div_scale_f64 v[214:215], null, v[234:235], v[234:235], v[236:237]
	v_div_scale_f64 v[220:221], vcc_lo, v[236:237], v[234:235], v[236:237]
	v_rcp_f64_e32 v[216:217], v[214:215]
	v_fma_f64 v[218:219], -v[214:215], v[216:217], 1.0
	v_fma_f64 v[216:217], v[216:217], v[218:219], v[216:217]
	v_fma_f64 v[218:219], -v[214:215], v[216:217], 1.0
	v_fma_f64 v[216:217], v[216:217], v[218:219], v[216:217]
	v_mul_f64 v[218:219], v[220:221], v[216:217]
	v_fma_f64 v[214:215], -v[214:215], v[218:219], v[220:221]
	v_div_fmas_f64 v[214:215], v[214:215], v[216:217], v[218:219]
	v_div_fixup_f64 v[214:215], v[214:215], v[234:235], v[236:237]
	v_fma_f64 v[216:217], v[236:237], v[214:215], v[234:235]
	v_div_scale_f64 v[218:219], null, v[216:217], v[216:217], 1.0
	v_rcp_f64_e32 v[220:221], v[218:219]
	v_fma_f64 v[222:223], -v[218:219], v[220:221], 1.0
	v_fma_f64 v[220:221], v[220:221], v[222:223], v[220:221]
	v_fma_f64 v[222:223], -v[218:219], v[220:221], 1.0
	v_fma_f64 v[220:221], v[220:221], v[222:223], v[220:221]
	v_div_scale_f64 v[222:223], vcc_lo, 1.0, v[216:217], 1.0
	v_mul_f64 v[224:225], v[222:223], v[220:221]
	v_fma_f64 v[218:219], -v[218:219], v[224:225], v[222:223]
	v_div_fmas_f64 v[218:219], v[218:219], v[220:221], v[224:225]
	v_div_fixup_f64 v[234:235], v[218:219], v[216:217], 1.0
	v_mul_f64 v[236:237], v[214:215], -v[234:235]
.LBB114_765:
	s_or_b32 exec_lo, exec_lo, s1
.LBB114_766:
	s_or_b32 exec_lo, exec_lo, s0
	s_mov_b32 s0, exec_lo
	v_cmpx_ne_u32_e64 v248, v242
	s_xor_b32 s0, exec_lo, s0
	s_cbranch_execz .LBB114_772
; %bb.767:
	s_mov_b32 s1, exec_lo
	v_cmpx_eq_u32_e32 36, v248
	s_cbranch_execz .LBB114_771
; %bb.768:
	v_cmp_ne_u32_e32 vcc_lo, 36, v242
	s_xor_b32 s7, s16, -1
	s_and_b32 s9, s7, vcc_lo
	s_and_saveexec_b32 s7, s9
	s_cbranch_execz .LBB114_770
; %bb.769:
	s_clause 0x1
	buffer_load_dword v210, off, s[20:23], 0
	buffer_load_dword v211, off, s[20:23], 0 offset:4
	v_ashrrev_i32_e32 v243, 31, v242
	v_lshlrev_b64 v[214:215], 2, v[242:243]
	s_waitcnt vmcnt(1)
	v_add_co_u32 v214, vcc_lo, v210, v214
	s_waitcnt vmcnt(0)
	v_add_co_ci_u32_e64 v215, null, v211, v215, vcc_lo
	s_clause 0x1
	global_load_dword v0, v[214:215], off
	global_load_dword v216, v[210:211], off offset:144
	s_waitcnt vmcnt(1)
	global_store_dword v[210:211], v0, off offset:144
	s_waitcnt vmcnt(0)
	global_store_dword v[214:215], v216, off
.LBB114_770:
	s_or_b32 exec_lo, exec_lo, s7
	v_mov_b32_e32 v248, v242
	v_mov_b32_e32 v0, v242
.LBB114_771:
	s_or_b32 exec_lo, exec_lo, s1
.LBB114_772:
	s_andn2_saveexec_b32 s0, s0
	s_cbranch_execz .LBB114_774
; %bb.773:
	v_mov_b32_e32 v248, 36
	ds_write2_b64 v1, v[82:83], v[84:85] offset0:74 offset1:75
	ds_write2_b64 v1, v[78:79], v[80:81] offset0:76 offset1:77
	;; [unrolled: 1-line block ×21, first 2 shown]
.LBB114_774:
	s_or_b32 exec_lo, exec_lo, s0
	s_mov_b32 s0, exec_lo
	s_waitcnt lgkmcnt(0)
	s_waitcnt_vscnt null, 0x0
	s_barrier
	buffer_gl0_inv
	v_cmpx_lt_i32_e32 36, v248
	s_cbranch_execz .LBB114_776
; %bb.775:
	v_mul_f64 v[214:215], v[236:237], v[88:89]
	v_mul_f64 v[88:89], v[234:235], v[88:89]
	v_fma_f64 v[242:243], v[234:235], v[86:87], -v[214:215]
	v_fma_f64 v[88:89], v[236:237], v[86:87], v[88:89]
	ds_read2_b64 v[234:237], v1 offset0:74 offset1:75
	s_waitcnt lgkmcnt(0)
	v_mul_f64 v[86:87], v[236:237], v[88:89]
	v_mul_f64 v[214:215], v[234:235], v[88:89]
	v_fma_f64 v[86:87], v[234:235], v[242:243], -v[86:87]
	v_fma_f64 v[214:215], v[236:237], v[242:243], v[214:215]
	ds_read2_b64 v[234:237], v1 offset0:76 offset1:77
	v_add_f64 v[82:83], v[82:83], -v[86:87]
	v_add_f64 v[84:85], v[84:85], -v[214:215]
	s_waitcnt lgkmcnt(0)
	v_mul_f64 v[86:87], v[236:237], v[88:89]
	v_mul_f64 v[214:215], v[234:235], v[88:89]
	v_fma_f64 v[86:87], v[234:235], v[242:243], -v[86:87]
	v_fma_f64 v[214:215], v[236:237], v[242:243], v[214:215]
	ds_read2_b64 v[234:237], v1 offset0:78 offset1:79
	v_add_f64 v[78:79], v[78:79], -v[86:87]
	v_add_f64 v[80:81], v[80:81], -v[214:215]
	;; [unrolled: 8-line block ×20, first 2 shown]
	s_waitcnt lgkmcnt(0)
	v_mul_f64 v[86:87], v[236:237], v[88:89]
	v_mul_f64 v[214:215], v[234:235], v[88:89]
	v_fma_f64 v[86:87], v[234:235], v[242:243], -v[86:87]
	v_fma_f64 v[214:215], v[236:237], v[242:243], v[214:215]
	v_add_f64 v[226:227], v[226:227], -v[86:87]
	v_add_f64 v[228:229], v[228:229], -v[214:215]
	v_mov_b32_e32 v86, v242
	v_mov_b32_e32 v87, v243
.LBB114_776:
	s_or_b32 exec_lo, exec_lo, s0
	v_lshl_add_u32 v214, v248, 4, v1
	s_barrier
	buffer_gl0_inv
	v_mov_b32_e32 v242, 37
	ds_write2_b64 v214, v[82:83], v[84:85] offset1:1
	s_waitcnt lgkmcnt(0)
	s_barrier
	buffer_gl0_inv
	ds_read2_b64 v[234:237], v1 offset0:74 offset1:75
	s_cmp_lt_i32 s8, 39
	s_cbranch_scc1 .LBB114_779
; %bb.777:
	v_add3_u32 v243, v254, 0, 0x260
	v_mov_b32_e32 v242, 37
	s_mov_b32 s0, 38
	s_inst_prefetch 0x1
	.p2align	6
.LBB114_778:                            ; =>This Inner Loop Header: Depth=1
	s_waitcnt lgkmcnt(0)
	v_cmp_gt_f64_e32 vcc_lo, 0, v[234:235]
	v_xor_b32_e32 v214, 0x80000000, v235
	ds_read2_b64 v[249:252], v243 offset1:1
	v_xor_b32_e32 v216, 0x80000000, v237
	v_add_nc_u32_e32 v243, 16, v243
	s_waitcnt lgkmcnt(0)
	v_xor_b32_e32 v218, 0x80000000, v252
	v_cndmask_b32_e32 v215, v235, v214, vcc_lo
	v_cmp_gt_f64_e32 vcc_lo, 0, v[236:237]
	v_mov_b32_e32 v214, v234
	v_cndmask_b32_e32 v217, v237, v216, vcc_lo
	v_cmp_gt_f64_e32 vcc_lo, 0, v[249:250]
	v_mov_b32_e32 v216, v236
	v_add_f64 v[214:215], v[214:215], v[216:217]
	v_xor_b32_e32 v216, 0x80000000, v250
	v_cndmask_b32_e32 v217, v250, v216, vcc_lo
	v_cmp_gt_f64_e32 vcc_lo, 0, v[251:252]
	v_mov_b32_e32 v216, v249
	v_cndmask_b32_e32 v219, v252, v218, vcc_lo
	v_mov_b32_e32 v218, v251
	v_add_f64 v[216:217], v[216:217], v[218:219]
	v_cmp_lt_f64_e32 vcc_lo, v[214:215], v[216:217]
	v_cndmask_b32_e32 v235, v235, v250, vcc_lo
	v_cndmask_b32_e32 v234, v234, v249, vcc_lo
	;; [unrolled: 1-line block ×4, first 2 shown]
	v_cndmask_b32_e64 v242, v242, s0, vcc_lo
	s_add_i32 s0, s0, 1
	s_cmp_lg_u32 s8, s0
	s_cbranch_scc1 .LBB114_778
.LBB114_779:
	s_inst_prefetch 0x2
	s_waitcnt lgkmcnt(0)
	v_cmp_eq_f64_e32 vcc_lo, 0, v[234:235]
	v_cmp_eq_f64_e64 s0, 0, v[236:237]
	s_and_b32 s0, vcc_lo, s0
	s_and_saveexec_b32 s1, s0
	s_xor_b32 s0, exec_lo, s1
; %bb.780:
	v_cmp_ne_u32_e32 vcc_lo, 0, v247
	v_cndmask_b32_e32 v247, 38, v247, vcc_lo
; %bb.781:
	s_andn2_saveexec_b32 s0, s0
	s_cbranch_execz .LBB114_787
; %bb.782:
	v_cmp_ngt_f64_e64 s1, |v[234:235]|, |v[236:237]|
	s_and_saveexec_b32 s7, s1
	s_xor_b32 s1, exec_lo, s7
	s_cbranch_execz .LBB114_784
; %bb.783:
	v_div_scale_f64 v[214:215], null, v[236:237], v[236:237], v[234:235]
	v_div_scale_f64 v[220:221], vcc_lo, v[234:235], v[236:237], v[234:235]
	v_rcp_f64_e32 v[216:217], v[214:215]
	v_fma_f64 v[218:219], -v[214:215], v[216:217], 1.0
	v_fma_f64 v[216:217], v[216:217], v[218:219], v[216:217]
	v_fma_f64 v[218:219], -v[214:215], v[216:217], 1.0
	v_fma_f64 v[216:217], v[216:217], v[218:219], v[216:217]
	v_mul_f64 v[218:219], v[220:221], v[216:217]
	v_fma_f64 v[214:215], -v[214:215], v[218:219], v[220:221]
	v_div_fmas_f64 v[214:215], v[214:215], v[216:217], v[218:219]
	v_div_fixup_f64 v[214:215], v[214:215], v[236:237], v[234:235]
	v_fma_f64 v[216:217], v[234:235], v[214:215], v[236:237]
	v_div_scale_f64 v[218:219], null, v[216:217], v[216:217], 1.0
	v_rcp_f64_e32 v[220:221], v[218:219]
	v_fma_f64 v[222:223], -v[218:219], v[220:221], 1.0
	v_fma_f64 v[220:221], v[220:221], v[222:223], v[220:221]
	v_fma_f64 v[222:223], -v[218:219], v[220:221], 1.0
	v_fma_f64 v[220:221], v[220:221], v[222:223], v[220:221]
	v_div_scale_f64 v[222:223], vcc_lo, 1.0, v[216:217], 1.0
	v_mul_f64 v[224:225], v[222:223], v[220:221]
	v_fma_f64 v[218:219], -v[218:219], v[224:225], v[222:223]
	v_div_fmas_f64 v[218:219], v[218:219], v[220:221], v[224:225]
	v_div_fixup_f64 v[236:237], v[218:219], v[216:217], 1.0
	v_mul_f64 v[234:235], v[214:215], v[236:237]
	v_xor_b32_e32 v237, 0x80000000, v237
.LBB114_784:
	s_andn2_saveexec_b32 s1, s1
	s_cbranch_execz .LBB114_786
; %bb.785:
	v_div_scale_f64 v[214:215], null, v[234:235], v[234:235], v[236:237]
	v_div_scale_f64 v[220:221], vcc_lo, v[236:237], v[234:235], v[236:237]
	v_rcp_f64_e32 v[216:217], v[214:215]
	v_fma_f64 v[218:219], -v[214:215], v[216:217], 1.0
	v_fma_f64 v[216:217], v[216:217], v[218:219], v[216:217]
	v_fma_f64 v[218:219], -v[214:215], v[216:217], 1.0
	v_fma_f64 v[216:217], v[216:217], v[218:219], v[216:217]
	v_mul_f64 v[218:219], v[220:221], v[216:217]
	v_fma_f64 v[214:215], -v[214:215], v[218:219], v[220:221]
	v_div_fmas_f64 v[214:215], v[214:215], v[216:217], v[218:219]
	v_div_fixup_f64 v[214:215], v[214:215], v[234:235], v[236:237]
	v_fma_f64 v[216:217], v[236:237], v[214:215], v[234:235]
	v_div_scale_f64 v[218:219], null, v[216:217], v[216:217], 1.0
	v_rcp_f64_e32 v[220:221], v[218:219]
	v_fma_f64 v[222:223], -v[218:219], v[220:221], 1.0
	v_fma_f64 v[220:221], v[220:221], v[222:223], v[220:221]
	v_fma_f64 v[222:223], -v[218:219], v[220:221], 1.0
	v_fma_f64 v[220:221], v[220:221], v[222:223], v[220:221]
	v_div_scale_f64 v[222:223], vcc_lo, 1.0, v[216:217], 1.0
	v_mul_f64 v[224:225], v[222:223], v[220:221]
	v_fma_f64 v[218:219], -v[218:219], v[224:225], v[222:223]
	v_div_fmas_f64 v[218:219], v[218:219], v[220:221], v[224:225]
	v_div_fixup_f64 v[234:235], v[218:219], v[216:217], 1.0
	v_mul_f64 v[236:237], v[214:215], -v[234:235]
.LBB114_786:
	s_or_b32 exec_lo, exec_lo, s1
.LBB114_787:
	s_or_b32 exec_lo, exec_lo, s0
	s_mov_b32 s0, exec_lo
	v_cmpx_ne_u32_e64 v248, v242
	s_xor_b32 s0, exec_lo, s0
	s_cbranch_execz .LBB114_793
; %bb.788:
	s_mov_b32 s1, exec_lo
	v_cmpx_eq_u32_e32 37, v248
	s_cbranch_execz .LBB114_792
; %bb.789:
	v_cmp_ne_u32_e32 vcc_lo, 37, v242
	s_xor_b32 s7, s16, -1
	s_and_b32 s9, s7, vcc_lo
	s_and_saveexec_b32 s7, s9
	s_cbranch_execz .LBB114_791
; %bb.790:
	s_clause 0x1
	buffer_load_dword v210, off, s[20:23], 0
	buffer_load_dword v211, off, s[20:23], 0 offset:4
	v_ashrrev_i32_e32 v243, 31, v242
	v_lshlrev_b64 v[214:215], 2, v[242:243]
	s_waitcnt vmcnt(1)
	v_add_co_u32 v214, vcc_lo, v210, v214
	s_waitcnt vmcnt(0)
	v_add_co_ci_u32_e64 v215, null, v211, v215, vcc_lo
	s_clause 0x1
	global_load_dword v0, v[214:215], off
	global_load_dword v216, v[210:211], off offset:148
	s_waitcnt vmcnt(1)
	global_store_dword v[210:211], v0, off offset:148
	s_waitcnt vmcnt(0)
	global_store_dword v[214:215], v216, off
.LBB114_791:
	s_or_b32 exec_lo, exec_lo, s7
	v_mov_b32_e32 v248, v242
	v_mov_b32_e32 v0, v242
.LBB114_792:
	s_or_b32 exec_lo, exec_lo, s1
.LBB114_793:
	s_andn2_saveexec_b32 s0, s0
	s_cbranch_execz .LBB114_795
; %bb.794:
	v_mov_b32_e32 v248, 37
	ds_write2_b64 v1, v[78:79], v[80:81] offset0:76 offset1:77
	ds_write2_b64 v1, v[74:75], v[76:77] offset0:78 offset1:79
	;; [unrolled: 1-line block ×20, first 2 shown]
.LBB114_795:
	s_or_b32 exec_lo, exec_lo, s0
	s_mov_b32 s0, exec_lo
	s_waitcnt lgkmcnt(0)
	s_waitcnt_vscnt null, 0x0
	s_barrier
	buffer_gl0_inv
	v_cmpx_lt_i32_e32 37, v248
	s_cbranch_execz .LBB114_797
; %bb.796:
	v_mul_f64 v[214:215], v[236:237], v[84:85]
	v_mul_f64 v[84:85], v[234:235], v[84:85]
	v_fma_f64 v[242:243], v[234:235], v[82:83], -v[214:215]
	v_fma_f64 v[84:85], v[236:237], v[82:83], v[84:85]
	ds_read2_b64 v[234:237], v1 offset0:76 offset1:77
	s_waitcnt lgkmcnt(0)
	v_mul_f64 v[82:83], v[236:237], v[84:85]
	v_mul_f64 v[214:215], v[234:235], v[84:85]
	v_fma_f64 v[82:83], v[234:235], v[242:243], -v[82:83]
	v_fma_f64 v[214:215], v[236:237], v[242:243], v[214:215]
	ds_read2_b64 v[234:237], v1 offset0:78 offset1:79
	v_add_f64 v[78:79], v[78:79], -v[82:83]
	v_add_f64 v[80:81], v[80:81], -v[214:215]
	s_waitcnt lgkmcnt(0)
	v_mul_f64 v[82:83], v[236:237], v[84:85]
	v_mul_f64 v[214:215], v[234:235], v[84:85]
	v_fma_f64 v[82:83], v[234:235], v[242:243], -v[82:83]
	v_fma_f64 v[214:215], v[236:237], v[242:243], v[214:215]
	ds_read2_b64 v[234:237], v1 offset0:80 offset1:81
	v_add_f64 v[74:75], v[74:75], -v[82:83]
	v_add_f64 v[76:77], v[76:77], -v[214:215]
	;; [unrolled: 8-line block ×19, first 2 shown]
	s_waitcnt lgkmcnt(0)
	v_mul_f64 v[82:83], v[236:237], v[84:85]
	v_mul_f64 v[214:215], v[234:235], v[84:85]
	v_fma_f64 v[82:83], v[234:235], v[242:243], -v[82:83]
	v_fma_f64 v[214:215], v[236:237], v[242:243], v[214:215]
	v_add_f64 v[226:227], v[226:227], -v[82:83]
	v_add_f64 v[228:229], v[228:229], -v[214:215]
	v_mov_b32_e32 v82, v242
	v_mov_b32_e32 v83, v243
.LBB114_797:
	s_or_b32 exec_lo, exec_lo, s0
	v_lshl_add_u32 v214, v248, 4, v1
	s_barrier
	buffer_gl0_inv
	v_mov_b32_e32 v242, 38
	ds_write2_b64 v214, v[78:79], v[80:81] offset1:1
	s_waitcnt lgkmcnt(0)
	s_barrier
	buffer_gl0_inv
	ds_read2_b64 v[234:237], v1 offset0:76 offset1:77
	s_cmp_lt_i32 s8, 40
	s_cbranch_scc1 .LBB114_800
; %bb.798:
	v_add3_u32 v243, v254, 0, 0x270
	v_mov_b32_e32 v242, 38
	s_mov_b32 s0, 39
	s_inst_prefetch 0x1
	.p2align	6
.LBB114_799:                            ; =>This Inner Loop Header: Depth=1
	s_waitcnt lgkmcnt(0)
	v_cmp_gt_f64_e32 vcc_lo, 0, v[234:235]
	v_xor_b32_e32 v214, 0x80000000, v235
	ds_read2_b64 v[249:252], v243 offset1:1
	v_xor_b32_e32 v216, 0x80000000, v237
	v_add_nc_u32_e32 v243, 16, v243
	s_waitcnt lgkmcnt(0)
	v_xor_b32_e32 v218, 0x80000000, v252
	v_cndmask_b32_e32 v215, v235, v214, vcc_lo
	v_cmp_gt_f64_e32 vcc_lo, 0, v[236:237]
	v_mov_b32_e32 v214, v234
	v_cndmask_b32_e32 v217, v237, v216, vcc_lo
	v_cmp_gt_f64_e32 vcc_lo, 0, v[249:250]
	v_mov_b32_e32 v216, v236
	v_add_f64 v[214:215], v[214:215], v[216:217]
	v_xor_b32_e32 v216, 0x80000000, v250
	v_cndmask_b32_e32 v217, v250, v216, vcc_lo
	v_cmp_gt_f64_e32 vcc_lo, 0, v[251:252]
	v_mov_b32_e32 v216, v249
	v_cndmask_b32_e32 v219, v252, v218, vcc_lo
	v_mov_b32_e32 v218, v251
	v_add_f64 v[216:217], v[216:217], v[218:219]
	v_cmp_lt_f64_e32 vcc_lo, v[214:215], v[216:217]
	v_cndmask_b32_e32 v235, v235, v250, vcc_lo
	v_cndmask_b32_e32 v234, v234, v249, vcc_lo
	;; [unrolled: 1-line block ×4, first 2 shown]
	v_cndmask_b32_e64 v242, v242, s0, vcc_lo
	s_add_i32 s0, s0, 1
	s_cmp_lg_u32 s8, s0
	s_cbranch_scc1 .LBB114_799
.LBB114_800:
	s_inst_prefetch 0x2
	s_waitcnt lgkmcnt(0)
	v_cmp_eq_f64_e32 vcc_lo, 0, v[234:235]
	v_cmp_eq_f64_e64 s0, 0, v[236:237]
	s_and_b32 s0, vcc_lo, s0
	s_and_saveexec_b32 s1, s0
	s_xor_b32 s0, exec_lo, s1
; %bb.801:
	v_cmp_ne_u32_e32 vcc_lo, 0, v247
	v_cndmask_b32_e32 v247, 39, v247, vcc_lo
; %bb.802:
	s_andn2_saveexec_b32 s0, s0
	s_cbranch_execz .LBB114_808
; %bb.803:
	v_cmp_ngt_f64_e64 s1, |v[234:235]|, |v[236:237]|
	s_and_saveexec_b32 s7, s1
	s_xor_b32 s1, exec_lo, s7
	s_cbranch_execz .LBB114_805
; %bb.804:
	v_div_scale_f64 v[214:215], null, v[236:237], v[236:237], v[234:235]
	v_div_scale_f64 v[220:221], vcc_lo, v[234:235], v[236:237], v[234:235]
	v_rcp_f64_e32 v[216:217], v[214:215]
	v_fma_f64 v[218:219], -v[214:215], v[216:217], 1.0
	v_fma_f64 v[216:217], v[216:217], v[218:219], v[216:217]
	v_fma_f64 v[218:219], -v[214:215], v[216:217], 1.0
	v_fma_f64 v[216:217], v[216:217], v[218:219], v[216:217]
	v_mul_f64 v[218:219], v[220:221], v[216:217]
	v_fma_f64 v[214:215], -v[214:215], v[218:219], v[220:221]
	v_div_fmas_f64 v[214:215], v[214:215], v[216:217], v[218:219]
	v_div_fixup_f64 v[214:215], v[214:215], v[236:237], v[234:235]
	v_fma_f64 v[216:217], v[234:235], v[214:215], v[236:237]
	v_div_scale_f64 v[218:219], null, v[216:217], v[216:217], 1.0
	v_rcp_f64_e32 v[220:221], v[218:219]
	v_fma_f64 v[222:223], -v[218:219], v[220:221], 1.0
	v_fma_f64 v[220:221], v[220:221], v[222:223], v[220:221]
	v_fma_f64 v[222:223], -v[218:219], v[220:221], 1.0
	v_fma_f64 v[220:221], v[220:221], v[222:223], v[220:221]
	v_div_scale_f64 v[222:223], vcc_lo, 1.0, v[216:217], 1.0
	v_mul_f64 v[224:225], v[222:223], v[220:221]
	v_fma_f64 v[218:219], -v[218:219], v[224:225], v[222:223]
	v_div_fmas_f64 v[218:219], v[218:219], v[220:221], v[224:225]
	v_div_fixup_f64 v[236:237], v[218:219], v[216:217], 1.0
	v_mul_f64 v[234:235], v[214:215], v[236:237]
	v_xor_b32_e32 v237, 0x80000000, v237
.LBB114_805:
	s_andn2_saveexec_b32 s1, s1
	s_cbranch_execz .LBB114_807
; %bb.806:
	v_div_scale_f64 v[214:215], null, v[234:235], v[234:235], v[236:237]
	v_div_scale_f64 v[220:221], vcc_lo, v[236:237], v[234:235], v[236:237]
	v_rcp_f64_e32 v[216:217], v[214:215]
	v_fma_f64 v[218:219], -v[214:215], v[216:217], 1.0
	v_fma_f64 v[216:217], v[216:217], v[218:219], v[216:217]
	v_fma_f64 v[218:219], -v[214:215], v[216:217], 1.0
	v_fma_f64 v[216:217], v[216:217], v[218:219], v[216:217]
	v_mul_f64 v[218:219], v[220:221], v[216:217]
	v_fma_f64 v[214:215], -v[214:215], v[218:219], v[220:221]
	v_div_fmas_f64 v[214:215], v[214:215], v[216:217], v[218:219]
	v_div_fixup_f64 v[214:215], v[214:215], v[234:235], v[236:237]
	v_fma_f64 v[216:217], v[236:237], v[214:215], v[234:235]
	v_div_scale_f64 v[218:219], null, v[216:217], v[216:217], 1.0
	v_rcp_f64_e32 v[220:221], v[218:219]
	v_fma_f64 v[222:223], -v[218:219], v[220:221], 1.0
	v_fma_f64 v[220:221], v[220:221], v[222:223], v[220:221]
	v_fma_f64 v[222:223], -v[218:219], v[220:221], 1.0
	v_fma_f64 v[220:221], v[220:221], v[222:223], v[220:221]
	v_div_scale_f64 v[222:223], vcc_lo, 1.0, v[216:217], 1.0
	v_mul_f64 v[224:225], v[222:223], v[220:221]
	v_fma_f64 v[218:219], -v[218:219], v[224:225], v[222:223]
	v_div_fmas_f64 v[218:219], v[218:219], v[220:221], v[224:225]
	v_div_fixup_f64 v[234:235], v[218:219], v[216:217], 1.0
	v_mul_f64 v[236:237], v[214:215], -v[234:235]
.LBB114_807:
	s_or_b32 exec_lo, exec_lo, s1
.LBB114_808:
	s_or_b32 exec_lo, exec_lo, s0
	s_mov_b32 s0, exec_lo
	v_cmpx_ne_u32_e64 v248, v242
	s_xor_b32 s0, exec_lo, s0
	s_cbranch_execz .LBB114_814
; %bb.809:
	s_mov_b32 s1, exec_lo
	v_cmpx_eq_u32_e32 38, v248
	s_cbranch_execz .LBB114_813
; %bb.810:
	v_cmp_ne_u32_e32 vcc_lo, 38, v242
	s_xor_b32 s7, s16, -1
	s_and_b32 s9, s7, vcc_lo
	s_and_saveexec_b32 s7, s9
	s_cbranch_execz .LBB114_812
; %bb.811:
	s_clause 0x1
	buffer_load_dword v210, off, s[20:23], 0
	buffer_load_dword v211, off, s[20:23], 0 offset:4
	v_ashrrev_i32_e32 v243, 31, v242
	v_lshlrev_b64 v[214:215], 2, v[242:243]
	s_waitcnt vmcnt(1)
	v_add_co_u32 v214, vcc_lo, v210, v214
	s_waitcnt vmcnt(0)
	v_add_co_ci_u32_e64 v215, null, v211, v215, vcc_lo
	s_clause 0x1
	global_load_dword v0, v[214:215], off
	global_load_dword v216, v[210:211], off offset:152
	s_waitcnt vmcnt(1)
	global_store_dword v[210:211], v0, off offset:152
	s_waitcnt vmcnt(0)
	global_store_dword v[214:215], v216, off
.LBB114_812:
	s_or_b32 exec_lo, exec_lo, s7
	v_mov_b32_e32 v248, v242
	v_mov_b32_e32 v0, v242
.LBB114_813:
	s_or_b32 exec_lo, exec_lo, s1
.LBB114_814:
	s_andn2_saveexec_b32 s0, s0
	s_cbranch_execz .LBB114_816
; %bb.815:
	v_mov_b32_e32 v248, 38
	ds_write2_b64 v1, v[74:75], v[76:77] offset0:78 offset1:79
	ds_write2_b64 v1, v[70:71], v[72:73] offset0:80 offset1:81
	;; [unrolled: 1-line block ×19, first 2 shown]
.LBB114_816:
	s_or_b32 exec_lo, exec_lo, s0
	s_mov_b32 s0, exec_lo
	s_waitcnt lgkmcnt(0)
	s_waitcnt_vscnt null, 0x0
	s_barrier
	buffer_gl0_inv
	v_cmpx_lt_i32_e32 38, v248
	s_cbranch_execz .LBB114_818
; %bb.817:
	v_mul_f64 v[214:215], v[236:237], v[80:81]
	v_mul_f64 v[80:81], v[234:235], v[80:81]
	v_fma_f64 v[242:243], v[234:235], v[78:79], -v[214:215]
	v_fma_f64 v[80:81], v[236:237], v[78:79], v[80:81]
	ds_read2_b64 v[234:237], v1 offset0:78 offset1:79
	s_waitcnt lgkmcnt(0)
	v_mul_f64 v[78:79], v[236:237], v[80:81]
	v_mul_f64 v[214:215], v[234:235], v[80:81]
	v_fma_f64 v[78:79], v[234:235], v[242:243], -v[78:79]
	v_fma_f64 v[214:215], v[236:237], v[242:243], v[214:215]
	ds_read2_b64 v[234:237], v1 offset0:80 offset1:81
	v_add_f64 v[74:75], v[74:75], -v[78:79]
	v_add_f64 v[76:77], v[76:77], -v[214:215]
	s_waitcnt lgkmcnt(0)
	v_mul_f64 v[78:79], v[236:237], v[80:81]
	v_mul_f64 v[214:215], v[234:235], v[80:81]
	v_fma_f64 v[78:79], v[234:235], v[242:243], -v[78:79]
	v_fma_f64 v[214:215], v[236:237], v[242:243], v[214:215]
	ds_read2_b64 v[234:237], v1 offset0:82 offset1:83
	v_add_f64 v[70:71], v[70:71], -v[78:79]
	v_add_f64 v[72:73], v[72:73], -v[214:215]
	;; [unrolled: 8-line block ×18, first 2 shown]
	s_waitcnt lgkmcnt(0)
	v_mul_f64 v[78:79], v[236:237], v[80:81]
	v_mul_f64 v[214:215], v[234:235], v[80:81]
	v_fma_f64 v[78:79], v[234:235], v[242:243], -v[78:79]
	v_fma_f64 v[214:215], v[236:237], v[242:243], v[214:215]
	v_add_f64 v[226:227], v[226:227], -v[78:79]
	v_add_f64 v[228:229], v[228:229], -v[214:215]
	v_mov_b32_e32 v78, v242
	v_mov_b32_e32 v79, v243
.LBB114_818:
	s_or_b32 exec_lo, exec_lo, s0
	v_lshl_add_u32 v214, v248, 4, v1
	s_barrier
	buffer_gl0_inv
	v_mov_b32_e32 v242, 39
	ds_write2_b64 v214, v[74:75], v[76:77] offset1:1
	s_waitcnt lgkmcnt(0)
	s_barrier
	buffer_gl0_inv
	ds_read2_b64 v[234:237], v1 offset0:78 offset1:79
	s_cmp_lt_i32 s8, 41
	s_cbranch_scc1 .LBB114_821
; %bb.819:
	v_add3_u32 v243, v254, 0, 0x280
	v_mov_b32_e32 v242, 39
	s_mov_b32 s0, 40
	s_inst_prefetch 0x1
	.p2align	6
.LBB114_820:                            ; =>This Inner Loop Header: Depth=1
	s_waitcnt lgkmcnt(0)
	v_cmp_gt_f64_e32 vcc_lo, 0, v[234:235]
	v_xor_b32_e32 v214, 0x80000000, v235
	ds_read2_b64 v[249:252], v243 offset1:1
	v_xor_b32_e32 v216, 0x80000000, v237
	v_add_nc_u32_e32 v243, 16, v243
	s_waitcnt lgkmcnt(0)
	v_xor_b32_e32 v218, 0x80000000, v252
	v_cndmask_b32_e32 v215, v235, v214, vcc_lo
	v_cmp_gt_f64_e32 vcc_lo, 0, v[236:237]
	v_mov_b32_e32 v214, v234
	v_cndmask_b32_e32 v217, v237, v216, vcc_lo
	v_cmp_gt_f64_e32 vcc_lo, 0, v[249:250]
	v_mov_b32_e32 v216, v236
	v_add_f64 v[214:215], v[214:215], v[216:217]
	v_xor_b32_e32 v216, 0x80000000, v250
	v_cndmask_b32_e32 v217, v250, v216, vcc_lo
	v_cmp_gt_f64_e32 vcc_lo, 0, v[251:252]
	v_mov_b32_e32 v216, v249
	v_cndmask_b32_e32 v219, v252, v218, vcc_lo
	v_mov_b32_e32 v218, v251
	v_add_f64 v[216:217], v[216:217], v[218:219]
	v_cmp_lt_f64_e32 vcc_lo, v[214:215], v[216:217]
	v_cndmask_b32_e32 v235, v235, v250, vcc_lo
	v_cndmask_b32_e32 v234, v234, v249, vcc_lo
	v_cndmask_b32_e32 v237, v237, v252, vcc_lo
	v_cndmask_b32_e32 v236, v236, v251, vcc_lo
	v_cndmask_b32_e64 v242, v242, s0, vcc_lo
	s_add_i32 s0, s0, 1
	s_cmp_lg_u32 s8, s0
	s_cbranch_scc1 .LBB114_820
.LBB114_821:
	s_inst_prefetch 0x2
	s_waitcnt lgkmcnt(0)
	v_cmp_eq_f64_e32 vcc_lo, 0, v[234:235]
	v_cmp_eq_f64_e64 s0, 0, v[236:237]
	s_and_b32 s0, vcc_lo, s0
	s_and_saveexec_b32 s1, s0
	s_xor_b32 s0, exec_lo, s1
; %bb.822:
	v_cmp_ne_u32_e32 vcc_lo, 0, v247
	v_cndmask_b32_e32 v247, 40, v247, vcc_lo
; %bb.823:
	s_andn2_saveexec_b32 s0, s0
	s_cbranch_execz .LBB114_829
; %bb.824:
	v_cmp_ngt_f64_e64 s1, |v[234:235]|, |v[236:237]|
	s_and_saveexec_b32 s7, s1
	s_xor_b32 s1, exec_lo, s7
	s_cbranch_execz .LBB114_826
; %bb.825:
	v_div_scale_f64 v[214:215], null, v[236:237], v[236:237], v[234:235]
	v_div_scale_f64 v[220:221], vcc_lo, v[234:235], v[236:237], v[234:235]
	v_rcp_f64_e32 v[216:217], v[214:215]
	v_fma_f64 v[218:219], -v[214:215], v[216:217], 1.0
	v_fma_f64 v[216:217], v[216:217], v[218:219], v[216:217]
	v_fma_f64 v[218:219], -v[214:215], v[216:217], 1.0
	v_fma_f64 v[216:217], v[216:217], v[218:219], v[216:217]
	v_mul_f64 v[218:219], v[220:221], v[216:217]
	v_fma_f64 v[214:215], -v[214:215], v[218:219], v[220:221]
	v_div_fmas_f64 v[214:215], v[214:215], v[216:217], v[218:219]
	v_div_fixup_f64 v[214:215], v[214:215], v[236:237], v[234:235]
	v_fma_f64 v[216:217], v[234:235], v[214:215], v[236:237]
	v_div_scale_f64 v[218:219], null, v[216:217], v[216:217], 1.0
	v_rcp_f64_e32 v[220:221], v[218:219]
	v_fma_f64 v[222:223], -v[218:219], v[220:221], 1.0
	v_fma_f64 v[220:221], v[220:221], v[222:223], v[220:221]
	v_fma_f64 v[222:223], -v[218:219], v[220:221], 1.0
	v_fma_f64 v[220:221], v[220:221], v[222:223], v[220:221]
	v_div_scale_f64 v[222:223], vcc_lo, 1.0, v[216:217], 1.0
	v_mul_f64 v[224:225], v[222:223], v[220:221]
	v_fma_f64 v[218:219], -v[218:219], v[224:225], v[222:223]
	v_div_fmas_f64 v[218:219], v[218:219], v[220:221], v[224:225]
	v_div_fixup_f64 v[236:237], v[218:219], v[216:217], 1.0
	v_mul_f64 v[234:235], v[214:215], v[236:237]
	v_xor_b32_e32 v237, 0x80000000, v237
.LBB114_826:
	s_andn2_saveexec_b32 s1, s1
	s_cbranch_execz .LBB114_828
; %bb.827:
	v_div_scale_f64 v[214:215], null, v[234:235], v[234:235], v[236:237]
	v_div_scale_f64 v[220:221], vcc_lo, v[236:237], v[234:235], v[236:237]
	v_rcp_f64_e32 v[216:217], v[214:215]
	v_fma_f64 v[218:219], -v[214:215], v[216:217], 1.0
	v_fma_f64 v[216:217], v[216:217], v[218:219], v[216:217]
	v_fma_f64 v[218:219], -v[214:215], v[216:217], 1.0
	v_fma_f64 v[216:217], v[216:217], v[218:219], v[216:217]
	v_mul_f64 v[218:219], v[220:221], v[216:217]
	v_fma_f64 v[214:215], -v[214:215], v[218:219], v[220:221]
	v_div_fmas_f64 v[214:215], v[214:215], v[216:217], v[218:219]
	v_div_fixup_f64 v[214:215], v[214:215], v[234:235], v[236:237]
	v_fma_f64 v[216:217], v[236:237], v[214:215], v[234:235]
	v_div_scale_f64 v[218:219], null, v[216:217], v[216:217], 1.0
	v_rcp_f64_e32 v[220:221], v[218:219]
	v_fma_f64 v[222:223], -v[218:219], v[220:221], 1.0
	v_fma_f64 v[220:221], v[220:221], v[222:223], v[220:221]
	v_fma_f64 v[222:223], -v[218:219], v[220:221], 1.0
	v_fma_f64 v[220:221], v[220:221], v[222:223], v[220:221]
	v_div_scale_f64 v[222:223], vcc_lo, 1.0, v[216:217], 1.0
	v_mul_f64 v[224:225], v[222:223], v[220:221]
	v_fma_f64 v[218:219], -v[218:219], v[224:225], v[222:223]
	v_div_fmas_f64 v[218:219], v[218:219], v[220:221], v[224:225]
	v_div_fixup_f64 v[234:235], v[218:219], v[216:217], 1.0
	v_mul_f64 v[236:237], v[214:215], -v[234:235]
.LBB114_828:
	s_or_b32 exec_lo, exec_lo, s1
.LBB114_829:
	s_or_b32 exec_lo, exec_lo, s0
	s_mov_b32 s0, exec_lo
	v_cmpx_ne_u32_e64 v248, v242
	s_xor_b32 s0, exec_lo, s0
	s_cbranch_execz .LBB114_835
; %bb.830:
	s_mov_b32 s1, exec_lo
	v_cmpx_eq_u32_e32 39, v248
	s_cbranch_execz .LBB114_834
; %bb.831:
	v_cmp_ne_u32_e32 vcc_lo, 39, v242
	s_xor_b32 s7, s16, -1
	s_and_b32 s9, s7, vcc_lo
	s_and_saveexec_b32 s7, s9
	s_cbranch_execz .LBB114_833
; %bb.832:
	s_clause 0x1
	buffer_load_dword v210, off, s[20:23], 0
	buffer_load_dword v211, off, s[20:23], 0 offset:4
	v_ashrrev_i32_e32 v243, 31, v242
	v_lshlrev_b64 v[214:215], 2, v[242:243]
	s_waitcnt vmcnt(1)
	v_add_co_u32 v214, vcc_lo, v210, v214
	s_waitcnt vmcnt(0)
	v_add_co_ci_u32_e64 v215, null, v211, v215, vcc_lo
	s_clause 0x1
	global_load_dword v0, v[214:215], off
	global_load_dword v216, v[210:211], off offset:156
	s_waitcnt vmcnt(1)
	global_store_dword v[210:211], v0, off offset:156
	s_waitcnt vmcnt(0)
	global_store_dword v[214:215], v216, off
.LBB114_833:
	s_or_b32 exec_lo, exec_lo, s7
	v_mov_b32_e32 v248, v242
	v_mov_b32_e32 v0, v242
.LBB114_834:
	s_or_b32 exec_lo, exec_lo, s1
.LBB114_835:
	s_andn2_saveexec_b32 s0, s0
	s_cbranch_execz .LBB114_837
; %bb.836:
	v_mov_b32_e32 v248, 39
	ds_write2_b64 v1, v[70:71], v[72:73] offset0:80 offset1:81
	ds_write2_b64 v1, v[66:67], v[68:69] offset0:82 offset1:83
	;; [unrolled: 1-line block ×18, first 2 shown]
.LBB114_837:
	s_or_b32 exec_lo, exec_lo, s0
	s_mov_b32 s0, exec_lo
	s_waitcnt lgkmcnt(0)
	s_waitcnt_vscnt null, 0x0
	s_barrier
	buffer_gl0_inv
	v_cmpx_lt_i32_e32 39, v248
	s_cbranch_execz .LBB114_839
; %bb.838:
	v_mul_f64 v[214:215], v[236:237], v[76:77]
	v_mul_f64 v[76:77], v[234:235], v[76:77]
	v_fma_f64 v[242:243], v[234:235], v[74:75], -v[214:215]
	v_fma_f64 v[76:77], v[236:237], v[74:75], v[76:77]
	ds_read2_b64 v[234:237], v1 offset0:80 offset1:81
	s_waitcnt lgkmcnt(0)
	v_mul_f64 v[74:75], v[236:237], v[76:77]
	v_mul_f64 v[214:215], v[234:235], v[76:77]
	v_fma_f64 v[74:75], v[234:235], v[242:243], -v[74:75]
	v_fma_f64 v[214:215], v[236:237], v[242:243], v[214:215]
	ds_read2_b64 v[234:237], v1 offset0:82 offset1:83
	v_add_f64 v[70:71], v[70:71], -v[74:75]
	v_add_f64 v[72:73], v[72:73], -v[214:215]
	s_waitcnt lgkmcnt(0)
	v_mul_f64 v[74:75], v[236:237], v[76:77]
	v_mul_f64 v[214:215], v[234:235], v[76:77]
	v_fma_f64 v[74:75], v[234:235], v[242:243], -v[74:75]
	v_fma_f64 v[214:215], v[236:237], v[242:243], v[214:215]
	ds_read2_b64 v[234:237], v1 offset0:84 offset1:85
	v_add_f64 v[66:67], v[66:67], -v[74:75]
	v_add_f64 v[68:69], v[68:69], -v[214:215]
	;; [unrolled: 8-line block ×17, first 2 shown]
	s_waitcnt lgkmcnt(0)
	v_mul_f64 v[74:75], v[236:237], v[76:77]
	v_mul_f64 v[214:215], v[234:235], v[76:77]
	v_fma_f64 v[74:75], v[234:235], v[242:243], -v[74:75]
	v_fma_f64 v[214:215], v[236:237], v[242:243], v[214:215]
	v_add_f64 v[226:227], v[226:227], -v[74:75]
	v_add_f64 v[228:229], v[228:229], -v[214:215]
	v_mov_b32_e32 v74, v242
	v_mov_b32_e32 v75, v243
.LBB114_839:
	s_or_b32 exec_lo, exec_lo, s0
	v_lshl_add_u32 v214, v248, 4, v1
	s_barrier
	buffer_gl0_inv
	v_mov_b32_e32 v242, 40
	ds_write2_b64 v214, v[70:71], v[72:73] offset1:1
	s_waitcnt lgkmcnt(0)
	s_barrier
	buffer_gl0_inv
	ds_read2_b64 v[234:237], v1 offset0:80 offset1:81
	s_cmp_lt_i32 s8, 42
	s_cbranch_scc1 .LBB114_842
; %bb.840:
	v_add3_u32 v243, v254, 0, 0x290
	v_mov_b32_e32 v242, 40
	s_mov_b32 s0, 41
	s_inst_prefetch 0x1
	.p2align	6
.LBB114_841:                            ; =>This Inner Loop Header: Depth=1
	s_waitcnt lgkmcnt(0)
	v_cmp_gt_f64_e32 vcc_lo, 0, v[234:235]
	v_xor_b32_e32 v214, 0x80000000, v235
	ds_read2_b64 v[249:252], v243 offset1:1
	v_xor_b32_e32 v216, 0x80000000, v237
	v_add_nc_u32_e32 v243, 16, v243
	s_waitcnt lgkmcnt(0)
	v_xor_b32_e32 v218, 0x80000000, v252
	v_cndmask_b32_e32 v215, v235, v214, vcc_lo
	v_cmp_gt_f64_e32 vcc_lo, 0, v[236:237]
	v_mov_b32_e32 v214, v234
	v_cndmask_b32_e32 v217, v237, v216, vcc_lo
	v_cmp_gt_f64_e32 vcc_lo, 0, v[249:250]
	v_mov_b32_e32 v216, v236
	v_add_f64 v[214:215], v[214:215], v[216:217]
	v_xor_b32_e32 v216, 0x80000000, v250
	v_cndmask_b32_e32 v217, v250, v216, vcc_lo
	v_cmp_gt_f64_e32 vcc_lo, 0, v[251:252]
	v_mov_b32_e32 v216, v249
	v_cndmask_b32_e32 v219, v252, v218, vcc_lo
	v_mov_b32_e32 v218, v251
	v_add_f64 v[216:217], v[216:217], v[218:219]
	v_cmp_lt_f64_e32 vcc_lo, v[214:215], v[216:217]
	v_cndmask_b32_e32 v235, v235, v250, vcc_lo
	v_cndmask_b32_e32 v234, v234, v249, vcc_lo
	;; [unrolled: 1-line block ×4, first 2 shown]
	v_cndmask_b32_e64 v242, v242, s0, vcc_lo
	s_add_i32 s0, s0, 1
	s_cmp_lg_u32 s8, s0
	s_cbranch_scc1 .LBB114_841
.LBB114_842:
	s_inst_prefetch 0x2
	s_waitcnt lgkmcnt(0)
	v_cmp_eq_f64_e32 vcc_lo, 0, v[234:235]
	v_cmp_eq_f64_e64 s0, 0, v[236:237]
	s_and_b32 s0, vcc_lo, s0
	s_and_saveexec_b32 s1, s0
	s_xor_b32 s0, exec_lo, s1
; %bb.843:
	v_cmp_ne_u32_e32 vcc_lo, 0, v247
	v_cndmask_b32_e32 v247, 41, v247, vcc_lo
; %bb.844:
	s_andn2_saveexec_b32 s0, s0
	s_cbranch_execz .LBB114_850
; %bb.845:
	v_cmp_ngt_f64_e64 s1, |v[234:235]|, |v[236:237]|
	s_and_saveexec_b32 s7, s1
	s_xor_b32 s1, exec_lo, s7
	s_cbranch_execz .LBB114_847
; %bb.846:
	v_div_scale_f64 v[214:215], null, v[236:237], v[236:237], v[234:235]
	v_div_scale_f64 v[220:221], vcc_lo, v[234:235], v[236:237], v[234:235]
	v_rcp_f64_e32 v[216:217], v[214:215]
	v_fma_f64 v[218:219], -v[214:215], v[216:217], 1.0
	v_fma_f64 v[216:217], v[216:217], v[218:219], v[216:217]
	v_fma_f64 v[218:219], -v[214:215], v[216:217], 1.0
	v_fma_f64 v[216:217], v[216:217], v[218:219], v[216:217]
	v_mul_f64 v[218:219], v[220:221], v[216:217]
	v_fma_f64 v[214:215], -v[214:215], v[218:219], v[220:221]
	v_div_fmas_f64 v[214:215], v[214:215], v[216:217], v[218:219]
	v_div_fixup_f64 v[214:215], v[214:215], v[236:237], v[234:235]
	v_fma_f64 v[216:217], v[234:235], v[214:215], v[236:237]
	v_div_scale_f64 v[218:219], null, v[216:217], v[216:217], 1.0
	v_rcp_f64_e32 v[220:221], v[218:219]
	v_fma_f64 v[222:223], -v[218:219], v[220:221], 1.0
	v_fma_f64 v[220:221], v[220:221], v[222:223], v[220:221]
	v_fma_f64 v[222:223], -v[218:219], v[220:221], 1.0
	v_fma_f64 v[220:221], v[220:221], v[222:223], v[220:221]
	v_div_scale_f64 v[222:223], vcc_lo, 1.0, v[216:217], 1.0
	v_mul_f64 v[224:225], v[222:223], v[220:221]
	v_fma_f64 v[218:219], -v[218:219], v[224:225], v[222:223]
	v_div_fmas_f64 v[218:219], v[218:219], v[220:221], v[224:225]
	v_div_fixup_f64 v[236:237], v[218:219], v[216:217], 1.0
	v_mul_f64 v[234:235], v[214:215], v[236:237]
	v_xor_b32_e32 v237, 0x80000000, v237
.LBB114_847:
	s_andn2_saveexec_b32 s1, s1
	s_cbranch_execz .LBB114_849
; %bb.848:
	v_div_scale_f64 v[214:215], null, v[234:235], v[234:235], v[236:237]
	v_div_scale_f64 v[220:221], vcc_lo, v[236:237], v[234:235], v[236:237]
	v_rcp_f64_e32 v[216:217], v[214:215]
	v_fma_f64 v[218:219], -v[214:215], v[216:217], 1.0
	v_fma_f64 v[216:217], v[216:217], v[218:219], v[216:217]
	v_fma_f64 v[218:219], -v[214:215], v[216:217], 1.0
	v_fma_f64 v[216:217], v[216:217], v[218:219], v[216:217]
	v_mul_f64 v[218:219], v[220:221], v[216:217]
	v_fma_f64 v[214:215], -v[214:215], v[218:219], v[220:221]
	v_div_fmas_f64 v[214:215], v[214:215], v[216:217], v[218:219]
	v_div_fixup_f64 v[214:215], v[214:215], v[234:235], v[236:237]
	v_fma_f64 v[216:217], v[236:237], v[214:215], v[234:235]
	v_div_scale_f64 v[218:219], null, v[216:217], v[216:217], 1.0
	v_rcp_f64_e32 v[220:221], v[218:219]
	v_fma_f64 v[222:223], -v[218:219], v[220:221], 1.0
	v_fma_f64 v[220:221], v[220:221], v[222:223], v[220:221]
	v_fma_f64 v[222:223], -v[218:219], v[220:221], 1.0
	v_fma_f64 v[220:221], v[220:221], v[222:223], v[220:221]
	v_div_scale_f64 v[222:223], vcc_lo, 1.0, v[216:217], 1.0
	v_mul_f64 v[224:225], v[222:223], v[220:221]
	v_fma_f64 v[218:219], -v[218:219], v[224:225], v[222:223]
	v_div_fmas_f64 v[218:219], v[218:219], v[220:221], v[224:225]
	v_div_fixup_f64 v[234:235], v[218:219], v[216:217], 1.0
	v_mul_f64 v[236:237], v[214:215], -v[234:235]
.LBB114_849:
	s_or_b32 exec_lo, exec_lo, s1
.LBB114_850:
	s_or_b32 exec_lo, exec_lo, s0
	s_mov_b32 s0, exec_lo
	v_cmpx_ne_u32_e64 v248, v242
	s_xor_b32 s0, exec_lo, s0
	s_cbranch_execz .LBB114_856
; %bb.851:
	s_mov_b32 s1, exec_lo
	v_cmpx_eq_u32_e32 40, v248
	s_cbranch_execz .LBB114_855
; %bb.852:
	v_cmp_ne_u32_e32 vcc_lo, 40, v242
	s_xor_b32 s7, s16, -1
	s_and_b32 s9, s7, vcc_lo
	s_and_saveexec_b32 s7, s9
	s_cbranch_execz .LBB114_854
; %bb.853:
	s_clause 0x1
	buffer_load_dword v210, off, s[20:23], 0
	buffer_load_dword v211, off, s[20:23], 0 offset:4
	v_ashrrev_i32_e32 v243, 31, v242
	v_lshlrev_b64 v[214:215], 2, v[242:243]
	s_waitcnt vmcnt(1)
	v_add_co_u32 v214, vcc_lo, v210, v214
	s_waitcnt vmcnt(0)
	v_add_co_ci_u32_e64 v215, null, v211, v215, vcc_lo
	s_clause 0x1
	global_load_dword v0, v[214:215], off
	global_load_dword v216, v[210:211], off offset:160
	s_waitcnt vmcnt(1)
	global_store_dword v[210:211], v0, off offset:160
	s_waitcnt vmcnt(0)
	global_store_dword v[214:215], v216, off
.LBB114_854:
	s_or_b32 exec_lo, exec_lo, s7
	v_mov_b32_e32 v248, v242
	v_mov_b32_e32 v0, v242
.LBB114_855:
	s_or_b32 exec_lo, exec_lo, s1
.LBB114_856:
	s_andn2_saveexec_b32 s0, s0
	s_cbranch_execz .LBB114_858
; %bb.857:
	v_mov_b32_e32 v248, 40
	ds_write2_b64 v1, v[66:67], v[68:69] offset0:82 offset1:83
	ds_write2_b64 v1, v[62:63], v[64:65] offset0:84 offset1:85
	;; [unrolled: 1-line block ×17, first 2 shown]
.LBB114_858:
	s_or_b32 exec_lo, exec_lo, s0
	s_mov_b32 s0, exec_lo
	s_waitcnt lgkmcnt(0)
	s_waitcnt_vscnt null, 0x0
	s_barrier
	buffer_gl0_inv
	v_cmpx_lt_i32_e32 40, v248
	s_cbranch_execz .LBB114_860
; %bb.859:
	v_mul_f64 v[214:215], v[236:237], v[72:73]
	v_mul_f64 v[72:73], v[234:235], v[72:73]
	v_fma_f64 v[242:243], v[234:235], v[70:71], -v[214:215]
	v_fma_f64 v[72:73], v[236:237], v[70:71], v[72:73]
	ds_read2_b64 v[234:237], v1 offset0:82 offset1:83
	s_waitcnt lgkmcnt(0)
	v_mul_f64 v[70:71], v[236:237], v[72:73]
	v_mul_f64 v[214:215], v[234:235], v[72:73]
	v_fma_f64 v[70:71], v[234:235], v[242:243], -v[70:71]
	v_fma_f64 v[214:215], v[236:237], v[242:243], v[214:215]
	ds_read2_b64 v[234:237], v1 offset0:84 offset1:85
	v_add_f64 v[66:67], v[66:67], -v[70:71]
	v_add_f64 v[68:69], v[68:69], -v[214:215]
	s_waitcnt lgkmcnt(0)
	v_mul_f64 v[70:71], v[236:237], v[72:73]
	v_mul_f64 v[214:215], v[234:235], v[72:73]
	v_fma_f64 v[70:71], v[234:235], v[242:243], -v[70:71]
	v_fma_f64 v[214:215], v[236:237], v[242:243], v[214:215]
	ds_read2_b64 v[234:237], v1 offset0:86 offset1:87
	v_add_f64 v[62:63], v[62:63], -v[70:71]
	v_add_f64 v[64:65], v[64:65], -v[214:215]
	;; [unrolled: 8-line block ×16, first 2 shown]
	s_waitcnt lgkmcnt(0)
	v_mul_f64 v[70:71], v[236:237], v[72:73]
	v_mul_f64 v[214:215], v[234:235], v[72:73]
	v_fma_f64 v[70:71], v[234:235], v[242:243], -v[70:71]
	v_fma_f64 v[214:215], v[236:237], v[242:243], v[214:215]
	v_add_f64 v[226:227], v[226:227], -v[70:71]
	v_add_f64 v[228:229], v[228:229], -v[214:215]
	v_mov_b32_e32 v70, v242
	v_mov_b32_e32 v71, v243
.LBB114_860:
	s_or_b32 exec_lo, exec_lo, s0
	v_lshl_add_u32 v214, v248, 4, v1
	s_barrier
	buffer_gl0_inv
	v_mov_b32_e32 v242, 41
	ds_write2_b64 v214, v[66:67], v[68:69] offset1:1
	s_waitcnt lgkmcnt(0)
	s_barrier
	buffer_gl0_inv
	ds_read2_b64 v[234:237], v1 offset0:82 offset1:83
	s_cmp_lt_i32 s8, 43
	s_cbranch_scc1 .LBB114_863
; %bb.861:
	v_add3_u32 v243, v254, 0, 0x2a0
	v_mov_b32_e32 v242, 41
	s_mov_b32 s0, 42
	s_inst_prefetch 0x1
	.p2align	6
.LBB114_862:                            ; =>This Inner Loop Header: Depth=1
	s_waitcnt lgkmcnt(0)
	v_cmp_gt_f64_e32 vcc_lo, 0, v[234:235]
	v_xor_b32_e32 v214, 0x80000000, v235
	ds_read2_b64 v[249:252], v243 offset1:1
	v_xor_b32_e32 v216, 0x80000000, v237
	v_add_nc_u32_e32 v243, 16, v243
	s_waitcnt lgkmcnt(0)
	v_xor_b32_e32 v218, 0x80000000, v252
	v_cndmask_b32_e32 v215, v235, v214, vcc_lo
	v_cmp_gt_f64_e32 vcc_lo, 0, v[236:237]
	v_mov_b32_e32 v214, v234
	v_cndmask_b32_e32 v217, v237, v216, vcc_lo
	v_cmp_gt_f64_e32 vcc_lo, 0, v[249:250]
	v_mov_b32_e32 v216, v236
	v_add_f64 v[214:215], v[214:215], v[216:217]
	v_xor_b32_e32 v216, 0x80000000, v250
	v_cndmask_b32_e32 v217, v250, v216, vcc_lo
	v_cmp_gt_f64_e32 vcc_lo, 0, v[251:252]
	v_mov_b32_e32 v216, v249
	v_cndmask_b32_e32 v219, v252, v218, vcc_lo
	v_mov_b32_e32 v218, v251
	v_add_f64 v[216:217], v[216:217], v[218:219]
	v_cmp_lt_f64_e32 vcc_lo, v[214:215], v[216:217]
	v_cndmask_b32_e32 v235, v235, v250, vcc_lo
	v_cndmask_b32_e32 v234, v234, v249, vcc_lo
	;; [unrolled: 1-line block ×4, first 2 shown]
	v_cndmask_b32_e64 v242, v242, s0, vcc_lo
	s_add_i32 s0, s0, 1
	s_cmp_lg_u32 s8, s0
	s_cbranch_scc1 .LBB114_862
.LBB114_863:
	s_inst_prefetch 0x2
	s_waitcnt lgkmcnt(0)
	v_cmp_eq_f64_e32 vcc_lo, 0, v[234:235]
	v_cmp_eq_f64_e64 s0, 0, v[236:237]
	s_and_b32 s0, vcc_lo, s0
	s_and_saveexec_b32 s1, s0
	s_xor_b32 s0, exec_lo, s1
; %bb.864:
	v_cmp_ne_u32_e32 vcc_lo, 0, v247
	v_cndmask_b32_e32 v247, 42, v247, vcc_lo
; %bb.865:
	s_andn2_saveexec_b32 s0, s0
	s_cbranch_execz .LBB114_871
; %bb.866:
	v_cmp_ngt_f64_e64 s1, |v[234:235]|, |v[236:237]|
	s_and_saveexec_b32 s7, s1
	s_xor_b32 s1, exec_lo, s7
	s_cbranch_execz .LBB114_868
; %bb.867:
	v_div_scale_f64 v[214:215], null, v[236:237], v[236:237], v[234:235]
	v_div_scale_f64 v[220:221], vcc_lo, v[234:235], v[236:237], v[234:235]
	v_rcp_f64_e32 v[216:217], v[214:215]
	v_fma_f64 v[218:219], -v[214:215], v[216:217], 1.0
	v_fma_f64 v[216:217], v[216:217], v[218:219], v[216:217]
	v_fma_f64 v[218:219], -v[214:215], v[216:217], 1.0
	v_fma_f64 v[216:217], v[216:217], v[218:219], v[216:217]
	v_mul_f64 v[218:219], v[220:221], v[216:217]
	v_fma_f64 v[214:215], -v[214:215], v[218:219], v[220:221]
	v_div_fmas_f64 v[214:215], v[214:215], v[216:217], v[218:219]
	v_div_fixup_f64 v[214:215], v[214:215], v[236:237], v[234:235]
	v_fma_f64 v[216:217], v[234:235], v[214:215], v[236:237]
	v_div_scale_f64 v[218:219], null, v[216:217], v[216:217], 1.0
	v_rcp_f64_e32 v[220:221], v[218:219]
	v_fma_f64 v[222:223], -v[218:219], v[220:221], 1.0
	v_fma_f64 v[220:221], v[220:221], v[222:223], v[220:221]
	v_fma_f64 v[222:223], -v[218:219], v[220:221], 1.0
	v_fma_f64 v[220:221], v[220:221], v[222:223], v[220:221]
	v_div_scale_f64 v[222:223], vcc_lo, 1.0, v[216:217], 1.0
	v_mul_f64 v[224:225], v[222:223], v[220:221]
	v_fma_f64 v[218:219], -v[218:219], v[224:225], v[222:223]
	v_div_fmas_f64 v[218:219], v[218:219], v[220:221], v[224:225]
	v_div_fixup_f64 v[236:237], v[218:219], v[216:217], 1.0
	v_mul_f64 v[234:235], v[214:215], v[236:237]
	v_xor_b32_e32 v237, 0x80000000, v237
.LBB114_868:
	s_andn2_saveexec_b32 s1, s1
	s_cbranch_execz .LBB114_870
; %bb.869:
	v_div_scale_f64 v[214:215], null, v[234:235], v[234:235], v[236:237]
	v_div_scale_f64 v[220:221], vcc_lo, v[236:237], v[234:235], v[236:237]
	v_rcp_f64_e32 v[216:217], v[214:215]
	v_fma_f64 v[218:219], -v[214:215], v[216:217], 1.0
	v_fma_f64 v[216:217], v[216:217], v[218:219], v[216:217]
	v_fma_f64 v[218:219], -v[214:215], v[216:217], 1.0
	v_fma_f64 v[216:217], v[216:217], v[218:219], v[216:217]
	v_mul_f64 v[218:219], v[220:221], v[216:217]
	v_fma_f64 v[214:215], -v[214:215], v[218:219], v[220:221]
	v_div_fmas_f64 v[214:215], v[214:215], v[216:217], v[218:219]
	v_div_fixup_f64 v[214:215], v[214:215], v[234:235], v[236:237]
	v_fma_f64 v[216:217], v[236:237], v[214:215], v[234:235]
	v_div_scale_f64 v[218:219], null, v[216:217], v[216:217], 1.0
	v_rcp_f64_e32 v[220:221], v[218:219]
	v_fma_f64 v[222:223], -v[218:219], v[220:221], 1.0
	v_fma_f64 v[220:221], v[220:221], v[222:223], v[220:221]
	v_fma_f64 v[222:223], -v[218:219], v[220:221], 1.0
	v_fma_f64 v[220:221], v[220:221], v[222:223], v[220:221]
	v_div_scale_f64 v[222:223], vcc_lo, 1.0, v[216:217], 1.0
	v_mul_f64 v[224:225], v[222:223], v[220:221]
	v_fma_f64 v[218:219], -v[218:219], v[224:225], v[222:223]
	v_div_fmas_f64 v[218:219], v[218:219], v[220:221], v[224:225]
	v_div_fixup_f64 v[234:235], v[218:219], v[216:217], 1.0
	v_mul_f64 v[236:237], v[214:215], -v[234:235]
.LBB114_870:
	s_or_b32 exec_lo, exec_lo, s1
.LBB114_871:
	s_or_b32 exec_lo, exec_lo, s0
	s_mov_b32 s0, exec_lo
	v_cmpx_ne_u32_e64 v248, v242
	s_xor_b32 s0, exec_lo, s0
	s_cbranch_execz .LBB114_877
; %bb.872:
	s_mov_b32 s1, exec_lo
	v_cmpx_eq_u32_e32 41, v248
	s_cbranch_execz .LBB114_876
; %bb.873:
	v_cmp_ne_u32_e32 vcc_lo, 41, v242
	s_xor_b32 s7, s16, -1
	s_and_b32 s9, s7, vcc_lo
	s_and_saveexec_b32 s7, s9
	s_cbranch_execz .LBB114_875
; %bb.874:
	s_clause 0x1
	buffer_load_dword v210, off, s[20:23], 0
	buffer_load_dword v211, off, s[20:23], 0 offset:4
	v_ashrrev_i32_e32 v243, 31, v242
	v_lshlrev_b64 v[214:215], 2, v[242:243]
	s_waitcnt vmcnt(1)
	v_add_co_u32 v214, vcc_lo, v210, v214
	s_waitcnt vmcnt(0)
	v_add_co_ci_u32_e64 v215, null, v211, v215, vcc_lo
	s_clause 0x1
	global_load_dword v0, v[214:215], off
	global_load_dword v216, v[210:211], off offset:164
	s_waitcnt vmcnt(1)
	global_store_dword v[210:211], v0, off offset:164
	s_waitcnt vmcnt(0)
	global_store_dword v[214:215], v216, off
.LBB114_875:
	s_or_b32 exec_lo, exec_lo, s7
	v_mov_b32_e32 v248, v242
	v_mov_b32_e32 v0, v242
.LBB114_876:
	s_or_b32 exec_lo, exec_lo, s1
.LBB114_877:
	s_andn2_saveexec_b32 s0, s0
	s_cbranch_execz .LBB114_879
; %bb.878:
	v_mov_b32_e32 v248, 41
	ds_write2_b64 v1, v[62:63], v[64:65] offset0:84 offset1:85
	ds_write2_b64 v1, v[58:59], v[60:61] offset0:86 offset1:87
	;; [unrolled: 1-line block ×16, first 2 shown]
.LBB114_879:
	s_or_b32 exec_lo, exec_lo, s0
	s_mov_b32 s0, exec_lo
	s_waitcnt lgkmcnt(0)
	s_waitcnt_vscnt null, 0x0
	s_barrier
	buffer_gl0_inv
	v_cmpx_lt_i32_e32 41, v248
	s_cbranch_execz .LBB114_881
; %bb.880:
	v_mul_f64 v[214:215], v[234:235], v[68:69]
	v_mul_f64 v[68:69], v[236:237], v[68:69]
	v_fma_f64 v[242:243], v[236:237], v[66:67], v[214:215]
	v_fma_f64 v[66:67], v[234:235], v[66:67], -v[68:69]
	ds_read2_b64 v[234:237], v1 offset0:84 offset1:85
	s_waitcnt lgkmcnt(0)
	v_mul_f64 v[68:69], v[236:237], v[242:243]
	v_mul_f64 v[214:215], v[234:235], v[242:243]
	v_fma_f64 v[68:69], v[234:235], v[66:67], -v[68:69]
	v_fma_f64 v[214:215], v[236:237], v[66:67], v[214:215]
	ds_read2_b64 v[234:237], v1 offset0:86 offset1:87
	v_add_f64 v[62:63], v[62:63], -v[68:69]
	v_add_f64 v[64:65], v[64:65], -v[214:215]
	s_waitcnt lgkmcnt(0)
	v_mul_f64 v[68:69], v[236:237], v[242:243]
	v_mul_f64 v[214:215], v[234:235], v[242:243]
	v_fma_f64 v[68:69], v[234:235], v[66:67], -v[68:69]
	v_fma_f64 v[214:215], v[236:237], v[66:67], v[214:215]
	ds_read2_b64 v[234:237], v1 offset0:88 offset1:89
	v_add_f64 v[58:59], v[58:59], -v[68:69]
	v_add_f64 v[60:61], v[60:61], -v[214:215]
	s_waitcnt lgkmcnt(0)
	v_mul_f64 v[68:69], v[236:237], v[242:243]
	v_mul_f64 v[214:215], v[234:235], v[242:243]
	v_fma_f64 v[68:69], v[234:235], v[66:67], -v[68:69]
	v_fma_f64 v[214:215], v[236:237], v[66:67], v[214:215]
	ds_read2_b64 v[234:237], v1 offset0:90 offset1:91
	v_add_f64 v[54:55], v[54:55], -v[68:69]
	v_add_f64 v[56:57], v[56:57], -v[214:215]
	s_waitcnt lgkmcnt(0)
	v_mul_f64 v[68:69], v[236:237], v[242:243]
	v_mul_f64 v[214:215], v[234:235], v[242:243]
	v_fma_f64 v[68:69], v[234:235], v[66:67], -v[68:69]
	v_fma_f64 v[214:215], v[236:237], v[66:67], v[214:215]
	ds_read2_b64 v[234:237], v1 offset0:92 offset1:93
	v_add_f64 v[50:51], v[50:51], -v[68:69]
	v_add_f64 v[52:53], v[52:53], -v[214:215]
	s_waitcnt lgkmcnt(0)
	v_mul_f64 v[68:69], v[236:237], v[242:243]
	v_mul_f64 v[214:215], v[234:235], v[242:243]
	v_fma_f64 v[68:69], v[234:235], v[66:67], -v[68:69]
	v_fma_f64 v[214:215], v[236:237], v[66:67], v[214:215]
	ds_read2_b64 v[234:237], v1 offset0:94 offset1:95
	v_add_f64 v[46:47], v[46:47], -v[68:69]
	v_add_f64 v[48:49], v[48:49], -v[214:215]
	s_waitcnt lgkmcnt(0)
	v_mul_f64 v[68:69], v[236:237], v[242:243]
	v_mul_f64 v[214:215], v[234:235], v[242:243]
	v_fma_f64 v[68:69], v[234:235], v[66:67], -v[68:69]
	v_fma_f64 v[214:215], v[236:237], v[66:67], v[214:215]
	ds_read2_b64 v[234:237], v1 offset0:96 offset1:97
	v_add_f64 v[42:43], v[42:43], -v[68:69]
	v_add_f64 v[44:45], v[44:45], -v[214:215]
	s_waitcnt lgkmcnt(0)
	v_mul_f64 v[68:69], v[236:237], v[242:243]
	v_mul_f64 v[214:215], v[234:235], v[242:243]
	v_fma_f64 v[68:69], v[234:235], v[66:67], -v[68:69]
	v_fma_f64 v[214:215], v[236:237], v[66:67], v[214:215]
	ds_read2_b64 v[234:237], v1 offset0:98 offset1:99
	v_add_f64 v[38:39], v[38:39], -v[68:69]
	v_add_f64 v[40:41], v[40:41], -v[214:215]
	s_waitcnt lgkmcnt(0)
	v_mul_f64 v[68:69], v[236:237], v[242:243]
	v_mul_f64 v[214:215], v[234:235], v[242:243]
	v_fma_f64 v[68:69], v[234:235], v[66:67], -v[68:69]
	v_fma_f64 v[214:215], v[236:237], v[66:67], v[214:215]
	ds_read2_b64 v[234:237], v1 offset0:100 offset1:101
	v_add_f64 v[34:35], v[34:35], -v[68:69]
	v_add_f64 v[36:37], v[36:37], -v[214:215]
	s_waitcnt lgkmcnt(0)
	v_mul_f64 v[68:69], v[236:237], v[242:243]
	v_mul_f64 v[214:215], v[234:235], v[242:243]
	v_fma_f64 v[68:69], v[234:235], v[66:67], -v[68:69]
	v_fma_f64 v[214:215], v[236:237], v[66:67], v[214:215]
	ds_read2_b64 v[234:237], v1 offset0:102 offset1:103
	v_add_f64 v[30:31], v[30:31], -v[68:69]
	v_add_f64 v[32:33], v[32:33], -v[214:215]
	s_waitcnt lgkmcnt(0)
	v_mul_f64 v[68:69], v[236:237], v[242:243]
	v_mul_f64 v[214:215], v[234:235], v[242:243]
	v_fma_f64 v[68:69], v[234:235], v[66:67], -v[68:69]
	v_fma_f64 v[214:215], v[236:237], v[66:67], v[214:215]
	ds_read2_b64 v[234:237], v1 offset0:104 offset1:105
	v_add_f64 v[26:27], v[26:27], -v[68:69]
	v_add_f64 v[28:29], v[28:29], -v[214:215]
	s_waitcnt lgkmcnt(0)
	v_mul_f64 v[68:69], v[236:237], v[242:243]
	v_mul_f64 v[214:215], v[234:235], v[242:243]
	v_fma_f64 v[68:69], v[234:235], v[66:67], -v[68:69]
	v_fma_f64 v[214:215], v[236:237], v[66:67], v[214:215]
	ds_read2_b64 v[234:237], v1 offset0:106 offset1:107
	v_add_f64 v[22:23], v[22:23], -v[68:69]
	v_add_f64 v[24:25], v[24:25], -v[214:215]
	s_waitcnt lgkmcnt(0)
	v_mul_f64 v[68:69], v[236:237], v[242:243]
	v_mul_f64 v[214:215], v[234:235], v[242:243]
	v_fma_f64 v[68:69], v[234:235], v[66:67], -v[68:69]
	v_fma_f64 v[214:215], v[236:237], v[66:67], v[214:215]
	ds_read2_b64 v[234:237], v1 offset0:108 offset1:109
	v_add_f64 v[18:19], v[18:19], -v[68:69]
	v_add_f64 v[20:21], v[20:21], -v[214:215]
	s_waitcnt lgkmcnt(0)
	v_mul_f64 v[68:69], v[236:237], v[242:243]
	v_mul_f64 v[214:215], v[234:235], v[242:243]
	v_fma_f64 v[68:69], v[234:235], v[66:67], -v[68:69]
	v_fma_f64 v[214:215], v[236:237], v[66:67], v[214:215]
	ds_read2_b64 v[234:237], v1 offset0:110 offset1:111
	v_add_f64 v[14:15], v[14:15], -v[68:69]
	v_add_f64 v[16:17], v[16:17], -v[214:215]
	s_waitcnt lgkmcnt(0)
	v_mul_f64 v[68:69], v[236:237], v[242:243]
	v_mul_f64 v[214:215], v[234:235], v[242:243]
	v_fma_f64 v[68:69], v[234:235], v[66:67], -v[68:69]
	v_fma_f64 v[214:215], v[236:237], v[66:67], v[214:215]
	ds_read2_b64 v[234:237], v1 offset0:112 offset1:113
	v_add_f64 v[10:11], v[10:11], -v[68:69]
	v_add_f64 v[12:13], v[12:13], -v[214:215]
	s_waitcnt lgkmcnt(0)
	v_mul_f64 v[68:69], v[236:237], v[242:243]
	v_mul_f64 v[214:215], v[234:235], v[242:243]
	v_fma_f64 v[68:69], v[234:235], v[66:67], -v[68:69]
	v_fma_f64 v[214:215], v[236:237], v[66:67], v[214:215]
	ds_read2_b64 v[234:237], v1 offset0:114 offset1:115
	v_add_f64 v[238:239], v[238:239], -v[68:69]
	v_add_f64 v[240:241], v[240:241], -v[214:215]
	s_waitcnt lgkmcnt(0)
	v_mul_f64 v[68:69], v[236:237], v[242:243]
	v_mul_f64 v[214:215], v[234:235], v[242:243]
	v_fma_f64 v[68:69], v[234:235], v[66:67], -v[68:69]
	v_fma_f64 v[214:215], v[236:237], v[66:67], v[214:215]
	v_add_f64 v[226:227], v[226:227], -v[68:69]
	v_add_f64 v[228:229], v[228:229], -v[214:215]
	v_mov_b32_e32 v68, v242
	v_mov_b32_e32 v69, v243
.LBB114_881:
	s_or_b32 exec_lo, exec_lo, s0
	v_lshl_add_u32 v214, v248, 4, v1
	s_barrier
	buffer_gl0_inv
	v_mov_b32_e32 v242, 42
	ds_write2_b64 v214, v[62:63], v[64:65] offset1:1
	s_waitcnt lgkmcnt(0)
	s_barrier
	buffer_gl0_inv
	ds_read2_b64 v[234:237], v1 offset0:84 offset1:85
	s_cmp_lt_i32 s8, 44
	s_cbranch_scc1 .LBB114_884
; %bb.882:
	v_add3_u32 v243, v254, 0, 0x2b0
	v_mov_b32_e32 v242, 42
	s_mov_b32 s0, 43
	s_inst_prefetch 0x1
	.p2align	6
.LBB114_883:                            ; =>This Inner Loop Header: Depth=1
	s_waitcnt lgkmcnt(0)
	v_cmp_gt_f64_e32 vcc_lo, 0, v[234:235]
	v_xor_b32_e32 v214, 0x80000000, v235
	ds_read2_b64 v[249:252], v243 offset1:1
	v_xor_b32_e32 v216, 0x80000000, v237
	v_add_nc_u32_e32 v243, 16, v243
	s_waitcnt lgkmcnt(0)
	v_xor_b32_e32 v218, 0x80000000, v252
	v_cndmask_b32_e32 v215, v235, v214, vcc_lo
	v_cmp_gt_f64_e32 vcc_lo, 0, v[236:237]
	v_mov_b32_e32 v214, v234
	v_cndmask_b32_e32 v217, v237, v216, vcc_lo
	v_cmp_gt_f64_e32 vcc_lo, 0, v[249:250]
	v_mov_b32_e32 v216, v236
	v_add_f64 v[214:215], v[214:215], v[216:217]
	v_xor_b32_e32 v216, 0x80000000, v250
	v_cndmask_b32_e32 v217, v250, v216, vcc_lo
	v_cmp_gt_f64_e32 vcc_lo, 0, v[251:252]
	v_mov_b32_e32 v216, v249
	v_cndmask_b32_e32 v219, v252, v218, vcc_lo
	v_mov_b32_e32 v218, v251
	v_add_f64 v[216:217], v[216:217], v[218:219]
	v_cmp_lt_f64_e32 vcc_lo, v[214:215], v[216:217]
	v_cndmask_b32_e32 v235, v235, v250, vcc_lo
	v_cndmask_b32_e32 v234, v234, v249, vcc_lo
	;; [unrolled: 1-line block ×4, first 2 shown]
	v_cndmask_b32_e64 v242, v242, s0, vcc_lo
	s_add_i32 s0, s0, 1
	s_cmp_lg_u32 s8, s0
	s_cbranch_scc1 .LBB114_883
.LBB114_884:
	s_inst_prefetch 0x2
	s_waitcnt lgkmcnt(0)
	v_cmp_eq_f64_e32 vcc_lo, 0, v[234:235]
	v_cmp_eq_f64_e64 s0, 0, v[236:237]
	s_and_b32 s0, vcc_lo, s0
	s_and_saveexec_b32 s1, s0
	s_xor_b32 s0, exec_lo, s1
; %bb.885:
	v_cmp_ne_u32_e32 vcc_lo, 0, v247
	v_cndmask_b32_e32 v247, 43, v247, vcc_lo
; %bb.886:
	s_andn2_saveexec_b32 s0, s0
	s_cbranch_execz .LBB114_892
; %bb.887:
	v_cmp_ngt_f64_e64 s1, |v[234:235]|, |v[236:237]|
	s_and_saveexec_b32 s7, s1
	s_xor_b32 s1, exec_lo, s7
	s_cbranch_execz .LBB114_889
; %bb.888:
	v_div_scale_f64 v[214:215], null, v[236:237], v[236:237], v[234:235]
	v_div_scale_f64 v[220:221], vcc_lo, v[234:235], v[236:237], v[234:235]
	v_rcp_f64_e32 v[216:217], v[214:215]
	v_fma_f64 v[218:219], -v[214:215], v[216:217], 1.0
	v_fma_f64 v[216:217], v[216:217], v[218:219], v[216:217]
	v_fma_f64 v[218:219], -v[214:215], v[216:217], 1.0
	v_fma_f64 v[216:217], v[216:217], v[218:219], v[216:217]
	v_mul_f64 v[218:219], v[220:221], v[216:217]
	v_fma_f64 v[214:215], -v[214:215], v[218:219], v[220:221]
	v_div_fmas_f64 v[214:215], v[214:215], v[216:217], v[218:219]
	v_div_fixup_f64 v[214:215], v[214:215], v[236:237], v[234:235]
	v_fma_f64 v[216:217], v[234:235], v[214:215], v[236:237]
	v_div_scale_f64 v[218:219], null, v[216:217], v[216:217], 1.0
	v_rcp_f64_e32 v[220:221], v[218:219]
	v_fma_f64 v[222:223], -v[218:219], v[220:221], 1.0
	v_fma_f64 v[220:221], v[220:221], v[222:223], v[220:221]
	v_fma_f64 v[222:223], -v[218:219], v[220:221], 1.0
	v_fma_f64 v[220:221], v[220:221], v[222:223], v[220:221]
	v_div_scale_f64 v[222:223], vcc_lo, 1.0, v[216:217], 1.0
	v_mul_f64 v[224:225], v[222:223], v[220:221]
	v_fma_f64 v[218:219], -v[218:219], v[224:225], v[222:223]
	v_div_fmas_f64 v[218:219], v[218:219], v[220:221], v[224:225]
	v_div_fixup_f64 v[236:237], v[218:219], v[216:217], 1.0
	v_mul_f64 v[234:235], v[214:215], v[236:237]
	v_xor_b32_e32 v237, 0x80000000, v237
.LBB114_889:
	s_andn2_saveexec_b32 s1, s1
	s_cbranch_execz .LBB114_891
; %bb.890:
	v_div_scale_f64 v[214:215], null, v[234:235], v[234:235], v[236:237]
	v_div_scale_f64 v[220:221], vcc_lo, v[236:237], v[234:235], v[236:237]
	v_rcp_f64_e32 v[216:217], v[214:215]
	v_fma_f64 v[218:219], -v[214:215], v[216:217], 1.0
	v_fma_f64 v[216:217], v[216:217], v[218:219], v[216:217]
	v_fma_f64 v[218:219], -v[214:215], v[216:217], 1.0
	v_fma_f64 v[216:217], v[216:217], v[218:219], v[216:217]
	v_mul_f64 v[218:219], v[220:221], v[216:217]
	v_fma_f64 v[214:215], -v[214:215], v[218:219], v[220:221]
	v_div_fmas_f64 v[214:215], v[214:215], v[216:217], v[218:219]
	v_div_fixup_f64 v[214:215], v[214:215], v[234:235], v[236:237]
	v_fma_f64 v[216:217], v[236:237], v[214:215], v[234:235]
	v_div_scale_f64 v[218:219], null, v[216:217], v[216:217], 1.0
	v_rcp_f64_e32 v[220:221], v[218:219]
	v_fma_f64 v[222:223], -v[218:219], v[220:221], 1.0
	v_fma_f64 v[220:221], v[220:221], v[222:223], v[220:221]
	v_fma_f64 v[222:223], -v[218:219], v[220:221], 1.0
	v_fma_f64 v[220:221], v[220:221], v[222:223], v[220:221]
	v_div_scale_f64 v[222:223], vcc_lo, 1.0, v[216:217], 1.0
	v_mul_f64 v[224:225], v[222:223], v[220:221]
	v_fma_f64 v[218:219], -v[218:219], v[224:225], v[222:223]
	v_div_fmas_f64 v[218:219], v[218:219], v[220:221], v[224:225]
	v_div_fixup_f64 v[234:235], v[218:219], v[216:217], 1.0
	v_mul_f64 v[236:237], v[214:215], -v[234:235]
.LBB114_891:
	s_or_b32 exec_lo, exec_lo, s1
.LBB114_892:
	s_or_b32 exec_lo, exec_lo, s0
	s_mov_b32 s0, exec_lo
	v_cmpx_ne_u32_e64 v248, v242
	s_xor_b32 s0, exec_lo, s0
	s_cbranch_execz .LBB114_898
; %bb.893:
	s_mov_b32 s1, exec_lo
	v_cmpx_eq_u32_e32 42, v248
	s_cbranch_execz .LBB114_897
; %bb.894:
	v_cmp_ne_u32_e32 vcc_lo, 42, v242
	s_xor_b32 s7, s16, -1
	s_and_b32 s9, s7, vcc_lo
	s_and_saveexec_b32 s7, s9
	s_cbranch_execz .LBB114_896
; %bb.895:
	s_clause 0x1
	buffer_load_dword v210, off, s[20:23], 0
	buffer_load_dword v211, off, s[20:23], 0 offset:4
	v_ashrrev_i32_e32 v243, 31, v242
	v_lshlrev_b64 v[214:215], 2, v[242:243]
	s_waitcnt vmcnt(1)
	v_add_co_u32 v214, vcc_lo, v210, v214
	s_waitcnt vmcnt(0)
	v_add_co_ci_u32_e64 v215, null, v211, v215, vcc_lo
	s_clause 0x1
	global_load_dword v0, v[214:215], off
	global_load_dword v216, v[210:211], off offset:168
	s_waitcnt vmcnt(1)
	global_store_dword v[210:211], v0, off offset:168
	s_waitcnt vmcnt(0)
	global_store_dword v[214:215], v216, off
.LBB114_896:
	s_or_b32 exec_lo, exec_lo, s7
	v_mov_b32_e32 v248, v242
	v_mov_b32_e32 v0, v242
.LBB114_897:
	s_or_b32 exec_lo, exec_lo, s1
.LBB114_898:
	s_andn2_saveexec_b32 s0, s0
	s_cbranch_execz .LBB114_900
; %bb.899:
	v_mov_b32_e32 v248, 42
	ds_write2_b64 v1, v[58:59], v[60:61] offset0:86 offset1:87
	ds_write2_b64 v1, v[54:55], v[56:57] offset0:88 offset1:89
	;; [unrolled: 1-line block ×15, first 2 shown]
.LBB114_900:
	s_or_b32 exec_lo, exec_lo, s0
	s_mov_b32 s0, exec_lo
	s_waitcnt lgkmcnt(0)
	s_waitcnt_vscnt null, 0x0
	s_barrier
	buffer_gl0_inv
	v_cmpx_lt_i32_e32 42, v248
	s_cbranch_execz .LBB114_902
; %bb.901:
	v_mul_f64 v[214:215], v[234:235], v[64:65]
	v_mul_f64 v[64:65], v[236:237], v[64:65]
	v_fma_f64 v[242:243], v[236:237], v[62:63], v[214:215]
	v_fma_f64 v[62:63], v[234:235], v[62:63], -v[64:65]
	ds_read2_b64 v[234:237], v1 offset0:86 offset1:87
	s_waitcnt lgkmcnt(0)
	v_mul_f64 v[64:65], v[236:237], v[242:243]
	v_mul_f64 v[214:215], v[234:235], v[242:243]
	v_fma_f64 v[64:65], v[234:235], v[62:63], -v[64:65]
	v_fma_f64 v[214:215], v[236:237], v[62:63], v[214:215]
	ds_read2_b64 v[234:237], v1 offset0:88 offset1:89
	v_add_f64 v[58:59], v[58:59], -v[64:65]
	v_add_f64 v[60:61], v[60:61], -v[214:215]
	s_waitcnt lgkmcnt(0)
	v_mul_f64 v[64:65], v[236:237], v[242:243]
	v_mul_f64 v[214:215], v[234:235], v[242:243]
	v_fma_f64 v[64:65], v[234:235], v[62:63], -v[64:65]
	v_fma_f64 v[214:215], v[236:237], v[62:63], v[214:215]
	ds_read2_b64 v[234:237], v1 offset0:90 offset1:91
	v_add_f64 v[54:55], v[54:55], -v[64:65]
	v_add_f64 v[56:57], v[56:57], -v[214:215]
	;; [unrolled: 8-line block ×14, first 2 shown]
	s_waitcnt lgkmcnt(0)
	v_mul_f64 v[64:65], v[236:237], v[242:243]
	v_mul_f64 v[214:215], v[234:235], v[242:243]
	v_fma_f64 v[64:65], v[234:235], v[62:63], -v[64:65]
	v_fma_f64 v[214:215], v[236:237], v[62:63], v[214:215]
	v_add_f64 v[226:227], v[226:227], -v[64:65]
	v_add_f64 v[228:229], v[228:229], -v[214:215]
	v_mov_b32_e32 v64, v242
	v_mov_b32_e32 v65, v243
.LBB114_902:
	s_or_b32 exec_lo, exec_lo, s0
	v_lshl_add_u32 v214, v248, 4, v1
	s_barrier
	buffer_gl0_inv
	v_mov_b32_e32 v242, 43
	ds_write2_b64 v214, v[58:59], v[60:61] offset1:1
	s_waitcnt lgkmcnt(0)
	s_barrier
	buffer_gl0_inv
	ds_read2_b64 v[234:237], v1 offset0:86 offset1:87
	s_cmp_lt_i32 s8, 45
	s_cbranch_scc1 .LBB114_905
; %bb.903:
	v_add3_u32 v243, v254, 0, 0x2c0
	v_mov_b32_e32 v242, 43
	s_mov_b32 s0, 44
	s_inst_prefetch 0x1
	.p2align	6
.LBB114_904:                            ; =>This Inner Loop Header: Depth=1
	s_waitcnt lgkmcnt(0)
	v_cmp_gt_f64_e32 vcc_lo, 0, v[234:235]
	v_xor_b32_e32 v214, 0x80000000, v235
	ds_read2_b64 v[249:252], v243 offset1:1
	v_xor_b32_e32 v216, 0x80000000, v237
	v_add_nc_u32_e32 v243, 16, v243
	s_waitcnt lgkmcnt(0)
	v_xor_b32_e32 v218, 0x80000000, v252
	v_cndmask_b32_e32 v215, v235, v214, vcc_lo
	v_cmp_gt_f64_e32 vcc_lo, 0, v[236:237]
	v_mov_b32_e32 v214, v234
	v_cndmask_b32_e32 v217, v237, v216, vcc_lo
	v_cmp_gt_f64_e32 vcc_lo, 0, v[249:250]
	v_mov_b32_e32 v216, v236
	v_add_f64 v[214:215], v[214:215], v[216:217]
	v_xor_b32_e32 v216, 0x80000000, v250
	v_cndmask_b32_e32 v217, v250, v216, vcc_lo
	v_cmp_gt_f64_e32 vcc_lo, 0, v[251:252]
	v_mov_b32_e32 v216, v249
	v_cndmask_b32_e32 v219, v252, v218, vcc_lo
	v_mov_b32_e32 v218, v251
	v_add_f64 v[216:217], v[216:217], v[218:219]
	v_cmp_lt_f64_e32 vcc_lo, v[214:215], v[216:217]
	v_cndmask_b32_e32 v235, v235, v250, vcc_lo
	v_cndmask_b32_e32 v234, v234, v249, vcc_lo
	;; [unrolled: 1-line block ×4, first 2 shown]
	v_cndmask_b32_e64 v242, v242, s0, vcc_lo
	s_add_i32 s0, s0, 1
	s_cmp_lg_u32 s8, s0
	s_cbranch_scc1 .LBB114_904
.LBB114_905:
	s_inst_prefetch 0x2
	s_waitcnt lgkmcnt(0)
	v_cmp_eq_f64_e32 vcc_lo, 0, v[234:235]
	v_cmp_eq_f64_e64 s0, 0, v[236:237]
	s_and_b32 s0, vcc_lo, s0
	s_and_saveexec_b32 s1, s0
	s_xor_b32 s0, exec_lo, s1
; %bb.906:
	v_cmp_ne_u32_e32 vcc_lo, 0, v247
	v_cndmask_b32_e32 v247, 44, v247, vcc_lo
; %bb.907:
	s_andn2_saveexec_b32 s0, s0
	s_cbranch_execz .LBB114_913
; %bb.908:
	v_cmp_ngt_f64_e64 s1, |v[234:235]|, |v[236:237]|
	s_and_saveexec_b32 s7, s1
	s_xor_b32 s1, exec_lo, s7
	s_cbranch_execz .LBB114_910
; %bb.909:
	v_div_scale_f64 v[214:215], null, v[236:237], v[236:237], v[234:235]
	v_div_scale_f64 v[220:221], vcc_lo, v[234:235], v[236:237], v[234:235]
	v_rcp_f64_e32 v[216:217], v[214:215]
	v_fma_f64 v[218:219], -v[214:215], v[216:217], 1.0
	v_fma_f64 v[216:217], v[216:217], v[218:219], v[216:217]
	v_fma_f64 v[218:219], -v[214:215], v[216:217], 1.0
	v_fma_f64 v[216:217], v[216:217], v[218:219], v[216:217]
	v_mul_f64 v[218:219], v[220:221], v[216:217]
	v_fma_f64 v[214:215], -v[214:215], v[218:219], v[220:221]
	v_div_fmas_f64 v[214:215], v[214:215], v[216:217], v[218:219]
	v_div_fixup_f64 v[214:215], v[214:215], v[236:237], v[234:235]
	v_fma_f64 v[216:217], v[234:235], v[214:215], v[236:237]
	v_div_scale_f64 v[218:219], null, v[216:217], v[216:217], 1.0
	v_rcp_f64_e32 v[220:221], v[218:219]
	v_fma_f64 v[222:223], -v[218:219], v[220:221], 1.0
	v_fma_f64 v[220:221], v[220:221], v[222:223], v[220:221]
	v_fma_f64 v[222:223], -v[218:219], v[220:221], 1.0
	v_fma_f64 v[220:221], v[220:221], v[222:223], v[220:221]
	v_div_scale_f64 v[222:223], vcc_lo, 1.0, v[216:217], 1.0
	v_mul_f64 v[224:225], v[222:223], v[220:221]
	v_fma_f64 v[218:219], -v[218:219], v[224:225], v[222:223]
	v_div_fmas_f64 v[218:219], v[218:219], v[220:221], v[224:225]
	v_div_fixup_f64 v[236:237], v[218:219], v[216:217], 1.0
	v_mul_f64 v[234:235], v[214:215], v[236:237]
	v_xor_b32_e32 v237, 0x80000000, v237
.LBB114_910:
	s_andn2_saveexec_b32 s1, s1
	s_cbranch_execz .LBB114_912
; %bb.911:
	v_div_scale_f64 v[214:215], null, v[234:235], v[234:235], v[236:237]
	v_div_scale_f64 v[220:221], vcc_lo, v[236:237], v[234:235], v[236:237]
	v_rcp_f64_e32 v[216:217], v[214:215]
	v_fma_f64 v[218:219], -v[214:215], v[216:217], 1.0
	v_fma_f64 v[216:217], v[216:217], v[218:219], v[216:217]
	v_fma_f64 v[218:219], -v[214:215], v[216:217], 1.0
	v_fma_f64 v[216:217], v[216:217], v[218:219], v[216:217]
	v_mul_f64 v[218:219], v[220:221], v[216:217]
	v_fma_f64 v[214:215], -v[214:215], v[218:219], v[220:221]
	v_div_fmas_f64 v[214:215], v[214:215], v[216:217], v[218:219]
	v_div_fixup_f64 v[214:215], v[214:215], v[234:235], v[236:237]
	v_fma_f64 v[216:217], v[236:237], v[214:215], v[234:235]
	v_div_scale_f64 v[218:219], null, v[216:217], v[216:217], 1.0
	v_rcp_f64_e32 v[220:221], v[218:219]
	v_fma_f64 v[222:223], -v[218:219], v[220:221], 1.0
	v_fma_f64 v[220:221], v[220:221], v[222:223], v[220:221]
	v_fma_f64 v[222:223], -v[218:219], v[220:221], 1.0
	v_fma_f64 v[220:221], v[220:221], v[222:223], v[220:221]
	v_div_scale_f64 v[222:223], vcc_lo, 1.0, v[216:217], 1.0
	v_mul_f64 v[224:225], v[222:223], v[220:221]
	v_fma_f64 v[218:219], -v[218:219], v[224:225], v[222:223]
	v_div_fmas_f64 v[218:219], v[218:219], v[220:221], v[224:225]
	v_div_fixup_f64 v[234:235], v[218:219], v[216:217], 1.0
	v_mul_f64 v[236:237], v[214:215], -v[234:235]
.LBB114_912:
	s_or_b32 exec_lo, exec_lo, s1
.LBB114_913:
	s_or_b32 exec_lo, exec_lo, s0
	s_mov_b32 s0, exec_lo
	v_cmpx_ne_u32_e64 v248, v242
	s_xor_b32 s0, exec_lo, s0
	s_cbranch_execz .LBB114_919
; %bb.914:
	s_mov_b32 s1, exec_lo
	v_cmpx_eq_u32_e32 43, v248
	s_cbranch_execz .LBB114_918
; %bb.915:
	v_cmp_ne_u32_e32 vcc_lo, 43, v242
	s_xor_b32 s7, s16, -1
	s_and_b32 s9, s7, vcc_lo
	s_and_saveexec_b32 s7, s9
	s_cbranch_execz .LBB114_917
; %bb.916:
	s_clause 0x1
	buffer_load_dword v210, off, s[20:23], 0
	buffer_load_dword v211, off, s[20:23], 0 offset:4
	v_ashrrev_i32_e32 v243, 31, v242
	v_lshlrev_b64 v[214:215], 2, v[242:243]
	s_waitcnt vmcnt(1)
	v_add_co_u32 v214, vcc_lo, v210, v214
	s_waitcnt vmcnt(0)
	v_add_co_ci_u32_e64 v215, null, v211, v215, vcc_lo
	s_clause 0x1
	global_load_dword v0, v[214:215], off
	global_load_dword v216, v[210:211], off offset:172
	s_waitcnt vmcnt(1)
	global_store_dword v[210:211], v0, off offset:172
	s_waitcnt vmcnt(0)
	global_store_dword v[214:215], v216, off
.LBB114_917:
	s_or_b32 exec_lo, exec_lo, s7
	v_mov_b32_e32 v248, v242
	v_mov_b32_e32 v0, v242
.LBB114_918:
	s_or_b32 exec_lo, exec_lo, s1
.LBB114_919:
	s_andn2_saveexec_b32 s0, s0
	s_cbranch_execz .LBB114_921
; %bb.920:
	v_mov_b32_e32 v248, 43
	ds_write2_b64 v1, v[54:55], v[56:57] offset0:88 offset1:89
	ds_write2_b64 v1, v[50:51], v[52:53] offset0:90 offset1:91
	;; [unrolled: 1-line block ×14, first 2 shown]
.LBB114_921:
	s_or_b32 exec_lo, exec_lo, s0
	s_mov_b32 s0, exec_lo
	s_waitcnt lgkmcnt(0)
	s_waitcnt_vscnt null, 0x0
	s_barrier
	buffer_gl0_inv
	v_cmpx_lt_i32_e32 43, v248
	s_cbranch_execz .LBB114_923
; %bb.922:
	v_mul_f64 v[214:215], v[234:235], v[60:61]
	v_mul_f64 v[60:61], v[236:237], v[60:61]
	v_fma_f64 v[242:243], v[236:237], v[58:59], v[214:215]
	v_fma_f64 v[58:59], v[234:235], v[58:59], -v[60:61]
	ds_read2_b64 v[234:237], v1 offset0:88 offset1:89
	s_waitcnt lgkmcnt(0)
	v_mul_f64 v[60:61], v[236:237], v[242:243]
	v_mul_f64 v[214:215], v[234:235], v[242:243]
	v_fma_f64 v[60:61], v[234:235], v[58:59], -v[60:61]
	v_fma_f64 v[214:215], v[236:237], v[58:59], v[214:215]
	ds_read2_b64 v[234:237], v1 offset0:90 offset1:91
	v_add_f64 v[54:55], v[54:55], -v[60:61]
	v_add_f64 v[56:57], v[56:57], -v[214:215]
	s_waitcnt lgkmcnt(0)
	v_mul_f64 v[60:61], v[236:237], v[242:243]
	v_mul_f64 v[214:215], v[234:235], v[242:243]
	v_fma_f64 v[60:61], v[234:235], v[58:59], -v[60:61]
	v_fma_f64 v[214:215], v[236:237], v[58:59], v[214:215]
	ds_read2_b64 v[234:237], v1 offset0:92 offset1:93
	v_add_f64 v[50:51], v[50:51], -v[60:61]
	v_add_f64 v[52:53], v[52:53], -v[214:215]
	;; [unrolled: 8-line block ×13, first 2 shown]
	s_waitcnt lgkmcnt(0)
	v_mul_f64 v[60:61], v[236:237], v[242:243]
	v_mul_f64 v[214:215], v[234:235], v[242:243]
	v_fma_f64 v[60:61], v[234:235], v[58:59], -v[60:61]
	v_fma_f64 v[214:215], v[236:237], v[58:59], v[214:215]
	v_add_f64 v[226:227], v[226:227], -v[60:61]
	v_add_f64 v[228:229], v[228:229], -v[214:215]
	v_mov_b32_e32 v60, v242
	v_mov_b32_e32 v61, v243
.LBB114_923:
	s_or_b32 exec_lo, exec_lo, s0
	v_lshl_add_u32 v214, v248, 4, v1
	s_barrier
	buffer_gl0_inv
	v_mov_b32_e32 v242, 44
	ds_write2_b64 v214, v[54:55], v[56:57] offset1:1
	s_waitcnt lgkmcnt(0)
	s_barrier
	buffer_gl0_inv
	ds_read2_b64 v[234:237], v1 offset0:88 offset1:89
	s_cmp_lt_i32 s8, 46
	s_cbranch_scc1 .LBB114_926
; %bb.924:
	v_add3_u32 v243, v254, 0, 0x2d0
	v_mov_b32_e32 v242, 44
	s_mov_b32 s0, 45
	s_inst_prefetch 0x1
	.p2align	6
.LBB114_925:                            ; =>This Inner Loop Header: Depth=1
	s_waitcnt lgkmcnt(0)
	v_cmp_gt_f64_e32 vcc_lo, 0, v[234:235]
	v_xor_b32_e32 v214, 0x80000000, v235
	ds_read2_b64 v[249:252], v243 offset1:1
	v_xor_b32_e32 v216, 0x80000000, v237
	v_add_nc_u32_e32 v243, 16, v243
	s_waitcnt lgkmcnt(0)
	v_xor_b32_e32 v218, 0x80000000, v252
	v_cndmask_b32_e32 v215, v235, v214, vcc_lo
	v_cmp_gt_f64_e32 vcc_lo, 0, v[236:237]
	v_mov_b32_e32 v214, v234
	v_cndmask_b32_e32 v217, v237, v216, vcc_lo
	v_cmp_gt_f64_e32 vcc_lo, 0, v[249:250]
	v_mov_b32_e32 v216, v236
	v_add_f64 v[214:215], v[214:215], v[216:217]
	v_xor_b32_e32 v216, 0x80000000, v250
	v_cndmask_b32_e32 v217, v250, v216, vcc_lo
	v_cmp_gt_f64_e32 vcc_lo, 0, v[251:252]
	v_mov_b32_e32 v216, v249
	v_cndmask_b32_e32 v219, v252, v218, vcc_lo
	v_mov_b32_e32 v218, v251
	v_add_f64 v[216:217], v[216:217], v[218:219]
	v_cmp_lt_f64_e32 vcc_lo, v[214:215], v[216:217]
	v_cndmask_b32_e32 v235, v235, v250, vcc_lo
	v_cndmask_b32_e32 v234, v234, v249, vcc_lo
	;; [unrolled: 1-line block ×4, first 2 shown]
	v_cndmask_b32_e64 v242, v242, s0, vcc_lo
	s_add_i32 s0, s0, 1
	s_cmp_lg_u32 s8, s0
	s_cbranch_scc1 .LBB114_925
.LBB114_926:
	s_inst_prefetch 0x2
	s_waitcnt lgkmcnt(0)
	v_cmp_eq_f64_e32 vcc_lo, 0, v[234:235]
	v_cmp_eq_f64_e64 s0, 0, v[236:237]
	s_and_b32 s0, vcc_lo, s0
	s_and_saveexec_b32 s1, s0
	s_xor_b32 s0, exec_lo, s1
; %bb.927:
	v_cmp_ne_u32_e32 vcc_lo, 0, v247
	v_cndmask_b32_e32 v247, 45, v247, vcc_lo
; %bb.928:
	s_andn2_saveexec_b32 s0, s0
	s_cbranch_execz .LBB114_934
; %bb.929:
	v_cmp_ngt_f64_e64 s1, |v[234:235]|, |v[236:237]|
	s_and_saveexec_b32 s7, s1
	s_xor_b32 s1, exec_lo, s7
	s_cbranch_execz .LBB114_931
; %bb.930:
	v_div_scale_f64 v[214:215], null, v[236:237], v[236:237], v[234:235]
	v_div_scale_f64 v[220:221], vcc_lo, v[234:235], v[236:237], v[234:235]
	v_rcp_f64_e32 v[216:217], v[214:215]
	v_fma_f64 v[218:219], -v[214:215], v[216:217], 1.0
	v_fma_f64 v[216:217], v[216:217], v[218:219], v[216:217]
	v_fma_f64 v[218:219], -v[214:215], v[216:217], 1.0
	v_fma_f64 v[216:217], v[216:217], v[218:219], v[216:217]
	v_mul_f64 v[218:219], v[220:221], v[216:217]
	v_fma_f64 v[214:215], -v[214:215], v[218:219], v[220:221]
	v_div_fmas_f64 v[214:215], v[214:215], v[216:217], v[218:219]
	v_div_fixup_f64 v[214:215], v[214:215], v[236:237], v[234:235]
	v_fma_f64 v[216:217], v[234:235], v[214:215], v[236:237]
	v_div_scale_f64 v[218:219], null, v[216:217], v[216:217], 1.0
	v_rcp_f64_e32 v[220:221], v[218:219]
	v_fma_f64 v[222:223], -v[218:219], v[220:221], 1.0
	v_fma_f64 v[220:221], v[220:221], v[222:223], v[220:221]
	v_fma_f64 v[222:223], -v[218:219], v[220:221], 1.0
	v_fma_f64 v[220:221], v[220:221], v[222:223], v[220:221]
	v_div_scale_f64 v[222:223], vcc_lo, 1.0, v[216:217], 1.0
	v_mul_f64 v[224:225], v[222:223], v[220:221]
	v_fma_f64 v[218:219], -v[218:219], v[224:225], v[222:223]
	v_div_fmas_f64 v[218:219], v[218:219], v[220:221], v[224:225]
	v_div_fixup_f64 v[236:237], v[218:219], v[216:217], 1.0
	v_mul_f64 v[234:235], v[214:215], v[236:237]
	v_xor_b32_e32 v237, 0x80000000, v237
.LBB114_931:
	s_andn2_saveexec_b32 s1, s1
	s_cbranch_execz .LBB114_933
; %bb.932:
	v_div_scale_f64 v[214:215], null, v[234:235], v[234:235], v[236:237]
	v_div_scale_f64 v[220:221], vcc_lo, v[236:237], v[234:235], v[236:237]
	v_rcp_f64_e32 v[216:217], v[214:215]
	v_fma_f64 v[218:219], -v[214:215], v[216:217], 1.0
	v_fma_f64 v[216:217], v[216:217], v[218:219], v[216:217]
	v_fma_f64 v[218:219], -v[214:215], v[216:217], 1.0
	v_fma_f64 v[216:217], v[216:217], v[218:219], v[216:217]
	v_mul_f64 v[218:219], v[220:221], v[216:217]
	v_fma_f64 v[214:215], -v[214:215], v[218:219], v[220:221]
	v_div_fmas_f64 v[214:215], v[214:215], v[216:217], v[218:219]
	v_div_fixup_f64 v[214:215], v[214:215], v[234:235], v[236:237]
	v_fma_f64 v[216:217], v[236:237], v[214:215], v[234:235]
	v_div_scale_f64 v[218:219], null, v[216:217], v[216:217], 1.0
	v_rcp_f64_e32 v[220:221], v[218:219]
	v_fma_f64 v[222:223], -v[218:219], v[220:221], 1.0
	v_fma_f64 v[220:221], v[220:221], v[222:223], v[220:221]
	v_fma_f64 v[222:223], -v[218:219], v[220:221], 1.0
	v_fma_f64 v[220:221], v[220:221], v[222:223], v[220:221]
	v_div_scale_f64 v[222:223], vcc_lo, 1.0, v[216:217], 1.0
	v_mul_f64 v[224:225], v[222:223], v[220:221]
	v_fma_f64 v[218:219], -v[218:219], v[224:225], v[222:223]
	v_div_fmas_f64 v[218:219], v[218:219], v[220:221], v[224:225]
	v_div_fixup_f64 v[234:235], v[218:219], v[216:217], 1.0
	v_mul_f64 v[236:237], v[214:215], -v[234:235]
.LBB114_933:
	s_or_b32 exec_lo, exec_lo, s1
.LBB114_934:
	s_or_b32 exec_lo, exec_lo, s0
	s_mov_b32 s0, exec_lo
	v_cmpx_ne_u32_e64 v248, v242
	s_xor_b32 s0, exec_lo, s0
	s_cbranch_execz .LBB114_940
; %bb.935:
	s_mov_b32 s1, exec_lo
	v_cmpx_eq_u32_e32 44, v248
	s_cbranch_execz .LBB114_939
; %bb.936:
	v_cmp_ne_u32_e32 vcc_lo, 44, v242
	s_xor_b32 s7, s16, -1
	s_and_b32 s9, s7, vcc_lo
	s_and_saveexec_b32 s7, s9
	s_cbranch_execz .LBB114_938
; %bb.937:
	s_clause 0x1
	buffer_load_dword v210, off, s[20:23], 0
	buffer_load_dword v211, off, s[20:23], 0 offset:4
	v_ashrrev_i32_e32 v243, 31, v242
	v_lshlrev_b64 v[214:215], 2, v[242:243]
	s_waitcnt vmcnt(1)
	v_add_co_u32 v214, vcc_lo, v210, v214
	s_waitcnt vmcnt(0)
	v_add_co_ci_u32_e64 v215, null, v211, v215, vcc_lo
	s_clause 0x1
	global_load_dword v0, v[214:215], off
	global_load_dword v216, v[210:211], off offset:176
	s_waitcnt vmcnt(1)
	global_store_dword v[210:211], v0, off offset:176
	s_waitcnt vmcnt(0)
	global_store_dword v[214:215], v216, off
.LBB114_938:
	s_or_b32 exec_lo, exec_lo, s7
	v_mov_b32_e32 v248, v242
	v_mov_b32_e32 v0, v242
.LBB114_939:
	s_or_b32 exec_lo, exec_lo, s1
.LBB114_940:
	s_andn2_saveexec_b32 s0, s0
	s_cbranch_execz .LBB114_942
; %bb.941:
	v_mov_b32_e32 v248, 44
	ds_write2_b64 v1, v[50:51], v[52:53] offset0:90 offset1:91
	ds_write2_b64 v1, v[46:47], v[48:49] offset0:92 offset1:93
	;; [unrolled: 1-line block ×13, first 2 shown]
.LBB114_942:
	s_or_b32 exec_lo, exec_lo, s0
	s_mov_b32 s0, exec_lo
	s_waitcnt lgkmcnt(0)
	s_waitcnt_vscnt null, 0x0
	s_barrier
	buffer_gl0_inv
	v_cmpx_lt_i32_e32 44, v248
	s_cbranch_execz .LBB114_944
; %bb.943:
	v_mul_f64 v[214:215], v[234:235], v[56:57]
	v_mul_f64 v[56:57], v[236:237], v[56:57]
	v_fma_f64 v[214:215], v[236:237], v[54:55], v[214:215]
	v_fma_f64 v[54:55], v[234:235], v[54:55], -v[56:57]
	ds_read2_b64 v[234:237], v1 offset0:90 offset1:91
	s_waitcnt lgkmcnt(0)
	v_mul_f64 v[56:57], v[236:237], v[214:215]
	v_mul_f64 v[216:217], v[234:235], v[214:215]
	v_fma_f64 v[56:57], v[234:235], v[54:55], -v[56:57]
	v_fma_f64 v[216:217], v[236:237], v[54:55], v[216:217]
	ds_read2_b64 v[234:237], v1 offset0:92 offset1:93
	v_add_f64 v[50:51], v[50:51], -v[56:57]
	v_add_f64 v[52:53], v[52:53], -v[216:217]
	s_waitcnt lgkmcnt(0)
	v_mul_f64 v[56:57], v[236:237], v[214:215]
	v_mul_f64 v[216:217], v[234:235], v[214:215]
	v_fma_f64 v[56:57], v[234:235], v[54:55], -v[56:57]
	v_fma_f64 v[216:217], v[236:237], v[54:55], v[216:217]
	ds_read2_b64 v[234:237], v1 offset0:94 offset1:95
	v_add_f64 v[46:47], v[46:47], -v[56:57]
	v_add_f64 v[48:49], v[48:49], -v[216:217]
	s_waitcnt lgkmcnt(0)
	v_mul_f64 v[56:57], v[236:237], v[214:215]
	v_mul_f64 v[216:217], v[234:235], v[214:215]
	v_fma_f64 v[56:57], v[234:235], v[54:55], -v[56:57]
	v_fma_f64 v[216:217], v[236:237], v[54:55], v[216:217]
	ds_read2_b64 v[234:237], v1 offset0:96 offset1:97
	v_add_f64 v[42:43], v[42:43], -v[56:57]
	v_add_f64 v[44:45], v[44:45], -v[216:217]
	s_waitcnt lgkmcnt(0)
	v_mul_f64 v[56:57], v[236:237], v[214:215]
	v_mul_f64 v[216:217], v[234:235], v[214:215]
	v_fma_f64 v[56:57], v[234:235], v[54:55], -v[56:57]
	v_fma_f64 v[216:217], v[236:237], v[54:55], v[216:217]
	ds_read2_b64 v[234:237], v1 offset0:98 offset1:99
	v_add_f64 v[38:39], v[38:39], -v[56:57]
	v_add_f64 v[40:41], v[40:41], -v[216:217]
	s_waitcnt lgkmcnt(0)
	v_mul_f64 v[56:57], v[236:237], v[214:215]
	v_mul_f64 v[216:217], v[234:235], v[214:215]
	v_fma_f64 v[56:57], v[234:235], v[54:55], -v[56:57]
	v_fma_f64 v[216:217], v[236:237], v[54:55], v[216:217]
	ds_read2_b64 v[234:237], v1 offset0:100 offset1:101
	v_add_f64 v[34:35], v[34:35], -v[56:57]
	v_add_f64 v[36:37], v[36:37], -v[216:217]
	s_waitcnt lgkmcnt(0)
	v_mul_f64 v[56:57], v[236:237], v[214:215]
	v_mul_f64 v[216:217], v[234:235], v[214:215]
	v_fma_f64 v[56:57], v[234:235], v[54:55], -v[56:57]
	v_fma_f64 v[216:217], v[236:237], v[54:55], v[216:217]
	ds_read2_b64 v[234:237], v1 offset0:102 offset1:103
	v_add_f64 v[30:31], v[30:31], -v[56:57]
	v_add_f64 v[32:33], v[32:33], -v[216:217]
	s_waitcnt lgkmcnt(0)
	v_mul_f64 v[56:57], v[236:237], v[214:215]
	v_mul_f64 v[216:217], v[234:235], v[214:215]
	v_fma_f64 v[56:57], v[234:235], v[54:55], -v[56:57]
	v_fma_f64 v[216:217], v[236:237], v[54:55], v[216:217]
	ds_read2_b64 v[234:237], v1 offset0:104 offset1:105
	v_add_f64 v[26:27], v[26:27], -v[56:57]
	v_add_f64 v[28:29], v[28:29], -v[216:217]
	s_waitcnt lgkmcnt(0)
	v_mul_f64 v[56:57], v[236:237], v[214:215]
	v_mul_f64 v[216:217], v[234:235], v[214:215]
	v_fma_f64 v[56:57], v[234:235], v[54:55], -v[56:57]
	v_fma_f64 v[216:217], v[236:237], v[54:55], v[216:217]
	ds_read2_b64 v[234:237], v1 offset0:106 offset1:107
	v_add_f64 v[22:23], v[22:23], -v[56:57]
	v_add_f64 v[24:25], v[24:25], -v[216:217]
	s_waitcnt lgkmcnt(0)
	v_mul_f64 v[56:57], v[236:237], v[214:215]
	v_mul_f64 v[216:217], v[234:235], v[214:215]
	v_fma_f64 v[56:57], v[234:235], v[54:55], -v[56:57]
	v_fma_f64 v[216:217], v[236:237], v[54:55], v[216:217]
	ds_read2_b64 v[234:237], v1 offset0:108 offset1:109
	v_add_f64 v[18:19], v[18:19], -v[56:57]
	v_add_f64 v[20:21], v[20:21], -v[216:217]
	s_waitcnt lgkmcnt(0)
	v_mul_f64 v[56:57], v[236:237], v[214:215]
	v_mul_f64 v[216:217], v[234:235], v[214:215]
	v_fma_f64 v[56:57], v[234:235], v[54:55], -v[56:57]
	v_fma_f64 v[216:217], v[236:237], v[54:55], v[216:217]
	ds_read2_b64 v[234:237], v1 offset0:110 offset1:111
	v_add_f64 v[14:15], v[14:15], -v[56:57]
	v_add_f64 v[16:17], v[16:17], -v[216:217]
	s_waitcnt lgkmcnt(0)
	v_mul_f64 v[56:57], v[236:237], v[214:215]
	v_mul_f64 v[216:217], v[234:235], v[214:215]
	v_fma_f64 v[56:57], v[234:235], v[54:55], -v[56:57]
	v_fma_f64 v[216:217], v[236:237], v[54:55], v[216:217]
	ds_read2_b64 v[234:237], v1 offset0:112 offset1:113
	v_add_f64 v[10:11], v[10:11], -v[56:57]
	v_add_f64 v[12:13], v[12:13], -v[216:217]
	s_waitcnt lgkmcnt(0)
	v_mul_f64 v[56:57], v[236:237], v[214:215]
	v_mul_f64 v[216:217], v[234:235], v[214:215]
	v_fma_f64 v[56:57], v[234:235], v[54:55], -v[56:57]
	v_fma_f64 v[216:217], v[236:237], v[54:55], v[216:217]
	ds_read2_b64 v[234:237], v1 offset0:114 offset1:115
	v_add_f64 v[238:239], v[238:239], -v[56:57]
	v_add_f64 v[240:241], v[240:241], -v[216:217]
	s_waitcnt lgkmcnt(0)
	v_mul_f64 v[56:57], v[236:237], v[214:215]
	v_mul_f64 v[216:217], v[234:235], v[214:215]
	v_fma_f64 v[56:57], v[234:235], v[54:55], -v[56:57]
	v_fma_f64 v[216:217], v[236:237], v[54:55], v[216:217]
	v_add_f64 v[226:227], v[226:227], -v[56:57]
	v_add_f64 v[228:229], v[228:229], -v[216:217]
	v_mov_b32_e32 v56, v214
	v_mov_b32_e32 v57, v215
.LBB114_944:
	s_or_b32 exec_lo, exec_lo, s0
	v_lshl_add_u32 v214, v248, 4, v1
	s_barrier
	buffer_gl0_inv
	v_mov_b32_e32 v242, 45
	ds_write2_b64 v214, v[50:51], v[52:53] offset1:1
	s_waitcnt lgkmcnt(0)
	s_barrier
	buffer_gl0_inv
	ds_read2_b64 v[234:237], v1 offset0:90 offset1:91
	s_cmp_lt_i32 s8, 47
	s_cbranch_scc1 .LBB114_947
; %bb.945:
	v_add3_u32 v243, v254, 0, 0x2e0
	v_mov_b32_e32 v242, 45
	s_mov_b32 s0, 46
	s_inst_prefetch 0x1
	.p2align	6
.LBB114_946:                            ; =>This Inner Loop Header: Depth=1
	s_waitcnt lgkmcnt(0)
	v_cmp_gt_f64_e32 vcc_lo, 0, v[234:235]
	v_xor_b32_e32 v214, 0x80000000, v235
	ds_read2_b64 v[249:252], v243 offset1:1
	v_xor_b32_e32 v216, 0x80000000, v237
	v_add_nc_u32_e32 v243, 16, v243
	s_waitcnt lgkmcnt(0)
	v_xor_b32_e32 v218, 0x80000000, v252
	v_cndmask_b32_e32 v215, v235, v214, vcc_lo
	v_cmp_gt_f64_e32 vcc_lo, 0, v[236:237]
	v_mov_b32_e32 v214, v234
	v_cndmask_b32_e32 v217, v237, v216, vcc_lo
	v_cmp_gt_f64_e32 vcc_lo, 0, v[249:250]
	v_mov_b32_e32 v216, v236
	v_add_f64 v[214:215], v[214:215], v[216:217]
	v_xor_b32_e32 v216, 0x80000000, v250
	v_cndmask_b32_e32 v217, v250, v216, vcc_lo
	v_cmp_gt_f64_e32 vcc_lo, 0, v[251:252]
	v_mov_b32_e32 v216, v249
	v_cndmask_b32_e32 v219, v252, v218, vcc_lo
	v_mov_b32_e32 v218, v251
	v_add_f64 v[216:217], v[216:217], v[218:219]
	v_cmp_lt_f64_e32 vcc_lo, v[214:215], v[216:217]
	v_cndmask_b32_e32 v235, v235, v250, vcc_lo
	v_cndmask_b32_e32 v234, v234, v249, vcc_lo
	;; [unrolled: 1-line block ×4, first 2 shown]
	v_cndmask_b32_e64 v242, v242, s0, vcc_lo
	s_add_i32 s0, s0, 1
	s_cmp_lg_u32 s8, s0
	s_cbranch_scc1 .LBB114_946
.LBB114_947:
	s_inst_prefetch 0x2
	s_waitcnt lgkmcnt(0)
	v_cmp_eq_f64_e32 vcc_lo, 0, v[234:235]
	v_cmp_eq_f64_e64 s0, 0, v[236:237]
	s_and_b32 s0, vcc_lo, s0
	s_and_saveexec_b32 s1, s0
	s_xor_b32 s0, exec_lo, s1
; %bb.948:
	v_cmp_ne_u32_e32 vcc_lo, 0, v247
	v_cndmask_b32_e32 v247, 46, v247, vcc_lo
; %bb.949:
	s_andn2_saveexec_b32 s0, s0
	s_cbranch_execz .LBB114_955
; %bb.950:
	v_cmp_ngt_f64_e64 s1, |v[234:235]|, |v[236:237]|
	s_and_saveexec_b32 s7, s1
	s_xor_b32 s1, exec_lo, s7
	s_cbranch_execz .LBB114_952
; %bb.951:
	v_div_scale_f64 v[214:215], null, v[236:237], v[236:237], v[234:235]
	v_div_scale_f64 v[220:221], vcc_lo, v[234:235], v[236:237], v[234:235]
	v_rcp_f64_e32 v[216:217], v[214:215]
	v_fma_f64 v[218:219], -v[214:215], v[216:217], 1.0
	v_fma_f64 v[216:217], v[216:217], v[218:219], v[216:217]
	v_fma_f64 v[218:219], -v[214:215], v[216:217], 1.0
	v_fma_f64 v[216:217], v[216:217], v[218:219], v[216:217]
	v_mul_f64 v[218:219], v[220:221], v[216:217]
	v_fma_f64 v[214:215], -v[214:215], v[218:219], v[220:221]
	v_div_fmas_f64 v[214:215], v[214:215], v[216:217], v[218:219]
	v_div_fixup_f64 v[214:215], v[214:215], v[236:237], v[234:235]
	v_fma_f64 v[216:217], v[234:235], v[214:215], v[236:237]
	v_div_scale_f64 v[218:219], null, v[216:217], v[216:217], 1.0
	v_rcp_f64_e32 v[220:221], v[218:219]
	v_fma_f64 v[222:223], -v[218:219], v[220:221], 1.0
	v_fma_f64 v[220:221], v[220:221], v[222:223], v[220:221]
	v_fma_f64 v[222:223], -v[218:219], v[220:221], 1.0
	v_fma_f64 v[220:221], v[220:221], v[222:223], v[220:221]
	v_div_scale_f64 v[222:223], vcc_lo, 1.0, v[216:217], 1.0
	v_mul_f64 v[224:225], v[222:223], v[220:221]
	v_fma_f64 v[218:219], -v[218:219], v[224:225], v[222:223]
	v_div_fmas_f64 v[218:219], v[218:219], v[220:221], v[224:225]
	v_div_fixup_f64 v[236:237], v[218:219], v[216:217], 1.0
	v_mul_f64 v[234:235], v[214:215], v[236:237]
	v_xor_b32_e32 v237, 0x80000000, v237
.LBB114_952:
	s_andn2_saveexec_b32 s1, s1
	s_cbranch_execz .LBB114_954
; %bb.953:
	v_div_scale_f64 v[214:215], null, v[234:235], v[234:235], v[236:237]
	v_div_scale_f64 v[220:221], vcc_lo, v[236:237], v[234:235], v[236:237]
	v_rcp_f64_e32 v[216:217], v[214:215]
	v_fma_f64 v[218:219], -v[214:215], v[216:217], 1.0
	v_fma_f64 v[216:217], v[216:217], v[218:219], v[216:217]
	v_fma_f64 v[218:219], -v[214:215], v[216:217], 1.0
	v_fma_f64 v[216:217], v[216:217], v[218:219], v[216:217]
	v_mul_f64 v[218:219], v[220:221], v[216:217]
	v_fma_f64 v[214:215], -v[214:215], v[218:219], v[220:221]
	v_div_fmas_f64 v[214:215], v[214:215], v[216:217], v[218:219]
	v_div_fixup_f64 v[214:215], v[214:215], v[234:235], v[236:237]
	v_fma_f64 v[216:217], v[236:237], v[214:215], v[234:235]
	v_div_scale_f64 v[218:219], null, v[216:217], v[216:217], 1.0
	v_rcp_f64_e32 v[220:221], v[218:219]
	v_fma_f64 v[222:223], -v[218:219], v[220:221], 1.0
	v_fma_f64 v[220:221], v[220:221], v[222:223], v[220:221]
	v_fma_f64 v[222:223], -v[218:219], v[220:221], 1.0
	v_fma_f64 v[220:221], v[220:221], v[222:223], v[220:221]
	v_div_scale_f64 v[222:223], vcc_lo, 1.0, v[216:217], 1.0
	v_mul_f64 v[224:225], v[222:223], v[220:221]
	v_fma_f64 v[218:219], -v[218:219], v[224:225], v[222:223]
	v_div_fmas_f64 v[218:219], v[218:219], v[220:221], v[224:225]
	v_div_fixup_f64 v[234:235], v[218:219], v[216:217], 1.0
	v_mul_f64 v[236:237], v[214:215], -v[234:235]
.LBB114_954:
	s_or_b32 exec_lo, exec_lo, s1
.LBB114_955:
	s_or_b32 exec_lo, exec_lo, s0
	s_mov_b32 s0, exec_lo
	v_cmpx_ne_u32_e64 v248, v242
	s_xor_b32 s0, exec_lo, s0
	s_cbranch_execz .LBB114_961
; %bb.956:
	s_mov_b32 s1, exec_lo
	v_cmpx_eq_u32_e32 45, v248
	s_cbranch_execz .LBB114_960
; %bb.957:
	v_cmp_ne_u32_e32 vcc_lo, 45, v242
	s_xor_b32 s7, s16, -1
	s_and_b32 s9, s7, vcc_lo
	s_and_saveexec_b32 s7, s9
	s_cbranch_execz .LBB114_959
; %bb.958:
	s_clause 0x1
	buffer_load_dword v210, off, s[20:23], 0
	buffer_load_dword v211, off, s[20:23], 0 offset:4
	v_ashrrev_i32_e32 v243, 31, v242
	v_lshlrev_b64 v[214:215], 2, v[242:243]
	s_waitcnt vmcnt(1)
	v_add_co_u32 v214, vcc_lo, v210, v214
	s_waitcnt vmcnt(0)
	v_add_co_ci_u32_e64 v215, null, v211, v215, vcc_lo
	s_clause 0x1
	global_load_dword v0, v[214:215], off
	global_load_dword v216, v[210:211], off offset:180
	s_waitcnt vmcnt(1)
	global_store_dword v[210:211], v0, off offset:180
	s_waitcnt vmcnt(0)
	global_store_dword v[214:215], v216, off
.LBB114_959:
	s_or_b32 exec_lo, exec_lo, s7
	v_mov_b32_e32 v248, v242
	v_mov_b32_e32 v0, v242
.LBB114_960:
	s_or_b32 exec_lo, exec_lo, s1
.LBB114_961:
	s_andn2_saveexec_b32 s0, s0
	s_cbranch_execz .LBB114_963
; %bb.962:
	v_mov_b32_e32 v248, 45
	ds_write2_b64 v1, v[46:47], v[48:49] offset0:92 offset1:93
	ds_write2_b64 v1, v[42:43], v[44:45] offset0:94 offset1:95
	;; [unrolled: 1-line block ×12, first 2 shown]
.LBB114_963:
	s_or_b32 exec_lo, exec_lo, s0
	s_mov_b32 s0, exec_lo
	s_waitcnt lgkmcnt(0)
	s_waitcnt_vscnt null, 0x0
	s_barrier
	buffer_gl0_inv
	v_cmpx_lt_i32_e32 45, v248
	s_cbranch_execz .LBB114_965
; %bb.964:
	v_mul_f64 v[214:215], v[234:235], v[52:53]
	v_mul_f64 v[52:53], v[236:237], v[52:53]
	v_fma_f64 v[214:215], v[236:237], v[50:51], v[214:215]
	v_fma_f64 v[50:51], v[234:235], v[50:51], -v[52:53]
	ds_read2_b64 v[234:237], v1 offset0:92 offset1:93
	s_waitcnt lgkmcnt(0)
	v_mul_f64 v[52:53], v[236:237], v[214:215]
	v_mul_f64 v[216:217], v[234:235], v[214:215]
	v_fma_f64 v[52:53], v[234:235], v[50:51], -v[52:53]
	v_fma_f64 v[216:217], v[236:237], v[50:51], v[216:217]
	ds_read2_b64 v[234:237], v1 offset0:94 offset1:95
	v_add_f64 v[46:47], v[46:47], -v[52:53]
	v_add_f64 v[48:49], v[48:49], -v[216:217]
	s_waitcnt lgkmcnt(0)
	v_mul_f64 v[52:53], v[236:237], v[214:215]
	v_mul_f64 v[216:217], v[234:235], v[214:215]
	v_fma_f64 v[52:53], v[234:235], v[50:51], -v[52:53]
	v_fma_f64 v[216:217], v[236:237], v[50:51], v[216:217]
	ds_read2_b64 v[234:237], v1 offset0:96 offset1:97
	v_add_f64 v[42:43], v[42:43], -v[52:53]
	v_add_f64 v[44:45], v[44:45], -v[216:217]
	;; [unrolled: 8-line block ×11, first 2 shown]
	s_waitcnt lgkmcnt(0)
	v_mul_f64 v[52:53], v[236:237], v[214:215]
	v_mul_f64 v[216:217], v[234:235], v[214:215]
	v_fma_f64 v[52:53], v[234:235], v[50:51], -v[52:53]
	v_fma_f64 v[216:217], v[236:237], v[50:51], v[216:217]
	v_add_f64 v[226:227], v[226:227], -v[52:53]
	v_add_f64 v[228:229], v[228:229], -v[216:217]
	v_mov_b32_e32 v52, v214
	v_mov_b32_e32 v53, v215
.LBB114_965:
	s_or_b32 exec_lo, exec_lo, s0
	v_lshl_add_u32 v214, v248, 4, v1
	s_barrier
	buffer_gl0_inv
	v_mov_b32_e32 v242, 46
	ds_write2_b64 v214, v[46:47], v[48:49] offset1:1
	s_waitcnt lgkmcnt(0)
	s_barrier
	buffer_gl0_inv
	ds_read2_b64 v[234:237], v1 offset0:92 offset1:93
	s_cmp_lt_i32 s8, 48
	s_cbranch_scc1 .LBB114_968
; %bb.966:
	v_add3_u32 v243, v254, 0, 0x2f0
	v_mov_b32_e32 v242, 46
	s_mov_b32 s0, 47
	s_inst_prefetch 0x1
	.p2align	6
.LBB114_967:                            ; =>This Inner Loop Header: Depth=1
	s_waitcnt lgkmcnt(0)
	v_cmp_gt_f64_e32 vcc_lo, 0, v[234:235]
	v_xor_b32_e32 v214, 0x80000000, v235
	ds_read2_b64 v[249:252], v243 offset1:1
	v_xor_b32_e32 v216, 0x80000000, v237
	v_add_nc_u32_e32 v243, 16, v243
	s_waitcnt lgkmcnt(0)
	v_xor_b32_e32 v218, 0x80000000, v252
	v_cndmask_b32_e32 v215, v235, v214, vcc_lo
	v_cmp_gt_f64_e32 vcc_lo, 0, v[236:237]
	v_mov_b32_e32 v214, v234
	v_cndmask_b32_e32 v217, v237, v216, vcc_lo
	v_cmp_gt_f64_e32 vcc_lo, 0, v[249:250]
	v_mov_b32_e32 v216, v236
	v_add_f64 v[214:215], v[214:215], v[216:217]
	v_xor_b32_e32 v216, 0x80000000, v250
	v_cndmask_b32_e32 v217, v250, v216, vcc_lo
	v_cmp_gt_f64_e32 vcc_lo, 0, v[251:252]
	v_mov_b32_e32 v216, v249
	v_cndmask_b32_e32 v219, v252, v218, vcc_lo
	v_mov_b32_e32 v218, v251
	v_add_f64 v[216:217], v[216:217], v[218:219]
	v_cmp_lt_f64_e32 vcc_lo, v[214:215], v[216:217]
	v_cndmask_b32_e32 v235, v235, v250, vcc_lo
	v_cndmask_b32_e32 v234, v234, v249, vcc_lo
	;; [unrolled: 1-line block ×4, first 2 shown]
	v_cndmask_b32_e64 v242, v242, s0, vcc_lo
	s_add_i32 s0, s0, 1
	s_cmp_lg_u32 s8, s0
	s_cbranch_scc1 .LBB114_967
.LBB114_968:
	s_inst_prefetch 0x2
	s_waitcnt lgkmcnt(0)
	v_cmp_eq_f64_e32 vcc_lo, 0, v[234:235]
	v_cmp_eq_f64_e64 s0, 0, v[236:237]
	s_and_b32 s0, vcc_lo, s0
	s_and_saveexec_b32 s1, s0
	s_xor_b32 s0, exec_lo, s1
; %bb.969:
	v_cmp_ne_u32_e32 vcc_lo, 0, v247
	v_cndmask_b32_e32 v247, 47, v247, vcc_lo
; %bb.970:
	s_andn2_saveexec_b32 s0, s0
	s_cbranch_execz .LBB114_976
; %bb.971:
	v_cmp_ngt_f64_e64 s1, |v[234:235]|, |v[236:237]|
	s_and_saveexec_b32 s7, s1
	s_xor_b32 s1, exec_lo, s7
	s_cbranch_execz .LBB114_973
; %bb.972:
	v_div_scale_f64 v[214:215], null, v[236:237], v[236:237], v[234:235]
	v_div_scale_f64 v[220:221], vcc_lo, v[234:235], v[236:237], v[234:235]
	v_rcp_f64_e32 v[216:217], v[214:215]
	v_fma_f64 v[218:219], -v[214:215], v[216:217], 1.0
	v_fma_f64 v[216:217], v[216:217], v[218:219], v[216:217]
	v_fma_f64 v[218:219], -v[214:215], v[216:217], 1.0
	v_fma_f64 v[216:217], v[216:217], v[218:219], v[216:217]
	v_mul_f64 v[218:219], v[220:221], v[216:217]
	v_fma_f64 v[214:215], -v[214:215], v[218:219], v[220:221]
	v_div_fmas_f64 v[214:215], v[214:215], v[216:217], v[218:219]
	v_div_fixup_f64 v[214:215], v[214:215], v[236:237], v[234:235]
	v_fma_f64 v[216:217], v[234:235], v[214:215], v[236:237]
	v_div_scale_f64 v[218:219], null, v[216:217], v[216:217], 1.0
	v_rcp_f64_e32 v[220:221], v[218:219]
	v_fma_f64 v[222:223], -v[218:219], v[220:221], 1.0
	v_fma_f64 v[220:221], v[220:221], v[222:223], v[220:221]
	v_fma_f64 v[222:223], -v[218:219], v[220:221], 1.0
	v_fma_f64 v[220:221], v[220:221], v[222:223], v[220:221]
	v_div_scale_f64 v[222:223], vcc_lo, 1.0, v[216:217], 1.0
	v_mul_f64 v[224:225], v[222:223], v[220:221]
	v_fma_f64 v[218:219], -v[218:219], v[224:225], v[222:223]
	v_div_fmas_f64 v[218:219], v[218:219], v[220:221], v[224:225]
	v_div_fixup_f64 v[236:237], v[218:219], v[216:217], 1.0
	v_mul_f64 v[234:235], v[214:215], v[236:237]
	v_xor_b32_e32 v237, 0x80000000, v237
.LBB114_973:
	s_andn2_saveexec_b32 s1, s1
	s_cbranch_execz .LBB114_975
; %bb.974:
	v_div_scale_f64 v[214:215], null, v[234:235], v[234:235], v[236:237]
	v_div_scale_f64 v[220:221], vcc_lo, v[236:237], v[234:235], v[236:237]
	v_rcp_f64_e32 v[216:217], v[214:215]
	v_fma_f64 v[218:219], -v[214:215], v[216:217], 1.0
	v_fma_f64 v[216:217], v[216:217], v[218:219], v[216:217]
	v_fma_f64 v[218:219], -v[214:215], v[216:217], 1.0
	v_fma_f64 v[216:217], v[216:217], v[218:219], v[216:217]
	v_mul_f64 v[218:219], v[220:221], v[216:217]
	v_fma_f64 v[214:215], -v[214:215], v[218:219], v[220:221]
	v_div_fmas_f64 v[214:215], v[214:215], v[216:217], v[218:219]
	v_div_fixup_f64 v[214:215], v[214:215], v[234:235], v[236:237]
	v_fma_f64 v[216:217], v[236:237], v[214:215], v[234:235]
	v_div_scale_f64 v[218:219], null, v[216:217], v[216:217], 1.0
	v_rcp_f64_e32 v[220:221], v[218:219]
	v_fma_f64 v[222:223], -v[218:219], v[220:221], 1.0
	v_fma_f64 v[220:221], v[220:221], v[222:223], v[220:221]
	v_fma_f64 v[222:223], -v[218:219], v[220:221], 1.0
	v_fma_f64 v[220:221], v[220:221], v[222:223], v[220:221]
	v_div_scale_f64 v[222:223], vcc_lo, 1.0, v[216:217], 1.0
	v_mul_f64 v[224:225], v[222:223], v[220:221]
	v_fma_f64 v[218:219], -v[218:219], v[224:225], v[222:223]
	v_div_fmas_f64 v[218:219], v[218:219], v[220:221], v[224:225]
	v_div_fixup_f64 v[234:235], v[218:219], v[216:217], 1.0
	v_mul_f64 v[236:237], v[214:215], -v[234:235]
.LBB114_975:
	s_or_b32 exec_lo, exec_lo, s1
.LBB114_976:
	s_or_b32 exec_lo, exec_lo, s0
	s_mov_b32 s0, exec_lo
	v_cmpx_ne_u32_e64 v248, v242
	s_xor_b32 s0, exec_lo, s0
	s_cbranch_execz .LBB114_982
; %bb.977:
	s_mov_b32 s1, exec_lo
	v_cmpx_eq_u32_e32 46, v248
	s_cbranch_execz .LBB114_981
; %bb.978:
	v_cmp_ne_u32_e32 vcc_lo, 46, v242
	s_xor_b32 s7, s16, -1
	s_and_b32 s9, s7, vcc_lo
	s_and_saveexec_b32 s7, s9
	s_cbranch_execz .LBB114_980
; %bb.979:
	s_clause 0x1
	buffer_load_dword v210, off, s[20:23], 0
	buffer_load_dword v211, off, s[20:23], 0 offset:4
	v_ashrrev_i32_e32 v243, 31, v242
	v_lshlrev_b64 v[214:215], 2, v[242:243]
	s_waitcnt vmcnt(1)
	v_add_co_u32 v214, vcc_lo, v210, v214
	s_waitcnt vmcnt(0)
	v_add_co_ci_u32_e64 v215, null, v211, v215, vcc_lo
	s_clause 0x1
	global_load_dword v0, v[214:215], off
	global_load_dword v216, v[210:211], off offset:184
	s_waitcnt vmcnt(1)
	global_store_dword v[210:211], v0, off offset:184
	s_waitcnt vmcnt(0)
	global_store_dword v[214:215], v216, off
.LBB114_980:
	s_or_b32 exec_lo, exec_lo, s7
	v_mov_b32_e32 v248, v242
	v_mov_b32_e32 v0, v242
.LBB114_981:
	s_or_b32 exec_lo, exec_lo, s1
.LBB114_982:
	s_andn2_saveexec_b32 s0, s0
	s_cbranch_execz .LBB114_984
; %bb.983:
	v_mov_b32_e32 v248, 46
	ds_write2_b64 v1, v[42:43], v[44:45] offset0:94 offset1:95
	ds_write2_b64 v1, v[38:39], v[40:41] offset0:96 offset1:97
	;; [unrolled: 1-line block ×11, first 2 shown]
.LBB114_984:
	s_or_b32 exec_lo, exec_lo, s0
	s_mov_b32 s0, exec_lo
	s_waitcnt lgkmcnt(0)
	s_waitcnt_vscnt null, 0x0
	s_barrier
	buffer_gl0_inv
	v_cmpx_lt_i32_e32 46, v248
	s_cbranch_execz .LBB114_986
; %bb.985:
	v_mul_f64 v[214:215], v[234:235], v[48:49]
	v_mul_f64 v[48:49], v[236:237], v[48:49]
	v_fma_f64 v[214:215], v[236:237], v[46:47], v[214:215]
	v_fma_f64 v[46:47], v[234:235], v[46:47], -v[48:49]
	ds_read2_b64 v[234:237], v1 offset0:94 offset1:95
	s_waitcnt lgkmcnt(0)
	v_mul_f64 v[48:49], v[236:237], v[214:215]
	v_mul_f64 v[216:217], v[234:235], v[214:215]
	v_fma_f64 v[48:49], v[234:235], v[46:47], -v[48:49]
	v_fma_f64 v[216:217], v[236:237], v[46:47], v[216:217]
	ds_read2_b64 v[234:237], v1 offset0:96 offset1:97
	v_add_f64 v[42:43], v[42:43], -v[48:49]
	v_add_f64 v[44:45], v[44:45], -v[216:217]
	s_waitcnt lgkmcnt(0)
	v_mul_f64 v[48:49], v[236:237], v[214:215]
	v_mul_f64 v[216:217], v[234:235], v[214:215]
	v_fma_f64 v[48:49], v[234:235], v[46:47], -v[48:49]
	v_fma_f64 v[216:217], v[236:237], v[46:47], v[216:217]
	ds_read2_b64 v[234:237], v1 offset0:98 offset1:99
	v_add_f64 v[38:39], v[38:39], -v[48:49]
	v_add_f64 v[40:41], v[40:41], -v[216:217]
	;; [unrolled: 8-line block ×10, first 2 shown]
	s_waitcnt lgkmcnt(0)
	v_mul_f64 v[48:49], v[236:237], v[214:215]
	v_mul_f64 v[216:217], v[234:235], v[214:215]
	v_fma_f64 v[48:49], v[234:235], v[46:47], -v[48:49]
	v_fma_f64 v[216:217], v[236:237], v[46:47], v[216:217]
	v_add_f64 v[226:227], v[226:227], -v[48:49]
	v_add_f64 v[228:229], v[228:229], -v[216:217]
	v_mov_b32_e32 v48, v214
	v_mov_b32_e32 v49, v215
.LBB114_986:
	s_or_b32 exec_lo, exec_lo, s0
	v_lshl_add_u32 v214, v248, 4, v1
	s_barrier
	buffer_gl0_inv
	v_mov_b32_e32 v242, 47
	ds_write2_b64 v214, v[42:43], v[44:45] offset1:1
	s_waitcnt lgkmcnt(0)
	s_barrier
	buffer_gl0_inv
	ds_read2_b64 v[234:237], v1 offset0:94 offset1:95
	s_cmp_lt_i32 s8, 49
	s_cbranch_scc1 .LBB114_989
; %bb.987:
	v_add3_u32 v243, v254, 0, 0x300
	v_mov_b32_e32 v242, 47
	s_mov_b32 s0, 48
	s_inst_prefetch 0x1
	.p2align	6
.LBB114_988:                            ; =>This Inner Loop Header: Depth=1
	s_waitcnt lgkmcnt(0)
	v_cmp_gt_f64_e32 vcc_lo, 0, v[234:235]
	v_xor_b32_e32 v214, 0x80000000, v235
	ds_read2_b64 v[249:252], v243 offset1:1
	v_xor_b32_e32 v216, 0x80000000, v237
	v_add_nc_u32_e32 v243, 16, v243
	s_waitcnt lgkmcnt(0)
	v_xor_b32_e32 v218, 0x80000000, v252
	v_cndmask_b32_e32 v215, v235, v214, vcc_lo
	v_cmp_gt_f64_e32 vcc_lo, 0, v[236:237]
	v_mov_b32_e32 v214, v234
	v_cndmask_b32_e32 v217, v237, v216, vcc_lo
	v_cmp_gt_f64_e32 vcc_lo, 0, v[249:250]
	v_mov_b32_e32 v216, v236
	v_add_f64 v[214:215], v[214:215], v[216:217]
	v_xor_b32_e32 v216, 0x80000000, v250
	v_cndmask_b32_e32 v217, v250, v216, vcc_lo
	v_cmp_gt_f64_e32 vcc_lo, 0, v[251:252]
	v_mov_b32_e32 v216, v249
	v_cndmask_b32_e32 v219, v252, v218, vcc_lo
	v_mov_b32_e32 v218, v251
	v_add_f64 v[216:217], v[216:217], v[218:219]
	v_cmp_lt_f64_e32 vcc_lo, v[214:215], v[216:217]
	v_cndmask_b32_e32 v235, v235, v250, vcc_lo
	v_cndmask_b32_e32 v234, v234, v249, vcc_lo
	;; [unrolled: 1-line block ×4, first 2 shown]
	v_cndmask_b32_e64 v242, v242, s0, vcc_lo
	s_add_i32 s0, s0, 1
	s_cmp_lg_u32 s8, s0
	s_cbranch_scc1 .LBB114_988
.LBB114_989:
	s_inst_prefetch 0x2
	s_waitcnt lgkmcnt(0)
	v_cmp_eq_f64_e32 vcc_lo, 0, v[234:235]
	v_cmp_eq_f64_e64 s0, 0, v[236:237]
	s_and_b32 s0, vcc_lo, s0
	s_and_saveexec_b32 s1, s0
	s_xor_b32 s0, exec_lo, s1
; %bb.990:
	v_cmp_ne_u32_e32 vcc_lo, 0, v247
	v_cndmask_b32_e32 v247, 48, v247, vcc_lo
; %bb.991:
	s_andn2_saveexec_b32 s0, s0
	s_cbranch_execz .LBB114_997
; %bb.992:
	v_cmp_ngt_f64_e64 s1, |v[234:235]|, |v[236:237]|
	s_and_saveexec_b32 s7, s1
	s_xor_b32 s1, exec_lo, s7
	s_cbranch_execz .LBB114_994
; %bb.993:
	v_div_scale_f64 v[214:215], null, v[236:237], v[236:237], v[234:235]
	v_div_scale_f64 v[220:221], vcc_lo, v[234:235], v[236:237], v[234:235]
	v_rcp_f64_e32 v[216:217], v[214:215]
	v_fma_f64 v[218:219], -v[214:215], v[216:217], 1.0
	v_fma_f64 v[216:217], v[216:217], v[218:219], v[216:217]
	v_fma_f64 v[218:219], -v[214:215], v[216:217], 1.0
	v_fma_f64 v[216:217], v[216:217], v[218:219], v[216:217]
	v_mul_f64 v[218:219], v[220:221], v[216:217]
	v_fma_f64 v[214:215], -v[214:215], v[218:219], v[220:221]
	v_div_fmas_f64 v[214:215], v[214:215], v[216:217], v[218:219]
	v_div_fixup_f64 v[214:215], v[214:215], v[236:237], v[234:235]
	v_fma_f64 v[216:217], v[234:235], v[214:215], v[236:237]
	v_div_scale_f64 v[218:219], null, v[216:217], v[216:217], 1.0
	v_rcp_f64_e32 v[220:221], v[218:219]
	v_fma_f64 v[222:223], -v[218:219], v[220:221], 1.0
	v_fma_f64 v[220:221], v[220:221], v[222:223], v[220:221]
	v_fma_f64 v[222:223], -v[218:219], v[220:221], 1.0
	v_fma_f64 v[220:221], v[220:221], v[222:223], v[220:221]
	v_div_scale_f64 v[222:223], vcc_lo, 1.0, v[216:217], 1.0
	v_mul_f64 v[224:225], v[222:223], v[220:221]
	v_fma_f64 v[218:219], -v[218:219], v[224:225], v[222:223]
	v_div_fmas_f64 v[218:219], v[218:219], v[220:221], v[224:225]
	v_div_fixup_f64 v[236:237], v[218:219], v[216:217], 1.0
	v_mul_f64 v[234:235], v[214:215], v[236:237]
	v_xor_b32_e32 v237, 0x80000000, v237
.LBB114_994:
	s_andn2_saveexec_b32 s1, s1
	s_cbranch_execz .LBB114_996
; %bb.995:
	v_div_scale_f64 v[214:215], null, v[234:235], v[234:235], v[236:237]
	v_div_scale_f64 v[220:221], vcc_lo, v[236:237], v[234:235], v[236:237]
	v_rcp_f64_e32 v[216:217], v[214:215]
	v_fma_f64 v[218:219], -v[214:215], v[216:217], 1.0
	v_fma_f64 v[216:217], v[216:217], v[218:219], v[216:217]
	v_fma_f64 v[218:219], -v[214:215], v[216:217], 1.0
	v_fma_f64 v[216:217], v[216:217], v[218:219], v[216:217]
	v_mul_f64 v[218:219], v[220:221], v[216:217]
	v_fma_f64 v[214:215], -v[214:215], v[218:219], v[220:221]
	v_div_fmas_f64 v[214:215], v[214:215], v[216:217], v[218:219]
	v_div_fixup_f64 v[214:215], v[214:215], v[234:235], v[236:237]
	v_fma_f64 v[216:217], v[236:237], v[214:215], v[234:235]
	v_div_scale_f64 v[218:219], null, v[216:217], v[216:217], 1.0
	v_rcp_f64_e32 v[220:221], v[218:219]
	v_fma_f64 v[222:223], -v[218:219], v[220:221], 1.0
	v_fma_f64 v[220:221], v[220:221], v[222:223], v[220:221]
	v_fma_f64 v[222:223], -v[218:219], v[220:221], 1.0
	v_fma_f64 v[220:221], v[220:221], v[222:223], v[220:221]
	v_div_scale_f64 v[222:223], vcc_lo, 1.0, v[216:217], 1.0
	v_mul_f64 v[224:225], v[222:223], v[220:221]
	v_fma_f64 v[218:219], -v[218:219], v[224:225], v[222:223]
	v_div_fmas_f64 v[218:219], v[218:219], v[220:221], v[224:225]
	v_div_fixup_f64 v[234:235], v[218:219], v[216:217], 1.0
	v_mul_f64 v[236:237], v[214:215], -v[234:235]
.LBB114_996:
	s_or_b32 exec_lo, exec_lo, s1
.LBB114_997:
	s_or_b32 exec_lo, exec_lo, s0
	s_mov_b32 s0, exec_lo
	v_cmpx_ne_u32_e64 v248, v242
	s_xor_b32 s0, exec_lo, s0
	s_cbranch_execz .LBB114_1003
; %bb.998:
	s_mov_b32 s1, exec_lo
	v_cmpx_eq_u32_e32 47, v248
	s_cbranch_execz .LBB114_1002
; %bb.999:
	v_cmp_ne_u32_e32 vcc_lo, 47, v242
	s_xor_b32 s7, s16, -1
	s_and_b32 s9, s7, vcc_lo
	s_and_saveexec_b32 s7, s9
	s_cbranch_execz .LBB114_1001
; %bb.1000:
	s_clause 0x1
	buffer_load_dword v210, off, s[20:23], 0
	buffer_load_dword v211, off, s[20:23], 0 offset:4
	v_ashrrev_i32_e32 v243, 31, v242
	v_lshlrev_b64 v[214:215], 2, v[242:243]
	s_waitcnt vmcnt(1)
	v_add_co_u32 v214, vcc_lo, v210, v214
	s_waitcnt vmcnt(0)
	v_add_co_ci_u32_e64 v215, null, v211, v215, vcc_lo
	s_clause 0x1
	global_load_dword v0, v[214:215], off
	global_load_dword v216, v[210:211], off offset:188
	s_waitcnt vmcnt(1)
	global_store_dword v[210:211], v0, off offset:188
	s_waitcnt vmcnt(0)
	global_store_dword v[214:215], v216, off
.LBB114_1001:
	s_or_b32 exec_lo, exec_lo, s7
	v_mov_b32_e32 v248, v242
	v_mov_b32_e32 v0, v242
.LBB114_1002:
	s_or_b32 exec_lo, exec_lo, s1
.LBB114_1003:
	s_andn2_saveexec_b32 s0, s0
	s_cbranch_execz .LBB114_1005
; %bb.1004:
	v_mov_b32_e32 v248, 47
	ds_write2_b64 v1, v[38:39], v[40:41] offset0:96 offset1:97
	ds_write2_b64 v1, v[34:35], v[36:37] offset0:98 offset1:99
	;; [unrolled: 1-line block ×10, first 2 shown]
.LBB114_1005:
	s_or_b32 exec_lo, exec_lo, s0
	s_mov_b32 s0, exec_lo
	s_waitcnt lgkmcnt(0)
	s_waitcnt_vscnt null, 0x0
	s_barrier
	buffer_gl0_inv
	v_cmpx_lt_i32_e32 47, v248
	s_cbranch_execz .LBB114_1007
; %bb.1006:
	v_mul_f64 v[214:215], v[234:235], v[44:45]
	v_mul_f64 v[44:45], v[236:237], v[44:45]
	v_fma_f64 v[214:215], v[236:237], v[42:43], v[214:215]
	v_fma_f64 v[42:43], v[234:235], v[42:43], -v[44:45]
	ds_read2_b64 v[234:237], v1 offset0:96 offset1:97
	s_waitcnt lgkmcnt(0)
	v_mul_f64 v[44:45], v[236:237], v[214:215]
	v_mul_f64 v[216:217], v[234:235], v[214:215]
	v_fma_f64 v[44:45], v[234:235], v[42:43], -v[44:45]
	v_fma_f64 v[216:217], v[236:237], v[42:43], v[216:217]
	ds_read2_b64 v[234:237], v1 offset0:98 offset1:99
	v_add_f64 v[38:39], v[38:39], -v[44:45]
	v_add_f64 v[40:41], v[40:41], -v[216:217]
	s_waitcnt lgkmcnt(0)
	v_mul_f64 v[44:45], v[236:237], v[214:215]
	v_mul_f64 v[216:217], v[234:235], v[214:215]
	v_fma_f64 v[44:45], v[234:235], v[42:43], -v[44:45]
	v_fma_f64 v[216:217], v[236:237], v[42:43], v[216:217]
	ds_read2_b64 v[234:237], v1 offset0:100 offset1:101
	v_add_f64 v[34:35], v[34:35], -v[44:45]
	v_add_f64 v[36:37], v[36:37], -v[216:217]
	;; [unrolled: 8-line block ×9, first 2 shown]
	s_waitcnt lgkmcnt(0)
	v_mul_f64 v[44:45], v[236:237], v[214:215]
	v_mul_f64 v[216:217], v[234:235], v[214:215]
	v_fma_f64 v[44:45], v[234:235], v[42:43], -v[44:45]
	v_fma_f64 v[216:217], v[236:237], v[42:43], v[216:217]
	v_add_f64 v[226:227], v[226:227], -v[44:45]
	v_add_f64 v[228:229], v[228:229], -v[216:217]
	v_mov_b32_e32 v44, v214
	v_mov_b32_e32 v45, v215
.LBB114_1007:
	s_or_b32 exec_lo, exec_lo, s0
	v_lshl_add_u32 v214, v248, 4, v1
	s_barrier
	buffer_gl0_inv
	v_mov_b32_e32 v242, 48
	ds_write2_b64 v214, v[38:39], v[40:41] offset1:1
	s_waitcnt lgkmcnt(0)
	s_barrier
	buffer_gl0_inv
	ds_read2_b64 v[234:237], v1 offset0:96 offset1:97
	s_cmp_lt_i32 s8, 50
	s_cbranch_scc1 .LBB114_1010
; %bb.1008:
	v_add3_u32 v243, v254, 0, 0x310
	v_mov_b32_e32 v242, 48
	s_mov_b32 s0, 49
	s_inst_prefetch 0x1
	.p2align	6
.LBB114_1009:                           ; =>This Inner Loop Header: Depth=1
	s_waitcnt lgkmcnt(0)
	v_cmp_gt_f64_e32 vcc_lo, 0, v[234:235]
	v_xor_b32_e32 v214, 0x80000000, v235
	ds_read2_b64 v[249:252], v243 offset1:1
	v_xor_b32_e32 v216, 0x80000000, v237
	v_add_nc_u32_e32 v243, 16, v243
	s_waitcnt lgkmcnt(0)
	v_xor_b32_e32 v218, 0x80000000, v252
	v_cndmask_b32_e32 v215, v235, v214, vcc_lo
	v_cmp_gt_f64_e32 vcc_lo, 0, v[236:237]
	v_mov_b32_e32 v214, v234
	v_cndmask_b32_e32 v217, v237, v216, vcc_lo
	v_cmp_gt_f64_e32 vcc_lo, 0, v[249:250]
	v_mov_b32_e32 v216, v236
	v_add_f64 v[214:215], v[214:215], v[216:217]
	v_xor_b32_e32 v216, 0x80000000, v250
	v_cndmask_b32_e32 v217, v250, v216, vcc_lo
	v_cmp_gt_f64_e32 vcc_lo, 0, v[251:252]
	v_mov_b32_e32 v216, v249
	v_cndmask_b32_e32 v219, v252, v218, vcc_lo
	v_mov_b32_e32 v218, v251
	v_add_f64 v[216:217], v[216:217], v[218:219]
	v_cmp_lt_f64_e32 vcc_lo, v[214:215], v[216:217]
	v_cndmask_b32_e32 v235, v235, v250, vcc_lo
	v_cndmask_b32_e32 v234, v234, v249, vcc_lo
	;; [unrolled: 1-line block ×4, first 2 shown]
	v_cndmask_b32_e64 v242, v242, s0, vcc_lo
	s_add_i32 s0, s0, 1
	s_cmp_lg_u32 s8, s0
	s_cbranch_scc1 .LBB114_1009
.LBB114_1010:
	s_inst_prefetch 0x2
	s_waitcnt lgkmcnt(0)
	v_cmp_eq_f64_e32 vcc_lo, 0, v[234:235]
	v_cmp_eq_f64_e64 s0, 0, v[236:237]
	s_and_b32 s0, vcc_lo, s0
	s_and_saveexec_b32 s1, s0
	s_xor_b32 s0, exec_lo, s1
; %bb.1011:
	v_cmp_ne_u32_e32 vcc_lo, 0, v247
	v_cndmask_b32_e32 v247, 49, v247, vcc_lo
; %bb.1012:
	s_andn2_saveexec_b32 s0, s0
	s_cbranch_execz .LBB114_1018
; %bb.1013:
	v_cmp_ngt_f64_e64 s1, |v[234:235]|, |v[236:237]|
	s_and_saveexec_b32 s7, s1
	s_xor_b32 s1, exec_lo, s7
	s_cbranch_execz .LBB114_1015
; %bb.1014:
	v_div_scale_f64 v[214:215], null, v[236:237], v[236:237], v[234:235]
	v_div_scale_f64 v[220:221], vcc_lo, v[234:235], v[236:237], v[234:235]
	v_rcp_f64_e32 v[216:217], v[214:215]
	v_fma_f64 v[218:219], -v[214:215], v[216:217], 1.0
	v_fma_f64 v[216:217], v[216:217], v[218:219], v[216:217]
	v_fma_f64 v[218:219], -v[214:215], v[216:217], 1.0
	v_fma_f64 v[216:217], v[216:217], v[218:219], v[216:217]
	v_mul_f64 v[218:219], v[220:221], v[216:217]
	v_fma_f64 v[214:215], -v[214:215], v[218:219], v[220:221]
	v_div_fmas_f64 v[214:215], v[214:215], v[216:217], v[218:219]
	v_div_fixup_f64 v[214:215], v[214:215], v[236:237], v[234:235]
	v_fma_f64 v[216:217], v[234:235], v[214:215], v[236:237]
	v_div_scale_f64 v[218:219], null, v[216:217], v[216:217], 1.0
	v_rcp_f64_e32 v[220:221], v[218:219]
	v_fma_f64 v[222:223], -v[218:219], v[220:221], 1.0
	v_fma_f64 v[220:221], v[220:221], v[222:223], v[220:221]
	v_fma_f64 v[222:223], -v[218:219], v[220:221], 1.0
	v_fma_f64 v[220:221], v[220:221], v[222:223], v[220:221]
	v_div_scale_f64 v[222:223], vcc_lo, 1.0, v[216:217], 1.0
	v_mul_f64 v[224:225], v[222:223], v[220:221]
	v_fma_f64 v[218:219], -v[218:219], v[224:225], v[222:223]
	v_div_fmas_f64 v[218:219], v[218:219], v[220:221], v[224:225]
	v_div_fixup_f64 v[236:237], v[218:219], v[216:217], 1.0
	v_mul_f64 v[234:235], v[214:215], v[236:237]
	v_xor_b32_e32 v237, 0x80000000, v237
.LBB114_1015:
	s_andn2_saveexec_b32 s1, s1
	s_cbranch_execz .LBB114_1017
; %bb.1016:
	v_div_scale_f64 v[214:215], null, v[234:235], v[234:235], v[236:237]
	v_div_scale_f64 v[220:221], vcc_lo, v[236:237], v[234:235], v[236:237]
	v_rcp_f64_e32 v[216:217], v[214:215]
	v_fma_f64 v[218:219], -v[214:215], v[216:217], 1.0
	v_fma_f64 v[216:217], v[216:217], v[218:219], v[216:217]
	v_fma_f64 v[218:219], -v[214:215], v[216:217], 1.0
	v_fma_f64 v[216:217], v[216:217], v[218:219], v[216:217]
	v_mul_f64 v[218:219], v[220:221], v[216:217]
	v_fma_f64 v[214:215], -v[214:215], v[218:219], v[220:221]
	v_div_fmas_f64 v[214:215], v[214:215], v[216:217], v[218:219]
	v_div_fixup_f64 v[214:215], v[214:215], v[234:235], v[236:237]
	v_fma_f64 v[216:217], v[236:237], v[214:215], v[234:235]
	v_div_scale_f64 v[218:219], null, v[216:217], v[216:217], 1.0
	v_rcp_f64_e32 v[220:221], v[218:219]
	v_fma_f64 v[222:223], -v[218:219], v[220:221], 1.0
	v_fma_f64 v[220:221], v[220:221], v[222:223], v[220:221]
	v_fma_f64 v[222:223], -v[218:219], v[220:221], 1.0
	v_fma_f64 v[220:221], v[220:221], v[222:223], v[220:221]
	v_div_scale_f64 v[222:223], vcc_lo, 1.0, v[216:217], 1.0
	v_mul_f64 v[224:225], v[222:223], v[220:221]
	v_fma_f64 v[218:219], -v[218:219], v[224:225], v[222:223]
	v_div_fmas_f64 v[218:219], v[218:219], v[220:221], v[224:225]
	v_div_fixup_f64 v[234:235], v[218:219], v[216:217], 1.0
	v_mul_f64 v[236:237], v[214:215], -v[234:235]
.LBB114_1017:
	s_or_b32 exec_lo, exec_lo, s1
.LBB114_1018:
	s_or_b32 exec_lo, exec_lo, s0
	s_mov_b32 s0, exec_lo
	v_cmpx_ne_u32_e64 v248, v242
	s_xor_b32 s0, exec_lo, s0
	s_cbranch_execz .LBB114_1024
; %bb.1019:
	s_mov_b32 s1, exec_lo
	v_cmpx_eq_u32_e32 48, v248
	s_cbranch_execz .LBB114_1023
; %bb.1020:
	v_cmp_ne_u32_e32 vcc_lo, 48, v242
	s_xor_b32 s7, s16, -1
	s_and_b32 s9, s7, vcc_lo
	s_and_saveexec_b32 s7, s9
	s_cbranch_execz .LBB114_1022
; %bb.1021:
	s_clause 0x1
	buffer_load_dword v210, off, s[20:23], 0
	buffer_load_dword v211, off, s[20:23], 0 offset:4
	v_ashrrev_i32_e32 v243, 31, v242
	v_lshlrev_b64 v[214:215], 2, v[242:243]
	s_waitcnt vmcnt(1)
	v_add_co_u32 v214, vcc_lo, v210, v214
	s_waitcnt vmcnt(0)
	v_add_co_ci_u32_e64 v215, null, v211, v215, vcc_lo
	s_clause 0x1
	global_load_dword v0, v[214:215], off
	global_load_dword v216, v[210:211], off offset:192
	s_waitcnt vmcnt(1)
	global_store_dword v[210:211], v0, off offset:192
	s_waitcnt vmcnt(0)
	global_store_dword v[214:215], v216, off
.LBB114_1022:
	s_or_b32 exec_lo, exec_lo, s7
	v_mov_b32_e32 v248, v242
	v_mov_b32_e32 v0, v242
.LBB114_1023:
	s_or_b32 exec_lo, exec_lo, s1
.LBB114_1024:
	s_andn2_saveexec_b32 s0, s0
	s_cbranch_execz .LBB114_1026
; %bb.1025:
	v_mov_b32_e32 v248, 48
	ds_write2_b64 v1, v[34:35], v[36:37] offset0:98 offset1:99
	ds_write2_b64 v1, v[30:31], v[32:33] offset0:100 offset1:101
	;; [unrolled: 1-line block ×9, first 2 shown]
.LBB114_1026:
	s_or_b32 exec_lo, exec_lo, s0
	s_mov_b32 s0, exec_lo
	s_waitcnt lgkmcnt(0)
	s_waitcnt_vscnt null, 0x0
	s_barrier
	buffer_gl0_inv
	v_cmpx_lt_i32_e32 48, v248
	s_cbranch_execz .LBB114_1028
; %bb.1027:
	v_mul_f64 v[214:215], v[234:235], v[40:41]
	v_mul_f64 v[40:41], v[236:237], v[40:41]
	v_fma_f64 v[214:215], v[236:237], v[38:39], v[214:215]
	v_fma_f64 v[38:39], v[234:235], v[38:39], -v[40:41]
	ds_read2_b64 v[234:237], v1 offset0:98 offset1:99
	s_waitcnt lgkmcnt(0)
	v_mul_f64 v[40:41], v[236:237], v[214:215]
	v_mul_f64 v[216:217], v[234:235], v[214:215]
	v_fma_f64 v[40:41], v[234:235], v[38:39], -v[40:41]
	v_fma_f64 v[216:217], v[236:237], v[38:39], v[216:217]
	ds_read2_b64 v[234:237], v1 offset0:100 offset1:101
	v_add_f64 v[34:35], v[34:35], -v[40:41]
	v_add_f64 v[36:37], v[36:37], -v[216:217]
	s_waitcnt lgkmcnt(0)
	v_mul_f64 v[40:41], v[236:237], v[214:215]
	v_mul_f64 v[216:217], v[234:235], v[214:215]
	v_fma_f64 v[40:41], v[234:235], v[38:39], -v[40:41]
	v_fma_f64 v[216:217], v[236:237], v[38:39], v[216:217]
	ds_read2_b64 v[234:237], v1 offset0:102 offset1:103
	v_add_f64 v[30:31], v[30:31], -v[40:41]
	v_add_f64 v[32:33], v[32:33], -v[216:217]
	;; [unrolled: 8-line block ×8, first 2 shown]
	s_waitcnt lgkmcnt(0)
	v_mul_f64 v[40:41], v[236:237], v[214:215]
	v_mul_f64 v[216:217], v[234:235], v[214:215]
	v_fma_f64 v[40:41], v[234:235], v[38:39], -v[40:41]
	v_fma_f64 v[216:217], v[236:237], v[38:39], v[216:217]
	v_add_f64 v[226:227], v[226:227], -v[40:41]
	v_add_f64 v[228:229], v[228:229], -v[216:217]
	v_mov_b32_e32 v40, v214
	v_mov_b32_e32 v41, v215
.LBB114_1028:
	s_or_b32 exec_lo, exec_lo, s0
	v_lshl_add_u32 v214, v248, 4, v1
	s_barrier
	buffer_gl0_inv
	v_mov_b32_e32 v242, 49
	ds_write2_b64 v214, v[34:35], v[36:37] offset1:1
	s_waitcnt lgkmcnt(0)
	s_barrier
	buffer_gl0_inv
	ds_read2_b64 v[234:237], v1 offset0:98 offset1:99
	s_cmp_lt_i32 s8, 51
	s_cbranch_scc1 .LBB114_1031
; %bb.1029:
	v_add3_u32 v243, v254, 0, 0x320
	v_mov_b32_e32 v242, 49
	s_mov_b32 s0, 50
	s_inst_prefetch 0x1
	.p2align	6
.LBB114_1030:                           ; =>This Inner Loop Header: Depth=1
	s_waitcnt lgkmcnt(0)
	v_cmp_gt_f64_e32 vcc_lo, 0, v[234:235]
	v_xor_b32_e32 v214, 0x80000000, v235
	ds_read2_b64 v[249:252], v243 offset1:1
	v_xor_b32_e32 v216, 0x80000000, v237
	v_add_nc_u32_e32 v243, 16, v243
	s_waitcnt lgkmcnt(0)
	v_xor_b32_e32 v218, 0x80000000, v252
	v_cndmask_b32_e32 v215, v235, v214, vcc_lo
	v_cmp_gt_f64_e32 vcc_lo, 0, v[236:237]
	v_mov_b32_e32 v214, v234
	v_cndmask_b32_e32 v217, v237, v216, vcc_lo
	v_cmp_gt_f64_e32 vcc_lo, 0, v[249:250]
	v_mov_b32_e32 v216, v236
	v_add_f64 v[214:215], v[214:215], v[216:217]
	v_xor_b32_e32 v216, 0x80000000, v250
	v_cndmask_b32_e32 v217, v250, v216, vcc_lo
	v_cmp_gt_f64_e32 vcc_lo, 0, v[251:252]
	v_mov_b32_e32 v216, v249
	v_cndmask_b32_e32 v219, v252, v218, vcc_lo
	v_mov_b32_e32 v218, v251
	v_add_f64 v[216:217], v[216:217], v[218:219]
	v_cmp_lt_f64_e32 vcc_lo, v[214:215], v[216:217]
	v_cndmask_b32_e32 v235, v235, v250, vcc_lo
	v_cndmask_b32_e32 v234, v234, v249, vcc_lo
	;; [unrolled: 1-line block ×4, first 2 shown]
	v_cndmask_b32_e64 v242, v242, s0, vcc_lo
	s_add_i32 s0, s0, 1
	s_cmp_lg_u32 s8, s0
	s_cbranch_scc1 .LBB114_1030
.LBB114_1031:
	s_inst_prefetch 0x2
	s_waitcnt lgkmcnt(0)
	v_cmp_eq_f64_e32 vcc_lo, 0, v[234:235]
	v_cmp_eq_f64_e64 s0, 0, v[236:237]
	s_and_b32 s0, vcc_lo, s0
	s_and_saveexec_b32 s1, s0
	s_xor_b32 s0, exec_lo, s1
; %bb.1032:
	v_cmp_ne_u32_e32 vcc_lo, 0, v247
	v_cndmask_b32_e32 v247, 50, v247, vcc_lo
; %bb.1033:
	s_andn2_saveexec_b32 s0, s0
	s_cbranch_execz .LBB114_1039
; %bb.1034:
	v_cmp_ngt_f64_e64 s1, |v[234:235]|, |v[236:237]|
	s_and_saveexec_b32 s7, s1
	s_xor_b32 s1, exec_lo, s7
	s_cbranch_execz .LBB114_1036
; %bb.1035:
	v_div_scale_f64 v[214:215], null, v[236:237], v[236:237], v[234:235]
	v_div_scale_f64 v[220:221], vcc_lo, v[234:235], v[236:237], v[234:235]
	v_rcp_f64_e32 v[216:217], v[214:215]
	v_fma_f64 v[218:219], -v[214:215], v[216:217], 1.0
	v_fma_f64 v[216:217], v[216:217], v[218:219], v[216:217]
	v_fma_f64 v[218:219], -v[214:215], v[216:217], 1.0
	v_fma_f64 v[216:217], v[216:217], v[218:219], v[216:217]
	v_mul_f64 v[218:219], v[220:221], v[216:217]
	v_fma_f64 v[214:215], -v[214:215], v[218:219], v[220:221]
	v_div_fmas_f64 v[214:215], v[214:215], v[216:217], v[218:219]
	v_div_fixup_f64 v[214:215], v[214:215], v[236:237], v[234:235]
	v_fma_f64 v[216:217], v[234:235], v[214:215], v[236:237]
	v_div_scale_f64 v[218:219], null, v[216:217], v[216:217], 1.0
	v_rcp_f64_e32 v[220:221], v[218:219]
	v_fma_f64 v[222:223], -v[218:219], v[220:221], 1.0
	v_fma_f64 v[220:221], v[220:221], v[222:223], v[220:221]
	v_fma_f64 v[222:223], -v[218:219], v[220:221], 1.0
	v_fma_f64 v[220:221], v[220:221], v[222:223], v[220:221]
	v_div_scale_f64 v[222:223], vcc_lo, 1.0, v[216:217], 1.0
	v_mul_f64 v[224:225], v[222:223], v[220:221]
	v_fma_f64 v[218:219], -v[218:219], v[224:225], v[222:223]
	v_div_fmas_f64 v[218:219], v[218:219], v[220:221], v[224:225]
	v_div_fixup_f64 v[236:237], v[218:219], v[216:217], 1.0
	v_mul_f64 v[234:235], v[214:215], v[236:237]
	v_xor_b32_e32 v237, 0x80000000, v237
.LBB114_1036:
	s_andn2_saveexec_b32 s1, s1
	s_cbranch_execz .LBB114_1038
; %bb.1037:
	v_div_scale_f64 v[214:215], null, v[234:235], v[234:235], v[236:237]
	v_div_scale_f64 v[220:221], vcc_lo, v[236:237], v[234:235], v[236:237]
	v_rcp_f64_e32 v[216:217], v[214:215]
	v_fma_f64 v[218:219], -v[214:215], v[216:217], 1.0
	v_fma_f64 v[216:217], v[216:217], v[218:219], v[216:217]
	v_fma_f64 v[218:219], -v[214:215], v[216:217], 1.0
	v_fma_f64 v[216:217], v[216:217], v[218:219], v[216:217]
	v_mul_f64 v[218:219], v[220:221], v[216:217]
	v_fma_f64 v[214:215], -v[214:215], v[218:219], v[220:221]
	v_div_fmas_f64 v[214:215], v[214:215], v[216:217], v[218:219]
	v_div_fixup_f64 v[214:215], v[214:215], v[234:235], v[236:237]
	v_fma_f64 v[216:217], v[236:237], v[214:215], v[234:235]
	v_div_scale_f64 v[218:219], null, v[216:217], v[216:217], 1.0
	v_rcp_f64_e32 v[220:221], v[218:219]
	v_fma_f64 v[222:223], -v[218:219], v[220:221], 1.0
	v_fma_f64 v[220:221], v[220:221], v[222:223], v[220:221]
	v_fma_f64 v[222:223], -v[218:219], v[220:221], 1.0
	v_fma_f64 v[220:221], v[220:221], v[222:223], v[220:221]
	v_div_scale_f64 v[222:223], vcc_lo, 1.0, v[216:217], 1.0
	v_mul_f64 v[224:225], v[222:223], v[220:221]
	v_fma_f64 v[218:219], -v[218:219], v[224:225], v[222:223]
	v_div_fmas_f64 v[218:219], v[218:219], v[220:221], v[224:225]
	v_div_fixup_f64 v[234:235], v[218:219], v[216:217], 1.0
	v_mul_f64 v[236:237], v[214:215], -v[234:235]
.LBB114_1038:
	s_or_b32 exec_lo, exec_lo, s1
.LBB114_1039:
	s_or_b32 exec_lo, exec_lo, s0
	s_mov_b32 s0, exec_lo
	v_cmpx_ne_u32_e64 v248, v242
	s_xor_b32 s0, exec_lo, s0
	s_cbranch_execz .LBB114_1045
; %bb.1040:
	s_mov_b32 s1, exec_lo
	v_cmpx_eq_u32_e32 49, v248
	s_cbranch_execz .LBB114_1044
; %bb.1041:
	v_cmp_ne_u32_e32 vcc_lo, 49, v242
	s_xor_b32 s7, s16, -1
	s_and_b32 s9, s7, vcc_lo
	s_and_saveexec_b32 s7, s9
	s_cbranch_execz .LBB114_1043
; %bb.1042:
	s_clause 0x1
	buffer_load_dword v210, off, s[20:23], 0
	buffer_load_dword v211, off, s[20:23], 0 offset:4
	v_ashrrev_i32_e32 v243, 31, v242
	v_lshlrev_b64 v[214:215], 2, v[242:243]
	s_waitcnt vmcnt(1)
	v_add_co_u32 v214, vcc_lo, v210, v214
	s_waitcnt vmcnt(0)
	v_add_co_ci_u32_e64 v215, null, v211, v215, vcc_lo
	s_clause 0x1
	global_load_dword v0, v[214:215], off
	global_load_dword v216, v[210:211], off offset:196
	s_waitcnt vmcnt(1)
	global_store_dword v[210:211], v0, off offset:196
	s_waitcnt vmcnt(0)
	global_store_dword v[214:215], v216, off
.LBB114_1043:
	s_or_b32 exec_lo, exec_lo, s7
	v_mov_b32_e32 v248, v242
	v_mov_b32_e32 v0, v242
.LBB114_1044:
	s_or_b32 exec_lo, exec_lo, s1
.LBB114_1045:
	s_andn2_saveexec_b32 s0, s0
	s_cbranch_execz .LBB114_1047
; %bb.1046:
	v_mov_b32_e32 v248, 49
	ds_write2_b64 v1, v[30:31], v[32:33] offset0:100 offset1:101
	ds_write2_b64 v1, v[26:27], v[28:29] offset0:102 offset1:103
	ds_write2_b64 v1, v[22:23], v[24:25] offset0:104 offset1:105
	ds_write2_b64 v1, v[18:19], v[20:21] offset0:106 offset1:107
	ds_write2_b64 v1, v[14:15], v[16:17] offset0:108 offset1:109
	ds_write2_b64 v1, v[10:11], v[12:13] offset0:110 offset1:111
	ds_write2_b64 v1, v[238:239], v[240:241] offset0:112 offset1:113
	ds_write2_b64 v1, v[226:227], v[228:229] offset0:114 offset1:115
.LBB114_1047:
	s_or_b32 exec_lo, exec_lo, s0
	s_mov_b32 s0, exec_lo
	s_waitcnt lgkmcnt(0)
	s_waitcnt_vscnt null, 0x0
	s_barrier
	buffer_gl0_inv
	v_cmpx_lt_i32_e32 49, v248
	s_cbranch_execz .LBB114_1049
; %bb.1048:
	v_mul_f64 v[214:215], v[234:235], v[36:37]
	v_mul_f64 v[36:37], v[236:237], v[36:37]
	v_fma_f64 v[214:215], v[236:237], v[34:35], v[214:215]
	v_fma_f64 v[34:35], v[234:235], v[34:35], -v[36:37]
	ds_read2_b64 v[234:237], v1 offset0:100 offset1:101
	s_waitcnt lgkmcnt(0)
	v_mul_f64 v[36:37], v[236:237], v[214:215]
	v_mul_f64 v[216:217], v[234:235], v[214:215]
	v_fma_f64 v[36:37], v[234:235], v[34:35], -v[36:37]
	v_fma_f64 v[216:217], v[236:237], v[34:35], v[216:217]
	ds_read2_b64 v[234:237], v1 offset0:102 offset1:103
	v_add_f64 v[30:31], v[30:31], -v[36:37]
	v_add_f64 v[32:33], v[32:33], -v[216:217]
	s_waitcnt lgkmcnt(0)
	v_mul_f64 v[36:37], v[236:237], v[214:215]
	v_mul_f64 v[216:217], v[234:235], v[214:215]
	v_fma_f64 v[36:37], v[234:235], v[34:35], -v[36:37]
	v_fma_f64 v[216:217], v[236:237], v[34:35], v[216:217]
	ds_read2_b64 v[234:237], v1 offset0:104 offset1:105
	v_add_f64 v[26:27], v[26:27], -v[36:37]
	v_add_f64 v[28:29], v[28:29], -v[216:217]
	;; [unrolled: 8-line block ×7, first 2 shown]
	s_waitcnt lgkmcnt(0)
	v_mul_f64 v[36:37], v[236:237], v[214:215]
	v_mul_f64 v[216:217], v[234:235], v[214:215]
	v_fma_f64 v[36:37], v[234:235], v[34:35], -v[36:37]
	v_fma_f64 v[216:217], v[236:237], v[34:35], v[216:217]
	v_add_f64 v[226:227], v[226:227], -v[36:37]
	v_add_f64 v[228:229], v[228:229], -v[216:217]
	v_mov_b32_e32 v36, v214
	v_mov_b32_e32 v37, v215
.LBB114_1049:
	s_or_b32 exec_lo, exec_lo, s0
	v_lshl_add_u32 v214, v248, 4, v1
	s_barrier
	buffer_gl0_inv
	v_mov_b32_e32 v242, 50
	ds_write2_b64 v214, v[30:31], v[32:33] offset1:1
	s_waitcnt lgkmcnt(0)
	s_barrier
	buffer_gl0_inv
	ds_read2_b64 v[234:237], v1 offset0:100 offset1:101
	s_cmp_lt_i32 s8, 52
	s_cbranch_scc1 .LBB114_1052
; %bb.1050:
	v_add3_u32 v243, v254, 0, 0x330
	v_mov_b32_e32 v242, 50
	s_mov_b32 s0, 51
	s_inst_prefetch 0x1
	.p2align	6
.LBB114_1051:                           ; =>This Inner Loop Header: Depth=1
	s_waitcnt lgkmcnt(0)
	v_cmp_gt_f64_e32 vcc_lo, 0, v[234:235]
	v_xor_b32_e32 v214, 0x80000000, v235
	ds_read2_b64 v[249:252], v243 offset1:1
	v_xor_b32_e32 v216, 0x80000000, v237
	v_add_nc_u32_e32 v243, 16, v243
	s_waitcnt lgkmcnt(0)
	v_xor_b32_e32 v218, 0x80000000, v252
	v_cndmask_b32_e32 v215, v235, v214, vcc_lo
	v_cmp_gt_f64_e32 vcc_lo, 0, v[236:237]
	v_mov_b32_e32 v214, v234
	v_cndmask_b32_e32 v217, v237, v216, vcc_lo
	v_cmp_gt_f64_e32 vcc_lo, 0, v[249:250]
	v_mov_b32_e32 v216, v236
	v_add_f64 v[214:215], v[214:215], v[216:217]
	v_xor_b32_e32 v216, 0x80000000, v250
	v_cndmask_b32_e32 v217, v250, v216, vcc_lo
	v_cmp_gt_f64_e32 vcc_lo, 0, v[251:252]
	v_mov_b32_e32 v216, v249
	v_cndmask_b32_e32 v219, v252, v218, vcc_lo
	v_mov_b32_e32 v218, v251
	v_add_f64 v[216:217], v[216:217], v[218:219]
	v_cmp_lt_f64_e32 vcc_lo, v[214:215], v[216:217]
	v_cndmask_b32_e32 v235, v235, v250, vcc_lo
	v_cndmask_b32_e32 v234, v234, v249, vcc_lo
	;; [unrolled: 1-line block ×4, first 2 shown]
	v_cndmask_b32_e64 v242, v242, s0, vcc_lo
	s_add_i32 s0, s0, 1
	s_cmp_lg_u32 s8, s0
	s_cbranch_scc1 .LBB114_1051
.LBB114_1052:
	s_inst_prefetch 0x2
	s_waitcnt lgkmcnt(0)
	v_cmp_eq_f64_e32 vcc_lo, 0, v[234:235]
	v_cmp_eq_f64_e64 s0, 0, v[236:237]
	s_and_b32 s0, vcc_lo, s0
	s_and_saveexec_b32 s1, s0
	s_xor_b32 s0, exec_lo, s1
; %bb.1053:
	v_cmp_ne_u32_e32 vcc_lo, 0, v247
	v_cndmask_b32_e32 v247, 51, v247, vcc_lo
; %bb.1054:
	s_andn2_saveexec_b32 s0, s0
	s_cbranch_execz .LBB114_1060
; %bb.1055:
	v_cmp_ngt_f64_e64 s1, |v[234:235]|, |v[236:237]|
	s_and_saveexec_b32 s7, s1
	s_xor_b32 s1, exec_lo, s7
	s_cbranch_execz .LBB114_1057
; %bb.1056:
	v_div_scale_f64 v[214:215], null, v[236:237], v[236:237], v[234:235]
	v_div_scale_f64 v[220:221], vcc_lo, v[234:235], v[236:237], v[234:235]
	v_rcp_f64_e32 v[216:217], v[214:215]
	v_fma_f64 v[218:219], -v[214:215], v[216:217], 1.0
	v_fma_f64 v[216:217], v[216:217], v[218:219], v[216:217]
	v_fma_f64 v[218:219], -v[214:215], v[216:217], 1.0
	v_fma_f64 v[216:217], v[216:217], v[218:219], v[216:217]
	v_mul_f64 v[218:219], v[220:221], v[216:217]
	v_fma_f64 v[214:215], -v[214:215], v[218:219], v[220:221]
	v_div_fmas_f64 v[214:215], v[214:215], v[216:217], v[218:219]
	v_div_fixup_f64 v[214:215], v[214:215], v[236:237], v[234:235]
	v_fma_f64 v[216:217], v[234:235], v[214:215], v[236:237]
	v_div_scale_f64 v[218:219], null, v[216:217], v[216:217], 1.0
	v_rcp_f64_e32 v[220:221], v[218:219]
	v_fma_f64 v[222:223], -v[218:219], v[220:221], 1.0
	v_fma_f64 v[220:221], v[220:221], v[222:223], v[220:221]
	v_fma_f64 v[222:223], -v[218:219], v[220:221], 1.0
	v_fma_f64 v[220:221], v[220:221], v[222:223], v[220:221]
	v_div_scale_f64 v[222:223], vcc_lo, 1.0, v[216:217], 1.0
	v_mul_f64 v[224:225], v[222:223], v[220:221]
	v_fma_f64 v[218:219], -v[218:219], v[224:225], v[222:223]
	v_div_fmas_f64 v[218:219], v[218:219], v[220:221], v[224:225]
	v_div_fixup_f64 v[236:237], v[218:219], v[216:217], 1.0
	v_mul_f64 v[234:235], v[214:215], v[236:237]
	v_xor_b32_e32 v237, 0x80000000, v237
.LBB114_1057:
	s_andn2_saveexec_b32 s1, s1
	s_cbranch_execz .LBB114_1059
; %bb.1058:
	v_div_scale_f64 v[214:215], null, v[234:235], v[234:235], v[236:237]
	v_div_scale_f64 v[220:221], vcc_lo, v[236:237], v[234:235], v[236:237]
	v_rcp_f64_e32 v[216:217], v[214:215]
	v_fma_f64 v[218:219], -v[214:215], v[216:217], 1.0
	v_fma_f64 v[216:217], v[216:217], v[218:219], v[216:217]
	v_fma_f64 v[218:219], -v[214:215], v[216:217], 1.0
	v_fma_f64 v[216:217], v[216:217], v[218:219], v[216:217]
	v_mul_f64 v[218:219], v[220:221], v[216:217]
	v_fma_f64 v[214:215], -v[214:215], v[218:219], v[220:221]
	v_div_fmas_f64 v[214:215], v[214:215], v[216:217], v[218:219]
	v_div_fixup_f64 v[214:215], v[214:215], v[234:235], v[236:237]
	v_fma_f64 v[216:217], v[236:237], v[214:215], v[234:235]
	v_div_scale_f64 v[218:219], null, v[216:217], v[216:217], 1.0
	v_rcp_f64_e32 v[220:221], v[218:219]
	v_fma_f64 v[222:223], -v[218:219], v[220:221], 1.0
	v_fma_f64 v[220:221], v[220:221], v[222:223], v[220:221]
	v_fma_f64 v[222:223], -v[218:219], v[220:221], 1.0
	v_fma_f64 v[220:221], v[220:221], v[222:223], v[220:221]
	v_div_scale_f64 v[222:223], vcc_lo, 1.0, v[216:217], 1.0
	v_mul_f64 v[224:225], v[222:223], v[220:221]
	v_fma_f64 v[218:219], -v[218:219], v[224:225], v[222:223]
	v_div_fmas_f64 v[218:219], v[218:219], v[220:221], v[224:225]
	v_div_fixup_f64 v[234:235], v[218:219], v[216:217], 1.0
	v_mul_f64 v[236:237], v[214:215], -v[234:235]
.LBB114_1059:
	s_or_b32 exec_lo, exec_lo, s1
.LBB114_1060:
	s_or_b32 exec_lo, exec_lo, s0
	s_mov_b32 s0, exec_lo
	v_cmpx_ne_u32_e64 v248, v242
	s_xor_b32 s0, exec_lo, s0
	s_cbranch_execz .LBB114_1066
; %bb.1061:
	s_mov_b32 s1, exec_lo
	v_cmpx_eq_u32_e32 50, v248
	s_cbranch_execz .LBB114_1065
; %bb.1062:
	v_cmp_ne_u32_e32 vcc_lo, 50, v242
	s_xor_b32 s7, s16, -1
	s_and_b32 s9, s7, vcc_lo
	s_and_saveexec_b32 s7, s9
	s_cbranch_execz .LBB114_1064
; %bb.1063:
	s_clause 0x1
	buffer_load_dword v210, off, s[20:23], 0
	buffer_load_dword v211, off, s[20:23], 0 offset:4
	v_ashrrev_i32_e32 v243, 31, v242
	v_lshlrev_b64 v[214:215], 2, v[242:243]
	s_waitcnt vmcnt(1)
	v_add_co_u32 v214, vcc_lo, v210, v214
	s_waitcnt vmcnt(0)
	v_add_co_ci_u32_e64 v215, null, v211, v215, vcc_lo
	s_clause 0x1
	global_load_dword v0, v[214:215], off
	global_load_dword v216, v[210:211], off offset:200
	s_waitcnt vmcnt(1)
	global_store_dword v[210:211], v0, off offset:200
	s_waitcnt vmcnt(0)
	global_store_dword v[214:215], v216, off
.LBB114_1064:
	s_or_b32 exec_lo, exec_lo, s7
	v_mov_b32_e32 v248, v242
	v_mov_b32_e32 v0, v242
.LBB114_1065:
	s_or_b32 exec_lo, exec_lo, s1
.LBB114_1066:
	s_andn2_saveexec_b32 s0, s0
	s_cbranch_execz .LBB114_1068
; %bb.1067:
	v_mov_b32_e32 v248, 50
	ds_write2_b64 v1, v[26:27], v[28:29] offset0:102 offset1:103
	ds_write2_b64 v1, v[22:23], v[24:25] offset0:104 offset1:105
	;; [unrolled: 1-line block ×7, first 2 shown]
.LBB114_1068:
	s_or_b32 exec_lo, exec_lo, s0
	s_mov_b32 s0, exec_lo
	s_waitcnt lgkmcnt(0)
	s_waitcnt_vscnt null, 0x0
	s_barrier
	buffer_gl0_inv
	v_cmpx_lt_i32_e32 50, v248
	s_cbranch_execz .LBB114_1070
; %bb.1069:
	v_mul_f64 v[214:215], v[234:235], v[32:33]
	v_mul_f64 v[32:33], v[236:237], v[32:33]
	v_fma_f64 v[214:215], v[236:237], v[30:31], v[214:215]
	v_fma_f64 v[30:31], v[234:235], v[30:31], -v[32:33]
	ds_read2_b64 v[234:237], v1 offset0:102 offset1:103
	s_waitcnt lgkmcnt(0)
	v_mul_f64 v[32:33], v[236:237], v[214:215]
	v_mul_f64 v[216:217], v[234:235], v[214:215]
	v_fma_f64 v[32:33], v[234:235], v[30:31], -v[32:33]
	v_fma_f64 v[216:217], v[236:237], v[30:31], v[216:217]
	ds_read2_b64 v[234:237], v1 offset0:104 offset1:105
	v_add_f64 v[26:27], v[26:27], -v[32:33]
	v_add_f64 v[28:29], v[28:29], -v[216:217]
	s_waitcnt lgkmcnt(0)
	v_mul_f64 v[32:33], v[236:237], v[214:215]
	v_mul_f64 v[216:217], v[234:235], v[214:215]
	v_fma_f64 v[32:33], v[234:235], v[30:31], -v[32:33]
	v_fma_f64 v[216:217], v[236:237], v[30:31], v[216:217]
	ds_read2_b64 v[234:237], v1 offset0:106 offset1:107
	v_add_f64 v[22:23], v[22:23], -v[32:33]
	v_add_f64 v[24:25], v[24:25], -v[216:217]
	;; [unrolled: 8-line block ×6, first 2 shown]
	s_waitcnt lgkmcnt(0)
	v_mul_f64 v[32:33], v[236:237], v[214:215]
	v_mul_f64 v[216:217], v[234:235], v[214:215]
	v_fma_f64 v[32:33], v[234:235], v[30:31], -v[32:33]
	v_fma_f64 v[216:217], v[236:237], v[30:31], v[216:217]
	v_add_f64 v[226:227], v[226:227], -v[32:33]
	v_add_f64 v[228:229], v[228:229], -v[216:217]
	v_mov_b32_e32 v32, v214
	v_mov_b32_e32 v33, v215
.LBB114_1070:
	s_or_b32 exec_lo, exec_lo, s0
	v_lshl_add_u32 v214, v248, 4, v1
	s_barrier
	buffer_gl0_inv
	v_mov_b32_e32 v242, 51
	ds_write2_b64 v214, v[26:27], v[28:29] offset1:1
	s_waitcnt lgkmcnt(0)
	s_barrier
	buffer_gl0_inv
	ds_read2_b64 v[234:237], v1 offset0:102 offset1:103
	s_cmp_lt_i32 s8, 53
	s_cbranch_scc1 .LBB114_1073
; %bb.1071:
	v_add3_u32 v243, v254, 0, 0x340
	v_mov_b32_e32 v242, 51
	s_mov_b32 s0, 52
	s_inst_prefetch 0x1
	.p2align	6
.LBB114_1072:                           ; =>This Inner Loop Header: Depth=1
	s_waitcnt lgkmcnt(0)
	v_cmp_gt_f64_e32 vcc_lo, 0, v[234:235]
	v_xor_b32_e32 v214, 0x80000000, v235
	ds_read2_b64 v[249:252], v243 offset1:1
	v_xor_b32_e32 v216, 0x80000000, v237
	v_add_nc_u32_e32 v243, 16, v243
	s_waitcnt lgkmcnt(0)
	v_xor_b32_e32 v218, 0x80000000, v252
	v_cndmask_b32_e32 v215, v235, v214, vcc_lo
	v_cmp_gt_f64_e32 vcc_lo, 0, v[236:237]
	v_mov_b32_e32 v214, v234
	v_cndmask_b32_e32 v217, v237, v216, vcc_lo
	v_cmp_gt_f64_e32 vcc_lo, 0, v[249:250]
	v_mov_b32_e32 v216, v236
	v_add_f64 v[214:215], v[214:215], v[216:217]
	v_xor_b32_e32 v216, 0x80000000, v250
	v_cndmask_b32_e32 v217, v250, v216, vcc_lo
	v_cmp_gt_f64_e32 vcc_lo, 0, v[251:252]
	v_mov_b32_e32 v216, v249
	v_cndmask_b32_e32 v219, v252, v218, vcc_lo
	v_mov_b32_e32 v218, v251
	v_add_f64 v[216:217], v[216:217], v[218:219]
	v_cmp_lt_f64_e32 vcc_lo, v[214:215], v[216:217]
	v_cndmask_b32_e32 v235, v235, v250, vcc_lo
	v_cndmask_b32_e32 v234, v234, v249, vcc_lo
	;; [unrolled: 1-line block ×4, first 2 shown]
	v_cndmask_b32_e64 v242, v242, s0, vcc_lo
	s_add_i32 s0, s0, 1
	s_cmp_lg_u32 s8, s0
	s_cbranch_scc1 .LBB114_1072
.LBB114_1073:
	s_inst_prefetch 0x2
	s_waitcnt lgkmcnt(0)
	v_cmp_eq_f64_e32 vcc_lo, 0, v[234:235]
	v_cmp_eq_f64_e64 s0, 0, v[236:237]
	s_and_b32 s0, vcc_lo, s0
	s_and_saveexec_b32 s1, s0
	s_xor_b32 s0, exec_lo, s1
; %bb.1074:
	v_cmp_ne_u32_e32 vcc_lo, 0, v247
	v_cndmask_b32_e32 v247, 52, v247, vcc_lo
; %bb.1075:
	s_andn2_saveexec_b32 s0, s0
	s_cbranch_execz .LBB114_1081
; %bb.1076:
	v_cmp_ngt_f64_e64 s1, |v[234:235]|, |v[236:237]|
	s_and_saveexec_b32 s7, s1
	s_xor_b32 s1, exec_lo, s7
	s_cbranch_execz .LBB114_1078
; %bb.1077:
	v_div_scale_f64 v[214:215], null, v[236:237], v[236:237], v[234:235]
	v_div_scale_f64 v[220:221], vcc_lo, v[234:235], v[236:237], v[234:235]
	v_rcp_f64_e32 v[216:217], v[214:215]
	v_fma_f64 v[218:219], -v[214:215], v[216:217], 1.0
	v_fma_f64 v[216:217], v[216:217], v[218:219], v[216:217]
	v_fma_f64 v[218:219], -v[214:215], v[216:217], 1.0
	v_fma_f64 v[216:217], v[216:217], v[218:219], v[216:217]
	v_mul_f64 v[218:219], v[220:221], v[216:217]
	v_fma_f64 v[214:215], -v[214:215], v[218:219], v[220:221]
	v_div_fmas_f64 v[214:215], v[214:215], v[216:217], v[218:219]
	v_div_fixup_f64 v[214:215], v[214:215], v[236:237], v[234:235]
	v_fma_f64 v[216:217], v[234:235], v[214:215], v[236:237]
	v_div_scale_f64 v[218:219], null, v[216:217], v[216:217], 1.0
	v_rcp_f64_e32 v[220:221], v[218:219]
	v_fma_f64 v[222:223], -v[218:219], v[220:221], 1.0
	v_fma_f64 v[220:221], v[220:221], v[222:223], v[220:221]
	v_fma_f64 v[222:223], -v[218:219], v[220:221], 1.0
	v_fma_f64 v[220:221], v[220:221], v[222:223], v[220:221]
	v_div_scale_f64 v[222:223], vcc_lo, 1.0, v[216:217], 1.0
	v_mul_f64 v[224:225], v[222:223], v[220:221]
	v_fma_f64 v[218:219], -v[218:219], v[224:225], v[222:223]
	v_div_fmas_f64 v[218:219], v[218:219], v[220:221], v[224:225]
	v_div_fixup_f64 v[236:237], v[218:219], v[216:217], 1.0
	v_mul_f64 v[234:235], v[214:215], v[236:237]
	v_xor_b32_e32 v237, 0x80000000, v237
.LBB114_1078:
	s_andn2_saveexec_b32 s1, s1
	s_cbranch_execz .LBB114_1080
; %bb.1079:
	v_div_scale_f64 v[214:215], null, v[234:235], v[234:235], v[236:237]
	v_div_scale_f64 v[220:221], vcc_lo, v[236:237], v[234:235], v[236:237]
	v_rcp_f64_e32 v[216:217], v[214:215]
	v_fma_f64 v[218:219], -v[214:215], v[216:217], 1.0
	v_fma_f64 v[216:217], v[216:217], v[218:219], v[216:217]
	v_fma_f64 v[218:219], -v[214:215], v[216:217], 1.0
	v_fma_f64 v[216:217], v[216:217], v[218:219], v[216:217]
	v_mul_f64 v[218:219], v[220:221], v[216:217]
	v_fma_f64 v[214:215], -v[214:215], v[218:219], v[220:221]
	v_div_fmas_f64 v[214:215], v[214:215], v[216:217], v[218:219]
	v_div_fixup_f64 v[214:215], v[214:215], v[234:235], v[236:237]
	v_fma_f64 v[216:217], v[236:237], v[214:215], v[234:235]
	v_div_scale_f64 v[218:219], null, v[216:217], v[216:217], 1.0
	v_rcp_f64_e32 v[220:221], v[218:219]
	v_fma_f64 v[222:223], -v[218:219], v[220:221], 1.0
	v_fma_f64 v[220:221], v[220:221], v[222:223], v[220:221]
	v_fma_f64 v[222:223], -v[218:219], v[220:221], 1.0
	v_fma_f64 v[220:221], v[220:221], v[222:223], v[220:221]
	v_div_scale_f64 v[222:223], vcc_lo, 1.0, v[216:217], 1.0
	v_mul_f64 v[224:225], v[222:223], v[220:221]
	v_fma_f64 v[218:219], -v[218:219], v[224:225], v[222:223]
	v_div_fmas_f64 v[218:219], v[218:219], v[220:221], v[224:225]
	v_div_fixup_f64 v[234:235], v[218:219], v[216:217], 1.0
	v_mul_f64 v[236:237], v[214:215], -v[234:235]
.LBB114_1080:
	s_or_b32 exec_lo, exec_lo, s1
.LBB114_1081:
	s_or_b32 exec_lo, exec_lo, s0
	s_mov_b32 s0, exec_lo
	v_cmpx_ne_u32_e64 v248, v242
	s_xor_b32 s0, exec_lo, s0
	s_cbranch_execz .LBB114_1087
; %bb.1082:
	s_mov_b32 s1, exec_lo
	v_cmpx_eq_u32_e32 51, v248
	s_cbranch_execz .LBB114_1086
; %bb.1083:
	v_cmp_ne_u32_e32 vcc_lo, 51, v242
	s_xor_b32 s7, s16, -1
	s_and_b32 s9, s7, vcc_lo
	s_and_saveexec_b32 s7, s9
	s_cbranch_execz .LBB114_1085
; %bb.1084:
	s_clause 0x1
	buffer_load_dword v210, off, s[20:23], 0
	buffer_load_dword v211, off, s[20:23], 0 offset:4
	v_ashrrev_i32_e32 v243, 31, v242
	v_lshlrev_b64 v[214:215], 2, v[242:243]
	s_waitcnt vmcnt(1)
	v_add_co_u32 v214, vcc_lo, v210, v214
	s_waitcnt vmcnt(0)
	v_add_co_ci_u32_e64 v215, null, v211, v215, vcc_lo
	s_clause 0x1
	global_load_dword v0, v[214:215], off
	global_load_dword v216, v[210:211], off offset:204
	s_waitcnt vmcnt(1)
	global_store_dword v[210:211], v0, off offset:204
	s_waitcnt vmcnt(0)
	global_store_dword v[214:215], v216, off
.LBB114_1085:
	s_or_b32 exec_lo, exec_lo, s7
	v_mov_b32_e32 v248, v242
	v_mov_b32_e32 v0, v242
.LBB114_1086:
	s_or_b32 exec_lo, exec_lo, s1
.LBB114_1087:
	s_andn2_saveexec_b32 s0, s0
	s_cbranch_execz .LBB114_1089
; %bb.1088:
	v_mov_b32_e32 v248, 51
	ds_write2_b64 v1, v[22:23], v[24:25] offset0:104 offset1:105
	ds_write2_b64 v1, v[18:19], v[20:21] offset0:106 offset1:107
	ds_write2_b64 v1, v[14:15], v[16:17] offset0:108 offset1:109
	ds_write2_b64 v1, v[10:11], v[12:13] offset0:110 offset1:111
	ds_write2_b64 v1, v[238:239], v[240:241] offset0:112 offset1:113
	ds_write2_b64 v1, v[226:227], v[228:229] offset0:114 offset1:115
.LBB114_1089:
	s_or_b32 exec_lo, exec_lo, s0
	s_mov_b32 s0, exec_lo
	s_waitcnt lgkmcnt(0)
	s_waitcnt_vscnt null, 0x0
	s_barrier
	buffer_gl0_inv
	v_cmpx_lt_i32_e32 51, v248
	s_cbranch_execz .LBB114_1091
; %bb.1090:
	v_mul_f64 v[214:215], v[234:235], v[28:29]
	v_mul_f64 v[28:29], v[236:237], v[28:29]
	v_fma_f64 v[214:215], v[236:237], v[26:27], v[214:215]
	v_fma_f64 v[26:27], v[234:235], v[26:27], -v[28:29]
	ds_read2_b64 v[234:237], v1 offset0:104 offset1:105
	s_waitcnt lgkmcnt(0)
	v_mul_f64 v[28:29], v[236:237], v[214:215]
	v_mul_f64 v[216:217], v[234:235], v[214:215]
	v_fma_f64 v[28:29], v[234:235], v[26:27], -v[28:29]
	v_fma_f64 v[216:217], v[236:237], v[26:27], v[216:217]
	ds_read2_b64 v[234:237], v1 offset0:106 offset1:107
	v_add_f64 v[22:23], v[22:23], -v[28:29]
	v_add_f64 v[24:25], v[24:25], -v[216:217]
	s_waitcnt lgkmcnt(0)
	v_mul_f64 v[28:29], v[236:237], v[214:215]
	v_mul_f64 v[216:217], v[234:235], v[214:215]
	v_fma_f64 v[28:29], v[234:235], v[26:27], -v[28:29]
	v_fma_f64 v[216:217], v[236:237], v[26:27], v[216:217]
	ds_read2_b64 v[234:237], v1 offset0:108 offset1:109
	v_add_f64 v[18:19], v[18:19], -v[28:29]
	v_add_f64 v[20:21], v[20:21], -v[216:217]
	;; [unrolled: 8-line block ×5, first 2 shown]
	s_waitcnt lgkmcnt(0)
	v_mul_f64 v[28:29], v[236:237], v[214:215]
	v_mul_f64 v[216:217], v[234:235], v[214:215]
	v_fma_f64 v[28:29], v[234:235], v[26:27], -v[28:29]
	v_fma_f64 v[216:217], v[236:237], v[26:27], v[216:217]
	v_add_f64 v[226:227], v[226:227], -v[28:29]
	v_add_f64 v[228:229], v[228:229], -v[216:217]
	v_mov_b32_e32 v28, v214
	v_mov_b32_e32 v29, v215
.LBB114_1091:
	s_or_b32 exec_lo, exec_lo, s0
	v_lshl_add_u32 v214, v248, 4, v1
	s_barrier
	buffer_gl0_inv
	v_mov_b32_e32 v242, 52
	ds_write2_b64 v214, v[22:23], v[24:25] offset1:1
	s_waitcnt lgkmcnt(0)
	s_barrier
	buffer_gl0_inv
	ds_read2_b64 v[234:237], v1 offset0:104 offset1:105
	s_cmp_lt_i32 s8, 54
	s_cbranch_scc1 .LBB114_1094
; %bb.1092:
	v_add3_u32 v243, v254, 0, 0x350
	v_mov_b32_e32 v242, 52
	s_mov_b32 s0, 53
	s_inst_prefetch 0x1
	.p2align	6
.LBB114_1093:                           ; =>This Inner Loop Header: Depth=1
	s_waitcnt lgkmcnt(0)
	v_cmp_gt_f64_e32 vcc_lo, 0, v[234:235]
	v_xor_b32_e32 v214, 0x80000000, v235
	ds_read2_b64 v[249:252], v243 offset1:1
	v_xor_b32_e32 v216, 0x80000000, v237
	v_add_nc_u32_e32 v243, 16, v243
	s_waitcnt lgkmcnt(0)
	v_xor_b32_e32 v218, 0x80000000, v252
	v_cndmask_b32_e32 v215, v235, v214, vcc_lo
	v_cmp_gt_f64_e32 vcc_lo, 0, v[236:237]
	v_mov_b32_e32 v214, v234
	v_cndmask_b32_e32 v217, v237, v216, vcc_lo
	v_cmp_gt_f64_e32 vcc_lo, 0, v[249:250]
	v_mov_b32_e32 v216, v236
	v_add_f64 v[214:215], v[214:215], v[216:217]
	v_xor_b32_e32 v216, 0x80000000, v250
	v_cndmask_b32_e32 v217, v250, v216, vcc_lo
	v_cmp_gt_f64_e32 vcc_lo, 0, v[251:252]
	v_mov_b32_e32 v216, v249
	v_cndmask_b32_e32 v219, v252, v218, vcc_lo
	v_mov_b32_e32 v218, v251
	v_add_f64 v[216:217], v[216:217], v[218:219]
	v_cmp_lt_f64_e32 vcc_lo, v[214:215], v[216:217]
	v_cndmask_b32_e32 v235, v235, v250, vcc_lo
	v_cndmask_b32_e32 v234, v234, v249, vcc_lo
	;; [unrolled: 1-line block ×4, first 2 shown]
	v_cndmask_b32_e64 v242, v242, s0, vcc_lo
	s_add_i32 s0, s0, 1
	s_cmp_lg_u32 s8, s0
	s_cbranch_scc1 .LBB114_1093
.LBB114_1094:
	s_inst_prefetch 0x2
	s_waitcnt lgkmcnt(0)
	v_cmp_eq_f64_e32 vcc_lo, 0, v[234:235]
	v_cmp_eq_f64_e64 s0, 0, v[236:237]
	s_and_b32 s0, vcc_lo, s0
	s_and_saveexec_b32 s1, s0
	s_xor_b32 s0, exec_lo, s1
; %bb.1095:
	v_cmp_ne_u32_e32 vcc_lo, 0, v247
	v_cndmask_b32_e32 v247, 53, v247, vcc_lo
; %bb.1096:
	s_andn2_saveexec_b32 s0, s0
	s_cbranch_execz .LBB114_1102
; %bb.1097:
	v_cmp_ngt_f64_e64 s1, |v[234:235]|, |v[236:237]|
	s_and_saveexec_b32 s7, s1
	s_xor_b32 s1, exec_lo, s7
	s_cbranch_execz .LBB114_1099
; %bb.1098:
	v_div_scale_f64 v[214:215], null, v[236:237], v[236:237], v[234:235]
	v_div_scale_f64 v[220:221], vcc_lo, v[234:235], v[236:237], v[234:235]
	v_rcp_f64_e32 v[216:217], v[214:215]
	v_fma_f64 v[218:219], -v[214:215], v[216:217], 1.0
	v_fma_f64 v[216:217], v[216:217], v[218:219], v[216:217]
	v_fma_f64 v[218:219], -v[214:215], v[216:217], 1.0
	v_fma_f64 v[216:217], v[216:217], v[218:219], v[216:217]
	v_mul_f64 v[218:219], v[220:221], v[216:217]
	v_fma_f64 v[214:215], -v[214:215], v[218:219], v[220:221]
	v_div_fmas_f64 v[214:215], v[214:215], v[216:217], v[218:219]
	v_div_fixup_f64 v[214:215], v[214:215], v[236:237], v[234:235]
	v_fma_f64 v[216:217], v[234:235], v[214:215], v[236:237]
	v_div_scale_f64 v[218:219], null, v[216:217], v[216:217], 1.0
	v_rcp_f64_e32 v[220:221], v[218:219]
	v_fma_f64 v[222:223], -v[218:219], v[220:221], 1.0
	v_fma_f64 v[220:221], v[220:221], v[222:223], v[220:221]
	v_fma_f64 v[222:223], -v[218:219], v[220:221], 1.0
	v_fma_f64 v[220:221], v[220:221], v[222:223], v[220:221]
	v_div_scale_f64 v[222:223], vcc_lo, 1.0, v[216:217], 1.0
	v_mul_f64 v[224:225], v[222:223], v[220:221]
	v_fma_f64 v[218:219], -v[218:219], v[224:225], v[222:223]
	v_div_fmas_f64 v[218:219], v[218:219], v[220:221], v[224:225]
	v_div_fixup_f64 v[236:237], v[218:219], v[216:217], 1.0
	v_mul_f64 v[234:235], v[214:215], v[236:237]
	v_xor_b32_e32 v237, 0x80000000, v237
.LBB114_1099:
	s_andn2_saveexec_b32 s1, s1
	s_cbranch_execz .LBB114_1101
; %bb.1100:
	v_div_scale_f64 v[214:215], null, v[234:235], v[234:235], v[236:237]
	v_div_scale_f64 v[220:221], vcc_lo, v[236:237], v[234:235], v[236:237]
	v_rcp_f64_e32 v[216:217], v[214:215]
	v_fma_f64 v[218:219], -v[214:215], v[216:217], 1.0
	v_fma_f64 v[216:217], v[216:217], v[218:219], v[216:217]
	v_fma_f64 v[218:219], -v[214:215], v[216:217], 1.0
	v_fma_f64 v[216:217], v[216:217], v[218:219], v[216:217]
	v_mul_f64 v[218:219], v[220:221], v[216:217]
	v_fma_f64 v[214:215], -v[214:215], v[218:219], v[220:221]
	v_div_fmas_f64 v[214:215], v[214:215], v[216:217], v[218:219]
	v_div_fixup_f64 v[214:215], v[214:215], v[234:235], v[236:237]
	v_fma_f64 v[216:217], v[236:237], v[214:215], v[234:235]
	v_div_scale_f64 v[218:219], null, v[216:217], v[216:217], 1.0
	v_rcp_f64_e32 v[220:221], v[218:219]
	v_fma_f64 v[222:223], -v[218:219], v[220:221], 1.0
	v_fma_f64 v[220:221], v[220:221], v[222:223], v[220:221]
	v_fma_f64 v[222:223], -v[218:219], v[220:221], 1.0
	v_fma_f64 v[220:221], v[220:221], v[222:223], v[220:221]
	v_div_scale_f64 v[222:223], vcc_lo, 1.0, v[216:217], 1.0
	v_mul_f64 v[224:225], v[222:223], v[220:221]
	v_fma_f64 v[218:219], -v[218:219], v[224:225], v[222:223]
	v_div_fmas_f64 v[218:219], v[218:219], v[220:221], v[224:225]
	v_div_fixup_f64 v[234:235], v[218:219], v[216:217], 1.0
	v_mul_f64 v[236:237], v[214:215], -v[234:235]
.LBB114_1101:
	s_or_b32 exec_lo, exec_lo, s1
.LBB114_1102:
	s_or_b32 exec_lo, exec_lo, s0
	s_mov_b32 s0, exec_lo
	v_cmpx_ne_u32_e64 v248, v242
	s_xor_b32 s0, exec_lo, s0
	s_cbranch_execz .LBB114_1108
; %bb.1103:
	s_mov_b32 s1, exec_lo
	v_cmpx_eq_u32_e32 52, v248
	s_cbranch_execz .LBB114_1107
; %bb.1104:
	v_cmp_ne_u32_e32 vcc_lo, 52, v242
	s_xor_b32 s7, s16, -1
	s_and_b32 s9, s7, vcc_lo
	s_and_saveexec_b32 s7, s9
	s_cbranch_execz .LBB114_1106
; %bb.1105:
	s_clause 0x1
	buffer_load_dword v210, off, s[20:23], 0
	buffer_load_dword v211, off, s[20:23], 0 offset:4
	v_ashrrev_i32_e32 v243, 31, v242
	v_lshlrev_b64 v[214:215], 2, v[242:243]
	s_waitcnt vmcnt(1)
	v_add_co_u32 v214, vcc_lo, v210, v214
	s_waitcnt vmcnt(0)
	v_add_co_ci_u32_e64 v215, null, v211, v215, vcc_lo
	s_clause 0x1
	global_load_dword v0, v[214:215], off
	global_load_dword v216, v[210:211], off offset:208
	s_waitcnt vmcnt(1)
	global_store_dword v[210:211], v0, off offset:208
	s_waitcnt vmcnt(0)
	global_store_dword v[214:215], v216, off
.LBB114_1106:
	s_or_b32 exec_lo, exec_lo, s7
	v_mov_b32_e32 v248, v242
	v_mov_b32_e32 v0, v242
.LBB114_1107:
	s_or_b32 exec_lo, exec_lo, s1
.LBB114_1108:
	s_andn2_saveexec_b32 s0, s0
	s_cbranch_execz .LBB114_1110
; %bb.1109:
	v_mov_b32_e32 v248, 52
	ds_write2_b64 v1, v[18:19], v[20:21] offset0:106 offset1:107
	ds_write2_b64 v1, v[14:15], v[16:17] offset0:108 offset1:109
	;; [unrolled: 1-line block ×5, first 2 shown]
.LBB114_1110:
	s_or_b32 exec_lo, exec_lo, s0
	s_mov_b32 s0, exec_lo
	s_waitcnt lgkmcnt(0)
	s_waitcnt_vscnt null, 0x0
	s_barrier
	buffer_gl0_inv
	v_cmpx_lt_i32_e32 52, v248
	s_cbranch_execz .LBB114_1112
; %bb.1111:
	v_mul_f64 v[214:215], v[234:235], v[24:25]
	v_mul_f64 v[24:25], v[236:237], v[24:25]
	v_fma_f64 v[214:215], v[236:237], v[22:23], v[214:215]
	v_fma_f64 v[22:23], v[234:235], v[22:23], -v[24:25]
	ds_read2_b64 v[234:237], v1 offset0:106 offset1:107
	s_waitcnt lgkmcnt(0)
	v_mul_f64 v[24:25], v[236:237], v[214:215]
	v_mul_f64 v[216:217], v[234:235], v[214:215]
	v_fma_f64 v[24:25], v[234:235], v[22:23], -v[24:25]
	v_fma_f64 v[216:217], v[236:237], v[22:23], v[216:217]
	ds_read2_b64 v[234:237], v1 offset0:108 offset1:109
	v_add_f64 v[18:19], v[18:19], -v[24:25]
	v_add_f64 v[20:21], v[20:21], -v[216:217]
	s_waitcnt lgkmcnt(0)
	v_mul_f64 v[24:25], v[236:237], v[214:215]
	v_mul_f64 v[216:217], v[234:235], v[214:215]
	v_fma_f64 v[24:25], v[234:235], v[22:23], -v[24:25]
	v_fma_f64 v[216:217], v[236:237], v[22:23], v[216:217]
	ds_read2_b64 v[234:237], v1 offset0:110 offset1:111
	v_add_f64 v[14:15], v[14:15], -v[24:25]
	v_add_f64 v[16:17], v[16:17], -v[216:217]
	;; [unrolled: 8-line block ×4, first 2 shown]
	s_waitcnt lgkmcnt(0)
	v_mul_f64 v[24:25], v[236:237], v[214:215]
	v_mul_f64 v[216:217], v[234:235], v[214:215]
	v_fma_f64 v[24:25], v[234:235], v[22:23], -v[24:25]
	v_fma_f64 v[216:217], v[236:237], v[22:23], v[216:217]
	v_add_f64 v[226:227], v[226:227], -v[24:25]
	v_add_f64 v[228:229], v[228:229], -v[216:217]
	v_mov_b32_e32 v24, v214
	v_mov_b32_e32 v25, v215
.LBB114_1112:
	s_or_b32 exec_lo, exec_lo, s0
	v_lshl_add_u32 v214, v248, 4, v1
	s_barrier
	buffer_gl0_inv
	v_mov_b32_e32 v242, 53
	ds_write2_b64 v214, v[18:19], v[20:21] offset1:1
	s_waitcnt lgkmcnt(0)
	s_barrier
	buffer_gl0_inv
	ds_read2_b64 v[234:237], v1 offset0:106 offset1:107
	s_cmp_lt_i32 s8, 55
	s_cbranch_scc1 .LBB114_1115
; %bb.1113:
	v_add3_u32 v243, v254, 0, 0x360
	v_mov_b32_e32 v242, 53
	s_mov_b32 s0, 54
	s_inst_prefetch 0x1
	.p2align	6
.LBB114_1114:                           ; =>This Inner Loop Header: Depth=1
	s_waitcnt lgkmcnt(0)
	v_cmp_gt_f64_e32 vcc_lo, 0, v[234:235]
	v_xor_b32_e32 v214, 0x80000000, v235
	ds_read2_b64 v[249:252], v243 offset1:1
	v_xor_b32_e32 v216, 0x80000000, v237
	v_add_nc_u32_e32 v243, 16, v243
	s_waitcnt lgkmcnt(0)
	v_xor_b32_e32 v218, 0x80000000, v252
	v_cndmask_b32_e32 v215, v235, v214, vcc_lo
	v_cmp_gt_f64_e32 vcc_lo, 0, v[236:237]
	v_mov_b32_e32 v214, v234
	v_cndmask_b32_e32 v217, v237, v216, vcc_lo
	v_cmp_gt_f64_e32 vcc_lo, 0, v[249:250]
	v_mov_b32_e32 v216, v236
	v_add_f64 v[214:215], v[214:215], v[216:217]
	v_xor_b32_e32 v216, 0x80000000, v250
	v_cndmask_b32_e32 v217, v250, v216, vcc_lo
	v_cmp_gt_f64_e32 vcc_lo, 0, v[251:252]
	v_mov_b32_e32 v216, v249
	v_cndmask_b32_e32 v219, v252, v218, vcc_lo
	v_mov_b32_e32 v218, v251
	v_add_f64 v[216:217], v[216:217], v[218:219]
	v_cmp_lt_f64_e32 vcc_lo, v[214:215], v[216:217]
	v_cndmask_b32_e32 v235, v235, v250, vcc_lo
	v_cndmask_b32_e32 v234, v234, v249, vcc_lo
	;; [unrolled: 1-line block ×4, first 2 shown]
	v_cndmask_b32_e64 v242, v242, s0, vcc_lo
	s_add_i32 s0, s0, 1
	s_cmp_lg_u32 s8, s0
	s_cbranch_scc1 .LBB114_1114
.LBB114_1115:
	s_inst_prefetch 0x2
	s_waitcnt lgkmcnt(0)
	v_cmp_eq_f64_e32 vcc_lo, 0, v[234:235]
	v_cmp_eq_f64_e64 s0, 0, v[236:237]
	s_and_b32 s0, vcc_lo, s0
	s_and_saveexec_b32 s1, s0
	s_xor_b32 s0, exec_lo, s1
; %bb.1116:
	v_cmp_ne_u32_e32 vcc_lo, 0, v247
	v_cndmask_b32_e32 v247, 54, v247, vcc_lo
; %bb.1117:
	s_andn2_saveexec_b32 s0, s0
	s_cbranch_execz .LBB114_1123
; %bb.1118:
	v_cmp_ngt_f64_e64 s1, |v[234:235]|, |v[236:237]|
	s_and_saveexec_b32 s7, s1
	s_xor_b32 s1, exec_lo, s7
	s_cbranch_execz .LBB114_1120
; %bb.1119:
	v_div_scale_f64 v[214:215], null, v[236:237], v[236:237], v[234:235]
	v_div_scale_f64 v[220:221], vcc_lo, v[234:235], v[236:237], v[234:235]
	v_rcp_f64_e32 v[216:217], v[214:215]
	v_fma_f64 v[218:219], -v[214:215], v[216:217], 1.0
	v_fma_f64 v[216:217], v[216:217], v[218:219], v[216:217]
	v_fma_f64 v[218:219], -v[214:215], v[216:217], 1.0
	v_fma_f64 v[216:217], v[216:217], v[218:219], v[216:217]
	v_mul_f64 v[218:219], v[220:221], v[216:217]
	v_fma_f64 v[214:215], -v[214:215], v[218:219], v[220:221]
	v_div_fmas_f64 v[214:215], v[214:215], v[216:217], v[218:219]
	v_div_fixup_f64 v[214:215], v[214:215], v[236:237], v[234:235]
	v_fma_f64 v[216:217], v[234:235], v[214:215], v[236:237]
	v_div_scale_f64 v[218:219], null, v[216:217], v[216:217], 1.0
	v_rcp_f64_e32 v[220:221], v[218:219]
	v_fma_f64 v[222:223], -v[218:219], v[220:221], 1.0
	v_fma_f64 v[220:221], v[220:221], v[222:223], v[220:221]
	v_fma_f64 v[222:223], -v[218:219], v[220:221], 1.0
	v_fma_f64 v[220:221], v[220:221], v[222:223], v[220:221]
	v_div_scale_f64 v[222:223], vcc_lo, 1.0, v[216:217], 1.0
	v_mul_f64 v[224:225], v[222:223], v[220:221]
	v_fma_f64 v[218:219], -v[218:219], v[224:225], v[222:223]
	v_div_fmas_f64 v[218:219], v[218:219], v[220:221], v[224:225]
	v_div_fixup_f64 v[236:237], v[218:219], v[216:217], 1.0
	v_mul_f64 v[234:235], v[214:215], v[236:237]
	v_xor_b32_e32 v237, 0x80000000, v237
.LBB114_1120:
	s_andn2_saveexec_b32 s1, s1
	s_cbranch_execz .LBB114_1122
; %bb.1121:
	v_div_scale_f64 v[214:215], null, v[234:235], v[234:235], v[236:237]
	v_div_scale_f64 v[220:221], vcc_lo, v[236:237], v[234:235], v[236:237]
	v_rcp_f64_e32 v[216:217], v[214:215]
	v_fma_f64 v[218:219], -v[214:215], v[216:217], 1.0
	v_fma_f64 v[216:217], v[216:217], v[218:219], v[216:217]
	v_fma_f64 v[218:219], -v[214:215], v[216:217], 1.0
	v_fma_f64 v[216:217], v[216:217], v[218:219], v[216:217]
	v_mul_f64 v[218:219], v[220:221], v[216:217]
	v_fma_f64 v[214:215], -v[214:215], v[218:219], v[220:221]
	v_div_fmas_f64 v[214:215], v[214:215], v[216:217], v[218:219]
	v_div_fixup_f64 v[214:215], v[214:215], v[234:235], v[236:237]
	v_fma_f64 v[216:217], v[236:237], v[214:215], v[234:235]
	v_div_scale_f64 v[218:219], null, v[216:217], v[216:217], 1.0
	v_rcp_f64_e32 v[220:221], v[218:219]
	v_fma_f64 v[222:223], -v[218:219], v[220:221], 1.0
	v_fma_f64 v[220:221], v[220:221], v[222:223], v[220:221]
	v_fma_f64 v[222:223], -v[218:219], v[220:221], 1.0
	v_fma_f64 v[220:221], v[220:221], v[222:223], v[220:221]
	v_div_scale_f64 v[222:223], vcc_lo, 1.0, v[216:217], 1.0
	v_mul_f64 v[224:225], v[222:223], v[220:221]
	v_fma_f64 v[218:219], -v[218:219], v[224:225], v[222:223]
	v_div_fmas_f64 v[218:219], v[218:219], v[220:221], v[224:225]
	v_div_fixup_f64 v[234:235], v[218:219], v[216:217], 1.0
	v_mul_f64 v[236:237], v[214:215], -v[234:235]
.LBB114_1122:
	s_or_b32 exec_lo, exec_lo, s1
.LBB114_1123:
	s_or_b32 exec_lo, exec_lo, s0
	s_mov_b32 s0, exec_lo
	v_cmpx_ne_u32_e64 v248, v242
	s_xor_b32 s0, exec_lo, s0
	s_cbranch_execz .LBB114_1129
; %bb.1124:
	s_mov_b32 s1, exec_lo
	v_cmpx_eq_u32_e32 53, v248
	s_cbranch_execz .LBB114_1128
; %bb.1125:
	v_cmp_ne_u32_e32 vcc_lo, 53, v242
	s_xor_b32 s7, s16, -1
	s_and_b32 s9, s7, vcc_lo
	s_and_saveexec_b32 s7, s9
	s_cbranch_execz .LBB114_1127
; %bb.1126:
	s_clause 0x1
	buffer_load_dword v210, off, s[20:23], 0
	buffer_load_dword v211, off, s[20:23], 0 offset:4
	v_ashrrev_i32_e32 v243, 31, v242
	v_lshlrev_b64 v[214:215], 2, v[242:243]
	s_waitcnt vmcnt(1)
	v_add_co_u32 v214, vcc_lo, v210, v214
	s_waitcnt vmcnt(0)
	v_add_co_ci_u32_e64 v215, null, v211, v215, vcc_lo
	s_clause 0x1
	global_load_dword v0, v[214:215], off
	global_load_dword v216, v[210:211], off offset:212
	s_waitcnt vmcnt(1)
	global_store_dword v[210:211], v0, off offset:212
	s_waitcnt vmcnt(0)
	global_store_dword v[214:215], v216, off
.LBB114_1127:
	s_or_b32 exec_lo, exec_lo, s7
	v_mov_b32_e32 v248, v242
	v_mov_b32_e32 v0, v242
.LBB114_1128:
	s_or_b32 exec_lo, exec_lo, s1
.LBB114_1129:
	s_andn2_saveexec_b32 s0, s0
	s_cbranch_execz .LBB114_1131
; %bb.1130:
	v_mov_b32_e32 v248, 53
	ds_write2_b64 v1, v[14:15], v[16:17] offset0:108 offset1:109
	ds_write2_b64 v1, v[10:11], v[12:13] offset0:110 offset1:111
	;; [unrolled: 1-line block ×4, first 2 shown]
.LBB114_1131:
	s_or_b32 exec_lo, exec_lo, s0
	s_mov_b32 s0, exec_lo
	s_waitcnt lgkmcnt(0)
	s_waitcnt_vscnt null, 0x0
	s_barrier
	buffer_gl0_inv
	v_cmpx_lt_i32_e32 53, v248
	s_cbranch_execz .LBB114_1133
; %bb.1132:
	v_mul_f64 v[214:215], v[234:235], v[20:21]
	v_mul_f64 v[20:21], v[236:237], v[20:21]
	v_fma_f64 v[214:215], v[236:237], v[18:19], v[214:215]
	v_fma_f64 v[18:19], v[234:235], v[18:19], -v[20:21]
	ds_read2_b64 v[234:237], v1 offset0:108 offset1:109
	s_waitcnt lgkmcnt(0)
	v_mul_f64 v[20:21], v[236:237], v[214:215]
	v_mul_f64 v[216:217], v[234:235], v[214:215]
	v_fma_f64 v[20:21], v[234:235], v[18:19], -v[20:21]
	v_fma_f64 v[216:217], v[236:237], v[18:19], v[216:217]
	ds_read2_b64 v[234:237], v1 offset0:110 offset1:111
	v_add_f64 v[14:15], v[14:15], -v[20:21]
	v_add_f64 v[16:17], v[16:17], -v[216:217]
	s_waitcnt lgkmcnt(0)
	v_mul_f64 v[20:21], v[236:237], v[214:215]
	v_mul_f64 v[216:217], v[234:235], v[214:215]
	v_fma_f64 v[20:21], v[234:235], v[18:19], -v[20:21]
	v_fma_f64 v[216:217], v[236:237], v[18:19], v[216:217]
	ds_read2_b64 v[234:237], v1 offset0:112 offset1:113
	v_add_f64 v[10:11], v[10:11], -v[20:21]
	v_add_f64 v[12:13], v[12:13], -v[216:217]
	;; [unrolled: 8-line block ×3, first 2 shown]
	s_waitcnt lgkmcnt(0)
	v_mul_f64 v[20:21], v[236:237], v[214:215]
	v_mul_f64 v[216:217], v[234:235], v[214:215]
	v_fma_f64 v[20:21], v[234:235], v[18:19], -v[20:21]
	v_fma_f64 v[216:217], v[236:237], v[18:19], v[216:217]
	v_add_f64 v[226:227], v[226:227], -v[20:21]
	v_add_f64 v[228:229], v[228:229], -v[216:217]
	v_mov_b32_e32 v20, v214
	v_mov_b32_e32 v21, v215
.LBB114_1133:
	s_or_b32 exec_lo, exec_lo, s0
	v_lshl_add_u32 v214, v248, 4, v1
	s_barrier
	buffer_gl0_inv
	v_mov_b32_e32 v242, 54
	ds_write2_b64 v214, v[14:15], v[16:17] offset1:1
	s_waitcnt lgkmcnt(0)
	s_barrier
	buffer_gl0_inv
	ds_read2_b64 v[234:237], v1 offset0:108 offset1:109
	s_cmp_lt_i32 s8, 56
	s_cbranch_scc1 .LBB114_1136
; %bb.1134:
	v_add3_u32 v243, v254, 0, 0x370
	v_mov_b32_e32 v242, 54
	s_mov_b32 s0, 55
	s_inst_prefetch 0x1
	.p2align	6
.LBB114_1135:                           ; =>This Inner Loop Header: Depth=1
	s_waitcnt lgkmcnt(0)
	v_cmp_gt_f64_e32 vcc_lo, 0, v[234:235]
	v_xor_b32_e32 v214, 0x80000000, v235
	ds_read2_b64 v[249:252], v243 offset1:1
	v_xor_b32_e32 v216, 0x80000000, v237
	v_add_nc_u32_e32 v243, 16, v243
	s_waitcnt lgkmcnt(0)
	v_xor_b32_e32 v218, 0x80000000, v252
	v_cndmask_b32_e32 v215, v235, v214, vcc_lo
	v_cmp_gt_f64_e32 vcc_lo, 0, v[236:237]
	v_mov_b32_e32 v214, v234
	v_cndmask_b32_e32 v217, v237, v216, vcc_lo
	v_cmp_gt_f64_e32 vcc_lo, 0, v[249:250]
	v_mov_b32_e32 v216, v236
	v_add_f64 v[214:215], v[214:215], v[216:217]
	v_xor_b32_e32 v216, 0x80000000, v250
	v_cndmask_b32_e32 v217, v250, v216, vcc_lo
	v_cmp_gt_f64_e32 vcc_lo, 0, v[251:252]
	v_mov_b32_e32 v216, v249
	v_cndmask_b32_e32 v219, v252, v218, vcc_lo
	v_mov_b32_e32 v218, v251
	v_add_f64 v[216:217], v[216:217], v[218:219]
	v_cmp_lt_f64_e32 vcc_lo, v[214:215], v[216:217]
	v_cndmask_b32_e32 v235, v235, v250, vcc_lo
	v_cndmask_b32_e32 v234, v234, v249, vcc_lo
	;; [unrolled: 1-line block ×4, first 2 shown]
	v_cndmask_b32_e64 v242, v242, s0, vcc_lo
	s_add_i32 s0, s0, 1
	s_cmp_lg_u32 s8, s0
	s_cbranch_scc1 .LBB114_1135
.LBB114_1136:
	s_inst_prefetch 0x2
	s_waitcnt lgkmcnt(0)
	v_cmp_eq_f64_e32 vcc_lo, 0, v[234:235]
	v_cmp_eq_f64_e64 s0, 0, v[236:237]
	s_and_b32 s0, vcc_lo, s0
	s_and_saveexec_b32 s1, s0
	s_xor_b32 s0, exec_lo, s1
; %bb.1137:
	v_cmp_ne_u32_e32 vcc_lo, 0, v247
	v_cndmask_b32_e32 v247, 55, v247, vcc_lo
; %bb.1138:
	s_andn2_saveexec_b32 s0, s0
	s_cbranch_execz .LBB114_1144
; %bb.1139:
	v_cmp_ngt_f64_e64 s1, |v[234:235]|, |v[236:237]|
	s_and_saveexec_b32 s7, s1
	s_xor_b32 s1, exec_lo, s7
	s_cbranch_execz .LBB114_1141
; %bb.1140:
	v_div_scale_f64 v[214:215], null, v[236:237], v[236:237], v[234:235]
	v_div_scale_f64 v[220:221], vcc_lo, v[234:235], v[236:237], v[234:235]
	v_rcp_f64_e32 v[216:217], v[214:215]
	v_fma_f64 v[218:219], -v[214:215], v[216:217], 1.0
	v_fma_f64 v[216:217], v[216:217], v[218:219], v[216:217]
	v_fma_f64 v[218:219], -v[214:215], v[216:217], 1.0
	v_fma_f64 v[216:217], v[216:217], v[218:219], v[216:217]
	v_mul_f64 v[218:219], v[220:221], v[216:217]
	v_fma_f64 v[214:215], -v[214:215], v[218:219], v[220:221]
	v_div_fmas_f64 v[214:215], v[214:215], v[216:217], v[218:219]
	v_div_fixup_f64 v[214:215], v[214:215], v[236:237], v[234:235]
	v_fma_f64 v[216:217], v[234:235], v[214:215], v[236:237]
	v_div_scale_f64 v[218:219], null, v[216:217], v[216:217], 1.0
	v_rcp_f64_e32 v[220:221], v[218:219]
	v_fma_f64 v[222:223], -v[218:219], v[220:221], 1.0
	v_fma_f64 v[220:221], v[220:221], v[222:223], v[220:221]
	v_fma_f64 v[222:223], -v[218:219], v[220:221], 1.0
	v_fma_f64 v[220:221], v[220:221], v[222:223], v[220:221]
	v_div_scale_f64 v[222:223], vcc_lo, 1.0, v[216:217], 1.0
	v_mul_f64 v[224:225], v[222:223], v[220:221]
	v_fma_f64 v[218:219], -v[218:219], v[224:225], v[222:223]
	v_div_fmas_f64 v[218:219], v[218:219], v[220:221], v[224:225]
	v_div_fixup_f64 v[236:237], v[218:219], v[216:217], 1.0
	v_mul_f64 v[234:235], v[214:215], v[236:237]
	v_xor_b32_e32 v237, 0x80000000, v237
.LBB114_1141:
	s_andn2_saveexec_b32 s1, s1
	s_cbranch_execz .LBB114_1143
; %bb.1142:
	v_div_scale_f64 v[214:215], null, v[234:235], v[234:235], v[236:237]
	v_div_scale_f64 v[220:221], vcc_lo, v[236:237], v[234:235], v[236:237]
	v_rcp_f64_e32 v[216:217], v[214:215]
	v_fma_f64 v[218:219], -v[214:215], v[216:217], 1.0
	v_fma_f64 v[216:217], v[216:217], v[218:219], v[216:217]
	v_fma_f64 v[218:219], -v[214:215], v[216:217], 1.0
	v_fma_f64 v[216:217], v[216:217], v[218:219], v[216:217]
	v_mul_f64 v[218:219], v[220:221], v[216:217]
	v_fma_f64 v[214:215], -v[214:215], v[218:219], v[220:221]
	v_div_fmas_f64 v[214:215], v[214:215], v[216:217], v[218:219]
	v_div_fixup_f64 v[214:215], v[214:215], v[234:235], v[236:237]
	v_fma_f64 v[216:217], v[236:237], v[214:215], v[234:235]
	v_div_scale_f64 v[218:219], null, v[216:217], v[216:217], 1.0
	v_rcp_f64_e32 v[220:221], v[218:219]
	v_fma_f64 v[222:223], -v[218:219], v[220:221], 1.0
	v_fma_f64 v[220:221], v[220:221], v[222:223], v[220:221]
	v_fma_f64 v[222:223], -v[218:219], v[220:221], 1.0
	v_fma_f64 v[220:221], v[220:221], v[222:223], v[220:221]
	v_div_scale_f64 v[222:223], vcc_lo, 1.0, v[216:217], 1.0
	v_mul_f64 v[224:225], v[222:223], v[220:221]
	v_fma_f64 v[218:219], -v[218:219], v[224:225], v[222:223]
	v_div_fmas_f64 v[218:219], v[218:219], v[220:221], v[224:225]
	v_div_fixup_f64 v[234:235], v[218:219], v[216:217], 1.0
	v_mul_f64 v[236:237], v[214:215], -v[234:235]
.LBB114_1143:
	s_or_b32 exec_lo, exec_lo, s1
.LBB114_1144:
	s_or_b32 exec_lo, exec_lo, s0
	s_mov_b32 s0, exec_lo
	v_cmpx_ne_u32_e64 v248, v242
	s_xor_b32 s0, exec_lo, s0
	s_cbranch_execz .LBB114_1150
; %bb.1145:
	s_mov_b32 s1, exec_lo
	v_cmpx_eq_u32_e32 54, v248
	s_cbranch_execz .LBB114_1149
; %bb.1146:
	v_cmp_ne_u32_e32 vcc_lo, 54, v242
	s_xor_b32 s7, s16, -1
	s_and_b32 s9, s7, vcc_lo
	s_and_saveexec_b32 s7, s9
	s_cbranch_execz .LBB114_1148
; %bb.1147:
	s_clause 0x1
	buffer_load_dword v210, off, s[20:23], 0
	buffer_load_dword v211, off, s[20:23], 0 offset:4
	v_ashrrev_i32_e32 v243, 31, v242
	v_lshlrev_b64 v[214:215], 2, v[242:243]
	s_waitcnt vmcnt(1)
	v_add_co_u32 v214, vcc_lo, v210, v214
	s_waitcnt vmcnt(0)
	v_add_co_ci_u32_e64 v215, null, v211, v215, vcc_lo
	s_clause 0x1
	global_load_dword v0, v[214:215], off
	global_load_dword v216, v[210:211], off offset:216
	s_waitcnt vmcnt(1)
	global_store_dword v[210:211], v0, off offset:216
	s_waitcnt vmcnt(0)
	global_store_dword v[214:215], v216, off
.LBB114_1148:
	s_or_b32 exec_lo, exec_lo, s7
	v_mov_b32_e32 v248, v242
	v_mov_b32_e32 v0, v242
.LBB114_1149:
	s_or_b32 exec_lo, exec_lo, s1
.LBB114_1150:
	s_andn2_saveexec_b32 s0, s0
	s_cbranch_execz .LBB114_1152
; %bb.1151:
	v_mov_b32_e32 v248, 54
	ds_write2_b64 v1, v[10:11], v[12:13] offset0:110 offset1:111
	ds_write2_b64 v1, v[238:239], v[240:241] offset0:112 offset1:113
	;; [unrolled: 1-line block ×3, first 2 shown]
.LBB114_1152:
	s_or_b32 exec_lo, exec_lo, s0
	s_mov_b32 s0, exec_lo
	s_waitcnt lgkmcnt(0)
	s_waitcnt_vscnt null, 0x0
	s_barrier
	buffer_gl0_inv
	v_cmpx_lt_i32_e32 54, v248
	s_cbranch_execz .LBB114_1154
; %bb.1153:
	v_mul_f64 v[214:215], v[234:235], v[16:17]
	v_mul_f64 v[16:17], v[236:237], v[16:17]
	v_fma_f64 v[214:215], v[236:237], v[14:15], v[214:215]
	v_fma_f64 v[14:15], v[234:235], v[14:15], -v[16:17]
	ds_read2_b64 v[234:237], v1 offset0:110 offset1:111
	s_waitcnt lgkmcnt(0)
	v_mul_f64 v[16:17], v[236:237], v[214:215]
	v_mul_f64 v[216:217], v[234:235], v[214:215]
	v_fma_f64 v[16:17], v[234:235], v[14:15], -v[16:17]
	v_fma_f64 v[216:217], v[236:237], v[14:15], v[216:217]
	ds_read2_b64 v[234:237], v1 offset0:112 offset1:113
	v_add_f64 v[10:11], v[10:11], -v[16:17]
	v_add_f64 v[12:13], v[12:13], -v[216:217]
	s_waitcnt lgkmcnt(0)
	v_mul_f64 v[16:17], v[236:237], v[214:215]
	v_mul_f64 v[216:217], v[234:235], v[214:215]
	v_fma_f64 v[16:17], v[234:235], v[14:15], -v[16:17]
	v_fma_f64 v[216:217], v[236:237], v[14:15], v[216:217]
	ds_read2_b64 v[234:237], v1 offset0:114 offset1:115
	v_add_f64 v[238:239], v[238:239], -v[16:17]
	v_add_f64 v[240:241], v[240:241], -v[216:217]
	s_waitcnt lgkmcnt(0)
	v_mul_f64 v[16:17], v[236:237], v[214:215]
	v_mul_f64 v[216:217], v[234:235], v[214:215]
	v_fma_f64 v[16:17], v[234:235], v[14:15], -v[16:17]
	v_fma_f64 v[216:217], v[236:237], v[14:15], v[216:217]
	v_add_f64 v[226:227], v[226:227], -v[16:17]
	v_add_f64 v[228:229], v[228:229], -v[216:217]
	v_mov_b32_e32 v16, v214
	v_mov_b32_e32 v17, v215
.LBB114_1154:
	s_or_b32 exec_lo, exec_lo, s0
	v_lshl_add_u32 v214, v248, 4, v1
	s_barrier
	buffer_gl0_inv
	v_mov_b32_e32 v242, 55
	ds_write2_b64 v214, v[10:11], v[12:13] offset1:1
	s_waitcnt lgkmcnt(0)
	s_barrier
	buffer_gl0_inv
	ds_read2_b64 v[234:237], v1 offset0:110 offset1:111
	s_cmp_lt_i32 s8, 57
	s_cbranch_scc1 .LBB114_1157
; %bb.1155:
	v_add3_u32 v243, v254, 0, 0x380
	v_mov_b32_e32 v242, 55
	s_mov_b32 s0, 56
	s_inst_prefetch 0x1
	.p2align	6
.LBB114_1156:                           ; =>This Inner Loop Header: Depth=1
	s_waitcnt lgkmcnt(0)
	v_cmp_gt_f64_e32 vcc_lo, 0, v[234:235]
	v_xor_b32_e32 v214, 0x80000000, v235
	ds_read2_b64 v[249:252], v243 offset1:1
	v_xor_b32_e32 v216, 0x80000000, v237
	v_add_nc_u32_e32 v243, 16, v243
	s_waitcnt lgkmcnt(0)
	v_xor_b32_e32 v218, 0x80000000, v252
	v_cndmask_b32_e32 v215, v235, v214, vcc_lo
	v_cmp_gt_f64_e32 vcc_lo, 0, v[236:237]
	v_mov_b32_e32 v214, v234
	v_cndmask_b32_e32 v217, v237, v216, vcc_lo
	v_cmp_gt_f64_e32 vcc_lo, 0, v[249:250]
	v_mov_b32_e32 v216, v236
	v_add_f64 v[214:215], v[214:215], v[216:217]
	v_xor_b32_e32 v216, 0x80000000, v250
	v_cndmask_b32_e32 v217, v250, v216, vcc_lo
	v_cmp_gt_f64_e32 vcc_lo, 0, v[251:252]
	v_mov_b32_e32 v216, v249
	v_cndmask_b32_e32 v219, v252, v218, vcc_lo
	v_mov_b32_e32 v218, v251
	v_add_f64 v[216:217], v[216:217], v[218:219]
	v_cmp_lt_f64_e32 vcc_lo, v[214:215], v[216:217]
	v_cndmask_b32_e32 v235, v235, v250, vcc_lo
	v_cndmask_b32_e32 v234, v234, v249, vcc_lo
	;; [unrolled: 1-line block ×4, first 2 shown]
	v_cndmask_b32_e64 v242, v242, s0, vcc_lo
	s_add_i32 s0, s0, 1
	s_cmp_lg_u32 s8, s0
	s_cbranch_scc1 .LBB114_1156
.LBB114_1157:
	s_inst_prefetch 0x2
	s_waitcnt lgkmcnt(0)
	v_cmp_eq_f64_e32 vcc_lo, 0, v[234:235]
	v_cmp_eq_f64_e64 s0, 0, v[236:237]
	s_and_b32 s0, vcc_lo, s0
	s_and_saveexec_b32 s1, s0
	s_xor_b32 s0, exec_lo, s1
; %bb.1158:
	v_cmp_ne_u32_e32 vcc_lo, 0, v247
	v_cndmask_b32_e32 v247, 56, v247, vcc_lo
; %bb.1159:
	s_andn2_saveexec_b32 s0, s0
	s_cbranch_execz .LBB114_1165
; %bb.1160:
	v_cmp_ngt_f64_e64 s1, |v[234:235]|, |v[236:237]|
	s_and_saveexec_b32 s7, s1
	s_xor_b32 s1, exec_lo, s7
	s_cbranch_execz .LBB114_1162
; %bb.1161:
	v_div_scale_f64 v[214:215], null, v[236:237], v[236:237], v[234:235]
	v_div_scale_f64 v[220:221], vcc_lo, v[234:235], v[236:237], v[234:235]
	v_rcp_f64_e32 v[216:217], v[214:215]
	v_fma_f64 v[218:219], -v[214:215], v[216:217], 1.0
	v_fma_f64 v[216:217], v[216:217], v[218:219], v[216:217]
	v_fma_f64 v[218:219], -v[214:215], v[216:217], 1.0
	v_fma_f64 v[216:217], v[216:217], v[218:219], v[216:217]
	v_mul_f64 v[218:219], v[220:221], v[216:217]
	v_fma_f64 v[214:215], -v[214:215], v[218:219], v[220:221]
	v_div_fmas_f64 v[214:215], v[214:215], v[216:217], v[218:219]
	v_div_fixup_f64 v[214:215], v[214:215], v[236:237], v[234:235]
	v_fma_f64 v[216:217], v[234:235], v[214:215], v[236:237]
	v_div_scale_f64 v[218:219], null, v[216:217], v[216:217], 1.0
	v_rcp_f64_e32 v[220:221], v[218:219]
	v_fma_f64 v[222:223], -v[218:219], v[220:221], 1.0
	v_fma_f64 v[220:221], v[220:221], v[222:223], v[220:221]
	v_fma_f64 v[222:223], -v[218:219], v[220:221], 1.0
	v_fma_f64 v[220:221], v[220:221], v[222:223], v[220:221]
	v_div_scale_f64 v[222:223], vcc_lo, 1.0, v[216:217], 1.0
	v_mul_f64 v[224:225], v[222:223], v[220:221]
	v_fma_f64 v[218:219], -v[218:219], v[224:225], v[222:223]
	v_div_fmas_f64 v[218:219], v[218:219], v[220:221], v[224:225]
	v_div_fixup_f64 v[236:237], v[218:219], v[216:217], 1.0
	v_mul_f64 v[234:235], v[214:215], v[236:237]
	v_xor_b32_e32 v237, 0x80000000, v237
.LBB114_1162:
	s_andn2_saveexec_b32 s1, s1
	s_cbranch_execz .LBB114_1164
; %bb.1163:
	v_div_scale_f64 v[214:215], null, v[234:235], v[234:235], v[236:237]
	v_div_scale_f64 v[220:221], vcc_lo, v[236:237], v[234:235], v[236:237]
	v_rcp_f64_e32 v[216:217], v[214:215]
	v_fma_f64 v[218:219], -v[214:215], v[216:217], 1.0
	v_fma_f64 v[216:217], v[216:217], v[218:219], v[216:217]
	v_fma_f64 v[218:219], -v[214:215], v[216:217], 1.0
	v_fma_f64 v[216:217], v[216:217], v[218:219], v[216:217]
	v_mul_f64 v[218:219], v[220:221], v[216:217]
	v_fma_f64 v[214:215], -v[214:215], v[218:219], v[220:221]
	v_div_fmas_f64 v[214:215], v[214:215], v[216:217], v[218:219]
	v_div_fixup_f64 v[214:215], v[214:215], v[234:235], v[236:237]
	v_fma_f64 v[216:217], v[236:237], v[214:215], v[234:235]
	v_div_scale_f64 v[218:219], null, v[216:217], v[216:217], 1.0
	v_rcp_f64_e32 v[220:221], v[218:219]
	v_fma_f64 v[222:223], -v[218:219], v[220:221], 1.0
	v_fma_f64 v[220:221], v[220:221], v[222:223], v[220:221]
	v_fma_f64 v[222:223], -v[218:219], v[220:221], 1.0
	v_fma_f64 v[220:221], v[220:221], v[222:223], v[220:221]
	v_div_scale_f64 v[222:223], vcc_lo, 1.0, v[216:217], 1.0
	v_mul_f64 v[224:225], v[222:223], v[220:221]
	v_fma_f64 v[218:219], -v[218:219], v[224:225], v[222:223]
	v_div_fmas_f64 v[218:219], v[218:219], v[220:221], v[224:225]
	v_div_fixup_f64 v[234:235], v[218:219], v[216:217], 1.0
	v_mul_f64 v[236:237], v[214:215], -v[234:235]
.LBB114_1164:
	s_or_b32 exec_lo, exec_lo, s1
.LBB114_1165:
	s_or_b32 exec_lo, exec_lo, s0
	s_mov_b32 s0, exec_lo
	v_cmpx_ne_u32_e64 v248, v242
	s_xor_b32 s0, exec_lo, s0
	s_cbranch_execz .LBB114_1171
; %bb.1166:
	s_mov_b32 s1, exec_lo
	v_cmpx_eq_u32_e32 55, v248
	s_cbranch_execz .LBB114_1170
; %bb.1167:
	v_cmp_ne_u32_e32 vcc_lo, 55, v242
	s_xor_b32 s7, s16, -1
	s_and_b32 s9, s7, vcc_lo
	s_and_saveexec_b32 s7, s9
	s_cbranch_execz .LBB114_1169
; %bb.1168:
	s_clause 0x1
	buffer_load_dword v210, off, s[20:23], 0
	buffer_load_dword v211, off, s[20:23], 0 offset:4
	v_ashrrev_i32_e32 v243, 31, v242
	v_lshlrev_b64 v[214:215], 2, v[242:243]
	s_waitcnt vmcnt(1)
	v_add_co_u32 v214, vcc_lo, v210, v214
	s_waitcnt vmcnt(0)
	v_add_co_ci_u32_e64 v215, null, v211, v215, vcc_lo
	s_clause 0x1
	global_load_dword v0, v[214:215], off
	global_load_dword v216, v[210:211], off offset:220
	s_waitcnt vmcnt(1)
	global_store_dword v[210:211], v0, off offset:220
	s_waitcnt vmcnt(0)
	global_store_dword v[214:215], v216, off
.LBB114_1169:
	s_or_b32 exec_lo, exec_lo, s7
	v_mov_b32_e32 v248, v242
	v_mov_b32_e32 v0, v242
.LBB114_1170:
	s_or_b32 exec_lo, exec_lo, s1
.LBB114_1171:
	s_andn2_saveexec_b32 s0, s0
	s_cbranch_execz .LBB114_1173
; %bb.1172:
	v_mov_b32_e32 v248, 55
	ds_write2_b64 v1, v[238:239], v[240:241] offset0:112 offset1:113
	ds_write2_b64 v1, v[226:227], v[228:229] offset0:114 offset1:115
.LBB114_1173:
	s_or_b32 exec_lo, exec_lo, s0
	s_mov_b32 s0, exec_lo
	s_waitcnt lgkmcnt(0)
	s_waitcnt_vscnt null, 0x0
	s_barrier
	buffer_gl0_inv
	v_cmpx_lt_i32_e32 55, v248
	s_cbranch_execz .LBB114_1175
; %bb.1174:
	v_mul_f64 v[214:215], v[234:235], v[12:13]
	v_mul_f64 v[12:13], v[236:237], v[12:13]
	v_fma_f64 v[214:215], v[236:237], v[10:11], v[214:215]
	v_fma_f64 v[10:11], v[234:235], v[10:11], -v[12:13]
	ds_read2_b64 v[234:237], v1 offset0:112 offset1:113
	s_waitcnt lgkmcnt(0)
	v_mul_f64 v[12:13], v[236:237], v[214:215]
	v_mul_f64 v[216:217], v[234:235], v[214:215]
	v_fma_f64 v[12:13], v[234:235], v[10:11], -v[12:13]
	v_fma_f64 v[216:217], v[236:237], v[10:11], v[216:217]
	ds_read2_b64 v[234:237], v1 offset0:114 offset1:115
	v_add_f64 v[238:239], v[238:239], -v[12:13]
	v_add_f64 v[240:241], v[240:241], -v[216:217]
	s_waitcnt lgkmcnt(0)
	v_mul_f64 v[12:13], v[236:237], v[214:215]
	v_mul_f64 v[216:217], v[234:235], v[214:215]
	v_fma_f64 v[12:13], v[234:235], v[10:11], -v[12:13]
	v_fma_f64 v[216:217], v[236:237], v[10:11], v[216:217]
	v_add_f64 v[226:227], v[226:227], -v[12:13]
	v_add_f64 v[228:229], v[228:229], -v[216:217]
	v_mov_b32_e32 v12, v214
	v_mov_b32_e32 v13, v215
.LBB114_1175:
	s_or_b32 exec_lo, exec_lo, s0
	v_lshl_add_u32 v214, v248, 4, v1
	s_barrier
	buffer_gl0_inv
	v_mov_b32_e32 v242, 56
	ds_write2_b64 v214, v[238:239], v[240:241] offset1:1
	s_waitcnt lgkmcnt(0)
	s_barrier
	buffer_gl0_inv
	ds_read2_b64 v[234:237], v1 offset0:112 offset1:113
	s_cmp_lt_i32 s8, 58
	s_cbranch_scc1 .LBB114_1178
; %bb.1176:
	v_add3_u32 v243, v254, 0, 0x390
	v_mov_b32_e32 v242, 56
	s_mov_b32 s0, 57
	s_inst_prefetch 0x1
	.p2align	6
.LBB114_1177:                           ; =>This Inner Loop Header: Depth=1
	s_waitcnt lgkmcnt(0)
	v_cmp_gt_f64_e32 vcc_lo, 0, v[234:235]
	v_xor_b32_e32 v214, 0x80000000, v235
	ds_read2_b64 v[249:252], v243 offset1:1
	v_xor_b32_e32 v216, 0x80000000, v237
	v_add_nc_u32_e32 v243, 16, v243
	s_waitcnt lgkmcnt(0)
	v_xor_b32_e32 v218, 0x80000000, v252
	v_cndmask_b32_e32 v215, v235, v214, vcc_lo
	v_cmp_gt_f64_e32 vcc_lo, 0, v[236:237]
	v_mov_b32_e32 v214, v234
	v_cndmask_b32_e32 v217, v237, v216, vcc_lo
	v_cmp_gt_f64_e32 vcc_lo, 0, v[249:250]
	v_mov_b32_e32 v216, v236
	v_add_f64 v[214:215], v[214:215], v[216:217]
	v_xor_b32_e32 v216, 0x80000000, v250
	v_cndmask_b32_e32 v217, v250, v216, vcc_lo
	v_cmp_gt_f64_e32 vcc_lo, 0, v[251:252]
	v_mov_b32_e32 v216, v249
	v_cndmask_b32_e32 v219, v252, v218, vcc_lo
	v_mov_b32_e32 v218, v251
	v_add_f64 v[216:217], v[216:217], v[218:219]
	v_cmp_lt_f64_e32 vcc_lo, v[214:215], v[216:217]
	v_cndmask_b32_e32 v235, v235, v250, vcc_lo
	v_cndmask_b32_e32 v234, v234, v249, vcc_lo
	v_cndmask_b32_e32 v237, v237, v252, vcc_lo
	v_cndmask_b32_e32 v236, v236, v251, vcc_lo
	v_cndmask_b32_e64 v242, v242, s0, vcc_lo
	s_add_i32 s0, s0, 1
	s_cmp_lg_u32 s8, s0
	s_cbranch_scc1 .LBB114_1177
.LBB114_1178:
	s_inst_prefetch 0x2
	s_waitcnt lgkmcnt(0)
	v_cmp_eq_f64_e32 vcc_lo, 0, v[234:235]
	v_cmp_eq_f64_e64 s0, 0, v[236:237]
	s_and_b32 s0, vcc_lo, s0
	s_and_saveexec_b32 s1, s0
	s_xor_b32 s0, exec_lo, s1
; %bb.1179:
	v_cmp_ne_u32_e32 vcc_lo, 0, v247
	v_cndmask_b32_e32 v247, 57, v247, vcc_lo
; %bb.1180:
	s_andn2_saveexec_b32 s0, s0
	s_cbranch_execz .LBB114_1186
; %bb.1181:
	v_cmp_ngt_f64_e64 s1, |v[234:235]|, |v[236:237]|
	s_and_saveexec_b32 s7, s1
	s_xor_b32 s1, exec_lo, s7
	s_cbranch_execz .LBB114_1183
; %bb.1182:
	v_div_scale_f64 v[214:215], null, v[236:237], v[236:237], v[234:235]
	v_div_scale_f64 v[220:221], vcc_lo, v[234:235], v[236:237], v[234:235]
	v_rcp_f64_e32 v[216:217], v[214:215]
	v_fma_f64 v[218:219], -v[214:215], v[216:217], 1.0
	v_fma_f64 v[216:217], v[216:217], v[218:219], v[216:217]
	v_fma_f64 v[218:219], -v[214:215], v[216:217], 1.0
	v_fma_f64 v[216:217], v[216:217], v[218:219], v[216:217]
	v_mul_f64 v[218:219], v[220:221], v[216:217]
	v_fma_f64 v[214:215], -v[214:215], v[218:219], v[220:221]
	v_div_fmas_f64 v[214:215], v[214:215], v[216:217], v[218:219]
	v_div_fixup_f64 v[214:215], v[214:215], v[236:237], v[234:235]
	v_fma_f64 v[216:217], v[234:235], v[214:215], v[236:237]
	v_div_scale_f64 v[218:219], null, v[216:217], v[216:217], 1.0
	v_rcp_f64_e32 v[220:221], v[218:219]
	v_fma_f64 v[222:223], -v[218:219], v[220:221], 1.0
	v_fma_f64 v[220:221], v[220:221], v[222:223], v[220:221]
	v_fma_f64 v[222:223], -v[218:219], v[220:221], 1.0
	v_fma_f64 v[220:221], v[220:221], v[222:223], v[220:221]
	v_div_scale_f64 v[222:223], vcc_lo, 1.0, v[216:217], 1.0
	v_mul_f64 v[224:225], v[222:223], v[220:221]
	v_fma_f64 v[218:219], -v[218:219], v[224:225], v[222:223]
	v_div_fmas_f64 v[218:219], v[218:219], v[220:221], v[224:225]
	v_div_fixup_f64 v[236:237], v[218:219], v[216:217], 1.0
	v_mul_f64 v[234:235], v[214:215], v[236:237]
	v_xor_b32_e32 v237, 0x80000000, v237
.LBB114_1183:
	s_andn2_saveexec_b32 s1, s1
	s_cbranch_execz .LBB114_1185
; %bb.1184:
	v_div_scale_f64 v[214:215], null, v[234:235], v[234:235], v[236:237]
	v_div_scale_f64 v[220:221], vcc_lo, v[236:237], v[234:235], v[236:237]
	v_rcp_f64_e32 v[216:217], v[214:215]
	v_fma_f64 v[218:219], -v[214:215], v[216:217], 1.0
	v_fma_f64 v[216:217], v[216:217], v[218:219], v[216:217]
	v_fma_f64 v[218:219], -v[214:215], v[216:217], 1.0
	v_fma_f64 v[216:217], v[216:217], v[218:219], v[216:217]
	v_mul_f64 v[218:219], v[220:221], v[216:217]
	v_fma_f64 v[214:215], -v[214:215], v[218:219], v[220:221]
	v_div_fmas_f64 v[214:215], v[214:215], v[216:217], v[218:219]
	v_div_fixup_f64 v[214:215], v[214:215], v[234:235], v[236:237]
	v_fma_f64 v[216:217], v[236:237], v[214:215], v[234:235]
	v_div_scale_f64 v[218:219], null, v[216:217], v[216:217], 1.0
	v_rcp_f64_e32 v[220:221], v[218:219]
	v_fma_f64 v[222:223], -v[218:219], v[220:221], 1.0
	v_fma_f64 v[220:221], v[220:221], v[222:223], v[220:221]
	v_fma_f64 v[222:223], -v[218:219], v[220:221], 1.0
	v_fma_f64 v[220:221], v[220:221], v[222:223], v[220:221]
	v_div_scale_f64 v[222:223], vcc_lo, 1.0, v[216:217], 1.0
	v_mul_f64 v[224:225], v[222:223], v[220:221]
	v_fma_f64 v[218:219], -v[218:219], v[224:225], v[222:223]
	v_div_fmas_f64 v[218:219], v[218:219], v[220:221], v[224:225]
	v_div_fixup_f64 v[234:235], v[218:219], v[216:217], 1.0
	v_mul_f64 v[236:237], v[214:215], -v[234:235]
.LBB114_1185:
	s_or_b32 exec_lo, exec_lo, s1
.LBB114_1186:
	s_or_b32 exec_lo, exec_lo, s0
	s_mov_b32 s0, exec_lo
	v_cmpx_ne_u32_e64 v248, v242
	s_xor_b32 s0, exec_lo, s0
	s_cbranch_execz .LBB114_1192
; %bb.1187:
	s_mov_b32 s1, exec_lo
	v_cmpx_eq_u32_e32 56, v248
	s_cbranch_execz .LBB114_1191
; %bb.1188:
	v_cmp_ne_u32_e32 vcc_lo, 56, v242
	s_xor_b32 s7, s16, -1
	s_and_b32 s9, s7, vcc_lo
	s_and_saveexec_b32 s7, s9
	s_cbranch_execz .LBB114_1190
; %bb.1189:
	s_clause 0x1
	buffer_load_dword v210, off, s[20:23], 0
	buffer_load_dword v211, off, s[20:23], 0 offset:4
	v_ashrrev_i32_e32 v243, 31, v242
	v_lshlrev_b64 v[214:215], 2, v[242:243]
	s_waitcnt vmcnt(1)
	v_add_co_u32 v214, vcc_lo, v210, v214
	s_waitcnt vmcnt(0)
	v_add_co_ci_u32_e64 v215, null, v211, v215, vcc_lo
	s_clause 0x1
	global_load_dword v0, v[214:215], off
	global_load_dword v216, v[210:211], off offset:224
	s_waitcnt vmcnt(1)
	global_store_dword v[210:211], v0, off offset:224
	s_waitcnt vmcnt(0)
	global_store_dword v[214:215], v216, off
.LBB114_1190:
	s_or_b32 exec_lo, exec_lo, s7
	v_mov_b32_e32 v248, v242
	v_mov_b32_e32 v0, v242
.LBB114_1191:
	s_or_b32 exec_lo, exec_lo, s1
.LBB114_1192:
	s_andn2_saveexec_b32 s0, s0
; %bb.1193:
	v_mov_b32_e32 v248, 56
	ds_write2_b64 v1, v[226:227], v[228:229] offset0:114 offset1:115
; %bb.1194:
	s_or_b32 exec_lo, exec_lo, s0
	s_mov_b32 s0, exec_lo
	s_waitcnt lgkmcnt(0)
	s_waitcnt_vscnt null, 0x0
	s_barrier
	buffer_gl0_inv
	v_cmpx_lt_i32_e32 56, v248
	s_cbranch_execz .LBB114_1196
; %bb.1195:
	v_mul_f64 v[214:215], v[234:235], v[240:241]
	v_mov_b32_e32 v213, v5
	v_mov_b32_e32 v212, v4
	;; [unrolled: 1-line block ×8, first 2 shown]
	v_mul_f64 v[8:9], v[236:237], v[240:241]
	ds_read2_b64 v[249:252], v1 offset0:114 offset1:115
	v_fma_f64 v[214:215], v[236:237], v[238:239], v[214:215]
	v_fma_f64 v[238:239], v[234:235], v[238:239], -v[8:9]
	s_waitcnt lgkmcnt(0)
	v_mul_f64 v[8:9], v[251:252], v[214:215]
	v_mul_f64 v[216:217], v[249:250], v[214:215]
	v_mov_b32_e32 v241, v215
	v_mov_b32_e32 v240, v214
	v_fma_f64 v[8:9], v[249:250], v[238:239], -v[8:9]
	v_fma_f64 v[216:217], v[251:252], v[238:239], v[216:217]
	v_add_f64 v[226:227], v[226:227], -v[8:9]
	v_add_f64 v[228:229], v[228:229], -v[216:217]
	v_mov_b32_e32 v9, v5
	v_mov_b32_e32 v8, v4
	;; [unrolled: 1-line block ×8, first 2 shown]
.LBB114_1196:
	s_or_b32 exec_lo, exec_lo, s0
	v_lshl_add_u32 v214, v248, 4, v1
	s_barrier
	buffer_gl0_inv
	v_mov_b32_e32 v242, 57
	ds_write2_b64 v214, v[226:227], v[228:229] offset1:1
	s_waitcnt lgkmcnt(0)
	s_barrier
	buffer_gl0_inv
	ds_read2_b64 v[234:237], v1 offset0:114 offset1:115
	s_cmp_lt_i32 s8, 59
	s_cbranch_scc1 .LBB114_1199
; %bb.1197:
	v_add3_u32 v1, v254, 0, 0x3a0
	v_mov_b32_e32 v242, 57
	s_mov_b32 s0, 58
	s_inst_prefetch 0x1
	.p2align	6
.LBB114_1198:                           ; =>This Inner Loop Header: Depth=1
	s_waitcnt lgkmcnt(0)
	v_cmp_gt_f64_e32 vcc_lo, 0, v[234:235]
	v_xor_b32_e32 v214, 0x80000000, v235
	ds_read2_b64 v[249:252], v1 offset1:1
	v_xor_b32_e32 v216, 0x80000000, v237
	v_add_nc_u32_e32 v1, 16, v1
	s_waitcnt lgkmcnt(0)
	v_xor_b32_e32 v218, 0x80000000, v252
	v_cndmask_b32_e32 v215, v235, v214, vcc_lo
	v_cmp_gt_f64_e32 vcc_lo, 0, v[236:237]
	v_mov_b32_e32 v214, v234
	v_cndmask_b32_e32 v217, v237, v216, vcc_lo
	v_cmp_gt_f64_e32 vcc_lo, 0, v[249:250]
	v_mov_b32_e32 v216, v236
	v_add_f64 v[214:215], v[214:215], v[216:217]
	v_xor_b32_e32 v216, 0x80000000, v250
	v_cndmask_b32_e32 v217, v250, v216, vcc_lo
	v_cmp_gt_f64_e32 vcc_lo, 0, v[251:252]
	v_mov_b32_e32 v216, v249
	v_cndmask_b32_e32 v219, v252, v218, vcc_lo
	v_mov_b32_e32 v218, v251
	v_add_f64 v[216:217], v[216:217], v[218:219]
	v_cmp_lt_f64_e32 vcc_lo, v[214:215], v[216:217]
	v_cndmask_b32_e32 v235, v235, v250, vcc_lo
	v_cndmask_b32_e32 v234, v234, v249, vcc_lo
	;; [unrolled: 1-line block ×4, first 2 shown]
	v_cndmask_b32_e64 v242, v242, s0, vcc_lo
	s_add_i32 s0, s0, 1
	s_cmp_lg_u32 s8, s0
	s_cbranch_scc1 .LBB114_1198
.LBB114_1199:
	s_inst_prefetch 0x2
	s_waitcnt lgkmcnt(0)
	v_cmp_eq_f64_e32 vcc_lo, 0, v[234:235]
	v_cmp_eq_f64_e64 s0, 0, v[236:237]
	s_and_b32 s0, vcc_lo, s0
	s_and_saveexec_b32 s1, s0
	s_xor_b32 s0, exec_lo, s1
; %bb.1200:
	v_cmp_ne_u32_e32 vcc_lo, 0, v247
	v_cndmask_b32_e32 v247, 58, v247, vcc_lo
; %bb.1201:
	s_andn2_saveexec_b32 s0, s0
	s_cbranch_execz .LBB114_1207
; %bb.1202:
	v_cmp_ngt_f64_e64 s1, |v[234:235]|, |v[236:237]|
	s_and_saveexec_b32 s7, s1
	s_xor_b32 s1, exec_lo, s7
	s_cbranch_execz .LBB114_1204
; %bb.1203:
	v_div_scale_f64 v[214:215], null, v[236:237], v[236:237], v[234:235]
	v_div_scale_f64 v[220:221], vcc_lo, v[234:235], v[236:237], v[234:235]
	v_rcp_f64_e32 v[216:217], v[214:215]
	v_fma_f64 v[218:219], -v[214:215], v[216:217], 1.0
	v_fma_f64 v[216:217], v[216:217], v[218:219], v[216:217]
	v_fma_f64 v[218:219], -v[214:215], v[216:217], 1.0
	v_fma_f64 v[216:217], v[216:217], v[218:219], v[216:217]
	v_mul_f64 v[218:219], v[220:221], v[216:217]
	v_fma_f64 v[214:215], -v[214:215], v[218:219], v[220:221]
	v_div_fmas_f64 v[214:215], v[214:215], v[216:217], v[218:219]
	v_div_fixup_f64 v[214:215], v[214:215], v[236:237], v[234:235]
	v_fma_f64 v[216:217], v[234:235], v[214:215], v[236:237]
	v_div_scale_f64 v[218:219], null, v[216:217], v[216:217], 1.0
	v_rcp_f64_e32 v[220:221], v[218:219]
	v_fma_f64 v[222:223], -v[218:219], v[220:221], 1.0
	v_fma_f64 v[220:221], v[220:221], v[222:223], v[220:221]
	v_fma_f64 v[222:223], -v[218:219], v[220:221], 1.0
	v_fma_f64 v[220:221], v[220:221], v[222:223], v[220:221]
	v_div_scale_f64 v[222:223], vcc_lo, 1.0, v[216:217], 1.0
	v_mul_f64 v[224:225], v[222:223], v[220:221]
	v_fma_f64 v[218:219], -v[218:219], v[224:225], v[222:223]
	v_div_fmas_f64 v[218:219], v[218:219], v[220:221], v[224:225]
	v_div_fixup_f64 v[236:237], v[218:219], v[216:217], 1.0
	v_mul_f64 v[234:235], v[214:215], v[236:237]
	v_xor_b32_e32 v237, 0x80000000, v237
.LBB114_1204:
	s_andn2_saveexec_b32 s1, s1
	s_cbranch_execz .LBB114_1206
; %bb.1205:
	v_div_scale_f64 v[214:215], null, v[234:235], v[234:235], v[236:237]
	v_div_scale_f64 v[220:221], vcc_lo, v[236:237], v[234:235], v[236:237]
	v_rcp_f64_e32 v[216:217], v[214:215]
	v_fma_f64 v[218:219], -v[214:215], v[216:217], 1.0
	v_fma_f64 v[216:217], v[216:217], v[218:219], v[216:217]
	v_fma_f64 v[218:219], -v[214:215], v[216:217], 1.0
	v_fma_f64 v[216:217], v[216:217], v[218:219], v[216:217]
	v_mul_f64 v[218:219], v[220:221], v[216:217]
	v_fma_f64 v[214:215], -v[214:215], v[218:219], v[220:221]
	v_div_fmas_f64 v[214:215], v[214:215], v[216:217], v[218:219]
	v_div_fixup_f64 v[214:215], v[214:215], v[234:235], v[236:237]
	v_fma_f64 v[216:217], v[236:237], v[214:215], v[234:235]
	v_div_scale_f64 v[218:219], null, v[216:217], v[216:217], 1.0
	v_rcp_f64_e32 v[220:221], v[218:219]
	v_fma_f64 v[222:223], -v[218:219], v[220:221], 1.0
	v_fma_f64 v[220:221], v[220:221], v[222:223], v[220:221]
	v_fma_f64 v[222:223], -v[218:219], v[220:221], 1.0
	v_fma_f64 v[220:221], v[220:221], v[222:223], v[220:221]
	v_div_scale_f64 v[222:223], vcc_lo, 1.0, v[216:217], 1.0
	v_mul_f64 v[224:225], v[222:223], v[220:221]
	v_fma_f64 v[218:219], -v[218:219], v[224:225], v[222:223]
	v_div_fmas_f64 v[218:219], v[218:219], v[220:221], v[224:225]
	v_div_fixup_f64 v[234:235], v[218:219], v[216:217], 1.0
	v_mul_f64 v[236:237], v[214:215], -v[234:235]
.LBB114_1206:
	s_or_b32 exec_lo, exec_lo, s1
.LBB114_1207:
	s_or_b32 exec_lo, exec_lo, s0
	v_mov_b32_e32 v243, 57
	s_mov_b32 s0, exec_lo
	v_cmpx_ne_u32_e64 v248, v242
	s_cbranch_execz .LBB114_1213
; %bb.1208:
	s_mov_b32 s1, exec_lo
	v_cmpx_eq_u32_e32 57, v248
	s_cbranch_execz .LBB114_1212
; %bb.1209:
	v_cmp_ne_u32_e32 vcc_lo, 57, v242
	s_xor_b32 s7, s16, -1
	s_and_b32 s8, s7, vcc_lo
	s_and_saveexec_b32 s7, s8
	s_cbranch_execz .LBB114_1211
; %bb.1210:
	s_clause 0x1
	buffer_load_dword v210, off, s[20:23], 0
	buffer_load_dword v211, off, s[20:23], 0 offset:4
	v_ashrrev_i32_e32 v243, 31, v242
	v_lshlrev_b64 v[0:1], 2, v[242:243]
	s_waitcnt vmcnt(1)
	v_add_co_u32 v0, vcc_lo, v210, v0
	s_waitcnt vmcnt(0)
	v_add_co_ci_u32_e64 v1, null, v211, v1, vcc_lo
	s_clause 0x1
	global_load_dword v214, v[0:1], off
	global_load_dword v215, v[210:211], off offset:228
	s_waitcnt vmcnt(1)
	global_store_dword v[210:211], v214, off offset:228
	s_waitcnt vmcnt(0)
	global_store_dword v[0:1], v215, off
.LBB114_1211:
	s_or_b32 exec_lo, exec_lo, s7
	v_mov_b32_e32 v248, v242
	v_mov_b32_e32 v0, v242
.LBB114_1212:
	s_or_b32 exec_lo, exec_lo, s1
	v_mov_b32_e32 v243, v248
.LBB114_1213:
	s_or_b32 exec_lo, exec_lo, s0
	s_mov_b32 s0, exec_lo
	s_waitcnt_vscnt null, 0x0
	s_barrier
	buffer_gl0_inv
	v_cmpx_lt_i32_e32 57, v243
	s_cbranch_execz .LBB114_1215
; %bb.1214:
	v_mul_f64 v[214:215], v[236:237], v[228:229]
	v_mov_b32_e32 v213, v5
	v_mov_b32_e32 v212, v4
	;; [unrolled: 1-line block ×4, first 2 shown]
	v_mul_f64 v[4:5], v[234:235], v[228:229]
	v_fma_f64 v[214:215], v[234:235], v[226:227], -v[214:215]
	v_fma_f64 v[228:229], v[236:237], v[226:227], v[4:5]
	v_mov_b32_e32 v2, v210
	v_mov_b32_e32 v3, v211
	;; [unrolled: 1-line block ×6, first 2 shown]
.LBB114_1215:
	s_or_b32 exec_lo, exec_lo, s0
	v_ashrrev_i32_e32 v244, 31, v243
	s_mov_b32 s0, exec_lo
	s_barrier
	buffer_gl0_inv
	v_cmpx_gt_i32_e32 58, v243
	s_cbranch_execz .LBB114_1217
; %bb.1216:
	s_clause 0x1
	buffer_load_dword v210, off, s[20:23], 0 offset:72
	buffer_load_dword v211, off, s[20:23], 0 offset:76
	s_lshl_b64 s[8:9], s[12:13], 2
	v_add3_u32 v0, v0, s17, 1
	s_waitcnt vmcnt(1)
	v_mul_lo_u32 v1, s15, v210
	s_waitcnt vmcnt(0)
	v_mul_lo_u32 v216, s14, v211
	v_mad_u64_u32 v[214:215], null, s14, v210, 0
	v_add3_u32 v215, v215, v216, v1
	v_lshlrev_b64 v[214:215], 2, v[214:215]
	v_add_co_u32 v1, vcc_lo, s10, v214
	v_add_co_ci_u32_e64 v216, null, s11, v215, vcc_lo
	v_lshlrev_b64 v[214:215], 2, v[243:244]
	v_add_co_u32 v1, vcc_lo, v1, s8
	v_add_co_ci_u32_e64 v216, null, s9, v216, vcc_lo
	v_add_co_u32 v214, vcc_lo, v1, v214
	v_add_co_ci_u32_e64 v215, null, v216, v215, vcc_lo
	global_store_dword v[214:215], v0, off
.LBB114_1217:
	s_or_b32 exec_lo, exec_lo, s0
	s_mov_b32 s1, exec_lo
	v_cmpx_eq_u32_e32 0, v243
	s_cbranch_execz .LBB114_1220
; %bb.1218:
	s_clause 0x1
	buffer_load_dword v0, off, s[20:23], 0 offset:72
	buffer_load_dword v1, off, s[20:23], 0 offset:76
	v_cmp_ne_u32_e64 s0, 0, v247
	s_waitcnt vmcnt(0)
	v_lshlrev_b64 v[0:1], 2, v[0:1]
	v_add_co_u32 v0, vcc_lo, s4, v0
	v_add_co_ci_u32_e64 v1, null, s5, v1, vcc_lo
	global_load_dword v214, v[0:1], off
	s_waitcnt vmcnt(0)
	v_cmp_eq_u32_e32 vcc_lo, 0, v214
	s_and_b32 s0, vcc_lo, s0
	s_and_b32 exec_lo, exec_lo, s0
	s_cbranch_execz .LBB114_1220
; %bb.1219:
	v_add_nc_u32_e32 v214, s17, v247
	global_store_dword v[0:1], v214, off
.LBB114_1220:
	s_or_b32 exec_lo, exec_lo, s1
	s_clause 0x3
	buffer_load_dword v210, off, s[20:23], 0 offset:40
	buffer_load_dword v211, off, s[20:23], 0 offset:44
	buffer_load_dword v212, off, s[20:23], 0 offset:48
	buffer_load_dword v213, off, s[20:23], 0 offset:52
	v_lshlrev_b64 v[214:215], 4, v[243:244]
	v_add3_u32 v0, s6, s6, v243
	v_ashrrev_i32_e32 v1, 31, v0
	v_add_co_u32 v214, vcc_lo, v255, v214
	v_add_co_ci_u32_e64 v215, null, v246, v215, vcc_lo
	v_add_nc_u32_e32 v216, s6, v0
	v_lshlrev_b64 v[0:1], 4, v[0:1]
	v_add_nc_u32_e32 v218, s6, v216
	v_ashrrev_i32_e32 v217, 31, v216
	v_ashrrev_i32_e32 v219, 31, v218
	v_add_nc_u32_e32 v220, s6, v218
	v_lshlrev_b64 v[216:217], 4, v[216:217]
	v_ashrrev_i32_e32 v221, 31, v220
	s_waitcnt vmcnt(0)
	global_store_dwordx4 v[214:215], v[210:213], off
	s_clause 0x3
	buffer_load_dword v210, off, s[20:23], 0 offset:24
	buffer_load_dword v211, off, s[20:23], 0 offset:28
	;; [unrolled: 1-line block ×4, first 2 shown]
	v_add_co_u32 v214, vcc_lo, v214, s2
	v_add_co_ci_u32_e64 v215, null, s3, v215, vcc_lo
	v_add_co_u32 v0, vcc_lo, v255, v0
	v_add_co_ci_u32_e64 v1, null, v246, v1, vcc_lo
	s_waitcnt vmcnt(0)
	global_store_dwordx4 v[214:215], v[210:213], off
	s_clause 0x3
	buffer_load_dword v210, off, s[20:23], 0 offset:8
	buffer_load_dword v211, off, s[20:23], 0 offset:12
	;; [unrolled: 1-line block ×4, first 2 shown]
	v_add_co_u32 v214, vcc_lo, v255, v216
	v_add_co_ci_u32_e64 v215, null, v246, v217, vcc_lo
	v_lshlrev_b64 v[216:217], 4, v[220:221]
	s_waitcnt vmcnt(0)
	global_store_dwordx4 v[0:1], v[210:213], off
	v_lshlrev_b64 v[0:1], 4, v[218:219]
	v_add_nc_u32_e32 v218, s6, v220
	global_store_dwordx4 v[214:215], v[2:5], off
	v_ashrrev_i32_e32 v219, 31, v218
	v_add_nc_u32_e32 v220, s6, v218
	v_add_co_u32 v0, vcc_lo, v255, v0
	v_add_co_ci_u32_e64 v1, null, v246, v1, vcc_lo
	v_lshlrev_b64 v[214:215], 4, v[218:219]
	v_add_co_u32 v216, vcc_lo, v255, v216
	v_add_nc_u32_e32 v210, s6, v220
	v_ashrrev_i32_e32 v221, 31, v220
	v_add_co_ci_u32_e64 v217, null, v246, v217, vcc_lo
	v_add_co_u32 v212, vcc_lo, v255, v214
	v_add_nc_u32_e32 v214, s6, v210
	global_store_dwordx4 v[0:1], v[6:9], off
	global_store_dwordx4 v[216:217], v[230:233], off
	v_lshlrev_b64 v[0:1], 4, v[220:221]
	v_ashrrev_i32_e32 v211, 31, v210
	v_add_co_ci_u32_e64 v213, null, v246, v215, vcc_lo
	v_add_nc_u32_e32 v216, s6, v214
	v_ashrrev_i32_e32 v215, 31, v214
	v_add_co_u32 v0, vcc_lo, v255, v0
	v_add_co_ci_u32_e64 v1, null, v246, v1, vcc_lo
	v_ashrrev_i32_e32 v217, 31, v216
	v_lshlrev_b64 v[210:211], 4, v[210:211]
	global_store_dwordx4 v[212:213], v[206:209], off
	global_store_dwordx4 v[0:1], v[202:205], off
	v_lshlrev_b64 v[0:1], 4, v[214:215]
	v_add_nc_u32_e32 v206, s6, v216
	v_lshlrev_b64 v[204:205], 4, v[216:217]
	v_add_co_u32 v202, vcc_lo, v255, v210
	v_add_co_ci_u32_e64 v203, null, v246, v211, vcc_lo
	v_add_co_u32 v0, vcc_lo, v255, v0
	v_add_co_ci_u32_e64 v1, null, v246, v1, vcc_lo
	v_add_co_u32 v204, vcc_lo, v255, v204
	v_add_nc_u32_e32 v208, s6, v206
	v_add_co_ci_u32_e64 v205, null, v246, v205, vcc_lo
	v_ashrrev_i32_e32 v207, 31, v206
	global_store_dwordx4 v[202:203], v[198:201], off
	global_store_dwordx4 v[0:1], v[194:197], off
	global_store_dwordx4 v[204:205], v[190:193], off
	v_add_nc_u32_e32 v190, s6, v208
	v_ashrrev_i32_e32 v209, 31, v208
	v_lshlrev_b64 v[198:199], 4, v[206:207]
	v_add_nc_u32_e32 v194, s6, v190
	v_lshlrev_b64 v[0:1], 4, v[208:209]
	v_ashrrev_i32_e32 v191, 31, v190
	v_add_co_u32 v192, vcc_lo, v255, v198
	v_add_nc_u32_e32 v196, s6, v194
	v_add_co_ci_u32_e64 v193, null, v246, v199, vcc_lo
	v_add_co_u32 v0, vcc_lo, v255, v0
	v_ashrrev_i32_e32 v195, 31, v194
	v_add_co_ci_u32_e64 v1, null, v246, v1, vcc_lo
	v_ashrrev_i32_e32 v197, 31, v196
	v_lshlrev_b64 v[190:191], 4, v[190:191]
	global_store_dwordx4 v[192:193], v[186:189], off
	global_store_dwordx4 v[0:1], v[182:185], off
	v_lshlrev_b64 v[0:1], 4, v[194:195]
	v_add_nc_u32_e32 v186, s6, v196
	v_lshlrev_b64 v[184:185], 4, v[196:197]
	v_add_co_u32 v182, vcc_lo, v255, v190
	v_add_co_ci_u32_e64 v183, null, v246, v191, vcc_lo
	v_add_co_u32 v0, vcc_lo, v255, v0
	v_add_co_ci_u32_e64 v1, null, v246, v1, vcc_lo
	v_add_co_u32 v184, vcc_lo, v255, v184
	v_add_nc_u32_e32 v188, s6, v186
	v_add_co_ci_u32_e64 v185, null, v246, v185, vcc_lo
	v_ashrrev_i32_e32 v187, 31, v186
	global_store_dwordx4 v[182:183], v[178:181], off
	global_store_dwordx4 v[0:1], v[174:177], off
	global_store_dwordx4 v[184:185], v[170:173], off
	v_add_nc_u32_e32 v170, s6, v188
	v_ashrrev_i32_e32 v189, 31, v188
	v_lshlrev_b64 v[178:179], 4, v[186:187]
	v_add_nc_u32_e32 v174, s6, v170
	v_lshlrev_b64 v[0:1], 4, v[188:189]
	v_ashrrev_i32_e32 v171, 31, v170
	v_add_co_u32 v172, vcc_lo, v255, v178
	v_add_nc_u32_e32 v176, s6, v174
	v_add_co_ci_u32_e64 v173, null, v246, v179, vcc_lo
	v_add_co_u32 v0, vcc_lo, v255, v0
	v_ashrrev_i32_e32 v175, 31, v174
	v_add_co_ci_u32_e64 v1, null, v246, v1, vcc_lo
	v_ashrrev_i32_e32 v177, 31, v176
	v_lshlrev_b64 v[170:171], 4, v[170:171]
	global_store_dwordx4 v[172:173], v[166:169], off
	global_store_dwordx4 v[0:1], v[162:165], off
	v_lshlrev_b64 v[0:1], 4, v[174:175]
	v_add_nc_u32_e32 v166, s6, v176
	v_lshlrev_b64 v[164:165], 4, v[176:177]
	v_add_co_u32 v162, vcc_lo, v255, v170
	v_add_co_ci_u32_e64 v163, null, v246, v171, vcc_lo
	v_add_co_u32 v0, vcc_lo, v255, v0
	v_add_co_ci_u32_e64 v1, null, v246, v1, vcc_lo
	v_add_co_u32 v164, vcc_lo, v255, v164
	v_add_nc_u32_e32 v168, s6, v166
	v_add_co_ci_u32_e64 v165, null, v246, v165, vcc_lo
	v_ashrrev_i32_e32 v167, 31, v166
	global_store_dwordx4 v[162:163], v[158:161], off
	global_store_dwordx4 v[0:1], v[154:157], off
	global_store_dwordx4 v[164:165], v[150:153], off
	v_add_nc_u32_e32 v150, s6, v168
	v_ashrrev_i32_e32 v169, 31, v168
	v_lshlrev_b64 v[158:159], 4, v[166:167]
	v_add_nc_u32_e32 v154, s6, v150
	v_lshlrev_b64 v[0:1], 4, v[168:169]
	v_ashrrev_i32_e32 v151, 31, v150
	v_add_co_u32 v152, vcc_lo, v255, v158
	v_add_nc_u32_e32 v156, s6, v154
	v_add_co_ci_u32_e64 v153, null, v246, v159, vcc_lo
	v_add_co_u32 v0, vcc_lo, v255, v0
	v_ashrrev_i32_e32 v155, 31, v154
	v_add_co_ci_u32_e64 v1, null, v246, v1, vcc_lo
	v_ashrrev_i32_e32 v157, 31, v156
	v_lshlrev_b64 v[150:151], 4, v[150:151]
	global_store_dwordx4 v[152:153], v[146:149], off
	global_store_dwordx4 v[0:1], v[142:145], off
	v_lshlrev_b64 v[0:1], 4, v[154:155]
	v_add_nc_u32_e32 v146, s6, v156
	v_lshlrev_b64 v[144:145], 4, v[156:157]
	v_add_co_u32 v142, vcc_lo, v255, v150
	v_add_co_ci_u32_e64 v143, null, v246, v151, vcc_lo
	v_add_co_u32 v0, vcc_lo, v255, v0
	v_add_co_ci_u32_e64 v1, null, v246, v1, vcc_lo
	v_add_co_u32 v144, vcc_lo, v255, v144
	v_add_nc_u32_e32 v148, s6, v146
	v_add_co_ci_u32_e64 v145, null, v246, v145, vcc_lo
	v_ashrrev_i32_e32 v147, 31, v146
	global_store_dwordx4 v[142:143], v[138:141], off
	global_store_dwordx4 v[0:1], v[134:137], off
	global_store_dwordx4 v[144:145], v[130:133], off
	v_add_nc_u32_e32 v130, s6, v148
	v_ashrrev_i32_e32 v149, 31, v148
	v_lshlrev_b64 v[138:139], 4, v[146:147]
	v_add_nc_u32_e32 v134, s6, v130
	v_lshlrev_b64 v[0:1], 4, v[148:149]
	v_ashrrev_i32_e32 v131, 31, v130
	v_add_co_u32 v132, vcc_lo, v255, v138
	v_add_nc_u32_e32 v136, s6, v134
	v_add_co_ci_u32_e64 v133, null, v246, v139, vcc_lo
	v_add_co_u32 v0, vcc_lo, v255, v0
	v_ashrrev_i32_e32 v135, 31, v134
	v_add_co_ci_u32_e64 v1, null, v246, v1, vcc_lo
	v_ashrrev_i32_e32 v137, 31, v136
	v_lshlrev_b64 v[130:131], 4, v[130:131]
	global_store_dwordx4 v[132:133], v[126:129], off
	global_store_dwordx4 v[0:1], v[122:125], off
	v_lshlrev_b64 v[0:1], 4, v[134:135]
	v_add_nc_u32_e32 v126, s6, v136
	v_lshlrev_b64 v[124:125], 4, v[136:137]
	v_add_co_u32 v122, vcc_lo, v255, v130
	v_add_co_ci_u32_e64 v123, null, v246, v131, vcc_lo
	v_add_co_u32 v0, vcc_lo, v255, v0
	v_add_co_ci_u32_e64 v1, null, v246, v1, vcc_lo
	v_add_co_u32 v124, vcc_lo, v255, v124
	v_add_nc_u32_e32 v128, s6, v126
	v_add_co_ci_u32_e64 v125, null, v246, v125, vcc_lo
	v_ashrrev_i32_e32 v127, 31, v126
	global_store_dwordx4 v[122:123], v[118:121], off
	global_store_dwordx4 v[0:1], v[114:117], off
	global_store_dwordx4 v[124:125], v[110:113], off
	v_add_nc_u32_e32 v110, s6, v128
	v_ashrrev_i32_e32 v129, 31, v128
	v_lshlrev_b64 v[118:119], 4, v[126:127]
	v_add_nc_u32_e32 v114, s6, v110
	v_lshlrev_b64 v[0:1], 4, v[128:129]
	v_ashrrev_i32_e32 v111, 31, v110
	v_add_co_u32 v112, vcc_lo, v255, v118
	v_add_nc_u32_e32 v116, s6, v114
	v_add_co_ci_u32_e64 v113, null, v246, v119, vcc_lo
	v_add_co_u32 v0, vcc_lo, v255, v0
	v_ashrrev_i32_e32 v115, 31, v114
	v_add_co_ci_u32_e64 v1, null, v246, v1, vcc_lo
	v_ashrrev_i32_e32 v117, 31, v116
	v_lshlrev_b64 v[110:111], 4, v[110:111]
	global_store_dwordx4 v[112:113], v[106:109], off
	global_store_dwordx4 v[0:1], v[102:105], off
	v_lshlrev_b64 v[0:1], 4, v[114:115]
	v_add_nc_u32_e32 v106, s6, v116
	v_lshlrev_b64 v[104:105], 4, v[116:117]
	v_add_co_u32 v102, vcc_lo, v255, v110
	v_add_co_ci_u32_e64 v103, null, v246, v111, vcc_lo
	v_add_co_u32 v0, vcc_lo, v255, v0
	v_add_co_ci_u32_e64 v1, null, v246, v1, vcc_lo
	v_add_co_u32 v104, vcc_lo, v255, v104
	v_add_nc_u32_e32 v108, s6, v106
	v_add_co_ci_u32_e64 v105, null, v246, v105, vcc_lo
	v_ashrrev_i32_e32 v107, 31, v106
	global_store_dwordx4 v[102:103], v[98:101], off
	global_store_dwordx4 v[0:1], v[94:97], off
	global_store_dwordx4 v[104:105], v[90:93], off
	v_add_nc_u32_e32 v90, s6, v108
	v_ashrrev_i32_e32 v109, 31, v108
	v_lshlrev_b64 v[98:99], 4, v[106:107]
	v_add_nc_u32_e32 v94, s6, v90
	v_lshlrev_b64 v[0:1], 4, v[108:109]
	v_ashrrev_i32_e32 v91, 31, v90
	v_add_co_u32 v92, vcc_lo, v255, v98
	v_add_nc_u32_e32 v96, s6, v94
	v_add_co_ci_u32_e64 v93, null, v246, v99, vcc_lo
	v_add_co_u32 v0, vcc_lo, v255, v0
	v_ashrrev_i32_e32 v95, 31, v94
	v_add_co_ci_u32_e64 v1, null, v246, v1, vcc_lo
	v_ashrrev_i32_e32 v97, 31, v96
	v_lshlrev_b64 v[90:91], 4, v[90:91]
	global_store_dwordx4 v[92:93], v[86:89], off
	global_store_dwordx4 v[0:1], v[82:85], off
	v_lshlrev_b64 v[0:1], 4, v[94:95]
	v_add_nc_u32_e32 v86, s6, v96
	v_lshlrev_b64 v[84:85], 4, v[96:97]
	v_add_co_u32 v82, vcc_lo, v255, v90
	v_add_co_ci_u32_e64 v83, null, v246, v91, vcc_lo
	v_add_co_u32 v0, vcc_lo, v255, v0
	v_add_co_ci_u32_e64 v1, null, v246, v1, vcc_lo
	v_add_co_u32 v84, vcc_lo, v255, v84
	v_add_nc_u32_e32 v88, s6, v86
	v_add_co_ci_u32_e64 v85, null, v246, v85, vcc_lo
	v_ashrrev_i32_e32 v87, 31, v86
	global_store_dwordx4 v[82:83], v[78:81], off
	global_store_dwordx4 v[0:1], v[74:77], off
	global_store_dwordx4 v[84:85], v[70:73], off
	v_add_nc_u32_e32 v70, s6, v88
	v_ashrrev_i32_e32 v89, 31, v88
	v_lshlrev_b64 v[78:79], 4, v[86:87]
	v_add_nc_u32_e32 v74, s6, v70
	v_lshlrev_b64 v[0:1], 4, v[88:89]
	v_ashrrev_i32_e32 v71, 31, v70
	v_add_co_u32 v72, vcc_lo, v255, v78
	v_add_nc_u32_e32 v76, s6, v74
	v_add_co_ci_u32_e64 v73, null, v246, v79, vcc_lo
	v_add_co_u32 v0, vcc_lo, v255, v0
	v_ashrrev_i32_e32 v75, 31, v74
	v_add_co_ci_u32_e64 v1, null, v246, v1, vcc_lo
	v_ashrrev_i32_e32 v77, 31, v76
	v_lshlrev_b64 v[70:71], 4, v[70:71]
	global_store_dwordx4 v[72:73], v[66:69], off
	global_store_dwordx4 v[0:1], v[62:65], off
	v_lshlrev_b64 v[0:1], 4, v[74:75]
	v_add_nc_u32_e32 v66, s6, v76
	v_lshlrev_b64 v[64:65], 4, v[76:77]
	v_add_co_u32 v62, vcc_lo, v255, v70
	v_add_co_ci_u32_e64 v63, null, v246, v71, vcc_lo
	v_add_co_u32 v0, vcc_lo, v255, v0
	v_add_co_ci_u32_e64 v1, null, v246, v1, vcc_lo
	v_add_co_u32 v64, vcc_lo, v255, v64
	v_add_nc_u32_e32 v68, s6, v66
	v_add_co_ci_u32_e64 v65, null, v246, v65, vcc_lo
	v_ashrrev_i32_e32 v67, 31, v66
	global_store_dwordx4 v[62:63], v[58:61], off
	global_store_dwordx4 v[0:1], v[54:57], off
	global_store_dwordx4 v[64:65], v[50:53], off
	v_add_nc_u32_e32 v50, s6, v68
	v_ashrrev_i32_e32 v69, 31, v68
	v_lshlrev_b64 v[58:59], 4, v[66:67]
	v_add_nc_u32_e32 v54, s6, v50
	v_lshlrev_b64 v[0:1], 4, v[68:69]
	v_ashrrev_i32_e32 v51, 31, v50
	v_add_co_u32 v52, vcc_lo, v255, v58
	v_add_nc_u32_e32 v56, s6, v54
	v_add_co_ci_u32_e64 v53, null, v246, v59, vcc_lo
	v_add_co_u32 v0, vcc_lo, v255, v0
	v_ashrrev_i32_e32 v55, 31, v54
	v_add_co_ci_u32_e64 v1, null, v246, v1, vcc_lo
	v_ashrrev_i32_e32 v57, 31, v56
	v_lshlrev_b64 v[50:51], 4, v[50:51]
	global_store_dwordx4 v[52:53], v[46:49], off
	global_store_dwordx4 v[0:1], v[42:45], off
	v_lshlrev_b64 v[0:1], 4, v[54:55]
	v_add_nc_u32_e32 v46, s6, v56
	v_lshlrev_b64 v[44:45], 4, v[56:57]
	v_add_co_u32 v42, vcc_lo, v255, v50
	v_add_co_ci_u32_e64 v43, null, v246, v51, vcc_lo
	v_add_co_u32 v0, vcc_lo, v255, v0
	v_add_nc_u32_e32 v48, s6, v46
	v_add_co_ci_u32_e64 v1, null, v246, v1, vcc_lo
	v_add_co_u32 v44, vcc_lo, v255, v44
	v_ashrrev_i32_e32 v47, 31, v46
	v_add_co_ci_u32_e64 v45, null, v246, v45, vcc_lo
	v_ashrrev_i32_e32 v49, 31, v48
	global_store_dwordx4 v[42:43], v[38:41], off
	v_lshlrev_b64 v[38:39], 4, v[46:47]
	global_store_dwordx4 v[0:1], v[34:37], off
	global_store_dwordx4 v[44:45], v[30:33], off
	v_add_nc_u32_e32 v30, s6, v48
	v_lshlrev_b64 v[0:1], 4, v[48:49]
	v_add_co_u32 v32, vcc_lo, v255, v38
	v_add_nc_u32_e32 v34, s6, v30
	v_add_co_ci_u32_e64 v33, null, v246, v39, vcc_lo
	v_add_co_u32 v0, vcc_lo, v255, v0
	v_add_co_ci_u32_e64 v1, null, v246, v1, vcc_lo
	v_add_nc_u32_e32 v36, s6, v34
	v_ashrrev_i32_e32 v31, 31, v30
	global_store_dwordx4 v[32:33], v[26:29], off
	global_store_dwordx4 v[0:1], v[22:25], off
	v_ashrrev_i32_e32 v35, 31, v34
	v_add_nc_u32_e32 v22, s6, v36
	v_lshlrev_b64 v[26:27], 4, v[30:31]
	v_ashrrev_i32_e32 v37, 31, v36
	v_lshlrev_b64 v[0:1], 4, v[34:35]
	v_add_nc_u32_e32 v28, s6, v22
	v_ashrrev_i32_e32 v23, 31, v22
	v_add_co_u32 v24, vcc_lo, v255, v26
	v_add_co_ci_u32_e64 v25, null, v246, v27, vcc_lo
	v_ashrrev_i32_e32 v29, 31, v28
	v_lshlrev_b64 v[26:27], 4, v[36:37]
	v_lshlrev_b64 v[22:23], 4, v[22:23]
	v_add_co_u32 v0, vcc_lo, v255, v0
	v_lshlrev_b64 v[28:29], 4, v[28:29]
	v_add_co_ci_u32_e64 v1, null, v246, v1, vcc_lo
	v_add_co_u32 v26, vcc_lo, v255, v26
	v_add_co_ci_u32_e64 v27, null, v246, v27, vcc_lo
	v_add_co_u32 v22, vcc_lo, v255, v22
	;; [unrolled: 2-line block ×3, first 2 shown]
	v_add_co_ci_u32_e64 v29, null, v246, v29, vcc_lo
	global_store_dwordx4 v[24:25], v[18:21], off
	global_store_dwordx4 v[0:1], v[14:17], off
	global_store_dwordx4 v[26:27], v[10:13], off
	global_store_dwordx4 v[22:23], v[238:241], off
	global_store_dwordx4 v[28:29], v[226:229], off
.LBB114_1221:
	s_endpgm
	.section	.rodata,"a",@progbits
	.p2align	6, 0x0
	.amdhsa_kernel _ZN9rocsolver6v33100L18getf2_small_kernelILi58E19rocblas_complex_numIdEiiPS3_EEvT1_T3_lS5_lPS5_llPT2_S5_S5_S7_l
		.amdhsa_group_segment_fixed_size 0
		.amdhsa_private_segment_fixed_size 84
		.amdhsa_kernarg_size 352
		.amdhsa_user_sgpr_count 6
		.amdhsa_user_sgpr_private_segment_buffer 1
		.amdhsa_user_sgpr_dispatch_ptr 0
		.amdhsa_user_sgpr_queue_ptr 0
		.amdhsa_user_sgpr_kernarg_segment_ptr 1
		.amdhsa_user_sgpr_dispatch_id 0
		.amdhsa_user_sgpr_flat_scratch_init 0
		.amdhsa_user_sgpr_private_segment_size 0
		.amdhsa_wavefront_size32 1
		.amdhsa_uses_dynamic_stack 0
		.amdhsa_system_sgpr_private_segment_wavefront_offset 1
		.amdhsa_system_sgpr_workgroup_id_x 1
		.amdhsa_system_sgpr_workgroup_id_y 1
		.amdhsa_system_sgpr_workgroup_id_z 0
		.amdhsa_system_sgpr_workgroup_info 0
		.amdhsa_system_vgpr_workitem_id 1
		.amdhsa_next_free_vgpr 256
		.amdhsa_next_free_sgpr 24
		.amdhsa_reserve_vcc 1
		.amdhsa_reserve_flat_scratch 0
		.amdhsa_float_round_mode_32 0
		.amdhsa_float_round_mode_16_64 0
		.amdhsa_float_denorm_mode_32 3
		.amdhsa_float_denorm_mode_16_64 3
		.amdhsa_dx10_clamp 1
		.amdhsa_ieee_mode 1
		.amdhsa_fp16_overflow 0
		.amdhsa_workgroup_processor_mode 1
		.amdhsa_memory_ordered 1
		.amdhsa_forward_progress 1
		.amdhsa_shared_vgpr_count 0
		.amdhsa_exception_fp_ieee_invalid_op 0
		.amdhsa_exception_fp_denorm_src 0
		.amdhsa_exception_fp_ieee_div_zero 0
		.amdhsa_exception_fp_ieee_overflow 0
		.amdhsa_exception_fp_ieee_underflow 0
		.amdhsa_exception_fp_ieee_inexact 0
		.amdhsa_exception_int_div_zero 0
	.end_amdhsa_kernel
	.section	.text._ZN9rocsolver6v33100L18getf2_small_kernelILi58E19rocblas_complex_numIdEiiPS3_EEvT1_T3_lS5_lPS5_llPT2_S5_S5_S7_l,"axG",@progbits,_ZN9rocsolver6v33100L18getf2_small_kernelILi58E19rocblas_complex_numIdEiiPS3_EEvT1_T3_lS5_lPS5_llPT2_S5_S5_S7_l,comdat
.Lfunc_end114:
	.size	_ZN9rocsolver6v33100L18getf2_small_kernelILi58E19rocblas_complex_numIdEiiPS3_EEvT1_T3_lS5_lPS5_llPT2_S5_S5_S7_l, .Lfunc_end114-_ZN9rocsolver6v33100L18getf2_small_kernelILi58E19rocblas_complex_numIdEiiPS3_EEvT1_T3_lS5_lPS5_llPT2_S5_S5_S7_l
                                        ; -- End function
	.set _ZN9rocsolver6v33100L18getf2_small_kernelILi58E19rocblas_complex_numIdEiiPS3_EEvT1_T3_lS5_lPS5_llPT2_S5_S5_S7_l.num_vgpr, 256
	.set _ZN9rocsolver6v33100L18getf2_small_kernelILi58E19rocblas_complex_numIdEiiPS3_EEvT1_T3_lS5_lPS5_llPT2_S5_S5_S7_l.num_agpr, 0
	.set _ZN9rocsolver6v33100L18getf2_small_kernelILi58E19rocblas_complex_numIdEiiPS3_EEvT1_T3_lS5_lPS5_llPT2_S5_S5_S7_l.numbered_sgpr, 24
	.set _ZN9rocsolver6v33100L18getf2_small_kernelILi58E19rocblas_complex_numIdEiiPS3_EEvT1_T3_lS5_lPS5_llPT2_S5_S5_S7_l.num_named_barrier, 0
	.set _ZN9rocsolver6v33100L18getf2_small_kernelILi58E19rocblas_complex_numIdEiiPS3_EEvT1_T3_lS5_lPS5_llPT2_S5_S5_S7_l.private_seg_size, 84
	.set _ZN9rocsolver6v33100L18getf2_small_kernelILi58E19rocblas_complex_numIdEiiPS3_EEvT1_T3_lS5_lPS5_llPT2_S5_S5_S7_l.uses_vcc, 1
	.set _ZN9rocsolver6v33100L18getf2_small_kernelILi58E19rocblas_complex_numIdEiiPS3_EEvT1_T3_lS5_lPS5_llPT2_S5_S5_S7_l.uses_flat_scratch, 0
	.set _ZN9rocsolver6v33100L18getf2_small_kernelILi58E19rocblas_complex_numIdEiiPS3_EEvT1_T3_lS5_lPS5_llPT2_S5_S5_S7_l.has_dyn_sized_stack, 0
	.set _ZN9rocsolver6v33100L18getf2_small_kernelILi58E19rocblas_complex_numIdEiiPS3_EEvT1_T3_lS5_lPS5_llPT2_S5_S5_S7_l.has_recursion, 0
	.set _ZN9rocsolver6v33100L18getf2_small_kernelILi58E19rocblas_complex_numIdEiiPS3_EEvT1_T3_lS5_lPS5_llPT2_S5_S5_S7_l.has_indirect_call, 0
	.section	.AMDGPU.csdata,"",@progbits
; Kernel info:
; codeLenInByte = 176472
; TotalNumSgprs: 26
; NumVgprs: 256
; ScratchSize: 84
; MemoryBound: 0
; FloatMode: 240
; IeeeMode: 1
; LDSByteSize: 0 bytes/workgroup (compile time only)
; SGPRBlocks: 0
; VGPRBlocks: 31
; NumSGPRsForWavesPerEU: 26
; NumVGPRsForWavesPerEU: 256
; Occupancy: 4
; WaveLimiterHint : 0
; COMPUTE_PGM_RSRC2:SCRATCH_EN: 1
; COMPUTE_PGM_RSRC2:USER_SGPR: 6
; COMPUTE_PGM_RSRC2:TRAP_HANDLER: 0
; COMPUTE_PGM_RSRC2:TGID_X_EN: 1
; COMPUTE_PGM_RSRC2:TGID_Y_EN: 1
; COMPUTE_PGM_RSRC2:TGID_Z_EN: 0
; COMPUTE_PGM_RSRC2:TIDIG_COMP_CNT: 1
	.section	.text._ZN9rocsolver6v33100L23getf2_npvt_small_kernelILi58E19rocblas_complex_numIdEiiPS3_EEvT1_T3_lS5_lPT2_S5_S5_,"axG",@progbits,_ZN9rocsolver6v33100L23getf2_npvt_small_kernelILi58E19rocblas_complex_numIdEiiPS3_EEvT1_T3_lS5_lPT2_S5_S5_,comdat
	.globl	_ZN9rocsolver6v33100L23getf2_npvt_small_kernelILi58E19rocblas_complex_numIdEiiPS3_EEvT1_T3_lS5_lPT2_S5_S5_ ; -- Begin function _ZN9rocsolver6v33100L23getf2_npvt_small_kernelILi58E19rocblas_complex_numIdEiiPS3_EEvT1_T3_lS5_lPT2_S5_S5_
	.p2align	8
	.type	_ZN9rocsolver6v33100L23getf2_npvt_small_kernelILi58E19rocblas_complex_numIdEiiPS3_EEvT1_T3_lS5_lPT2_S5_S5_,@function
_ZN9rocsolver6v33100L23getf2_npvt_small_kernelILi58E19rocblas_complex_numIdEiiPS3_EEvT1_T3_lS5_lPT2_S5_S5_: ; @_ZN9rocsolver6v33100L23getf2_npvt_small_kernelILi58E19rocblas_complex_numIdEiiPS3_EEvT1_T3_lS5_lPT2_S5_S5_
; %bb.0:
	s_mov_b64 s[18:19], s[2:3]
	s_mov_b64 s[16:17], s[0:1]
	s_clause 0x1
	s_load_dword s0, s[4:5], 0x44
	s_load_dwordx2 s[12:13], s[4:5], 0x30
	s_add_u32 s16, s16, s8
	s_addc_u32 s17, s17, 0
	s_waitcnt lgkmcnt(0)
	s_lshr_b32 s14, s0, 16
	s_mov_b32 s0, exec_lo
	v_mad_u64_u32 v[199:200], null, s7, s14, v[1:2]
	v_cmpx_gt_i32_e64 s12, v199
	s_cbranch_execnz .LBB115_1
; %bb.528:
	s_getpc_b64 s[20:21]
.Lpost_getpc17:
	s_add_u32 s20, s20, (.LBB115_527-.Lpost_getpc17)&4294967295
	s_addc_u32 s21, s21, (.LBB115_527-.Lpost_getpc17)>>32
	s_setpc_b64 s[20:21]
.LBB115_1:
	s_clause 0x2
	s_load_dwordx4 s[8:11], s[4:5], 0x20
	s_load_dword s6, s[4:5], 0x18
	s_load_dwordx4 s[0:3], s[4:5], 0x8
	v_ashrrev_i32_e32 v200, 31, v199
	v_mad_u32_u24 v253, 0x3a0, v1, 0
	v_lshlrev_b32_e32 v1, 4, v1
	s_mulk_i32 s14, 0x3a0
	v_add3_u32 v255, 0, s14, v1
	s_waitcnt lgkmcnt(0)
	v_mul_lo_u32 v5, s9, v199
	v_mul_lo_u32 v7, s8, v200
	v_mad_u64_u32 v[2:3], null, s8, v199, 0
	v_add3_u32 v4, s6, s6, v0
	s_lshl_b64 s[2:3], s[2:3], 4
	s_ashr_i32 s7, s6, 31
	v_add_nc_u32_e32 v6, s6, v4
	v_add3_u32 v3, v3, v7, v5
	v_ashrrev_i32_e32 v5, 31, v4
	v_add_nc_u32_e32 v8, s6, v6
	v_lshlrev_b64 v[2:3], 4, v[2:3]
	v_ashrrev_i32_e32 v7, 31, v6
	v_lshlrev_b64 v[4:5], 4, v[4:5]
	v_add_nc_u32_e32 v10, s6, v8
	v_ashrrev_i32_e32 v9, 31, v8
	v_add_co_u32 v2, vcc_lo, s0, v2
	v_add_co_ci_u32_e64 v3, null, s1, v3, vcc_lo
	v_add_nc_u32_e32 v12, s6, v10
	v_add_co_u32 v2, vcc_lo, v2, s2
	v_lshlrev_b64 v[6:7], 4, v[6:7]
	v_ashrrev_i32_e32 v11, 31, v10
	v_add_co_ci_u32_e64 v3, null, s3, v3, vcc_lo
	v_add_nc_u32_e32 v14, s6, v12
	v_lshlrev_b64 v[8:9], 4, v[8:9]
	v_ashrrev_i32_e32 v13, 31, v12
	v_add_co_u32 v78, vcc_lo, v2, v4
	v_lshlrev_b64 v[10:11], 4, v[10:11]
	v_add_co_ci_u32_e64 v79, null, v3, v5, vcc_lo
	v_add_co_u32 v16, vcc_lo, v2, v6
	v_add_nc_u32_e32 v6, s6, v14
	v_lshlrev_b64 v[4:5], 4, v[12:13]
	v_ashrrev_i32_e32 v15, 31, v14
	v_add_co_ci_u32_e64 v17, null, v3, v7, vcc_lo
	v_add_co_u32 v207, vcc_lo, v2, v8
	v_add_co_ci_u32_e64 v208, null, v3, v9, vcc_lo
	v_add_co_u32 v80, vcc_lo, v2, v10
	v_ashrrev_i32_e32 v7, 31, v6
	v_add_nc_u32_e32 v10, s6, v6
	v_lshlrev_b64 v[8:9], 4, v[14:15]
	v_add_co_ci_u32_e64 v81, null, v3, v11, vcc_lo
	v_add_co_u32 v84, vcc_lo, v2, v4
	v_add_co_ci_u32_e64 v85, null, v3, v5, vcc_lo
	v_lshlrev_b64 v[4:5], 4, v[6:7]
	v_ashrrev_i32_e32 v11, 31, v10
	v_add_nc_u32_e32 v6, s6, v10
	v_add_co_u32 v82, vcc_lo, v2, v8
	v_add_co_ci_u32_e64 v83, null, v3, v9, vcc_lo
	v_lshlrev_b64 v[8:9], 4, v[10:11]
	v_ashrrev_i32_e32 v7, 31, v6
	v_add_nc_u32_e32 v10, s6, v6
	;; [unrolled: 5-line block ×47, first 2 shown]
	v_add_co_u32 v233, vcc_lo, v2, v8
	v_add_co_ci_u32_e64 v234, null, v3, v9, vcc_lo
	v_lshlrev_b64 v[8:9], 4, v[10:11]
	v_add_nc_u32_e32 v10, s6, v6
	v_ashrrev_i32_e32 v7, 31, v6
	v_add_co_u32 v239, vcc_lo, v2, v4
	v_add_co_ci_u32_e64 v240, null, v3, v5, vcc_lo
	v_ashrrev_i32_e32 v11, 31, v10
	v_lshlrev_b64 v[4:5], 4, v[6:7]
	v_add_co_u32 v8, vcc_lo, v2, v8
	v_add_co_ci_u32_e64 v9, null, v3, v9, vcc_lo
	v_lshlrev_b64 v[6:7], 4, v[10:11]
	v_add_co_u32 v235, vcc_lo, v2, v4
	v_lshlrev_b32_e32 v4, 4, v0
	v_add_co_ci_u32_e64 v236, null, v3, v5, vcc_lo
	v_add_co_u32 v237, vcc_lo, v2, v6
	v_add_co_ci_u32_e64 v238, null, v3, v7, vcc_lo
	v_add_co_u32 v2, vcc_lo, v2, v4
	v_add_co_ci_u32_e64 v3, null, 0, v3, vcc_lo
	s_lshl_b64 s[0:1], s[6:7], 4
	v_add_co_u32 v4, vcc_lo, v2, s0
	v_add_co_ci_u32_e64 v5, null, s1, v3, vcc_lo
	buffer_store_dword v2, off, s[16:19], 0 offset:448 ; 4-byte Folded Spill
	buffer_store_dword v3, off, s[16:19], 0 offset:452 ; 4-byte Folded Spill
	v_cmp_ne_u32_e64 s1, 0, v0
	v_cmp_eq_u32_e64 s0, 0, v0
	global_load_dwordx4 v[10:13], v[2:3], off
	buffer_store_dword v4, off, s[16:19], 0 offset:480 ; 4-byte Folded Spill
	buffer_store_dword v5, off, s[16:19], 0 offset:484 ; 4-byte Folded Spill
	global_load_dwordx4 v[245:248], v[4:5], off
	buffer_store_dword v78, off, s[16:19], 0 offset:464 ; 4-byte Folded Spill
	buffer_store_dword v79, off, s[16:19], 0 offset:468 ; 4-byte Folded Spill
	;; [unrolled: 3-line block ×3, first 2 shown]
	s_clause 0x1
	global_load_dwordx4 v[195:198], v[16:17], off
	global_load_dwordx4 v[201:204], v[207:208], off
	buffer_store_dword v80, off, s[16:19], 0 offset:456 ; 4-byte Folded Spill
	buffer_store_dword v81, off, s[16:19], 0 offset:460 ; 4-byte Folded Spill
	global_load_dwordx4 v[241:244], v[80:81], off
	buffer_store_dword v84, off, s[16:19], 0 offset:40 ; 4-byte Folded Spill
	buffer_store_dword v85, off, s[16:19], 0 offset:44 ; 4-byte Folded Spill
	;; [unrolled: 3-line block ×3, first 2 shown]
	global_load_dwordx4 v[1:4], v[82:83], off
	s_waitcnt vmcnt(0)
	buffer_store_dword v1, off, s[16:19], 0 offset:16 ; 4-byte Folded Spill
	buffer_store_dword v2, off, s[16:19], 0 offset:20 ; 4-byte Folded Spill
	;; [unrolled: 1-line block ×6, first 2 shown]
	global_load_dwordx4 v[1:4], v[14:15], off
	s_waitcnt vmcnt(0)
	buffer_store_dword v1, off, s[16:19], 0 ; 4-byte Folded Spill
	buffer_store_dword v2, off, s[16:19], 0 offset:4 ; 4-byte Folded Spill
	buffer_store_dword v3, off, s[16:19], 0 offset:8 ; 4-byte Folded Spill
	;; [unrolled: 1-line block ×5, first 2 shown]
	global_load_dwordx4 v[1:4], v[18:19], off
	buffer_store_dword v20, off, s[16:19], 0 offset:64 ; 4-byte Folded Spill
	buffer_store_dword v21, off, s[16:19], 0 offset:68 ; 4-byte Folded Spill
	global_load_dwordx4 v[189:192], v[20:21], off
	buffer_store_dword v22, off, s[16:19], 0 offset:72 ; 4-byte Folded Spill
	buffer_store_dword v23, off, s[16:19], 0 offset:76 ; 4-byte Folded Spill
	;; [unrolled: 3-line block ×34, first 2 shown]
	s_waitcnt vmcnt(33)
	v_mov_b32_e32 v212, v4
	v_mov_b32_e32 v211, v3
	;; [unrolled: 1-line block ×4, first 2 shown]
	global_load_dwordx4 v[1:4], v[213:214], off
	buffer_store_dword v215, off, s[16:19], 0 offset:328 ; 4-byte Folded Spill
	buffer_store_dword v216, off, s[16:19], 0 offset:332 ; 4-byte Folded Spill
	global_load_dwordx4 v[53:56], v[215:216], off
	buffer_store_dword v217, off, s[16:19], 0 offset:336 ; 4-byte Folded Spill
	buffer_store_dword v218, off, s[16:19], 0 offset:340 ; 4-byte Folded Spill
	;; [unrolled: 3-line block ×8, first 2 shown]
	v_mov_b32_e32 v228, v198
	v_mov_b32_e32 v227, v197
	;; [unrolled: 1-line block ×4, first 2 shown]
	global_load_dwordx4 v[25:28], v[229:230], off
	buffer_store_dword v231, off, s[16:19], 0 offset:392 ; 4-byte Folded Spill
	buffer_store_dword v232, off, s[16:19], 0 offset:396 ; 4-byte Folded Spill
	global_load_dwordx4 v[21:24], v[231:232], off
	buffer_store_dword v233, off, s[16:19], 0 offset:400 ; 4-byte Folded Spill
	buffer_store_dword v234, off, s[16:19], 0 offset:404 ; 4-byte Folded Spill
	v_mov_b32_e32 v232, v204
	v_mov_b32_e32 v231, v203
	;; [unrolled: 1-line block ×16, first 2 shown]
	global_load_dwordx4 v[17:20], v[233:234], off
	buffer_store_dword v239, off, s[16:19], 0 offset:432 ; 4-byte Folded Spill
	buffer_store_dword v240, off, s[16:19], 0 offset:436 ; 4-byte Folded Spill
	global_load_dwordx4 v[13:16], v[239:240], off
	buffer_store_dword v8, off, s[16:19], 0 offset:408 ; 4-byte Folded Spill
	buffer_store_dword v9, off, s[16:19], 0 offset:412 ; 4-byte Folded Spill
	;; [unrolled: 3-line block ×4, first 2 shown]
	v_mov_b32_e32 v236, v112
	v_mov_b32_e32 v235, v111
	v_mov_b32_e32 v234, v110
	v_mov_b32_e32 v233, v109
	s_waitcnt vmcnt(26)
	v_mov_b32_e32 v112, v108
	v_mov_b32_e32 v111, v107
	v_mov_b32_e32 v110, v106
	v_mov_b32_e32 v109, v105
	s_waitcnt vmcnt(25)
	v_mov_b32_e32 v108, v104
	v_mov_b32_e32 v107, v103
	v_mov_b32_e32 v106, v102
	v_mov_b32_e32 v105, v101
	s_waitcnt vmcnt(24)
	v_mov_b32_e32 v104, v100
	v_mov_b32_e32 v103, v99
	v_mov_b32_e32 v102, v98
	v_mov_b32_e32 v101, v97
	s_waitcnt vmcnt(23)
	v_mov_b32_e32 v100, v96
	v_mov_b32_e32 v99, v95
	v_mov_b32_e32 v98, v94
	v_mov_b32_e32 v97, v93
	s_waitcnt vmcnt(22)
	v_mov_b32_e32 v96, v92
	v_mov_b32_e32 v95, v91
	v_mov_b32_e32 v94, v90
	v_mov_b32_e32 v93, v89
	s_waitcnt vmcnt(21)
	v_mov_b32_e32 v92, v88
	v_mov_b32_e32 v91, v87
	v_mov_b32_e32 v90, v86
	v_mov_b32_e32 v89, v85
	s_waitcnt vmcnt(20)
	v_mov_b32_e32 v88, v84
	v_mov_b32_e32 v87, v83
	v_mov_b32_e32 v86, v82
	v_mov_b32_e32 v85, v81
	s_waitcnt vmcnt(19)
	v_mov_b32_e32 v84, v80
	v_mov_b32_e32 v83, v79
	v_mov_b32_e32 v82, v78
	v_mov_b32_e32 v81, v77
	s_waitcnt vmcnt(18)
	v_mov_b32_e32 v80, v76
	v_mov_b32_e32 v79, v75
	v_mov_b32_e32 v78, v74
	v_mov_b32_e32 v77, v73
	s_waitcnt vmcnt(17)
	v_mov_b32_e32 v76, v72
	v_mov_b32_e32 v75, v71
	v_mov_b32_e32 v74, v70
	v_mov_b32_e32 v73, v69
	s_waitcnt vmcnt(16)
	v_mov_b32_e32 v72, v68
	v_mov_b32_e32 v71, v67
	v_mov_b32_e32 v70, v66
	v_mov_b32_e32 v69, v65
	s_waitcnt vmcnt(15)
	v_mov_b32_e32 v68, v64
	v_mov_b32_e32 v67, v63
	v_mov_b32_e32 v66, v62
	v_mov_b32_e32 v65, v61
	s_waitcnt vmcnt(14)
	v_mov_b32_e32 v64, v60
	v_mov_b32_e32 v63, v59
	v_mov_b32_e32 v62, v58
	v_mov_b32_e32 v61, v57
	s_waitcnt vmcnt(13)
	v_mov_b32_e32 v60, v4
	v_mov_b32_e32 v59, v3
	;; [unrolled: 1-line block ×4, first 2 shown]
	global_load_dwordx4 v[1:4], v[237:238], off
	v_mov_b32_e32 v237, v241
	v_mov_b32_e32 v238, v242
	;; [unrolled: 1-line block ×4, first 2 shown]
	s_and_saveexec_b32 s3, s0
	s_cbranch_execz .LBB115_8
; %bb.2:
	ds_write2_b64 v255, v[245:246], v[247:248] offset1:1
	ds_write2_b64 v253, v[249:250], v[251:252] offset0:2 offset1:3
	ds_write2_b64 v253, v[201:202], v[203:204] offset0:4 offset1:5
	;; [unrolled: 1-line block ×6, first 2 shown]
	s_clause 0x3
	buffer_load_dword v193, off, s[16:19], 0 offset:16
	buffer_load_dword v194, off, s[16:19], 0 offset:20
	;; [unrolled: 1-line block ×4, first 2 shown]
	s_waitcnt vmcnt(0)
	ds_write2_b64 v253, v[193:194], v[195:196] offset0:14 offset1:15
	s_clause 0x3
	buffer_load_dword v193, off, s[16:19], 0
	buffer_load_dword v194, off, s[16:19], 0 offset:4
	buffer_load_dword v195, off, s[16:19], 0 offset:8
	;; [unrolled: 1-line block ×3, first 2 shown]
	s_waitcnt vmcnt(0)
	ds_write2_b64 v253, v[193:194], v[195:196] offset0:16 offset1:17
	ds_write2_b64 v253, v[209:210], v[211:212] offset0:18 offset1:19
	;; [unrolled: 1-line block ×50, first 2 shown]
	ds_read2_b64 v[213:216], v255 offset1:1
	s_waitcnt lgkmcnt(0)
	v_cmp_neq_f64_e32 vcc_lo, 0, v[213:214]
	v_cmp_neq_f64_e64 s2, 0, v[215:216]
	s_or_b32 s2, vcc_lo, s2
	s_and_b32 exec_lo, exec_lo, s2
	s_cbranch_execz .LBB115_8
; %bb.3:
	v_cmp_ngt_f64_e64 s2, |v[213:214]|, |v[215:216]|
                                        ; implicit-def: $vgpr217_vgpr218
	s_and_saveexec_b32 s4, s2
	s_xor_b32 s2, exec_lo, s4
                                        ; implicit-def: $vgpr219_vgpr220
	s_cbranch_execz .LBB115_5
; %bb.4:
	v_div_scale_f64 v[217:218], null, v[215:216], v[215:216], v[213:214]
	v_div_scale_f64 v[223:224], vcc_lo, v[213:214], v[215:216], v[213:214]
	v_rcp_f64_e32 v[219:220], v[217:218]
	v_fma_f64 v[221:222], -v[217:218], v[219:220], 1.0
	v_fma_f64 v[219:220], v[219:220], v[221:222], v[219:220]
	v_fma_f64 v[221:222], -v[217:218], v[219:220], 1.0
	v_fma_f64 v[219:220], v[219:220], v[221:222], v[219:220]
	v_mul_f64 v[221:222], v[223:224], v[219:220]
	v_fma_f64 v[217:218], -v[217:218], v[221:222], v[223:224]
	v_div_fmas_f64 v[217:218], v[217:218], v[219:220], v[221:222]
	v_div_fixup_f64 v[217:218], v[217:218], v[215:216], v[213:214]
	v_fma_f64 v[213:214], v[213:214], v[217:218], v[215:216]
	v_div_scale_f64 v[215:216], null, v[213:214], v[213:214], 1.0
	v_rcp_f64_e32 v[219:220], v[215:216]
	v_fma_f64 v[221:222], -v[215:216], v[219:220], 1.0
	v_fma_f64 v[219:220], v[219:220], v[221:222], v[219:220]
	v_fma_f64 v[221:222], -v[215:216], v[219:220], 1.0
	v_fma_f64 v[219:220], v[219:220], v[221:222], v[219:220]
	v_div_scale_f64 v[221:222], vcc_lo, 1.0, v[213:214], 1.0
	v_mul_f64 v[223:224], v[221:222], v[219:220]
	v_fma_f64 v[215:216], -v[215:216], v[223:224], v[221:222]
	v_div_fmas_f64 v[215:216], v[215:216], v[219:220], v[223:224]
	v_div_fixup_f64 v[219:220], v[215:216], v[213:214], 1.0
                                        ; implicit-def: $vgpr213_vgpr214
	v_mul_f64 v[217:218], v[217:218], v[219:220]
	v_xor_b32_e32 v220, 0x80000000, v220
.LBB115_5:
	s_andn2_saveexec_b32 s2, s2
	s_cbranch_execz .LBB115_7
; %bb.6:
	v_div_scale_f64 v[217:218], null, v[213:214], v[213:214], v[215:216]
	v_div_scale_f64 v[223:224], vcc_lo, v[215:216], v[213:214], v[215:216]
	v_rcp_f64_e32 v[219:220], v[217:218]
	v_fma_f64 v[221:222], -v[217:218], v[219:220], 1.0
	v_fma_f64 v[219:220], v[219:220], v[221:222], v[219:220]
	v_fma_f64 v[221:222], -v[217:218], v[219:220], 1.0
	v_fma_f64 v[219:220], v[219:220], v[221:222], v[219:220]
	v_mul_f64 v[221:222], v[223:224], v[219:220]
	v_fma_f64 v[217:218], -v[217:218], v[221:222], v[223:224]
	v_div_fmas_f64 v[217:218], v[217:218], v[219:220], v[221:222]
	v_div_fixup_f64 v[219:220], v[217:218], v[213:214], v[215:216]
	v_fma_f64 v[213:214], v[215:216], v[219:220], v[213:214]
	v_div_scale_f64 v[215:216], null, v[213:214], v[213:214], 1.0
	v_rcp_f64_e32 v[217:218], v[215:216]
	v_fma_f64 v[221:222], -v[215:216], v[217:218], 1.0
	v_fma_f64 v[217:218], v[217:218], v[221:222], v[217:218]
	v_fma_f64 v[221:222], -v[215:216], v[217:218], 1.0
	v_fma_f64 v[217:218], v[217:218], v[221:222], v[217:218]
	v_div_scale_f64 v[221:222], vcc_lo, 1.0, v[213:214], 1.0
	v_mul_f64 v[223:224], v[221:222], v[217:218]
	v_fma_f64 v[215:216], -v[215:216], v[223:224], v[221:222]
	v_div_fmas_f64 v[215:216], v[215:216], v[217:218], v[223:224]
	v_div_fixup_f64 v[217:218], v[215:216], v[213:214], 1.0
	v_mul_f64 v[219:220], v[219:220], -v[217:218]
.LBB115_7:
	s_or_b32 exec_lo, exec_lo, s2
	ds_write2_b64 v255, v[217:218], v[219:220] offset1:1
.LBB115_8:
	s_or_b32 exec_lo, exec_lo, s3
	s_waitcnt vmcnt(0) lgkmcnt(0)
	s_waitcnt_vscnt null, 0x0
	s_barrier
	buffer_gl0_inv
	ds_read2_b64 v[193:196], v255 offset1:1
	s_waitcnt lgkmcnt(0)
	buffer_store_dword v193, off, s[16:19], 0 offset:488 ; 4-byte Folded Spill
	buffer_store_dword v194, off, s[16:19], 0 offset:492 ; 4-byte Folded Spill
	;; [unrolled: 1-line block ×4, first 2 shown]
	s_and_saveexec_b32 s2, s1
	s_cbranch_execz .LBB115_10
; %bb.9:
	s_clause 0x3
	buffer_load_dword v193, off, s[16:19], 0 offset:488
	buffer_load_dword v194, off, s[16:19], 0 offset:492
	;; [unrolled: 1-line block ×4, first 2 shown]
	s_waitcnt vmcnt(2)
	v_mul_f64 v[215:216], v[193:194], v[247:248]
	s_waitcnt vmcnt(0)
	v_mul_f64 v[213:214], v[195:196], v[247:248]
	v_fma_f64 v[247:248], v[195:196], v[245:246], v[215:216]
	ds_read2_b64 v[215:218], v253 offset0:2 offset1:3
	v_fma_f64 v[213:214], v[193:194], v[245:246], -v[213:214]
	s_waitcnt lgkmcnt(0)
	v_mul_f64 v[219:220], v[217:218], v[247:248]
	v_mov_b32_e32 v246, v214
	v_mov_b32_e32 v245, v213
	v_fma_f64 v[219:220], v[215:216], v[213:214], -v[219:220]
	v_mul_f64 v[215:216], v[215:216], v[247:248]
	v_add_f64 v[249:250], v[249:250], -v[219:220]
	v_fma_f64 v[215:216], v[217:218], v[213:214], v[215:216]
	v_add_f64 v[251:252], v[251:252], -v[215:216]
	ds_read2_b64 v[215:218], v253 offset0:4 offset1:5
	s_waitcnt lgkmcnt(0)
	v_mul_f64 v[219:220], v[217:218], v[247:248]
	v_fma_f64 v[219:220], v[215:216], v[213:214], -v[219:220]
	v_mul_f64 v[215:216], v[215:216], v[247:248]
	v_add_f64 v[201:202], v[201:202], -v[219:220]
	v_fma_f64 v[215:216], v[217:218], v[213:214], v[215:216]
	v_add_f64 v[203:204], v[203:204], -v[215:216]
	ds_read2_b64 v[215:218], v253 offset0:6 offset1:7
	s_waitcnt lgkmcnt(0)
	v_mul_f64 v[219:220], v[217:218], v[247:248]
	;; [unrolled: 8-line block ×5, first 2 shown]
	v_fma_f64 v[219:220], v[215:216], v[213:214], -v[219:220]
	v_mul_f64 v[215:216], v[215:216], v[247:248]
	v_add_f64 v[233:234], v[233:234], -v[219:220]
	v_fma_f64 v[215:216], v[217:218], v[213:214], v[215:216]
	v_add_f64 v[235:236], v[235:236], -v[215:216]
	ds_read2_b64 v[215:218], v253 offset0:14 offset1:15
	s_clause 0x3
	buffer_load_dword v193, off, s[16:19], 0 offset:16
	buffer_load_dword v194, off, s[16:19], 0 offset:20
	;; [unrolled: 1-line block ×4, first 2 shown]
	s_waitcnt lgkmcnt(0)
	v_mul_f64 v[219:220], v[217:218], v[247:248]
	v_fma_f64 v[219:220], v[215:216], v[213:214], -v[219:220]
	v_mul_f64 v[215:216], v[215:216], v[247:248]
	v_fma_f64 v[215:216], v[217:218], v[213:214], v[215:216]
	s_waitcnt vmcnt(2)
	v_add_f64 v[193:194], v[193:194], -v[219:220]
	s_waitcnt vmcnt(0)
	v_add_f64 v[195:196], v[195:196], -v[215:216]
	buffer_store_dword v193, off, s[16:19], 0 offset:16 ; 4-byte Folded Spill
	buffer_store_dword v194, off, s[16:19], 0 offset:20 ; 4-byte Folded Spill
	;; [unrolled: 1-line block ×4, first 2 shown]
	ds_read2_b64 v[215:218], v253 offset0:16 offset1:17
	s_clause 0x3
	buffer_load_dword v193, off, s[16:19], 0
	buffer_load_dword v194, off, s[16:19], 0 offset:4
	buffer_load_dword v195, off, s[16:19], 0 offset:8
	buffer_load_dword v196, off, s[16:19], 0 offset:12
	s_waitcnt lgkmcnt(0)
	v_mul_f64 v[219:220], v[217:218], v[247:248]
	v_fma_f64 v[219:220], v[215:216], v[213:214], -v[219:220]
	v_mul_f64 v[215:216], v[215:216], v[247:248]
	v_fma_f64 v[215:216], v[217:218], v[213:214], v[215:216]
	s_waitcnt vmcnt(2)
	v_add_f64 v[193:194], v[193:194], -v[219:220]
	s_waitcnt vmcnt(0)
	v_add_f64 v[195:196], v[195:196], -v[215:216]
	buffer_store_dword v193, off, s[16:19], 0 ; 4-byte Folded Spill
	buffer_store_dword v194, off, s[16:19], 0 offset:4 ; 4-byte Folded Spill
	buffer_store_dword v195, off, s[16:19], 0 offset:8 ; 4-byte Folded Spill
	;; [unrolled: 1-line block ×3, first 2 shown]
	ds_read2_b64 v[215:218], v253 offset0:18 offset1:19
	s_waitcnt lgkmcnt(0)
	v_mul_f64 v[219:220], v[217:218], v[247:248]
	v_fma_f64 v[219:220], v[215:216], v[213:214], -v[219:220]
	v_mul_f64 v[215:216], v[215:216], v[247:248]
	v_add_f64 v[209:210], v[209:210], -v[219:220]
	v_fma_f64 v[215:216], v[217:218], v[213:214], v[215:216]
	v_add_f64 v[211:212], v[211:212], -v[215:216]
	ds_read2_b64 v[215:218], v253 offset0:20 offset1:21
	s_waitcnt lgkmcnt(0)
	v_mul_f64 v[219:220], v[217:218], v[247:248]
	v_fma_f64 v[219:220], v[215:216], v[213:214], -v[219:220]
	v_mul_f64 v[215:216], v[215:216], v[247:248]
	v_add_f64 v[189:190], v[189:190], -v[219:220]
	v_fma_f64 v[215:216], v[217:218], v[213:214], v[215:216]
	v_add_f64 v[191:192], v[191:192], -v[215:216]
	;; [unrolled: 8-line block ×49, first 2 shown]
.LBB115_10:
	s_or_b32 exec_lo, exec_lo, s2
	s_mov_b32 s2, exec_lo
	s_waitcnt_vscnt null, 0x0
	s_barrier
	buffer_gl0_inv
	v_cmpx_eq_u32_e32 1, v0
	s_cbranch_execz .LBB115_17
; %bb.11:
	ds_write2_b64 v255, v[249:250], v[251:252] offset1:1
	ds_write2_b64 v253, v[201:202], v[203:204] offset0:4 offset1:5
	ds_write2_b64 v253, v[225:226], v[227:228] offset0:6 offset1:7
	;; [unrolled: 1-line block ×5, first 2 shown]
	s_clause 0x3
	buffer_load_dword v193, off, s[16:19], 0 offset:16
	buffer_load_dword v194, off, s[16:19], 0 offset:20
	;; [unrolled: 1-line block ×4, first 2 shown]
	s_waitcnt vmcnt(0)
	ds_write2_b64 v253, v[193:194], v[195:196] offset0:14 offset1:15
	s_clause 0x3
	buffer_load_dword v193, off, s[16:19], 0
	buffer_load_dword v194, off, s[16:19], 0 offset:4
	buffer_load_dword v195, off, s[16:19], 0 offset:8
	;; [unrolled: 1-line block ×3, first 2 shown]
	s_waitcnt vmcnt(0)
	ds_write2_b64 v253, v[193:194], v[195:196] offset0:16 offset1:17
	ds_write2_b64 v253, v[209:210], v[211:212] offset0:18 offset1:19
	;; [unrolled: 1-line block ×50, first 2 shown]
	ds_read2_b64 v[213:216], v255 offset1:1
	s_waitcnt lgkmcnt(0)
	v_cmp_neq_f64_e32 vcc_lo, 0, v[213:214]
	v_cmp_neq_f64_e64 s1, 0, v[215:216]
	s_or_b32 s1, vcc_lo, s1
	s_and_b32 exec_lo, exec_lo, s1
	s_cbranch_execz .LBB115_17
; %bb.12:
	v_cmp_ngt_f64_e64 s1, |v[213:214]|, |v[215:216]|
                                        ; implicit-def: $vgpr217_vgpr218
	s_and_saveexec_b32 s3, s1
	s_xor_b32 s1, exec_lo, s3
                                        ; implicit-def: $vgpr219_vgpr220
	s_cbranch_execz .LBB115_14
; %bb.13:
	v_div_scale_f64 v[217:218], null, v[215:216], v[215:216], v[213:214]
	v_div_scale_f64 v[223:224], vcc_lo, v[213:214], v[215:216], v[213:214]
	v_rcp_f64_e32 v[219:220], v[217:218]
	v_fma_f64 v[221:222], -v[217:218], v[219:220], 1.0
	v_fma_f64 v[219:220], v[219:220], v[221:222], v[219:220]
	v_fma_f64 v[221:222], -v[217:218], v[219:220], 1.0
	v_fma_f64 v[219:220], v[219:220], v[221:222], v[219:220]
	v_mul_f64 v[221:222], v[223:224], v[219:220]
	v_fma_f64 v[217:218], -v[217:218], v[221:222], v[223:224]
	v_div_fmas_f64 v[217:218], v[217:218], v[219:220], v[221:222]
	v_div_fixup_f64 v[217:218], v[217:218], v[215:216], v[213:214]
	v_fma_f64 v[213:214], v[213:214], v[217:218], v[215:216]
	v_div_scale_f64 v[215:216], null, v[213:214], v[213:214], 1.0
	v_rcp_f64_e32 v[219:220], v[215:216]
	v_fma_f64 v[221:222], -v[215:216], v[219:220], 1.0
	v_fma_f64 v[219:220], v[219:220], v[221:222], v[219:220]
	v_fma_f64 v[221:222], -v[215:216], v[219:220], 1.0
	v_fma_f64 v[219:220], v[219:220], v[221:222], v[219:220]
	v_div_scale_f64 v[221:222], vcc_lo, 1.0, v[213:214], 1.0
	v_mul_f64 v[223:224], v[221:222], v[219:220]
	v_fma_f64 v[215:216], -v[215:216], v[223:224], v[221:222]
	v_div_fmas_f64 v[215:216], v[215:216], v[219:220], v[223:224]
	v_div_fixup_f64 v[219:220], v[215:216], v[213:214], 1.0
                                        ; implicit-def: $vgpr213_vgpr214
	v_mul_f64 v[217:218], v[217:218], v[219:220]
	v_xor_b32_e32 v220, 0x80000000, v220
.LBB115_14:
	s_andn2_saveexec_b32 s1, s1
	s_cbranch_execz .LBB115_16
; %bb.15:
	v_div_scale_f64 v[217:218], null, v[213:214], v[213:214], v[215:216]
	v_div_scale_f64 v[223:224], vcc_lo, v[215:216], v[213:214], v[215:216]
	v_rcp_f64_e32 v[219:220], v[217:218]
	v_fma_f64 v[221:222], -v[217:218], v[219:220], 1.0
	v_fma_f64 v[219:220], v[219:220], v[221:222], v[219:220]
	v_fma_f64 v[221:222], -v[217:218], v[219:220], 1.0
	v_fma_f64 v[219:220], v[219:220], v[221:222], v[219:220]
	v_mul_f64 v[221:222], v[223:224], v[219:220]
	v_fma_f64 v[217:218], -v[217:218], v[221:222], v[223:224]
	v_div_fmas_f64 v[217:218], v[217:218], v[219:220], v[221:222]
	v_div_fixup_f64 v[219:220], v[217:218], v[213:214], v[215:216]
	v_fma_f64 v[213:214], v[215:216], v[219:220], v[213:214]
	v_div_scale_f64 v[215:216], null, v[213:214], v[213:214], 1.0
	v_rcp_f64_e32 v[217:218], v[215:216]
	v_fma_f64 v[221:222], -v[215:216], v[217:218], 1.0
	v_fma_f64 v[217:218], v[217:218], v[221:222], v[217:218]
	v_fma_f64 v[221:222], -v[215:216], v[217:218], 1.0
	v_fma_f64 v[217:218], v[217:218], v[221:222], v[217:218]
	v_div_scale_f64 v[221:222], vcc_lo, 1.0, v[213:214], 1.0
	v_mul_f64 v[223:224], v[221:222], v[217:218]
	v_fma_f64 v[215:216], -v[215:216], v[223:224], v[221:222]
	v_div_fmas_f64 v[215:216], v[215:216], v[217:218], v[223:224]
	v_div_fixup_f64 v[217:218], v[215:216], v[213:214], 1.0
	v_mul_f64 v[219:220], v[219:220], -v[217:218]
.LBB115_16:
	s_or_b32 exec_lo, exec_lo, s1
	ds_write2_b64 v255, v[217:218], v[219:220] offset1:1
.LBB115_17:
	s_or_b32 exec_lo, exec_lo, s2
	s_waitcnt lgkmcnt(0)
	s_barrier
	buffer_gl0_inv
	ds_read2_b64 v[193:196], v255 offset1:1
	s_mov_b32 s1, exec_lo
	s_waitcnt lgkmcnt(0)
	buffer_store_dword v193, off, s[16:19], 0 offset:504 ; 4-byte Folded Spill
	buffer_store_dword v194, off, s[16:19], 0 offset:508 ; 4-byte Folded Spill
	;; [unrolled: 1-line block ×4, first 2 shown]
	v_cmpx_lt_u32_e32 1, v0
	s_cbranch_execz .LBB115_19
; %bb.18:
	s_clause 0x3
	buffer_load_dword v193, off, s[16:19], 0 offset:504
	buffer_load_dword v194, off, s[16:19], 0 offset:508
	;; [unrolled: 1-line block ×4, first 2 shown]
	s_waitcnt vmcnt(2)
	v_mul_f64 v[215:216], v[193:194], v[251:252]
	s_waitcnt vmcnt(0)
	v_mul_f64 v[213:214], v[195:196], v[251:252]
	v_fma_f64 v[251:252], v[195:196], v[249:250], v[215:216]
	ds_read2_b64 v[215:218], v253 offset0:4 offset1:5
	v_fma_f64 v[213:214], v[193:194], v[249:250], -v[213:214]
	s_waitcnt lgkmcnt(0)
	v_mul_f64 v[219:220], v[217:218], v[251:252]
	v_mov_b32_e32 v250, v214
	v_mov_b32_e32 v249, v213
	v_fma_f64 v[219:220], v[215:216], v[213:214], -v[219:220]
	v_mul_f64 v[215:216], v[215:216], v[251:252]
	v_add_f64 v[201:202], v[201:202], -v[219:220]
	v_fma_f64 v[215:216], v[217:218], v[213:214], v[215:216]
	v_add_f64 v[203:204], v[203:204], -v[215:216]
	ds_read2_b64 v[215:218], v253 offset0:6 offset1:7
	s_waitcnt lgkmcnt(0)
	v_mul_f64 v[219:220], v[217:218], v[251:252]
	v_fma_f64 v[219:220], v[215:216], v[213:214], -v[219:220]
	v_mul_f64 v[215:216], v[215:216], v[251:252]
	v_add_f64 v[225:226], v[225:226], -v[219:220]
	v_fma_f64 v[215:216], v[217:218], v[213:214], v[215:216]
	v_add_f64 v[227:228], v[227:228], -v[215:216]
	ds_read2_b64 v[215:218], v253 offset0:8 offset1:9
	s_waitcnt lgkmcnt(0)
	v_mul_f64 v[219:220], v[217:218], v[251:252]
	;; [unrolled: 8-line block ×4, first 2 shown]
	v_fma_f64 v[219:220], v[215:216], v[213:214], -v[219:220]
	v_mul_f64 v[215:216], v[215:216], v[251:252]
	v_add_f64 v[233:234], v[233:234], -v[219:220]
	v_fma_f64 v[215:216], v[217:218], v[213:214], v[215:216]
	v_add_f64 v[235:236], v[235:236], -v[215:216]
	ds_read2_b64 v[215:218], v253 offset0:14 offset1:15
	s_clause 0x3
	buffer_load_dword v193, off, s[16:19], 0 offset:16
	buffer_load_dword v194, off, s[16:19], 0 offset:20
	;; [unrolled: 1-line block ×4, first 2 shown]
	s_waitcnt lgkmcnt(0)
	v_mul_f64 v[219:220], v[217:218], v[251:252]
	v_fma_f64 v[219:220], v[215:216], v[213:214], -v[219:220]
	v_mul_f64 v[215:216], v[215:216], v[251:252]
	v_fma_f64 v[215:216], v[217:218], v[213:214], v[215:216]
	s_waitcnt vmcnt(2)
	v_add_f64 v[193:194], v[193:194], -v[219:220]
	s_waitcnt vmcnt(0)
	v_add_f64 v[195:196], v[195:196], -v[215:216]
	buffer_store_dword v193, off, s[16:19], 0 offset:16 ; 4-byte Folded Spill
	buffer_store_dword v194, off, s[16:19], 0 offset:20 ; 4-byte Folded Spill
	;; [unrolled: 1-line block ×4, first 2 shown]
	ds_read2_b64 v[215:218], v253 offset0:16 offset1:17
	s_clause 0x3
	buffer_load_dword v193, off, s[16:19], 0
	buffer_load_dword v194, off, s[16:19], 0 offset:4
	buffer_load_dword v195, off, s[16:19], 0 offset:8
	buffer_load_dword v196, off, s[16:19], 0 offset:12
	s_waitcnt lgkmcnt(0)
	v_mul_f64 v[219:220], v[217:218], v[251:252]
	v_fma_f64 v[219:220], v[215:216], v[213:214], -v[219:220]
	v_mul_f64 v[215:216], v[215:216], v[251:252]
	v_fma_f64 v[215:216], v[217:218], v[213:214], v[215:216]
	s_waitcnt vmcnt(2)
	v_add_f64 v[193:194], v[193:194], -v[219:220]
	s_waitcnt vmcnt(0)
	v_add_f64 v[195:196], v[195:196], -v[215:216]
	buffer_store_dword v193, off, s[16:19], 0 ; 4-byte Folded Spill
	buffer_store_dword v194, off, s[16:19], 0 offset:4 ; 4-byte Folded Spill
	buffer_store_dword v195, off, s[16:19], 0 offset:8 ; 4-byte Folded Spill
	buffer_store_dword v196, off, s[16:19], 0 offset:12 ; 4-byte Folded Spill
	ds_read2_b64 v[215:218], v253 offset0:18 offset1:19
	s_waitcnt lgkmcnt(0)
	v_mul_f64 v[219:220], v[217:218], v[251:252]
	v_fma_f64 v[219:220], v[215:216], v[213:214], -v[219:220]
	v_mul_f64 v[215:216], v[215:216], v[251:252]
	v_add_f64 v[209:210], v[209:210], -v[219:220]
	v_fma_f64 v[215:216], v[217:218], v[213:214], v[215:216]
	v_add_f64 v[211:212], v[211:212], -v[215:216]
	ds_read2_b64 v[215:218], v253 offset0:20 offset1:21
	s_waitcnt lgkmcnt(0)
	v_mul_f64 v[219:220], v[217:218], v[251:252]
	v_fma_f64 v[219:220], v[215:216], v[213:214], -v[219:220]
	v_mul_f64 v[215:216], v[215:216], v[251:252]
	v_add_f64 v[189:190], v[189:190], -v[219:220]
	v_fma_f64 v[215:216], v[217:218], v[213:214], v[215:216]
	v_add_f64 v[191:192], v[191:192], -v[215:216]
	ds_read2_b64 v[215:218], v253 offset0:22 offset1:23
	s_waitcnt lgkmcnt(0)
	v_mul_f64 v[219:220], v[217:218], v[251:252]
	v_fma_f64 v[219:220], v[215:216], v[213:214], -v[219:220]
	v_mul_f64 v[215:216], v[215:216], v[251:252]
	v_add_f64 v[185:186], v[185:186], -v[219:220]
	v_fma_f64 v[215:216], v[217:218], v[213:214], v[215:216]
	v_add_f64 v[187:188], v[187:188], -v[215:216]
	ds_read2_b64 v[215:218], v253 offset0:24 offset1:25
	s_waitcnt lgkmcnt(0)
	v_mul_f64 v[219:220], v[217:218], v[251:252]
	v_fma_f64 v[219:220], v[215:216], v[213:214], -v[219:220]
	v_mul_f64 v[215:216], v[215:216], v[251:252]
	v_add_f64 v[181:182], v[181:182], -v[219:220]
	v_fma_f64 v[215:216], v[217:218], v[213:214], v[215:216]
	v_add_f64 v[183:184], v[183:184], -v[215:216]
	ds_read2_b64 v[215:218], v253 offset0:26 offset1:27
	s_waitcnt lgkmcnt(0)
	v_mul_f64 v[219:220], v[217:218], v[251:252]
	v_fma_f64 v[219:220], v[215:216], v[213:214], -v[219:220]
	v_mul_f64 v[215:216], v[215:216], v[251:252]
	v_add_f64 v[177:178], v[177:178], -v[219:220]
	v_fma_f64 v[215:216], v[217:218], v[213:214], v[215:216]
	v_add_f64 v[179:180], v[179:180], -v[215:216]
	ds_read2_b64 v[215:218], v253 offset0:28 offset1:29
	s_waitcnt lgkmcnt(0)
	v_mul_f64 v[219:220], v[217:218], v[251:252]
	v_fma_f64 v[219:220], v[215:216], v[213:214], -v[219:220]
	v_mul_f64 v[215:216], v[215:216], v[251:252]
	v_add_f64 v[173:174], v[173:174], -v[219:220]
	v_fma_f64 v[215:216], v[217:218], v[213:214], v[215:216]
	v_add_f64 v[175:176], v[175:176], -v[215:216]
	ds_read2_b64 v[215:218], v253 offset0:30 offset1:31
	s_waitcnt lgkmcnt(0)
	v_mul_f64 v[219:220], v[217:218], v[251:252]
	v_fma_f64 v[219:220], v[215:216], v[213:214], -v[219:220]
	v_mul_f64 v[215:216], v[215:216], v[251:252]
	v_add_f64 v[169:170], v[169:170], -v[219:220]
	v_fma_f64 v[215:216], v[217:218], v[213:214], v[215:216]
	v_add_f64 v[171:172], v[171:172], -v[215:216]
	ds_read2_b64 v[215:218], v253 offset0:32 offset1:33
	s_waitcnt lgkmcnt(0)
	v_mul_f64 v[219:220], v[217:218], v[251:252]
	v_fma_f64 v[219:220], v[215:216], v[213:214], -v[219:220]
	v_mul_f64 v[215:216], v[215:216], v[251:252]
	v_add_f64 v[165:166], v[165:166], -v[219:220]
	v_fma_f64 v[215:216], v[217:218], v[213:214], v[215:216]
	v_add_f64 v[167:168], v[167:168], -v[215:216]
	ds_read2_b64 v[215:218], v253 offset0:34 offset1:35
	s_waitcnt lgkmcnt(0)
	v_mul_f64 v[219:220], v[217:218], v[251:252]
	v_fma_f64 v[219:220], v[215:216], v[213:214], -v[219:220]
	v_mul_f64 v[215:216], v[215:216], v[251:252]
	v_add_f64 v[161:162], v[161:162], -v[219:220]
	v_fma_f64 v[215:216], v[217:218], v[213:214], v[215:216]
	v_add_f64 v[163:164], v[163:164], -v[215:216]
	ds_read2_b64 v[215:218], v253 offset0:36 offset1:37
	s_waitcnt lgkmcnt(0)
	v_mul_f64 v[219:220], v[217:218], v[251:252]
	v_fma_f64 v[219:220], v[215:216], v[213:214], -v[219:220]
	v_mul_f64 v[215:216], v[215:216], v[251:252]
	v_add_f64 v[157:158], v[157:158], -v[219:220]
	v_fma_f64 v[215:216], v[217:218], v[213:214], v[215:216]
	v_add_f64 v[159:160], v[159:160], -v[215:216]
	ds_read2_b64 v[215:218], v253 offset0:38 offset1:39
	s_waitcnt lgkmcnt(0)
	v_mul_f64 v[219:220], v[217:218], v[251:252]
	v_fma_f64 v[219:220], v[215:216], v[213:214], -v[219:220]
	v_mul_f64 v[215:216], v[215:216], v[251:252]
	v_add_f64 v[153:154], v[153:154], -v[219:220]
	v_fma_f64 v[215:216], v[217:218], v[213:214], v[215:216]
	v_add_f64 v[155:156], v[155:156], -v[215:216]
	ds_read2_b64 v[215:218], v253 offset0:40 offset1:41
	s_waitcnt lgkmcnt(0)
	v_mul_f64 v[219:220], v[217:218], v[251:252]
	v_fma_f64 v[219:220], v[215:216], v[213:214], -v[219:220]
	v_mul_f64 v[215:216], v[215:216], v[251:252]
	v_add_f64 v[149:150], v[149:150], -v[219:220]
	v_fma_f64 v[215:216], v[217:218], v[213:214], v[215:216]
	v_add_f64 v[151:152], v[151:152], -v[215:216]
	ds_read2_b64 v[215:218], v253 offset0:42 offset1:43
	s_waitcnt lgkmcnt(0)
	v_mul_f64 v[219:220], v[217:218], v[251:252]
	v_fma_f64 v[219:220], v[215:216], v[213:214], -v[219:220]
	v_mul_f64 v[215:216], v[215:216], v[251:252]
	v_add_f64 v[145:146], v[145:146], -v[219:220]
	v_fma_f64 v[215:216], v[217:218], v[213:214], v[215:216]
	v_add_f64 v[147:148], v[147:148], -v[215:216]
	ds_read2_b64 v[215:218], v253 offset0:44 offset1:45
	s_waitcnt lgkmcnt(0)
	v_mul_f64 v[219:220], v[217:218], v[251:252]
	v_fma_f64 v[219:220], v[215:216], v[213:214], -v[219:220]
	v_mul_f64 v[215:216], v[215:216], v[251:252]
	v_add_f64 v[141:142], v[141:142], -v[219:220]
	v_fma_f64 v[215:216], v[217:218], v[213:214], v[215:216]
	v_add_f64 v[143:144], v[143:144], -v[215:216]
	ds_read2_b64 v[215:218], v253 offset0:46 offset1:47
	s_waitcnt lgkmcnt(0)
	v_mul_f64 v[219:220], v[217:218], v[251:252]
	v_fma_f64 v[219:220], v[215:216], v[213:214], -v[219:220]
	v_mul_f64 v[215:216], v[215:216], v[251:252]
	v_add_f64 v[137:138], v[137:138], -v[219:220]
	v_fma_f64 v[215:216], v[217:218], v[213:214], v[215:216]
	v_add_f64 v[139:140], v[139:140], -v[215:216]
	ds_read2_b64 v[215:218], v253 offset0:48 offset1:49
	s_waitcnt lgkmcnt(0)
	v_mul_f64 v[219:220], v[217:218], v[251:252]
	v_fma_f64 v[219:220], v[215:216], v[213:214], -v[219:220]
	v_mul_f64 v[215:216], v[215:216], v[251:252]
	v_add_f64 v[133:134], v[133:134], -v[219:220]
	v_fma_f64 v[215:216], v[217:218], v[213:214], v[215:216]
	v_add_f64 v[135:136], v[135:136], -v[215:216]
	ds_read2_b64 v[215:218], v253 offset0:50 offset1:51
	s_waitcnt lgkmcnt(0)
	v_mul_f64 v[219:220], v[217:218], v[251:252]
	v_fma_f64 v[219:220], v[215:216], v[213:214], -v[219:220]
	v_mul_f64 v[215:216], v[215:216], v[251:252]
	v_add_f64 v[129:130], v[129:130], -v[219:220]
	v_fma_f64 v[215:216], v[217:218], v[213:214], v[215:216]
	v_add_f64 v[131:132], v[131:132], -v[215:216]
	ds_read2_b64 v[215:218], v253 offset0:52 offset1:53
	s_waitcnt lgkmcnt(0)
	v_mul_f64 v[219:220], v[217:218], v[251:252]
	v_fma_f64 v[219:220], v[215:216], v[213:214], -v[219:220]
	v_mul_f64 v[215:216], v[215:216], v[251:252]
	v_add_f64 v[125:126], v[125:126], -v[219:220]
	v_fma_f64 v[215:216], v[217:218], v[213:214], v[215:216]
	v_add_f64 v[127:128], v[127:128], -v[215:216]
	ds_read2_b64 v[215:218], v253 offset0:54 offset1:55
	s_waitcnt lgkmcnt(0)
	v_mul_f64 v[219:220], v[217:218], v[251:252]
	v_fma_f64 v[219:220], v[215:216], v[213:214], -v[219:220]
	v_mul_f64 v[215:216], v[215:216], v[251:252]
	v_add_f64 v[121:122], v[121:122], -v[219:220]
	v_fma_f64 v[215:216], v[217:218], v[213:214], v[215:216]
	v_add_f64 v[123:124], v[123:124], -v[215:216]
	ds_read2_b64 v[215:218], v253 offset0:56 offset1:57
	s_waitcnt lgkmcnt(0)
	v_mul_f64 v[219:220], v[217:218], v[251:252]
	v_fma_f64 v[219:220], v[215:216], v[213:214], -v[219:220]
	v_mul_f64 v[215:216], v[215:216], v[251:252]
	v_add_f64 v[117:118], v[117:118], -v[219:220]
	v_fma_f64 v[215:216], v[217:218], v[213:214], v[215:216]
	v_add_f64 v[119:120], v[119:120], -v[215:216]
	ds_read2_b64 v[215:218], v253 offset0:58 offset1:59
	s_waitcnt lgkmcnt(0)
	v_mul_f64 v[219:220], v[217:218], v[251:252]
	v_fma_f64 v[219:220], v[215:216], v[213:214], -v[219:220]
	v_mul_f64 v[215:216], v[215:216], v[251:252]
	v_add_f64 v[113:114], v[113:114], -v[219:220]
	v_fma_f64 v[215:216], v[217:218], v[213:214], v[215:216]
	v_add_f64 v[115:116], v[115:116], -v[215:216]
	ds_read2_b64 v[215:218], v253 offset0:60 offset1:61
	s_waitcnt lgkmcnt(0)
	v_mul_f64 v[219:220], v[217:218], v[251:252]
	v_fma_f64 v[219:220], v[215:216], v[213:214], -v[219:220]
	v_mul_f64 v[215:216], v[215:216], v[251:252]
	v_add_f64 v[109:110], v[109:110], -v[219:220]
	v_fma_f64 v[215:216], v[217:218], v[213:214], v[215:216]
	v_add_f64 v[111:112], v[111:112], -v[215:216]
	ds_read2_b64 v[215:218], v253 offset0:62 offset1:63
	s_waitcnt lgkmcnt(0)
	v_mul_f64 v[219:220], v[217:218], v[251:252]
	v_fma_f64 v[219:220], v[215:216], v[213:214], -v[219:220]
	v_mul_f64 v[215:216], v[215:216], v[251:252]
	v_add_f64 v[105:106], v[105:106], -v[219:220]
	v_fma_f64 v[215:216], v[217:218], v[213:214], v[215:216]
	v_add_f64 v[107:108], v[107:108], -v[215:216]
	ds_read2_b64 v[215:218], v253 offset0:64 offset1:65
	s_waitcnt lgkmcnt(0)
	v_mul_f64 v[219:220], v[217:218], v[251:252]
	v_fma_f64 v[219:220], v[215:216], v[213:214], -v[219:220]
	v_mul_f64 v[215:216], v[215:216], v[251:252]
	v_add_f64 v[101:102], v[101:102], -v[219:220]
	v_fma_f64 v[215:216], v[217:218], v[213:214], v[215:216]
	v_add_f64 v[103:104], v[103:104], -v[215:216]
	ds_read2_b64 v[215:218], v253 offset0:66 offset1:67
	s_waitcnt lgkmcnt(0)
	v_mul_f64 v[219:220], v[217:218], v[251:252]
	v_fma_f64 v[219:220], v[215:216], v[213:214], -v[219:220]
	v_mul_f64 v[215:216], v[215:216], v[251:252]
	v_add_f64 v[97:98], v[97:98], -v[219:220]
	v_fma_f64 v[215:216], v[217:218], v[213:214], v[215:216]
	v_add_f64 v[99:100], v[99:100], -v[215:216]
	ds_read2_b64 v[215:218], v253 offset0:68 offset1:69
	s_waitcnt lgkmcnt(0)
	v_mul_f64 v[219:220], v[217:218], v[251:252]
	v_fma_f64 v[219:220], v[215:216], v[213:214], -v[219:220]
	v_mul_f64 v[215:216], v[215:216], v[251:252]
	v_add_f64 v[93:94], v[93:94], -v[219:220]
	v_fma_f64 v[215:216], v[217:218], v[213:214], v[215:216]
	v_add_f64 v[95:96], v[95:96], -v[215:216]
	ds_read2_b64 v[215:218], v253 offset0:70 offset1:71
	s_waitcnt lgkmcnt(0)
	v_mul_f64 v[219:220], v[217:218], v[251:252]
	v_fma_f64 v[219:220], v[215:216], v[213:214], -v[219:220]
	v_mul_f64 v[215:216], v[215:216], v[251:252]
	v_add_f64 v[89:90], v[89:90], -v[219:220]
	v_fma_f64 v[215:216], v[217:218], v[213:214], v[215:216]
	v_add_f64 v[91:92], v[91:92], -v[215:216]
	ds_read2_b64 v[215:218], v253 offset0:72 offset1:73
	s_waitcnt lgkmcnt(0)
	v_mul_f64 v[219:220], v[217:218], v[251:252]
	v_fma_f64 v[219:220], v[215:216], v[213:214], -v[219:220]
	v_mul_f64 v[215:216], v[215:216], v[251:252]
	v_add_f64 v[85:86], v[85:86], -v[219:220]
	v_fma_f64 v[215:216], v[217:218], v[213:214], v[215:216]
	v_add_f64 v[87:88], v[87:88], -v[215:216]
	ds_read2_b64 v[215:218], v253 offset0:74 offset1:75
	s_waitcnt lgkmcnt(0)
	v_mul_f64 v[219:220], v[217:218], v[251:252]
	v_fma_f64 v[219:220], v[215:216], v[213:214], -v[219:220]
	v_mul_f64 v[215:216], v[215:216], v[251:252]
	v_add_f64 v[81:82], v[81:82], -v[219:220]
	v_fma_f64 v[215:216], v[217:218], v[213:214], v[215:216]
	v_add_f64 v[83:84], v[83:84], -v[215:216]
	ds_read2_b64 v[215:218], v253 offset0:76 offset1:77
	s_waitcnt lgkmcnt(0)
	v_mul_f64 v[219:220], v[217:218], v[251:252]
	v_fma_f64 v[219:220], v[215:216], v[213:214], -v[219:220]
	v_mul_f64 v[215:216], v[215:216], v[251:252]
	v_add_f64 v[77:78], v[77:78], -v[219:220]
	v_fma_f64 v[215:216], v[217:218], v[213:214], v[215:216]
	v_add_f64 v[79:80], v[79:80], -v[215:216]
	ds_read2_b64 v[215:218], v253 offset0:78 offset1:79
	s_waitcnt lgkmcnt(0)
	v_mul_f64 v[219:220], v[217:218], v[251:252]
	v_fma_f64 v[219:220], v[215:216], v[213:214], -v[219:220]
	v_mul_f64 v[215:216], v[215:216], v[251:252]
	v_add_f64 v[73:74], v[73:74], -v[219:220]
	v_fma_f64 v[215:216], v[217:218], v[213:214], v[215:216]
	v_add_f64 v[75:76], v[75:76], -v[215:216]
	ds_read2_b64 v[215:218], v253 offset0:80 offset1:81
	s_waitcnt lgkmcnt(0)
	v_mul_f64 v[219:220], v[217:218], v[251:252]
	v_fma_f64 v[219:220], v[215:216], v[213:214], -v[219:220]
	v_mul_f64 v[215:216], v[215:216], v[251:252]
	v_add_f64 v[69:70], v[69:70], -v[219:220]
	v_fma_f64 v[215:216], v[217:218], v[213:214], v[215:216]
	v_add_f64 v[71:72], v[71:72], -v[215:216]
	ds_read2_b64 v[215:218], v253 offset0:82 offset1:83
	s_waitcnt lgkmcnt(0)
	v_mul_f64 v[219:220], v[217:218], v[251:252]
	v_fma_f64 v[219:220], v[215:216], v[213:214], -v[219:220]
	v_mul_f64 v[215:216], v[215:216], v[251:252]
	v_add_f64 v[65:66], v[65:66], -v[219:220]
	v_fma_f64 v[215:216], v[217:218], v[213:214], v[215:216]
	v_add_f64 v[67:68], v[67:68], -v[215:216]
	ds_read2_b64 v[215:218], v253 offset0:84 offset1:85
	s_waitcnt lgkmcnt(0)
	v_mul_f64 v[219:220], v[217:218], v[251:252]
	v_fma_f64 v[219:220], v[215:216], v[213:214], -v[219:220]
	v_mul_f64 v[215:216], v[215:216], v[251:252]
	v_add_f64 v[61:62], v[61:62], -v[219:220]
	v_fma_f64 v[215:216], v[217:218], v[213:214], v[215:216]
	v_add_f64 v[63:64], v[63:64], -v[215:216]
	ds_read2_b64 v[215:218], v253 offset0:86 offset1:87
	s_waitcnt lgkmcnt(0)
	v_mul_f64 v[219:220], v[217:218], v[251:252]
	v_fma_f64 v[219:220], v[215:216], v[213:214], -v[219:220]
	v_mul_f64 v[215:216], v[215:216], v[251:252]
	v_add_f64 v[57:58], v[57:58], -v[219:220]
	v_fma_f64 v[215:216], v[217:218], v[213:214], v[215:216]
	v_add_f64 v[59:60], v[59:60], -v[215:216]
	ds_read2_b64 v[215:218], v253 offset0:88 offset1:89
	s_waitcnt lgkmcnt(0)
	v_mul_f64 v[219:220], v[217:218], v[251:252]
	v_fma_f64 v[219:220], v[215:216], v[213:214], -v[219:220]
	v_mul_f64 v[215:216], v[215:216], v[251:252]
	v_add_f64 v[53:54], v[53:54], -v[219:220]
	v_fma_f64 v[215:216], v[217:218], v[213:214], v[215:216]
	v_add_f64 v[55:56], v[55:56], -v[215:216]
	ds_read2_b64 v[215:218], v253 offset0:90 offset1:91
	s_waitcnt lgkmcnt(0)
	v_mul_f64 v[219:220], v[217:218], v[251:252]
	v_fma_f64 v[219:220], v[215:216], v[213:214], -v[219:220]
	v_mul_f64 v[215:216], v[215:216], v[251:252]
	v_add_f64 v[49:50], v[49:50], -v[219:220]
	v_fma_f64 v[215:216], v[217:218], v[213:214], v[215:216]
	v_add_f64 v[51:52], v[51:52], -v[215:216]
	ds_read2_b64 v[215:218], v253 offset0:92 offset1:93
	s_waitcnt lgkmcnt(0)
	v_mul_f64 v[219:220], v[217:218], v[251:252]
	v_fma_f64 v[219:220], v[215:216], v[213:214], -v[219:220]
	v_mul_f64 v[215:216], v[215:216], v[251:252]
	v_add_f64 v[45:46], v[45:46], -v[219:220]
	v_fma_f64 v[215:216], v[217:218], v[213:214], v[215:216]
	v_add_f64 v[47:48], v[47:48], -v[215:216]
	ds_read2_b64 v[215:218], v253 offset0:94 offset1:95
	s_waitcnt lgkmcnt(0)
	v_mul_f64 v[219:220], v[217:218], v[251:252]
	v_fma_f64 v[219:220], v[215:216], v[213:214], -v[219:220]
	v_mul_f64 v[215:216], v[215:216], v[251:252]
	v_add_f64 v[41:42], v[41:42], -v[219:220]
	v_fma_f64 v[215:216], v[217:218], v[213:214], v[215:216]
	v_add_f64 v[43:44], v[43:44], -v[215:216]
	ds_read2_b64 v[215:218], v253 offset0:96 offset1:97
	s_waitcnt lgkmcnt(0)
	v_mul_f64 v[219:220], v[217:218], v[251:252]
	v_fma_f64 v[219:220], v[215:216], v[213:214], -v[219:220]
	v_mul_f64 v[215:216], v[215:216], v[251:252]
	v_add_f64 v[37:38], v[37:38], -v[219:220]
	v_fma_f64 v[215:216], v[217:218], v[213:214], v[215:216]
	v_add_f64 v[39:40], v[39:40], -v[215:216]
	ds_read2_b64 v[215:218], v253 offset0:98 offset1:99
	s_waitcnt lgkmcnt(0)
	v_mul_f64 v[219:220], v[217:218], v[251:252]
	v_fma_f64 v[219:220], v[215:216], v[213:214], -v[219:220]
	v_mul_f64 v[215:216], v[215:216], v[251:252]
	v_add_f64 v[33:34], v[33:34], -v[219:220]
	v_fma_f64 v[215:216], v[217:218], v[213:214], v[215:216]
	v_add_f64 v[35:36], v[35:36], -v[215:216]
	ds_read2_b64 v[215:218], v253 offset0:100 offset1:101
	s_waitcnt lgkmcnt(0)
	v_mul_f64 v[219:220], v[217:218], v[251:252]
	v_fma_f64 v[219:220], v[215:216], v[213:214], -v[219:220]
	v_mul_f64 v[215:216], v[215:216], v[251:252]
	v_add_f64 v[29:30], v[29:30], -v[219:220]
	v_fma_f64 v[215:216], v[217:218], v[213:214], v[215:216]
	v_add_f64 v[31:32], v[31:32], -v[215:216]
	ds_read2_b64 v[215:218], v253 offset0:102 offset1:103
	s_waitcnt lgkmcnt(0)
	v_mul_f64 v[219:220], v[217:218], v[251:252]
	v_fma_f64 v[219:220], v[215:216], v[213:214], -v[219:220]
	v_mul_f64 v[215:216], v[215:216], v[251:252]
	v_add_f64 v[25:26], v[25:26], -v[219:220]
	v_fma_f64 v[215:216], v[217:218], v[213:214], v[215:216]
	v_add_f64 v[27:28], v[27:28], -v[215:216]
	ds_read2_b64 v[215:218], v253 offset0:104 offset1:105
	s_waitcnt lgkmcnt(0)
	v_mul_f64 v[219:220], v[217:218], v[251:252]
	v_fma_f64 v[219:220], v[215:216], v[213:214], -v[219:220]
	v_mul_f64 v[215:216], v[215:216], v[251:252]
	v_add_f64 v[21:22], v[21:22], -v[219:220]
	v_fma_f64 v[215:216], v[217:218], v[213:214], v[215:216]
	v_add_f64 v[23:24], v[23:24], -v[215:216]
	ds_read2_b64 v[215:218], v253 offset0:106 offset1:107
	s_waitcnt lgkmcnt(0)
	v_mul_f64 v[219:220], v[217:218], v[251:252]
	v_fma_f64 v[219:220], v[215:216], v[213:214], -v[219:220]
	v_mul_f64 v[215:216], v[215:216], v[251:252]
	v_add_f64 v[17:18], v[17:18], -v[219:220]
	v_fma_f64 v[215:216], v[217:218], v[213:214], v[215:216]
	v_add_f64 v[19:20], v[19:20], -v[215:216]
	ds_read2_b64 v[215:218], v253 offset0:108 offset1:109
	s_waitcnt lgkmcnt(0)
	v_mul_f64 v[219:220], v[217:218], v[251:252]
	v_fma_f64 v[219:220], v[215:216], v[213:214], -v[219:220]
	v_mul_f64 v[215:216], v[215:216], v[251:252]
	v_add_f64 v[13:14], v[13:14], -v[219:220]
	v_fma_f64 v[215:216], v[217:218], v[213:214], v[215:216]
	v_add_f64 v[15:16], v[15:16], -v[215:216]
	ds_read2_b64 v[215:218], v253 offset0:110 offset1:111
	s_waitcnt lgkmcnt(0)
	v_mul_f64 v[219:220], v[217:218], v[251:252]
	v_fma_f64 v[219:220], v[215:216], v[213:214], -v[219:220]
	v_mul_f64 v[215:216], v[215:216], v[251:252]
	v_add_f64 v[9:10], v[9:10], -v[219:220]
	v_fma_f64 v[215:216], v[217:218], v[213:214], v[215:216]
	v_add_f64 v[11:12], v[11:12], -v[215:216]
	ds_read2_b64 v[215:218], v253 offset0:112 offset1:113
	s_waitcnt lgkmcnt(0)
	v_mul_f64 v[219:220], v[217:218], v[251:252]
	v_fma_f64 v[219:220], v[215:216], v[213:214], -v[219:220]
	v_mul_f64 v[215:216], v[215:216], v[251:252]
	v_add_f64 v[5:6], v[5:6], -v[219:220]
	v_fma_f64 v[215:216], v[217:218], v[213:214], v[215:216]
	v_add_f64 v[7:8], v[7:8], -v[215:216]
	ds_read2_b64 v[215:218], v253 offset0:114 offset1:115
	s_waitcnt lgkmcnt(0)
	v_mul_f64 v[219:220], v[217:218], v[251:252]
	v_fma_f64 v[219:220], v[215:216], v[213:214], -v[219:220]
	v_mul_f64 v[215:216], v[215:216], v[251:252]
	v_add_f64 v[1:2], v[1:2], -v[219:220]
	v_fma_f64 v[215:216], v[217:218], v[213:214], v[215:216]
	v_add_f64 v[3:4], v[3:4], -v[215:216]
.LBB115_19:
	s_or_b32 exec_lo, exec_lo, s1
	s_mov_b32 s2, exec_lo
	s_waitcnt_vscnt null, 0x0
	s_barrier
	buffer_gl0_inv
	v_cmpx_eq_u32_e32 2, v0
	s_cbranch_execz .LBB115_26
; %bb.20:
	ds_write2_b64 v255, v[201:202], v[203:204] offset1:1
	ds_write2_b64 v253, v[225:226], v[227:228] offset0:6 offset1:7
	ds_write2_b64 v253, v[229:230], v[231:232] offset0:8 offset1:9
	;; [unrolled: 1-line block ×4, first 2 shown]
	s_clause 0x3
	buffer_load_dword v193, off, s[16:19], 0 offset:16
	buffer_load_dword v194, off, s[16:19], 0 offset:20
	;; [unrolled: 1-line block ×4, first 2 shown]
	s_waitcnt vmcnt(0)
	ds_write2_b64 v253, v[193:194], v[195:196] offset0:14 offset1:15
	s_clause 0x3
	buffer_load_dword v193, off, s[16:19], 0
	buffer_load_dword v194, off, s[16:19], 0 offset:4
	buffer_load_dword v195, off, s[16:19], 0 offset:8
	;; [unrolled: 1-line block ×3, first 2 shown]
	s_waitcnt vmcnt(0)
	ds_write2_b64 v253, v[193:194], v[195:196] offset0:16 offset1:17
	ds_write2_b64 v253, v[209:210], v[211:212] offset0:18 offset1:19
	;; [unrolled: 1-line block ×50, first 2 shown]
	ds_read2_b64 v[213:216], v255 offset1:1
	s_waitcnt lgkmcnt(0)
	v_cmp_neq_f64_e32 vcc_lo, 0, v[213:214]
	v_cmp_neq_f64_e64 s1, 0, v[215:216]
	s_or_b32 s1, vcc_lo, s1
	s_and_b32 exec_lo, exec_lo, s1
	s_cbranch_execz .LBB115_26
; %bb.21:
	v_cmp_ngt_f64_e64 s1, |v[213:214]|, |v[215:216]|
                                        ; implicit-def: $vgpr217_vgpr218
	s_and_saveexec_b32 s3, s1
	s_xor_b32 s1, exec_lo, s3
                                        ; implicit-def: $vgpr219_vgpr220
	s_cbranch_execz .LBB115_23
; %bb.22:
	v_div_scale_f64 v[217:218], null, v[215:216], v[215:216], v[213:214]
	v_div_scale_f64 v[223:224], vcc_lo, v[213:214], v[215:216], v[213:214]
	v_rcp_f64_e32 v[219:220], v[217:218]
	v_fma_f64 v[221:222], -v[217:218], v[219:220], 1.0
	v_fma_f64 v[219:220], v[219:220], v[221:222], v[219:220]
	v_fma_f64 v[221:222], -v[217:218], v[219:220], 1.0
	v_fma_f64 v[219:220], v[219:220], v[221:222], v[219:220]
	v_mul_f64 v[221:222], v[223:224], v[219:220]
	v_fma_f64 v[217:218], -v[217:218], v[221:222], v[223:224]
	v_div_fmas_f64 v[217:218], v[217:218], v[219:220], v[221:222]
	v_div_fixup_f64 v[217:218], v[217:218], v[215:216], v[213:214]
	v_fma_f64 v[213:214], v[213:214], v[217:218], v[215:216]
	v_div_scale_f64 v[215:216], null, v[213:214], v[213:214], 1.0
	v_rcp_f64_e32 v[219:220], v[215:216]
	v_fma_f64 v[221:222], -v[215:216], v[219:220], 1.0
	v_fma_f64 v[219:220], v[219:220], v[221:222], v[219:220]
	v_fma_f64 v[221:222], -v[215:216], v[219:220], 1.0
	v_fma_f64 v[219:220], v[219:220], v[221:222], v[219:220]
	v_div_scale_f64 v[221:222], vcc_lo, 1.0, v[213:214], 1.0
	v_mul_f64 v[223:224], v[221:222], v[219:220]
	v_fma_f64 v[215:216], -v[215:216], v[223:224], v[221:222]
	v_div_fmas_f64 v[215:216], v[215:216], v[219:220], v[223:224]
	v_div_fixup_f64 v[219:220], v[215:216], v[213:214], 1.0
                                        ; implicit-def: $vgpr213_vgpr214
	v_mul_f64 v[217:218], v[217:218], v[219:220]
	v_xor_b32_e32 v220, 0x80000000, v220
.LBB115_23:
	s_andn2_saveexec_b32 s1, s1
	s_cbranch_execz .LBB115_25
; %bb.24:
	v_div_scale_f64 v[217:218], null, v[213:214], v[213:214], v[215:216]
	v_div_scale_f64 v[223:224], vcc_lo, v[215:216], v[213:214], v[215:216]
	v_rcp_f64_e32 v[219:220], v[217:218]
	v_fma_f64 v[221:222], -v[217:218], v[219:220], 1.0
	v_fma_f64 v[219:220], v[219:220], v[221:222], v[219:220]
	v_fma_f64 v[221:222], -v[217:218], v[219:220], 1.0
	v_fma_f64 v[219:220], v[219:220], v[221:222], v[219:220]
	v_mul_f64 v[221:222], v[223:224], v[219:220]
	v_fma_f64 v[217:218], -v[217:218], v[221:222], v[223:224]
	v_div_fmas_f64 v[217:218], v[217:218], v[219:220], v[221:222]
	v_div_fixup_f64 v[219:220], v[217:218], v[213:214], v[215:216]
	v_fma_f64 v[213:214], v[215:216], v[219:220], v[213:214]
	v_div_scale_f64 v[215:216], null, v[213:214], v[213:214], 1.0
	v_rcp_f64_e32 v[217:218], v[215:216]
	v_fma_f64 v[221:222], -v[215:216], v[217:218], 1.0
	v_fma_f64 v[217:218], v[217:218], v[221:222], v[217:218]
	v_fma_f64 v[221:222], -v[215:216], v[217:218], 1.0
	v_fma_f64 v[217:218], v[217:218], v[221:222], v[217:218]
	v_div_scale_f64 v[221:222], vcc_lo, 1.0, v[213:214], 1.0
	v_mul_f64 v[223:224], v[221:222], v[217:218]
	v_fma_f64 v[215:216], -v[215:216], v[223:224], v[221:222]
	v_div_fmas_f64 v[215:216], v[215:216], v[217:218], v[223:224]
	v_div_fixup_f64 v[217:218], v[215:216], v[213:214], 1.0
	v_mul_f64 v[219:220], v[219:220], -v[217:218]
.LBB115_25:
	s_or_b32 exec_lo, exec_lo, s1
	ds_write2_b64 v255, v[217:218], v[219:220] offset1:1
.LBB115_26:
	s_or_b32 exec_lo, exec_lo, s2
	s_waitcnt lgkmcnt(0)
	s_barrier
	buffer_gl0_inv
	ds_read2_b64 v[193:196], v255 offset1:1
	s_mov_b32 s1, exec_lo
	s_waitcnt lgkmcnt(0)
	buffer_store_dword v193, off, s[16:19], 0 offset:520 ; 4-byte Folded Spill
	buffer_store_dword v194, off, s[16:19], 0 offset:524 ; 4-byte Folded Spill
	;; [unrolled: 1-line block ×4, first 2 shown]
	v_cmpx_lt_u32_e32 2, v0
	s_cbranch_execz .LBB115_28
; %bb.27:
	s_clause 0x3
	buffer_load_dword v193, off, s[16:19], 0 offset:520
	buffer_load_dword v194, off, s[16:19], 0 offset:524
	buffer_load_dword v195, off, s[16:19], 0 offset:528
	buffer_load_dword v196, off, s[16:19], 0 offset:532
	s_waitcnt vmcnt(2)
	v_mul_f64 v[215:216], v[193:194], v[203:204]
	s_waitcnt vmcnt(0)
	v_mul_f64 v[213:214], v[195:196], v[203:204]
	v_fma_f64 v[203:204], v[195:196], v[201:202], v[215:216]
	ds_read2_b64 v[215:218], v253 offset0:6 offset1:7
	v_fma_f64 v[213:214], v[193:194], v[201:202], -v[213:214]
	s_waitcnt lgkmcnt(0)
	v_mul_f64 v[219:220], v[217:218], v[203:204]
	v_mov_b32_e32 v201, v213
	v_mov_b32_e32 v202, v214
	v_fma_f64 v[219:220], v[215:216], v[213:214], -v[219:220]
	v_mul_f64 v[215:216], v[215:216], v[203:204]
	v_add_f64 v[225:226], v[225:226], -v[219:220]
	v_fma_f64 v[215:216], v[217:218], v[213:214], v[215:216]
	v_add_f64 v[227:228], v[227:228], -v[215:216]
	ds_read2_b64 v[215:218], v253 offset0:8 offset1:9
	s_waitcnt lgkmcnt(0)
	v_mul_f64 v[219:220], v[217:218], v[203:204]
	v_fma_f64 v[219:220], v[215:216], v[213:214], -v[219:220]
	v_mul_f64 v[215:216], v[215:216], v[203:204]
	v_add_f64 v[229:230], v[229:230], -v[219:220]
	v_fma_f64 v[215:216], v[217:218], v[213:214], v[215:216]
	v_add_f64 v[231:232], v[231:232], -v[215:216]
	ds_read2_b64 v[215:218], v253 offset0:10 offset1:11
	s_waitcnt lgkmcnt(0)
	v_mul_f64 v[219:220], v[217:218], v[203:204]
	;; [unrolled: 8-line block ×3, first 2 shown]
	v_fma_f64 v[219:220], v[215:216], v[213:214], -v[219:220]
	v_mul_f64 v[215:216], v[215:216], v[203:204]
	v_add_f64 v[233:234], v[233:234], -v[219:220]
	v_fma_f64 v[215:216], v[217:218], v[213:214], v[215:216]
	v_add_f64 v[235:236], v[235:236], -v[215:216]
	ds_read2_b64 v[215:218], v253 offset0:14 offset1:15
	s_clause 0x3
	buffer_load_dword v193, off, s[16:19], 0 offset:16
	buffer_load_dword v194, off, s[16:19], 0 offset:20
	;; [unrolled: 1-line block ×4, first 2 shown]
	s_waitcnt lgkmcnt(0)
	v_mul_f64 v[219:220], v[217:218], v[203:204]
	v_fma_f64 v[219:220], v[215:216], v[213:214], -v[219:220]
	v_mul_f64 v[215:216], v[215:216], v[203:204]
	v_fma_f64 v[215:216], v[217:218], v[213:214], v[215:216]
	s_waitcnt vmcnt(2)
	v_add_f64 v[193:194], v[193:194], -v[219:220]
	s_waitcnt vmcnt(0)
	v_add_f64 v[195:196], v[195:196], -v[215:216]
	buffer_store_dword v193, off, s[16:19], 0 offset:16 ; 4-byte Folded Spill
	buffer_store_dword v194, off, s[16:19], 0 offset:20 ; 4-byte Folded Spill
	;; [unrolled: 1-line block ×4, first 2 shown]
	ds_read2_b64 v[215:218], v253 offset0:16 offset1:17
	s_clause 0x3
	buffer_load_dword v193, off, s[16:19], 0
	buffer_load_dword v194, off, s[16:19], 0 offset:4
	buffer_load_dword v195, off, s[16:19], 0 offset:8
	;; [unrolled: 1-line block ×3, first 2 shown]
	s_waitcnt lgkmcnt(0)
	v_mul_f64 v[219:220], v[217:218], v[203:204]
	v_fma_f64 v[219:220], v[215:216], v[213:214], -v[219:220]
	v_mul_f64 v[215:216], v[215:216], v[203:204]
	v_fma_f64 v[215:216], v[217:218], v[213:214], v[215:216]
	s_waitcnt vmcnt(2)
	v_add_f64 v[193:194], v[193:194], -v[219:220]
	s_waitcnt vmcnt(0)
	v_add_f64 v[195:196], v[195:196], -v[215:216]
	buffer_store_dword v193, off, s[16:19], 0 ; 4-byte Folded Spill
	buffer_store_dword v194, off, s[16:19], 0 offset:4 ; 4-byte Folded Spill
	buffer_store_dword v195, off, s[16:19], 0 offset:8 ; 4-byte Folded Spill
	;; [unrolled: 1-line block ×3, first 2 shown]
	ds_read2_b64 v[215:218], v253 offset0:18 offset1:19
	s_waitcnt lgkmcnt(0)
	v_mul_f64 v[219:220], v[217:218], v[203:204]
	v_fma_f64 v[219:220], v[215:216], v[213:214], -v[219:220]
	v_mul_f64 v[215:216], v[215:216], v[203:204]
	v_add_f64 v[209:210], v[209:210], -v[219:220]
	v_fma_f64 v[215:216], v[217:218], v[213:214], v[215:216]
	v_add_f64 v[211:212], v[211:212], -v[215:216]
	ds_read2_b64 v[215:218], v253 offset0:20 offset1:21
	s_waitcnt lgkmcnt(0)
	v_mul_f64 v[219:220], v[217:218], v[203:204]
	v_fma_f64 v[219:220], v[215:216], v[213:214], -v[219:220]
	v_mul_f64 v[215:216], v[215:216], v[203:204]
	v_add_f64 v[189:190], v[189:190], -v[219:220]
	v_fma_f64 v[215:216], v[217:218], v[213:214], v[215:216]
	v_add_f64 v[191:192], v[191:192], -v[215:216]
	;; [unrolled: 8-line block ×49, first 2 shown]
.LBB115_28:
	s_or_b32 exec_lo, exec_lo, s1
	s_mov_b32 s2, exec_lo
	s_waitcnt_vscnt null, 0x0
	s_barrier
	buffer_gl0_inv
	v_cmpx_eq_u32_e32 3, v0
	s_cbranch_execz .LBB115_35
; %bb.29:
	ds_write2_b64 v255, v[225:226], v[227:228] offset1:1
	ds_write2_b64 v253, v[229:230], v[231:232] offset0:8 offset1:9
	ds_write2_b64 v253, v[237:238], v[239:240] offset0:10 offset1:11
	;; [unrolled: 1-line block ×3, first 2 shown]
	s_clause 0x3
	buffer_load_dword v193, off, s[16:19], 0 offset:16
	buffer_load_dword v194, off, s[16:19], 0 offset:20
	;; [unrolled: 1-line block ×4, first 2 shown]
	s_waitcnt vmcnt(0)
	ds_write2_b64 v253, v[193:194], v[195:196] offset0:14 offset1:15
	s_clause 0x3
	buffer_load_dword v193, off, s[16:19], 0
	buffer_load_dword v194, off, s[16:19], 0 offset:4
	buffer_load_dword v195, off, s[16:19], 0 offset:8
	;; [unrolled: 1-line block ×3, first 2 shown]
	s_waitcnt vmcnt(0)
	ds_write2_b64 v253, v[193:194], v[195:196] offset0:16 offset1:17
	ds_write2_b64 v253, v[209:210], v[211:212] offset0:18 offset1:19
	;; [unrolled: 1-line block ×50, first 2 shown]
	ds_read2_b64 v[213:216], v255 offset1:1
	s_waitcnt lgkmcnt(0)
	v_cmp_neq_f64_e32 vcc_lo, 0, v[213:214]
	v_cmp_neq_f64_e64 s1, 0, v[215:216]
	s_or_b32 s1, vcc_lo, s1
	s_and_b32 exec_lo, exec_lo, s1
	s_cbranch_execz .LBB115_35
; %bb.30:
	v_cmp_ngt_f64_e64 s1, |v[213:214]|, |v[215:216]|
                                        ; implicit-def: $vgpr217_vgpr218
	s_and_saveexec_b32 s3, s1
	s_xor_b32 s1, exec_lo, s3
                                        ; implicit-def: $vgpr219_vgpr220
	s_cbranch_execz .LBB115_32
; %bb.31:
	v_div_scale_f64 v[217:218], null, v[215:216], v[215:216], v[213:214]
	v_div_scale_f64 v[223:224], vcc_lo, v[213:214], v[215:216], v[213:214]
	v_rcp_f64_e32 v[219:220], v[217:218]
	v_fma_f64 v[221:222], -v[217:218], v[219:220], 1.0
	v_fma_f64 v[219:220], v[219:220], v[221:222], v[219:220]
	v_fma_f64 v[221:222], -v[217:218], v[219:220], 1.0
	v_fma_f64 v[219:220], v[219:220], v[221:222], v[219:220]
	v_mul_f64 v[221:222], v[223:224], v[219:220]
	v_fma_f64 v[217:218], -v[217:218], v[221:222], v[223:224]
	v_div_fmas_f64 v[217:218], v[217:218], v[219:220], v[221:222]
	v_div_fixup_f64 v[217:218], v[217:218], v[215:216], v[213:214]
	v_fma_f64 v[213:214], v[213:214], v[217:218], v[215:216]
	v_div_scale_f64 v[215:216], null, v[213:214], v[213:214], 1.0
	v_rcp_f64_e32 v[219:220], v[215:216]
	v_fma_f64 v[221:222], -v[215:216], v[219:220], 1.0
	v_fma_f64 v[219:220], v[219:220], v[221:222], v[219:220]
	v_fma_f64 v[221:222], -v[215:216], v[219:220], 1.0
	v_fma_f64 v[219:220], v[219:220], v[221:222], v[219:220]
	v_div_scale_f64 v[221:222], vcc_lo, 1.0, v[213:214], 1.0
	v_mul_f64 v[223:224], v[221:222], v[219:220]
	v_fma_f64 v[215:216], -v[215:216], v[223:224], v[221:222]
	v_div_fmas_f64 v[215:216], v[215:216], v[219:220], v[223:224]
	v_div_fixup_f64 v[219:220], v[215:216], v[213:214], 1.0
                                        ; implicit-def: $vgpr213_vgpr214
	v_mul_f64 v[217:218], v[217:218], v[219:220]
	v_xor_b32_e32 v220, 0x80000000, v220
.LBB115_32:
	s_andn2_saveexec_b32 s1, s1
	s_cbranch_execz .LBB115_34
; %bb.33:
	v_div_scale_f64 v[217:218], null, v[213:214], v[213:214], v[215:216]
	v_div_scale_f64 v[223:224], vcc_lo, v[215:216], v[213:214], v[215:216]
	v_rcp_f64_e32 v[219:220], v[217:218]
	v_fma_f64 v[221:222], -v[217:218], v[219:220], 1.0
	v_fma_f64 v[219:220], v[219:220], v[221:222], v[219:220]
	v_fma_f64 v[221:222], -v[217:218], v[219:220], 1.0
	v_fma_f64 v[219:220], v[219:220], v[221:222], v[219:220]
	v_mul_f64 v[221:222], v[223:224], v[219:220]
	v_fma_f64 v[217:218], -v[217:218], v[221:222], v[223:224]
	v_div_fmas_f64 v[217:218], v[217:218], v[219:220], v[221:222]
	v_div_fixup_f64 v[219:220], v[217:218], v[213:214], v[215:216]
	v_fma_f64 v[213:214], v[215:216], v[219:220], v[213:214]
	v_div_scale_f64 v[215:216], null, v[213:214], v[213:214], 1.0
	v_rcp_f64_e32 v[217:218], v[215:216]
	v_fma_f64 v[221:222], -v[215:216], v[217:218], 1.0
	v_fma_f64 v[217:218], v[217:218], v[221:222], v[217:218]
	v_fma_f64 v[221:222], -v[215:216], v[217:218], 1.0
	v_fma_f64 v[217:218], v[217:218], v[221:222], v[217:218]
	v_div_scale_f64 v[221:222], vcc_lo, 1.0, v[213:214], 1.0
	v_mul_f64 v[223:224], v[221:222], v[217:218]
	v_fma_f64 v[215:216], -v[215:216], v[223:224], v[221:222]
	v_div_fmas_f64 v[215:216], v[215:216], v[217:218], v[223:224]
	v_div_fixup_f64 v[217:218], v[215:216], v[213:214], 1.0
	v_mul_f64 v[219:220], v[219:220], -v[217:218]
.LBB115_34:
	s_or_b32 exec_lo, exec_lo, s1
	ds_write2_b64 v255, v[217:218], v[219:220] offset1:1
.LBB115_35:
	s_or_b32 exec_lo, exec_lo, s2
	s_waitcnt lgkmcnt(0)
	s_barrier
	buffer_gl0_inv
	ds_read2_b64 v[193:196], v255 offset1:1
	s_mov_b32 s1, exec_lo
	s_waitcnt lgkmcnt(0)
	buffer_store_dword v193, off, s[16:19], 0 offset:536 ; 4-byte Folded Spill
	buffer_store_dword v194, off, s[16:19], 0 offset:540 ; 4-byte Folded Spill
	buffer_store_dword v195, off, s[16:19], 0 offset:544 ; 4-byte Folded Spill
	buffer_store_dword v196, off, s[16:19], 0 offset:548 ; 4-byte Folded Spill
	v_cmpx_lt_u32_e32 3, v0
	s_cbranch_execz .LBB115_37
; %bb.36:
	s_clause 0x3
	buffer_load_dword v193, off, s[16:19], 0 offset:536
	buffer_load_dword v194, off, s[16:19], 0 offset:540
	;; [unrolled: 1-line block ×4, first 2 shown]
	s_waitcnt vmcnt(2)
	v_mul_f64 v[215:216], v[193:194], v[227:228]
	s_waitcnt vmcnt(0)
	v_mul_f64 v[213:214], v[195:196], v[227:228]
	v_fma_f64 v[227:228], v[195:196], v[225:226], v[215:216]
	ds_read2_b64 v[215:218], v253 offset0:8 offset1:9
	v_fma_f64 v[213:214], v[193:194], v[225:226], -v[213:214]
	s_waitcnt lgkmcnt(0)
	v_mul_f64 v[219:220], v[217:218], v[227:228]
	v_mov_b32_e32 v226, v214
	v_mov_b32_e32 v225, v213
	v_fma_f64 v[219:220], v[215:216], v[213:214], -v[219:220]
	v_mul_f64 v[215:216], v[215:216], v[227:228]
	v_add_f64 v[229:230], v[229:230], -v[219:220]
	v_fma_f64 v[215:216], v[217:218], v[213:214], v[215:216]
	v_add_f64 v[231:232], v[231:232], -v[215:216]
	ds_read2_b64 v[215:218], v253 offset0:10 offset1:11
	s_waitcnt lgkmcnt(0)
	v_mul_f64 v[219:220], v[217:218], v[227:228]
	v_fma_f64 v[219:220], v[215:216], v[213:214], -v[219:220]
	v_mul_f64 v[215:216], v[215:216], v[227:228]
	v_add_f64 v[237:238], v[237:238], -v[219:220]
	v_fma_f64 v[215:216], v[217:218], v[213:214], v[215:216]
	v_add_f64 v[239:240], v[239:240], -v[215:216]
	ds_read2_b64 v[215:218], v253 offset0:12 offset1:13
	s_waitcnt lgkmcnt(0)
	v_mul_f64 v[219:220], v[217:218], v[227:228]
	v_fma_f64 v[219:220], v[215:216], v[213:214], -v[219:220]
	v_mul_f64 v[215:216], v[215:216], v[227:228]
	v_add_f64 v[233:234], v[233:234], -v[219:220]
	v_fma_f64 v[215:216], v[217:218], v[213:214], v[215:216]
	v_add_f64 v[235:236], v[235:236], -v[215:216]
	ds_read2_b64 v[215:218], v253 offset0:14 offset1:15
	s_clause 0x3
	buffer_load_dword v193, off, s[16:19], 0 offset:16
	buffer_load_dword v194, off, s[16:19], 0 offset:20
	;; [unrolled: 1-line block ×4, first 2 shown]
	s_waitcnt lgkmcnt(0)
	v_mul_f64 v[219:220], v[217:218], v[227:228]
	v_fma_f64 v[219:220], v[215:216], v[213:214], -v[219:220]
	v_mul_f64 v[215:216], v[215:216], v[227:228]
	v_fma_f64 v[215:216], v[217:218], v[213:214], v[215:216]
	s_waitcnt vmcnt(2)
	v_add_f64 v[193:194], v[193:194], -v[219:220]
	s_waitcnt vmcnt(0)
	v_add_f64 v[195:196], v[195:196], -v[215:216]
	buffer_store_dword v193, off, s[16:19], 0 offset:16 ; 4-byte Folded Spill
	buffer_store_dword v194, off, s[16:19], 0 offset:20 ; 4-byte Folded Spill
	;; [unrolled: 1-line block ×4, first 2 shown]
	ds_read2_b64 v[215:218], v253 offset0:16 offset1:17
	s_clause 0x3
	buffer_load_dword v193, off, s[16:19], 0
	buffer_load_dword v194, off, s[16:19], 0 offset:4
	buffer_load_dword v195, off, s[16:19], 0 offset:8
	;; [unrolled: 1-line block ×3, first 2 shown]
	s_waitcnt lgkmcnt(0)
	v_mul_f64 v[219:220], v[217:218], v[227:228]
	v_fma_f64 v[219:220], v[215:216], v[213:214], -v[219:220]
	v_mul_f64 v[215:216], v[215:216], v[227:228]
	v_fma_f64 v[215:216], v[217:218], v[213:214], v[215:216]
	s_waitcnt vmcnt(2)
	v_add_f64 v[193:194], v[193:194], -v[219:220]
	s_waitcnt vmcnt(0)
	v_add_f64 v[195:196], v[195:196], -v[215:216]
	buffer_store_dword v193, off, s[16:19], 0 ; 4-byte Folded Spill
	buffer_store_dword v194, off, s[16:19], 0 offset:4 ; 4-byte Folded Spill
	buffer_store_dword v195, off, s[16:19], 0 offset:8 ; 4-byte Folded Spill
	;; [unrolled: 1-line block ×3, first 2 shown]
	ds_read2_b64 v[215:218], v253 offset0:18 offset1:19
	s_waitcnt lgkmcnt(0)
	v_mul_f64 v[219:220], v[217:218], v[227:228]
	v_fma_f64 v[219:220], v[215:216], v[213:214], -v[219:220]
	v_mul_f64 v[215:216], v[215:216], v[227:228]
	v_add_f64 v[209:210], v[209:210], -v[219:220]
	v_fma_f64 v[215:216], v[217:218], v[213:214], v[215:216]
	v_add_f64 v[211:212], v[211:212], -v[215:216]
	ds_read2_b64 v[215:218], v253 offset0:20 offset1:21
	s_waitcnt lgkmcnt(0)
	v_mul_f64 v[219:220], v[217:218], v[227:228]
	v_fma_f64 v[219:220], v[215:216], v[213:214], -v[219:220]
	v_mul_f64 v[215:216], v[215:216], v[227:228]
	v_add_f64 v[189:190], v[189:190], -v[219:220]
	v_fma_f64 v[215:216], v[217:218], v[213:214], v[215:216]
	v_add_f64 v[191:192], v[191:192], -v[215:216]
	;; [unrolled: 8-line block ×49, first 2 shown]
.LBB115_37:
	s_or_b32 exec_lo, exec_lo, s1
	s_mov_b32 s2, exec_lo
	s_waitcnt_vscnt null, 0x0
	s_barrier
	buffer_gl0_inv
	v_cmpx_eq_u32_e32 4, v0
	s_cbranch_execz .LBB115_44
; %bb.38:
	ds_write2_b64 v255, v[229:230], v[231:232] offset1:1
	ds_write2_b64 v253, v[237:238], v[239:240] offset0:10 offset1:11
	ds_write2_b64 v253, v[233:234], v[235:236] offset0:12 offset1:13
	s_clause 0x3
	buffer_load_dword v193, off, s[16:19], 0 offset:16
	buffer_load_dword v194, off, s[16:19], 0 offset:20
	;; [unrolled: 1-line block ×4, first 2 shown]
	s_waitcnt vmcnt(0)
	ds_write2_b64 v253, v[193:194], v[195:196] offset0:14 offset1:15
	s_clause 0x3
	buffer_load_dword v193, off, s[16:19], 0
	buffer_load_dword v194, off, s[16:19], 0 offset:4
	buffer_load_dword v195, off, s[16:19], 0 offset:8
	;; [unrolled: 1-line block ×3, first 2 shown]
	s_waitcnt vmcnt(0)
	ds_write2_b64 v253, v[193:194], v[195:196] offset0:16 offset1:17
	ds_write2_b64 v253, v[209:210], v[211:212] offset0:18 offset1:19
	ds_write2_b64 v253, v[189:190], v[191:192] offset0:20 offset1:21
	ds_write2_b64 v253, v[185:186], v[187:188] offset0:22 offset1:23
	ds_write2_b64 v253, v[181:182], v[183:184] offset0:24 offset1:25
	ds_write2_b64 v253, v[177:178], v[179:180] offset0:26 offset1:27
	ds_write2_b64 v253, v[173:174], v[175:176] offset0:28 offset1:29
	ds_write2_b64 v253, v[169:170], v[171:172] offset0:30 offset1:31
	ds_write2_b64 v253, v[165:166], v[167:168] offset0:32 offset1:33
	ds_write2_b64 v253, v[161:162], v[163:164] offset0:34 offset1:35
	ds_write2_b64 v253, v[157:158], v[159:160] offset0:36 offset1:37
	ds_write2_b64 v253, v[153:154], v[155:156] offset0:38 offset1:39
	ds_write2_b64 v253, v[149:150], v[151:152] offset0:40 offset1:41
	ds_write2_b64 v253, v[145:146], v[147:148] offset0:42 offset1:43
	ds_write2_b64 v253, v[141:142], v[143:144] offset0:44 offset1:45
	ds_write2_b64 v253, v[137:138], v[139:140] offset0:46 offset1:47
	ds_write2_b64 v253, v[133:134], v[135:136] offset0:48 offset1:49
	ds_write2_b64 v253, v[129:130], v[131:132] offset0:50 offset1:51
	ds_write2_b64 v253, v[125:126], v[127:128] offset0:52 offset1:53
	ds_write2_b64 v253, v[121:122], v[123:124] offset0:54 offset1:55
	ds_write2_b64 v253, v[117:118], v[119:120] offset0:56 offset1:57
	ds_write2_b64 v253, v[113:114], v[115:116] offset0:58 offset1:59
	ds_write2_b64 v253, v[109:110], v[111:112] offset0:60 offset1:61
	ds_write2_b64 v253, v[105:106], v[107:108] offset0:62 offset1:63
	ds_write2_b64 v253, v[101:102], v[103:104] offset0:64 offset1:65
	ds_write2_b64 v253, v[97:98], v[99:100] offset0:66 offset1:67
	ds_write2_b64 v253, v[93:94], v[95:96] offset0:68 offset1:69
	ds_write2_b64 v253, v[89:90], v[91:92] offset0:70 offset1:71
	ds_write2_b64 v253, v[85:86], v[87:88] offset0:72 offset1:73
	ds_write2_b64 v253, v[81:82], v[83:84] offset0:74 offset1:75
	ds_write2_b64 v253, v[77:78], v[79:80] offset0:76 offset1:77
	ds_write2_b64 v253, v[73:74], v[75:76] offset0:78 offset1:79
	ds_write2_b64 v253, v[69:70], v[71:72] offset0:80 offset1:81
	ds_write2_b64 v253, v[65:66], v[67:68] offset0:82 offset1:83
	ds_write2_b64 v253, v[61:62], v[63:64] offset0:84 offset1:85
	ds_write2_b64 v253, v[57:58], v[59:60] offset0:86 offset1:87
	ds_write2_b64 v253, v[53:54], v[55:56] offset0:88 offset1:89
	ds_write2_b64 v253, v[49:50], v[51:52] offset0:90 offset1:91
	ds_write2_b64 v253, v[45:46], v[47:48] offset0:92 offset1:93
	ds_write2_b64 v253, v[41:42], v[43:44] offset0:94 offset1:95
	ds_write2_b64 v253, v[37:38], v[39:40] offset0:96 offset1:97
	ds_write2_b64 v253, v[33:34], v[35:36] offset0:98 offset1:99
	ds_write2_b64 v253, v[29:30], v[31:32] offset0:100 offset1:101
	ds_write2_b64 v253, v[25:26], v[27:28] offset0:102 offset1:103
	ds_write2_b64 v253, v[21:22], v[23:24] offset0:104 offset1:105
	ds_write2_b64 v253, v[17:18], v[19:20] offset0:106 offset1:107
	ds_write2_b64 v253, v[13:14], v[15:16] offset0:108 offset1:109
	ds_write2_b64 v253, v[9:10], v[11:12] offset0:110 offset1:111
	ds_write2_b64 v253, v[5:6], v[7:8] offset0:112 offset1:113
	ds_write2_b64 v253, v[1:2], v[3:4] offset0:114 offset1:115
	ds_read2_b64 v[213:216], v255 offset1:1
	s_waitcnt lgkmcnt(0)
	v_cmp_neq_f64_e32 vcc_lo, 0, v[213:214]
	v_cmp_neq_f64_e64 s1, 0, v[215:216]
	s_or_b32 s1, vcc_lo, s1
	s_and_b32 exec_lo, exec_lo, s1
	s_cbranch_execz .LBB115_44
; %bb.39:
	v_cmp_ngt_f64_e64 s1, |v[213:214]|, |v[215:216]|
                                        ; implicit-def: $vgpr217_vgpr218
	s_and_saveexec_b32 s3, s1
	s_xor_b32 s1, exec_lo, s3
                                        ; implicit-def: $vgpr219_vgpr220
	s_cbranch_execz .LBB115_41
; %bb.40:
	v_div_scale_f64 v[217:218], null, v[215:216], v[215:216], v[213:214]
	v_div_scale_f64 v[223:224], vcc_lo, v[213:214], v[215:216], v[213:214]
	v_rcp_f64_e32 v[219:220], v[217:218]
	v_fma_f64 v[221:222], -v[217:218], v[219:220], 1.0
	v_fma_f64 v[219:220], v[219:220], v[221:222], v[219:220]
	v_fma_f64 v[221:222], -v[217:218], v[219:220], 1.0
	v_fma_f64 v[219:220], v[219:220], v[221:222], v[219:220]
	v_mul_f64 v[221:222], v[223:224], v[219:220]
	v_fma_f64 v[217:218], -v[217:218], v[221:222], v[223:224]
	v_div_fmas_f64 v[217:218], v[217:218], v[219:220], v[221:222]
	v_div_fixup_f64 v[217:218], v[217:218], v[215:216], v[213:214]
	v_fma_f64 v[213:214], v[213:214], v[217:218], v[215:216]
	v_div_scale_f64 v[215:216], null, v[213:214], v[213:214], 1.0
	v_rcp_f64_e32 v[219:220], v[215:216]
	v_fma_f64 v[221:222], -v[215:216], v[219:220], 1.0
	v_fma_f64 v[219:220], v[219:220], v[221:222], v[219:220]
	v_fma_f64 v[221:222], -v[215:216], v[219:220], 1.0
	v_fma_f64 v[219:220], v[219:220], v[221:222], v[219:220]
	v_div_scale_f64 v[221:222], vcc_lo, 1.0, v[213:214], 1.0
	v_mul_f64 v[223:224], v[221:222], v[219:220]
	v_fma_f64 v[215:216], -v[215:216], v[223:224], v[221:222]
	v_div_fmas_f64 v[215:216], v[215:216], v[219:220], v[223:224]
	v_div_fixup_f64 v[219:220], v[215:216], v[213:214], 1.0
                                        ; implicit-def: $vgpr213_vgpr214
	v_mul_f64 v[217:218], v[217:218], v[219:220]
	v_xor_b32_e32 v220, 0x80000000, v220
.LBB115_41:
	s_andn2_saveexec_b32 s1, s1
	s_cbranch_execz .LBB115_43
; %bb.42:
	v_div_scale_f64 v[217:218], null, v[213:214], v[213:214], v[215:216]
	v_div_scale_f64 v[223:224], vcc_lo, v[215:216], v[213:214], v[215:216]
	v_rcp_f64_e32 v[219:220], v[217:218]
	v_fma_f64 v[221:222], -v[217:218], v[219:220], 1.0
	v_fma_f64 v[219:220], v[219:220], v[221:222], v[219:220]
	v_fma_f64 v[221:222], -v[217:218], v[219:220], 1.0
	v_fma_f64 v[219:220], v[219:220], v[221:222], v[219:220]
	v_mul_f64 v[221:222], v[223:224], v[219:220]
	v_fma_f64 v[217:218], -v[217:218], v[221:222], v[223:224]
	v_div_fmas_f64 v[217:218], v[217:218], v[219:220], v[221:222]
	v_div_fixup_f64 v[219:220], v[217:218], v[213:214], v[215:216]
	v_fma_f64 v[213:214], v[215:216], v[219:220], v[213:214]
	v_div_scale_f64 v[215:216], null, v[213:214], v[213:214], 1.0
	v_rcp_f64_e32 v[217:218], v[215:216]
	v_fma_f64 v[221:222], -v[215:216], v[217:218], 1.0
	v_fma_f64 v[217:218], v[217:218], v[221:222], v[217:218]
	v_fma_f64 v[221:222], -v[215:216], v[217:218], 1.0
	v_fma_f64 v[217:218], v[217:218], v[221:222], v[217:218]
	v_div_scale_f64 v[221:222], vcc_lo, 1.0, v[213:214], 1.0
	v_mul_f64 v[223:224], v[221:222], v[217:218]
	v_fma_f64 v[215:216], -v[215:216], v[223:224], v[221:222]
	v_div_fmas_f64 v[215:216], v[215:216], v[217:218], v[223:224]
	v_div_fixup_f64 v[217:218], v[215:216], v[213:214], 1.0
	v_mul_f64 v[219:220], v[219:220], -v[217:218]
.LBB115_43:
	s_or_b32 exec_lo, exec_lo, s1
	ds_write2_b64 v255, v[217:218], v[219:220] offset1:1
.LBB115_44:
	s_or_b32 exec_lo, exec_lo, s2
	s_waitcnt lgkmcnt(0)
	s_barrier
	buffer_gl0_inv
	ds_read2_b64 v[193:196], v255 offset1:1
	s_mov_b32 s1, exec_lo
	s_waitcnt lgkmcnt(0)
	buffer_store_dword v193, off, s[16:19], 0 offset:552 ; 4-byte Folded Spill
	buffer_store_dword v194, off, s[16:19], 0 offset:556 ; 4-byte Folded Spill
	;; [unrolled: 1-line block ×4, first 2 shown]
	v_cmpx_lt_u32_e32 4, v0
	s_cbranch_execz .LBB115_46
; %bb.45:
	s_clause 0x3
	buffer_load_dword v193, off, s[16:19], 0 offset:552
	buffer_load_dword v194, off, s[16:19], 0 offset:556
	;; [unrolled: 1-line block ×4, first 2 shown]
	s_waitcnt vmcnt(2)
	v_mul_f64 v[215:216], v[193:194], v[231:232]
	s_waitcnt vmcnt(0)
	v_mul_f64 v[213:214], v[195:196], v[231:232]
	v_fma_f64 v[231:232], v[195:196], v[229:230], v[215:216]
	ds_read2_b64 v[215:218], v253 offset0:10 offset1:11
	v_fma_f64 v[213:214], v[193:194], v[229:230], -v[213:214]
	s_waitcnt lgkmcnt(0)
	v_mul_f64 v[219:220], v[217:218], v[231:232]
	v_mov_b32_e32 v230, v214
	v_mov_b32_e32 v229, v213
	v_fma_f64 v[219:220], v[215:216], v[213:214], -v[219:220]
	v_mul_f64 v[215:216], v[215:216], v[231:232]
	v_add_f64 v[237:238], v[237:238], -v[219:220]
	v_fma_f64 v[215:216], v[217:218], v[213:214], v[215:216]
	v_add_f64 v[239:240], v[239:240], -v[215:216]
	ds_read2_b64 v[215:218], v253 offset0:12 offset1:13
	s_waitcnt lgkmcnt(0)
	v_mul_f64 v[219:220], v[217:218], v[231:232]
	v_fma_f64 v[219:220], v[215:216], v[213:214], -v[219:220]
	v_mul_f64 v[215:216], v[215:216], v[231:232]
	v_add_f64 v[233:234], v[233:234], -v[219:220]
	v_fma_f64 v[215:216], v[217:218], v[213:214], v[215:216]
	v_add_f64 v[235:236], v[235:236], -v[215:216]
	ds_read2_b64 v[215:218], v253 offset0:14 offset1:15
	s_clause 0x3
	buffer_load_dword v193, off, s[16:19], 0 offset:16
	buffer_load_dword v194, off, s[16:19], 0 offset:20
	;; [unrolled: 1-line block ×4, first 2 shown]
	s_waitcnt lgkmcnt(0)
	v_mul_f64 v[219:220], v[217:218], v[231:232]
	v_fma_f64 v[219:220], v[215:216], v[213:214], -v[219:220]
	v_mul_f64 v[215:216], v[215:216], v[231:232]
	v_fma_f64 v[215:216], v[217:218], v[213:214], v[215:216]
	s_waitcnt vmcnt(2)
	v_add_f64 v[193:194], v[193:194], -v[219:220]
	s_waitcnt vmcnt(0)
	v_add_f64 v[195:196], v[195:196], -v[215:216]
	buffer_store_dword v193, off, s[16:19], 0 offset:16 ; 4-byte Folded Spill
	buffer_store_dword v194, off, s[16:19], 0 offset:20 ; 4-byte Folded Spill
	;; [unrolled: 1-line block ×4, first 2 shown]
	ds_read2_b64 v[215:218], v253 offset0:16 offset1:17
	s_clause 0x3
	buffer_load_dword v193, off, s[16:19], 0
	buffer_load_dword v194, off, s[16:19], 0 offset:4
	buffer_load_dword v195, off, s[16:19], 0 offset:8
	;; [unrolled: 1-line block ×3, first 2 shown]
	s_waitcnt lgkmcnt(0)
	v_mul_f64 v[219:220], v[217:218], v[231:232]
	v_fma_f64 v[219:220], v[215:216], v[213:214], -v[219:220]
	v_mul_f64 v[215:216], v[215:216], v[231:232]
	v_fma_f64 v[215:216], v[217:218], v[213:214], v[215:216]
	s_waitcnt vmcnt(2)
	v_add_f64 v[193:194], v[193:194], -v[219:220]
	s_waitcnt vmcnt(0)
	v_add_f64 v[195:196], v[195:196], -v[215:216]
	buffer_store_dword v193, off, s[16:19], 0 ; 4-byte Folded Spill
	buffer_store_dword v194, off, s[16:19], 0 offset:4 ; 4-byte Folded Spill
	buffer_store_dword v195, off, s[16:19], 0 offset:8 ; 4-byte Folded Spill
	;; [unrolled: 1-line block ×3, first 2 shown]
	ds_read2_b64 v[215:218], v253 offset0:18 offset1:19
	s_waitcnt lgkmcnt(0)
	v_mul_f64 v[219:220], v[217:218], v[231:232]
	v_fma_f64 v[219:220], v[215:216], v[213:214], -v[219:220]
	v_mul_f64 v[215:216], v[215:216], v[231:232]
	v_add_f64 v[209:210], v[209:210], -v[219:220]
	v_fma_f64 v[215:216], v[217:218], v[213:214], v[215:216]
	v_add_f64 v[211:212], v[211:212], -v[215:216]
	ds_read2_b64 v[215:218], v253 offset0:20 offset1:21
	s_waitcnt lgkmcnt(0)
	v_mul_f64 v[219:220], v[217:218], v[231:232]
	v_fma_f64 v[219:220], v[215:216], v[213:214], -v[219:220]
	v_mul_f64 v[215:216], v[215:216], v[231:232]
	v_add_f64 v[189:190], v[189:190], -v[219:220]
	v_fma_f64 v[215:216], v[217:218], v[213:214], v[215:216]
	v_add_f64 v[191:192], v[191:192], -v[215:216]
	;; [unrolled: 8-line block ×49, first 2 shown]
.LBB115_46:
	s_or_b32 exec_lo, exec_lo, s1
	s_mov_b32 s2, exec_lo
	s_waitcnt_vscnt null, 0x0
	s_barrier
	buffer_gl0_inv
	v_cmpx_eq_u32_e32 5, v0
	s_cbranch_execz .LBB115_53
; %bb.47:
	ds_write2_b64 v255, v[237:238], v[239:240] offset1:1
	ds_write2_b64 v253, v[233:234], v[235:236] offset0:12 offset1:13
	s_clause 0x3
	buffer_load_dword v193, off, s[16:19], 0 offset:16
	buffer_load_dword v194, off, s[16:19], 0 offset:20
	;; [unrolled: 1-line block ×4, first 2 shown]
	s_waitcnt vmcnt(0)
	ds_write2_b64 v253, v[193:194], v[195:196] offset0:14 offset1:15
	s_clause 0x3
	buffer_load_dword v193, off, s[16:19], 0
	buffer_load_dword v194, off, s[16:19], 0 offset:4
	buffer_load_dword v195, off, s[16:19], 0 offset:8
	;; [unrolled: 1-line block ×3, first 2 shown]
	s_waitcnt vmcnt(0)
	ds_write2_b64 v253, v[193:194], v[195:196] offset0:16 offset1:17
	ds_write2_b64 v253, v[209:210], v[211:212] offset0:18 offset1:19
	;; [unrolled: 1-line block ×50, first 2 shown]
	ds_read2_b64 v[213:216], v255 offset1:1
	s_waitcnt lgkmcnt(0)
	v_cmp_neq_f64_e32 vcc_lo, 0, v[213:214]
	v_cmp_neq_f64_e64 s1, 0, v[215:216]
	s_or_b32 s1, vcc_lo, s1
	s_and_b32 exec_lo, exec_lo, s1
	s_cbranch_execz .LBB115_53
; %bb.48:
	v_cmp_ngt_f64_e64 s1, |v[213:214]|, |v[215:216]|
                                        ; implicit-def: $vgpr217_vgpr218
	s_and_saveexec_b32 s3, s1
	s_xor_b32 s1, exec_lo, s3
                                        ; implicit-def: $vgpr219_vgpr220
	s_cbranch_execz .LBB115_50
; %bb.49:
	v_div_scale_f64 v[217:218], null, v[215:216], v[215:216], v[213:214]
	v_div_scale_f64 v[223:224], vcc_lo, v[213:214], v[215:216], v[213:214]
	v_rcp_f64_e32 v[219:220], v[217:218]
	v_fma_f64 v[221:222], -v[217:218], v[219:220], 1.0
	v_fma_f64 v[219:220], v[219:220], v[221:222], v[219:220]
	v_fma_f64 v[221:222], -v[217:218], v[219:220], 1.0
	v_fma_f64 v[219:220], v[219:220], v[221:222], v[219:220]
	v_mul_f64 v[221:222], v[223:224], v[219:220]
	v_fma_f64 v[217:218], -v[217:218], v[221:222], v[223:224]
	v_div_fmas_f64 v[217:218], v[217:218], v[219:220], v[221:222]
	v_div_fixup_f64 v[217:218], v[217:218], v[215:216], v[213:214]
	v_fma_f64 v[213:214], v[213:214], v[217:218], v[215:216]
	v_div_scale_f64 v[215:216], null, v[213:214], v[213:214], 1.0
	v_rcp_f64_e32 v[219:220], v[215:216]
	v_fma_f64 v[221:222], -v[215:216], v[219:220], 1.0
	v_fma_f64 v[219:220], v[219:220], v[221:222], v[219:220]
	v_fma_f64 v[221:222], -v[215:216], v[219:220], 1.0
	v_fma_f64 v[219:220], v[219:220], v[221:222], v[219:220]
	v_div_scale_f64 v[221:222], vcc_lo, 1.0, v[213:214], 1.0
	v_mul_f64 v[223:224], v[221:222], v[219:220]
	v_fma_f64 v[215:216], -v[215:216], v[223:224], v[221:222]
	v_div_fmas_f64 v[215:216], v[215:216], v[219:220], v[223:224]
	v_div_fixup_f64 v[219:220], v[215:216], v[213:214], 1.0
                                        ; implicit-def: $vgpr213_vgpr214
	v_mul_f64 v[217:218], v[217:218], v[219:220]
	v_xor_b32_e32 v220, 0x80000000, v220
.LBB115_50:
	s_andn2_saveexec_b32 s1, s1
	s_cbranch_execz .LBB115_52
; %bb.51:
	v_div_scale_f64 v[217:218], null, v[213:214], v[213:214], v[215:216]
	v_div_scale_f64 v[223:224], vcc_lo, v[215:216], v[213:214], v[215:216]
	v_rcp_f64_e32 v[219:220], v[217:218]
	v_fma_f64 v[221:222], -v[217:218], v[219:220], 1.0
	v_fma_f64 v[219:220], v[219:220], v[221:222], v[219:220]
	v_fma_f64 v[221:222], -v[217:218], v[219:220], 1.0
	v_fma_f64 v[219:220], v[219:220], v[221:222], v[219:220]
	v_mul_f64 v[221:222], v[223:224], v[219:220]
	v_fma_f64 v[217:218], -v[217:218], v[221:222], v[223:224]
	v_div_fmas_f64 v[217:218], v[217:218], v[219:220], v[221:222]
	v_div_fixup_f64 v[219:220], v[217:218], v[213:214], v[215:216]
	v_fma_f64 v[213:214], v[215:216], v[219:220], v[213:214]
	v_div_scale_f64 v[215:216], null, v[213:214], v[213:214], 1.0
	v_rcp_f64_e32 v[217:218], v[215:216]
	v_fma_f64 v[221:222], -v[215:216], v[217:218], 1.0
	v_fma_f64 v[217:218], v[217:218], v[221:222], v[217:218]
	v_fma_f64 v[221:222], -v[215:216], v[217:218], 1.0
	v_fma_f64 v[217:218], v[217:218], v[221:222], v[217:218]
	v_div_scale_f64 v[221:222], vcc_lo, 1.0, v[213:214], 1.0
	v_mul_f64 v[223:224], v[221:222], v[217:218]
	v_fma_f64 v[215:216], -v[215:216], v[223:224], v[221:222]
	v_div_fmas_f64 v[215:216], v[215:216], v[217:218], v[223:224]
	v_div_fixup_f64 v[217:218], v[215:216], v[213:214], 1.0
	v_mul_f64 v[219:220], v[219:220], -v[217:218]
.LBB115_52:
	s_or_b32 exec_lo, exec_lo, s1
	ds_write2_b64 v255, v[217:218], v[219:220] offset1:1
.LBB115_53:
	s_or_b32 exec_lo, exec_lo, s2
	s_waitcnt lgkmcnt(0)
	s_barrier
	buffer_gl0_inv
	ds_read2_b64 v[193:196], v255 offset1:1
	s_mov_b32 s1, exec_lo
	s_waitcnt lgkmcnt(0)
	buffer_store_dword v193, off, s[16:19], 0 offset:568 ; 4-byte Folded Spill
	buffer_store_dword v194, off, s[16:19], 0 offset:572 ; 4-byte Folded Spill
	;; [unrolled: 1-line block ×4, first 2 shown]
	v_cmpx_lt_u32_e32 5, v0
	s_cbranch_execz .LBB115_55
; %bb.54:
	s_clause 0x3
	buffer_load_dword v193, off, s[16:19], 0 offset:568
	buffer_load_dword v194, off, s[16:19], 0 offset:572
	;; [unrolled: 1-line block ×4, first 2 shown]
	v_mov_b32_e32 v222, v212
	v_mov_b32_e32 v221, v211
	;; [unrolled: 1-line block ×4, first 2 shown]
	ds_read2_b64 v[215:218], v253 offset0:12 offset1:13
	s_waitcnt vmcnt(2)
	v_mul_f64 v[211:212], v[193:194], v[239:240]
	s_waitcnt vmcnt(0)
	v_mul_f64 v[213:214], v[195:196], v[239:240]
	v_fma_f64 v[239:240], v[195:196], v[237:238], v[211:212]
	v_fma_f64 v[213:214], v[193:194], v[237:238], -v[213:214]
	s_waitcnt lgkmcnt(0)
	v_mul_f64 v[209:210], v[217:218], v[239:240]
	v_mov_b32_e32 v238, v214
	v_mov_b32_e32 v237, v213
	v_fma_f64 v[209:210], v[215:216], v[213:214], -v[209:210]
	v_mul_f64 v[215:216], v[215:216], v[239:240]
	v_add_f64 v[233:234], v[233:234], -v[209:210]
	v_fma_f64 v[215:216], v[217:218], v[213:214], v[215:216]
	v_add_f64 v[235:236], v[235:236], -v[215:216]
	ds_read2_b64 v[215:218], v253 offset0:14 offset1:15
	s_clause 0x3
	buffer_load_dword v193, off, s[16:19], 0 offset:16
	buffer_load_dword v194, off, s[16:19], 0 offset:20
	;; [unrolled: 1-line block ×4, first 2 shown]
	s_waitcnt lgkmcnt(0)
	v_mul_f64 v[209:210], v[217:218], v[239:240]
	v_fma_f64 v[209:210], v[215:216], v[213:214], -v[209:210]
	v_mul_f64 v[215:216], v[215:216], v[239:240]
	v_fma_f64 v[215:216], v[217:218], v[213:214], v[215:216]
	s_waitcnt vmcnt(2)
	v_add_f64 v[193:194], v[193:194], -v[209:210]
	s_waitcnt vmcnt(0)
	v_add_f64 v[195:196], v[195:196], -v[215:216]
	buffer_store_dword v193, off, s[16:19], 0 offset:16 ; 4-byte Folded Spill
	buffer_store_dword v194, off, s[16:19], 0 offset:20 ; 4-byte Folded Spill
	;; [unrolled: 1-line block ×4, first 2 shown]
	ds_read2_b64 v[215:218], v253 offset0:16 offset1:17
	s_clause 0x3
	buffer_load_dword v193, off, s[16:19], 0
	buffer_load_dword v194, off, s[16:19], 0 offset:4
	buffer_load_dword v195, off, s[16:19], 0 offset:8
	;; [unrolled: 1-line block ×3, first 2 shown]
	s_waitcnt lgkmcnt(0)
	v_mul_f64 v[209:210], v[217:218], v[239:240]
	v_fma_f64 v[209:210], v[215:216], v[213:214], -v[209:210]
	v_mul_f64 v[215:216], v[215:216], v[239:240]
	v_fma_f64 v[215:216], v[217:218], v[213:214], v[215:216]
	s_waitcnt vmcnt(2)
	v_add_f64 v[193:194], v[193:194], -v[209:210]
	s_waitcnt vmcnt(0)
	v_add_f64 v[195:196], v[195:196], -v[215:216]
	buffer_store_dword v193, off, s[16:19], 0 ; 4-byte Folded Spill
	buffer_store_dword v194, off, s[16:19], 0 offset:4 ; 4-byte Folded Spill
	buffer_store_dword v195, off, s[16:19], 0 offset:8 ; 4-byte Folded Spill
	;; [unrolled: 1-line block ×3, first 2 shown]
	ds_read2_b64 v[215:218], v253 offset0:18 offset1:19
	s_waitcnt lgkmcnt(0)
	v_mul_f64 v[209:210], v[217:218], v[239:240]
	v_fma_f64 v[209:210], v[215:216], v[213:214], -v[209:210]
	v_mul_f64 v[215:216], v[215:216], v[239:240]
	v_add_f64 v[219:220], v[219:220], -v[209:210]
	v_fma_f64 v[215:216], v[217:218], v[213:214], v[215:216]
	v_add_f64 v[221:222], v[221:222], -v[215:216]
	ds_read2_b64 v[215:218], v253 offset0:20 offset1:21
	s_waitcnt lgkmcnt(0)
	v_mul_f64 v[209:210], v[217:218], v[239:240]
	v_fma_f64 v[209:210], v[215:216], v[213:214], -v[209:210]
	v_mul_f64 v[215:216], v[215:216], v[239:240]
	v_add_f64 v[189:190], v[189:190], -v[209:210]
	v_fma_f64 v[215:216], v[217:218], v[213:214], v[215:216]
	v_add_f64 v[191:192], v[191:192], -v[215:216]
	;; [unrolled: 8-line block ×48, first 2 shown]
	ds_read2_b64 v[215:218], v253 offset0:114 offset1:115
	s_waitcnt lgkmcnt(0)
	v_mul_f64 v[209:210], v[217:218], v[239:240]
	v_fma_f64 v[209:210], v[215:216], v[213:214], -v[209:210]
	v_mul_f64 v[215:216], v[215:216], v[239:240]
	v_add_f64 v[1:2], v[1:2], -v[209:210]
	v_fma_f64 v[215:216], v[217:218], v[213:214], v[215:216]
	v_mov_b32_e32 v209, v219
	v_mov_b32_e32 v210, v220
	v_mov_b32_e32 v211, v221
	v_mov_b32_e32 v212, v222
	v_add_f64 v[3:4], v[3:4], -v[215:216]
.LBB115_55:
	s_or_b32 exec_lo, exec_lo, s1
	s_mov_b32 s2, exec_lo
	s_waitcnt_vscnt null, 0x0
	s_barrier
	buffer_gl0_inv
	v_cmpx_eq_u32_e32 6, v0
	s_cbranch_execz .LBB115_62
; %bb.56:
	ds_write2_b64 v255, v[233:234], v[235:236] offset1:1
	s_clause 0x3
	buffer_load_dword v193, off, s[16:19], 0 offset:16
	buffer_load_dword v194, off, s[16:19], 0 offset:20
	;; [unrolled: 1-line block ×4, first 2 shown]
	s_waitcnt vmcnt(0)
	ds_write2_b64 v253, v[193:194], v[195:196] offset0:14 offset1:15
	s_clause 0x3
	buffer_load_dword v193, off, s[16:19], 0
	buffer_load_dword v194, off, s[16:19], 0 offset:4
	buffer_load_dword v195, off, s[16:19], 0 offset:8
	;; [unrolled: 1-line block ×3, first 2 shown]
	s_waitcnt vmcnt(0)
	ds_write2_b64 v253, v[193:194], v[195:196] offset0:16 offset1:17
	ds_write2_b64 v253, v[209:210], v[211:212] offset0:18 offset1:19
	;; [unrolled: 1-line block ×50, first 2 shown]
	ds_read2_b64 v[213:216], v255 offset1:1
	s_waitcnt lgkmcnt(0)
	v_cmp_neq_f64_e32 vcc_lo, 0, v[213:214]
	v_cmp_neq_f64_e64 s1, 0, v[215:216]
	s_or_b32 s1, vcc_lo, s1
	s_and_b32 exec_lo, exec_lo, s1
	s_cbranch_execz .LBB115_62
; %bb.57:
	v_cmp_ngt_f64_e64 s1, |v[213:214]|, |v[215:216]|
                                        ; implicit-def: $vgpr217_vgpr218
	s_and_saveexec_b32 s3, s1
	s_xor_b32 s1, exec_lo, s3
                                        ; implicit-def: $vgpr219_vgpr220
	s_cbranch_execz .LBB115_59
; %bb.58:
	v_div_scale_f64 v[217:218], null, v[215:216], v[215:216], v[213:214]
	v_div_scale_f64 v[223:224], vcc_lo, v[213:214], v[215:216], v[213:214]
	v_rcp_f64_e32 v[219:220], v[217:218]
	v_fma_f64 v[221:222], -v[217:218], v[219:220], 1.0
	v_fma_f64 v[219:220], v[219:220], v[221:222], v[219:220]
	v_fma_f64 v[221:222], -v[217:218], v[219:220], 1.0
	v_fma_f64 v[219:220], v[219:220], v[221:222], v[219:220]
	v_mul_f64 v[221:222], v[223:224], v[219:220]
	v_fma_f64 v[217:218], -v[217:218], v[221:222], v[223:224]
	v_div_fmas_f64 v[217:218], v[217:218], v[219:220], v[221:222]
	v_div_fixup_f64 v[217:218], v[217:218], v[215:216], v[213:214]
	v_fma_f64 v[213:214], v[213:214], v[217:218], v[215:216]
	v_div_scale_f64 v[215:216], null, v[213:214], v[213:214], 1.0
	v_rcp_f64_e32 v[219:220], v[215:216]
	v_fma_f64 v[221:222], -v[215:216], v[219:220], 1.0
	v_fma_f64 v[219:220], v[219:220], v[221:222], v[219:220]
	v_fma_f64 v[221:222], -v[215:216], v[219:220], 1.0
	v_fma_f64 v[219:220], v[219:220], v[221:222], v[219:220]
	v_div_scale_f64 v[221:222], vcc_lo, 1.0, v[213:214], 1.0
	v_mul_f64 v[223:224], v[221:222], v[219:220]
	v_fma_f64 v[215:216], -v[215:216], v[223:224], v[221:222]
	v_div_fmas_f64 v[215:216], v[215:216], v[219:220], v[223:224]
	v_div_fixup_f64 v[219:220], v[215:216], v[213:214], 1.0
                                        ; implicit-def: $vgpr213_vgpr214
	v_mul_f64 v[217:218], v[217:218], v[219:220]
	v_xor_b32_e32 v220, 0x80000000, v220
.LBB115_59:
	s_andn2_saveexec_b32 s1, s1
	s_cbranch_execz .LBB115_61
; %bb.60:
	v_div_scale_f64 v[217:218], null, v[213:214], v[213:214], v[215:216]
	v_div_scale_f64 v[223:224], vcc_lo, v[215:216], v[213:214], v[215:216]
	v_rcp_f64_e32 v[219:220], v[217:218]
	v_fma_f64 v[221:222], -v[217:218], v[219:220], 1.0
	v_fma_f64 v[219:220], v[219:220], v[221:222], v[219:220]
	v_fma_f64 v[221:222], -v[217:218], v[219:220], 1.0
	v_fma_f64 v[219:220], v[219:220], v[221:222], v[219:220]
	v_mul_f64 v[221:222], v[223:224], v[219:220]
	v_fma_f64 v[217:218], -v[217:218], v[221:222], v[223:224]
	v_div_fmas_f64 v[217:218], v[217:218], v[219:220], v[221:222]
	v_div_fixup_f64 v[219:220], v[217:218], v[213:214], v[215:216]
	v_fma_f64 v[213:214], v[215:216], v[219:220], v[213:214]
	v_div_scale_f64 v[215:216], null, v[213:214], v[213:214], 1.0
	v_rcp_f64_e32 v[217:218], v[215:216]
	v_fma_f64 v[221:222], -v[215:216], v[217:218], 1.0
	v_fma_f64 v[217:218], v[217:218], v[221:222], v[217:218]
	v_fma_f64 v[221:222], -v[215:216], v[217:218], 1.0
	v_fma_f64 v[217:218], v[217:218], v[221:222], v[217:218]
	v_div_scale_f64 v[221:222], vcc_lo, 1.0, v[213:214], 1.0
	v_mul_f64 v[223:224], v[221:222], v[217:218]
	v_fma_f64 v[215:216], -v[215:216], v[223:224], v[221:222]
	v_div_fmas_f64 v[215:216], v[215:216], v[217:218], v[223:224]
	v_div_fixup_f64 v[217:218], v[215:216], v[213:214], 1.0
	v_mul_f64 v[219:220], v[219:220], -v[217:218]
.LBB115_61:
	s_or_b32 exec_lo, exec_lo, s1
	ds_write2_b64 v255, v[217:218], v[219:220] offset1:1
.LBB115_62:
	s_or_b32 exec_lo, exec_lo, s2
	s_waitcnt lgkmcnt(0)
	s_barrier
	buffer_gl0_inv
	ds_read2_b64 v[193:196], v255 offset1:1
	s_mov_b32 s1, exec_lo
	s_waitcnt lgkmcnt(0)
	buffer_store_dword v193, off, s[16:19], 0 offset:584 ; 4-byte Folded Spill
	buffer_store_dword v194, off, s[16:19], 0 offset:588 ; 4-byte Folded Spill
	;; [unrolled: 1-line block ×4, first 2 shown]
	v_cmpx_lt_u32_e32 6, v0
	s_cbranch_execz .LBB115_64
; %bb.63:
	s_clause 0x3
	buffer_load_dword v193, off, s[16:19], 0 offset:584
	buffer_load_dword v194, off, s[16:19], 0 offset:588
	;; [unrolled: 1-line block ×4, first 2 shown]
	v_mov_b32_e32 v205, v207
	v_mov_b32_e32 v206, v208
	ds_read2_b64 v[215:218], v253 offset0:14 offset1:15
	s_waitcnt vmcnt(2)
	v_mul_f64 v[207:208], v[193:194], v[235:236]
	s_waitcnt vmcnt(0)
	v_mul_f64 v[213:214], v[195:196], v[235:236]
	v_fma_f64 v[235:236], v[195:196], v[233:234], v[207:208]
	v_mov_b32_e32 v208, v206
	v_fma_f64 v[213:214], v[193:194], v[233:234], -v[213:214]
	s_clause 0x3
	buffer_load_dword v193, off, s[16:19], 0 offset:16
	buffer_load_dword v194, off, s[16:19], 0 offset:20
	;; [unrolled: 1-line block ×4, first 2 shown]
	v_mov_b32_e32 v207, v205
	s_waitcnt lgkmcnt(0)
	v_mul_f64 v[205:206], v[217:218], v[235:236]
	v_mov_b32_e32 v234, v214
	v_mov_b32_e32 v233, v213
	v_fma_f64 v[205:206], v[215:216], v[213:214], -v[205:206]
	v_mul_f64 v[215:216], v[215:216], v[235:236]
	v_fma_f64 v[215:216], v[217:218], v[213:214], v[215:216]
	s_waitcnt vmcnt(2)
	v_add_f64 v[193:194], v[193:194], -v[205:206]
	s_waitcnt vmcnt(0)
	v_add_f64 v[195:196], v[195:196], -v[215:216]
	buffer_store_dword v193, off, s[16:19], 0 offset:16 ; 4-byte Folded Spill
	buffer_store_dword v194, off, s[16:19], 0 offset:20 ; 4-byte Folded Spill
	;; [unrolled: 1-line block ×4, first 2 shown]
	ds_read2_b64 v[215:218], v253 offset0:16 offset1:17
	s_clause 0x3
	buffer_load_dword v193, off, s[16:19], 0
	buffer_load_dword v194, off, s[16:19], 0 offset:4
	buffer_load_dword v195, off, s[16:19], 0 offset:8
	;; [unrolled: 1-line block ×3, first 2 shown]
	s_waitcnt lgkmcnt(0)
	v_mul_f64 v[205:206], v[217:218], v[235:236]
	v_fma_f64 v[205:206], v[215:216], v[213:214], -v[205:206]
	v_mul_f64 v[215:216], v[215:216], v[235:236]
	v_fma_f64 v[215:216], v[217:218], v[213:214], v[215:216]
	s_waitcnt vmcnt(2)
	v_add_f64 v[193:194], v[193:194], -v[205:206]
	s_waitcnt vmcnt(0)
	v_add_f64 v[195:196], v[195:196], -v[215:216]
	buffer_store_dword v193, off, s[16:19], 0 ; 4-byte Folded Spill
	buffer_store_dword v194, off, s[16:19], 0 offset:4 ; 4-byte Folded Spill
	buffer_store_dword v195, off, s[16:19], 0 offset:8 ; 4-byte Folded Spill
	;; [unrolled: 1-line block ×3, first 2 shown]
	ds_read2_b64 v[215:218], v253 offset0:18 offset1:19
	s_waitcnt lgkmcnt(0)
	v_mul_f64 v[205:206], v[217:218], v[235:236]
	v_fma_f64 v[205:206], v[215:216], v[213:214], -v[205:206]
	v_mul_f64 v[215:216], v[215:216], v[235:236]
	v_add_f64 v[209:210], v[209:210], -v[205:206]
	v_fma_f64 v[215:216], v[217:218], v[213:214], v[215:216]
	v_add_f64 v[211:212], v[211:212], -v[215:216]
	ds_read2_b64 v[215:218], v253 offset0:20 offset1:21
	s_waitcnt lgkmcnt(0)
	v_mul_f64 v[205:206], v[217:218], v[235:236]
	v_fma_f64 v[205:206], v[215:216], v[213:214], -v[205:206]
	v_mul_f64 v[215:216], v[215:216], v[235:236]
	v_add_f64 v[189:190], v[189:190], -v[205:206]
	v_fma_f64 v[215:216], v[217:218], v[213:214], v[215:216]
	v_add_f64 v[191:192], v[191:192], -v[215:216]
	;; [unrolled: 8-line block ×49, first 2 shown]
.LBB115_64:
	s_or_b32 exec_lo, exec_lo, s1
	s_mov_b32 s2, exec_lo
	s_waitcnt_vscnt null, 0x0
	s_barrier
	buffer_gl0_inv
	v_cmpx_eq_u32_e32 7, v0
	s_cbranch_execz .LBB115_71
; %bb.65:
	s_clause 0x3
	buffer_load_dword v193, off, s[16:19], 0 offset:16
	buffer_load_dword v194, off, s[16:19], 0 offset:20
	;; [unrolled: 1-line block ×4, first 2 shown]
	s_waitcnt vmcnt(0)
	ds_write2_b64 v255, v[193:194], v[195:196] offset1:1
	s_clause 0x3
	buffer_load_dword v193, off, s[16:19], 0
	buffer_load_dword v194, off, s[16:19], 0 offset:4
	buffer_load_dword v195, off, s[16:19], 0 offset:8
	;; [unrolled: 1-line block ×3, first 2 shown]
	s_waitcnt vmcnt(0)
	ds_write2_b64 v253, v[193:194], v[195:196] offset0:16 offset1:17
	ds_write2_b64 v253, v[209:210], v[211:212] offset0:18 offset1:19
	;; [unrolled: 1-line block ×50, first 2 shown]
	ds_read2_b64 v[213:216], v255 offset1:1
	s_waitcnt lgkmcnt(0)
	v_cmp_neq_f64_e32 vcc_lo, 0, v[213:214]
	v_cmp_neq_f64_e64 s1, 0, v[215:216]
	s_or_b32 s1, vcc_lo, s1
	s_and_b32 exec_lo, exec_lo, s1
	s_cbranch_execz .LBB115_71
; %bb.66:
	v_cmp_ngt_f64_e64 s1, |v[213:214]|, |v[215:216]|
                                        ; implicit-def: $vgpr217_vgpr218
	s_and_saveexec_b32 s3, s1
	s_xor_b32 s1, exec_lo, s3
                                        ; implicit-def: $vgpr219_vgpr220
	s_cbranch_execz .LBB115_68
; %bb.67:
	v_div_scale_f64 v[217:218], null, v[215:216], v[215:216], v[213:214]
	v_div_scale_f64 v[223:224], vcc_lo, v[213:214], v[215:216], v[213:214]
	v_rcp_f64_e32 v[219:220], v[217:218]
	v_fma_f64 v[221:222], -v[217:218], v[219:220], 1.0
	v_fma_f64 v[219:220], v[219:220], v[221:222], v[219:220]
	v_fma_f64 v[221:222], -v[217:218], v[219:220], 1.0
	v_fma_f64 v[219:220], v[219:220], v[221:222], v[219:220]
	v_mul_f64 v[221:222], v[223:224], v[219:220]
	v_fma_f64 v[217:218], -v[217:218], v[221:222], v[223:224]
	v_div_fmas_f64 v[217:218], v[217:218], v[219:220], v[221:222]
	v_div_fixup_f64 v[217:218], v[217:218], v[215:216], v[213:214]
	v_fma_f64 v[213:214], v[213:214], v[217:218], v[215:216]
	v_div_scale_f64 v[215:216], null, v[213:214], v[213:214], 1.0
	v_rcp_f64_e32 v[219:220], v[215:216]
	v_fma_f64 v[221:222], -v[215:216], v[219:220], 1.0
	v_fma_f64 v[219:220], v[219:220], v[221:222], v[219:220]
	v_fma_f64 v[221:222], -v[215:216], v[219:220], 1.0
	v_fma_f64 v[219:220], v[219:220], v[221:222], v[219:220]
	v_div_scale_f64 v[221:222], vcc_lo, 1.0, v[213:214], 1.0
	v_mul_f64 v[223:224], v[221:222], v[219:220]
	v_fma_f64 v[215:216], -v[215:216], v[223:224], v[221:222]
	v_div_fmas_f64 v[215:216], v[215:216], v[219:220], v[223:224]
	v_div_fixup_f64 v[219:220], v[215:216], v[213:214], 1.0
                                        ; implicit-def: $vgpr213_vgpr214
	v_mul_f64 v[217:218], v[217:218], v[219:220]
	v_xor_b32_e32 v220, 0x80000000, v220
.LBB115_68:
	s_andn2_saveexec_b32 s1, s1
	s_cbranch_execz .LBB115_70
; %bb.69:
	v_div_scale_f64 v[217:218], null, v[213:214], v[213:214], v[215:216]
	v_div_scale_f64 v[223:224], vcc_lo, v[215:216], v[213:214], v[215:216]
	v_rcp_f64_e32 v[219:220], v[217:218]
	v_fma_f64 v[221:222], -v[217:218], v[219:220], 1.0
	v_fma_f64 v[219:220], v[219:220], v[221:222], v[219:220]
	v_fma_f64 v[221:222], -v[217:218], v[219:220], 1.0
	v_fma_f64 v[219:220], v[219:220], v[221:222], v[219:220]
	v_mul_f64 v[221:222], v[223:224], v[219:220]
	v_fma_f64 v[217:218], -v[217:218], v[221:222], v[223:224]
	v_div_fmas_f64 v[217:218], v[217:218], v[219:220], v[221:222]
	v_div_fixup_f64 v[219:220], v[217:218], v[213:214], v[215:216]
	v_fma_f64 v[213:214], v[215:216], v[219:220], v[213:214]
	v_div_scale_f64 v[215:216], null, v[213:214], v[213:214], 1.0
	v_rcp_f64_e32 v[217:218], v[215:216]
	v_fma_f64 v[221:222], -v[215:216], v[217:218], 1.0
	v_fma_f64 v[217:218], v[217:218], v[221:222], v[217:218]
	v_fma_f64 v[221:222], -v[215:216], v[217:218], 1.0
	v_fma_f64 v[217:218], v[217:218], v[221:222], v[217:218]
	v_div_scale_f64 v[221:222], vcc_lo, 1.0, v[213:214], 1.0
	v_mul_f64 v[223:224], v[221:222], v[217:218]
	v_fma_f64 v[215:216], -v[215:216], v[223:224], v[221:222]
	v_div_fmas_f64 v[215:216], v[215:216], v[217:218], v[223:224]
	v_div_fixup_f64 v[217:218], v[215:216], v[213:214], 1.0
	v_mul_f64 v[219:220], v[219:220], -v[217:218]
.LBB115_70:
	s_or_b32 exec_lo, exec_lo, s1
	ds_write2_b64 v255, v[217:218], v[219:220] offset1:1
.LBB115_71:
	s_or_b32 exec_lo, exec_lo, s2
	s_waitcnt lgkmcnt(0)
	s_barrier
	buffer_gl0_inv
	ds_read2_b64 v[193:196], v255 offset1:1
	s_mov_b32 s1, exec_lo
	s_waitcnt lgkmcnt(0)
	buffer_store_dword v193, off, s[16:19], 0 offset:600 ; 4-byte Folded Spill
	buffer_store_dword v194, off, s[16:19], 0 offset:604 ; 4-byte Folded Spill
	;; [unrolled: 1-line block ×4, first 2 shown]
	v_cmpx_lt_u32_e32 7, v0
	s_cbranch_execz .LBB115_73
; %bb.72:
	s_clause 0x7
	buffer_load_dword v217, off, s[16:19], 0 offset:16
	buffer_load_dword v218, off, s[16:19], 0 offset:20
	;; [unrolled: 1-line block ×8, first 2 shown]
	v_mov_b32_e32 v193, v201
	v_mov_b32_e32 v194, v202
	;; [unrolled: 1-line block ×4, first 2 shown]
	s_waitcnt vmcnt(2)
	v_mul_f64 v[203:204], v[221:222], v[219:220]
	s_waitcnt vmcnt(0)
	v_mul_f64 v[213:214], v[223:224], v[219:220]
	v_fma_f64 v[219:220], v[223:224], v[217:218], v[203:204]
	v_fma_f64 v[213:214], v[221:222], v[217:218], -v[213:214]
	ds_read2_b64 v[215:218], v253 offset0:16 offset1:17
	s_clause 0x3
	buffer_load_dword v203, off, s[16:19], 0
	buffer_load_dword v204, off, s[16:19], 0 offset:4
	buffer_load_dword v205, off, s[16:19], 0 offset:8
	;; [unrolled: 1-line block ×3, first 2 shown]
	s_waitcnt lgkmcnt(0)
	v_mul_f64 v[201:202], v[217:218], v[219:220]
	v_fma_f64 v[201:202], v[215:216], v[213:214], -v[201:202]
	v_mul_f64 v[215:216], v[215:216], v[219:220]
	v_fma_f64 v[215:216], v[217:218], v[213:214], v[215:216]
	s_waitcnt vmcnt(2)
	v_add_f64 v[203:204], v[203:204], -v[201:202]
	s_waitcnt vmcnt(0)
	v_add_f64 v[205:206], v[205:206], -v[215:216]
	buffer_store_dword v203, off, s[16:19], 0 ; 4-byte Folded Spill
	buffer_store_dword v204, off, s[16:19], 0 offset:4 ; 4-byte Folded Spill
	buffer_store_dword v205, off, s[16:19], 0 offset:8 ; 4-byte Folded Spill
	;; [unrolled: 1-line block ×3, first 2 shown]
	ds_read2_b64 v[215:218], v253 offset0:18 offset1:19
	s_waitcnt lgkmcnt(0)
	v_mul_f64 v[201:202], v[217:218], v[219:220]
	v_fma_f64 v[201:202], v[215:216], v[213:214], -v[201:202]
	v_mul_f64 v[215:216], v[215:216], v[219:220]
	v_add_f64 v[209:210], v[209:210], -v[201:202]
	v_fma_f64 v[215:216], v[217:218], v[213:214], v[215:216]
	v_add_f64 v[211:212], v[211:212], -v[215:216]
	ds_read2_b64 v[215:218], v253 offset0:20 offset1:21
	s_waitcnt lgkmcnt(0)
	v_mul_f64 v[201:202], v[217:218], v[219:220]
	v_fma_f64 v[201:202], v[215:216], v[213:214], -v[201:202]
	v_mul_f64 v[215:216], v[215:216], v[219:220]
	v_add_f64 v[189:190], v[189:190], -v[201:202]
	v_fma_f64 v[215:216], v[217:218], v[213:214], v[215:216]
	v_add_f64 v[191:192], v[191:192], -v[215:216]
	;; [unrolled: 8-line block ×48, first 2 shown]
	ds_read2_b64 v[215:218], v253 offset0:114 offset1:115
	s_waitcnt lgkmcnt(0)
	v_mul_f64 v[201:202], v[217:218], v[219:220]
	v_fma_f64 v[201:202], v[215:216], v[213:214], -v[201:202]
	v_mul_f64 v[215:216], v[215:216], v[219:220]
	v_add_f64 v[1:2], v[1:2], -v[201:202]
	v_fma_f64 v[215:216], v[217:218], v[213:214], v[215:216]
	v_mov_b32_e32 v204, v196
	v_mov_b32_e32 v218, v214
	;; [unrolled: 1-line block ×6, first 2 shown]
	buffer_store_dword v217, off, s[16:19], 0 offset:16 ; 4-byte Folded Spill
	buffer_store_dword v218, off, s[16:19], 0 offset:20 ; 4-byte Folded Spill
	;; [unrolled: 1-line block ×4, first 2 shown]
	v_add_f64 v[3:4], v[3:4], -v[215:216]
.LBB115_73:
	s_or_b32 exec_lo, exec_lo, s1
	s_mov_b32 s2, exec_lo
	s_waitcnt_vscnt null, 0x0
	s_barrier
	buffer_gl0_inv
	v_cmpx_eq_u32_e32 8, v0
	s_cbranch_execz .LBB115_80
; %bb.74:
	s_clause 0x3
	buffer_load_dword v193, off, s[16:19], 0
	buffer_load_dword v194, off, s[16:19], 0 offset:4
	buffer_load_dword v195, off, s[16:19], 0 offset:8
	;; [unrolled: 1-line block ×3, first 2 shown]
	s_waitcnt vmcnt(0)
	ds_write2_b64 v255, v[193:194], v[195:196] offset1:1
	ds_write2_b64 v253, v[209:210], v[211:212] offset0:18 offset1:19
	ds_write2_b64 v253, v[189:190], v[191:192] offset0:20 offset1:21
	;; [unrolled: 1-line block ×49, first 2 shown]
	ds_read2_b64 v[213:216], v255 offset1:1
	s_waitcnt lgkmcnt(0)
	v_cmp_neq_f64_e32 vcc_lo, 0, v[213:214]
	v_cmp_neq_f64_e64 s1, 0, v[215:216]
	s_or_b32 s1, vcc_lo, s1
	s_and_b32 exec_lo, exec_lo, s1
	s_cbranch_execz .LBB115_80
; %bb.75:
	v_cmp_ngt_f64_e64 s1, |v[213:214]|, |v[215:216]|
                                        ; implicit-def: $vgpr217_vgpr218
	s_and_saveexec_b32 s3, s1
	s_xor_b32 s1, exec_lo, s3
                                        ; implicit-def: $vgpr219_vgpr220
	s_cbranch_execz .LBB115_77
; %bb.76:
	v_div_scale_f64 v[217:218], null, v[215:216], v[215:216], v[213:214]
	v_div_scale_f64 v[223:224], vcc_lo, v[213:214], v[215:216], v[213:214]
	v_rcp_f64_e32 v[219:220], v[217:218]
	v_fma_f64 v[221:222], -v[217:218], v[219:220], 1.0
	v_fma_f64 v[219:220], v[219:220], v[221:222], v[219:220]
	v_fma_f64 v[221:222], -v[217:218], v[219:220], 1.0
	v_fma_f64 v[219:220], v[219:220], v[221:222], v[219:220]
	v_mul_f64 v[221:222], v[223:224], v[219:220]
	v_fma_f64 v[217:218], -v[217:218], v[221:222], v[223:224]
	v_div_fmas_f64 v[217:218], v[217:218], v[219:220], v[221:222]
	v_div_fixup_f64 v[217:218], v[217:218], v[215:216], v[213:214]
	v_fma_f64 v[213:214], v[213:214], v[217:218], v[215:216]
	v_div_scale_f64 v[215:216], null, v[213:214], v[213:214], 1.0
	v_rcp_f64_e32 v[219:220], v[215:216]
	v_fma_f64 v[221:222], -v[215:216], v[219:220], 1.0
	v_fma_f64 v[219:220], v[219:220], v[221:222], v[219:220]
	v_fma_f64 v[221:222], -v[215:216], v[219:220], 1.0
	v_fma_f64 v[219:220], v[219:220], v[221:222], v[219:220]
	v_div_scale_f64 v[221:222], vcc_lo, 1.0, v[213:214], 1.0
	v_mul_f64 v[223:224], v[221:222], v[219:220]
	v_fma_f64 v[215:216], -v[215:216], v[223:224], v[221:222]
	v_div_fmas_f64 v[215:216], v[215:216], v[219:220], v[223:224]
	v_div_fixup_f64 v[219:220], v[215:216], v[213:214], 1.0
                                        ; implicit-def: $vgpr213_vgpr214
	v_mul_f64 v[217:218], v[217:218], v[219:220]
	v_xor_b32_e32 v220, 0x80000000, v220
.LBB115_77:
	s_andn2_saveexec_b32 s1, s1
	s_cbranch_execz .LBB115_79
; %bb.78:
	v_div_scale_f64 v[217:218], null, v[213:214], v[213:214], v[215:216]
	v_div_scale_f64 v[223:224], vcc_lo, v[215:216], v[213:214], v[215:216]
	v_rcp_f64_e32 v[219:220], v[217:218]
	v_fma_f64 v[221:222], -v[217:218], v[219:220], 1.0
	v_fma_f64 v[219:220], v[219:220], v[221:222], v[219:220]
	v_fma_f64 v[221:222], -v[217:218], v[219:220], 1.0
	v_fma_f64 v[219:220], v[219:220], v[221:222], v[219:220]
	v_mul_f64 v[221:222], v[223:224], v[219:220]
	v_fma_f64 v[217:218], -v[217:218], v[221:222], v[223:224]
	v_div_fmas_f64 v[217:218], v[217:218], v[219:220], v[221:222]
	v_div_fixup_f64 v[219:220], v[217:218], v[213:214], v[215:216]
	v_fma_f64 v[213:214], v[215:216], v[219:220], v[213:214]
	v_div_scale_f64 v[215:216], null, v[213:214], v[213:214], 1.0
	v_rcp_f64_e32 v[217:218], v[215:216]
	v_fma_f64 v[221:222], -v[215:216], v[217:218], 1.0
	v_fma_f64 v[217:218], v[217:218], v[221:222], v[217:218]
	v_fma_f64 v[221:222], -v[215:216], v[217:218], 1.0
	v_fma_f64 v[217:218], v[217:218], v[221:222], v[217:218]
	v_div_scale_f64 v[221:222], vcc_lo, 1.0, v[213:214], 1.0
	v_mul_f64 v[223:224], v[221:222], v[217:218]
	v_fma_f64 v[215:216], -v[215:216], v[223:224], v[221:222]
	v_div_fmas_f64 v[215:216], v[215:216], v[217:218], v[223:224]
	v_div_fixup_f64 v[217:218], v[215:216], v[213:214], 1.0
	v_mul_f64 v[219:220], v[219:220], -v[217:218]
.LBB115_79:
	s_or_b32 exec_lo, exec_lo, s1
	ds_write2_b64 v255, v[217:218], v[219:220] offset1:1
.LBB115_80:
	s_or_b32 exec_lo, exec_lo, s2
	s_waitcnt lgkmcnt(0)
	s_barrier
	buffer_gl0_inv
	ds_read2_b64 v[193:196], v255 offset1:1
	s_mov_b32 s1, exec_lo
	s_waitcnt lgkmcnt(0)
	buffer_store_dword v193, off, s[16:19], 0 offset:616 ; 4-byte Folded Spill
	buffer_store_dword v194, off, s[16:19], 0 offset:620 ; 4-byte Folded Spill
	;; [unrolled: 1-line block ×4, first 2 shown]
	v_cmpx_lt_u32_e32 8, v0
	s_cbranch_execz .LBB115_82
; %bb.81:
	s_clause 0x7
	buffer_load_dword v193, off, s[16:19], 0
	buffer_load_dword v194, off, s[16:19], 0 offset:4
	buffer_load_dword v195, off, s[16:19], 0 offset:8
	buffer_load_dword v196, off, s[16:19], 0 offset:12
	buffer_load_dword v215, off, s[16:19], 0 offset:616
	buffer_load_dword v216, off, s[16:19], 0 offset:620
	buffer_load_dword v217, off, s[16:19], 0 offset:624
	buffer_load_dword v218, off, s[16:19], 0 offset:628
	v_mov_b32_e32 v197, v199
	v_mov_b32_e32 v198, v200
	s_waitcnt vmcnt(2)
	v_mul_f64 v[199:200], v[215:216], v[195:196]
	s_waitcnt vmcnt(0)
	v_mul_f64 v[213:214], v[217:218], v[195:196]
	v_fma_f64 v[195:196], v[217:218], v[193:194], v[199:200]
	v_mov_b32_e32 v200, v198
	v_fma_f64 v[213:214], v[215:216], v[193:194], -v[213:214]
	ds_read2_b64 v[215:218], v253 offset0:18 offset1:19
	v_mov_b32_e32 v199, v197
	s_waitcnt lgkmcnt(0)
	v_mul_f64 v[197:198], v[217:218], v[195:196]
	v_mov_b32_e32 v193, v213
	v_mov_b32_e32 v194, v214
	v_fma_f64 v[197:198], v[215:216], v[213:214], -v[197:198]
	v_mul_f64 v[215:216], v[215:216], v[195:196]
	v_add_f64 v[209:210], v[209:210], -v[197:198]
	v_fma_f64 v[215:216], v[217:218], v[213:214], v[215:216]
	v_add_f64 v[211:212], v[211:212], -v[215:216]
	ds_read2_b64 v[215:218], v253 offset0:20 offset1:21
	s_waitcnt lgkmcnt(0)
	v_mul_f64 v[197:198], v[217:218], v[195:196]
	v_fma_f64 v[197:198], v[215:216], v[213:214], -v[197:198]
	v_mul_f64 v[215:216], v[215:216], v[195:196]
	v_add_f64 v[189:190], v[189:190], -v[197:198]
	v_fma_f64 v[215:216], v[217:218], v[213:214], v[215:216]
	v_add_f64 v[191:192], v[191:192], -v[215:216]
	ds_read2_b64 v[215:218], v253 offset0:22 offset1:23
	s_waitcnt lgkmcnt(0)
	v_mul_f64 v[197:198], v[217:218], v[195:196]
	v_fma_f64 v[197:198], v[215:216], v[213:214], -v[197:198]
	v_mul_f64 v[215:216], v[215:216], v[195:196]
	v_add_f64 v[185:186], v[185:186], -v[197:198]
	v_fma_f64 v[215:216], v[217:218], v[213:214], v[215:216]
	v_add_f64 v[187:188], v[187:188], -v[215:216]
	ds_read2_b64 v[215:218], v253 offset0:24 offset1:25
	s_waitcnt lgkmcnt(0)
	v_mul_f64 v[197:198], v[217:218], v[195:196]
	v_fma_f64 v[197:198], v[215:216], v[213:214], -v[197:198]
	v_mul_f64 v[215:216], v[215:216], v[195:196]
	v_add_f64 v[181:182], v[181:182], -v[197:198]
	v_fma_f64 v[215:216], v[217:218], v[213:214], v[215:216]
	v_add_f64 v[183:184], v[183:184], -v[215:216]
	ds_read2_b64 v[215:218], v253 offset0:26 offset1:27
	s_waitcnt lgkmcnt(0)
	v_mul_f64 v[197:198], v[217:218], v[195:196]
	v_fma_f64 v[197:198], v[215:216], v[213:214], -v[197:198]
	v_mul_f64 v[215:216], v[215:216], v[195:196]
	v_add_f64 v[177:178], v[177:178], -v[197:198]
	v_fma_f64 v[215:216], v[217:218], v[213:214], v[215:216]
	v_add_f64 v[179:180], v[179:180], -v[215:216]
	ds_read2_b64 v[215:218], v253 offset0:28 offset1:29
	s_waitcnt lgkmcnt(0)
	v_mul_f64 v[197:198], v[217:218], v[195:196]
	v_fma_f64 v[197:198], v[215:216], v[213:214], -v[197:198]
	v_mul_f64 v[215:216], v[215:216], v[195:196]
	v_add_f64 v[173:174], v[173:174], -v[197:198]
	v_fma_f64 v[215:216], v[217:218], v[213:214], v[215:216]
	v_add_f64 v[175:176], v[175:176], -v[215:216]
	ds_read2_b64 v[215:218], v253 offset0:30 offset1:31
	s_waitcnt lgkmcnt(0)
	v_mul_f64 v[197:198], v[217:218], v[195:196]
	v_fma_f64 v[197:198], v[215:216], v[213:214], -v[197:198]
	v_mul_f64 v[215:216], v[215:216], v[195:196]
	v_add_f64 v[169:170], v[169:170], -v[197:198]
	v_fma_f64 v[215:216], v[217:218], v[213:214], v[215:216]
	v_add_f64 v[171:172], v[171:172], -v[215:216]
	ds_read2_b64 v[215:218], v253 offset0:32 offset1:33
	s_waitcnt lgkmcnt(0)
	v_mul_f64 v[197:198], v[217:218], v[195:196]
	v_fma_f64 v[197:198], v[215:216], v[213:214], -v[197:198]
	v_mul_f64 v[215:216], v[215:216], v[195:196]
	v_add_f64 v[165:166], v[165:166], -v[197:198]
	v_fma_f64 v[215:216], v[217:218], v[213:214], v[215:216]
	v_add_f64 v[167:168], v[167:168], -v[215:216]
	ds_read2_b64 v[215:218], v253 offset0:34 offset1:35
	s_waitcnt lgkmcnt(0)
	v_mul_f64 v[197:198], v[217:218], v[195:196]
	v_fma_f64 v[197:198], v[215:216], v[213:214], -v[197:198]
	v_mul_f64 v[215:216], v[215:216], v[195:196]
	v_add_f64 v[161:162], v[161:162], -v[197:198]
	v_fma_f64 v[215:216], v[217:218], v[213:214], v[215:216]
	v_add_f64 v[163:164], v[163:164], -v[215:216]
	ds_read2_b64 v[215:218], v253 offset0:36 offset1:37
	s_waitcnt lgkmcnt(0)
	v_mul_f64 v[197:198], v[217:218], v[195:196]
	v_fma_f64 v[197:198], v[215:216], v[213:214], -v[197:198]
	v_mul_f64 v[215:216], v[215:216], v[195:196]
	v_add_f64 v[157:158], v[157:158], -v[197:198]
	v_fma_f64 v[215:216], v[217:218], v[213:214], v[215:216]
	v_add_f64 v[159:160], v[159:160], -v[215:216]
	ds_read2_b64 v[215:218], v253 offset0:38 offset1:39
	s_waitcnt lgkmcnt(0)
	v_mul_f64 v[197:198], v[217:218], v[195:196]
	v_fma_f64 v[197:198], v[215:216], v[213:214], -v[197:198]
	v_mul_f64 v[215:216], v[215:216], v[195:196]
	v_add_f64 v[153:154], v[153:154], -v[197:198]
	v_fma_f64 v[215:216], v[217:218], v[213:214], v[215:216]
	v_add_f64 v[155:156], v[155:156], -v[215:216]
	ds_read2_b64 v[215:218], v253 offset0:40 offset1:41
	s_waitcnt lgkmcnt(0)
	v_mul_f64 v[197:198], v[217:218], v[195:196]
	v_fma_f64 v[197:198], v[215:216], v[213:214], -v[197:198]
	v_mul_f64 v[215:216], v[215:216], v[195:196]
	v_add_f64 v[149:150], v[149:150], -v[197:198]
	v_fma_f64 v[215:216], v[217:218], v[213:214], v[215:216]
	v_add_f64 v[151:152], v[151:152], -v[215:216]
	ds_read2_b64 v[215:218], v253 offset0:42 offset1:43
	s_waitcnt lgkmcnt(0)
	v_mul_f64 v[197:198], v[217:218], v[195:196]
	v_fma_f64 v[197:198], v[215:216], v[213:214], -v[197:198]
	v_mul_f64 v[215:216], v[215:216], v[195:196]
	v_add_f64 v[145:146], v[145:146], -v[197:198]
	v_fma_f64 v[215:216], v[217:218], v[213:214], v[215:216]
	v_add_f64 v[147:148], v[147:148], -v[215:216]
	ds_read2_b64 v[215:218], v253 offset0:44 offset1:45
	s_waitcnt lgkmcnt(0)
	v_mul_f64 v[197:198], v[217:218], v[195:196]
	v_fma_f64 v[197:198], v[215:216], v[213:214], -v[197:198]
	v_mul_f64 v[215:216], v[215:216], v[195:196]
	v_add_f64 v[141:142], v[141:142], -v[197:198]
	v_fma_f64 v[215:216], v[217:218], v[213:214], v[215:216]
	v_add_f64 v[143:144], v[143:144], -v[215:216]
	ds_read2_b64 v[215:218], v253 offset0:46 offset1:47
	s_waitcnt lgkmcnt(0)
	v_mul_f64 v[197:198], v[217:218], v[195:196]
	v_fma_f64 v[197:198], v[215:216], v[213:214], -v[197:198]
	v_mul_f64 v[215:216], v[215:216], v[195:196]
	v_add_f64 v[137:138], v[137:138], -v[197:198]
	v_fma_f64 v[215:216], v[217:218], v[213:214], v[215:216]
	v_add_f64 v[139:140], v[139:140], -v[215:216]
	ds_read2_b64 v[215:218], v253 offset0:48 offset1:49
	s_waitcnt lgkmcnt(0)
	v_mul_f64 v[197:198], v[217:218], v[195:196]
	v_fma_f64 v[197:198], v[215:216], v[213:214], -v[197:198]
	v_mul_f64 v[215:216], v[215:216], v[195:196]
	v_add_f64 v[133:134], v[133:134], -v[197:198]
	v_fma_f64 v[215:216], v[217:218], v[213:214], v[215:216]
	v_add_f64 v[135:136], v[135:136], -v[215:216]
	ds_read2_b64 v[215:218], v253 offset0:50 offset1:51
	s_waitcnt lgkmcnt(0)
	v_mul_f64 v[197:198], v[217:218], v[195:196]
	v_fma_f64 v[197:198], v[215:216], v[213:214], -v[197:198]
	v_mul_f64 v[215:216], v[215:216], v[195:196]
	v_add_f64 v[129:130], v[129:130], -v[197:198]
	v_fma_f64 v[215:216], v[217:218], v[213:214], v[215:216]
	v_add_f64 v[131:132], v[131:132], -v[215:216]
	ds_read2_b64 v[215:218], v253 offset0:52 offset1:53
	s_waitcnt lgkmcnt(0)
	v_mul_f64 v[197:198], v[217:218], v[195:196]
	v_fma_f64 v[197:198], v[215:216], v[213:214], -v[197:198]
	v_mul_f64 v[215:216], v[215:216], v[195:196]
	v_add_f64 v[125:126], v[125:126], -v[197:198]
	v_fma_f64 v[215:216], v[217:218], v[213:214], v[215:216]
	v_add_f64 v[127:128], v[127:128], -v[215:216]
	ds_read2_b64 v[215:218], v253 offset0:54 offset1:55
	s_waitcnt lgkmcnt(0)
	v_mul_f64 v[197:198], v[217:218], v[195:196]
	v_fma_f64 v[197:198], v[215:216], v[213:214], -v[197:198]
	v_mul_f64 v[215:216], v[215:216], v[195:196]
	v_add_f64 v[121:122], v[121:122], -v[197:198]
	v_fma_f64 v[215:216], v[217:218], v[213:214], v[215:216]
	v_add_f64 v[123:124], v[123:124], -v[215:216]
	ds_read2_b64 v[215:218], v253 offset0:56 offset1:57
	s_waitcnt lgkmcnt(0)
	v_mul_f64 v[197:198], v[217:218], v[195:196]
	v_fma_f64 v[197:198], v[215:216], v[213:214], -v[197:198]
	v_mul_f64 v[215:216], v[215:216], v[195:196]
	v_add_f64 v[117:118], v[117:118], -v[197:198]
	v_fma_f64 v[215:216], v[217:218], v[213:214], v[215:216]
	v_add_f64 v[119:120], v[119:120], -v[215:216]
	ds_read2_b64 v[215:218], v253 offset0:58 offset1:59
	s_waitcnt lgkmcnt(0)
	v_mul_f64 v[197:198], v[217:218], v[195:196]
	v_fma_f64 v[197:198], v[215:216], v[213:214], -v[197:198]
	v_mul_f64 v[215:216], v[215:216], v[195:196]
	v_add_f64 v[113:114], v[113:114], -v[197:198]
	v_fma_f64 v[215:216], v[217:218], v[213:214], v[215:216]
	v_add_f64 v[115:116], v[115:116], -v[215:216]
	ds_read2_b64 v[215:218], v253 offset0:60 offset1:61
	s_waitcnt lgkmcnt(0)
	v_mul_f64 v[197:198], v[217:218], v[195:196]
	v_fma_f64 v[197:198], v[215:216], v[213:214], -v[197:198]
	v_mul_f64 v[215:216], v[215:216], v[195:196]
	v_add_f64 v[109:110], v[109:110], -v[197:198]
	v_fma_f64 v[215:216], v[217:218], v[213:214], v[215:216]
	v_add_f64 v[111:112], v[111:112], -v[215:216]
	ds_read2_b64 v[215:218], v253 offset0:62 offset1:63
	s_waitcnt lgkmcnt(0)
	v_mul_f64 v[197:198], v[217:218], v[195:196]
	v_fma_f64 v[197:198], v[215:216], v[213:214], -v[197:198]
	v_mul_f64 v[215:216], v[215:216], v[195:196]
	v_add_f64 v[105:106], v[105:106], -v[197:198]
	v_fma_f64 v[215:216], v[217:218], v[213:214], v[215:216]
	v_add_f64 v[107:108], v[107:108], -v[215:216]
	ds_read2_b64 v[215:218], v253 offset0:64 offset1:65
	s_waitcnt lgkmcnt(0)
	v_mul_f64 v[197:198], v[217:218], v[195:196]
	v_fma_f64 v[197:198], v[215:216], v[213:214], -v[197:198]
	v_mul_f64 v[215:216], v[215:216], v[195:196]
	v_add_f64 v[101:102], v[101:102], -v[197:198]
	v_fma_f64 v[215:216], v[217:218], v[213:214], v[215:216]
	v_add_f64 v[103:104], v[103:104], -v[215:216]
	ds_read2_b64 v[215:218], v253 offset0:66 offset1:67
	s_waitcnt lgkmcnt(0)
	v_mul_f64 v[197:198], v[217:218], v[195:196]
	v_fma_f64 v[197:198], v[215:216], v[213:214], -v[197:198]
	v_mul_f64 v[215:216], v[215:216], v[195:196]
	v_add_f64 v[97:98], v[97:98], -v[197:198]
	v_fma_f64 v[215:216], v[217:218], v[213:214], v[215:216]
	v_add_f64 v[99:100], v[99:100], -v[215:216]
	ds_read2_b64 v[215:218], v253 offset0:68 offset1:69
	s_waitcnt lgkmcnt(0)
	v_mul_f64 v[197:198], v[217:218], v[195:196]
	v_fma_f64 v[197:198], v[215:216], v[213:214], -v[197:198]
	v_mul_f64 v[215:216], v[215:216], v[195:196]
	v_add_f64 v[93:94], v[93:94], -v[197:198]
	v_fma_f64 v[215:216], v[217:218], v[213:214], v[215:216]
	v_add_f64 v[95:96], v[95:96], -v[215:216]
	ds_read2_b64 v[215:218], v253 offset0:70 offset1:71
	s_waitcnt lgkmcnt(0)
	v_mul_f64 v[197:198], v[217:218], v[195:196]
	v_fma_f64 v[197:198], v[215:216], v[213:214], -v[197:198]
	v_mul_f64 v[215:216], v[215:216], v[195:196]
	v_add_f64 v[89:90], v[89:90], -v[197:198]
	v_fma_f64 v[215:216], v[217:218], v[213:214], v[215:216]
	v_add_f64 v[91:92], v[91:92], -v[215:216]
	ds_read2_b64 v[215:218], v253 offset0:72 offset1:73
	s_waitcnt lgkmcnt(0)
	v_mul_f64 v[197:198], v[217:218], v[195:196]
	v_fma_f64 v[197:198], v[215:216], v[213:214], -v[197:198]
	v_mul_f64 v[215:216], v[215:216], v[195:196]
	v_add_f64 v[85:86], v[85:86], -v[197:198]
	v_fma_f64 v[215:216], v[217:218], v[213:214], v[215:216]
	v_add_f64 v[87:88], v[87:88], -v[215:216]
	ds_read2_b64 v[215:218], v253 offset0:74 offset1:75
	s_waitcnt lgkmcnt(0)
	v_mul_f64 v[197:198], v[217:218], v[195:196]
	v_fma_f64 v[197:198], v[215:216], v[213:214], -v[197:198]
	v_mul_f64 v[215:216], v[215:216], v[195:196]
	v_add_f64 v[81:82], v[81:82], -v[197:198]
	v_fma_f64 v[215:216], v[217:218], v[213:214], v[215:216]
	v_add_f64 v[83:84], v[83:84], -v[215:216]
	ds_read2_b64 v[215:218], v253 offset0:76 offset1:77
	s_waitcnt lgkmcnt(0)
	v_mul_f64 v[197:198], v[217:218], v[195:196]
	v_fma_f64 v[197:198], v[215:216], v[213:214], -v[197:198]
	v_mul_f64 v[215:216], v[215:216], v[195:196]
	v_add_f64 v[77:78], v[77:78], -v[197:198]
	v_fma_f64 v[215:216], v[217:218], v[213:214], v[215:216]
	v_add_f64 v[79:80], v[79:80], -v[215:216]
	ds_read2_b64 v[215:218], v253 offset0:78 offset1:79
	s_waitcnt lgkmcnt(0)
	v_mul_f64 v[197:198], v[217:218], v[195:196]
	v_fma_f64 v[197:198], v[215:216], v[213:214], -v[197:198]
	v_mul_f64 v[215:216], v[215:216], v[195:196]
	v_add_f64 v[73:74], v[73:74], -v[197:198]
	v_fma_f64 v[215:216], v[217:218], v[213:214], v[215:216]
	v_add_f64 v[75:76], v[75:76], -v[215:216]
	ds_read2_b64 v[215:218], v253 offset0:80 offset1:81
	s_waitcnt lgkmcnt(0)
	v_mul_f64 v[197:198], v[217:218], v[195:196]
	v_fma_f64 v[197:198], v[215:216], v[213:214], -v[197:198]
	v_mul_f64 v[215:216], v[215:216], v[195:196]
	v_add_f64 v[69:70], v[69:70], -v[197:198]
	v_fma_f64 v[215:216], v[217:218], v[213:214], v[215:216]
	v_add_f64 v[71:72], v[71:72], -v[215:216]
	ds_read2_b64 v[215:218], v253 offset0:82 offset1:83
	s_waitcnt lgkmcnt(0)
	v_mul_f64 v[197:198], v[217:218], v[195:196]
	v_fma_f64 v[197:198], v[215:216], v[213:214], -v[197:198]
	v_mul_f64 v[215:216], v[215:216], v[195:196]
	v_add_f64 v[65:66], v[65:66], -v[197:198]
	v_fma_f64 v[215:216], v[217:218], v[213:214], v[215:216]
	v_add_f64 v[67:68], v[67:68], -v[215:216]
	ds_read2_b64 v[215:218], v253 offset0:84 offset1:85
	s_waitcnt lgkmcnt(0)
	v_mul_f64 v[197:198], v[217:218], v[195:196]
	v_fma_f64 v[197:198], v[215:216], v[213:214], -v[197:198]
	v_mul_f64 v[215:216], v[215:216], v[195:196]
	v_add_f64 v[61:62], v[61:62], -v[197:198]
	v_fma_f64 v[215:216], v[217:218], v[213:214], v[215:216]
	v_add_f64 v[63:64], v[63:64], -v[215:216]
	ds_read2_b64 v[215:218], v253 offset0:86 offset1:87
	s_waitcnt lgkmcnt(0)
	v_mul_f64 v[197:198], v[217:218], v[195:196]
	v_fma_f64 v[197:198], v[215:216], v[213:214], -v[197:198]
	v_mul_f64 v[215:216], v[215:216], v[195:196]
	v_add_f64 v[57:58], v[57:58], -v[197:198]
	v_fma_f64 v[215:216], v[217:218], v[213:214], v[215:216]
	v_add_f64 v[59:60], v[59:60], -v[215:216]
	ds_read2_b64 v[215:218], v253 offset0:88 offset1:89
	s_waitcnt lgkmcnt(0)
	v_mul_f64 v[197:198], v[217:218], v[195:196]
	v_fma_f64 v[197:198], v[215:216], v[213:214], -v[197:198]
	v_mul_f64 v[215:216], v[215:216], v[195:196]
	v_add_f64 v[53:54], v[53:54], -v[197:198]
	v_fma_f64 v[215:216], v[217:218], v[213:214], v[215:216]
	v_add_f64 v[55:56], v[55:56], -v[215:216]
	ds_read2_b64 v[215:218], v253 offset0:90 offset1:91
	s_waitcnt lgkmcnt(0)
	v_mul_f64 v[197:198], v[217:218], v[195:196]
	v_fma_f64 v[197:198], v[215:216], v[213:214], -v[197:198]
	v_mul_f64 v[215:216], v[215:216], v[195:196]
	v_add_f64 v[49:50], v[49:50], -v[197:198]
	v_fma_f64 v[215:216], v[217:218], v[213:214], v[215:216]
	v_add_f64 v[51:52], v[51:52], -v[215:216]
	ds_read2_b64 v[215:218], v253 offset0:92 offset1:93
	s_waitcnt lgkmcnt(0)
	v_mul_f64 v[197:198], v[217:218], v[195:196]
	v_fma_f64 v[197:198], v[215:216], v[213:214], -v[197:198]
	v_mul_f64 v[215:216], v[215:216], v[195:196]
	v_add_f64 v[45:46], v[45:46], -v[197:198]
	v_fma_f64 v[215:216], v[217:218], v[213:214], v[215:216]
	v_add_f64 v[47:48], v[47:48], -v[215:216]
	ds_read2_b64 v[215:218], v253 offset0:94 offset1:95
	s_waitcnt lgkmcnt(0)
	v_mul_f64 v[197:198], v[217:218], v[195:196]
	v_fma_f64 v[197:198], v[215:216], v[213:214], -v[197:198]
	v_mul_f64 v[215:216], v[215:216], v[195:196]
	v_add_f64 v[41:42], v[41:42], -v[197:198]
	v_fma_f64 v[215:216], v[217:218], v[213:214], v[215:216]
	v_add_f64 v[43:44], v[43:44], -v[215:216]
	ds_read2_b64 v[215:218], v253 offset0:96 offset1:97
	s_waitcnt lgkmcnt(0)
	v_mul_f64 v[197:198], v[217:218], v[195:196]
	v_fma_f64 v[197:198], v[215:216], v[213:214], -v[197:198]
	v_mul_f64 v[215:216], v[215:216], v[195:196]
	v_add_f64 v[37:38], v[37:38], -v[197:198]
	v_fma_f64 v[215:216], v[217:218], v[213:214], v[215:216]
	v_add_f64 v[39:40], v[39:40], -v[215:216]
	ds_read2_b64 v[215:218], v253 offset0:98 offset1:99
	s_waitcnt lgkmcnt(0)
	v_mul_f64 v[197:198], v[217:218], v[195:196]
	v_fma_f64 v[197:198], v[215:216], v[213:214], -v[197:198]
	v_mul_f64 v[215:216], v[215:216], v[195:196]
	v_add_f64 v[33:34], v[33:34], -v[197:198]
	v_fma_f64 v[215:216], v[217:218], v[213:214], v[215:216]
	v_add_f64 v[35:36], v[35:36], -v[215:216]
	ds_read2_b64 v[215:218], v253 offset0:100 offset1:101
	s_waitcnt lgkmcnt(0)
	v_mul_f64 v[197:198], v[217:218], v[195:196]
	v_fma_f64 v[197:198], v[215:216], v[213:214], -v[197:198]
	v_mul_f64 v[215:216], v[215:216], v[195:196]
	v_add_f64 v[29:30], v[29:30], -v[197:198]
	v_fma_f64 v[215:216], v[217:218], v[213:214], v[215:216]
	v_add_f64 v[31:32], v[31:32], -v[215:216]
	ds_read2_b64 v[215:218], v253 offset0:102 offset1:103
	s_waitcnt lgkmcnt(0)
	v_mul_f64 v[197:198], v[217:218], v[195:196]
	v_fma_f64 v[197:198], v[215:216], v[213:214], -v[197:198]
	v_mul_f64 v[215:216], v[215:216], v[195:196]
	v_add_f64 v[25:26], v[25:26], -v[197:198]
	v_fma_f64 v[215:216], v[217:218], v[213:214], v[215:216]
	v_add_f64 v[27:28], v[27:28], -v[215:216]
	ds_read2_b64 v[215:218], v253 offset0:104 offset1:105
	s_waitcnt lgkmcnt(0)
	v_mul_f64 v[197:198], v[217:218], v[195:196]
	v_fma_f64 v[197:198], v[215:216], v[213:214], -v[197:198]
	v_mul_f64 v[215:216], v[215:216], v[195:196]
	v_add_f64 v[21:22], v[21:22], -v[197:198]
	v_fma_f64 v[215:216], v[217:218], v[213:214], v[215:216]
	v_add_f64 v[23:24], v[23:24], -v[215:216]
	ds_read2_b64 v[215:218], v253 offset0:106 offset1:107
	s_waitcnt lgkmcnt(0)
	v_mul_f64 v[197:198], v[217:218], v[195:196]
	v_fma_f64 v[197:198], v[215:216], v[213:214], -v[197:198]
	v_mul_f64 v[215:216], v[215:216], v[195:196]
	v_add_f64 v[17:18], v[17:18], -v[197:198]
	v_fma_f64 v[215:216], v[217:218], v[213:214], v[215:216]
	v_add_f64 v[19:20], v[19:20], -v[215:216]
	ds_read2_b64 v[215:218], v253 offset0:108 offset1:109
	s_waitcnt lgkmcnt(0)
	v_mul_f64 v[197:198], v[217:218], v[195:196]
	v_fma_f64 v[197:198], v[215:216], v[213:214], -v[197:198]
	v_mul_f64 v[215:216], v[215:216], v[195:196]
	v_add_f64 v[13:14], v[13:14], -v[197:198]
	v_fma_f64 v[215:216], v[217:218], v[213:214], v[215:216]
	v_add_f64 v[15:16], v[15:16], -v[215:216]
	ds_read2_b64 v[215:218], v253 offset0:110 offset1:111
	s_waitcnt lgkmcnt(0)
	v_mul_f64 v[197:198], v[217:218], v[195:196]
	v_fma_f64 v[197:198], v[215:216], v[213:214], -v[197:198]
	v_mul_f64 v[215:216], v[215:216], v[195:196]
	v_add_f64 v[9:10], v[9:10], -v[197:198]
	v_fma_f64 v[215:216], v[217:218], v[213:214], v[215:216]
	v_add_f64 v[11:12], v[11:12], -v[215:216]
	ds_read2_b64 v[215:218], v253 offset0:112 offset1:113
	s_waitcnt lgkmcnt(0)
	v_mul_f64 v[197:198], v[217:218], v[195:196]
	v_fma_f64 v[197:198], v[215:216], v[213:214], -v[197:198]
	v_mul_f64 v[215:216], v[215:216], v[195:196]
	v_add_f64 v[5:6], v[5:6], -v[197:198]
	v_fma_f64 v[215:216], v[217:218], v[213:214], v[215:216]
	v_add_f64 v[7:8], v[7:8], -v[215:216]
	ds_read2_b64 v[215:218], v253 offset0:114 offset1:115
	s_waitcnt lgkmcnt(0)
	v_mul_f64 v[197:198], v[217:218], v[195:196]
	v_fma_f64 v[197:198], v[215:216], v[213:214], -v[197:198]
	v_mul_f64 v[215:216], v[215:216], v[195:196]
	buffer_store_dword v193, off, s[16:19], 0 ; 4-byte Folded Spill
	buffer_store_dword v194, off, s[16:19], 0 offset:4 ; 4-byte Folded Spill
	buffer_store_dword v195, off, s[16:19], 0 offset:8 ; 4-byte Folded Spill
	;; [unrolled: 1-line block ×3, first 2 shown]
	v_add_f64 v[1:2], v[1:2], -v[197:198]
	v_fma_f64 v[215:216], v[217:218], v[213:214], v[215:216]
	v_add_f64 v[3:4], v[3:4], -v[215:216]
.LBB115_82:
	s_or_b32 exec_lo, exec_lo, s1
	s_mov_b32 s2, exec_lo
	s_waitcnt_vscnt null, 0x0
	s_barrier
	buffer_gl0_inv
	v_cmpx_eq_u32_e32 9, v0
	s_cbranch_execz .LBB115_89
; %bb.83:
	ds_write2_b64 v255, v[209:210], v[211:212] offset1:1
	ds_write2_b64 v253, v[189:190], v[191:192] offset0:20 offset1:21
	ds_write2_b64 v253, v[185:186], v[187:188] offset0:22 offset1:23
	;; [unrolled: 1-line block ×48, first 2 shown]
	ds_read2_b64 v[213:216], v255 offset1:1
	s_waitcnt lgkmcnt(0)
	v_cmp_neq_f64_e32 vcc_lo, 0, v[213:214]
	v_cmp_neq_f64_e64 s1, 0, v[215:216]
	s_or_b32 s1, vcc_lo, s1
	s_and_b32 exec_lo, exec_lo, s1
	s_cbranch_execz .LBB115_89
; %bb.84:
	v_cmp_ngt_f64_e64 s1, |v[213:214]|, |v[215:216]|
                                        ; implicit-def: $vgpr217_vgpr218
	s_and_saveexec_b32 s3, s1
	s_xor_b32 s1, exec_lo, s3
                                        ; implicit-def: $vgpr219_vgpr220
	s_cbranch_execz .LBB115_86
; %bb.85:
	v_div_scale_f64 v[217:218], null, v[215:216], v[215:216], v[213:214]
	v_div_scale_f64 v[223:224], vcc_lo, v[213:214], v[215:216], v[213:214]
	v_rcp_f64_e32 v[219:220], v[217:218]
	v_fma_f64 v[221:222], -v[217:218], v[219:220], 1.0
	v_fma_f64 v[219:220], v[219:220], v[221:222], v[219:220]
	v_fma_f64 v[221:222], -v[217:218], v[219:220], 1.0
	v_fma_f64 v[219:220], v[219:220], v[221:222], v[219:220]
	v_mul_f64 v[221:222], v[223:224], v[219:220]
	v_fma_f64 v[217:218], -v[217:218], v[221:222], v[223:224]
	v_div_fmas_f64 v[217:218], v[217:218], v[219:220], v[221:222]
	v_div_fixup_f64 v[217:218], v[217:218], v[215:216], v[213:214]
	v_fma_f64 v[213:214], v[213:214], v[217:218], v[215:216]
	v_div_scale_f64 v[215:216], null, v[213:214], v[213:214], 1.0
	v_rcp_f64_e32 v[219:220], v[215:216]
	v_fma_f64 v[221:222], -v[215:216], v[219:220], 1.0
	v_fma_f64 v[219:220], v[219:220], v[221:222], v[219:220]
	v_fma_f64 v[221:222], -v[215:216], v[219:220], 1.0
	v_fma_f64 v[219:220], v[219:220], v[221:222], v[219:220]
	v_div_scale_f64 v[221:222], vcc_lo, 1.0, v[213:214], 1.0
	v_mul_f64 v[223:224], v[221:222], v[219:220]
	v_fma_f64 v[215:216], -v[215:216], v[223:224], v[221:222]
	v_div_fmas_f64 v[215:216], v[215:216], v[219:220], v[223:224]
	v_div_fixup_f64 v[219:220], v[215:216], v[213:214], 1.0
                                        ; implicit-def: $vgpr213_vgpr214
	v_mul_f64 v[217:218], v[217:218], v[219:220]
	v_xor_b32_e32 v220, 0x80000000, v220
.LBB115_86:
	s_andn2_saveexec_b32 s1, s1
	s_cbranch_execz .LBB115_88
; %bb.87:
	v_div_scale_f64 v[217:218], null, v[213:214], v[213:214], v[215:216]
	v_div_scale_f64 v[223:224], vcc_lo, v[215:216], v[213:214], v[215:216]
	v_rcp_f64_e32 v[219:220], v[217:218]
	v_fma_f64 v[221:222], -v[217:218], v[219:220], 1.0
	v_fma_f64 v[219:220], v[219:220], v[221:222], v[219:220]
	v_fma_f64 v[221:222], -v[217:218], v[219:220], 1.0
	v_fma_f64 v[219:220], v[219:220], v[221:222], v[219:220]
	v_mul_f64 v[221:222], v[223:224], v[219:220]
	v_fma_f64 v[217:218], -v[217:218], v[221:222], v[223:224]
	v_div_fmas_f64 v[217:218], v[217:218], v[219:220], v[221:222]
	v_div_fixup_f64 v[219:220], v[217:218], v[213:214], v[215:216]
	v_fma_f64 v[213:214], v[215:216], v[219:220], v[213:214]
	v_div_scale_f64 v[215:216], null, v[213:214], v[213:214], 1.0
	v_rcp_f64_e32 v[217:218], v[215:216]
	v_fma_f64 v[221:222], -v[215:216], v[217:218], 1.0
	v_fma_f64 v[217:218], v[217:218], v[221:222], v[217:218]
	v_fma_f64 v[221:222], -v[215:216], v[217:218], 1.0
	v_fma_f64 v[217:218], v[217:218], v[221:222], v[217:218]
	v_div_scale_f64 v[221:222], vcc_lo, 1.0, v[213:214], 1.0
	v_mul_f64 v[223:224], v[221:222], v[217:218]
	v_fma_f64 v[215:216], -v[215:216], v[223:224], v[221:222]
	v_div_fmas_f64 v[215:216], v[215:216], v[217:218], v[223:224]
	v_div_fixup_f64 v[217:218], v[215:216], v[213:214], 1.0
	v_mul_f64 v[219:220], v[219:220], -v[217:218]
.LBB115_88:
	s_or_b32 exec_lo, exec_lo, s1
	ds_write2_b64 v255, v[217:218], v[219:220] offset1:1
.LBB115_89:
	s_or_b32 exec_lo, exec_lo, s2
	s_waitcnt lgkmcnt(0)
	s_barrier
	buffer_gl0_inv
	ds_read2_b64 v[193:196], v255 offset1:1
	s_mov_b32 s1, exec_lo
	s_waitcnt lgkmcnt(0)
	buffer_store_dword v193, off, s[16:19], 0 offset:632 ; 4-byte Folded Spill
	buffer_store_dword v194, off, s[16:19], 0 offset:636 ; 4-byte Folded Spill
	buffer_store_dword v195, off, s[16:19], 0 offset:640 ; 4-byte Folded Spill
	buffer_store_dword v196, off, s[16:19], 0 offset:644 ; 4-byte Folded Spill
	v_cmpx_lt_u32_e32 9, v0
	s_cbranch_execz .LBB115_91
; %bb.90:
	s_clause 0x3
	buffer_load_dword v195, off, s[16:19], 0 offset:632
	buffer_load_dword v196, off, s[16:19], 0 offset:636
	;; [unrolled: 1-line block ×4, first 2 shown]
	ds_read2_b64 v[215:218], v253 offset0:20 offset1:21
	s_waitcnt vmcnt(0)
	v_mul_f64 v[213:214], v[197:198], v[211:212]
	v_fma_f64 v[213:214], v[195:196], v[209:210], -v[213:214]
	v_mul_f64 v[195:196], v[195:196], v[211:212]
	v_fma_f64 v[211:212], v[197:198], v[209:210], v[195:196]
	v_mov_b32_e32 v209, v213
	v_mov_b32_e32 v210, v214
	s_waitcnt lgkmcnt(0)
	v_mul_f64 v[193:194], v[217:218], v[211:212]
	v_fma_f64 v[193:194], v[215:216], v[213:214], -v[193:194]
	v_mul_f64 v[215:216], v[215:216], v[211:212]
	v_add_f64 v[189:190], v[189:190], -v[193:194]
	v_fma_f64 v[215:216], v[217:218], v[213:214], v[215:216]
	v_add_f64 v[191:192], v[191:192], -v[215:216]
	ds_read2_b64 v[215:218], v253 offset0:22 offset1:23
	s_waitcnt lgkmcnt(0)
	v_mul_f64 v[193:194], v[217:218], v[211:212]
	v_fma_f64 v[193:194], v[215:216], v[213:214], -v[193:194]
	v_mul_f64 v[215:216], v[215:216], v[211:212]
	v_add_f64 v[185:186], v[185:186], -v[193:194]
	v_fma_f64 v[215:216], v[217:218], v[213:214], v[215:216]
	v_add_f64 v[187:188], v[187:188], -v[215:216]
	ds_read2_b64 v[215:218], v253 offset0:24 offset1:25
	;; [unrolled: 8-line block ×47, first 2 shown]
	s_waitcnt lgkmcnt(0)
	v_mul_f64 v[193:194], v[217:218], v[211:212]
	v_fma_f64 v[193:194], v[215:216], v[213:214], -v[193:194]
	v_mul_f64 v[215:216], v[215:216], v[211:212]
	v_add_f64 v[1:2], v[1:2], -v[193:194]
	v_fma_f64 v[215:216], v[217:218], v[213:214], v[215:216]
	v_add_f64 v[3:4], v[3:4], -v[215:216]
.LBB115_91:
	s_or_b32 exec_lo, exec_lo, s1
	s_mov_b32 s2, exec_lo
	s_waitcnt_vscnt null, 0x0
	s_barrier
	buffer_gl0_inv
	v_cmpx_eq_u32_e32 10, v0
	s_cbranch_execz .LBB115_98
; %bb.92:
	ds_write2_b64 v255, v[189:190], v[191:192] offset1:1
	ds_write2_b64 v253, v[185:186], v[187:188] offset0:22 offset1:23
	ds_write2_b64 v253, v[181:182], v[183:184] offset0:24 offset1:25
	;; [unrolled: 1-line block ×47, first 2 shown]
	ds_read2_b64 v[213:216], v255 offset1:1
	s_waitcnt lgkmcnt(0)
	v_cmp_neq_f64_e32 vcc_lo, 0, v[213:214]
	v_cmp_neq_f64_e64 s1, 0, v[215:216]
	s_or_b32 s1, vcc_lo, s1
	s_and_b32 exec_lo, exec_lo, s1
	s_cbranch_execz .LBB115_98
; %bb.93:
	v_cmp_ngt_f64_e64 s1, |v[213:214]|, |v[215:216]|
                                        ; implicit-def: $vgpr217_vgpr218
	s_and_saveexec_b32 s3, s1
	s_xor_b32 s1, exec_lo, s3
                                        ; implicit-def: $vgpr219_vgpr220
	s_cbranch_execz .LBB115_95
; %bb.94:
	v_div_scale_f64 v[217:218], null, v[215:216], v[215:216], v[213:214]
	v_div_scale_f64 v[223:224], vcc_lo, v[213:214], v[215:216], v[213:214]
	v_rcp_f64_e32 v[219:220], v[217:218]
	v_fma_f64 v[221:222], -v[217:218], v[219:220], 1.0
	v_fma_f64 v[219:220], v[219:220], v[221:222], v[219:220]
	v_fma_f64 v[221:222], -v[217:218], v[219:220], 1.0
	v_fma_f64 v[219:220], v[219:220], v[221:222], v[219:220]
	v_mul_f64 v[221:222], v[223:224], v[219:220]
	v_fma_f64 v[217:218], -v[217:218], v[221:222], v[223:224]
	v_div_fmas_f64 v[217:218], v[217:218], v[219:220], v[221:222]
	v_div_fixup_f64 v[217:218], v[217:218], v[215:216], v[213:214]
	v_fma_f64 v[213:214], v[213:214], v[217:218], v[215:216]
	v_div_scale_f64 v[215:216], null, v[213:214], v[213:214], 1.0
	v_rcp_f64_e32 v[219:220], v[215:216]
	v_fma_f64 v[221:222], -v[215:216], v[219:220], 1.0
	v_fma_f64 v[219:220], v[219:220], v[221:222], v[219:220]
	v_fma_f64 v[221:222], -v[215:216], v[219:220], 1.0
	v_fma_f64 v[219:220], v[219:220], v[221:222], v[219:220]
	v_div_scale_f64 v[221:222], vcc_lo, 1.0, v[213:214], 1.0
	v_mul_f64 v[223:224], v[221:222], v[219:220]
	v_fma_f64 v[215:216], -v[215:216], v[223:224], v[221:222]
	v_div_fmas_f64 v[215:216], v[215:216], v[219:220], v[223:224]
	v_div_fixup_f64 v[219:220], v[215:216], v[213:214], 1.0
                                        ; implicit-def: $vgpr213_vgpr214
	v_mul_f64 v[217:218], v[217:218], v[219:220]
	v_xor_b32_e32 v220, 0x80000000, v220
.LBB115_95:
	s_andn2_saveexec_b32 s1, s1
	s_cbranch_execz .LBB115_97
; %bb.96:
	v_div_scale_f64 v[217:218], null, v[213:214], v[213:214], v[215:216]
	v_div_scale_f64 v[223:224], vcc_lo, v[215:216], v[213:214], v[215:216]
	v_rcp_f64_e32 v[219:220], v[217:218]
	v_fma_f64 v[221:222], -v[217:218], v[219:220], 1.0
	v_fma_f64 v[219:220], v[219:220], v[221:222], v[219:220]
	v_fma_f64 v[221:222], -v[217:218], v[219:220], 1.0
	v_fma_f64 v[219:220], v[219:220], v[221:222], v[219:220]
	v_mul_f64 v[221:222], v[223:224], v[219:220]
	v_fma_f64 v[217:218], -v[217:218], v[221:222], v[223:224]
	v_div_fmas_f64 v[217:218], v[217:218], v[219:220], v[221:222]
	v_div_fixup_f64 v[219:220], v[217:218], v[213:214], v[215:216]
	v_fma_f64 v[213:214], v[215:216], v[219:220], v[213:214]
	v_div_scale_f64 v[215:216], null, v[213:214], v[213:214], 1.0
	v_rcp_f64_e32 v[217:218], v[215:216]
	v_fma_f64 v[221:222], -v[215:216], v[217:218], 1.0
	v_fma_f64 v[217:218], v[217:218], v[221:222], v[217:218]
	v_fma_f64 v[221:222], -v[215:216], v[217:218], 1.0
	v_fma_f64 v[217:218], v[217:218], v[221:222], v[217:218]
	v_div_scale_f64 v[221:222], vcc_lo, 1.0, v[213:214], 1.0
	v_mul_f64 v[223:224], v[221:222], v[217:218]
	v_fma_f64 v[215:216], -v[215:216], v[223:224], v[221:222]
	v_div_fmas_f64 v[215:216], v[215:216], v[217:218], v[223:224]
	v_div_fixup_f64 v[217:218], v[215:216], v[213:214], 1.0
	v_mul_f64 v[219:220], v[219:220], -v[217:218]
.LBB115_97:
	s_or_b32 exec_lo, exec_lo, s1
	ds_write2_b64 v255, v[217:218], v[219:220] offset1:1
.LBB115_98:
	s_or_b32 exec_lo, exec_lo, s2
	s_waitcnt lgkmcnt(0)
	s_barrier
	buffer_gl0_inv
	ds_read2_b64 v[193:196], v255 offset1:1
	s_mov_b32 s1, exec_lo
	s_waitcnt lgkmcnt(0)
	buffer_store_dword v193, off, s[16:19], 0 offset:648 ; 4-byte Folded Spill
	buffer_store_dword v194, off, s[16:19], 0 offset:652 ; 4-byte Folded Spill
	;; [unrolled: 1-line block ×4, first 2 shown]
	v_cmpx_lt_u32_e32 10, v0
	s_cbranch_execz .LBB115_100
; %bb.99:
	s_clause 0x3
	buffer_load_dword v193, off, s[16:19], 0 offset:648
	buffer_load_dword v194, off, s[16:19], 0 offset:652
	;; [unrolled: 1-line block ×4, first 2 shown]
	ds_read2_b64 v[215:218], v253 offset0:22 offset1:23
	s_waitcnt vmcnt(0)
	v_mul_f64 v[213:214], v[195:196], v[191:192]
	v_mul_f64 v[191:192], v[193:194], v[191:192]
	v_fma_f64 v[213:214], v[193:194], v[189:190], -v[213:214]
	v_fma_f64 v[191:192], v[195:196], v[189:190], v[191:192]
	s_waitcnt lgkmcnt(0)
	v_mul_f64 v[189:190], v[217:218], v[191:192]
	v_fma_f64 v[189:190], v[215:216], v[213:214], -v[189:190]
	v_mul_f64 v[215:216], v[215:216], v[191:192]
	v_add_f64 v[185:186], v[185:186], -v[189:190]
	v_fma_f64 v[215:216], v[217:218], v[213:214], v[215:216]
	v_add_f64 v[187:188], v[187:188], -v[215:216]
	ds_read2_b64 v[215:218], v253 offset0:24 offset1:25
	s_waitcnt lgkmcnt(0)
	v_mul_f64 v[189:190], v[217:218], v[191:192]
	v_fma_f64 v[189:190], v[215:216], v[213:214], -v[189:190]
	v_mul_f64 v[215:216], v[215:216], v[191:192]
	v_add_f64 v[181:182], v[181:182], -v[189:190]
	v_fma_f64 v[215:216], v[217:218], v[213:214], v[215:216]
	v_add_f64 v[183:184], v[183:184], -v[215:216]
	ds_read2_b64 v[215:218], v253 offset0:26 offset1:27
	;; [unrolled: 8-line block ×46, first 2 shown]
	s_waitcnt lgkmcnt(0)
	v_mul_f64 v[189:190], v[217:218], v[191:192]
	v_fma_f64 v[189:190], v[215:216], v[213:214], -v[189:190]
	v_mul_f64 v[215:216], v[215:216], v[191:192]
	v_add_f64 v[1:2], v[1:2], -v[189:190]
	v_fma_f64 v[215:216], v[217:218], v[213:214], v[215:216]
	v_mov_b32_e32 v189, v213
	v_mov_b32_e32 v190, v214
	v_add_f64 v[3:4], v[3:4], -v[215:216]
.LBB115_100:
	s_or_b32 exec_lo, exec_lo, s1
	s_mov_b32 s2, exec_lo
	s_waitcnt_vscnt null, 0x0
	s_barrier
	buffer_gl0_inv
	v_cmpx_eq_u32_e32 11, v0
	s_cbranch_execz .LBB115_107
; %bb.101:
	ds_write2_b64 v255, v[185:186], v[187:188] offset1:1
	ds_write2_b64 v253, v[181:182], v[183:184] offset0:24 offset1:25
	ds_write2_b64 v253, v[177:178], v[179:180] offset0:26 offset1:27
	;; [unrolled: 1-line block ×46, first 2 shown]
	ds_read2_b64 v[213:216], v255 offset1:1
	s_waitcnt lgkmcnt(0)
	v_cmp_neq_f64_e32 vcc_lo, 0, v[213:214]
	v_cmp_neq_f64_e64 s1, 0, v[215:216]
	s_or_b32 s1, vcc_lo, s1
	s_and_b32 exec_lo, exec_lo, s1
	s_cbranch_execz .LBB115_107
; %bb.102:
	v_cmp_ngt_f64_e64 s1, |v[213:214]|, |v[215:216]|
                                        ; implicit-def: $vgpr217_vgpr218
	s_and_saveexec_b32 s3, s1
	s_xor_b32 s1, exec_lo, s3
                                        ; implicit-def: $vgpr219_vgpr220
	s_cbranch_execz .LBB115_104
; %bb.103:
	v_div_scale_f64 v[217:218], null, v[215:216], v[215:216], v[213:214]
	v_div_scale_f64 v[223:224], vcc_lo, v[213:214], v[215:216], v[213:214]
	v_rcp_f64_e32 v[219:220], v[217:218]
	v_fma_f64 v[221:222], -v[217:218], v[219:220], 1.0
	v_fma_f64 v[219:220], v[219:220], v[221:222], v[219:220]
	v_fma_f64 v[221:222], -v[217:218], v[219:220], 1.0
	v_fma_f64 v[219:220], v[219:220], v[221:222], v[219:220]
	v_mul_f64 v[221:222], v[223:224], v[219:220]
	v_fma_f64 v[217:218], -v[217:218], v[221:222], v[223:224]
	v_div_fmas_f64 v[217:218], v[217:218], v[219:220], v[221:222]
	v_div_fixup_f64 v[217:218], v[217:218], v[215:216], v[213:214]
	v_fma_f64 v[213:214], v[213:214], v[217:218], v[215:216]
	v_div_scale_f64 v[215:216], null, v[213:214], v[213:214], 1.0
	v_rcp_f64_e32 v[219:220], v[215:216]
	v_fma_f64 v[221:222], -v[215:216], v[219:220], 1.0
	v_fma_f64 v[219:220], v[219:220], v[221:222], v[219:220]
	v_fma_f64 v[221:222], -v[215:216], v[219:220], 1.0
	v_fma_f64 v[219:220], v[219:220], v[221:222], v[219:220]
	v_div_scale_f64 v[221:222], vcc_lo, 1.0, v[213:214], 1.0
	v_mul_f64 v[223:224], v[221:222], v[219:220]
	v_fma_f64 v[215:216], -v[215:216], v[223:224], v[221:222]
	v_div_fmas_f64 v[215:216], v[215:216], v[219:220], v[223:224]
	v_div_fixup_f64 v[219:220], v[215:216], v[213:214], 1.0
                                        ; implicit-def: $vgpr213_vgpr214
	v_mul_f64 v[217:218], v[217:218], v[219:220]
	v_xor_b32_e32 v220, 0x80000000, v220
.LBB115_104:
	s_andn2_saveexec_b32 s1, s1
	s_cbranch_execz .LBB115_106
; %bb.105:
	v_div_scale_f64 v[217:218], null, v[213:214], v[213:214], v[215:216]
	v_div_scale_f64 v[223:224], vcc_lo, v[215:216], v[213:214], v[215:216]
	v_rcp_f64_e32 v[219:220], v[217:218]
	v_fma_f64 v[221:222], -v[217:218], v[219:220], 1.0
	v_fma_f64 v[219:220], v[219:220], v[221:222], v[219:220]
	v_fma_f64 v[221:222], -v[217:218], v[219:220], 1.0
	v_fma_f64 v[219:220], v[219:220], v[221:222], v[219:220]
	v_mul_f64 v[221:222], v[223:224], v[219:220]
	v_fma_f64 v[217:218], -v[217:218], v[221:222], v[223:224]
	v_div_fmas_f64 v[217:218], v[217:218], v[219:220], v[221:222]
	v_div_fixup_f64 v[219:220], v[217:218], v[213:214], v[215:216]
	v_fma_f64 v[213:214], v[215:216], v[219:220], v[213:214]
	v_div_scale_f64 v[215:216], null, v[213:214], v[213:214], 1.0
	v_rcp_f64_e32 v[217:218], v[215:216]
	v_fma_f64 v[221:222], -v[215:216], v[217:218], 1.0
	v_fma_f64 v[217:218], v[217:218], v[221:222], v[217:218]
	v_fma_f64 v[221:222], -v[215:216], v[217:218], 1.0
	v_fma_f64 v[217:218], v[217:218], v[221:222], v[217:218]
	v_div_scale_f64 v[221:222], vcc_lo, 1.0, v[213:214], 1.0
	v_mul_f64 v[223:224], v[221:222], v[217:218]
	v_fma_f64 v[215:216], -v[215:216], v[223:224], v[221:222]
	v_div_fmas_f64 v[215:216], v[215:216], v[217:218], v[223:224]
	v_div_fixup_f64 v[217:218], v[215:216], v[213:214], 1.0
	v_mul_f64 v[219:220], v[219:220], -v[217:218]
.LBB115_106:
	s_or_b32 exec_lo, exec_lo, s1
	ds_write2_b64 v255, v[217:218], v[219:220] offset1:1
.LBB115_107:
	s_or_b32 exec_lo, exec_lo, s2
	s_waitcnt lgkmcnt(0)
	s_barrier
	buffer_gl0_inv
	ds_read2_b64 v[193:196], v255 offset1:1
	s_mov_b32 s1, exec_lo
	s_waitcnt lgkmcnt(0)
	buffer_store_dword v193, off, s[16:19], 0 offset:664 ; 4-byte Folded Spill
	buffer_store_dword v194, off, s[16:19], 0 offset:668 ; 4-byte Folded Spill
	;; [unrolled: 1-line block ×4, first 2 shown]
	v_cmpx_lt_u32_e32 11, v0
	s_cbranch_execz .LBB115_109
; %bb.108:
	s_clause 0x3
	buffer_load_dword v193, off, s[16:19], 0 offset:664
	buffer_load_dword v194, off, s[16:19], 0 offset:668
	;; [unrolled: 1-line block ×4, first 2 shown]
	ds_read2_b64 v[215:218], v253 offset0:24 offset1:25
	s_waitcnt vmcnt(0)
	v_mul_f64 v[213:214], v[195:196], v[187:188]
	v_mul_f64 v[187:188], v[193:194], v[187:188]
	v_fma_f64 v[213:214], v[193:194], v[185:186], -v[213:214]
	v_fma_f64 v[187:188], v[195:196], v[185:186], v[187:188]
	s_waitcnt lgkmcnt(0)
	v_mul_f64 v[185:186], v[217:218], v[187:188]
	v_fma_f64 v[185:186], v[215:216], v[213:214], -v[185:186]
	v_mul_f64 v[215:216], v[215:216], v[187:188]
	v_add_f64 v[181:182], v[181:182], -v[185:186]
	v_fma_f64 v[215:216], v[217:218], v[213:214], v[215:216]
	v_add_f64 v[183:184], v[183:184], -v[215:216]
	ds_read2_b64 v[215:218], v253 offset0:26 offset1:27
	s_waitcnt lgkmcnt(0)
	v_mul_f64 v[185:186], v[217:218], v[187:188]
	v_fma_f64 v[185:186], v[215:216], v[213:214], -v[185:186]
	v_mul_f64 v[215:216], v[215:216], v[187:188]
	v_add_f64 v[177:178], v[177:178], -v[185:186]
	v_fma_f64 v[215:216], v[217:218], v[213:214], v[215:216]
	v_add_f64 v[179:180], v[179:180], -v[215:216]
	ds_read2_b64 v[215:218], v253 offset0:28 offset1:29
	;; [unrolled: 8-line block ×45, first 2 shown]
	s_waitcnt lgkmcnt(0)
	v_mul_f64 v[185:186], v[217:218], v[187:188]
	v_fma_f64 v[185:186], v[215:216], v[213:214], -v[185:186]
	v_mul_f64 v[215:216], v[215:216], v[187:188]
	v_add_f64 v[1:2], v[1:2], -v[185:186]
	v_fma_f64 v[215:216], v[217:218], v[213:214], v[215:216]
	v_mov_b32_e32 v185, v213
	v_mov_b32_e32 v186, v214
	v_add_f64 v[3:4], v[3:4], -v[215:216]
.LBB115_109:
	s_or_b32 exec_lo, exec_lo, s1
	s_mov_b32 s2, exec_lo
	s_waitcnt_vscnt null, 0x0
	s_barrier
	buffer_gl0_inv
	v_cmpx_eq_u32_e32 12, v0
	s_cbranch_execz .LBB115_116
; %bb.110:
	ds_write2_b64 v255, v[181:182], v[183:184] offset1:1
	ds_write2_b64 v253, v[177:178], v[179:180] offset0:26 offset1:27
	ds_write2_b64 v253, v[173:174], v[175:176] offset0:28 offset1:29
	;; [unrolled: 1-line block ×45, first 2 shown]
	ds_read2_b64 v[213:216], v255 offset1:1
	s_waitcnt lgkmcnt(0)
	v_cmp_neq_f64_e32 vcc_lo, 0, v[213:214]
	v_cmp_neq_f64_e64 s1, 0, v[215:216]
	s_or_b32 s1, vcc_lo, s1
	s_and_b32 exec_lo, exec_lo, s1
	s_cbranch_execz .LBB115_116
; %bb.111:
	v_cmp_ngt_f64_e64 s1, |v[213:214]|, |v[215:216]|
                                        ; implicit-def: $vgpr217_vgpr218
	s_and_saveexec_b32 s3, s1
	s_xor_b32 s1, exec_lo, s3
                                        ; implicit-def: $vgpr219_vgpr220
	s_cbranch_execz .LBB115_113
; %bb.112:
	v_div_scale_f64 v[217:218], null, v[215:216], v[215:216], v[213:214]
	v_div_scale_f64 v[223:224], vcc_lo, v[213:214], v[215:216], v[213:214]
	v_rcp_f64_e32 v[219:220], v[217:218]
	v_fma_f64 v[221:222], -v[217:218], v[219:220], 1.0
	v_fma_f64 v[219:220], v[219:220], v[221:222], v[219:220]
	v_fma_f64 v[221:222], -v[217:218], v[219:220], 1.0
	v_fma_f64 v[219:220], v[219:220], v[221:222], v[219:220]
	v_mul_f64 v[221:222], v[223:224], v[219:220]
	v_fma_f64 v[217:218], -v[217:218], v[221:222], v[223:224]
	v_div_fmas_f64 v[217:218], v[217:218], v[219:220], v[221:222]
	v_div_fixup_f64 v[217:218], v[217:218], v[215:216], v[213:214]
	v_fma_f64 v[213:214], v[213:214], v[217:218], v[215:216]
	v_div_scale_f64 v[215:216], null, v[213:214], v[213:214], 1.0
	v_rcp_f64_e32 v[219:220], v[215:216]
	v_fma_f64 v[221:222], -v[215:216], v[219:220], 1.0
	v_fma_f64 v[219:220], v[219:220], v[221:222], v[219:220]
	v_fma_f64 v[221:222], -v[215:216], v[219:220], 1.0
	v_fma_f64 v[219:220], v[219:220], v[221:222], v[219:220]
	v_div_scale_f64 v[221:222], vcc_lo, 1.0, v[213:214], 1.0
	v_mul_f64 v[223:224], v[221:222], v[219:220]
	v_fma_f64 v[215:216], -v[215:216], v[223:224], v[221:222]
	v_div_fmas_f64 v[215:216], v[215:216], v[219:220], v[223:224]
	v_div_fixup_f64 v[219:220], v[215:216], v[213:214], 1.0
                                        ; implicit-def: $vgpr213_vgpr214
	v_mul_f64 v[217:218], v[217:218], v[219:220]
	v_xor_b32_e32 v220, 0x80000000, v220
.LBB115_113:
	s_andn2_saveexec_b32 s1, s1
	s_cbranch_execz .LBB115_115
; %bb.114:
	v_div_scale_f64 v[217:218], null, v[213:214], v[213:214], v[215:216]
	v_div_scale_f64 v[223:224], vcc_lo, v[215:216], v[213:214], v[215:216]
	v_rcp_f64_e32 v[219:220], v[217:218]
	v_fma_f64 v[221:222], -v[217:218], v[219:220], 1.0
	v_fma_f64 v[219:220], v[219:220], v[221:222], v[219:220]
	v_fma_f64 v[221:222], -v[217:218], v[219:220], 1.0
	v_fma_f64 v[219:220], v[219:220], v[221:222], v[219:220]
	v_mul_f64 v[221:222], v[223:224], v[219:220]
	v_fma_f64 v[217:218], -v[217:218], v[221:222], v[223:224]
	v_div_fmas_f64 v[217:218], v[217:218], v[219:220], v[221:222]
	v_div_fixup_f64 v[219:220], v[217:218], v[213:214], v[215:216]
	v_fma_f64 v[213:214], v[215:216], v[219:220], v[213:214]
	v_div_scale_f64 v[215:216], null, v[213:214], v[213:214], 1.0
	v_rcp_f64_e32 v[217:218], v[215:216]
	v_fma_f64 v[221:222], -v[215:216], v[217:218], 1.0
	v_fma_f64 v[217:218], v[217:218], v[221:222], v[217:218]
	v_fma_f64 v[221:222], -v[215:216], v[217:218], 1.0
	v_fma_f64 v[217:218], v[217:218], v[221:222], v[217:218]
	v_div_scale_f64 v[221:222], vcc_lo, 1.0, v[213:214], 1.0
	v_mul_f64 v[223:224], v[221:222], v[217:218]
	v_fma_f64 v[215:216], -v[215:216], v[223:224], v[221:222]
	v_div_fmas_f64 v[215:216], v[215:216], v[217:218], v[223:224]
	v_div_fixup_f64 v[217:218], v[215:216], v[213:214], 1.0
	v_mul_f64 v[219:220], v[219:220], -v[217:218]
.LBB115_115:
	s_or_b32 exec_lo, exec_lo, s1
	ds_write2_b64 v255, v[217:218], v[219:220] offset1:1
.LBB115_116:
	s_or_b32 exec_lo, exec_lo, s2
	s_waitcnt lgkmcnt(0)
	s_barrier
	buffer_gl0_inv
	ds_read2_b64 v[193:196], v255 offset1:1
	s_mov_b32 s1, exec_lo
	s_waitcnt lgkmcnt(0)
	buffer_store_dword v193, off, s[16:19], 0 offset:680 ; 4-byte Folded Spill
	buffer_store_dword v194, off, s[16:19], 0 offset:684 ; 4-byte Folded Spill
	;; [unrolled: 1-line block ×4, first 2 shown]
	v_cmpx_lt_u32_e32 12, v0
	s_cbranch_execz .LBB115_118
; %bb.117:
	s_clause 0x3
	buffer_load_dword v193, off, s[16:19], 0 offset:680
	buffer_load_dword v194, off, s[16:19], 0 offset:684
	;; [unrolled: 1-line block ×4, first 2 shown]
	ds_read2_b64 v[215:218], v253 offset0:26 offset1:27
	s_waitcnt vmcnt(0)
	v_mul_f64 v[213:214], v[195:196], v[183:184]
	v_mul_f64 v[183:184], v[193:194], v[183:184]
	v_fma_f64 v[213:214], v[193:194], v[181:182], -v[213:214]
	v_fma_f64 v[183:184], v[195:196], v[181:182], v[183:184]
	s_waitcnt lgkmcnt(0)
	v_mul_f64 v[181:182], v[217:218], v[183:184]
	v_fma_f64 v[181:182], v[215:216], v[213:214], -v[181:182]
	v_mul_f64 v[215:216], v[215:216], v[183:184]
	v_add_f64 v[177:178], v[177:178], -v[181:182]
	v_fma_f64 v[215:216], v[217:218], v[213:214], v[215:216]
	v_add_f64 v[179:180], v[179:180], -v[215:216]
	ds_read2_b64 v[215:218], v253 offset0:28 offset1:29
	s_waitcnt lgkmcnt(0)
	v_mul_f64 v[181:182], v[217:218], v[183:184]
	v_fma_f64 v[181:182], v[215:216], v[213:214], -v[181:182]
	v_mul_f64 v[215:216], v[215:216], v[183:184]
	v_add_f64 v[173:174], v[173:174], -v[181:182]
	v_fma_f64 v[215:216], v[217:218], v[213:214], v[215:216]
	v_add_f64 v[175:176], v[175:176], -v[215:216]
	ds_read2_b64 v[215:218], v253 offset0:30 offset1:31
	;; [unrolled: 8-line block ×44, first 2 shown]
	s_waitcnt lgkmcnt(0)
	v_mul_f64 v[181:182], v[217:218], v[183:184]
	v_fma_f64 v[181:182], v[215:216], v[213:214], -v[181:182]
	v_mul_f64 v[215:216], v[215:216], v[183:184]
	v_add_f64 v[1:2], v[1:2], -v[181:182]
	v_fma_f64 v[215:216], v[217:218], v[213:214], v[215:216]
	v_mov_b32_e32 v181, v213
	v_mov_b32_e32 v182, v214
	v_add_f64 v[3:4], v[3:4], -v[215:216]
.LBB115_118:
	s_or_b32 exec_lo, exec_lo, s1
	s_mov_b32 s2, exec_lo
	s_waitcnt_vscnt null, 0x0
	s_barrier
	buffer_gl0_inv
	v_cmpx_eq_u32_e32 13, v0
	s_cbranch_execz .LBB115_125
; %bb.119:
	ds_write2_b64 v255, v[177:178], v[179:180] offset1:1
	ds_write2_b64 v253, v[173:174], v[175:176] offset0:28 offset1:29
	ds_write2_b64 v253, v[169:170], v[171:172] offset0:30 offset1:31
	;; [unrolled: 1-line block ×44, first 2 shown]
	ds_read2_b64 v[213:216], v255 offset1:1
	s_waitcnt lgkmcnt(0)
	v_cmp_neq_f64_e32 vcc_lo, 0, v[213:214]
	v_cmp_neq_f64_e64 s1, 0, v[215:216]
	s_or_b32 s1, vcc_lo, s1
	s_and_b32 exec_lo, exec_lo, s1
	s_cbranch_execz .LBB115_125
; %bb.120:
	v_cmp_ngt_f64_e64 s1, |v[213:214]|, |v[215:216]|
                                        ; implicit-def: $vgpr217_vgpr218
	s_and_saveexec_b32 s3, s1
	s_xor_b32 s1, exec_lo, s3
                                        ; implicit-def: $vgpr219_vgpr220
	s_cbranch_execz .LBB115_122
; %bb.121:
	v_div_scale_f64 v[217:218], null, v[215:216], v[215:216], v[213:214]
	v_div_scale_f64 v[223:224], vcc_lo, v[213:214], v[215:216], v[213:214]
	v_rcp_f64_e32 v[219:220], v[217:218]
	v_fma_f64 v[221:222], -v[217:218], v[219:220], 1.0
	v_fma_f64 v[219:220], v[219:220], v[221:222], v[219:220]
	v_fma_f64 v[221:222], -v[217:218], v[219:220], 1.0
	v_fma_f64 v[219:220], v[219:220], v[221:222], v[219:220]
	v_mul_f64 v[221:222], v[223:224], v[219:220]
	v_fma_f64 v[217:218], -v[217:218], v[221:222], v[223:224]
	v_div_fmas_f64 v[217:218], v[217:218], v[219:220], v[221:222]
	v_div_fixup_f64 v[217:218], v[217:218], v[215:216], v[213:214]
	v_fma_f64 v[213:214], v[213:214], v[217:218], v[215:216]
	v_div_scale_f64 v[215:216], null, v[213:214], v[213:214], 1.0
	v_rcp_f64_e32 v[219:220], v[215:216]
	v_fma_f64 v[221:222], -v[215:216], v[219:220], 1.0
	v_fma_f64 v[219:220], v[219:220], v[221:222], v[219:220]
	v_fma_f64 v[221:222], -v[215:216], v[219:220], 1.0
	v_fma_f64 v[219:220], v[219:220], v[221:222], v[219:220]
	v_div_scale_f64 v[221:222], vcc_lo, 1.0, v[213:214], 1.0
	v_mul_f64 v[223:224], v[221:222], v[219:220]
	v_fma_f64 v[215:216], -v[215:216], v[223:224], v[221:222]
	v_div_fmas_f64 v[215:216], v[215:216], v[219:220], v[223:224]
	v_div_fixup_f64 v[219:220], v[215:216], v[213:214], 1.0
                                        ; implicit-def: $vgpr213_vgpr214
	v_mul_f64 v[217:218], v[217:218], v[219:220]
	v_xor_b32_e32 v220, 0x80000000, v220
.LBB115_122:
	s_andn2_saveexec_b32 s1, s1
	s_cbranch_execz .LBB115_124
; %bb.123:
	v_div_scale_f64 v[217:218], null, v[213:214], v[213:214], v[215:216]
	v_div_scale_f64 v[223:224], vcc_lo, v[215:216], v[213:214], v[215:216]
	v_rcp_f64_e32 v[219:220], v[217:218]
	v_fma_f64 v[221:222], -v[217:218], v[219:220], 1.0
	v_fma_f64 v[219:220], v[219:220], v[221:222], v[219:220]
	v_fma_f64 v[221:222], -v[217:218], v[219:220], 1.0
	v_fma_f64 v[219:220], v[219:220], v[221:222], v[219:220]
	v_mul_f64 v[221:222], v[223:224], v[219:220]
	v_fma_f64 v[217:218], -v[217:218], v[221:222], v[223:224]
	v_div_fmas_f64 v[217:218], v[217:218], v[219:220], v[221:222]
	v_div_fixup_f64 v[219:220], v[217:218], v[213:214], v[215:216]
	v_fma_f64 v[213:214], v[215:216], v[219:220], v[213:214]
	v_div_scale_f64 v[215:216], null, v[213:214], v[213:214], 1.0
	v_rcp_f64_e32 v[217:218], v[215:216]
	v_fma_f64 v[221:222], -v[215:216], v[217:218], 1.0
	v_fma_f64 v[217:218], v[217:218], v[221:222], v[217:218]
	v_fma_f64 v[221:222], -v[215:216], v[217:218], 1.0
	v_fma_f64 v[217:218], v[217:218], v[221:222], v[217:218]
	v_div_scale_f64 v[221:222], vcc_lo, 1.0, v[213:214], 1.0
	v_mul_f64 v[223:224], v[221:222], v[217:218]
	v_fma_f64 v[215:216], -v[215:216], v[223:224], v[221:222]
	v_div_fmas_f64 v[215:216], v[215:216], v[217:218], v[223:224]
	v_div_fixup_f64 v[217:218], v[215:216], v[213:214], 1.0
	v_mul_f64 v[219:220], v[219:220], -v[217:218]
.LBB115_124:
	s_or_b32 exec_lo, exec_lo, s1
	ds_write2_b64 v255, v[217:218], v[219:220] offset1:1
.LBB115_125:
	s_or_b32 exec_lo, exec_lo, s2
	s_waitcnt lgkmcnt(0)
	s_barrier
	buffer_gl0_inv
	ds_read2_b64 v[193:196], v255 offset1:1
	s_mov_b32 s1, exec_lo
	s_waitcnt lgkmcnt(0)
	buffer_store_dword v193, off, s[16:19], 0 offset:696 ; 4-byte Folded Spill
	buffer_store_dword v194, off, s[16:19], 0 offset:700 ; 4-byte Folded Spill
	;; [unrolled: 1-line block ×4, first 2 shown]
	v_cmpx_lt_u32_e32 13, v0
	s_cbranch_execz .LBB115_127
; %bb.126:
	s_clause 0x3
	buffer_load_dword v193, off, s[16:19], 0 offset:696
	buffer_load_dword v194, off, s[16:19], 0 offset:700
	;; [unrolled: 1-line block ×4, first 2 shown]
	ds_read2_b64 v[215:218], v253 offset0:28 offset1:29
	s_waitcnt vmcnt(0)
	v_mul_f64 v[213:214], v[195:196], v[179:180]
	v_mul_f64 v[179:180], v[193:194], v[179:180]
	v_fma_f64 v[213:214], v[193:194], v[177:178], -v[213:214]
	v_fma_f64 v[179:180], v[195:196], v[177:178], v[179:180]
	s_waitcnt lgkmcnt(0)
	v_mul_f64 v[177:178], v[217:218], v[179:180]
	v_fma_f64 v[177:178], v[215:216], v[213:214], -v[177:178]
	v_mul_f64 v[215:216], v[215:216], v[179:180]
	v_add_f64 v[173:174], v[173:174], -v[177:178]
	v_fma_f64 v[215:216], v[217:218], v[213:214], v[215:216]
	v_add_f64 v[175:176], v[175:176], -v[215:216]
	ds_read2_b64 v[215:218], v253 offset0:30 offset1:31
	s_waitcnt lgkmcnt(0)
	v_mul_f64 v[177:178], v[217:218], v[179:180]
	v_fma_f64 v[177:178], v[215:216], v[213:214], -v[177:178]
	v_mul_f64 v[215:216], v[215:216], v[179:180]
	v_add_f64 v[169:170], v[169:170], -v[177:178]
	v_fma_f64 v[215:216], v[217:218], v[213:214], v[215:216]
	v_add_f64 v[171:172], v[171:172], -v[215:216]
	ds_read2_b64 v[215:218], v253 offset0:32 offset1:33
	;; [unrolled: 8-line block ×43, first 2 shown]
	s_waitcnt lgkmcnt(0)
	v_mul_f64 v[177:178], v[217:218], v[179:180]
	v_fma_f64 v[177:178], v[215:216], v[213:214], -v[177:178]
	v_mul_f64 v[215:216], v[215:216], v[179:180]
	v_add_f64 v[1:2], v[1:2], -v[177:178]
	v_fma_f64 v[215:216], v[217:218], v[213:214], v[215:216]
	v_mov_b32_e32 v177, v213
	v_mov_b32_e32 v178, v214
	v_add_f64 v[3:4], v[3:4], -v[215:216]
.LBB115_127:
	s_or_b32 exec_lo, exec_lo, s1
	s_mov_b32 s2, exec_lo
	s_waitcnt_vscnt null, 0x0
	s_barrier
	buffer_gl0_inv
	v_cmpx_eq_u32_e32 14, v0
	s_cbranch_execz .LBB115_134
; %bb.128:
	ds_write2_b64 v255, v[173:174], v[175:176] offset1:1
	ds_write2_b64 v253, v[169:170], v[171:172] offset0:30 offset1:31
	ds_write2_b64 v253, v[165:166], v[167:168] offset0:32 offset1:33
	;; [unrolled: 1-line block ×43, first 2 shown]
	ds_read2_b64 v[213:216], v255 offset1:1
	s_waitcnt lgkmcnt(0)
	v_cmp_neq_f64_e32 vcc_lo, 0, v[213:214]
	v_cmp_neq_f64_e64 s1, 0, v[215:216]
	s_or_b32 s1, vcc_lo, s1
	s_and_b32 exec_lo, exec_lo, s1
	s_cbranch_execz .LBB115_134
; %bb.129:
	v_cmp_ngt_f64_e64 s1, |v[213:214]|, |v[215:216]|
                                        ; implicit-def: $vgpr217_vgpr218
	s_and_saveexec_b32 s3, s1
	s_xor_b32 s1, exec_lo, s3
                                        ; implicit-def: $vgpr219_vgpr220
	s_cbranch_execz .LBB115_131
; %bb.130:
	v_div_scale_f64 v[217:218], null, v[215:216], v[215:216], v[213:214]
	v_div_scale_f64 v[223:224], vcc_lo, v[213:214], v[215:216], v[213:214]
	v_rcp_f64_e32 v[219:220], v[217:218]
	v_fma_f64 v[221:222], -v[217:218], v[219:220], 1.0
	v_fma_f64 v[219:220], v[219:220], v[221:222], v[219:220]
	v_fma_f64 v[221:222], -v[217:218], v[219:220], 1.0
	v_fma_f64 v[219:220], v[219:220], v[221:222], v[219:220]
	v_mul_f64 v[221:222], v[223:224], v[219:220]
	v_fma_f64 v[217:218], -v[217:218], v[221:222], v[223:224]
	v_div_fmas_f64 v[217:218], v[217:218], v[219:220], v[221:222]
	v_div_fixup_f64 v[217:218], v[217:218], v[215:216], v[213:214]
	v_fma_f64 v[213:214], v[213:214], v[217:218], v[215:216]
	v_div_scale_f64 v[215:216], null, v[213:214], v[213:214], 1.0
	v_rcp_f64_e32 v[219:220], v[215:216]
	v_fma_f64 v[221:222], -v[215:216], v[219:220], 1.0
	v_fma_f64 v[219:220], v[219:220], v[221:222], v[219:220]
	v_fma_f64 v[221:222], -v[215:216], v[219:220], 1.0
	v_fma_f64 v[219:220], v[219:220], v[221:222], v[219:220]
	v_div_scale_f64 v[221:222], vcc_lo, 1.0, v[213:214], 1.0
	v_mul_f64 v[223:224], v[221:222], v[219:220]
	v_fma_f64 v[215:216], -v[215:216], v[223:224], v[221:222]
	v_div_fmas_f64 v[215:216], v[215:216], v[219:220], v[223:224]
	v_div_fixup_f64 v[219:220], v[215:216], v[213:214], 1.0
                                        ; implicit-def: $vgpr213_vgpr214
	v_mul_f64 v[217:218], v[217:218], v[219:220]
	v_xor_b32_e32 v220, 0x80000000, v220
.LBB115_131:
	s_andn2_saveexec_b32 s1, s1
	s_cbranch_execz .LBB115_133
; %bb.132:
	v_div_scale_f64 v[217:218], null, v[213:214], v[213:214], v[215:216]
	v_div_scale_f64 v[223:224], vcc_lo, v[215:216], v[213:214], v[215:216]
	v_rcp_f64_e32 v[219:220], v[217:218]
	v_fma_f64 v[221:222], -v[217:218], v[219:220], 1.0
	v_fma_f64 v[219:220], v[219:220], v[221:222], v[219:220]
	v_fma_f64 v[221:222], -v[217:218], v[219:220], 1.0
	v_fma_f64 v[219:220], v[219:220], v[221:222], v[219:220]
	v_mul_f64 v[221:222], v[223:224], v[219:220]
	v_fma_f64 v[217:218], -v[217:218], v[221:222], v[223:224]
	v_div_fmas_f64 v[217:218], v[217:218], v[219:220], v[221:222]
	v_div_fixup_f64 v[219:220], v[217:218], v[213:214], v[215:216]
	v_fma_f64 v[213:214], v[215:216], v[219:220], v[213:214]
	v_div_scale_f64 v[215:216], null, v[213:214], v[213:214], 1.0
	v_rcp_f64_e32 v[217:218], v[215:216]
	v_fma_f64 v[221:222], -v[215:216], v[217:218], 1.0
	v_fma_f64 v[217:218], v[217:218], v[221:222], v[217:218]
	v_fma_f64 v[221:222], -v[215:216], v[217:218], 1.0
	v_fma_f64 v[217:218], v[217:218], v[221:222], v[217:218]
	v_div_scale_f64 v[221:222], vcc_lo, 1.0, v[213:214], 1.0
	v_mul_f64 v[223:224], v[221:222], v[217:218]
	v_fma_f64 v[215:216], -v[215:216], v[223:224], v[221:222]
	v_div_fmas_f64 v[215:216], v[215:216], v[217:218], v[223:224]
	v_div_fixup_f64 v[217:218], v[215:216], v[213:214], 1.0
	v_mul_f64 v[219:220], v[219:220], -v[217:218]
.LBB115_133:
	s_or_b32 exec_lo, exec_lo, s1
	ds_write2_b64 v255, v[217:218], v[219:220] offset1:1
.LBB115_134:
	s_or_b32 exec_lo, exec_lo, s2
	s_waitcnt lgkmcnt(0)
	s_barrier
	buffer_gl0_inv
	ds_read2_b64 v[193:196], v255 offset1:1
	s_mov_b32 s1, exec_lo
	s_waitcnt lgkmcnt(0)
	buffer_store_dword v193, off, s[16:19], 0 offset:712 ; 4-byte Folded Spill
	buffer_store_dword v194, off, s[16:19], 0 offset:716 ; 4-byte Folded Spill
	;; [unrolled: 1-line block ×4, first 2 shown]
	v_cmpx_lt_u32_e32 14, v0
	s_cbranch_execz .LBB115_136
; %bb.135:
	s_clause 0x3
	buffer_load_dword v193, off, s[16:19], 0 offset:712
	buffer_load_dword v194, off, s[16:19], 0 offset:716
	;; [unrolled: 1-line block ×4, first 2 shown]
	ds_read2_b64 v[215:218], v253 offset0:30 offset1:31
	s_waitcnt vmcnt(0)
	v_mul_f64 v[213:214], v[195:196], v[175:176]
	v_mul_f64 v[175:176], v[193:194], v[175:176]
	v_fma_f64 v[213:214], v[193:194], v[173:174], -v[213:214]
	v_fma_f64 v[175:176], v[195:196], v[173:174], v[175:176]
	s_waitcnt lgkmcnt(0)
	v_mul_f64 v[173:174], v[217:218], v[175:176]
	v_fma_f64 v[173:174], v[215:216], v[213:214], -v[173:174]
	v_mul_f64 v[215:216], v[215:216], v[175:176]
	v_add_f64 v[169:170], v[169:170], -v[173:174]
	v_fma_f64 v[215:216], v[217:218], v[213:214], v[215:216]
	v_add_f64 v[171:172], v[171:172], -v[215:216]
	ds_read2_b64 v[215:218], v253 offset0:32 offset1:33
	s_waitcnt lgkmcnt(0)
	v_mul_f64 v[173:174], v[217:218], v[175:176]
	v_fma_f64 v[173:174], v[215:216], v[213:214], -v[173:174]
	v_mul_f64 v[215:216], v[215:216], v[175:176]
	v_add_f64 v[165:166], v[165:166], -v[173:174]
	v_fma_f64 v[215:216], v[217:218], v[213:214], v[215:216]
	v_add_f64 v[167:168], v[167:168], -v[215:216]
	ds_read2_b64 v[215:218], v253 offset0:34 offset1:35
	;; [unrolled: 8-line block ×42, first 2 shown]
	s_waitcnt lgkmcnt(0)
	v_mul_f64 v[173:174], v[217:218], v[175:176]
	v_fma_f64 v[173:174], v[215:216], v[213:214], -v[173:174]
	v_mul_f64 v[215:216], v[215:216], v[175:176]
	v_add_f64 v[1:2], v[1:2], -v[173:174]
	v_fma_f64 v[215:216], v[217:218], v[213:214], v[215:216]
	v_mov_b32_e32 v173, v213
	v_mov_b32_e32 v174, v214
	v_add_f64 v[3:4], v[3:4], -v[215:216]
.LBB115_136:
	s_or_b32 exec_lo, exec_lo, s1
	s_mov_b32 s2, exec_lo
	s_waitcnt_vscnt null, 0x0
	s_barrier
	buffer_gl0_inv
	v_cmpx_eq_u32_e32 15, v0
	s_cbranch_execz .LBB115_143
; %bb.137:
	ds_write2_b64 v255, v[169:170], v[171:172] offset1:1
	ds_write2_b64 v253, v[165:166], v[167:168] offset0:32 offset1:33
	ds_write2_b64 v253, v[161:162], v[163:164] offset0:34 offset1:35
	ds_write2_b64 v253, v[157:158], v[159:160] offset0:36 offset1:37
	ds_write2_b64 v253, v[153:154], v[155:156] offset0:38 offset1:39
	ds_write2_b64 v253, v[149:150], v[151:152] offset0:40 offset1:41
	ds_write2_b64 v253, v[145:146], v[147:148] offset0:42 offset1:43
	ds_write2_b64 v253, v[141:142], v[143:144] offset0:44 offset1:45
	ds_write2_b64 v253, v[137:138], v[139:140] offset0:46 offset1:47
	ds_write2_b64 v253, v[133:134], v[135:136] offset0:48 offset1:49
	ds_write2_b64 v253, v[129:130], v[131:132] offset0:50 offset1:51
	ds_write2_b64 v253, v[125:126], v[127:128] offset0:52 offset1:53
	ds_write2_b64 v253, v[121:122], v[123:124] offset0:54 offset1:55
	ds_write2_b64 v253, v[117:118], v[119:120] offset0:56 offset1:57
	ds_write2_b64 v253, v[113:114], v[115:116] offset0:58 offset1:59
	ds_write2_b64 v253, v[109:110], v[111:112] offset0:60 offset1:61
	ds_write2_b64 v253, v[105:106], v[107:108] offset0:62 offset1:63
	ds_write2_b64 v253, v[101:102], v[103:104] offset0:64 offset1:65
	ds_write2_b64 v253, v[97:98], v[99:100] offset0:66 offset1:67
	ds_write2_b64 v253, v[93:94], v[95:96] offset0:68 offset1:69
	ds_write2_b64 v253, v[89:90], v[91:92] offset0:70 offset1:71
	ds_write2_b64 v253, v[85:86], v[87:88] offset0:72 offset1:73
	ds_write2_b64 v253, v[81:82], v[83:84] offset0:74 offset1:75
	ds_write2_b64 v253, v[77:78], v[79:80] offset0:76 offset1:77
	ds_write2_b64 v253, v[73:74], v[75:76] offset0:78 offset1:79
	ds_write2_b64 v253, v[69:70], v[71:72] offset0:80 offset1:81
	ds_write2_b64 v253, v[65:66], v[67:68] offset0:82 offset1:83
	ds_write2_b64 v253, v[61:62], v[63:64] offset0:84 offset1:85
	ds_write2_b64 v253, v[57:58], v[59:60] offset0:86 offset1:87
	ds_write2_b64 v253, v[53:54], v[55:56] offset0:88 offset1:89
	ds_write2_b64 v253, v[49:50], v[51:52] offset0:90 offset1:91
	ds_write2_b64 v253, v[45:46], v[47:48] offset0:92 offset1:93
	ds_write2_b64 v253, v[41:42], v[43:44] offset0:94 offset1:95
	ds_write2_b64 v253, v[37:38], v[39:40] offset0:96 offset1:97
	ds_write2_b64 v253, v[33:34], v[35:36] offset0:98 offset1:99
	ds_write2_b64 v253, v[29:30], v[31:32] offset0:100 offset1:101
	ds_write2_b64 v253, v[25:26], v[27:28] offset0:102 offset1:103
	ds_write2_b64 v253, v[21:22], v[23:24] offset0:104 offset1:105
	ds_write2_b64 v253, v[17:18], v[19:20] offset0:106 offset1:107
	ds_write2_b64 v253, v[13:14], v[15:16] offset0:108 offset1:109
	ds_write2_b64 v253, v[9:10], v[11:12] offset0:110 offset1:111
	ds_write2_b64 v253, v[5:6], v[7:8] offset0:112 offset1:113
	ds_write2_b64 v253, v[1:2], v[3:4] offset0:114 offset1:115
	ds_read2_b64 v[213:216], v255 offset1:1
	s_waitcnt lgkmcnt(0)
	v_cmp_neq_f64_e32 vcc_lo, 0, v[213:214]
	v_cmp_neq_f64_e64 s1, 0, v[215:216]
	s_or_b32 s1, vcc_lo, s1
	s_and_b32 exec_lo, exec_lo, s1
	s_cbranch_execz .LBB115_143
; %bb.138:
	v_cmp_ngt_f64_e64 s1, |v[213:214]|, |v[215:216]|
                                        ; implicit-def: $vgpr217_vgpr218
	s_and_saveexec_b32 s3, s1
	s_xor_b32 s1, exec_lo, s3
                                        ; implicit-def: $vgpr219_vgpr220
	s_cbranch_execz .LBB115_140
; %bb.139:
	v_div_scale_f64 v[217:218], null, v[215:216], v[215:216], v[213:214]
	v_div_scale_f64 v[223:224], vcc_lo, v[213:214], v[215:216], v[213:214]
	v_rcp_f64_e32 v[219:220], v[217:218]
	v_fma_f64 v[221:222], -v[217:218], v[219:220], 1.0
	v_fma_f64 v[219:220], v[219:220], v[221:222], v[219:220]
	v_fma_f64 v[221:222], -v[217:218], v[219:220], 1.0
	v_fma_f64 v[219:220], v[219:220], v[221:222], v[219:220]
	v_mul_f64 v[221:222], v[223:224], v[219:220]
	v_fma_f64 v[217:218], -v[217:218], v[221:222], v[223:224]
	v_div_fmas_f64 v[217:218], v[217:218], v[219:220], v[221:222]
	v_div_fixup_f64 v[217:218], v[217:218], v[215:216], v[213:214]
	v_fma_f64 v[213:214], v[213:214], v[217:218], v[215:216]
	v_div_scale_f64 v[215:216], null, v[213:214], v[213:214], 1.0
	v_rcp_f64_e32 v[219:220], v[215:216]
	v_fma_f64 v[221:222], -v[215:216], v[219:220], 1.0
	v_fma_f64 v[219:220], v[219:220], v[221:222], v[219:220]
	v_fma_f64 v[221:222], -v[215:216], v[219:220], 1.0
	v_fma_f64 v[219:220], v[219:220], v[221:222], v[219:220]
	v_div_scale_f64 v[221:222], vcc_lo, 1.0, v[213:214], 1.0
	v_mul_f64 v[223:224], v[221:222], v[219:220]
	v_fma_f64 v[215:216], -v[215:216], v[223:224], v[221:222]
	v_div_fmas_f64 v[215:216], v[215:216], v[219:220], v[223:224]
	v_div_fixup_f64 v[219:220], v[215:216], v[213:214], 1.0
                                        ; implicit-def: $vgpr213_vgpr214
	v_mul_f64 v[217:218], v[217:218], v[219:220]
	v_xor_b32_e32 v220, 0x80000000, v220
.LBB115_140:
	s_andn2_saveexec_b32 s1, s1
	s_cbranch_execz .LBB115_142
; %bb.141:
	v_div_scale_f64 v[217:218], null, v[213:214], v[213:214], v[215:216]
	v_div_scale_f64 v[223:224], vcc_lo, v[215:216], v[213:214], v[215:216]
	v_rcp_f64_e32 v[219:220], v[217:218]
	v_fma_f64 v[221:222], -v[217:218], v[219:220], 1.0
	v_fma_f64 v[219:220], v[219:220], v[221:222], v[219:220]
	v_fma_f64 v[221:222], -v[217:218], v[219:220], 1.0
	v_fma_f64 v[219:220], v[219:220], v[221:222], v[219:220]
	v_mul_f64 v[221:222], v[223:224], v[219:220]
	v_fma_f64 v[217:218], -v[217:218], v[221:222], v[223:224]
	v_div_fmas_f64 v[217:218], v[217:218], v[219:220], v[221:222]
	v_div_fixup_f64 v[219:220], v[217:218], v[213:214], v[215:216]
	v_fma_f64 v[213:214], v[215:216], v[219:220], v[213:214]
	v_div_scale_f64 v[215:216], null, v[213:214], v[213:214], 1.0
	v_rcp_f64_e32 v[217:218], v[215:216]
	v_fma_f64 v[221:222], -v[215:216], v[217:218], 1.0
	v_fma_f64 v[217:218], v[217:218], v[221:222], v[217:218]
	v_fma_f64 v[221:222], -v[215:216], v[217:218], 1.0
	v_fma_f64 v[217:218], v[217:218], v[221:222], v[217:218]
	v_div_scale_f64 v[221:222], vcc_lo, 1.0, v[213:214], 1.0
	v_mul_f64 v[223:224], v[221:222], v[217:218]
	v_fma_f64 v[215:216], -v[215:216], v[223:224], v[221:222]
	v_div_fmas_f64 v[215:216], v[215:216], v[217:218], v[223:224]
	v_div_fixup_f64 v[217:218], v[215:216], v[213:214], 1.0
	v_mul_f64 v[219:220], v[219:220], -v[217:218]
.LBB115_142:
	s_or_b32 exec_lo, exec_lo, s1
	ds_write2_b64 v255, v[217:218], v[219:220] offset1:1
.LBB115_143:
	s_or_b32 exec_lo, exec_lo, s2
	s_waitcnt lgkmcnt(0)
	s_barrier
	buffer_gl0_inv
	ds_read2_b64 v[193:196], v255 offset1:1
	s_mov_b32 s1, exec_lo
	s_waitcnt lgkmcnt(0)
	buffer_store_dword v193, off, s[16:19], 0 offset:728 ; 4-byte Folded Spill
	buffer_store_dword v194, off, s[16:19], 0 offset:732 ; 4-byte Folded Spill
	;; [unrolled: 1-line block ×4, first 2 shown]
	v_cmpx_lt_u32_e32 15, v0
	s_cbranch_execz .LBB115_145
; %bb.144:
	s_clause 0x3
	buffer_load_dword v193, off, s[16:19], 0 offset:728
	buffer_load_dword v194, off, s[16:19], 0 offset:732
	;; [unrolled: 1-line block ×4, first 2 shown]
	ds_read2_b64 v[215:218], v253 offset0:32 offset1:33
	s_waitcnt vmcnt(0)
	v_mul_f64 v[213:214], v[195:196], v[171:172]
	v_mul_f64 v[171:172], v[193:194], v[171:172]
	v_fma_f64 v[213:214], v[193:194], v[169:170], -v[213:214]
	v_fma_f64 v[171:172], v[195:196], v[169:170], v[171:172]
	s_waitcnt lgkmcnt(0)
	v_mul_f64 v[169:170], v[217:218], v[171:172]
	v_fma_f64 v[169:170], v[215:216], v[213:214], -v[169:170]
	v_mul_f64 v[215:216], v[215:216], v[171:172]
	v_add_f64 v[165:166], v[165:166], -v[169:170]
	v_fma_f64 v[215:216], v[217:218], v[213:214], v[215:216]
	v_add_f64 v[167:168], v[167:168], -v[215:216]
	ds_read2_b64 v[215:218], v253 offset0:34 offset1:35
	s_waitcnt lgkmcnt(0)
	v_mul_f64 v[169:170], v[217:218], v[171:172]
	v_fma_f64 v[169:170], v[215:216], v[213:214], -v[169:170]
	v_mul_f64 v[215:216], v[215:216], v[171:172]
	v_add_f64 v[161:162], v[161:162], -v[169:170]
	v_fma_f64 v[215:216], v[217:218], v[213:214], v[215:216]
	v_add_f64 v[163:164], v[163:164], -v[215:216]
	ds_read2_b64 v[215:218], v253 offset0:36 offset1:37
	;; [unrolled: 8-line block ×41, first 2 shown]
	s_waitcnt lgkmcnt(0)
	v_mul_f64 v[169:170], v[217:218], v[171:172]
	v_fma_f64 v[169:170], v[215:216], v[213:214], -v[169:170]
	v_mul_f64 v[215:216], v[215:216], v[171:172]
	v_add_f64 v[1:2], v[1:2], -v[169:170]
	v_fma_f64 v[215:216], v[217:218], v[213:214], v[215:216]
	v_mov_b32_e32 v169, v213
	v_mov_b32_e32 v170, v214
	v_add_f64 v[3:4], v[3:4], -v[215:216]
.LBB115_145:
	s_or_b32 exec_lo, exec_lo, s1
	s_mov_b32 s2, exec_lo
	s_waitcnt_vscnt null, 0x0
	s_barrier
	buffer_gl0_inv
	v_cmpx_eq_u32_e32 16, v0
	s_cbranch_execz .LBB115_152
; %bb.146:
	ds_write2_b64 v255, v[165:166], v[167:168] offset1:1
	ds_write2_b64 v253, v[161:162], v[163:164] offset0:34 offset1:35
	ds_write2_b64 v253, v[157:158], v[159:160] offset0:36 offset1:37
	;; [unrolled: 1-line block ×41, first 2 shown]
	ds_read2_b64 v[213:216], v255 offset1:1
	s_waitcnt lgkmcnt(0)
	v_cmp_neq_f64_e32 vcc_lo, 0, v[213:214]
	v_cmp_neq_f64_e64 s1, 0, v[215:216]
	s_or_b32 s1, vcc_lo, s1
	s_and_b32 exec_lo, exec_lo, s1
	s_cbranch_execz .LBB115_152
; %bb.147:
	v_cmp_ngt_f64_e64 s1, |v[213:214]|, |v[215:216]|
                                        ; implicit-def: $vgpr217_vgpr218
	s_and_saveexec_b32 s3, s1
	s_xor_b32 s1, exec_lo, s3
                                        ; implicit-def: $vgpr219_vgpr220
	s_cbranch_execz .LBB115_149
; %bb.148:
	v_div_scale_f64 v[217:218], null, v[215:216], v[215:216], v[213:214]
	v_div_scale_f64 v[223:224], vcc_lo, v[213:214], v[215:216], v[213:214]
	v_rcp_f64_e32 v[219:220], v[217:218]
	v_fma_f64 v[221:222], -v[217:218], v[219:220], 1.0
	v_fma_f64 v[219:220], v[219:220], v[221:222], v[219:220]
	v_fma_f64 v[221:222], -v[217:218], v[219:220], 1.0
	v_fma_f64 v[219:220], v[219:220], v[221:222], v[219:220]
	v_mul_f64 v[221:222], v[223:224], v[219:220]
	v_fma_f64 v[217:218], -v[217:218], v[221:222], v[223:224]
	v_div_fmas_f64 v[217:218], v[217:218], v[219:220], v[221:222]
	v_div_fixup_f64 v[217:218], v[217:218], v[215:216], v[213:214]
	v_fma_f64 v[213:214], v[213:214], v[217:218], v[215:216]
	v_div_scale_f64 v[215:216], null, v[213:214], v[213:214], 1.0
	v_rcp_f64_e32 v[219:220], v[215:216]
	v_fma_f64 v[221:222], -v[215:216], v[219:220], 1.0
	v_fma_f64 v[219:220], v[219:220], v[221:222], v[219:220]
	v_fma_f64 v[221:222], -v[215:216], v[219:220], 1.0
	v_fma_f64 v[219:220], v[219:220], v[221:222], v[219:220]
	v_div_scale_f64 v[221:222], vcc_lo, 1.0, v[213:214], 1.0
	v_mul_f64 v[223:224], v[221:222], v[219:220]
	v_fma_f64 v[215:216], -v[215:216], v[223:224], v[221:222]
	v_div_fmas_f64 v[215:216], v[215:216], v[219:220], v[223:224]
	v_div_fixup_f64 v[219:220], v[215:216], v[213:214], 1.0
                                        ; implicit-def: $vgpr213_vgpr214
	v_mul_f64 v[217:218], v[217:218], v[219:220]
	v_xor_b32_e32 v220, 0x80000000, v220
.LBB115_149:
	s_andn2_saveexec_b32 s1, s1
	s_cbranch_execz .LBB115_151
; %bb.150:
	v_div_scale_f64 v[217:218], null, v[213:214], v[213:214], v[215:216]
	v_div_scale_f64 v[223:224], vcc_lo, v[215:216], v[213:214], v[215:216]
	v_rcp_f64_e32 v[219:220], v[217:218]
	v_fma_f64 v[221:222], -v[217:218], v[219:220], 1.0
	v_fma_f64 v[219:220], v[219:220], v[221:222], v[219:220]
	v_fma_f64 v[221:222], -v[217:218], v[219:220], 1.0
	v_fma_f64 v[219:220], v[219:220], v[221:222], v[219:220]
	v_mul_f64 v[221:222], v[223:224], v[219:220]
	v_fma_f64 v[217:218], -v[217:218], v[221:222], v[223:224]
	v_div_fmas_f64 v[217:218], v[217:218], v[219:220], v[221:222]
	v_div_fixup_f64 v[219:220], v[217:218], v[213:214], v[215:216]
	v_fma_f64 v[213:214], v[215:216], v[219:220], v[213:214]
	v_div_scale_f64 v[215:216], null, v[213:214], v[213:214], 1.0
	v_rcp_f64_e32 v[217:218], v[215:216]
	v_fma_f64 v[221:222], -v[215:216], v[217:218], 1.0
	v_fma_f64 v[217:218], v[217:218], v[221:222], v[217:218]
	v_fma_f64 v[221:222], -v[215:216], v[217:218], 1.0
	v_fma_f64 v[217:218], v[217:218], v[221:222], v[217:218]
	v_div_scale_f64 v[221:222], vcc_lo, 1.0, v[213:214], 1.0
	v_mul_f64 v[223:224], v[221:222], v[217:218]
	v_fma_f64 v[215:216], -v[215:216], v[223:224], v[221:222]
	v_div_fmas_f64 v[215:216], v[215:216], v[217:218], v[223:224]
	v_div_fixup_f64 v[217:218], v[215:216], v[213:214], 1.0
	v_mul_f64 v[219:220], v[219:220], -v[217:218]
.LBB115_151:
	s_or_b32 exec_lo, exec_lo, s1
	ds_write2_b64 v255, v[217:218], v[219:220] offset1:1
.LBB115_152:
	s_or_b32 exec_lo, exec_lo, s2
	s_waitcnt lgkmcnt(0)
	s_barrier
	buffer_gl0_inv
	ds_read2_b64 v[193:196], v255 offset1:1
	s_mov_b32 s1, exec_lo
	s_waitcnt lgkmcnt(0)
	buffer_store_dword v193, off, s[16:19], 0 offset:744 ; 4-byte Folded Spill
	buffer_store_dword v194, off, s[16:19], 0 offset:748 ; 4-byte Folded Spill
	;; [unrolled: 1-line block ×4, first 2 shown]
	v_cmpx_lt_u32_e32 16, v0
	s_cbranch_execz .LBB115_154
; %bb.153:
	s_clause 0x3
	buffer_load_dword v193, off, s[16:19], 0 offset:744
	buffer_load_dword v194, off, s[16:19], 0 offset:748
	;; [unrolled: 1-line block ×4, first 2 shown]
	ds_read2_b64 v[215:218], v253 offset0:34 offset1:35
	s_waitcnt vmcnt(0)
	v_mul_f64 v[213:214], v[195:196], v[167:168]
	v_mul_f64 v[167:168], v[193:194], v[167:168]
	v_fma_f64 v[213:214], v[193:194], v[165:166], -v[213:214]
	v_fma_f64 v[167:168], v[195:196], v[165:166], v[167:168]
	s_waitcnt lgkmcnt(0)
	v_mul_f64 v[165:166], v[217:218], v[167:168]
	v_fma_f64 v[165:166], v[215:216], v[213:214], -v[165:166]
	v_mul_f64 v[215:216], v[215:216], v[167:168]
	v_add_f64 v[161:162], v[161:162], -v[165:166]
	v_fma_f64 v[215:216], v[217:218], v[213:214], v[215:216]
	v_add_f64 v[163:164], v[163:164], -v[215:216]
	ds_read2_b64 v[215:218], v253 offset0:36 offset1:37
	s_waitcnt lgkmcnt(0)
	v_mul_f64 v[165:166], v[217:218], v[167:168]
	v_fma_f64 v[165:166], v[215:216], v[213:214], -v[165:166]
	v_mul_f64 v[215:216], v[215:216], v[167:168]
	v_add_f64 v[157:158], v[157:158], -v[165:166]
	v_fma_f64 v[215:216], v[217:218], v[213:214], v[215:216]
	v_add_f64 v[159:160], v[159:160], -v[215:216]
	ds_read2_b64 v[215:218], v253 offset0:38 offset1:39
	;; [unrolled: 8-line block ×40, first 2 shown]
	s_waitcnt lgkmcnt(0)
	v_mul_f64 v[165:166], v[217:218], v[167:168]
	v_fma_f64 v[165:166], v[215:216], v[213:214], -v[165:166]
	v_mul_f64 v[215:216], v[215:216], v[167:168]
	v_add_f64 v[1:2], v[1:2], -v[165:166]
	v_fma_f64 v[215:216], v[217:218], v[213:214], v[215:216]
	v_mov_b32_e32 v165, v213
	v_mov_b32_e32 v166, v214
	v_add_f64 v[3:4], v[3:4], -v[215:216]
.LBB115_154:
	s_or_b32 exec_lo, exec_lo, s1
	s_mov_b32 s2, exec_lo
	s_waitcnt_vscnt null, 0x0
	s_barrier
	buffer_gl0_inv
	v_cmpx_eq_u32_e32 17, v0
	s_cbranch_execz .LBB115_161
; %bb.155:
	ds_write2_b64 v255, v[161:162], v[163:164] offset1:1
	ds_write2_b64 v253, v[157:158], v[159:160] offset0:36 offset1:37
	ds_write2_b64 v253, v[153:154], v[155:156] offset0:38 offset1:39
	;; [unrolled: 1-line block ×40, first 2 shown]
	ds_read2_b64 v[213:216], v255 offset1:1
	s_waitcnt lgkmcnt(0)
	v_cmp_neq_f64_e32 vcc_lo, 0, v[213:214]
	v_cmp_neq_f64_e64 s1, 0, v[215:216]
	s_or_b32 s1, vcc_lo, s1
	s_and_b32 exec_lo, exec_lo, s1
	s_cbranch_execz .LBB115_161
; %bb.156:
	v_cmp_ngt_f64_e64 s1, |v[213:214]|, |v[215:216]|
                                        ; implicit-def: $vgpr217_vgpr218
	s_and_saveexec_b32 s3, s1
	s_xor_b32 s1, exec_lo, s3
                                        ; implicit-def: $vgpr219_vgpr220
	s_cbranch_execz .LBB115_158
; %bb.157:
	v_div_scale_f64 v[217:218], null, v[215:216], v[215:216], v[213:214]
	v_div_scale_f64 v[223:224], vcc_lo, v[213:214], v[215:216], v[213:214]
	v_rcp_f64_e32 v[219:220], v[217:218]
	v_fma_f64 v[221:222], -v[217:218], v[219:220], 1.0
	v_fma_f64 v[219:220], v[219:220], v[221:222], v[219:220]
	v_fma_f64 v[221:222], -v[217:218], v[219:220], 1.0
	v_fma_f64 v[219:220], v[219:220], v[221:222], v[219:220]
	v_mul_f64 v[221:222], v[223:224], v[219:220]
	v_fma_f64 v[217:218], -v[217:218], v[221:222], v[223:224]
	v_div_fmas_f64 v[217:218], v[217:218], v[219:220], v[221:222]
	v_div_fixup_f64 v[217:218], v[217:218], v[215:216], v[213:214]
	v_fma_f64 v[213:214], v[213:214], v[217:218], v[215:216]
	v_div_scale_f64 v[215:216], null, v[213:214], v[213:214], 1.0
	v_rcp_f64_e32 v[219:220], v[215:216]
	v_fma_f64 v[221:222], -v[215:216], v[219:220], 1.0
	v_fma_f64 v[219:220], v[219:220], v[221:222], v[219:220]
	v_fma_f64 v[221:222], -v[215:216], v[219:220], 1.0
	v_fma_f64 v[219:220], v[219:220], v[221:222], v[219:220]
	v_div_scale_f64 v[221:222], vcc_lo, 1.0, v[213:214], 1.0
	v_mul_f64 v[223:224], v[221:222], v[219:220]
	v_fma_f64 v[215:216], -v[215:216], v[223:224], v[221:222]
	v_div_fmas_f64 v[215:216], v[215:216], v[219:220], v[223:224]
	v_div_fixup_f64 v[219:220], v[215:216], v[213:214], 1.0
                                        ; implicit-def: $vgpr213_vgpr214
	v_mul_f64 v[217:218], v[217:218], v[219:220]
	v_xor_b32_e32 v220, 0x80000000, v220
.LBB115_158:
	s_andn2_saveexec_b32 s1, s1
	s_cbranch_execz .LBB115_160
; %bb.159:
	v_div_scale_f64 v[217:218], null, v[213:214], v[213:214], v[215:216]
	v_div_scale_f64 v[223:224], vcc_lo, v[215:216], v[213:214], v[215:216]
	v_rcp_f64_e32 v[219:220], v[217:218]
	v_fma_f64 v[221:222], -v[217:218], v[219:220], 1.0
	v_fma_f64 v[219:220], v[219:220], v[221:222], v[219:220]
	v_fma_f64 v[221:222], -v[217:218], v[219:220], 1.0
	v_fma_f64 v[219:220], v[219:220], v[221:222], v[219:220]
	v_mul_f64 v[221:222], v[223:224], v[219:220]
	v_fma_f64 v[217:218], -v[217:218], v[221:222], v[223:224]
	v_div_fmas_f64 v[217:218], v[217:218], v[219:220], v[221:222]
	v_div_fixup_f64 v[219:220], v[217:218], v[213:214], v[215:216]
	v_fma_f64 v[213:214], v[215:216], v[219:220], v[213:214]
	v_div_scale_f64 v[215:216], null, v[213:214], v[213:214], 1.0
	v_rcp_f64_e32 v[217:218], v[215:216]
	v_fma_f64 v[221:222], -v[215:216], v[217:218], 1.0
	v_fma_f64 v[217:218], v[217:218], v[221:222], v[217:218]
	v_fma_f64 v[221:222], -v[215:216], v[217:218], 1.0
	v_fma_f64 v[217:218], v[217:218], v[221:222], v[217:218]
	v_div_scale_f64 v[221:222], vcc_lo, 1.0, v[213:214], 1.0
	v_mul_f64 v[223:224], v[221:222], v[217:218]
	v_fma_f64 v[215:216], -v[215:216], v[223:224], v[221:222]
	v_div_fmas_f64 v[215:216], v[215:216], v[217:218], v[223:224]
	v_div_fixup_f64 v[217:218], v[215:216], v[213:214], 1.0
	v_mul_f64 v[219:220], v[219:220], -v[217:218]
.LBB115_160:
	s_or_b32 exec_lo, exec_lo, s1
	ds_write2_b64 v255, v[217:218], v[219:220] offset1:1
.LBB115_161:
	s_or_b32 exec_lo, exec_lo, s2
	s_waitcnt lgkmcnt(0)
	s_barrier
	buffer_gl0_inv
	ds_read2_b64 v[193:196], v255 offset1:1
	s_mov_b32 s1, exec_lo
	s_waitcnt lgkmcnt(0)
	buffer_store_dword v193, off, s[16:19], 0 offset:760 ; 4-byte Folded Spill
	buffer_store_dword v194, off, s[16:19], 0 offset:764 ; 4-byte Folded Spill
	;; [unrolled: 1-line block ×4, first 2 shown]
	v_cmpx_lt_u32_e32 17, v0
	s_cbranch_execz .LBB115_163
; %bb.162:
	s_clause 0x3
	buffer_load_dword v193, off, s[16:19], 0 offset:760
	buffer_load_dword v194, off, s[16:19], 0 offset:764
	;; [unrolled: 1-line block ×4, first 2 shown]
	ds_read2_b64 v[215:218], v253 offset0:36 offset1:37
	s_waitcnt vmcnt(0)
	v_mul_f64 v[213:214], v[195:196], v[163:164]
	v_mul_f64 v[163:164], v[193:194], v[163:164]
	v_fma_f64 v[213:214], v[193:194], v[161:162], -v[213:214]
	v_fma_f64 v[163:164], v[195:196], v[161:162], v[163:164]
	s_waitcnt lgkmcnt(0)
	v_mul_f64 v[161:162], v[217:218], v[163:164]
	v_fma_f64 v[161:162], v[215:216], v[213:214], -v[161:162]
	v_mul_f64 v[215:216], v[215:216], v[163:164]
	v_add_f64 v[157:158], v[157:158], -v[161:162]
	v_fma_f64 v[215:216], v[217:218], v[213:214], v[215:216]
	v_add_f64 v[159:160], v[159:160], -v[215:216]
	ds_read2_b64 v[215:218], v253 offset0:38 offset1:39
	s_waitcnt lgkmcnt(0)
	v_mul_f64 v[161:162], v[217:218], v[163:164]
	v_fma_f64 v[161:162], v[215:216], v[213:214], -v[161:162]
	v_mul_f64 v[215:216], v[215:216], v[163:164]
	v_add_f64 v[153:154], v[153:154], -v[161:162]
	v_fma_f64 v[215:216], v[217:218], v[213:214], v[215:216]
	v_add_f64 v[155:156], v[155:156], -v[215:216]
	ds_read2_b64 v[215:218], v253 offset0:40 offset1:41
	;; [unrolled: 8-line block ×39, first 2 shown]
	s_waitcnt lgkmcnt(0)
	v_mul_f64 v[161:162], v[217:218], v[163:164]
	v_fma_f64 v[161:162], v[215:216], v[213:214], -v[161:162]
	v_mul_f64 v[215:216], v[215:216], v[163:164]
	v_add_f64 v[1:2], v[1:2], -v[161:162]
	v_fma_f64 v[215:216], v[217:218], v[213:214], v[215:216]
	v_mov_b32_e32 v161, v213
	v_mov_b32_e32 v162, v214
	v_add_f64 v[3:4], v[3:4], -v[215:216]
.LBB115_163:
	s_or_b32 exec_lo, exec_lo, s1
	s_mov_b32 s2, exec_lo
	s_waitcnt_vscnt null, 0x0
	s_barrier
	buffer_gl0_inv
	v_cmpx_eq_u32_e32 18, v0
	s_cbranch_execz .LBB115_170
; %bb.164:
	ds_write2_b64 v255, v[157:158], v[159:160] offset1:1
	ds_write2_b64 v253, v[153:154], v[155:156] offset0:38 offset1:39
	ds_write2_b64 v253, v[149:150], v[151:152] offset0:40 offset1:41
	;; [unrolled: 1-line block ×39, first 2 shown]
	ds_read2_b64 v[213:216], v255 offset1:1
	s_waitcnt lgkmcnt(0)
	v_cmp_neq_f64_e32 vcc_lo, 0, v[213:214]
	v_cmp_neq_f64_e64 s1, 0, v[215:216]
	s_or_b32 s1, vcc_lo, s1
	s_and_b32 exec_lo, exec_lo, s1
	s_cbranch_execz .LBB115_170
; %bb.165:
	v_cmp_ngt_f64_e64 s1, |v[213:214]|, |v[215:216]|
                                        ; implicit-def: $vgpr217_vgpr218
	s_and_saveexec_b32 s3, s1
	s_xor_b32 s1, exec_lo, s3
                                        ; implicit-def: $vgpr219_vgpr220
	s_cbranch_execz .LBB115_167
; %bb.166:
	v_div_scale_f64 v[217:218], null, v[215:216], v[215:216], v[213:214]
	v_div_scale_f64 v[223:224], vcc_lo, v[213:214], v[215:216], v[213:214]
	v_rcp_f64_e32 v[219:220], v[217:218]
	v_fma_f64 v[221:222], -v[217:218], v[219:220], 1.0
	v_fma_f64 v[219:220], v[219:220], v[221:222], v[219:220]
	v_fma_f64 v[221:222], -v[217:218], v[219:220], 1.0
	v_fma_f64 v[219:220], v[219:220], v[221:222], v[219:220]
	v_mul_f64 v[221:222], v[223:224], v[219:220]
	v_fma_f64 v[217:218], -v[217:218], v[221:222], v[223:224]
	v_div_fmas_f64 v[217:218], v[217:218], v[219:220], v[221:222]
	v_div_fixup_f64 v[217:218], v[217:218], v[215:216], v[213:214]
	v_fma_f64 v[213:214], v[213:214], v[217:218], v[215:216]
	v_div_scale_f64 v[215:216], null, v[213:214], v[213:214], 1.0
	v_rcp_f64_e32 v[219:220], v[215:216]
	v_fma_f64 v[221:222], -v[215:216], v[219:220], 1.0
	v_fma_f64 v[219:220], v[219:220], v[221:222], v[219:220]
	v_fma_f64 v[221:222], -v[215:216], v[219:220], 1.0
	v_fma_f64 v[219:220], v[219:220], v[221:222], v[219:220]
	v_div_scale_f64 v[221:222], vcc_lo, 1.0, v[213:214], 1.0
	v_mul_f64 v[223:224], v[221:222], v[219:220]
	v_fma_f64 v[215:216], -v[215:216], v[223:224], v[221:222]
	v_div_fmas_f64 v[215:216], v[215:216], v[219:220], v[223:224]
	v_div_fixup_f64 v[219:220], v[215:216], v[213:214], 1.0
                                        ; implicit-def: $vgpr213_vgpr214
	v_mul_f64 v[217:218], v[217:218], v[219:220]
	v_xor_b32_e32 v220, 0x80000000, v220
.LBB115_167:
	s_andn2_saveexec_b32 s1, s1
	s_cbranch_execz .LBB115_169
; %bb.168:
	v_div_scale_f64 v[217:218], null, v[213:214], v[213:214], v[215:216]
	v_div_scale_f64 v[223:224], vcc_lo, v[215:216], v[213:214], v[215:216]
	v_rcp_f64_e32 v[219:220], v[217:218]
	v_fma_f64 v[221:222], -v[217:218], v[219:220], 1.0
	v_fma_f64 v[219:220], v[219:220], v[221:222], v[219:220]
	v_fma_f64 v[221:222], -v[217:218], v[219:220], 1.0
	v_fma_f64 v[219:220], v[219:220], v[221:222], v[219:220]
	v_mul_f64 v[221:222], v[223:224], v[219:220]
	v_fma_f64 v[217:218], -v[217:218], v[221:222], v[223:224]
	v_div_fmas_f64 v[217:218], v[217:218], v[219:220], v[221:222]
	v_div_fixup_f64 v[219:220], v[217:218], v[213:214], v[215:216]
	v_fma_f64 v[213:214], v[215:216], v[219:220], v[213:214]
	v_div_scale_f64 v[215:216], null, v[213:214], v[213:214], 1.0
	v_rcp_f64_e32 v[217:218], v[215:216]
	v_fma_f64 v[221:222], -v[215:216], v[217:218], 1.0
	v_fma_f64 v[217:218], v[217:218], v[221:222], v[217:218]
	v_fma_f64 v[221:222], -v[215:216], v[217:218], 1.0
	v_fma_f64 v[217:218], v[217:218], v[221:222], v[217:218]
	v_div_scale_f64 v[221:222], vcc_lo, 1.0, v[213:214], 1.0
	v_mul_f64 v[223:224], v[221:222], v[217:218]
	v_fma_f64 v[215:216], -v[215:216], v[223:224], v[221:222]
	v_div_fmas_f64 v[215:216], v[215:216], v[217:218], v[223:224]
	v_div_fixup_f64 v[217:218], v[215:216], v[213:214], 1.0
	v_mul_f64 v[219:220], v[219:220], -v[217:218]
.LBB115_169:
	s_or_b32 exec_lo, exec_lo, s1
	ds_write2_b64 v255, v[217:218], v[219:220] offset1:1
.LBB115_170:
	s_or_b32 exec_lo, exec_lo, s2
	s_waitcnt lgkmcnt(0)
	s_barrier
	buffer_gl0_inv
	ds_read2_b64 v[193:196], v255 offset1:1
	s_mov_b32 s1, exec_lo
	s_waitcnt lgkmcnt(0)
	buffer_store_dword v193, off, s[16:19], 0 offset:776 ; 4-byte Folded Spill
	buffer_store_dword v194, off, s[16:19], 0 offset:780 ; 4-byte Folded Spill
	;; [unrolled: 1-line block ×4, first 2 shown]
	v_cmpx_lt_u32_e32 18, v0
	s_cbranch_execz .LBB115_172
; %bb.171:
	s_clause 0x3
	buffer_load_dword v193, off, s[16:19], 0 offset:776
	buffer_load_dword v194, off, s[16:19], 0 offset:780
	;; [unrolled: 1-line block ×4, first 2 shown]
	ds_read2_b64 v[215:218], v253 offset0:38 offset1:39
	s_waitcnt vmcnt(0)
	v_mul_f64 v[213:214], v[195:196], v[159:160]
	v_mul_f64 v[159:160], v[193:194], v[159:160]
	v_fma_f64 v[213:214], v[193:194], v[157:158], -v[213:214]
	v_fma_f64 v[159:160], v[195:196], v[157:158], v[159:160]
	s_waitcnt lgkmcnt(0)
	v_mul_f64 v[157:158], v[217:218], v[159:160]
	v_fma_f64 v[157:158], v[215:216], v[213:214], -v[157:158]
	v_mul_f64 v[215:216], v[215:216], v[159:160]
	v_add_f64 v[153:154], v[153:154], -v[157:158]
	v_fma_f64 v[215:216], v[217:218], v[213:214], v[215:216]
	v_add_f64 v[155:156], v[155:156], -v[215:216]
	ds_read2_b64 v[215:218], v253 offset0:40 offset1:41
	s_waitcnt lgkmcnt(0)
	v_mul_f64 v[157:158], v[217:218], v[159:160]
	v_fma_f64 v[157:158], v[215:216], v[213:214], -v[157:158]
	v_mul_f64 v[215:216], v[215:216], v[159:160]
	v_add_f64 v[149:150], v[149:150], -v[157:158]
	v_fma_f64 v[215:216], v[217:218], v[213:214], v[215:216]
	v_add_f64 v[151:152], v[151:152], -v[215:216]
	ds_read2_b64 v[215:218], v253 offset0:42 offset1:43
	;; [unrolled: 8-line block ×38, first 2 shown]
	s_waitcnt lgkmcnt(0)
	v_mul_f64 v[157:158], v[217:218], v[159:160]
	v_fma_f64 v[157:158], v[215:216], v[213:214], -v[157:158]
	v_mul_f64 v[215:216], v[215:216], v[159:160]
	v_add_f64 v[1:2], v[1:2], -v[157:158]
	v_fma_f64 v[215:216], v[217:218], v[213:214], v[215:216]
	v_mov_b32_e32 v157, v213
	v_mov_b32_e32 v158, v214
	v_add_f64 v[3:4], v[3:4], -v[215:216]
.LBB115_172:
	s_or_b32 exec_lo, exec_lo, s1
	s_mov_b32 s2, exec_lo
	s_waitcnt_vscnt null, 0x0
	s_barrier
	buffer_gl0_inv
	v_cmpx_eq_u32_e32 19, v0
	s_cbranch_execz .LBB115_179
; %bb.173:
	ds_write2_b64 v255, v[153:154], v[155:156] offset1:1
	ds_write2_b64 v253, v[149:150], v[151:152] offset0:40 offset1:41
	ds_write2_b64 v253, v[145:146], v[147:148] offset0:42 offset1:43
	;; [unrolled: 1-line block ×38, first 2 shown]
	ds_read2_b64 v[213:216], v255 offset1:1
	s_waitcnt lgkmcnt(0)
	v_cmp_neq_f64_e32 vcc_lo, 0, v[213:214]
	v_cmp_neq_f64_e64 s1, 0, v[215:216]
	s_or_b32 s1, vcc_lo, s1
	s_and_b32 exec_lo, exec_lo, s1
	s_cbranch_execz .LBB115_179
; %bb.174:
	v_cmp_ngt_f64_e64 s1, |v[213:214]|, |v[215:216]|
                                        ; implicit-def: $vgpr217_vgpr218
	s_and_saveexec_b32 s3, s1
	s_xor_b32 s1, exec_lo, s3
                                        ; implicit-def: $vgpr219_vgpr220
	s_cbranch_execz .LBB115_176
; %bb.175:
	v_div_scale_f64 v[217:218], null, v[215:216], v[215:216], v[213:214]
	v_div_scale_f64 v[223:224], vcc_lo, v[213:214], v[215:216], v[213:214]
	v_rcp_f64_e32 v[219:220], v[217:218]
	v_fma_f64 v[221:222], -v[217:218], v[219:220], 1.0
	v_fma_f64 v[219:220], v[219:220], v[221:222], v[219:220]
	v_fma_f64 v[221:222], -v[217:218], v[219:220], 1.0
	v_fma_f64 v[219:220], v[219:220], v[221:222], v[219:220]
	v_mul_f64 v[221:222], v[223:224], v[219:220]
	v_fma_f64 v[217:218], -v[217:218], v[221:222], v[223:224]
	v_div_fmas_f64 v[217:218], v[217:218], v[219:220], v[221:222]
	v_div_fixup_f64 v[217:218], v[217:218], v[215:216], v[213:214]
	v_fma_f64 v[213:214], v[213:214], v[217:218], v[215:216]
	v_div_scale_f64 v[215:216], null, v[213:214], v[213:214], 1.0
	v_rcp_f64_e32 v[219:220], v[215:216]
	v_fma_f64 v[221:222], -v[215:216], v[219:220], 1.0
	v_fma_f64 v[219:220], v[219:220], v[221:222], v[219:220]
	v_fma_f64 v[221:222], -v[215:216], v[219:220], 1.0
	v_fma_f64 v[219:220], v[219:220], v[221:222], v[219:220]
	v_div_scale_f64 v[221:222], vcc_lo, 1.0, v[213:214], 1.0
	v_mul_f64 v[223:224], v[221:222], v[219:220]
	v_fma_f64 v[215:216], -v[215:216], v[223:224], v[221:222]
	v_div_fmas_f64 v[215:216], v[215:216], v[219:220], v[223:224]
	v_div_fixup_f64 v[219:220], v[215:216], v[213:214], 1.0
                                        ; implicit-def: $vgpr213_vgpr214
	v_mul_f64 v[217:218], v[217:218], v[219:220]
	v_xor_b32_e32 v220, 0x80000000, v220
.LBB115_176:
	s_andn2_saveexec_b32 s1, s1
	s_cbranch_execz .LBB115_178
; %bb.177:
	v_div_scale_f64 v[217:218], null, v[213:214], v[213:214], v[215:216]
	v_div_scale_f64 v[223:224], vcc_lo, v[215:216], v[213:214], v[215:216]
	v_rcp_f64_e32 v[219:220], v[217:218]
	v_fma_f64 v[221:222], -v[217:218], v[219:220], 1.0
	v_fma_f64 v[219:220], v[219:220], v[221:222], v[219:220]
	v_fma_f64 v[221:222], -v[217:218], v[219:220], 1.0
	v_fma_f64 v[219:220], v[219:220], v[221:222], v[219:220]
	v_mul_f64 v[221:222], v[223:224], v[219:220]
	v_fma_f64 v[217:218], -v[217:218], v[221:222], v[223:224]
	v_div_fmas_f64 v[217:218], v[217:218], v[219:220], v[221:222]
	v_div_fixup_f64 v[219:220], v[217:218], v[213:214], v[215:216]
	v_fma_f64 v[213:214], v[215:216], v[219:220], v[213:214]
	v_div_scale_f64 v[215:216], null, v[213:214], v[213:214], 1.0
	v_rcp_f64_e32 v[217:218], v[215:216]
	v_fma_f64 v[221:222], -v[215:216], v[217:218], 1.0
	v_fma_f64 v[217:218], v[217:218], v[221:222], v[217:218]
	v_fma_f64 v[221:222], -v[215:216], v[217:218], 1.0
	v_fma_f64 v[217:218], v[217:218], v[221:222], v[217:218]
	v_div_scale_f64 v[221:222], vcc_lo, 1.0, v[213:214], 1.0
	v_mul_f64 v[223:224], v[221:222], v[217:218]
	v_fma_f64 v[215:216], -v[215:216], v[223:224], v[221:222]
	v_div_fmas_f64 v[215:216], v[215:216], v[217:218], v[223:224]
	v_div_fixup_f64 v[217:218], v[215:216], v[213:214], 1.0
	v_mul_f64 v[219:220], v[219:220], -v[217:218]
.LBB115_178:
	s_or_b32 exec_lo, exec_lo, s1
	ds_write2_b64 v255, v[217:218], v[219:220] offset1:1
.LBB115_179:
	s_or_b32 exec_lo, exec_lo, s2
	s_waitcnt lgkmcnt(0)
	s_barrier
	buffer_gl0_inv
	ds_read2_b64 v[193:196], v255 offset1:1
	s_mov_b32 s1, exec_lo
	s_waitcnt lgkmcnt(0)
	buffer_store_dword v193, off, s[16:19], 0 offset:792 ; 4-byte Folded Spill
	buffer_store_dword v194, off, s[16:19], 0 offset:796 ; 4-byte Folded Spill
	;; [unrolled: 1-line block ×4, first 2 shown]
	v_cmpx_lt_u32_e32 19, v0
	s_cbranch_execz .LBB115_181
; %bb.180:
	s_clause 0x3
	buffer_load_dword v193, off, s[16:19], 0 offset:792
	buffer_load_dword v194, off, s[16:19], 0 offset:796
	;; [unrolled: 1-line block ×4, first 2 shown]
	ds_read2_b64 v[215:218], v253 offset0:40 offset1:41
	s_waitcnt vmcnt(0)
	v_mul_f64 v[213:214], v[195:196], v[155:156]
	v_mul_f64 v[155:156], v[193:194], v[155:156]
	v_fma_f64 v[213:214], v[193:194], v[153:154], -v[213:214]
	v_fma_f64 v[155:156], v[195:196], v[153:154], v[155:156]
	s_waitcnt lgkmcnt(0)
	v_mul_f64 v[153:154], v[217:218], v[155:156]
	v_fma_f64 v[153:154], v[215:216], v[213:214], -v[153:154]
	v_mul_f64 v[215:216], v[215:216], v[155:156]
	v_add_f64 v[149:150], v[149:150], -v[153:154]
	v_fma_f64 v[215:216], v[217:218], v[213:214], v[215:216]
	v_add_f64 v[151:152], v[151:152], -v[215:216]
	ds_read2_b64 v[215:218], v253 offset0:42 offset1:43
	s_waitcnt lgkmcnt(0)
	v_mul_f64 v[153:154], v[217:218], v[155:156]
	v_fma_f64 v[153:154], v[215:216], v[213:214], -v[153:154]
	v_mul_f64 v[215:216], v[215:216], v[155:156]
	v_add_f64 v[145:146], v[145:146], -v[153:154]
	v_fma_f64 v[215:216], v[217:218], v[213:214], v[215:216]
	v_add_f64 v[147:148], v[147:148], -v[215:216]
	ds_read2_b64 v[215:218], v253 offset0:44 offset1:45
	;; [unrolled: 8-line block ×37, first 2 shown]
	s_waitcnt lgkmcnt(0)
	v_mul_f64 v[153:154], v[217:218], v[155:156]
	v_fma_f64 v[153:154], v[215:216], v[213:214], -v[153:154]
	v_mul_f64 v[215:216], v[215:216], v[155:156]
	v_add_f64 v[1:2], v[1:2], -v[153:154]
	v_fma_f64 v[215:216], v[217:218], v[213:214], v[215:216]
	v_mov_b32_e32 v153, v213
	v_mov_b32_e32 v154, v214
	v_add_f64 v[3:4], v[3:4], -v[215:216]
.LBB115_181:
	s_or_b32 exec_lo, exec_lo, s1
	s_mov_b32 s2, exec_lo
	s_waitcnt_vscnt null, 0x0
	s_barrier
	buffer_gl0_inv
	v_cmpx_eq_u32_e32 20, v0
	s_cbranch_execz .LBB115_188
; %bb.182:
	ds_write2_b64 v255, v[149:150], v[151:152] offset1:1
	ds_write2_b64 v253, v[145:146], v[147:148] offset0:42 offset1:43
	ds_write2_b64 v253, v[141:142], v[143:144] offset0:44 offset1:45
	;; [unrolled: 1-line block ×37, first 2 shown]
	ds_read2_b64 v[213:216], v255 offset1:1
	s_waitcnt lgkmcnt(0)
	v_cmp_neq_f64_e32 vcc_lo, 0, v[213:214]
	v_cmp_neq_f64_e64 s1, 0, v[215:216]
	s_or_b32 s1, vcc_lo, s1
	s_and_b32 exec_lo, exec_lo, s1
	s_cbranch_execz .LBB115_188
; %bb.183:
	v_cmp_ngt_f64_e64 s1, |v[213:214]|, |v[215:216]|
                                        ; implicit-def: $vgpr217_vgpr218
	s_and_saveexec_b32 s3, s1
	s_xor_b32 s1, exec_lo, s3
                                        ; implicit-def: $vgpr219_vgpr220
	s_cbranch_execz .LBB115_185
; %bb.184:
	v_div_scale_f64 v[217:218], null, v[215:216], v[215:216], v[213:214]
	v_div_scale_f64 v[223:224], vcc_lo, v[213:214], v[215:216], v[213:214]
	v_rcp_f64_e32 v[219:220], v[217:218]
	v_fma_f64 v[221:222], -v[217:218], v[219:220], 1.0
	v_fma_f64 v[219:220], v[219:220], v[221:222], v[219:220]
	v_fma_f64 v[221:222], -v[217:218], v[219:220], 1.0
	v_fma_f64 v[219:220], v[219:220], v[221:222], v[219:220]
	v_mul_f64 v[221:222], v[223:224], v[219:220]
	v_fma_f64 v[217:218], -v[217:218], v[221:222], v[223:224]
	v_div_fmas_f64 v[217:218], v[217:218], v[219:220], v[221:222]
	v_div_fixup_f64 v[217:218], v[217:218], v[215:216], v[213:214]
	v_fma_f64 v[213:214], v[213:214], v[217:218], v[215:216]
	v_div_scale_f64 v[215:216], null, v[213:214], v[213:214], 1.0
	v_rcp_f64_e32 v[219:220], v[215:216]
	v_fma_f64 v[221:222], -v[215:216], v[219:220], 1.0
	v_fma_f64 v[219:220], v[219:220], v[221:222], v[219:220]
	v_fma_f64 v[221:222], -v[215:216], v[219:220], 1.0
	v_fma_f64 v[219:220], v[219:220], v[221:222], v[219:220]
	v_div_scale_f64 v[221:222], vcc_lo, 1.0, v[213:214], 1.0
	v_mul_f64 v[223:224], v[221:222], v[219:220]
	v_fma_f64 v[215:216], -v[215:216], v[223:224], v[221:222]
	v_div_fmas_f64 v[215:216], v[215:216], v[219:220], v[223:224]
	v_div_fixup_f64 v[219:220], v[215:216], v[213:214], 1.0
                                        ; implicit-def: $vgpr213_vgpr214
	v_mul_f64 v[217:218], v[217:218], v[219:220]
	v_xor_b32_e32 v220, 0x80000000, v220
.LBB115_185:
	s_andn2_saveexec_b32 s1, s1
	s_cbranch_execz .LBB115_187
; %bb.186:
	v_div_scale_f64 v[217:218], null, v[213:214], v[213:214], v[215:216]
	v_div_scale_f64 v[223:224], vcc_lo, v[215:216], v[213:214], v[215:216]
	v_rcp_f64_e32 v[219:220], v[217:218]
	v_fma_f64 v[221:222], -v[217:218], v[219:220], 1.0
	v_fma_f64 v[219:220], v[219:220], v[221:222], v[219:220]
	v_fma_f64 v[221:222], -v[217:218], v[219:220], 1.0
	v_fma_f64 v[219:220], v[219:220], v[221:222], v[219:220]
	v_mul_f64 v[221:222], v[223:224], v[219:220]
	v_fma_f64 v[217:218], -v[217:218], v[221:222], v[223:224]
	v_div_fmas_f64 v[217:218], v[217:218], v[219:220], v[221:222]
	v_div_fixup_f64 v[219:220], v[217:218], v[213:214], v[215:216]
	v_fma_f64 v[213:214], v[215:216], v[219:220], v[213:214]
	v_div_scale_f64 v[215:216], null, v[213:214], v[213:214], 1.0
	v_rcp_f64_e32 v[217:218], v[215:216]
	v_fma_f64 v[221:222], -v[215:216], v[217:218], 1.0
	v_fma_f64 v[217:218], v[217:218], v[221:222], v[217:218]
	v_fma_f64 v[221:222], -v[215:216], v[217:218], 1.0
	v_fma_f64 v[217:218], v[217:218], v[221:222], v[217:218]
	v_div_scale_f64 v[221:222], vcc_lo, 1.0, v[213:214], 1.0
	v_mul_f64 v[223:224], v[221:222], v[217:218]
	v_fma_f64 v[215:216], -v[215:216], v[223:224], v[221:222]
	v_div_fmas_f64 v[215:216], v[215:216], v[217:218], v[223:224]
	v_div_fixup_f64 v[217:218], v[215:216], v[213:214], 1.0
	v_mul_f64 v[219:220], v[219:220], -v[217:218]
.LBB115_187:
	s_or_b32 exec_lo, exec_lo, s1
	ds_write2_b64 v255, v[217:218], v[219:220] offset1:1
.LBB115_188:
	s_or_b32 exec_lo, exec_lo, s2
	s_waitcnt lgkmcnt(0)
	s_barrier
	buffer_gl0_inv
	ds_read2_b64 v[193:196], v255 offset1:1
	s_mov_b32 s1, exec_lo
	s_waitcnt lgkmcnt(0)
	buffer_store_dword v193, off, s[16:19], 0 offset:808 ; 4-byte Folded Spill
	buffer_store_dword v194, off, s[16:19], 0 offset:812 ; 4-byte Folded Spill
	;; [unrolled: 1-line block ×4, first 2 shown]
	v_cmpx_lt_u32_e32 20, v0
	s_cbranch_execz .LBB115_190
; %bb.189:
	s_clause 0x3
	buffer_load_dword v193, off, s[16:19], 0 offset:808
	buffer_load_dword v194, off, s[16:19], 0 offset:812
	;; [unrolled: 1-line block ×4, first 2 shown]
	ds_read2_b64 v[215:218], v253 offset0:42 offset1:43
	s_waitcnt vmcnt(0)
	v_mul_f64 v[213:214], v[195:196], v[151:152]
	v_mul_f64 v[151:152], v[193:194], v[151:152]
	v_fma_f64 v[213:214], v[193:194], v[149:150], -v[213:214]
	v_fma_f64 v[151:152], v[195:196], v[149:150], v[151:152]
	s_waitcnt lgkmcnt(0)
	v_mul_f64 v[149:150], v[217:218], v[151:152]
	v_fma_f64 v[149:150], v[215:216], v[213:214], -v[149:150]
	v_mul_f64 v[215:216], v[215:216], v[151:152]
	v_add_f64 v[145:146], v[145:146], -v[149:150]
	v_fma_f64 v[215:216], v[217:218], v[213:214], v[215:216]
	v_add_f64 v[147:148], v[147:148], -v[215:216]
	ds_read2_b64 v[215:218], v253 offset0:44 offset1:45
	s_waitcnt lgkmcnt(0)
	v_mul_f64 v[149:150], v[217:218], v[151:152]
	v_fma_f64 v[149:150], v[215:216], v[213:214], -v[149:150]
	v_mul_f64 v[215:216], v[215:216], v[151:152]
	v_add_f64 v[141:142], v[141:142], -v[149:150]
	v_fma_f64 v[215:216], v[217:218], v[213:214], v[215:216]
	v_add_f64 v[143:144], v[143:144], -v[215:216]
	ds_read2_b64 v[215:218], v253 offset0:46 offset1:47
	;; [unrolled: 8-line block ×36, first 2 shown]
	s_waitcnt lgkmcnt(0)
	v_mul_f64 v[149:150], v[217:218], v[151:152]
	v_fma_f64 v[149:150], v[215:216], v[213:214], -v[149:150]
	v_mul_f64 v[215:216], v[215:216], v[151:152]
	v_add_f64 v[1:2], v[1:2], -v[149:150]
	v_fma_f64 v[215:216], v[217:218], v[213:214], v[215:216]
	v_mov_b32_e32 v149, v213
	v_mov_b32_e32 v150, v214
	v_add_f64 v[3:4], v[3:4], -v[215:216]
.LBB115_190:
	s_or_b32 exec_lo, exec_lo, s1
	s_mov_b32 s2, exec_lo
	s_waitcnt_vscnt null, 0x0
	s_barrier
	buffer_gl0_inv
	v_cmpx_eq_u32_e32 21, v0
	s_cbranch_execz .LBB115_197
; %bb.191:
	ds_write2_b64 v255, v[145:146], v[147:148] offset1:1
	ds_write2_b64 v253, v[141:142], v[143:144] offset0:44 offset1:45
	ds_write2_b64 v253, v[137:138], v[139:140] offset0:46 offset1:47
	;; [unrolled: 1-line block ×36, first 2 shown]
	ds_read2_b64 v[213:216], v255 offset1:1
	s_waitcnt lgkmcnt(0)
	v_cmp_neq_f64_e32 vcc_lo, 0, v[213:214]
	v_cmp_neq_f64_e64 s1, 0, v[215:216]
	s_or_b32 s1, vcc_lo, s1
	s_and_b32 exec_lo, exec_lo, s1
	s_cbranch_execz .LBB115_197
; %bb.192:
	v_cmp_ngt_f64_e64 s1, |v[213:214]|, |v[215:216]|
                                        ; implicit-def: $vgpr217_vgpr218
	s_and_saveexec_b32 s3, s1
	s_xor_b32 s1, exec_lo, s3
                                        ; implicit-def: $vgpr219_vgpr220
	s_cbranch_execz .LBB115_194
; %bb.193:
	v_div_scale_f64 v[217:218], null, v[215:216], v[215:216], v[213:214]
	v_div_scale_f64 v[223:224], vcc_lo, v[213:214], v[215:216], v[213:214]
	v_rcp_f64_e32 v[219:220], v[217:218]
	v_fma_f64 v[221:222], -v[217:218], v[219:220], 1.0
	v_fma_f64 v[219:220], v[219:220], v[221:222], v[219:220]
	v_fma_f64 v[221:222], -v[217:218], v[219:220], 1.0
	v_fma_f64 v[219:220], v[219:220], v[221:222], v[219:220]
	v_mul_f64 v[221:222], v[223:224], v[219:220]
	v_fma_f64 v[217:218], -v[217:218], v[221:222], v[223:224]
	v_div_fmas_f64 v[217:218], v[217:218], v[219:220], v[221:222]
	v_div_fixup_f64 v[217:218], v[217:218], v[215:216], v[213:214]
	v_fma_f64 v[213:214], v[213:214], v[217:218], v[215:216]
	v_div_scale_f64 v[215:216], null, v[213:214], v[213:214], 1.0
	v_rcp_f64_e32 v[219:220], v[215:216]
	v_fma_f64 v[221:222], -v[215:216], v[219:220], 1.0
	v_fma_f64 v[219:220], v[219:220], v[221:222], v[219:220]
	v_fma_f64 v[221:222], -v[215:216], v[219:220], 1.0
	v_fma_f64 v[219:220], v[219:220], v[221:222], v[219:220]
	v_div_scale_f64 v[221:222], vcc_lo, 1.0, v[213:214], 1.0
	v_mul_f64 v[223:224], v[221:222], v[219:220]
	v_fma_f64 v[215:216], -v[215:216], v[223:224], v[221:222]
	v_div_fmas_f64 v[215:216], v[215:216], v[219:220], v[223:224]
	v_div_fixup_f64 v[219:220], v[215:216], v[213:214], 1.0
                                        ; implicit-def: $vgpr213_vgpr214
	v_mul_f64 v[217:218], v[217:218], v[219:220]
	v_xor_b32_e32 v220, 0x80000000, v220
.LBB115_194:
	s_andn2_saveexec_b32 s1, s1
	s_cbranch_execz .LBB115_196
; %bb.195:
	v_div_scale_f64 v[217:218], null, v[213:214], v[213:214], v[215:216]
	v_div_scale_f64 v[223:224], vcc_lo, v[215:216], v[213:214], v[215:216]
	v_rcp_f64_e32 v[219:220], v[217:218]
	v_fma_f64 v[221:222], -v[217:218], v[219:220], 1.0
	v_fma_f64 v[219:220], v[219:220], v[221:222], v[219:220]
	v_fma_f64 v[221:222], -v[217:218], v[219:220], 1.0
	v_fma_f64 v[219:220], v[219:220], v[221:222], v[219:220]
	v_mul_f64 v[221:222], v[223:224], v[219:220]
	v_fma_f64 v[217:218], -v[217:218], v[221:222], v[223:224]
	v_div_fmas_f64 v[217:218], v[217:218], v[219:220], v[221:222]
	v_div_fixup_f64 v[219:220], v[217:218], v[213:214], v[215:216]
	v_fma_f64 v[213:214], v[215:216], v[219:220], v[213:214]
	v_div_scale_f64 v[215:216], null, v[213:214], v[213:214], 1.0
	v_rcp_f64_e32 v[217:218], v[215:216]
	v_fma_f64 v[221:222], -v[215:216], v[217:218], 1.0
	v_fma_f64 v[217:218], v[217:218], v[221:222], v[217:218]
	v_fma_f64 v[221:222], -v[215:216], v[217:218], 1.0
	v_fma_f64 v[217:218], v[217:218], v[221:222], v[217:218]
	v_div_scale_f64 v[221:222], vcc_lo, 1.0, v[213:214], 1.0
	v_mul_f64 v[223:224], v[221:222], v[217:218]
	v_fma_f64 v[215:216], -v[215:216], v[223:224], v[221:222]
	v_div_fmas_f64 v[215:216], v[215:216], v[217:218], v[223:224]
	v_div_fixup_f64 v[217:218], v[215:216], v[213:214], 1.0
	v_mul_f64 v[219:220], v[219:220], -v[217:218]
.LBB115_196:
	s_or_b32 exec_lo, exec_lo, s1
	ds_write2_b64 v255, v[217:218], v[219:220] offset1:1
.LBB115_197:
	s_or_b32 exec_lo, exec_lo, s2
	s_waitcnt lgkmcnt(0)
	s_barrier
	buffer_gl0_inv
	ds_read2_b64 v[193:196], v255 offset1:1
	s_mov_b32 s1, exec_lo
	s_waitcnt lgkmcnt(0)
	buffer_store_dword v193, off, s[16:19], 0 offset:824 ; 4-byte Folded Spill
	buffer_store_dword v194, off, s[16:19], 0 offset:828 ; 4-byte Folded Spill
	;; [unrolled: 1-line block ×4, first 2 shown]
	v_cmpx_lt_u32_e32 21, v0
	s_cbranch_execz .LBB115_199
; %bb.198:
	s_clause 0x3
	buffer_load_dword v193, off, s[16:19], 0 offset:824
	buffer_load_dword v194, off, s[16:19], 0 offset:828
	;; [unrolled: 1-line block ×4, first 2 shown]
	ds_read2_b64 v[215:218], v253 offset0:44 offset1:45
	s_waitcnt vmcnt(0)
	v_mul_f64 v[213:214], v[195:196], v[147:148]
	v_mul_f64 v[147:148], v[193:194], v[147:148]
	v_fma_f64 v[213:214], v[193:194], v[145:146], -v[213:214]
	v_fma_f64 v[147:148], v[195:196], v[145:146], v[147:148]
	s_waitcnt lgkmcnt(0)
	v_mul_f64 v[145:146], v[217:218], v[147:148]
	v_fma_f64 v[145:146], v[215:216], v[213:214], -v[145:146]
	v_mul_f64 v[215:216], v[215:216], v[147:148]
	v_add_f64 v[141:142], v[141:142], -v[145:146]
	v_fma_f64 v[215:216], v[217:218], v[213:214], v[215:216]
	v_add_f64 v[143:144], v[143:144], -v[215:216]
	ds_read2_b64 v[215:218], v253 offset0:46 offset1:47
	s_waitcnt lgkmcnt(0)
	v_mul_f64 v[145:146], v[217:218], v[147:148]
	v_fma_f64 v[145:146], v[215:216], v[213:214], -v[145:146]
	v_mul_f64 v[215:216], v[215:216], v[147:148]
	v_add_f64 v[137:138], v[137:138], -v[145:146]
	v_fma_f64 v[215:216], v[217:218], v[213:214], v[215:216]
	v_add_f64 v[139:140], v[139:140], -v[215:216]
	ds_read2_b64 v[215:218], v253 offset0:48 offset1:49
	s_waitcnt lgkmcnt(0)
	v_mul_f64 v[145:146], v[217:218], v[147:148]
	v_fma_f64 v[145:146], v[215:216], v[213:214], -v[145:146]
	v_mul_f64 v[215:216], v[215:216], v[147:148]
	v_add_f64 v[133:134], v[133:134], -v[145:146]
	v_fma_f64 v[215:216], v[217:218], v[213:214], v[215:216]
	v_add_f64 v[135:136], v[135:136], -v[215:216]
	ds_read2_b64 v[215:218], v253 offset0:50 offset1:51
	s_waitcnt lgkmcnt(0)
	v_mul_f64 v[145:146], v[217:218], v[147:148]
	v_fma_f64 v[145:146], v[215:216], v[213:214], -v[145:146]
	v_mul_f64 v[215:216], v[215:216], v[147:148]
	v_add_f64 v[129:130], v[129:130], -v[145:146]
	v_fma_f64 v[215:216], v[217:218], v[213:214], v[215:216]
	v_add_f64 v[131:132], v[131:132], -v[215:216]
	ds_read2_b64 v[215:218], v253 offset0:52 offset1:53
	s_waitcnt lgkmcnt(0)
	v_mul_f64 v[145:146], v[217:218], v[147:148]
	v_fma_f64 v[145:146], v[215:216], v[213:214], -v[145:146]
	v_mul_f64 v[215:216], v[215:216], v[147:148]
	v_add_f64 v[125:126], v[125:126], -v[145:146]
	v_fma_f64 v[215:216], v[217:218], v[213:214], v[215:216]
	v_add_f64 v[127:128], v[127:128], -v[215:216]
	ds_read2_b64 v[215:218], v253 offset0:54 offset1:55
	s_waitcnt lgkmcnt(0)
	v_mul_f64 v[145:146], v[217:218], v[147:148]
	v_fma_f64 v[145:146], v[215:216], v[213:214], -v[145:146]
	v_mul_f64 v[215:216], v[215:216], v[147:148]
	v_add_f64 v[121:122], v[121:122], -v[145:146]
	v_fma_f64 v[215:216], v[217:218], v[213:214], v[215:216]
	v_add_f64 v[123:124], v[123:124], -v[215:216]
	ds_read2_b64 v[215:218], v253 offset0:56 offset1:57
	s_waitcnt lgkmcnt(0)
	v_mul_f64 v[145:146], v[217:218], v[147:148]
	v_fma_f64 v[145:146], v[215:216], v[213:214], -v[145:146]
	v_mul_f64 v[215:216], v[215:216], v[147:148]
	v_add_f64 v[117:118], v[117:118], -v[145:146]
	v_fma_f64 v[215:216], v[217:218], v[213:214], v[215:216]
	v_add_f64 v[119:120], v[119:120], -v[215:216]
	ds_read2_b64 v[215:218], v253 offset0:58 offset1:59
	s_waitcnt lgkmcnt(0)
	v_mul_f64 v[145:146], v[217:218], v[147:148]
	v_fma_f64 v[145:146], v[215:216], v[213:214], -v[145:146]
	v_mul_f64 v[215:216], v[215:216], v[147:148]
	v_add_f64 v[113:114], v[113:114], -v[145:146]
	v_fma_f64 v[215:216], v[217:218], v[213:214], v[215:216]
	v_add_f64 v[115:116], v[115:116], -v[215:216]
	ds_read2_b64 v[215:218], v253 offset0:60 offset1:61
	s_waitcnt lgkmcnt(0)
	v_mul_f64 v[145:146], v[217:218], v[147:148]
	v_fma_f64 v[145:146], v[215:216], v[213:214], -v[145:146]
	v_mul_f64 v[215:216], v[215:216], v[147:148]
	v_add_f64 v[109:110], v[109:110], -v[145:146]
	v_fma_f64 v[215:216], v[217:218], v[213:214], v[215:216]
	v_add_f64 v[111:112], v[111:112], -v[215:216]
	ds_read2_b64 v[215:218], v253 offset0:62 offset1:63
	s_waitcnt lgkmcnt(0)
	v_mul_f64 v[145:146], v[217:218], v[147:148]
	v_fma_f64 v[145:146], v[215:216], v[213:214], -v[145:146]
	v_mul_f64 v[215:216], v[215:216], v[147:148]
	v_add_f64 v[105:106], v[105:106], -v[145:146]
	v_fma_f64 v[215:216], v[217:218], v[213:214], v[215:216]
	v_add_f64 v[107:108], v[107:108], -v[215:216]
	ds_read2_b64 v[215:218], v253 offset0:64 offset1:65
	s_waitcnt lgkmcnt(0)
	v_mul_f64 v[145:146], v[217:218], v[147:148]
	v_fma_f64 v[145:146], v[215:216], v[213:214], -v[145:146]
	v_mul_f64 v[215:216], v[215:216], v[147:148]
	v_add_f64 v[101:102], v[101:102], -v[145:146]
	v_fma_f64 v[215:216], v[217:218], v[213:214], v[215:216]
	v_add_f64 v[103:104], v[103:104], -v[215:216]
	ds_read2_b64 v[215:218], v253 offset0:66 offset1:67
	s_waitcnt lgkmcnt(0)
	v_mul_f64 v[145:146], v[217:218], v[147:148]
	v_fma_f64 v[145:146], v[215:216], v[213:214], -v[145:146]
	v_mul_f64 v[215:216], v[215:216], v[147:148]
	v_add_f64 v[97:98], v[97:98], -v[145:146]
	v_fma_f64 v[215:216], v[217:218], v[213:214], v[215:216]
	v_add_f64 v[99:100], v[99:100], -v[215:216]
	ds_read2_b64 v[215:218], v253 offset0:68 offset1:69
	s_waitcnt lgkmcnt(0)
	v_mul_f64 v[145:146], v[217:218], v[147:148]
	v_fma_f64 v[145:146], v[215:216], v[213:214], -v[145:146]
	v_mul_f64 v[215:216], v[215:216], v[147:148]
	v_add_f64 v[93:94], v[93:94], -v[145:146]
	v_fma_f64 v[215:216], v[217:218], v[213:214], v[215:216]
	v_add_f64 v[95:96], v[95:96], -v[215:216]
	ds_read2_b64 v[215:218], v253 offset0:70 offset1:71
	s_waitcnt lgkmcnt(0)
	v_mul_f64 v[145:146], v[217:218], v[147:148]
	v_fma_f64 v[145:146], v[215:216], v[213:214], -v[145:146]
	v_mul_f64 v[215:216], v[215:216], v[147:148]
	v_add_f64 v[89:90], v[89:90], -v[145:146]
	v_fma_f64 v[215:216], v[217:218], v[213:214], v[215:216]
	v_add_f64 v[91:92], v[91:92], -v[215:216]
	ds_read2_b64 v[215:218], v253 offset0:72 offset1:73
	s_waitcnt lgkmcnt(0)
	v_mul_f64 v[145:146], v[217:218], v[147:148]
	v_fma_f64 v[145:146], v[215:216], v[213:214], -v[145:146]
	v_mul_f64 v[215:216], v[215:216], v[147:148]
	v_add_f64 v[85:86], v[85:86], -v[145:146]
	v_fma_f64 v[215:216], v[217:218], v[213:214], v[215:216]
	v_add_f64 v[87:88], v[87:88], -v[215:216]
	ds_read2_b64 v[215:218], v253 offset0:74 offset1:75
	s_waitcnt lgkmcnt(0)
	v_mul_f64 v[145:146], v[217:218], v[147:148]
	v_fma_f64 v[145:146], v[215:216], v[213:214], -v[145:146]
	v_mul_f64 v[215:216], v[215:216], v[147:148]
	v_add_f64 v[81:82], v[81:82], -v[145:146]
	v_fma_f64 v[215:216], v[217:218], v[213:214], v[215:216]
	v_add_f64 v[83:84], v[83:84], -v[215:216]
	ds_read2_b64 v[215:218], v253 offset0:76 offset1:77
	s_waitcnt lgkmcnt(0)
	v_mul_f64 v[145:146], v[217:218], v[147:148]
	v_fma_f64 v[145:146], v[215:216], v[213:214], -v[145:146]
	v_mul_f64 v[215:216], v[215:216], v[147:148]
	v_add_f64 v[77:78], v[77:78], -v[145:146]
	v_fma_f64 v[215:216], v[217:218], v[213:214], v[215:216]
	v_add_f64 v[79:80], v[79:80], -v[215:216]
	ds_read2_b64 v[215:218], v253 offset0:78 offset1:79
	s_waitcnt lgkmcnt(0)
	v_mul_f64 v[145:146], v[217:218], v[147:148]
	v_fma_f64 v[145:146], v[215:216], v[213:214], -v[145:146]
	v_mul_f64 v[215:216], v[215:216], v[147:148]
	v_add_f64 v[73:74], v[73:74], -v[145:146]
	v_fma_f64 v[215:216], v[217:218], v[213:214], v[215:216]
	v_add_f64 v[75:76], v[75:76], -v[215:216]
	ds_read2_b64 v[215:218], v253 offset0:80 offset1:81
	s_waitcnt lgkmcnt(0)
	v_mul_f64 v[145:146], v[217:218], v[147:148]
	v_fma_f64 v[145:146], v[215:216], v[213:214], -v[145:146]
	v_mul_f64 v[215:216], v[215:216], v[147:148]
	v_add_f64 v[69:70], v[69:70], -v[145:146]
	v_fma_f64 v[215:216], v[217:218], v[213:214], v[215:216]
	v_add_f64 v[71:72], v[71:72], -v[215:216]
	ds_read2_b64 v[215:218], v253 offset0:82 offset1:83
	s_waitcnt lgkmcnt(0)
	v_mul_f64 v[145:146], v[217:218], v[147:148]
	v_fma_f64 v[145:146], v[215:216], v[213:214], -v[145:146]
	v_mul_f64 v[215:216], v[215:216], v[147:148]
	v_add_f64 v[65:66], v[65:66], -v[145:146]
	v_fma_f64 v[215:216], v[217:218], v[213:214], v[215:216]
	v_add_f64 v[67:68], v[67:68], -v[215:216]
	ds_read2_b64 v[215:218], v253 offset0:84 offset1:85
	s_waitcnt lgkmcnt(0)
	v_mul_f64 v[145:146], v[217:218], v[147:148]
	v_fma_f64 v[145:146], v[215:216], v[213:214], -v[145:146]
	v_mul_f64 v[215:216], v[215:216], v[147:148]
	v_add_f64 v[61:62], v[61:62], -v[145:146]
	v_fma_f64 v[215:216], v[217:218], v[213:214], v[215:216]
	v_add_f64 v[63:64], v[63:64], -v[215:216]
	ds_read2_b64 v[215:218], v253 offset0:86 offset1:87
	s_waitcnt lgkmcnt(0)
	v_mul_f64 v[145:146], v[217:218], v[147:148]
	v_fma_f64 v[145:146], v[215:216], v[213:214], -v[145:146]
	v_mul_f64 v[215:216], v[215:216], v[147:148]
	v_add_f64 v[57:58], v[57:58], -v[145:146]
	v_fma_f64 v[215:216], v[217:218], v[213:214], v[215:216]
	v_add_f64 v[59:60], v[59:60], -v[215:216]
	ds_read2_b64 v[215:218], v253 offset0:88 offset1:89
	s_waitcnt lgkmcnt(0)
	v_mul_f64 v[145:146], v[217:218], v[147:148]
	v_fma_f64 v[145:146], v[215:216], v[213:214], -v[145:146]
	v_mul_f64 v[215:216], v[215:216], v[147:148]
	v_add_f64 v[53:54], v[53:54], -v[145:146]
	v_fma_f64 v[215:216], v[217:218], v[213:214], v[215:216]
	v_add_f64 v[55:56], v[55:56], -v[215:216]
	ds_read2_b64 v[215:218], v253 offset0:90 offset1:91
	s_waitcnt lgkmcnt(0)
	v_mul_f64 v[145:146], v[217:218], v[147:148]
	v_fma_f64 v[145:146], v[215:216], v[213:214], -v[145:146]
	v_mul_f64 v[215:216], v[215:216], v[147:148]
	v_add_f64 v[49:50], v[49:50], -v[145:146]
	v_fma_f64 v[215:216], v[217:218], v[213:214], v[215:216]
	v_add_f64 v[51:52], v[51:52], -v[215:216]
	ds_read2_b64 v[215:218], v253 offset0:92 offset1:93
	s_waitcnt lgkmcnt(0)
	v_mul_f64 v[145:146], v[217:218], v[147:148]
	v_fma_f64 v[145:146], v[215:216], v[213:214], -v[145:146]
	v_mul_f64 v[215:216], v[215:216], v[147:148]
	v_add_f64 v[45:46], v[45:46], -v[145:146]
	v_fma_f64 v[215:216], v[217:218], v[213:214], v[215:216]
	v_add_f64 v[47:48], v[47:48], -v[215:216]
	ds_read2_b64 v[215:218], v253 offset0:94 offset1:95
	s_waitcnt lgkmcnt(0)
	v_mul_f64 v[145:146], v[217:218], v[147:148]
	v_fma_f64 v[145:146], v[215:216], v[213:214], -v[145:146]
	v_mul_f64 v[215:216], v[215:216], v[147:148]
	v_add_f64 v[41:42], v[41:42], -v[145:146]
	v_fma_f64 v[215:216], v[217:218], v[213:214], v[215:216]
	v_add_f64 v[43:44], v[43:44], -v[215:216]
	ds_read2_b64 v[215:218], v253 offset0:96 offset1:97
	s_waitcnt lgkmcnt(0)
	v_mul_f64 v[145:146], v[217:218], v[147:148]
	v_fma_f64 v[145:146], v[215:216], v[213:214], -v[145:146]
	v_mul_f64 v[215:216], v[215:216], v[147:148]
	v_add_f64 v[37:38], v[37:38], -v[145:146]
	v_fma_f64 v[215:216], v[217:218], v[213:214], v[215:216]
	v_add_f64 v[39:40], v[39:40], -v[215:216]
	ds_read2_b64 v[215:218], v253 offset0:98 offset1:99
	s_waitcnt lgkmcnt(0)
	v_mul_f64 v[145:146], v[217:218], v[147:148]
	v_fma_f64 v[145:146], v[215:216], v[213:214], -v[145:146]
	v_mul_f64 v[215:216], v[215:216], v[147:148]
	v_add_f64 v[33:34], v[33:34], -v[145:146]
	v_fma_f64 v[215:216], v[217:218], v[213:214], v[215:216]
	v_add_f64 v[35:36], v[35:36], -v[215:216]
	ds_read2_b64 v[215:218], v253 offset0:100 offset1:101
	s_waitcnt lgkmcnt(0)
	v_mul_f64 v[145:146], v[217:218], v[147:148]
	v_fma_f64 v[145:146], v[215:216], v[213:214], -v[145:146]
	v_mul_f64 v[215:216], v[215:216], v[147:148]
	v_add_f64 v[29:30], v[29:30], -v[145:146]
	v_fma_f64 v[215:216], v[217:218], v[213:214], v[215:216]
	v_add_f64 v[31:32], v[31:32], -v[215:216]
	ds_read2_b64 v[215:218], v253 offset0:102 offset1:103
	s_waitcnt lgkmcnt(0)
	v_mul_f64 v[145:146], v[217:218], v[147:148]
	v_fma_f64 v[145:146], v[215:216], v[213:214], -v[145:146]
	v_mul_f64 v[215:216], v[215:216], v[147:148]
	v_add_f64 v[25:26], v[25:26], -v[145:146]
	v_fma_f64 v[215:216], v[217:218], v[213:214], v[215:216]
	v_add_f64 v[27:28], v[27:28], -v[215:216]
	ds_read2_b64 v[215:218], v253 offset0:104 offset1:105
	s_waitcnt lgkmcnt(0)
	v_mul_f64 v[145:146], v[217:218], v[147:148]
	v_fma_f64 v[145:146], v[215:216], v[213:214], -v[145:146]
	v_mul_f64 v[215:216], v[215:216], v[147:148]
	v_add_f64 v[21:22], v[21:22], -v[145:146]
	v_fma_f64 v[215:216], v[217:218], v[213:214], v[215:216]
	v_add_f64 v[23:24], v[23:24], -v[215:216]
	ds_read2_b64 v[215:218], v253 offset0:106 offset1:107
	s_waitcnt lgkmcnt(0)
	v_mul_f64 v[145:146], v[217:218], v[147:148]
	v_fma_f64 v[145:146], v[215:216], v[213:214], -v[145:146]
	v_mul_f64 v[215:216], v[215:216], v[147:148]
	v_add_f64 v[17:18], v[17:18], -v[145:146]
	v_fma_f64 v[215:216], v[217:218], v[213:214], v[215:216]
	v_add_f64 v[19:20], v[19:20], -v[215:216]
	ds_read2_b64 v[215:218], v253 offset0:108 offset1:109
	s_waitcnt lgkmcnt(0)
	v_mul_f64 v[145:146], v[217:218], v[147:148]
	v_fma_f64 v[145:146], v[215:216], v[213:214], -v[145:146]
	v_mul_f64 v[215:216], v[215:216], v[147:148]
	v_add_f64 v[13:14], v[13:14], -v[145:146]
	v_fma_f64 v[215:216], v[217:218], v[213:214], v[215:216]
	v_add_f64 v[15:16], v[15:16], -v[215:216]
	ds_read2_b64 v[215:218], v253 offset0:110 offset1:111
	s_waitcnt lgkmcnt(0)
	v_mul_f64 v[145:146], v[217:218], v[147:148]
	v_fma_f64 v[145:146], v[215:216], v[213:214], -v[145:146]
	v_mul_f64 v[215:216], v[215:216], v[147:148]
	v_add_f64 v[9:10], v[9:10], -v[145:146]
	v_fma_f64 v[215:216], v[217:218], v[213:214], v[215:216]
	v_add_f64 v[11:12], v[11:12], -v[215:216]
	ds_read2_b64 v[215:218], v253 offset0:112 offset1:113
	s_waitcnt lgkmcnt(0)
	v_mul_f64 v[145:146], v[217:218], v[147:148]
	v_fma_f64 v[145:146], v[215:216], v[213:214], -v[145:146]
	v_mul_f64 v[215:216], v[215:216], v[147:148]
	v_add_f64 v[5:6], v[5:6], -v[145:146]
	v_fma_f64 v[215:216], v[217:218], v[213:214], v[215:216]
	v_add_f64 v[7:8], v[7:8], -v[215:216]
	ds_read2_b64 v[215:218], v253 offset0:114 offset1:115
	s_waitcnt lgkmcnt(0)
	v_mul_f64 v[145:146], v[217:218], v[147:148]
	v_fma_f64 v[145:146], v[215:216], v[213:214], -v[145:146]
	v_mul_f64 v[215:216], v[215:216], v[147:148]
	v_add_f64 v[1:2], v[1:2], -v[145:146]
	v_fma_f64 v[215:216], v[217:218], v[213:214], v[215:216]
	v_mov_b32_e32 v145, v213
	v_mov_b32_e32 v146, v214
	v_add_f64 v[3:4], v[3:4], -v[215:216]
.LBB115_199:
	s_or_b32 exec_lo, exec_lo, s1
	s_mov_b32 s2, exec_lo
	s_waitcnt_vscnt null, 0x0
	s_barrier
	buffer_gl0_inv
	v_cmpx_eq_u32_e32 22, v0
	s_cbranch_execz .LBB115_206
; %bb.200:
	ds_write2_b64 v255, v[141:142], v[143:144] offset1:1
	ds_write2_b64 v253, v[137:138], v[139:140] offset0:46 offset1:47
	ds_write2_b64 v253, v[133:134], v[135:136] offset0:48 offset1:49
	;; [unrolled: 1-line block ×35, first 2 shown]
	ds_read2_b64 v[213:216], v255 offset1:1
	s_waitcnt lgkmcnt(0)
	v_cmp_neq_f64_e32 vcc_lo, 0, v[213:214]
	v_cmp_neq_f64_e64 s1, 0, v[215:216]
	s_or_b32 s1, vcc_lo, s1
	s_and_b32 exec_lo, exec_lo, s1
	s_cbranch_execz .LBB115_206
; %bb.201:
	v_cmp_ngt_f64_e64 s1, |v[213:214]|, |v[215:216]|
                                        ; implicit-def: $vgpr217_vgpr218
	s_and_saveexec_b32 s3, s1
	s_xor_b32 s1, exec_lo, s3
                                        ; implicit-def: $vgpr219_vgpr220
	s_cbranch_execz .LBB115_203
; %bb.202:
	v_div_scale_f64 v[217:218], null, v[215:216], v[215:216], v[213:214]
	v_div_scale_f64 v[223:224], vcc_lo, v[213:214], v[215:216], v[213:214]
	v_rcp_f64_e32 v[219:220], v[217:218]
	v_fma_f64 v[221:222], -v[217:218], v[219:220], 1.0
	v_fma_f64 v[219:220], v[219:220], v[221:222], v[219:220]
	v_fma_f64 v[221:222], -v[217:218], v[219:220], 1.0
	v_fma_f64 v[219:220], v[219:220], v[221:222], v[219:220]
	v_mul_f64 v[221:222], v[223:224], v[219:220]
	v_fma_f64 v[217:218], -v[217:218], v[221:222], v[223:224]
	v_div_fmas_f64 v[217:218], v[217:218], v[219:220], v[221:222]
	v_div_fixup_f64 v[217:218], v[217:218], v[215:216], v[213:214]
	v_fma_f64 v[213:214], v[213:214], v[217:218], v[215:216]
	v_div_scale_f64 v[215:216], null, v[213:214], v[213:214], 1.0
	v_rcp_f64_e32 v[219:220], v[215:216]
	v_fma_f64 v[221:222], -v[215:216], v[219:220], 1.0
	v_fma_f64 v[219:220], v[219:220], v[221:222], v[219:220]
	v_fma_f64 v[221:222], -v[215:216], v[219:220], 1.0
	v_fma_f64 v[219:220], v[219:220], v[221:222], v[219:220]
	v_div_scale_f64 v[221:222], vcc_lo, 1.0, v[213:214], 1.0
	v_mul_f64 v[223:224], v[221:222], v[219:220]
	v_fma_f64 v[215:216], -v[215:216], v[223:224], v[221:222]
	v_div_fmas_f64 v[215:216], v[215:216], v[219:220], v[223:224]
	v_div_fixup_f64 v[219:220], v[215:216], v[213:214], 1.0
                                        ; implicit-def: $vgpr213_vgpr214
	v_mul_f64 v[217:218], v[217:218], v[219:220]
	v_xor_b32_e32 v220, 0x80000000, v220
.LBB115_203:
	s_andn2_saveexec_b32 s1, s1
	s_cbranch_execz .LBB115_205
; %bb.204:
	v_div_scale_f64 v[217:218], null, v[213:214], v[213:214], v[215:216]
	v_div_scale_f64 v[223:224], vcc_lo, v[215:216], v[213:214], v[215:216]
	v_rcp_f64_e32 v[219:220], v[217:218]
	v_fma_f64 v[221:222], -v[217:218], v[219:220], 1.0
	v_fma_f64 v[219:220], v[219:220], v[221:222], v[219:220]
	v_fma_f64 v[221:222], -v[217:218], v[219:220], 1.0
	v_fma_f64 v[219:220], v[219:220], v[221:222], v[219:220]
	v_mul_f64 v[221:222], v[223:224], v[219:220]
	v_fma_f64 v[217:218], -v[217:218], v[221:222], v[223:224]
	v_div_fmas_f64 v[217:218], v[217:218], v[219:220], v[221:222]
	v_div_fixup_f64 v[219:220], v[217:218], v[213:214], v[215:216]
	v_fma_f64 v[213:214], v[215:216], v[219:220], v[213:214]
	v_div_scale_f64 v[215:216], null, v[213:214], v[213:214], 1.0
	v_rcp_f64_e32 v[217:218], v[215:216]
	v_fma_f64 v[221:222], -v[215:216], v[217:218], 1.0
	v_fma_f64 v[217:218], v[217:218], v[221:222], v[217:218]
	v_fma_f64 v[221:222], -v[215:216], v[217:218], 1.0
	v_fma_f64 v[217:218], v[217:218], v[221:222], v[217:218]
	v_div_scale_f64 v[221:222], vcc_lo, 1.0, v[213:214], 1.0
	v_mul_f64 v[223:224], v[221:222], v[217:218]
	v_fma_f64 v[215:216], -v[215:216], v[223:224], v[221:222]
	v_div_fmas_f64 v[215:216], v[215:216], v[217:218], v[223:224]
	v_div_fixup_f64 v[217:218], v[215:216], v[213:214], 1.0
	v_mul_f64 v[219:220], v[219:220], -v[217:218]
.LBB115_205:
	s_or_b32 exec_lo, exec_lo, s1
	ds_write2_b64 v255, v[217:218], v[219:220] offset1:1
.LBB115_206:
	s_or_b32 exec_lo, exec_lo, s2
	s_waitcnt lgkmcnt(0)
	s_barrier
	buffer_gl0_inv
	ds_read2_b64 v[193:196], v255 offset1:1
	s_mov_b32 s1, exec_lo
	s_waitcnt lgkmcnt(0)
	buffer_store_dword v193, off, s[16:19], 0 offset:840 ; 4-byte Folded Spill
	buffer_store_dword v194, off, s[16:19], 0 offset:844 ; 4-byte Folded Spill
	;; [unrolled: 1-line block ×4, first 2 shown]
	v_cmpx_lt_u32_e32 22, v0
	s_cbranch_execz .LBB115_208
; %bb.207:
	s_clause 0x3
	buffer_load_dword v193, off, s[16:19], 0 offset:840
	buffer_load_dword v194, off, s[16:19], 0 offset:844
	;; [unrolled: 1-line block ×4, first 2 shown]
	ds_read2_b64 v[215:218], v253 offset0:46 offset1:47
	s_waitcnt vmcnt(0)
	v_mul_f64 v[213:214], v[195:196], v[143:144]
	v_mul_f64 v[143:144], v[193:194], v[143:144]
	v_fma_f64 v[213:214], v[193:194], v[141:142], -v[213:214]
	v_fma_f64 v[143:144], v[195:196], v[141:142], v[143:144]
	s_waitcnt lgkmcnt(0)
	v_mul_f64 v[141:142], v[217:218], v[143:144]
	v_fma_f64 v[141:142], v[215:216], v[213:214], -v[141:142]
	v_mul_f64 v[215:216], v[215:216], v[143:144]
	v_add_f64 v[137:138], v[137:138], -v[141:142]
	v_fma_f64 v[215:216], v[217:218], v[213:214], v[215:216]
	v_add_f64 v[139:140], v[139:140], -v[215:216]
	ds_read2_b64 v[215:218], v253 offset0:48 offset1:49
	s_waitcnt lgkmcnt(0)
	v_mul_f64 v[141:142], v[217:218], v[143:144]
	v_fma_f64 v[141:142], v[215:216], v[213:214], -v[141:142]
	v_mul_f64 v[215:216], v[215:216], v[143:144]
	v_add_f64 v[133:134], v[133:134], -v[141:142]
	v_fma_f64 v[215:216], v[217:218], v[213:214], v[215:216]
	v_add_f64 v[135:136], v[135:136], -v[215:216]
	ds_read2_b64 v[215:218], v253 offset0:50 offset1:51
	;; [unrolled: 8-line block ×34, first 2 shown]
	s_waitcnt lgkmcnt(0)
	v_mul_f64 v[141:142], v[217:218], v[143:144]
	v_fma_f64 v[141:142], v[215:216], v[213:214], -v[141:142]
	v_mul_f64 v[215:216], v[215:216], v[143:144]
	v_add_f64 v[1:2], v[1:2], -v[141:142]
	v_fma_f64 v[215:216], v[217:218], v[213:214], v[215:216]
	v_mov_b32_e32 v141, v213
	v_mov_b32_e32 v142, v214
	v_add_f64 v[3:4], v[3:4], -v[215:216]
.LBB115_208:
	s_or_b32 exec_lo, exec_lo, s1
	s_mov_b32 s2, exec_lo
	s_waitcnt_vscnt null, 0x0
	s_barrier
	buffer_gl0_inv
	v_cmpx_eq_u32_e32 23, v0
	s_cbranch_execz .LBB115_215
; %bb.209:
	ds_write2_b64 v255, v[137:138], v[139:140] offset1:1
	ds_write2_b64 v253, v[133:134], v[135:136] offset0:48 offset1:49
	ds_write2_b64 v253, v[129:130], v[131:132] offset0:50 offset1:51
	ds_write2_b64 v253, v[125:126], v[127:128] offset0:52 offset1:53
	ds_write2_b64 v253, v[121:122], v[123:124] offset0:54 offset1:55
	ds_write2_b64 v253, v[117:118], v[119:120] offset0:56 offset1:57
	ds_write2_b64 v253, v[113:114], v[115:116] offset0:58 offset1:59
	ds_write2_b64 v253, v[109:110], v[111:112] offset0:60 offset1:61
	ds_write2_b64 v253, v[105:106], v[107:108] offset0:62 offset1:63
	ds_write2_b64 v253, v[101:102], v[103:104] offset0:64 offset1:65
	ds_write2_b64 v253, v[97:98], v[99:100] offset0:66 offset1:67
	ds_write2_b64 v253, v[93:94], v[95:96] offset0:68 offset1:69
	ds_write2_b64 v253, v[89:90], v[91:92] offset0:70 offset1:71
	ds_write2_b64 v253, v[85:86], v[87:88] offset0:72 offset1:73
	ds_write2_b64 v253, v[81:82], v[83:84] offset0:74 offset1:75
	ds_write2_b64 v253, v[77:78], v[79:80] offset0:76 offset1:77
	ds_write2_b64 v253, v[73:74], v[75:76] offset0:78 offset1:79
	ds_write2_b64 v253, v[69:70], v[71:72] offset0:80 offset1:81
	ds_write2_b64 v253, v[65:66], v[67:68] offset0:82 offset1:83
	ds_write2_b64 v253, v[61:62], v[63:64] offset0:84 offset1:85
	ds_write2_b64 v253, v[57:58], v[59:60] offset0:86 offset1:87
	ds_write2_b64 v253, v[53:54], v[55:56] offset0:88 offset1:89
	ds_write2_b64 v253, v[49:50], v[51:52] offset0:90 offset1:91
	ds_write2_b64 v253, v[45:46], v[47:48] offset0:92 offset1:93
	ds_write2_b64 v253, v[41:42], v[43:44] offset0:94 offset1:95
	ds_write2_b64 v253, v[37:38], v[39:40] offset0:96 offset1:97
	ds_write2_b64 v253, v[33:34], v[35:36] offset0:98 offset1:99
	ds_write2_b64 v253, v[29:30], v[31:32] offset0:100 offset1:101
	ds_write2_b64 v253, v[25:26], v[27:28] offset0:102 offset1:103
	ds_write2_b64 v253, v[21:22], v[23:24] offset0:104 offset1:105
	ds_write2_b64 v253, v[17:18], v[19:20] offset0:106 offset1:107
	ds_write2_b64 v253, v[13:14], v[15:16] offset0:108 offset1:109
	ds_write2_b64 v253, v[9:10], v[11:12] offset0:110 offset1:111
	ds_write2_b64 v253, v[5:6], v[7:8] offset0:112 offset1:113
	ds_write2_b64 v253, v[1:2], v[3:4] offset0:114 offset1:115
	ds_read2_b64 v[213:216], v255 offset1:1
	s_waitcnt lgkmcnt(0)
	v_cmp_neq_f64_e32 vcc_lo, 0, v[213:214]
	v_cmp_neq_f64_e64 s1, 0, v[215:216]
	s_or_b32 s1, vcc_lo, s1
	s_and_b32 exec_lo, exec_lo, s1
	s_cbranch_execz .LBB115_215
; %bb.210:
	v_cmp_ngt_f64_e64 s1, |v[213:214]|, |v[215:216]|
                                        ; implicit-def: $vgpr217_vgpr218
	s_and_saveexec_b32 s3, s1
	s_xor_b32 s1, exec_lo, s3
                                        ; implicit-def: $vgpr219_vgpr220
	s_cbranch_execz .LBB115_212
; %bb.211:
	v_div_scale_f64 v[217:218], null, v[215:216], v[215:216], v[213:214]
	v_div_scale_f64 v[223:224], vcc_lo, v[213:214], v[215:216], v[213:214]
	v_rcp_f64_e32 v[219:220], v[217:218]
	v_fma_f64 v[221:222], -v[217:218], v[219:220], 1.0
	v_fma_f64 v[219:220], v[219:220], v[221:222], v[219:220]
	v_fma_f64 v[221:222], -v[217:218], v[219:220], 1.0
	v_fma_f64 v[219:220], v[219:220], v[221:222], v[219:220]
	v_mul_f64 v[221:222], v[223:224], v[219:220]
	v_fma_f64 v[217:218], -v[217:218], v[221:222], v[223:224]
	v_div_fmas_f64 v[217:218], v[217:218], v[219:220], v[221:222]
	v_div_fixup_f64 v[217:218], v[217:218], v[215:216], v[213:214]
	v_fma_f64 v[213:214], v[213:214], v[217:218], v[215:216]
	v_div_scale_f64 v[215:216], null, v[213:214], v[213:214], 1.0
	v_rcp_f64_e32 v[219:220], v[215:216]
	v_fma_f64 v[221:222], -v[215:216], v[219:220], 1.0
	v_fma_f64 v[219:220], v[219:220], v[221:222], v[219:220]
	v_fma_f64 v[221:222], -v[215:216], v[219:220], 1.0
	v_fma_f64 v[219:220], v[219:220], v[221:222], v[219:220]
	v_div_scale_f64 v[221:222], vcc_lo, 1.0, v[213:214], 1.0
	v_mul_f64 v[223:224], v[221:222], v[219:220]
	v_fma_f64 v[215:216], -v[215:216], v[223:224], v[221:222]
	v_div_fmas_f64 v[215:216], v[215:216], v[219:220], v[223:224]
	v_div_fixup_f64 v[219:220], v[215:216], v[213:214], 1.0
                                        ; implicit-def: $vgpr213_vgpr214
	v_mul_f64 v[217:218], v[217:218], v[219:220]
	v_xor_b32_e32 v220, 0x80000000, v220
.LBB115_212:
	s_andn2_saveexec_b32 s1, s1
	s_cbranch_execz .LBB115_214
; %bb.213:
	v_div_scale_f64 v[217:218], null, v[213:214], v[213:214], v[215:216]
	v_div_scale_f64 v[223:224], vcc_lo, v[215:216], v[213:214], v[215:216]
	v_rcp_f64_e32 v[219:220], v[217:218]
	v_fma_f64 v[221:222], -v[217:218], v[219:220], 1.0
	v_fma_f64 v[219:220], v[219:220], v[221:222], v[219:220]
	v_fma_f64 v[221:222], -v[217:218], v[219:220], 1.0
	v_fma_f64 v[219:220], v[219:220], v[221:222], v[219:220]
	v_mul_f64 v[221:222], v[223:224], v[219:220]
	v_fma_f64 v[217:218], -v[217:218], v[221:222], v[223:224]
	v_div_fmas_f64 v[217:218], v[217:218], v[219:220], v[221:222]
	v_div_fixup_f64 v[219:220], v[217:218], v[213:214], v[215:216]
	v_fma_f64 v[213:214], v[215:216], v[219:220], v[213:214]
	v_div_scale_f64 v[215:216], null, v[213:214], v[213:214], 1.0
	v_rcp_f64_e32 v[217:218], v[215:216]
	v_fma_f64 v[221:222], -v[215:216], v[217:218], 1.0
	v_fma_f64 v[217:218], v[217:218], v[221:222], v[217:218]
	v_fma_f64 v[221:222], -v[215:216], v[217:218], 1.0
	v_fma_f64 v[217:218], v[217:218], v[221:222], v[217:218]
	v_div_scale_f64 v[221:222], vcc_lo, 1.0, v[213:214], 1.0
	v_mul_f64 v[223:224], v[221:222], v[217:218]
	v_fma_f64 v[215:216], -v[215:216], v[223:224], v[221:222]
	v_div_fmas_f64 v[215:216], v[215:216], v[217:218], v[223:224]
	v_div_fixup_f64 v[217:218], v[215:216], v[213:214], 1.0
	v_mul_f64 v[219:220], v[219:220], -v[217:218]
.LBB115_214:
	s_or_b32 exec_lo, exec_lo, s1
	ds_write2_b64 v255, v[217:218], v[219:220] offset1:1
.LBB115_215:
	s_or_b32 exec_lo, exec_lo, s2
	s_waitcnt lgkmcnt(0)
	s_barrier
	buffer_gl0_inv
	ds_read2_b64 v[193:196], v255 offset1:1
	s_mov_b32 s1, exec_lo
	s_waitcnt lgkmcnt(0)
	buffer_store_dword v193, off, s[16:19], 0 offset:856 ; 4-byte Folded Spill
	buffer_store_dword v194, off, s[16:19], 0 offset:860 ; 4-byte Folded Spill
	;; [unrolled: 1-line block ×4, first 2 shown]
	v_cmpx_lt_u32_e32 23, v0
	s_cbranch_execz .LBB115_217
; %bb.216:
	s_clause 0x3
	buffer_load_dword v193, off, s[16:19], 0 offset:856
	buffer_load_dword v194, off, s[16:19], 0 offset:860
	;; [unrolled: 1-line block ×4, first 2 shown]
	ds_read2_b64 v[215:218], v253 offset0:48 offset1:49
	s_waitcnt vmcnt(0)
	v_mul_f64 v[213:214], v[195:196], v[139:140]
	v_mul_f64 v[139:140], v[193:194], v[139:140]
	v_fma_f64 v[213:214], v[193:194], v[137:138], -v[213:214]
	v_fma_f64 v[139:140], v[195:196], v[137:138], v[139:140]
	s_waitcnt lgkmcnt(0)
	v_mul_f64 v[137:138], v[217:218], v[139:140]
	v_fma_f64 v[137:138], v[215:216], v[213:214], -v[137:138]
	v_mul_f64 v[215:216], v[215:216], v[139:140]
	v_add_f64 v[133:134], v[133:134], -v[137:138]
	v_fma_f64 v[215:216], v[217:218], v[213:214], v[215:216]
	v_add_f64 v[135:136], v[135:136], -v[215:216]
	ds_read2_b64 v[215:218], v253 offset0:50 offset1:51
	s_waitcnt lgkmcnt(0)
	v_mul_f64 v[137:138], v[217:218], v[139:140]
	v_fma_f64 v[137:138], v[215:216], v[213:214], -v[137:138]
	v_mul_f64 v[215:216], v[215:216], v[139:140]
	v_add_f64 v[129:130], v[129:130], -v[137:138]
	v_fma_f64 v[215:216], v[217:218], v[213:214], v[215:216]
	v_add_f64 v[131:132], v[131:132], -v[215:216]
	ds_read2_b64 v[215:218], v253 offset0:52 offset1:53
	;; [unrolled: 8-line block ×33, first 2 shown]
	s_waitcnt lgkmcnt(0)
	v_mul_f64 v[137:138], v[217:218], v[139:140]
	v_fma_f64 v[137:138], v[215:216], v[213:214], -v[137:138]
	v_mul_f64 v[215:216], v[215:216], v[139:140]
	v_add_f64 v[1:2], v[1:2], -v[137:138]
	v_fma_f64 v[215:216], v[217:218], v[213:214], v[215:216]
	v_mov_b32_e32 v137, v213
	v_mov_b32_e32 v138, v214
	v_add_f64 v[3:4], v[3:4], -v[215:216]
.LBB115_217:
	s_or_b32 exec_lo, exec_lo, s1
	s_mov_b32 s2, exec_lo
	s_waitcnt_vscnt null, 0x0
	s_barrier
	buffer_gl0_inv
	v_cmpx_eq_u32_e32 24, v0
	s_cbranch_execz .LBB115_224
; %bb.218:
	ds_write2_b64 v255, v[133:134], v[135:136] offset1:1
	ds_write2_b64 v253, v[129:130], v[131:132] offset0:50 offset1:51
	ds_write2_b64 v253, v[125:126], v[127:128] offset0:52 offset1:53
	;; [unrolled: 1-line block ×33, first 2 shown]
	ds_read2_b64 v[213:216], v255 offset1:1
	s_waitcnt lgkmcnt(0)
	v_cmp_neq_f64_e32 vcc_lo, 0, v[213:214]
	v_cmp_neq_f64_e64 s1, 0, v[215:216]
	s_or_b32 s1, vcc_lo, s1
	s_and_b32 exec_lo, exec_lo, s1
	s_cbranch_execz .LBB115_224
; %bb.219:
	v_cmp_ngt_f64_e64 s1, |v[213:214]|, |v[215:216]|
                                        ; implicit-def: $vgpr217_vgpr218
	s_and_saveexec_b32 s3, s1
	s_xor_b32 s1, exec_lo, s3
                                        ; implicit-def: $vgpr219_vgpr220
	s_cbranch_execz .LBB115_221
; %bb.220:
	v_div_scale_f64 v[217:218], null, v[215:216], v[215:216], v[213:214]
	v_div_scale_f64 v[223:224], vcc_lo, v[213:214], v[215:216], v[213:214]
	v_rcp_f64_e32 v[219:220], v[217:218]
	v_fma_f64 v[221:222], -v[217:218], v[219:220], 1.0
	v_fma_f64 v[219:220], v[219:220], v[221:222], v[219:220]
	v_fma_f64 v[221:222], -v[217:218], v[219:220], 1.0
	v_fma_f64 v[219:220], v[219:220], v[221:222], v[219:220]
	v_mul_f64 v[221:222], v[223:224], v[219:220]
	v_fma_f64 v[217:218], -v[217:218], v[221:222], v[223:224]
	v_div_fmas_f64 v[217:218], v[217:218], v[219:220], v[221:222]
	v_div_fixup_f64 v[217:218], v[217:218], v[215:216], v[213:214]
	v_fma_f64 v[213:214], v[213:214], v[217:218], v[215:216]
	v_div_scale_f64 v[215:216], null, v[213:214], v[213:214], 1.0
	v_rcp_f64_e32 v[219:220], v[215:216]
	v_fma_f64 v[221:222], -v[215:216], v[219:220], 1.0
	v_fma_f64 v[219:220], v[219:220], v[221:222], v[219:220]
	v_fma_f64 v[221:222], -v[215:216], v[219:220], 1.0
	v_fma_f64 v[219:220], v[219:220], v[221:222], v[219:220]
	v_div_scale_f64 v[221:222], vcc_lo, 1.0, v[213:214], 1.0
	v_mul_f64 v[223:224], v[221:222], v[219:220]
	v_fma_f64 v[215:216], -v[215:216], v[223:224], v[221:222]
	v_div_fmas_f64 v[215:216], v[215:216], v[219:220], v[223:224]
	v_div_fixup_f64 v[219:220], v[215:216], v[213:214], 1.0
                                        ; implicit-def: $vgpr213_vgpr214
	v_mul_f64 v[217:218], v[217:218], v[219:220]
	v_xor_b32_e32 v220, 0x80000000, v220
.LBB115_221:
	s_andn2_saveexec_b32 s1, s1
	s_cbranch_execz .LBB115_223
; %bb.222:
	v_div_scale_f64 v[217:218], null, v[213:214], v[213:214], v[215:216]
	v_div_scale_f64 v[223:224], vcc_lo, v[215:216], v[213:214], v[215:216]
	v_rcp_f64_e32 v[219:220], v[217:218]
	v_fma_f64 v[221:222], -v[217:218], v[219:220], 1.0
	v_fma_f64 v[219:220], v[219:220], v[221:222], v[219:220]
	v_fma_f64 v[221:222], -v[217:218], v[219:220], 1.0
	v_fma_f64 v[219:220], v[219:220], v[221:222], v[219:220]
	v_mul_f64 v[221:222], v[223:224], v[219:220]
	v_fma_f64 v[217:218], -v[217:218], v[221:222], v[223:224]
	v_div_fmas_f64 v[217:218], v[217:218], v[219:220], v[221:222]
	v_div_fixup_f64 v[219:220], v[217:218], v[213:214], v[215:216]
	v_fma_f64 v[213:214], v[215:216], v[219:220], v[213:214]
	v_div_scale_f64 v[215:216], null, v[213:214], v[213:214], 1.0
	v_rcp_f64_e32 v[217:218], v[215:216]
	v_fma_f64 v[221:222], -v[215:216], v[217:218], 1.0
	v_fma_f64 v[217:218], v[217:218], v[221:222], v[217:218]
	v_fma_f64 v[221:222], -v[215:216], v[217:218], 1.0
	v_fma_f64 v[217:218], v[217:218], v[221:222], v[217:218]
	v_div_scale_f64 v[221:222], vcc_lo, 1.0, v[213:214], 1.0
	v_mul_f64 v[223:224], v[221:222], v[217:218]
	v_fma_f64 v[215:216], -v[215:216], v[223:224], v[221:222]
	v_div_fmas_f64 v[215:216], v[215:216], v[217:218], v[223:224]
	v_div_fixup_f64 v[217:218], v[215:216], v[213:214], 1.0
	v_mul_f64 v[219:220], v[219:220], -v[217:218]
.LBB115_223:
	s_or_b32 exec_lo, exec_lo, s1
	ds_write2_b64 v255, v[217:218], v[219:220] offset1:1
.LBB115_224:
	s_or_b32 exec_lo, exec_lo, s2
	s_waitcnt lgkmcnt(0)
	s_barrier
	buffer_gl0_inv
	ds_read2_b64 v[193:196], v255 offset1:1
	s_mov_b32 s1, exec_lo
	s_waitcnt lgkmcnt(0)
	buffer_store_dword v193, off, s[16:19], 0 offset:872 ; 4-byte Folded Spill
	buffer_store_dword v194, off, s[16:19], 0 offset:876 ; 4-byte Folded Spill
	;; [unrolled: 1-line block ×4, first 2 shown]
	v_cmpx_lt_u32_e32 24, v0
	s_cbranch_execz .LBB115_226
; %bb.225:
	s_clause 0x3
	buffer_load_dword v193, off, s[16:19], 0 offset:872
	buffer_load_dword v194, off, s[16:19], 0 offset:876
	;; [unrolled: 1-line block ×4, first 2 shown]
	ds_read2_b64 v[215:218], v253 offset0:50 offset1:51
	s_waitcnt vmcnt(0)
	v_mul_f64 v[213:214], v[195:196], v[135:136]
	v_mul_f64 v[135:136], v[193:194], v[135:136]
	v_fma_f64 v[213:214], v[193:194], v[133:134], -v[213:214]
	v_fma_f64 v[135:136], v[195:196], v[133:134], v[135:136]
	s_waitcnt lgkmcnt(0)
	v_mul_f64 v[133:134], v[217:218], v[135:136]
	v_fma_f64 v[133:134], v[215:216], v[213:214], -v[133:134]
	v_mul_f64 v[215:216], v[215:216], v[135:136]
	v_add_f64 v[129:130], v[129:130], -v[133:134]
	v_fma_f64 v[215:216], v[217:218], v[213:214], v[215:216]
	v_add_f64 v[131:132], v[131:132], -v[215:216]
	ds_read2_b64 v[215:218], v253 offset0:52 offset1:53
	s_waitcnt lgkmcnt(0)
	v_mul_f64 v[133:134], v[217:218], v[135:136]
	v_fma_f64 v[133:134], v[215:216], v[213:214], -v[133:134]
	v_mul_f64 v[215:216], v[215:216], v[135:136]
	v_add_f64 v[125:126], v[125:126], -v[133:134]
	v_fma_f64 v[215:216], v[217:218], v[213:214], v[215:216]
	v_add_f64 v[127:128], v[127:128], -v[215:216]
	ds_read2_b64 v[215:218], v253 offset0:54 offset1:55
	;; [unrolled: 8-line block ×32, first 2 shown]
	s_waitcnt lgkmcnt(0)
	v_mul_f64 v[133:134], v[217:218], v[135:136]
	v_fma_f64 v[133:134], v[215:216], v[213:214], -v[133:134]
	v_mul_f64 v[215:216], v[215:216], v[135:136]
	v_add_f64 v[1:2], v[1:2], -v[133:134]
	v_fma_f64 v[215:216], v[217:218], v[213:214], v[215:216]
	v_mov_b32_e32 v133, v213
	v_mov_b32_e32 v134, v214
	v_add_f64 v[3:4], v[3:4], -v[215:216]
.LBB115_226:
	s_or_b32 exec_lo, exec_lo, s1
	s_mov_b32 s2, exec_lo
	s_waitcnt_vscnt null, 0x0
	s_barrier
	buffer_gl0_inv
	v_cmpx_eq_u32_e32 25, v0
	s_cbranch_execz .LBB115_233
; %bb.227:
	ds_write2_b64 v255, v[129:130], v[131:132] offset1:1
	ds_write2_b64 v253, v[125:126], v[127:128] offset0:52 offset1:53
	ds_write2_b64 v253, v[121:122], v[123:124] offset0:54 offset1:55
	;; [unrolled: 1-line block ×32, first 2 shown]
	ds_read2_b64 v[213:216], v255 offset1:1
	s_waitcnt lgkmcnt(0)
	v_cmp_neq_f64_e32 vcc_lo, 0, v[213:214]
	v_cmp_neq_f64_e64 s1, 0, v[215:216]
	s_or_b32 s1, vcc_lo, s1
	s_and_b32 exec_lo, exec_lo, s1
	s_cbranch_execz .LBB115_233
; %bb.228:
	v_cmp_ngt_f64_e64 s1, |v[213:214]|, |v[215:216]|
                                        ; implicit-def: $vgpr217_vgpr218
	s_and_saveexec_b32 s3, s1
	s_xor_b32 s1, exec_lo, s3
                                        ; implicit-def: $vgpr219_vgpr220
	s_cbranch_execz .LBB115_230
; %bb.229:
	v_div_scale_f64 v[217:218], null, v[215:216], v[215:216], v[213:214]
	v_div_scale_f64 v[223:224], vcc_lo, v[213:214], v[215:216], v[213:214]
	v_rcp_f64_e32 v[219:220], v[217:218]
	v_fma_f64 v[221:222], -v[217:218], v[219:220], 1.0
	v_fma_f64 v[219:220], v[219:220], v[221:222], v[219:220]
	v_fma_f64 v[221:222], -v[217:218], v[219:220], 1.0
	v_fma_f64 v[219:220], v[219:220], v[221:222], v[219:220]
	v_mul_f64 v[221:222], v[223:224], v[219:220]
	v_fma_f64 v[217:218], -v[217:218], v[221:222], v[223:224]
	v_div_fmas_f64 v[217:218], v[217:218], v[219:220], v[221:222]
	v_div_fixup_f64 v[217:218], v[217:218], v[215:216], v[213:214]
	v_fma_f64 v[213:214], v[213:214], v[217:218], v[215:216]
	v_div_scale_f64 v[215:216], null, v[213:214], v[213:214], 1.0
	v_rcp_f64_e32 v[219:220], v[215:216]
	v_fma_f64 v[221:222], -v[215:216], v[219:220], 1.0
	v_fma_f64 v[219:220], v[219:220], v[221:222], v[219:220]
	v_fma_f64 v[221:222], -v[215:216], v[219:220], 1.0
	v_fma_f64 v[219:220], v[219:220], v[221:222], v[219:220]
	v_div_scale_f64 v[221:222], vcc_lo, 1.0, v[213:214], 1.0
	v_mul_f64 v[223:224], v[221:222], v[219:220]
	v_fma_f64 v[215:216], -v[215:216], v[223:224], v[221:222]
	v_div_fmas_f64 v[215:216], v[215:216], v[219:220], v[223:224]
	v_div_fixup_f64 v[219:220], v[215:216], v[213:214], 1.0
                                        ; implicit-def: $vgpr213_vgpr214
	v_mul_f64 v[217:218], v[217:218], v[219:220]
	v_xor_b32_e32 v220, 0x80000000, v220
.LBB115_230:
	s_andn2_saveexec_b32 s1, s1
	s_cbranch_execz .LBB115_232
; %bb.231:
	v_div_scale_f64 v[217:218], null, v[213:214], v[213:214], v[215:216]
	v_div_scale_f64 v[223:224], vcc_lo, v[215:216], v[213:214], v[215:216]
	v_rcp_f64_e32 v[219:220], v[217:218]
	v_fma_f64 v[221:222], -v[217:218], v[219:220], 1.0
	v_fma_f64 v[219:220], v[219:220], v[221:222], v[219:220]
	v_fma_f64 v[221:222], -v[217:218], v[219:220], 1.0
	v_fma_f64 v[219:220], v[219:220], v[221:222], v[219:220]
	v_mul_f64 v[221:222], v[223:224], v[219:220]
	v_fma_f64 v[217:218], -v[217:218], v[221:222], v[223:224]
	v_div_fmas_f64 v[217:218], v[217:218], v[219:220], v[221:222]
	v_div_fixup_f64 v[219:220], v[217:218], v[213:214], v[215:216]
	v_fma_f64 v[213:214], v[215:216], v[219:220], v[213:214]
	v_div_scale_f64 v[215:216], null, v[213:214], v[213:214], 1.0
	v_rcp_f64_e32 v[217:218], v[215:216]
	v_fma_f64 v[221:222], -v[215:216], v[217:218], 1.0
	v_fma_f64 v[217:218], v[217:218], v[221:222], v[217:218]
	v_fma_f64 v[221:222], -v[215:216], v[217:218], 1.0
	v_fma_f64 v[217:218], v[217:218], v[221:222], v[217:218]
	v_div_scale_f64 v[221:222], vcc_lo, 1.0, v[213:214], 1.0
	v_mul_f64 v[223:224], v[221:222], v[217:218]
	v_fma_f64 v[215:216], -v[215:216], v[223:224], v[221:222]
	v_div_fmas_f64 v[215:216], v[215:216], v[217:218], v[223:224]
	v_div_fixup_f64 v[217:218], v[215:216], v[213:214], 1.0
	v_mul_f64 v[219:220], v[219:220], -v[217:218]
.LBB115_232:
	s_or_b32 exec_lo, exec_lo, s1
	ds_write2_b64 v255, v[217:218], v[219:220] offset1:1
.LBB115_233:
	s_or_b32 exec_lo, exec_lo, s2
	s_waitcnt lgkmcnt(0)
	s_barrier
	buffer_gl0_inv
	ds_read2_b64 v[193:196], v255 offset1:1
	s_mov_b32 s1, exec_lo
	s_waitcnt lgkmcnt(0)
	buffer_store_dword v193, off, s[16:19], 0 offset:888 ; 4-byte Folded Spill
	buffer_store_dword v194, off, s[16:19], 0 offset:892 ; 4-byte Folded Spill
	;; [unrolled: 1-line block ×4, first 2 shown]
	v_cmpx_lt_u32_e32 25, v0
	s_cbranch_execz .LBB115_235
; %bb.234:
	s_clause 0x3
	buffer_load_dword v193, off, s[16:19], 0 offset:888
	buffer_load_dword v194, off, s[16:19], 0 offset:892
	;; [unrolled: 1-line block ×4, first 2 shown]
	ds_read2_b64 v[215:218], v253 offset0:52 offset1:53
	s_waitcnt vmcnt(0)
	v_mul_f64 v[213:214], v[195:196], v[131:132]
	v_mul_f64 v[131:132], v[193:194], v[131:132]
	v_fma_f64 v[213:214], v[193:194], v[129:130], -v[213:214]
	v_fma_f64 v[131:132], v[195:196], v[129:130], v[131:132]
	s_waitcnt lgkmcnt(0)
	v_mul_f64 v[129:130], v[217:218], v[131:132]
	v_fma_f64 v[129:130], v[215:216], v[213:214], -v[129:130]
	v_mul_f64 v[215:216], v[215:216], v[131:132]
	v_add_f64 v[125:126], v[125:126], -v[129:130]
	v_fma_f64 v[215:216], v[217:218], v[213:214], v[215:216]
	v_add_f64 v[127:128], v[127:128], -v[215:216]
	ds_read2_b64 v[215:218], v253 offset0:54 offset1:55
	s_waitcnt lgkmcnt(0)
	v_mul_f64 v[129:130], v[217:218], v[131:132]
	v_fma_f64 v[129:130], v[215:216], v[213:214], -v[129:130]
	v_mul_f64 v[215:216], v[215:216], v[131:132]
	v_add_f64 v[121:122], v[121:122], -v[129:130]
	v_fma_f64 v[215:216], v[217:218], v[213:214], v[215:216]
	v_add_f64 v[123:124], v[123:124], -v[215:216]
	ds_read2_b64 v[215:218], v253 offset0:56 offset1:57
	;; [unrolled: 8-line block ×31, first 2 shown]
	s_waitcnt lgkmcnt(0)
	v_mul_f64 v[129:130], v[217:218], v[131:132]
	v_fma_f64 v[129:130], v[215:216], v[213:214], -v[129:130]
	v_mul_f64 v[215:216], v[215:216], v[131:132]
	v_add_f64 v[1:2], v[1:2], -v[129:130]
	v_fma_f64 v[215:216], v[217:218], v[213:214], v[215:216]
	v_mov_b32_e32 v129, v213
	v_mov_b32_e32 v130, v214
	v_add_f64 v[3:4], v[3:4], -v[215:216]
.LBB115_235:
	s_or_b32 exec_lo, exec_lo, s1
	s_mov_b32 s2, exec_lo
	s_waitcnt_vscnt null, 0x0
	s_barrier
	buffer_gl0_inv
	v_cmpx_eq_u32_e32 26, v0
	s_cbranch_execz .LBB115_242
; %bb.236:
	ds_write2_b64 v255, v[125:126], v[127:128] offset1:1
	ds_write2_b64 v253, v[121:122], v[123:124] offset0:54 offset1:55
	ds_write2_b64 v253, v[117:118], v[119:120] offset0:56 offset1:57
	;; [unrolled: 1-line block ×31, first 2 shown]
	ds_read2_b64 v[213:216], v255 offset1:1
	s_waitcnt lgkmcnt(0)
	v_cmp_neq_f64_e32 vcc_lo, 0, v[213:214]
	v_cmp_neq_f64_e64 s1, 0, v[215:216]
	s_or_b32 s1, vcc_lo, s1
	s_and_b32 exec_lo, exec_lo, s1
	s_cbranch_execz .LBB115_242
; %bb.237:
	v_cmp_ngt_f64_e64 s1, |v[213:214]|, |v[215:216]|
                                        ; implicit-def: $vgpr217_vgpr218
	s_and_saveexec_b32 s3, s1
	s_xor_b32 s1, exec_lo, s3
                                        ; implicit-def: $vgpr219_vgpr220
	s_cbranch_execz .LBB115_239
; %bb.238:
	v_div_scale_f64 v[217:218], null, v[215:216], v[215:216], v[213:214]
	v_div_scale_f64 v[223:224], vcc_lo, v[213:214], v[215:216], v[213:214]
	v_rcp_f64_e32 v[219:220], v[217:218]
	v_fma_f64 v[221:222], -v[217:218], v[219:220], 1.0
	v_fma_f64 v[219:220], v[219:220], v[221:222], v[219:220]
	v_fma_f64 v[221:222], -v[217:218], v[219:220], 1.0
	v_fma_f64 v[219:220], v[219:220], v[221:222], v[219:220]
	v_mul_f64 v[221:222], v[223:224], v[219:220]
	v_fma_f64 v[217:218], -v[217:218], v[221:222], v[223:224]
	v_div_fmas_f64 v[217:218], v[217:218], v[219:220], v[221:222]
	v_div_fixup_f64 v[217:218], v[217:218], v[215:216], v[213:214]
	v_fma_f64 v[213:214], v[213:214], v[217:218], v[215:216]
	v_div_scale_f64 v[215:216], null, v[213:214], v[213:214], 1.0
	v_rcp_f64_e32 v[219:220], v[215:216]
	v_fma_f64 v[221:222], -v[215:216], v[219:220], 1.0
	v_fma_f64 v[219:220], v[219:220], v[221:222], v[219:220]
	v_fma_f64 v[221:222], -v[215:216], v[219:220], 1.0
	v_fma_f64 v[219:220], v[219:220], v[221:222], v[219:220]
	v_div_scale_f64 v[221:222], vcc_lo, 1.0, v[213:214], 1.0
	v_mul_f64 v[223:224], v[221:222], v[219:220]
	v_fma_f64 v[215:216], -v[215:216], v[223:224], v[221:222]
	v_div_fmas_f64 v[215:216], v[215:216], v[219:220], v[223:224]
	v_div_fixup_f64 v[219:220], v[215:216], v[213:214], 1.0
                                        ; implicit-def: $vgpr213_vgpr214
	v_mul_f64 v[217:218], v[217:218], v[219:220]
	v_xor_b32_e32 v220, 0x80000000, v220
.LBB115_239:
	s_andn2_saveexec_b32 s1, s1
	s_cbranch_execz .LBB115_241
; %bb.240:
	v_div_scale_f64 v[217:218], null, v[213:214], v[213:214], v[215:216]
	v_div_scale_f64 v[223:224], vcc_lo, v[215:216], v[213:214], v[215:216]
	v_rcp_f64_e32 v[219:220], v[217:218]
	v_fma_f64 v[221:222], -v[217:218], v[219:220], 1.0
	v_fma_f64 v[219:220], v[219:220], v[221:222], v[219:220]
	v_fma_f64 v[221:222], -v[217:218], v[219:220], 1.0
	v_fma_f64 v[219:220], v[219:220], v[221:222], v[219:220]
	v_mul_f64 v[221:222], v[223:224], v[219:220]
	v_fma_f64 v[217:218], -v[217:218], v[221:222], v[223:224]
	v_div_fmas_f64 v[217:218], v[217:218], v[219:220], v[221:222]
	v_div_fixup_f64 v[219:220], v[217:218], v[213:214], v[215:216]
	v_fma_f64 v[213:214], v[215:216], v[219:220], v[213:214]
	v_div_scale_f64 v[215:216], null, v[213:214], v[213:214], 1.0
	v_rcp_f64_e32 v[217:218], v[215:216]
	v_fma_f64 v[221:222], -v[215:216], v[217:218], 1.0
	v_fma_f64 v[217:218], v[217:218], v[221:222], v[217:218]
	v_fma_f64 v[221:222], -v[215:216], v[217:218], 1.0
	v_fma_f64 v[217:218], v[217:218], v[221:222], v[217:218]
	v_div_scale_f64 v[221:222], vcc_lo, 1.0, v[213:214], 1.0
	v_mul_f64 v[223:224], v[221:222], v[217:218]
	v_fma_f64 v[215:216], -v[215:216], v[223:224], v[221:222]
	v_div_fmas_f64 v[215:216], v[215:216], v[217:218], v[223:224]
	v_div_fixup_f64 v[217:218], v[215:216], v[213:214], 1.0
	v_mul_f64 v[219:220], v[219:220], -v[217:218]
.LBB115_241:
	s_or_b32 exec_lo, exec_lo, s1
	ds_write2_b64 v255, v[217:218], v[219:220] offset1:1
.LBB115_242:
	s_or_b32 exec_lo, exec_lo, s2
	s_waitcnt lgkmcnt(0)
	s_barrier
	buffer_gl0_inv
	ds_read2_b64 v[193:196], v255 offset1:1
	s_mov_b32 s1, exec_lo
	s_waitcnt lgkmcnt(0)
	buffer_store_dword v193, off, s[16:19], 0 offset:904 ; 4-byte Folded Spill
	buffer_store_dword v194, off, s[16:19], 0 offset:908 ; 4-byte Folded Spill
	buffer_store_dword v195, off, s[16:19], 0 offset:912 ; 4-byte Folded Spill
	buffer_store_dword v196, off, s[16:19], 0 offset:916 ; 4-byte Folded Spill
	v_cmpx_lt_u32_e32 26, v0
	s_cbranch_execz .LBB115_244
; %bb.243:
	s_clause 0x3
	buffer_load_dword v193, off, s[16:19], 0 offset:904
	buffer_load_dword v194, off, s[16:19], 0 offset:908
	;; [unrolled: 1-line block ×4, first 2 shown]
	ds_read2_b64 v[215:218], v253 offset0:54 offset1:55
	s_waitcnt vmcnt(0)
	v_mul_f64 v[213:214], v[195:196], v[127:128]
	v_mul_f64 v[127:128], v[193:194], v[127:128]
	v_fma_f64 v[213:214], v[193:194], v[125:126], -v[213:214]
	v_fma_f64 v[127:128], v[195:196], v[125:126], v[127:128]
	s_waitcnt lgkmcnt(0)
	v_mul_f64 v[125:126], v[217:218], v[127:128]
	v_fma_f64 v[125:126], v[215:216], v[213:214], -v[125:126]
	v_mul_f64 v[215:216], v[215:216], v[127:128]
	v_add_f64 v[121:122], v[121:122], -v[125:126]
	v_fma_f64 v[215:216], v[217:218], v[213:214], v[215:216]
	v_add_f64 v[123:124], v[123:124], -v[215:216]
	ds_read2_b64 v[215:218], v253 offset0:56 offset1:57
	s_waitcnt lgkmcnt(0)
	v_mul_f64 v[125:126], v[217:218], v[127:128]
	v_fma_f64 v[125:126], v[215:216], v[213:214], -v[125:126]
	v_mul_f64 v[215:216], v[215:216], v[127:128]
	v_add_f64 v[117:118], v[117:118], -v[125:126]
	v_fma_f64 v[215:216], v[217:218], v[213:214], v[215:216]
	v_add_f64 v[119:120], v[119:120], -v[215:216]
	ds_read2_b64 v[215:218], v253 offset0:58 offset1:59
	;; [unrolled: 8-line block ×30, first 2 shown]
	s_waitcnt lgkmcnt(0)
	v_mul_f64 v[125:126], v[217:218], v[127:128]
	v_fma_f64 v[125:126], v[215:216], v[213:214], -v[125:126]
	v_mul_f64 v[215:216], v[215:216], v[127:128]
	v_add_f64 v[1:2], v[1:2], -v[125:126]
	v_fma_f64 v[215:216], v[217:218], v[213:214], v[215:216]
	v_mov_b32_e32 v125, v213
	v_mov_b32_e32 v126, v214
	v_add_f64 v[3:4], v[3:4], -v[215:216]
.LBB115_244:
	s_or_b32 exec_lo, exec_lo, s1
	s_mov_b32 s2, exec_lo
	s_waitcnt_vscnt null, 0x0
	s_barrier
	buffer_gl0_inv
	v_cmpx_eq_u32_e32 27, v0
	s_cbranch_execz .LBB115_251
; %bb.245:
	ds_write2_b64 v255, v[121:122], v[123:124] offset1:1
	ds_write2_b64 v253, v[117:118], v[119:120] offset0:56 offset1:57
	ds_write2_b64 v253, v[113:114], v[115:116] offset0:58 offset1:59
	;; [unrolled: 1-line block ×30, first 2 shown]
	ds_read2_b64 v[213:216], v255 offset1:1
	s_waitcnt lgkmcnt(0)
	v_cmp_neq_f64_e32 vcc_lo, 0, v[213:214]
	v_cmp_neq_f64_e64 s1, 0, v[215:216]
	s_or_b32 s1, vcc_lo, s1
	s_and_b32 exec_lo, exec_lo, s1
	s_cbranch_execz .LBB115_251
; %bb.246:
	v_cmp_ngt_f64_e64 s1, |v[213:214]|, |v[215:216]|
                                        ; implicit-def: $vgpr217_vgpr218
	s_and_saveexec_b32 s3, s1
	s_xor_b32 s1, exec_lo, s3
                                        ; implicit-def: $vgpr219_vgpr220
	s_cbranch_execz .LBB115_248
; %bb.247:
	v_div_scale_f64 v[217:218], null, v[215:216], v[215:216], v[213:214]
	v_div_scale_f64 v[223:224], vcc_lo, v[213:214], v[215:216], v[213:214]
	v_rcp_f64_e32 v[219:220], v[217:218]
	v_fma_f64 v[221:222], -v[217:218], v[219:220], 1.0
	v_fma_f64 v[219:220], v[219:220], v[221:222], v[219:220]
	v_fma_f64 v[221:222], -v[217:218], v[219:220], 1.0
	v_fma_f64 v[219:220], v[219:220], v[221:222], v[219:220]
	v_mul_f64 v[221:222], v[223:224], v[219:220]
	v_fma_f64 v[217:218], -v[217:218], v[221:222], v[223:224]
	v_div_fmas_f64 v[217:218], v[217:218], v[219:220], v[221:222]
	v_div_fixup_f64 v[217:218], v[217:218], v[215:216], v[213:214]
	v_fma_f64 v[213:214], v[213:214], v[217:218], v[215:216]
	v_div_scale_f64 v[215:216], null, v[213:214], v[213:214], 1.0
	v_rcp_f64_e32 v[219:220], v[215:216]
	v_fma_f64 v[221:222], -v[215:216], v[219:220], 1.0
	v_fma_f64 v[219:220], v[219:220], v[221:222], v[219:220]
	v_fma_f64 v[221:222], -v[215:216], v[219:220], 1.0
	v_fma_f64 v[219:220], v[219:220], v[221:222], v[219:220]
	v_div_scale_f64 v[221:222], vcc_lo, 1.0, v[213:214], 1.0
	v_mul_f64 v[223:224], v[221:222], v[219:220]
	v_fma_f64 v[215:216], -v[215:216], v[223:224], v[221:222]
	v_div_fmas_f64 v[215:216], v[215:216], v[219:220], v[223:224]
	v_div_fixup_f64 v[219:220], v[215:216], v[213:214], 1.0
                                        ; implicit-def: $vgpr213_vgpr214
	v_mul_f64 v[217:218], v[217:218], v[219:220]
	v_xor_b32_e32 v220, 0x80000000, v220
.LBB115_248:
	s_andn2_saveexec_b32 s1, s1
	s_cbranch_execz .LBB115_250
; %bb.249:
	v_div_scale_f64 v[217:218], null, v[213:214], v[213:214], v[215:216]
	v_div_scale_f64 v[223:224], vcc_lo, v[215:216], v[213:214], v[215:216]
	v_rcp_f64_e32 v[219:220], v[217:218]
	v_fma_f64 v[221:222], -v[217:218], v[219:220], 1.0
	v_fma_f64 v[219:220], v[219:220], v[221:222], v[219:220]
	v_fma_f64 v[221:222], -v[217:218], v[219:220], 1.0
	v_fma_f64 v[219:220], v[219:220], v[221:222], v[219:220]
	v_mul_f64 v[221:222], v[223:224], v[219:220]
	v_fma_f64 v[217:218], -v[217:218], v[221:222], v[223:224]
	v_div_fmas_f64 v[217:218], v[217:218], v[219:220], v[221:222]
	v_div_fixup_f64 v[219:220], v[217:218], v[213:214], v[215:216]
	v_fma_f64 v[213:214], v[215:216], v[219:220], v[213:214]
	v_div_scale_f64 v[215:216], null, v[213:214], v[213:214], 1.0
	v_rcp_f64_e32 v[217:218], v[215:216]
	v_fma_f64 v[221:222], -v[215:216], v[217:218], 1.0
	v_fma_f64 v[217:218], v[217:218], v[221:222], v[217:218]
	v_fma_f64 v[221:222], -v[215:216], v[217:218], 1.0
	v_fma_f64 v[217:218], v[217:218], v[221:222], v[217:218]
	v_div_scale_f64 v[221:222], vcc_lo, 1.0, v[213:214], 1.0
	v_mul_f64 v[223:224], v[221:222], v[217:218]
	v_fma_f64 v[215:216], -v[215:216], v[223:224], v[221:222]
	v_div_fmas_f64 v[215:216], v[215:216], v[217:218], v[223:224]
	v_div_fixup_f64 v[217:218], v[215:216], v[213:214], 1.0
	v_mul_f64 v[219:220], v[219:220], -v[217:218]
.LBB115_250:
	s_or_b32 exec_lo, exec_lo, s1
	ds_write2_b64 v255, v[217:218], v[219:220] offset1:1
.LBB115_251:
	s_or_b32 exec_lo, exec_lo, s2
	s_waitcnt lgkmcnt(0)
	s_barrier
	buffer_gl0_inv
	ds_read2_b64 v[193:196], v255 offset1:1
	s_mov_b32 s1, exec_lo
	s_waitcnt lgkmcnt(0)
	buffer_store_dword v193, off, s[16:19], 0 offset:920 ; 4-byte Folded Spill
	buffer_store_dword v194, off, s[16:19], 0 offset:924 ; 4-byte Folded Spill
	;; [unrolled: 1-line block ×4, first 2 shown]
	v_cmpx_lt_u32_e32 27, v0
	s_cbranch_execz .LBB115_253
; %bb.252:
	s_clause 0x3
	buffer_load_dword v193, off, s[16:19], 0 offset:920
	buffer_load_dword v194, off, s[16:19], 0 offset:924
	buffer_load_dword v195, off, s[16:19], 0 offset:928
	buffer_load_dword v196, off, s[16:19], 0 offset:932
	ds_read2_b64 v[215:218], v253 offset0:56 offset1:57
	s_waitcnt vmcnt(0)
	v_mul_f64 v[213:214], v[195:196], v[123:124]
	v_mul_f64 v[123:124], v[193:194], v[123:124]
	v_fma_f64 v[213:214], v[193:194], v[121:122], -v[213:214]
	v_fma_f64 v[123:124], v[195:196], v[121:122], v[123:124]
	s_waitcnt lgkmcnt(0)
	v_mul_f64 v[121:122], v[217:218], v[123:124]
	v_fma_f64 v[121:122], v[215:216], v[213:214], -v[121:122]
	v_mul_f64 v[215:216], v[215:216], v[123:124]
	v_add_f64 v[117:118], v[117:118], -v[121:122]
	v_fma_f64 v[215:216], v[217:218], v[213:214], v[215:216]
	v_add_f64 v[119:120], v[119:120], -v[215:216]
	ds_read2_b64 v[215:218], v253 offset0:58 offset1:59
	s_waitcnt lgkmcnt(0)
	v_mul_f64 v[121:122], v[217:218], v[123:124]
	v_fma_f64 v[121:122], v[215:216], v[213:214], -v[121:122]
	v_mul_f64 v[215:216], v[215:216], v[123:124]
	v_add_f64 v[113:114], v[113:114], -v[121:122]
	v_fma_f64 v[215:216], v[217:218], v[213:214], v[215:216]
	v_add_f64 v[115:116], v[115:116], -v[215:216]
	ds_read2_b64 v[215:218], v253 offset0:60 offset1:61
	;; [unrolled: 8-line block ×29, first 2 shown]
	s_waitcnt lgkmcnt(0)
	v_mul_f64 v[121:122], v[217:218], v[123:124]
	v_fma_f64 v[121:122], v[215:216], v[213:214], -v[121:122]
	v_mul_f64 v[215:216], v[215:216], v[123:124]
	v_add_f64 v[1:2], v[1:2], -v[121:122]
	v_fma_f64 v[215:216], v[217:218], v[213:214], v[215:216]
	v_mov_b32_e32 v121, v213
	v_mov_b32_e32 v122, v214
	v_add_f64 v[3:4], v[3:4], -v[215:216]
.LBB115_253:
	s_or_b32 exec_lo, exec_lo, s1
	s_mov_b32 s2, exec_lo
	s_waitcnt_vscnt null, 0x0
	s_barrier
	buffer_gl0_inv
	v_cmpx_eq_u32_e32 28, v0
	s_cbranch_execz .LBB115_260
; %bb.254:
	ds_write2_b64 v255, v[117:118], v[119:120] offset1:1
	ds_write2_b64 v253, v[113:114], v[115:116] offset0:58 offset1:59
	ds_write2_b64 v253, v[109:110], v[111:112] offset0:60 offset1:61
	;; [unrolled: 1-line block ×29, first 2 shown]
	ds_read2_b64 v[213:216], v255 offset1:1
	s_waitcnt lgkmcnt(0)
	v_cmp_neq_f64_e32 vcc_lo, 0, v[213:214]
	v_cmp_neq_f64_e64 s1, 0, v[215:216]
	s_or_b32 s1, vcc_lo, s1
	s_and_b32 exec_lo, exec_lo, s1
	s_cbranch_execz .LBB115_260
; %bb.255:
	v_cmp_ngt_f64_e64 s1, |v[213:214]|, |v[215:216]|
                                        ; implicit-def: $vgpr217_vgpr218
	s_and_saveexec_b32 s3, s1
	s_xor_b32 s1, exec_lo, s3
                                        ; implicit-def: $vgpr219_vgpr220
	s_cbranch_execz .LBB115_257
; %bb.256:
	v_div_scale_f64 v[217:218], null, v[215:216], v[215:216], v[213:214]
	v_div_scale_f64 v[223:224], vcc_lo, v[213:214], v[215:216], v[213:214]
	v_rcp_f64_e32 v[219:220], v[217:218]
	v_fma_f64 v[221:222], -v[217:218], v[219:220], 1.0
	v_fma_f64 v[219:220], v[219:220], v[221:222], v[219:220]
	v_fma_f64 v[221:222], -v[217:218], v[219:220], 1.0
	v_fma_f64 v[219:220], v[219:220], v[221:222], v[219:220]
	v_mul_f64 v[221:222], v[223:224], v[219:220]
	v_fma_f64 v[217:218], -v[217:218], v[221:222], v[223:224]
	v_div_fmas_f64 v[217:218], v[217:218], v[219:220], v[221:222]
	v_div_fixup_f64 v[217:218], v[217:218], v[215:216], v[213:214]
	v_fma_f64 v[213:214], v[213:214], v[217:218], v[215:216]
	v_div_scale_f64 v[215:216], null, v[213:214], v[213:214], 1.0
	v_rcp_f64_e32 v[219:220], v[215:216]
	v_fma_f64 v[221:222], -v[215:216], v[219:220], 1.0
	v_fma_f64 v[219:220], v[219:220], v[221:222], v[219:220]
	v_fma_f64 v[221:222], -v[215:216], v[219:220], 1.0
	v_fma_f64 v[219:220], v[219:220], v[221:222], v[219:220]
	v_div_scale_f64 v[221:222], vcc_lo, 1.0, v[213:214], 1.0
	v_mul_f64 v[223:224], v[221:222], v[219:220]
	v_fma_f64 v[215:216], -v[215:216], v[223:224], v[221:222]
	v_div_fmas_f64 v[215:216], v[215:216], v[219:220], v[223:224]
	v_div_fixup_f64 v[219:220], v[215:216], v[213:214], 1.0
                                        ; implicit-def: $vgpr213_vgpr214
	v_mul_f64 v[217:218], v[217:218], v[219:220]
	v_xor_b32_e32 v220, 0x80000000, v220
.LBB115_257:
	s_andn2_saveexec_b32 s1, s1
	s_cbranch_execz .LBB115_259
; %bb.258:
	v_div_scale_f64 v[217:218], null, v[213:214], v[213:214], v[215:216]
	v_div_scale_f64 v[223:224], vcc_lo, v[215:216], v[213:214], v[215:216]
	v_rcp_f64_e32 v[219:220], v[217:218]
	v_fma_f64 v[221:222], -v[217:218], v[219:220], 1.0
	v_fma_f64 v[219:220], v[219:220], v[221:222], v[219:220]
	v_fma_f64 v[221:222], -v[217:218], v[219:220], 1.0
	v_fma_f64 v[219:220], v[219:220], v[221:222], v[219:220]
	v_mul_f64 v[221:222], v[223:224], v[219:220]
	v_fma_f64 v[217:218], -v[217:218], v[221:222], v[223:224]
	v_div_fmas_f64 v[217:218], v[217:218], v[219:220], v[221:222]
	v_div_fixup_f64 v[219:220], v[217:218], v[213:214], v[215:216]
	v_fma_f64 v[213:214], v[215:216], v[219:220], v[213:214]
	v_div_scale_f64 v[215:216], null, v[213:214], v[213:214], 1.0
	v_rcp_f64_e32 v[217:218], v[215:216]
	v_fma_f64 v[221:222], -v[215:216], v[217:218], 1.0
	v_fma_f64 v[217:218], v[217:218], v[221:222], v[217:218]
	v_fma_f64 v[221:222], -v[215:216], v[217:218], 1.0
	v_fma_f64 v[217:218], v[217:218], v[221:222], v[217:218]
	v_div_scale_f64 v[221:222], vcc_lo, 1.0, v[213:214], 1.0
	v_mul_f64 v[223:224], v[221:222], v[217:218]
	v_fma_f64 v[215:216], -v[215:216], v[223:224], v[221:222]
	v_div_fmas_f64 v[215:216], v[215:216], v[217:218], v[223:224]
	v_div_fixup_f64 v[217:218], v[215:216], v[213:214], 1.0
	v_mul_f64 v[219:220], v[219:220], -v[217:218]
.LBB115_259:
	s_or_b32 exec_lo, exec_lo, s1
	ds_write2_b64 v255, v[217:218], v[219:220] offset1:1
.LBB115_260:
	s_or_b32 exec_lo, exec_lo, s2
	s_waitcnt lgkmcnt(0)
	s_barrier
	buffer_gl0_inv
	ds_read2_b64 v[193:196], v255 offset1:1
	s_mov_b32 s1, exec_lo
	s_waitcnt lgkmcnt(0)
	buffer_store_dword v193, off, s[16:19], 0 offset:936 ; 4-byte Folded Spill
	buffer_store_dword v194, off, s[16:19], 0 offset:940 ; 4-byte Folded Spill
	;; [unrolled: 1-line block ×4, first 2 shown]
	v_cmpx_lt_u32_e32 28, v0
	s_cbranch_execz .LBB115_262
; %bb.261:
	s_clause 0x3
	buffer_load_dword v193, off, s[16:19], 0 offset:936
	buffer_load_dword v194, off, s[16:19], 0 offset:940
	;; [unrolled: 1-line block ×4, first 2 shown]
	ds_read2_b64 v[215:218], v253 offset0:58 offset1:59
	s_waitcnt vmcnt(0)
	v_mul_f64 v[213:214], v[195:196], v[119:120]
	v_mul_f64 v[119:120], v[193:194], v[119:120]
	v_fma_f64 v[213:214], v[193:194], v[117:118], -v[213:214]
	v_fma_f64 v[119:120], v[195:196], v[117:118], v[119:120]
	s_waitcnt lgkmcnt(0)
	v_mul_f64 v[117:118], v[217:218], v[119:120]
	v_fma_f64 v[117:118], v[215:216], v[213:214], -v[117:118]
	v_mul_f64 v[215:216], v[215:216], v[119:120]
	v_add_f64 v[113:114], v[113:114], -v[117:118]
	v_fma_f64 v[215:216], v[217:218], v[213:214], v[215:216]
	v_add_f64 v[115:116], v[115:116], -v[215:216]
	ds_read2_b64 v[215:218], v253 offset0:60 offset1:61
	s_waitcnt lgkmcnt(0)
	v_mul_f64 v[117:118], v[217:218], v[119:120]
	v_fma_f64 v[117:118], v[215:216], v[213:214], -v[117:118]
	v_mul_f64 v[215:216], v[215:216], v[119:120]
	v_add_f64 v[109:110], v[109:110], -v[117:118]
	v_fma_f64 v[215:216], v[217:218], v[213:214], v[215:216]
	v_add_f64 v[111:112], v[111:112], -v[215:216]
	ds_read2_b64 v[215:218], v253 offset0:62 offset1:63
	;; [unrolled: 8-line block ×28, first 2 shown]
	s_waitcnt lgkmcnt(0)
	v_mul_f64 v[117:118], v[217:218], v[119:120]
	v_fma_f64 v[117:118], v[215:216], v[213:214], -v[117:118]
	v_mul_f64 v[215:216], v[215:216], v[119:120]
	v_add_f64 v[1:2], v[1:2], -v[117:118]
	v_fma_f64 v[215:216], v[217:218], v[213:214], v[215:216]
	v_mov_b32_e32 v117, v213
	v_mov_b32_e32 v118, v214
	v_add_f64 v[3:4], v[3:4], -v[215:216]
.LBB115_262:
	s_or_b32 exec_lo, exec_lo, s1
	s_mov_b32 s2, exec_lo
	s_waitcnt_vscnt null, 0x0
	s_barrier
	buffer_gl0_inv
	v_cmpx_eq_u32_e32 29, v0
	s_cbranch_execz .LBB115_269
; %bb.263:
	ds_write2_b64 v255, v[113:114], v[115:116] offset1:1
	ds_write2_b64 v253, v[109:110], v[111:112] offset0:60 offset1:61
	ds_write2_b64 v253, v[105:106], v[107:108] offset0:62 offset1:63
	;; [unrolled: 1-line block ×28, first 2 shown]
	ds_read2_b64 v[213:216], v255 offset1:1
	s_waitcnt lgkmcnt(0)
	v_cmp_neq_f64_e32 vcc_lo, 0, v[213:214]
	v_cmp_neq_f64_e64 s1, 0, v[215:216]
	s_or_b32 s1, vcc_lo, s1
	s_and_b32 exec_lo, exec_lo, s1
	s_cbranch_execz .LBB115_269
; %bb.264:
	v_cmp_ngt_f64_e64 s1, |v[213:214]|, |v[215:216]|
                                        ; implicit-def: $vgpr217_vgpr218
	s_and_saveexec_b32 s3, s1
	s_xor_b32 s1, exec_lo, s3
                                        ; implicit-def: $vgpr219_vgpr220
	s_cbranch_execz .LBB115_266
; %bb.265:
	v_div_scale_f64 v[217:218], null, v[215:216], v[215:216], v[213:214]
	v_div_scale_f64 v[223:224], vcc_lo, v[213:214], v[215:216], v[213:214]
	v_rcp_f64_e32 v[219:220], v[217:218]
	v_fma_f64 v[221:222], -v[217:218], v[219:220], 1.0
	v_fma_f64 v[219:220], v[219:220], v[221:222], v[219:220]
	v_fma_f64 v[221:222], -v[217:218], v[219:220], 1.0
	v_fma_f64 v[219:220], v[219:220], v[221:222], v[219:220]
	v_mul_f64 v[221:222], v[223:224], v[219:220]
	v_fma_f64 v[217:218], -v[217:218], v[221:222], v[223:224]
	v_div_fmas_f64 v[217:218], v[217:218], v[219:220], v[221:222]
	v_div_fixup_f64 v[217:218], v[217:218], v[215:216], v[213:214]
	v_fma_f64 v[213:214], v[213:214], v[217:218], v[215:216]
	v_div_scale_f64 v[215:216], null, v[213:214], v[213:214], 1.0
	v_rcp_f64_e32 v[219:220], v[215:216]
	v_fma_f64 v[221:222], -v[215:216], v[219:220], 1.0
	v_fma_f64 v[219:220], v[219:220], v[221:222], v[219:220]
	v_fma_f64 v[221:222], -v[215:216], v[219:220], 1.0
	v_fma_f64 v[219:220], v[219:220], v[221:222], v[219:220]
	v_div_scale_f64 v[221:222], vcc_lo, 1.0, v[213:214], 1.0
	v_mul_f64 v[223:224], v[221:222], v[219:220]
	v_fma_f64 v[215:216], -v[215:216], v[223:224], v[221:222]
	v_div_fmas_f64 v[215:216], v[215:216], v[219:220], v[223:224]
	v_div_fixup_f64 v[219:220], v[215:216], v[213:214], 1.0
                                        ; implicit-def: $vgpr213_vgpr214
	v_mul_f64 v[217:218], v[217:218], v[219:220]
	v_xor_b32_e32 v220, 0x80000000, v220
.LBB115_266:
	s_andn2_saveexec_b32 s1, s1
	s_cbranch_execz .LBB115_268
; %bb.267:
	v_div_scale_f64 v[217:218], null, v[213:214], v[213:214], v[215:216]
	v_div_scale_f64 v[223:224], vcc_lo, v[215:216], v[213:214], v[215:216]
	v_rcp_f64_e32 v[219:220], v[217:218]
	v_fma_f64 v[221:222], -v[217:218], v[219:220], 1.0
	v_fma_f64 v[219:220], v[219:220], v[221:222], v[219:220]
	v_fma_f64 v[221:222], -v[217:218], v[219:220], 1.0
	v_fma_f64 v[219:220], v[219:220], v[221:222], v[219:220]
	v_mul_f64 v[221:222], v[223:224], v[219:220]
	v_fma_f64 v[217:218], -v[217:218], v[221:222], v[223:224]
	v_div_fmas_f64 v[217:218], v[217:218], v[219:220], v[221:222]
	v_div_fixup_f64 v[219:220], v[217:218], v[213:214], v[215:216]
	v_fma_f64 v[213:214], v[215:216], v[219:220], v[213:214]
	v_div_scale_f64 v[215:216], null, v[213:214], v[213:214], 1.0
	v_rcp_f64_e32 v[217:218], v[215:216]
	v_fma_f64 v[221:222], -v[215:216], v[217:218], 1.0
	v_fma_f64 v[217:218], v[217:218], v[221:222], v[217:218]
	v_fma_f64 v[221:222], -v[215:216], v[217:218], 1.0
	v_fma_f64 v[217:218], v[217:218], v[221:222], v[217:218]
	v_div_scale_f64 v[221:222], vcc_lo, 1.0, v[213:214], 1.0
	v_mul_f64 v[223:224], v[221:222], v[217:218]
	v_fma_f64 v[215:216], -v[215:216], v[223:224], v[221:222]
	v_div_fmas_f64 v[215:216], v[215:216], v[217:218], v[223:224]
	v_div_fixup_f64 v[217:218], v[215:216], v[213:214], 1.0
	v_mul_f64 v[219:220], v[219:220], -v[217:218]
.LBB115_268:
	s_or_b32 exec_lo, exec_lo, s1
	ds_write2_b64 v255, v[217:218], v[219:220] offset1:1
.LBB115_269:
	s_or_b32 exec_lo, exec_lo, s2
	s_waitcnt lgkmcnt(0)
	s_barrier
	buffer_gl0_inv
	ds_read2_b64 v[193:196], v255 offset1:1
	s_mov_b32 s1, exec_lo
	s_waitcnt lgkmcnt(0)
	buffer_store_dword v193, off, s[16:19], 0 offset:952 ; 4-byte Folded Spill
	buffer_store_dword v194, off, s[16:19], 0 offset:956 ; 4-byte Folded Spill
	;; [unrolled: 1-line block ×4, first 2 shown]
	v_cmpx_lt_u32_e32 29, v0
	s_cbranch_execz .LBB115_271
; %bb.270:
	s_clause 0x3
	buffer_load_dword v193, off, s[16:19], 0 offset:952
	buffer_load_dword v194, off, s[16:19], 0 offset:956
	;; [unrolled: 1-line block ×4, first 2 shown]
	ds_read2_b64 v[215:218], v253 offset0:60 offset1:61
	s_waitcnt vmcnt(0)
	v_mul_f64 v[213:214], v[195:196], v[115:116]
	v_mul_f64 v[115:116], v[193:194], v[115:116]
	v_fma_f64 v[213:214], v[193:194], v[113:114], -v[213:214]
	v_fma_f64 v[115:116], v[195:196], v[113:114], v[115:116]
	s_waitcnt lgkmcnt(0)
	v_mul_f64 v[113:114], v[217:218], v[115:116]
	v_fma_f64 v[113:114], v[215:216], v[213:214], -v[113:114]
	v_mul_f64 v[215:216], v[215:216], v[115:116]
	v_add_f64 v[109:110], v[109:110], -v[113:114]
	v_fma_f64 v[215:216], v[217:218], v[213:214], v[215:216]
	v_add_f64 v[111:112], v[111:112], -v[215:216]
	ds_read2_b64 v[215:218], v253 offset0:62 offset1:63
	s_waitcnt lgkmcnt(0)
	v_mul_f64 v[113:114], v[217:218], v[115:116]
	v_fma_f64 v[113:114], v[215:216], v[213:214], -v[113:114]
	v_mul_f64 v[215:216], v[215:216], v[115:116]
	v_add_f64 v[105:106], v[105:106], -v[113:114]
	v_fma_f64 v[215:216], v[217:218], v[213:214], v[215:216]
	v_add_f64 v[107:108], v[107:108], -v[215:216]
	ds_read2_b64 v[215:218], v253 offset0:64 offset1:65
	;; [unrolled: 8-line block ×27, first 2 shown]
	s_waitcnt lgkmcnt(0)
	v_mul_f64 v[113:114], v[217:218], v[115:116]
	v_fma_f64 v[113:114], v[215:216], v[213:214], -v[113:114]
	v_mul_f64 v[215:216], v[215:216], v[115:116]
	v_add_f64 v[1:2], v[1:2], -v[113:114]
	v_fma_f64 v[215:216], v[217:218], v[213:214], v[215:216]
	v_mov_b32_e32 v113, v213
	v_mov_b32_e32 v114, v214
	v_add_f64 v[3:4], v[3:4], -v[215:216]
.LBB115_271:
	s_or_b32 exec_lo, exec_lo, s1
	s_mov_b32 s2, exec_lo
	s_waitcnt_vscnt null, 0x0
	s_barrier
	buffer_gl0_inv
	v_cmpx_eq_u32_e32 30, v0
	s_cbranch_execz .LBB115_278
; %bb.272:
	ds_write2_b64 v255, v[109:110], v[111:112] offset1:1
	ds_write2_b64 v253, v[105:106], v[107:108] offset0:62 offset1:63
	ds_write2_b64 v253, v[101:102], v[103:104] offset0:64 offset1:65
	;; [unrolled: 1-line block ×27, first 2 shown]
	ds_read2_b64 v[213:216], v255 offset1:1
	s_waitcnt lgkmcnt(0)
	v_cmp_neq_f64_e32 vcc_lo, 0, v[213:214]
	v_cmp_neq_f64_e64 s1, 0, v[215:216]
	s_or_b32 s1, vcc_lo, s1
	s_and_b32 exec_lo, exec_lo, s1
	s_cbranch_execz .LBB115_278
; %bb.273:
	v_cmp_ngt_f64_e64 s1, |v[213:214]|, |v[215:216]|
                                        ; implicit-def: $vgpr217_vgpr218
	s_and_saveexec_b32 s3, s1
	s_xor_b32 s1, exec_lo, s3
                                        ; implicit-def: $vgpr219_vgpr220
	s_cbranch_execz .LBB115_275
; %bb.274:
	v_div_scale_f64 v[217:218], null, v[215:216], v[215:216], v[213:214]
	v_div_scale_f64 v[223:224], vcc_lo, v[213:214], v[215:216], v[213:214]
	v_rcp_f64_e32 v[219:220], v[217:218]
	v_fma_f64 v[221:222], -v[217:218], v[219:220], 1.0
	v_fma_f64 v[219:220], v[219:220], v[221:222], v[219:220]
	v_fma_f64 v[221:222], -v[217:218], v[219:220], 1.0
	v_fma_f64 v[219:220], v[219:220], v[221:222], v[219:220]
	v_mul_f64 v[221:222], v[223:224], v[219:220]
	v_fma_f64 v[217:218], -v[217:218], v[221:222], v[223:224]
	v_div_fmas_f64 v[217:218], v[217:218], v[219:220], v[221:222]
	v_div_fixup_f64 v[217:218], v[217:218], v[215:216], v[213:214]
	v_fma_f64 v[213:214], v[213:214], v[217:218], v[215:216]
	v_div_scale_f64 v[215:216], null, v[213:214], v[213:214], 1.0
	v_rcp_f64_e32 v[219:220], v[215:216]
	v_fma_f64 v[221:222], -v[215:216], v[219:220], 1.0
	v_fma_f64 v[219:220], v[219:220], v[221:222], v[219:220]
	v_fma_f64 v[221:222], -v[215:216], v[219:220], 1.0
	v_fma_f64 v[219:220], v[219:220], v[221:222], v[219:220]
	v_div_scale_f64 v[221:222], vcc_lo, 1.0, v[213:214], 1.0
	v_mul_f64 v[223:224], v[221:222], v[219:220]
	v_fma_f64 v[215:216], -v[215:216], v[223:224], v[221:222]
	v_div_fmas_f64 v[215:216], v[215:216], v[219:220], v[223:224]
	v_div_fixup_f64 v[219:220], v[215:216], v[213:214], 1.0
                                        ; implicit-def: $vgpr213_vgpr214
	v_mul_f64 v[217:218], v[217:218], v[219:220]
	v_xor_b32_e32 v220, 0x80000000, v220
.LBB115_275:
	s_andn2_saveexec_b32 s1, s1
	s_cbranch_execz .LBB115_277
; %bb.276:
	v_div_scale_f64 v[217:218], null, v[213:214], v[213:214], v[215:216]
	v_div_scale_f64 v[223:224], vcc_lo, v[215:216], v[213:214], v[215:216]
	v_rcp_f64_e32 v[219:220], v[217:218]
	v_fma_f64 v[221:222], -v[217:218], v[219:220], 1.0
	v_fma_f64 v[219:220], v[219:220], v[221:222], v[219:220]
	v_fma_f64 v[221:222], -v[217:218], v[219:220], 1.0
	v_fma_f64 v[219:220], v[219:220], v[221:222], v[219:220]
	v_mul_f64 v[221:222], v[223:224], v[219:220]
	v_fma_f64 v[217:218], -v[217:218], v[221:222], v[223:224]
	v_div_fmas_f64 v[217:218], v[217:218], v[219:220], v[221:222]
	v_div_fixup_f64 v[219:220], v[217:218], v[213:214], v[215:216]
	v_fma_f64 v[213:214], v[215:216], v[219:220], v[213:214]
	v_div_scale_f64 v[215:216], null, v[213:214], v[213:214], 1.0
	v_rcp_f64_e32 v[217:218], v[215:216]
	v_fma_f64 v[221:222], -v[215:216], v[217:218], 1.0
	v_fma_f64 v[217:218], v[217:218], v[221:222], v[217:218]
	v_fma_f64 v[221:222], -v[215:216], v[217:218], 1.0
	v_fma_f64 v[217:218], v[217:218], v[221:222], v[217:218]
	v_div_scale_f64 v[221:222], vcc_lo, 1.0, v[213:214], 1.0
	v_mul_f64 v[223:224], v[221:222], v[217:218]
	v_fma_f64 v[215:216], -v[215:216], v[223:224], v[221:222]
	v_div_fmas_f64 v[215:216], v[215:216], v[217:218], v[223:224]
	v_div_fixup_f64 v[217:218], v[215:216], v[213:214], 1.0
	v_mul_f64 v[219:220], v[219:220], -v[217:218]
.LBB115_277:
	s_or_b32 exec_lo, exec_lo, s1
	ds_write2_b64 v255, v[217:218], v[219:220] offset1:1
.LBB115_278:
	s_or_b32 exec_lo, exec_lo, s2
	s_waitcnt lgkmcnt(0)
	s_barrier
	buffer_gl0_inv
	ds_read2_b64 v[193:196], v255 offset1:1
	s_mov_b32 s1, exec_lo
	s_waitcnt lgkmcnt(0)
	buffer_store_dword v193, off, s[16:19], 0 offset:968 ; 4-byte Folded Spill
	buffer_store_dword v194, off, s[16:19], 0 offset:972 ; 4-byte Folded Spill
	;; [unrolled: 1-line block ×4, first 2 shown]
	v_cmpx_lt_u32_e32 30, v0
	s_cbranch_execz .LBB115_280
; %bb.279:
	s_clause 0x3
	buffer_load_dword v193, off, s[16:19], 0 offset:968
	buffer_load_dword v194, off, s[16:19], 0 offset:972
	;; [unrolled: 1-line block ×4, first 2 shown]
	ds_read2_b64 v[215:218], v253 offset0:62 offset1:63
	s_waitcnt vmcnt(0)
	v_mul_f64 v[213:214], v[195:196], v[111:112]
	v_mul_f64 v[111:112], v[193:194], v[111:112]
	v_fma_f64 v[213:214], v[193:194], v[109:110], -v[213:214]
	v_fma_f64 v[111:112], v[195:196], v[109:110], v[111:112]
	s_waitcnt lgkmcnt(0)
	v_mul_f64 v[109:110], v[217:218], v[111:112]
	v_fma_f64 v[109:110], v[215:216], v[213:214], -v[109:110]
	v_mul_f64 v[215:216], v[215:216], v[111:112]
	v_add_f64 v[105:106], v[105:106], -v[109:110]
	v_fma_f64 v[215:216], v[217:218], v[213:214], v[215:216]
	v_add_f64 v[107:108], v[107:108], -v[215:216]
	ds_read2_b64 v[215:218], v253 offset0:64 offset1:65
	s_waitcnt lgkmcnt(0)
	v_mul_f64 v[109:110], v[217:218], v[111:112]
	v_fma_f64 v[109:110], v[215:216], v[213:214], -v[109:110]
	v_mul_f64 v[215:216], v[215:216], v[111:112]
	v_add_f64 v[101:102], v[101:102], -v[109:110]
	v_fma_f64 v[215:216], v[217:218], v[213:214], v[215:216]
	v_add_f64 v[103:104], v[103:104], -v[215:216]
	ds_read2_b64 v[215:218], v253 offset0:66 offset1:67
	;; [unrolled: 8-line block ×26, first 2 shown]
	s_waitcnt lgkmcnt(0)
	v_mul_f64 v[109:110], v[217:218], v[111:112]
	v_fma_f64 v[109:110], v[215:216], v[213:214], -v[109:110]
	v_mul_f64 v[215:216], v[215:216], v[111:112]
	v_add_f64 v[1:2], v[1:2], -v[109:110]
	v_fma_f64 v[215:216], v[217:218], v[213:214], v[215:216]
	v_mov_b32_e32 v109, v213
	v_mov_b32_e32 v110, v214
	v_add_f64 v[3:4], v[3:4], -v[215:216]
.LBB115_280:
	s_or_b32 exec_lo, exec_lo, s1
	s_mov_b32 s2, exec_lo
	s_waitcnt_vscnt null, 0x0
	s_barrier
	buffer_gl0_inv
	v_cmpx_eq_u32_e32 31, v0
	s_cbranch_execz .LBB115_287
; %bb.281:
	ds_write2_b64 v255, v[105:106], v[107:108] offset1:1
	ds_write2_b64 v253, v[101:102], v[103:104] offset0:64 offset1:65
	ds_write2_b64 v253, v[97:98], v[99:100] offset0:66 offset1:67
	;; [unrolled: 1-line block ×26, first 2 shown]
	ds_read2_b64 v[213:216], v255 offset1:1
	s_waitcnt lgkmcnt(0)
	v_cmp_neq_f64_e32 vcc_lo, 0, v[213:214]
	v_cmp_neq_f64_e64 s1, 0, v[215:216]
	s_or_b32 s1, vcc_lo, s1
	s_and_b32 exec_lo, exec_lo, s1
	s_cbranch_execz .LBB115_287
; %bb.282:
	v_cmp_ngt_f64_e64 s1, |v[213:214]|, |v[215:216]|
                                        ; implicit-def: $vgpr217_vgpr218
	s_and_saveexec_b32 s3, s1
	s_xor_b32 s1, exec_lo, s3
                                        ; implicit-def: $vgpr219_vgpr220
	s_cbranch_execz .LBB115_284
; %bb.283:
	v_div_scale_f64 v[217:218], null, v[215:216], v[215:216], v[213:214]
	v_div_scale_f64 v[223:224], vcc_lo, v[213:214], v[215:216], v[213:214]
	v_rcp_f64_e32 v[219:220], v[217:218]
	v_fma_f64 v[221:222], -v[217:218], v[219:220], 1.0
	v_fma_f64 v[219:220], v[219:220], v[221:222], v[219:220]
	v_fma_f64 v[221:222], -v[217:218], v[219:220], 1.0
	v_fma_f64 v[219:220], v[219:220], v[221:222], v[219:220]
	v_mul_f64 v[221:222], v[223:224], v[219:220]
	v_fma_f64 v[217:218], -v[217:218], v[221:222], v[223:224]
	v_div_fmas_f64 v[217:218], v[217:218], v[219:220], v[221:222]
	v_div_fixup_f64 v[217:218], v[217:218], v[215:216], v[213:214]
	v_fma_f64 v[213:214], v[213:214], v[217:218], v[215:216]
	v_div_scale_f64 v[215:216], null, v[213:214], v[213:214], 1.0
	v_rcp_f64_e32 v[219:220], v[215:216]
	v_fma_f64 v[221:222], -v[215:216], v[219:220], 1.0
	v_fma_f64 v[219:220], v[219:220], v[221:222], v[219:220]
	v_fma_f64 v[221:222], -v[215:216], v[219:220], 1.0
	v_fma_f64 v[219:220], v[219:220], v[221:222], v[219:220]
	v_div_scale_f64 v[221:222], vcc_lo, 1.0, v[213:214], 1.0
	v_mul_f64 v[223:224], v[221:222], v[219:220]
	v_fma_f64 v[215:216], -v[215:216], v[223:224], v[221:222]
	v_div_fmas_f64 v[215:216], v[215:216], v[219:220], v[223:224]
	v_div_fixup_f64 v[219:220], v[215:216], v[213:214], 1.0
                                        ; implicit-def: $vgpr213_vgpr214
	v_mul_f64 v[217:218], v[217:218], v[219:220]
	v_xor_b32_e32 v220, 0x80000000, v220
.LBB115_284:
	s_andn2_saveexec_b32 s1, s1
	s_cbranch_execz .LBB115_286
; %bb.285:
	v_div_scale_f64 v[217:218], null, v[213:214], v[213:214], v[215:216]
	v_div_scale_f64 v[223:224], vcc_lo, v[215:216], v[213:214], v[215:216]
	v_rcp_f64_e32 v[219:220], v[217:218]
	v_fma_f64 v[221:222], -v[217:218], v[219:220], 1.0
	v_fma_f64 v[219:220], v[219:220], v[221:222], v[219:220]
	v_fma_f64 v[221:222], -v[217:218], v[219:220], 1.0
	v_fma_f64 v[219:220], v[219:220], v[221:222], v[219:220]
	v_mul_f64 v[221:222], v[223:224], v[219:220]
	v_fma_f64 v[217:218], -v[217:218], v[221:222], v[223:224]
	v_div_fmas_f64 v[217:218], v[217:218], v[219:220], v[221:222]
	v_div_fixup_f64 v[219:220], v[217:218], v[213:214], v[215:216]
	v_fma_f64 v[213:214], v[215:216], v[219:220], v[213:214]
	v_div_scale_f64 v[215:216], null, v[213:214], v[213:214], 1.0
	v_rcp_f64_e32 v[217:218], v[215:216]
	v_fma_f64 v[221:222], -v[215:216], v[217:218], 1.0
	v_fma_f64 v[217:218], v[217:218], v[221:222], v[217:218]
	v_fma_f64 v[221:222], -v[215:216], v[217:218], 1.0
	v_fma_f64 v[217:218], v[217:218], v[221:222], v[217:218]
	v_div_scale_f64 v[221:222], vcc_lo, 1.0, v[213:214], 1.0
	v_mul_f64 v[223:224], v[221:222], v[217:218]
	v_fma_f64 v[215:216], -v[215:216], v[223:224], v[221:222]
	v_div_fmas_f64 v[215:216], v[215:216], v[217:218], v[223:224]
	v_div_fixup_f64 v[217:218], v[215:216], v[213:214], 1.0
	v_mul_f64 v[219:220], v[219:220], -v[217:218]
.LBB115_286:
	s_or_b32 exec_lo, exec_lo, s1
	ds_write2_b64 v255, v[217:218], v[219:220] offset1:1
.LBB115_287:
	s_or_b32 exec_lo, exec_lo, s2
	s_waitcnt lgkmcnt(0)
	s_barrier
	buffer_gl0_inv
	ds_read2_b64 v[193:196], v255 offset1:1
	s_mov_b32 s1, exec_lo
	s_waitcnt lgkmcnt(0)
	buffer_store_dword v193, off, s[16:19], 0 offset:984 ; 4-byte Folded Spill
	buffer_store_dword v194, off, s[16:19], 0 offset:988 ; 4-byte Folded Spill
	;; [unrolled: 1-line block ×4, first 2 shown]
	v_cmpx_lt_u32_e32 31, v0
	s_cbranch_execz .LBB115_289
; %bb.288:
	s_clause 0x3
	buffer_load_dword v193, off, s[16:19], 0 offset:984
	buffer_load_dword v194, off, s[16:19], 0 offset:988
	buffer_load_dword v195, off, s[16:19], 0 offset:992
	buffer_load_dword v196, off, s[16:19], 0 offset:996
	ds_read2_b64 v[215:218], v253 offset0:64 offset1:65
	s_waitcnt vmcnt(0)
	v_mul_f64 v[213:214], v[195:196], v[107:108]
	v_mul_f64 v[107:108], v[193:194], v[107:108]
	v_fma_f64 v[213:214], v[193:194], v[105:106], -v[213:214]
	v_fma_f64 v[107:108], v[195:196], v[105:106], v[107:108]
	s_waitcnt lgkmcnt(0)
	v_mul_f64 v[105:106], v[217:218], v[107:108]
	v_fma_f64 v[105:106], v[215:216], v[213:214], -v[105:106]
	v_mul_f64 v[215:216], v[215:216], v[107:108]
	v_add_f64 v[101:102], v[101:102], -v[105:106]
	v_fma_f64 v[215:216], v[217:218], v[213:214], v[215:216]
	v_add_f64 v[103:104], v[103:104], -v[215:216]
	ds_read2_b64 v[215:218], v253 offset0:66 offset1:67
	s_waitcnt lgkmcnt(0)
	v_mul_f64 v[105:106], v[217:218], v[107:108]
	v_fma_f64 v[105:106], v[215:216], v[213:214], -v[105:106]
	v_mul_f64 v[215:216], v[215:216], v[107:108]
	v_add_f64 v[97:98], v[97:98], -v[105:106]
	v_fma_f64 v[215:216], v[217:218], v[213:214], v[215:216]
	v_add_f64 v[99:100], v[99:100], -v[215:216]
	ds_read2_b64 v[215:218], v253 offset0:68 offset1:69
	;; [unrolled: 8-line block ×25, first 2 shown]
	s_waitcnt lgkmcnt(0)
	v_mul_f64 v[105:106], v[217:218], v[107:108]
	v_fma_f64 v[105:106], v[215:216], v[213:214], -v[105:106]
	v_mul_f64 v[215:216], v[215:216], v[107:108]
	v_add_f64 v[1:2], v[1:2], -v[105:106]
	v_fma_f64 v[215:216], v[217:218], v[213:214], v[215:216]
	v_mov_b32_e32 v105, v213
	v_mov_b32_e32 v106, v214
	v_add_f64 v[3:4], v[3:4], -v[215:216]
.LBB115_289:
	s_or_b32 exec_lo, exec_lo, s1
	s_mov_b32 s2, exec_lo
	s_waitcnt_vscnt null, 0x0
	s_barrier
	buffer_gl0_inv
	v_cmpx_eq_u32_e32 32, v0
	s_cbranch_execz .LBB115_296
; %bb.290:
	ds_write2_b64 v255, v[101:102], v[103:104] offset1:1
	ds_write2_b64 v253, v[97:98], v[99:100] offset0:66 offset1:67
	ds_write2_b64 v253, v[93:94], v[95:96] offset0:68 offset1:69
	ds_write2_b64 v253, v[89:90], v[91:92] offset0:70 offset1:71
	ds_write2_b64 v253, v[85:86], v[87:88] offset0:72 offset1:73
	ds_write2_b64 v253, v[81:82], v[83:84] offset0:74 offset1:75
	ds_write2_b64 v253, v[77:78], v[79:80] offset0:76 offset1:77
	ds_write2_b64 v253, v[73:74], v[75:76] offset0:78 offset1:79
	ds_write2_b64 v253, v[69:70], v[71:72] offset0:80 offset1:81
	ds_write2_b64 v253, v[65:66], v[67:68] offset0:82 offset1:83
	ds_write2_b64 v253, v[61:62], v[63:64] offset0:84 offset1:85
	ds_write2_b64 v253, v[57:58], v[59:60] offset0:86 offset1:87
	ds_write2_b64 v253, v[53:54], v[55:56] offset0:88 offset1:89
	ds_write2_b64 v253, v[49:50], v[51:52] offset0:90 offset1:91
	ds_write2_b64 v253, v[45:46], v[47:48] offset0:92 offset1:93
	ds_write2_b64 v253, v[41:42], v[43:44] offset0:94 offset1:95
	ds_write2_b64 v253, v[37:38], v[39:40] offset0:96 offset1:97
	ds_write2_b64 v253, v[33:34], v[35:36] offset0:98 offset1:99
	ds_write2_b64 v253, v[29:30], v[31:32] offset0:100 offset1:101
	ds_write2_b64 v253, v[25:26], v[27:28] offset0:102 offset1:103
	ds_write2_b64 v253, v[21:22], v[23:24] offset0:104 offset1:105
	ds_write2_b64 v253, v[17:18], v[19:20] offset0:106 offset1:107
	ds_write2_b64 v253, v[13:14], v[15:16] offset0:108 offset1:109
	ds_write2_b64 v253, v[9:10], v[11:12] offset0:110 offset1:111
	ds_write2_b64 v253, v[5:6], v[7:8] offset0:112 offset1:113
	ds_write2_b64 v253, v[1:2], v[3:4] offset0:114 offset1:115
	ds_read2_b64 v[213:216], v255 offset1:1
	s_waitcnt lgkmcnt(0)
	v_cmp_neq_f64_e32 vcc_lo, 0, v[213:214]
	v_cmp_neq_f64_e64 s1, 0, v[215:216]
	s_or_b32 s1, vcc_lo, s1
	s_and_b32 exec_lo, exec_lo, s1
	s_cbranch_execz .LBB115_296
; %bb.291:
	v_cmp_ngt_f64_e64 s1, |v[213:214]|, |v[215:216]|
                                        ; implicit-def: $vgpr217_vgpr218
	s_and_saveexec_b32 s3, s1
	s_xor_b32 s1, exec_lo, s3
                                        ; implicit-def: $vgpr219_vgpr220
	s_cbranch_execz .LBB115_293
; %bb.292:
	v_div_scale_f64 v[217:218], null, v[215:216], v[215:216], v[213:214]
	v_div_scale_f64 v[223:224], vcc_lo, v[213:214], v[215:216], v[213:214]
	v_rcp_f64_e32 v[219:220], v[217:218]
	v_fma_f64 v[221:222], -v[217:218], v[219:220], 1.0
	v_fma_f64 v[219:220], v[219:220], v[221:222], v[219:220]
	v_fma_f64 v[221:222], -v[217:218], v[219:220], 1.0
	v_fma_f64 v[219:220], v[219:220], v[221:222], v[219:220]
	v_mul_f64 v[221:222], v[223:224], v[219:220]
	v_fma_f64 v[217:218], -v[217:218], v[221:222], v[223:224]
	v_div_fmas_f64 v[217:218], v[217:218], v[219:220], v[221:222]
	v_div_fixup_f64 v[217:218], v[217:218], v[215:216], v[213:214]
	v_fma_f64 v[213:214], v[213:214], v[217:218], v[215:216]
	v_div_scale_f64 v[215:216], null, v[213:214], v[213:214], 1.0
	v_rcp_f64_e32 v[219:220], v[215:216]
	v_fma_f64 v[221:222], -v[215:216], v[219:220], 1.0
	v_fma_f64 v[219:220], v[219:220], v[221:222], v[219:220]
	v_fma_f64 v[221:222], -v[215:216], v[219:220], 1.0
	v_fma_f64 v[219:220], v[219:220], v[221:222], v[219:220]
	v_div_scale_f64 v[221:222], vcc_lo, 1.0, v[213:214], 1.0
	v_mul_f64 v[223:224], v[221:222], v[219:220]
	v_fma_f64 v[215:216], -v[215:216], v[223:224], v[221:222]
	v_div_fmas_f64 v[215:216], v[215:216], v[219:220], v[223:224]
	v_div_fixup_f64 v[219:220], v[215:216], v[213:214], 1.0
                                        ; implicit-def: $vgpr213_vgpr214
	v_mul_f64 v[217:218], v[217:218], v[219:220]
	v_xor_b32_e32 v220, 0x80000000, v220
.LBB115_293:
	s_andn2_saveexec_b32 s1, s1
	s_cbranch_execz .LBB115_295
; %bb.294:
	v_div_scale_f64 v[217:218], null, v[213:214], v[213:214], v[215:216]
	v_div_scale_f64 v[223:224], vcc_lo, v[215:216], v[213:214], v[215:216]
	v_rcp_f64_e32 v[219:220], v[217:218]
	v_fma_f64 v[221:222], -v[217:218], v[219:220], 1.0
	v_fma_f64 v[219:220], v[219:220], v[221:222], v[219:220]
	v_fma_f64 v[221:222], -v[217:218], v[219:220], 1.0
	v_fma_f64 v[219:220], v[219:220], v[221:222], v[219:220]
	v_mul_f64 v[221:222], v[223:224], v[219:220]
	v_fma_f64 v[217:218], -v[217:218], v[221:222], v[223:224]
	v_div_fmas_f64 v[217:218], v[217:218], v[219:220], v[221:222]
	v_div_fixup_f64 v[219:220], v[217:218], v[213:214], v[215:216]
	v_fma_f64 v[213:214], v[215:216], v[219:220], v[213:214]
	v_div_scale_f64 v[215:216], null, v[213:214], v[213:214], 1.0
	v_rcp_f64_e32 v[217:218], v[215:216]
	v_fma_f64 v[221:222], -v[215:216], v[217:218], 1.0
	v_fma_f64 v[217:218], v[217:218], v[221:222], v[217:218]
	v_fma_f64 v[221:222], -v[215:216], v[217:218], 1.0
	v_fma_f64 v[217:218], v[217:218], v[221:222], v[217:218]
	v_div_scale_f64 v[221:222], vcc_lo, 1.0, v[213:214], 1.0
	v_mul_f64 v[223:224], v[221:222], v[217:218]
	v_fma_f64 v[215:216], -v[215:216], v[223:224], v[221:222]
	v_div_fmas_f64 v[215:216], v[215:216], v[217:218], v[223:224]
	v_div_fixup_f64 v[217:218], v[215:216], v[213:214], 1.0
	v_mul_f64 v[219:220], v[219:220], -v[217:218]
.LBB115_295:
	s_or_b32 exec_lo, exec_lo, s1
	ds_write2_b64 v255, v[217:218], v[219:220] offset1:1
.LBB115_296:
	s_or_b32 exec_lo, exec_lo, s2
	s_waitcnt lgkmcnt(0)
	s_barrier
	buffer_gl0_inv
	ds_read2_b64 v[193:196], v255 offset1:1
	s_mov_b32 s1, exec_lo
	s_waitcnt lgkmcnt(0)
	buffer_store_dword v193, off, s[16:19], 0 offset:1000 ; 4-byte Folded Spill
	buffer_store_dword v194, off, s[16:19], 0 offset:1004 ; 4-byte Folded Spill
	;; [unrolled: 1-line block ×4, first 2 shown]
	v_cmpx_lt_u32_e32 32, v0
	s_cbranch_execz .LBB115_298
; %bb.297:
	s_clause 0x3
	buffer_load_dword v193, off, s[16:19], 0 offset:1000
	buffer_load_dword v194, off, s[16:19], 0 offset:1004
	;; [unrolled: 1-line block ×4, first 2 shown]
	ds_read2_b64 v[215:218], v253 offset0:66 offset1:67
	s_waitcnt vmcnt(0)
	v_mul_f64 v[213:214], v[195:196], v[103:104]
	v_mul_f64 v[103:104], v[193:194], v[103:104]
	v_fma_f64 v[213:214], v[193:194], v[101:102], -v[213:214]
	v_fma_f64 v[103:104], v[195:196], v[101:102], v[103:104]
	s_waitcnt lgkmcnt(0)
	v_mul_f64 v[101:102], v[217:218], v[103:104]
	v_fma_f64 v[101:102], v[215:216], v[213:214], -v[101:102]
	v_mul_f64 v[215:216], v[215:216], v[103:104]
	v_add_f64 v[97:98], v[97:98], -v[101:102]
	v_fma_f64 v[215:216], v[217:218], v[213:214], v[215:216]
	v_add_f64 v[99:100], v[99:100], -v[215:216]
	ds_read2_b64 v[215:218], v253 offset0:68 offset1:69
	s_waitcnt lgkmcnt(0)
	v_mul_f64 v[101:102], v[217:218], v[103:104]
	v_fma_f64 v[101:102], v[215:216], v[213:214], -v[101:102]
	v_mul_f64 v[215:216], v[215:216], v[103:104]
	v_add_f64 v[93:94], v[93:94], -v[101:102]
	v_fma_f64 v[215:216], v[217:218], v[213:214], v[215:216]
	v_add_f64 v[95:96], v[95:96], -v[215:216]
	ds_read2_b64 v[215:218], v253 offset0:70 offset1:71
	;; [unrolled: 8-line block ×24, first 2 shown]
	s_waitcnt lgkmcnt(0)
	v_mul_f64 v[101:102], v[217:218], v[103:104]
	v_fma_f64 v[101:102], v[215:216], v[213:214], -v[101:102]
	v_mul_f64 v[215:216], v[215:216], v[103:104]
	v_add_f64 v[1:2], v[1:2], -v[101:102]
	v_fma_f64 v[215:216], v[217:218], v[213:214], v[215:216]
	v_mov_b32_e32 v101, v213
	v_mov_b32_e32 v102, v214
	v_add_f64 v[3:4], v[3:4], -v[215:216]
.LBB115_298:
	s_or_b32 exec_lo, exec_lo, s1
	s_mov_b32 s2, exec_lo
	s_waitcnt_vscnt null, 0x0
	s_barrier
	buffer_gl0_inv
	v_cmpx_eq_u32_e32 33, v0
	s_cbranch_execz .LBB115_305
; %bb.299:
	ds_write2_b64 v255, v[97:98], v[99:100] offset1:1
	ds_write2_b64 v253, v[93:94], v[95:96] offset0:68 offset1:69
	ds_write2_b64 v253, v[89:90], v[91:92] offset0:70 offset1:71
	;; [unrolled: 1-line block ×24, first 2 shown]
	ds_read2_b64 v[213:216], v255 offset1:1
	s_waitcnt lgkmcnt(0)
	v_cmp_neq_f64_e32 vcc_lo, 0, v[213:214]
	v_cmp_neq_f64_e64 s1, 0, v[215:216]
	s_or_b32 s1, vcc_lo, s1
	s_and_b32 exec_lo, exec_lo, s1
	s_cbranch_execz .LBB115_305
; %bb.300:
	v_cmp_ngt_f64_e64 s1, |v[213:214]|, |v[215:216]|
                                        ; implicit-def: $vgpr217_vgpr218
	s_and_saveexec_b32 s3, s1
	s_xor_b32 s1, exec_lo, s3
                                        ; implicit-def: $vgpr219_vgpr220
	s_cbranch_execz .LBB115_302
; %bb.301:
	v_div_scale_f64 v[217:218], null, v[215:216], v[215:216], v[213:214]
	v_div_scale_f64 v[223:224], vcc_lo, v[213:214], v[215:216], v[213:214]
	v_rcp_f64_e32 v[219:220], v[217:218]
	v_fma_f64 v[221:222], -v[217:218], v[219:220], 1.0
	v_fma_f64 v[219:220], v[219:220], v[221:222], v[219:220]
	v_fma_f64 v[221:222], -v[217:218], v[219:220], 1.0
	v_fma_f64 v[219:220], v[219:220], v[221:222], v[219:220]
	v_mul_f64 v[221:222], v[223:224], v[219:220]
	v_fma_f64 v[217:218], -v[217:218], v[221:222], v[223:224]
	v_div_fmas_f64 v[217:218], v[217:218], v[219:220], v[221:222]
	v_div_fixup_f64 v[217:218], v[217:218], v[215:216], v[213:214]
	v_fma_f64 v[213:214], v[213:214], v[217:218], v[215:216]
	v_div_scale_f64 v[215:216], null, v[213:214], v[213:214], 1.0
	v_rcp_f64_e32 v[219:220], v[215:216]
	v_fma_f64 v[221:222], -v[215:216], v[219:220], 1.0
	v_fma_f64 v[219:220], v[219:220], v[221:222], v[219:220]
	v_fma_f64 v[221:222], -v[215:216], v[219:220], 1.0
	v_fma_f64 v[219:220], v[219:220], v[221:222], v[219:220]
	v_div_scale_f64 v[221:222], vcc_lo, 1.0, v[213:214], 1.0
	v_mul_f64 v[223:224], v[221:222], v[219:220]
	v_fma_f64 v[215:216], -v[215:216], v[223:224], v[221:222]
	v_div_fmas_f64 v[215:216], v[215:216], v[219:220], v[223:224]
	v_div_fixup_f64 v[219:220], v[215:216], v[213:214], 1.0
                                        ; implicit-def: $vgpr213_vgpr214
	v_mul_f64 v[217:218], v[217:218], v[219:220]
	v_xor_b32_e32 v220, 0x80000000, v220
.LBB115_302:
	s_andn2_saveexec_b32 s1, s1
	s_cbranch_execz .LBB115_304
; %bb.303:
	v_div_scale_f64 v[217:218], null, v[213:214], v[213:214], v[215:216]
	v_div_scale_f64 v[223:224], vcc_lo, v[215:216], v[213:214], v[215:216]
	v_rcp_f64_e32 v[219:220], v[217:218]
	v_fma_f64 v[221:222], -v[217:218], v[219:220], 1.0
	v_fma_f64 v[219:220], v[219:220], v[221:222], v[219:220]
	v_fma_f64 v[221:222], -v[217:218], v[219:220], 1.0
	v_fma_f64 v[219:220], v[219:220], v[221:222], v[219:220]
	v_mul_f64 v[221:222], v[223:224], v[219:220]
	v_fma_f64 v[217:218], -v[217:218], v[221:222], v[223:224]
	v_div_fmas_f64 v[217:218], v[217:218], v[219:220], v[221:222]
	v_div_fixup_f64 v[219:220], v[217:218], v[213:214], v[215:216]
	v_fma_f64 v[213:214], v[215:216], v[219:220], v[213:214]
	v_div_scale_f64 v[215:216], null, v[213:214], v[213:214], 1.0
	v_rcp_f64_e32 v[217:218], v[215:216]
	v_fma_f64 v[221:222], -v[215:216], v[217:218], 1.0
	v_fma_f64 v[217:218], v[217:218], v[221:222], v[217:218]
	v_fma_f64 v[221:222], -v[215:216], v[217:218], 1.0
	v_fma_f64 v[217:218], v[217:218], v[221:222], v[217:218]
	v_div_scale_f64 v[221:222], vcc_lo, 1.0, v[213:214], 1.0
	v_mul_f64 v[223:224], v[221:222], v[217:218]
	v_fma_f64 v[215:216], -v[215:216], v[223:224], v[221:222]
	v_div_fmas_f64 v[215:216], v[215:216], v[217:218], v[223:224]
	v_div_fixup_f64 v[217:218], v[215:216], v[213:214], 1.0
	v_mul_f64 v[219:220], v[219:220], -v[217:218]
.LBB115_304:
	s_or_b32 exec_lo, exec_lo, s1
	ds_write2_b64 v255, v[217:218], v[219:220] offset1:1
.LBB115_305:
	s_or_b32 exec_lo, exec_lo, s2
	s_waitcnt lgkmcnt(0)
	s_barrier
	buffer_gl0_inv
	ds_read2_b64 v[193:196], v255 offset1:1
	s_mov_b32 s1, exec_lo
	s_waitcnt lgkmcnt(0)
	buffer_store_dword v193, off, s[16:19], 0 offset:1016 ; 4-byte Folded Spill
	buffer_store_dword v194, off, s[16:19], 0 offset:1020 ; 4-byte Folded Spill
	;; [unrolled: 1-line block ×4, first 2 shown]
	v_cmpx_lt_u32_e32 33, v0
	s_cbranch_execz .LBB115_307
; %bb.306:
	s_clause 0x3
	buffer_load_dword v193, off, s[16:19], 0 offset:1016
	buffer_load_dword v194, off, s[16:19], 0 offset:1020
	;; [unrolled: 1-line block ×4, first 2 shown]
	ds_read2_b64 v[215:218], v253 offset0:68 offset1:69
	s_waitcnt vmcnt(0)
	v_mul_f64 v[213:214], v[195:196], v[99:100]
	v_mul_f64 v[99:100], v[193:194], v[99:100]
	v_fma_f64 v[213:214], v[193:194], v[97:98], -v[213:214]
	v_fma_f64 v[99:100], v[195:196], v[97:98], v[99:100]
	s_waitcnt lgkmcnt(0)
	v_mul_f64 v[97:98], v[217:218], v[99:100]
	v_fma_f64 v[97:98], v[215:216], v[213:214], -v[97:98]
	v_mul_f64 v[215:216], v[215:216], v[99:100]
	v_add_f64 v[93:94], v[93:94], -v[97:98]
	v_fma_f64 v[215:216], v[217:218], v[213:214], v[215:216]
	v_add_f64 v[95:96], v[95:96], -v[215:216]
	ds_read2_b64 v[215:218], v253 offset0:70 offset1:71
	s_waitcnt lgkmcnt(0)
	v_mul_f64 v[97:98], v[217:218], v[99:100]
	v_fma_f64 v[97:98], v[215:216], v[213:214], -v[97:98]
	v_mul_f64 v[215:216], v[215:216], v[99:100]
	v_add_f64 v[89:90], v[89:90], -v[97:98]
	v_fma_f64 v[215:216], v[217:218], v[213:214], v[215:216]
	v_add_f64 v[91:92], v[91:92], -v[215:216]
	ds_read2_b64 v[215:218], v253 offset0:72 offset1:73
	;; [unrolled: 8-line block ×23, first 2 shown]
	s_waitcnt lgkmcnt(0)
	v_mul_f64 v[97:98], v[217:218], v[99:100]
	v_fma_f64 v[97:98], v[215:216], v[213:214], -v[97:98]
	v_mul_f64 v[215:216], v[215:216], v[99:100]
	v_add_f64 v[1:2], v[1:2], -v[97:98]
	v_fma_f64 v[215:216], v[217:218], v[213:214], v[215:216]
	v_mov_b32_e32 v97, v213
	v_mov_b32_e32 v98, v214
	v_add_f64 v[3:4], v[3:4], -v[215:216]
.LBB115_307:
	s_or_b32 exec_lo, exec_lo, s1
	s_mov_b32 s2, exec_lo
	s_waitcnt_vscnt null, 0x0
	s_barrier
	buffer_gl0_inv
	v_cmpx_eq_u32_e32 34, v0
	s_cbranch_execz .LBB115_314
; %bb.308:
	ds_write2_b64 v255, v[93:94], v[95:96] offset1:1
	ds_write2_b64 v253, v[89:90], v[91:92] offset0:70 offset1:71
	ds_write2_b64 v253, v[85:86], v[87:88] offset0:72 offset1:73
	;; [unrolled: 1-line block ×23, first 2 shown]
	ds_read2_b64 v[213:216], v255 offset1:1
	s_waitcnt lgkmcnt(0)
	v_cmp_neq_f64_e32 vcc_lo, 0, v[213:214]
	v_cmp_neq_f64_e64 s1, 0, v[215:216]
	s_or_b32 s1, vcc_lo, s1
	s_and_b32 exec_lo, exec_lo, s1
	s_cbranch_execz .LBB115_314
; %bb.309:
	v_cmp_ngt_f64_e64 s1, |v[213:214]|, |v[215:216]|
                                        ; implicit-def: $vgpr217_vgpr218
	s_and_saveexec_b32 s3, s1
	s_xor_b32 s1, exec_lo, s3
                                        ; implicit-def: $vgpr219_vgpr220
	s_cbranch_execz .LBB115_311
; %bb.310:
	v_div_scale_f64 v[217:218], null, v[215:216], v[215:216], v[213:214]
	v_div_scale_f64 v[223:224], vcc_lo, v[213:214], v[215:216], v[213:214]
	v_rcp_f64_e32 v[219:220], v[217:218]
	v_fma_f64 v[221:222], -v[217:218], v[219:220], 1.0
	v_fma_f64 v[219:220], v[219:220], v[221:222], v[219:220]
	v_fma_f64 v[221:222], -v[217:218], v[219:220], 1.0
	v_fma_f64 v[219:220], v[219:220], v[221:222], v[219:220]
	v_mul_f64 v[221:222], v[223:224], v[219:220]
	v_fma_f64 v[217:218], -v[217:218], v[221:222], v[223:224]
	v_div_fmas_f64 v[217:218], v[217:218], v[219:220], v[221:222]
	v_div_fixup_f64 v[217:218], v[217:218], v[215:216], v[213:214]
	v_fma_f64 v[213:214], v[213:214], v[217:218], v[215:216]
	v_div_scale_f64 v[215:216], null, v[213:214], v[213:214], 1.0
	v_rcp_f64_e32 v[219:220], v[215:216]
	v_fma_f64 v[221:222], -v[215:216], v[219:220], 1.0
	v_fma_f64 v[219:220], v[219:220], v[221:222], v[219:220]
	v_fma_f64 v[221:222], -v[215:216], v[219:220], 1.0
	v_fma_f64 v[219:220], v[219:220], v[221:222], v[219:220]
	v_div_scale_f64 v[221:222], vcc_lo, 1.0, v[213:214], 1.0
	v_mul_f64 v[223:224], v[221:222], v[219:220]
	v_fma_f64 v[215:216], -v[215:216], v[223:224], v[221:222]
	v_div_fmas_f64 v[215:216], v[215:216], v[219:220], v[223:224]
	v_div_fixup_f64 v[219:220], v[215:216], v[213:214], 1.0
                                        ; implicit-def: $vgpr213_vgpr214
	v_mul_f64 v[217:218], v[217:218], v[219:220]
	v_xor_b32_e32 v220, 0x80000000, v220
.LBB115_311:
	s_andn2_saveexec_b32 s1, s1
	s_cbranch_execz .LBB115_313
; %bb.312:
	v_div_scale_f64 v[217:218], null, v[213:214], v[213:214], v[215:216]
	v_div_scale_f64 v[223:224], vcc_lo, v[215:216], v[213:214], v[215:216]
	v_rcp_f64_e32 v[219:220], v[217:218]
	v_fma_f64 v[221:222], -v[217:218], v[219:220], 1.0
	v_fma_f64 v[219:220], v[219:220], v[221:222], v[219:220]
	v_fma_f64 v[221:222], -v[217:218], v[219:220], 1.0
	v_fma_f64 v[219:220], v[219:220], v[221:222], v[219:220]
	v_mul_f64 v[221:222], v[223:224], v[219:220]
	v_fma_f64 v[217:218], -v[217:218], v[221:222], v[223:224]
	v_div_fmas_f64 v[217:218], v[217:218], v[219:220], v[221:222]
	v_div_fixup_f64 v[219:220], v[217:218], v[213:214], v[215:216]
	v_fma_f64 v[213:214], v[215:216], v[219:220], v[213:214]
	v_div_scale_f64 v[215:216], null, v[213:214], v[213:214], 1.0
	v_rcp_f64_e32 v[217:218], v[215:216]
	v_fma_f64 v[221:222], -v[215:216], v[217:218], 1.0
	v_fma_f64 v[217:218], v[217:218], v[221:222], v[217:218]
	v_fma_f64 v[221:222], -v[215:216], v[217:218], 1.0
	v_fma_f64 v[217:218], v[217:218], v[221:222], v[217:218]
	v_div_scale_f64 v[221:222], vcc_lo, 1.0, v[213:214], 1.0
	v_mul_f64 v[223:224], v[221:222], v[217:218]
	v_fma_f64 v[215:216], -v[215:216], v[223:224], v[221:222]
	v_div_fmas_f64 v[215:216], v[215:216], v[217:218], v[223:224]
	v_div_fixup_f64 v[217:218], v[215:216], v[213:214], 1.0
	v_mul_f64 v[219:220], v[219:220], -v[217:218]
.LBB115_313:
	s_or_b32 exec_lo, exec_lo, s1
	ds_write2_b64 v255, v[217:218], v[219:220] offset1:1
.LBB115_314:
	s_or_b32 exec_lo, exec_lo, s2
	s_waitcnt lgkmcnt(0)
	s_barrier
	buffer_gl0_inv
	ds_read2_b64 v[193:196], v255 offset1:1
	s_mov_b32 s1, exec_lo
	s_waitcnt lgkmcnt(0)
	buffer_store_dword v193, off, s[16:19], 0 offset:1032 ; 4-byte Folded Spill
	buffer_store_dword v194, off, s[16:19], 0 offset:1036 ; 4-byte Folded Spill
	;; [unrolled: 1-line block ×4, first 2 shown]
	v_cmpx_lt_u32_e32 34, v0
	s_cbranch_execz .LBB115_316
; %bb.315:
	s_clause 0x3
	buffer_load_dword v193, off, s[16:19], 0 offset:1032
	buffer_load_dword v194, off, s[16:19], 0 offset:1036
	;; [unrolled: 1-line block ×4, first 2 shown]
	ds_read2_b64 v[215:218], v253 offset0:70 offset1:71
	s_waitcnt vmcnt(0)
	v_mul_f64 v[213:214], v[195:196], v[95:96]
	v_mul_f64 v[95:96], v[193:194], v[95:96]
	v_fma_f64 v[213:214], v[193:194], v[93:94], -v[213:214]
	v_fma_f64 v[95:96], v[195:196], v[93:94], v[95:96]
	s_waitcnt lgkmcnt(0)
	v_mul_f64 v[93:94], v[217:218], v[95:96]
	v_fma_f64 v[93:94], v[215:216], v[213:214], -v[93:94]
	v_mul_f64 v[215:216], v[215:216], v[95:96]
	v_add_f64 v[89:90], v[89:90], -v[93:94]
	v_fma_f64 v[215:216], v[217:218], v[213:214], v[215:216]
	v_add_f64 v[91:92], v[91:92], -v[215:216]
	ds_read2_b64 v[215:218], v253 offset0:72 offset1:73
	s_waitcnt lgkmcnt(0)
	v_mul_f64 v[93:94], v[217:218], v[95:96]
	v_fma_f64 v[93:94], v[215:216], v[213:214], -v[93:94]
	v_mul_f64 v[215:216], v[215:216], v[95:96]
	v_add_f64 v[85:86], v[85:86], -v[93:94]
	v_fma_f64 v[215:216], v[217:218], v[213:214], v[215:216]
	v_add_f64 v[87:88], v[87:88], -v[215:216]
	ds_read2_b64 v[215:218], v253 offset0:74 offset1:75
	;; [unrolled: 8-line block ×22, first 2 shown]
	s_waitcnt lgkmcnt(0)
	v_mul_f64 v[93:94], v[217:218], v[95:96]
	v_fma_f64 v[93:94], v[215:216], v[213:214], -v[93:94]
	v_mul_f64 v[215:216], v[215:216], v[95:96]
	v_add_f64 v[1:2], v[1:2], -v[93:94]
	v_fma_f64 v[215:216], v[217:218], v[213:214], v[215:216]
	v_mov_b32_e32 v93, v213
	v_mov_b32_e32 v94, v214
	v_add_f64 v[3:4], v[3:4], -v[215:216]
.LBB115_316:
	s_or_b32 exec_lo, exec_lo, s1
	s_mov_b32 s2, exec_lo
	s_waitcnt_vscnt null, 0x0
	s_barrier
	buffer_gl0_inv
	v_cmpx_eq_u32_e32 35, v0
	s_cbranch_execz .LBB115_323
; %bb.317:
	ds_write2_b64 v255, v[89:90], v[91:92] offset1:1
	ds_write2_b64 v253, v[85:86], v[87:88] offset0:72 offset1:73
	ds_write2_b64 v253, v[81:82], v[83:84] offset0:74 offset1:75
	;; [unrolled: 1-line block ×22, first 2 shown]
	ds_read2_b64 v[213:216], v255 offset1:1
	s_waitcnt lgkmcnt(0)
	v_cmp_neq_f64_e32 vcc_lo, 0, v[213:214]
	v_cmp_neq_f64_e64 s1, 0, v[215:216]
	s_or_b32 s1, vcc_lo, s1
	s_and_b32 exec_lo, exec_lo, s1
	s_cbranch_execz .LBB115_323
; %bb.318:
	v_cmp_ngt_f64_e64 s1, |v[213:214]|, |v[215:216]|
                                        ; implicit-def: $vgpr217_vgpr218
	s_and_saveexec_b32 s3, s1
	s_xor_b32 s1, exec_lo, s3
                                        ; implicit-def: $vgpr219_vgpr220
	s_cbranch_execz .LBB115_320
; %bb.319:
	v_div_scale_f64 v[217:218], null, v[215:216], v[215:216], v[213:214]
	v_div_scale_f64 v[223:224], vcc_lo, v[213:214], v[215:216], v[213:214]
	v_rcp_f64_e32 v[219:220], v[217:218]
	v_fma_f64 v[221:222], -v[217:218], v[219:220], 1.0
	v_fma_f64 v[219:220], v[219:220], v[221:222], v[219:220]
	v_fma_f64 v[221:222], -v[217:218], v[219:220], 1.0
	v_fma_f64 v[219:220], v[219:220], v[221:222], v[219:220]
	v_mul_f64 v[221:222], v[223:224], v[219:220]
	v_fma_f64 v[217:218], -v[217:218], v[221:222], v[223:224]
	v_div_fmas_f64 v[217:218], v[217:218], v[219:220], v[221:222]
	v_div_fixup_f64 v[217:218], v[217:218], v[215:216], v[213:214]
	v_fma_f64 v[213:214], v[213:214], v[217:218], v[215:216]
	v_div_scale_f64 v[215:216], null, v[213:214], v[213:214], 1.0
	v_rcp_f64_e32 v[219:220], v[215:216]
	v_fma_f64 v[221:222], -v[215:216], v[219:220], 1.0
	v_fma_f64 v[219:220], v[219:220], v[221:222], v[219:220]
	v_fma_f64 v[221:222], -v[215:216], v[219:220], 1.0
	v_fma_f64 v[219:220], v[219:220], v[221:222], v[219:220]
	v_div_scale_f64 v[221:222], vcc_lo, 1.0, v[213:214], 1.0
	v_mul_f64 v[223:224], v[221:222], v[219:220]
	v_fma_f64 v[215:216], -v[215:216], v[223:224], v[221:222]
	v_div_fmas_f64 v[215:216], v[215:216], v[219:220], v[223:224]
	v_div_fixup_f64 v[219:220], v[215:216], v[213:214], 1.0
                                        ; implicit-def: $vgpr213_vgpr214
	v_mul_f64 v[217:218], v[217:218], v[219:220]
	v_xor_b32_e32 v220, 0x80000000, v220
.LBB115_320:
	s_andn2_saveexec_b32 s1, s1
	s_cbranch_execz .LBB115_322
; %bb.321:
	v_div_scale_f64 v[217:218], null, v[213:214], v[213:214], v[215:216]
	v_div_scale_f64 v[223:224], vcc_lo, v[215:216], v[213:214], v[215:216]
	v_rcp_f64_e32 v[219:220], v[217:218]
	v_fma_f64 v[221:222], -v[217:218], v[219:220], 1.0
	v_fma_f64 v[219:220], v[219:220], v[221:222], v[219:220]
	v_fma_f64 v[221:222], -v[217:218], v[219:220], 1.0
	v_fma_f64 v[219:220], v[219:220], v[221:222], v[219:220]
	v_mul_f64 v[221:222], v[223:224], v[219:220]
	v_fma_f64 v[217:218], -v[217:218], v[221:222], v[223:224]
	v_div_fmas_f64 v[217:218], v[217:218], v[219:220], v[221:222]
	v_div_fixup_f64 v[219:220], v[217:218], v[213:214], v[215:216]
	v_fma_f64 v[213:214], v[215:216], v[219:220], v[213:214]
	v_div_scale_f64 v[215:216], null, v[213:214], v[213:214], 1.0
	v_rcp_f64_e32 v[217:218], v[215:216]
	v_fma_f64 v[221:222], -v[215:216], v[217:218], 1.0
	v_fma_f64 v[217:218], v[217:218], v[221:222], v[217:218]
	v_fma_f64 v[221:222], -v[215:216], v[217:218], 1.0
	v_fma_f64 v[217:218], v[217:218], v[221:222], v[217:218]
	v_div_scale_f64 v[221:222], vcc_lo, 1.0, v[213:214], 1.0
	v_mul_f64 v[223:224], v[221:222], v[217:218]
	v_fma_f64 v[215:216], -v[215:216], v[223:224], v[221:222]
	v_div_fmas_f64 v[215:216], v[215:216], v[217:218], v[223:224]
	v_div_fixup_f64 v[217:218], v[215:216], v[213:214], 1.0
	v_mul_f64 v[219:220], v[219:220], -v[217:218]
.LBB115_322:
	s_or_b32 exec_lo, exec_lo, s1
	ds_write2_b64 v255, v[217:218], v[219:220] offset1:1
.LBB115_323:
	s_or_b32 exec_lo, exec_lo, s2
	s_waitcnt lgkmcnt(0)
	s_barrier
	buffer_gl0_inv
	ds_read2_b64 v[193:196], v255 offset1:1
	s_mov_b32 s1, exec_lo
	s_waitcnt lgkmcnt(0)
	buffer_store_dword v193, off, s[16:19], 0 offset:1048 ; 4-byte Folded Spill
	buffer_store_dword v194, off, s[16:19], 0 offset:1052 ; 4-byte Folded Spill
	buffer_store_dword v195, off, s[16:19], 0 offset:1056 ; 4-byte Folded Spill
	buffer_store_dword v196, off, s[16:19], 0 offset:1060 ; 4-byte Folded Spill
	v_cmpx_lt_u32_e32 35, v0
	s_cbranch_execz .LBB115_325
; %bb.324:
	s_clause 0x3
	buffer_load_dword v193, off, s[16:19], 0 offset:1048
	buffer_load_dword v194, off, s[16:19], 0 offset:1052
	;; [unrolled: 1-line block ×4, first 2 shown]
	ds_read2_b64 v[215:218], v253 offset0:72 offset1:73
	s_waitcnt vmcnt(0)
	v_mul_f64 v[213:214], v[195:196], v[91:92]
	v_mul_f64 v[91:92], v[193:194], v[91:92]
	v_fma_f64 v[213:214], v[193:194], v[89:90], -v[213:214]
	v_fma_f64 v[91:92], v[195:196], v[89:90], v[91:92]
	s_waitcnt lgkmcnt(0)
	v_mul_f64 v[89:90], v[217:218], v[91:92]
	v_fma_f64 v[89:90], v[215:216], v[213:214], -v[89:90]
	v_mul_f64 v[215:216], v[215:216], v[91:92]
	v_add_f64 v[85:86], v[85:86], -v[89:90]
	v_fma_f64 v[215:216], v[217:218], v[213:214], v[215:216]
	v_add_f64 v[87:88], v[87:88], -v[215:216]
	ds_read2_b64 v[215:218], v253 offset0:74 offset1:75
	s_waitcnt lgkmcnt(0)
	v_mul_f64 v[89:90], v[217:218], v[91:92]
	v_fma_f64 v[89:90], v[215:216], v[213:214], -v[89:90]
	v_mul_f64 v[215:216], v[215:216], v[91:92]
	v_add_f64 v[81:82], v[81:82], -v[89:90]
	v_fma_f64 v[215:216], v[217:218], v[213:214], v[215:216]
	v_add_f64 v[83:84], v[83:84], -v[215:216]
	ds_read2_b64 v[215:218], v253 offset0:76 offset1:77
	;; [unrolled: 8-line block ×21, first 2 shown]
	s_waitcnt lgkmcnt(0)
	v_mul_f64 v[89:90], v[217:218], v[91:92]
	v_fma_f64 v[89:90], v[215:216], v[213:214], -v[89:90]
	v_mul_f64 v[215:216], v[215:216], v[91:92]
	v_add_f64 v[1:2], v[1:2], -v[89:90]
	v_fma_f64 v[215:216], v[217:218], v[213:214], v[215:216]
	v_mov_b32_e32 v89, v213
	v_mov_b32_e32 v90, v214
	v_add_f64 v[3:4], v[3:4], -v[215:216]
.LBB115_325:
	s_or_b32 exec_lo, exec_lo, s1
	s_mov_b32 s2, exec_lo
	s_waitcnt_vscnt null, 0x0
	s_barrier
	buffer_gl0_inv
	v_cmpx_eq_u32_e32 36, v0
	s_cbranch_execz .LBB115_332
; %bb.326:
	ds_write2_b64 v255, v[85:86], v[87:88] offset1:1
	ds_write2_b64 v253, v[81:82], v[83:84] offset0:74 offset1:75
	ds_write2_b64 v253, v[77:78], v[79:80] offset0:76 offset1:77
	;; [unrolled: 1-line block ×21, first 2 shown]
	ds_read2_b64 v[213:216], v255 offset1:1
	s_waitcnt lgkmcnt(0)
	v_cmp_neq_f64_e32 vcc_lo, 0, v[213:214]
	v_cmp_neq_f64_e64 s1, 0, v[215:216]
	s_or_b32 s1, vcc_lo, s1
	s_and_b32 exec_lo, exec_lo, s1
	s_cbranch_execz .LBB115_332
; %bb.327:
	v_cmp_ngt_f64_e64 s1, |v[213:214]|, |v[215:216]|
                                        ; implicit-def: $vgpr217_vgpr218
	s_and_saveexec_b32 s3, s1
	s_xor_b32 s1, exec_lo, s3
                                        ; implicit-def: $vgpr219_vgpr220
	s_cbranch_execz .LBB115_329
; %bb.328:
	v_div_scale_f64 v[217:218], null, v[215:216], v[215:216], v[213:214]
	v_div_scale_f64 v[223:224], vcc_lo, v[213:214], v[215:216], v[213:214]
	v_rcp_f64_e32 v[219:220], v[217:218]
	v_fma_f64 v[221:222], -v[217:218], v[219:220], 1.0
	v_fma_f64 v[219:220], v[219:220], v[221:222], v[219:220]
	v_fma_f64 v[221:222], -v[217:218], v[219:220], 1.0
	v_fma_f64 v[219:220], v[219:220], v[221:222], v[219:220]
	v_mul_f64 v[221:222], v[223:224], v[219:220]
	v_fma_f64 v[217:218], -v[217:218], v[221:222], v[223:224]
	v_div_fmas_f64 v[217:218], v[217:218], v[219:220], v[221:222]
	v_div_fixup_f64 v[217:218], v[217:218], v[215:216], v[213:214]
	v_fma_f64 v[213:214], v[213:214], v[217:218], v[215:216]
	v_div_scale_f64 v[215:216], null, v[213:214], v[213:214], 1.0
	v_rcp_f64_e32 v[219:220], v[215:216]
	v_fma_f64 v[221:222], -v[215:216], v[219:220], 1.0
	v_fma_f64 v[219:220], v[219:220], v[221:222], v[219:220]
	v_fma_f64 v[221:222], -v[215:216], v[219:220], 1.0
	v_fma_f64 v[219:220], v[219:220], v[221:222], v[219:220]
	v_div_scale_f64 v[221:222], vcc_lo, 1.0, v[213:214], 1.0
	v_mul_f64 v[223:224], v[221:222], v[219:220]
	v_fma_f64 v[215:216], -v[215:216], v[223:224], v[221:222]
	v_div_fmas_f64 v[215:216], v[215:216], v[219:220], v[223:224]
	v_div_fixup_f64 v[219:220], v[215:216], v[213:214], 1.0
                                        ; implicit-def: $vgpr213_vgpr214
	v_mul_f64 v[217:218], v[217:218], v[219:220]
	v_xor_b32_e32 v220, 0x80000000, v220
.LBB115_329:
	s_andn2_saveexec_b32 s1, s1
	s_cbranch_execz .LBB115_331
; %bb.330:
	v_div_scale_f64 v[217:218], null, v[213:214], v[213:214], v[215:216]
	v_div_scale_f64 v[223:224], vcc_lo, v[215:216], v[213:214], v[215:216]
	v_rcp_f64_e32 v[219:220], v[217:218]
	v_fma_f64 v[221:222], -v[217:218], v[219:220], 1.0
	v_fma_f64 v[219:220], v[219:220], v[221:222], v[219:220]
	v_fma_f64 v[221:222], -v[217:218], v[219:220], 1.0
	v_fma_f64 v[219:220], v[219:220], v[221:222], v[219:220]
	v_mul_f64 v[221:222], v[223:224], v[219:220]
	v_fma_f64 v[217:218], -v[217:218], v[221:222], v[223:224]
	v_div_fmas_f64 v[217:218], v[217:218], v[219:220], v[221:222]
	v_div_fixup_f64 v[219:220], v[217:218], v[213:214], v[215:216]
	v_fma_f64 v[213:214], v[215:216], v[219:220], v[213:214]
	v_div_scale_f64 v[215:216], null, v[213:214], v[213:214], 1.0
	v_rcp_f64_e32 v[217:218], v[215:216]
	v_fma_f64 v[221:222], -v[215:216], v[217:218], 1.0
	v_fma_f64 v[217:218], v[217:218], v[221:222], v[217:218]
	v_fma_f64 v[221:222], -v[215:216], v[217:218], 1.0
	v_fma_f64 v[217:218], v[217:218], v[221:222], v[217:218]
	v_div_scale_f64 v[221:222], vcc_lo, 1.0, v[213:214], 1.0
	v_mul_f64 v[223:224], v[221:222], v[217:218]
	v_fma_f64 v[215:216], -v[215:216], v[223:224], v[221:222]
	v_div_fmas_f64 v[215:216], v[215:216], v[217:218], v[223:224]
	v_div_fixup_f64 v[217:218], v[215:216], v[213:214], 1.0
	v_mul_f64 v[219:220], v[219:220], -v[217:218]
.LBB115_331:
	s_or_b32 exec_lo, exec_lo, s1
	ds_write2_b64 v255, v[217:218], v[219:220] offset1:1
.LBB115_332:
	s_or_b32 exec_lo, exec_lo, s2
	s_waitcnt lgkmcnt(0)
	s_barrier
	buffer_gl0_inv
	ds_read2_b64 v[193:196], v255 offset1:1
	s_mov_b32 s1, exec_lo
	s_waitcnt lgkmcnt(0)
	buffer_store_dword v193, off, s[16:19], 0 offset:1064 ; 4-byte Folded Spill
	buffer_store_dword v194, off, s[16:19], 0 offset:1068 ; 4-byte Folded Spill
	;; [unrolled: 1-line block ×4, first 2 shown]
	v_cmpx_lt_u32_e32 36, v0
	s_cbranch_execz .LBB115_334
; %bb.333:
	s_clause 0x3
	buffer_load_dword v193, off, s[16:19], 0 offset:1064
	buffer_load_dword v194, off, s[16:19], 0 offset:1068
	;; [unrolled: 1-line block ×4, first 2 shown]
	ds_read2_b64 v[215:218], v253 offset0:74 offset1:75
	s_waitcnt vmcnt(0)
	v_mul_f64 v[213:214], v[195:196], v[87:88]
	v_mul_f64 v[87:88], v[193:194], v[87:88]
	v_fma_f64 v[213:214], v[193:194], v[85:86], -v[213:214]
	v_fma_f64 v[87:88], v[195:196], v[85:86], v[87:88]
	s_waitcnt lgkmcnt(0)
	v_mul_f64 v[85:86], v[217:218], v[87:88]
	v_fma_f64 v[85:86], v[215:216], v[213:214], -v[85:86]
	v_mul_f64 v[215:216], v[215:216], v[87:88]
	v_add_f64 v[81:82], v[81:82], -v[85:86]
	v_fma_f64 v[215:216], v[217:218], v[213:214], v[215:216]
	v_add_f64 v[83:84], v[83:84], -v[215:216]
	ds_read2_b64 v[215:218], v253 offset0:76 offset1:77
	s_waitcnt lgkmcnt(0)
	v_mul_f64 v[85:86], v[217:218], v[87:88]
	v_fma_f64 v[85:86], v[215:216], v[213:214], -v[85:86]
	v_mul_f64 v[215:216], v[215:216], v[87:88]
	v_add_f64 v[77:78], v[77:78], -v[85:86]
	v_fma_f64 v[215:216], v[217:218], v[213:214], v[215:216]
	v_add_f64 v[79:80], v[79:80], -v[215:216]
	ds_read2_b64 v[215:218], v253 offset0:78 offset1:79
	;; [unrolled: 8-line block ×20, first 2 shown]
	s_waitcnt lgkmcnt(0)
	v_mul_f64 v[85:86], v[217:218], v[87:88]
	v_fma_f64 v[85:86], v[215:216], v[213:214], -v[85:86]
	v_mul_f64 v[215:216], v[215:216], v[87:88]
	v_add_f64 v[1:2], v[1:2], -v[85:86]
	v_fma_f64 v[215:216], v[217:218], v[213:214], v[215:216]
	v_mov_b32_e32 v85, v213
	v_mov_b32_e32 v86, v214
	v_add_f64 v[3:4], v[3:4], -v[215:216]
.LBB115_334:
	s_or_b32 exec_lo, exec_lo, s1
	s_mov_b32 s2, exec_lo
	s_waitcnt_vscnt null, 0x0
	s_barrier
	buffer_gl0_inv
	v_cmpx_eq_u32_e32 37, v0
	s_cbranch_execz .LBB115_341
; %bb.335:
	ds_write2_b64 v255, v[81:82], v[83:84] offset1:1
	ds_write2_b64 v253, v[77:78], v[79:80] offset0:76 offset1:77
	ds_write2_b64 v253, v[73:74], v[75:76] offset0:78 offset1:79
	;; [unrolled: 1-line block ×20, first 2 shown]
	ds_read2_b64 v[213:216], v255 offset1:1
	s_waitcnt lgkmcnt(0)
	v_cmp_neq_f64_e32 vcc_lo, 0, v[213:214]
	v_cmp_neq_f64_e64 s1, 0, v[215:216]
	s_or_b32 s1, vcc_lo, s1
	s_and_b32 exec_lo, exec_lo, s1
	s_cbranch_execz .LBB115_341
; %bb.336:
	v_cmp_ngt_f64_e64 s1, |v[213:214]|, |v[215:216]|
                                        ; implicit-def: $vgpr217_vgpr218
	s_and_saveexec_b32 s3, s1
	s_xor_b32 s1, exec_lo, s3
                                        ; implicit-def: $vgpr219_vgpr220
	s_cbranch_execz .LBB115_338
; %bb.337:
	v_div_scale_f64 v[217:218], null, v[215:216], v[215:216], v[213:214]
	v_div_scale_f64 v[223:224], vcc_lo, v[213:214], v[215:216], v[213:214]
	v_rcp_f64_e32 v[219:220], v[217:218]
	v_fma_f64 v[221:222], -v[217:218], v[219:220], 1.0
	v_fma_f64 v[219:220], v[219:220], v[221:222], v[219:220]
	v_fma_f64 v[221:222], -v[217:218], v[219:220], 1.0
	v_fma_f64 v[219:220], v[219:220], v[221:222], v[219:220]
	v_mul_f64 v[221:222], v[223:224], v[219:220]
	v_fma_f64 v[217:218], -v[217:218], v[221:222], v[223:224]
	v_div_fmas_f64 v[217:218], v[217:218], v[219:220], v[221:222]
	v_div_fixup_f64 v[217:218], v[217:218], v[215:216], v[213:214]
	v_fma_f64 v[213:214], v[213:214], v[217:218], v[215:216]
	v_div_scale_f64 v[215:216], null, v[213:214], v[213:214], 1.0
	v_rcp_f64_e32 v[219:220], v[215:216]
	v_fma_f64 v[221:222], -v[215:216], v[219:220], 1.0
	v_fma_f64 v[219:220], v[219:220], v[221:222], v[219:220]
	v_fma_f64 v[221:222], -v[215:216], v[219:220], 1.0
	v_fma_f64 v[219:220], v[219:220], v[221:222], v[219:220]
	v_div_scale_f64 v[221:222], vcc_lo, 1.0, v[213:214], 1.0
	v_mul_f64 v[223:224], v[221:222], v[219:220]
	v_fma_f64 v[215:216], -v[215:216], v[223:224], v[221:222]
	v_div_fmas_f64 v[215:216], v[215:216], v[219:220], v[223:224]
	v_div_fixup_f64 v[219:220], v[215:216], v[213:214], 1.0
                                        ; implicit-def: $vgpr213_vgpr214
	v_mul_f64 v[217:218], v[217:218], v[219:220]
	v_xor_b32_e32 v220, 0x80000000, v220
.LBB115_338:
	s_andn2_saveexec_b32 s1, s1
	s_cbranch_execz .LBB115_340
; %bb.339:
	v_div_scale_f64 v[217:218], null, v[213:214], v[213:214], v[215:216]
	v_div_scale_f64 v[223:224], vcc_lo, v[215:216], v[213:214], v[215:216]
	v_rcp_f64_e32 v[219:220], v[217:218]
	v_fma_f64 v[221:222], -v[217:218], v[219:220], 1.0
	v_fma_f64 v[219:220], v[219:220], v[221:222], v[219:220]
	v_fma_f64 v[221:222], -v[217:218], v[219:220], 1.0
	v_fma_f64 v[219:220], v[219:220], v[221:222], v[219:220]
	v_mul_f64 v[221:222], v[223:224], v[219:220]
	v_fma_f64 v[217:218], -v[217:218], v[221:222], v[223:224]
	v_div_fmas_f64 v[217:218], v[217:218], v[219:220], v[221:222]
	v_div_fixup_f64 v[219:220], v[217:218], v[213:214], v[215:216]
	v_fma_f64 v[213:214], v[215:216], v[219:220], v[213:214]
	v_div_scale_f64 v[215:216], null, v[213:214], v[213:214], 1.0
	v_rcp_f64_e32 v[217:218], v[215:216]
	v_fma_f64 v[221:222], -v[215:216], v[217:218], 1.0
	v_fma_f64 v[217:218], v[217:218], v[221:222], v[217:218]
	v_fma_f64 v[221:222], -v[215:216], v[217:218], 1.0
	v_fma_f64 v[217:218], v[217:218], v[221:222], v[217:218]
	v_div_scale_f64 v[221:222], vcc_lo, 1.0, v[213:214], 1.0
	v_mul_f64 v[223:224], v[221:222], v[217:218]
	v_fma_f64 v[215:216], -v[215:216], v[223:224], v[221:222]
	v_div_fmas_f64 v[215:216], v[215:216], v[217:218], v[223:224]
	v_div_fixup_f64 v[217:218], v[215:216], v[213:214], 1.0
	v_mul_f64 v[219:220], v[219:220], -v[217:218]
.LBB115_340:
	s_or_b32 exec_lo, exec_lo, s1
	ds_write2_b64 v255, v[217:218], v[219:220] offset1:1
.LBB115_341:
	s_or_b32 exec_lo, exec_lo, s2
	s_waitcnt lgkmcnt(0)
	s_barrier
	buffer_gl0_inv
	ds_read2_b64 v[193:196], v255 offset1:1
	s_mov_b32 s1, exec_lo
	s_waitcnt lgkmcnt(0)
	buffer_store_dword v193, off, s[16:19], 0 offset:1080 ; 4-byte Folded Spill
	buffer_store_dword v194, off, s[16:19], 0 offset:1084 ; 4-byte Folded Spill
	;; [unrolled: 1-line block ×4, first 2 shown]
	v_cmpx_lt_u32_e32 37, v0
	s_cbranch_execz .LBB115_343
; %bb.342:
	s_clause 0x3
	buffer_load_dword v193, off, s[16:19], 0 offset:1080
	buffer_load_dword v194, off, s[16:19], 0 offset:1084
	;; [unrolled: 1-line block ×4, first 2 shown]
	ds_read2_b64 v[215:218], v253 offset0:76 offset1:77
	s_waitcnt vmcnt(0)
	v_mul_f64 v[213:214], v[195:196], v[83:84]
	v_mul_f64 v[83:84], v[193:194], v[83:84]
	v_fma_f64 v[213:214], v[193:194], v[81:82], -v[213:214]
	v_fma_f64 v[83:84], v[195:196], v[81:82], v[83:84]
	s_waitcnt lgkmcnt(0)
	v_mul_f64 v[81:82], v[217:218], v[83:84]
	v_fma_f64 v[81:82], v[215:216], v[213:214], -v[81:82]
	v_mul_f64 v[215:216], v[215:216], v[83:84]
	v_add_f64 v[77:78], v[77:78], -v[81:82]
	v_fma_f64 v[215:216], v[217:218], v[213:214], v[215:216]
	v_add_f64 v[79:80], v[79:80], -v[215:216]
	ds_read2_b64 v[215:218], v253 offset0:78 offset1:79
	s_waitcnt lgkmcnt(0)
	v_mul_f64 v[81:82], v[217:218], v[83:84]
	v_fma_f64 v[81:82], v[215:216], v[213:214], -v[81:82]
	v_mul_f64 v[215:216], v[215:216], v[83:84]
	v_add_f64 v[73:74], v[73:74], -v[81:82]
	v_fma_f64 v[215:216], v[217:218], v[213:214], v[215:216]
	v_add_f64 v[75:76], v[75:76], -v[215:216]
	ds_read2_b64 v[215:218], v253 offset0:80 offset1:81
	;; [unrolled: 8-line block ×19, first 2 shown]
	s_waitcnt lgkmcnt(0)
	v_mul_f64 v[81:82], v[217:218], v[83:84]
	v_fma_f64 v[81:82], v[215:216], v[213:214], -v[81:82]
	v_mul_f64 v[215:216], v[215:216], v[83:84]
	v_add_f64 v[1:2], v[1:2], -v[81:82]
	v_fma_f64 v[215:216], v[217:218], v[213:214], v[215:216]
	v_mov_b32_e32 v81, v213
	v_mov_b32_e32 v82, v214
	v_add_f64 v[3:4], v[3:4], -v[215:216]
.LBB115_343:
	s_or_b32 exec_lo, exec_lo, s1
	s_mov_b32 s2, exec_lo
	s_waitcnt_vscnt null, 0x0
	s_barrier
	buffer_gl0_inv
	v_cmpx_eq_u32_e32 38, v0
	s_cbranch_execz .LBB115_350
; %bb.344:
	ds_write2_b64 v255, v[77:78], v[79:80] offset1:1
	ds_write2_b64 v253, v[73:74], v[75:76] offset0:78 offset1:79
	ds_write2_b64 v253, v[69:70], v[71:72] offset0:80 offset1:81
	;; [unrolled: 1-line block ×19, first 2 shown]
	ds_read2_b64 v[213:216], v255 offset1:1
	s_waitcnt lgkmcnt(0)
	v_cmp_neq_f64_e32 vcc_lo, 0, v[213:214]
	v_cmp_neq_f64_e64 s1, 0, v[215:216]
	s_or_b32 s1, vcc_lo, s1
	s_and_b32 exec_lo, exec_lo, s1
	s_cbranch_execz .LBB115_350
; %bb.345:
	v_cmp_ngt_f64_e64 s1, |v[213:214]|, |v[215:216]|
                                        ; implicit-def: $vgpr217_vgpr218
	s_and_saveexec_b32 s3, s1
	s_xor_b32 s1, exec_lo, s3
                                        ; implicit-def: $vgpr219_vgpr220
	s_cbranch_execz .LBB115_347
; %bb.346:
	v_div_scale_f64 v[217:218], null, v[215:216], v[215:216], v[213:214]
	v_div_scale_f64 v[223:224], vcc_lo, v[213:214], v[215:216], v[213:214]
	v_rcp_f64_e32 v[219:220], v[217:218]
	v_fma_f64 v[221:222], -v[217:218], v[219:220], 1.0
	v_fma_f64 v[219:220], v[219:220], v[221:222], v[219:220]
	v_fma_f64 v[221:222], -v[217:218], v[219:220], 1.0
	v_fma_f64 v[219:220], v[219:220], v[221:222], v[219:220]
	v_mul_f64 v[221:222], v[223:224], v[219:220]
	v_fma_f64 v[217:218], -v[217:218], v[221:222], v[223:224]
	v_div_fmas_f64 v[217:218], v[217:218], v[219:220], v[221:222]
	v_div_fixup_f64 v[217:218], v[217:218], v[215:216], v[213:214]
	v_fma_f64 v[213:214], v[213:214], v[217:218], v[215:216]
	v_div_scale_f64 v[215:216], null, v[213:214], v[213:214], 1.0
	v_rcp_f64_e32 v[219:220], v[215:216]
	v_fma_f64 v[221:222], -v[215:216], v[219:220], 1.0
	v_fma_f64 v[219:220], v[219:220], v[221:222], v[219:220]
	v_fma_f64 v[221:222], -v[215:216], v[219:220], 1.0
	v_fma_f64 v[219:220], v[219:220], v[221:222], v[219:220]
	v_div_scale_f64 v[221:222], vcc_lo, 1.0, v[213:214], 1.0
	v_mul_f64 v[223:224], v[221:222], v[219:220]
	v_fma_f64 v[215:216], -v[215:216], v[223:224], v[221:222]
	v_div_fmas_f64 v[215:216], v[215:216], v[219:220], v[223:224]
	v_div_fixup_f64 v[219:220], v[215:216], v[213:214], 1.0
                                        ; implicit-def: $vgpr213_vgpr214
	v_mul_f64 v[217:218], v[217:218], v[219:220]
	v_xor_b32_e32 v220, 0x80000000, v220
.LBB115_347:
	s_andn2_saveexec_b32 s1, s1
	s_cbranch_execz .LBB115_349
; %bb.348:
	v_div_scale_f64 v[217:218], null, v[213:214], v[213:214], v[215:216]
	v_div_scale_f64 v[223:224], vcc_lo, v[215:216], v[213:214], v[215:216]
	v_rcp_f64_e32 v[219:220], v[217:218]
	v_fma_f64 v[221:222], -v[217:218], v[219:220], 1.0
	v_fma_f64 v[219:220], v[219:220], v[221:222], v[219:220]
	v_fma_f64 v[221:222], -v[217:218], v[219:220], 1.0
	v_fma_f64 v[219:220], v[219:220], v[221:222], v[219:220]
	v_mul_f64 v[221:222], v[223:224], v[219:220]
	v_fma_f64 v[217:218], -v[217:218], v[221:222], v[223:224]
	v_div_fmas_f64 v[217:218], v[217:218], v[219:220], v[221:222]
	v_div_fixup_f64 v[219:220], v[217:218], v[213:214], v[215:216]
	v_fma_f64 v[213:214], v[215:216], v[219:220], v[213:214]
	v_div_scale_f64 v[215:216], null, v[213:214], v[213:214], 1.0
	v_rcp_f64_e32 v[217:218], v[215:216]
	v_fma_f64 v[221:222], -v[215:216], v[217:218], 1.0
	v_fma_f64 v[217:218], v[217:218], v[221:222], v[217:218]
	v_fma_f64 v[221:222], -v[215:216], v[217:218], 1.0
	v_fma_f64 v[217:218], v[217:218], v[221:222], v[217:218]
	v_div_scale_f64 v[221:222], vcc_lo, 1.0, v[213:214], 1.0
	v_mul_f64 v[223:224], v[221:222], v[217:218]
	v_fma_f64 v[215:216], -v[215:216], v[223:224], v[221:222]
	v_div_fmas_f64 v[215:216], v[215:216], v[217:218], v[223:224]
	v_div_fixup_f64 v[217:218], v[215:216], v[213:214], 1.0
	v_mul_f64 v[219:220], v[219:220], -v[217:218]
.LBB115_349:
	s_or_b32 exec_lo, exec_lo, s1
	ds_write2_b64 v255, v[217:218], v[219:220] offset1:1
.LBB115_350:
	s_or_b32 exec_lo, exec_lo, s2
	s_waitcnt lgkmcnt(0)
	s_barrier
	buffer_gl0_inv
	ds_read2_b64 v[193:196], v255 offset1:1
	s_mov_b32 s1, exec_lo
	s_waitcnt lgkmcnt(0)
	buffer_store_dword v193, off, s[16:19], 0 offset:1096 ; 4-byte Folded Spill
	buffer_store_dword v194, off, s[16:19], 0 offset:1100 ; 4-byte Folded Spill
	buffer_store_dword v195, off, s[16:19], 0 offset:1104 ; 4-byte Folded Spill
	buffer_store_dword v196, off, s[16:19], 0 offset:1108 ; 4-byte Folded Spill
	v_cmpx_lt_u32_e32 38, v0
	s_cbranch_execz .LBB115_352
; %bb.351:
	s_clause 0x3
	buffer_load_dword v193, off, s[16:19], 0 offset:1096
	buffer_load_dword v194, off, s[16:19], 0 offset:1100
	;; [unrolled: 1-line block ×4, first 2 shown]
	ds_read2_b64 v[215:218], v253 offset0:78 offset1:79
	s_waitcnt vmcnt(0)
	v_mul_f64 v[213:214], v[195:196], v[79:80]
	v_mul_f64 v[79:80], v[193:194], v[79:80]
	v_fma_f64 v[213:214], v[193:194], v[77:78], -v[213:214]
	v_fma_f64 v[79:80], v[195:196], v[77:78], v[79:80]
	s_waitcnt lgkmcnt(0)
	v_mul_f64 v[77:78], v[217:218], v[79:80]
	v_fma_f64 v[77:78], v[215:216], v[213:214], -v[77:78]
	v_mul_f64 v[215:216], v[215:216], v[79:80]
	v_add_f64 v[73:74], v[73:74], -v[77:78]
	v_fma_f64 v[215:216], v[217:218], v[213:214], v[215:216]
	v_add_f64 v[75:76], v[75:76], -v[215:216]
	ds_read2_b64 v[215:218], v253 offset0:80 offset1:81
	s_waitcnt lgkmcnt(0)
	v_mul_f64 v[77:78], v[217:218], v[79:80]
	v_fma_f64 v[77:78], v[215:216], v[213:214], -v[77:78]
	v_mul_f64 v[215:216], v[215:216], v[79:80]
	v_add_f64 v[69:70], v[69:70], -v[77:78]
	v_fma_f64 v[215:216], v[217:218], v[213:214], v[215:216]
	v_add_f64 v[71:72], v[71:72], -v[215:216]
	ds_read2_b64 v[215:218], v253 offset0:82 offset1:83
	;; [unrolled: 8-line block ×18, first 2 shown]
	s_waitcnt lgkmcnt(0)
	v_mul_f64 v[77:78], v[217:218], v[79:80]
	v_fma_f64 v[77:78], v[215:216], v[213:214], -v[77:78]
	v_mul_f64 v[215:216], v[215:216], v[79:80]
	v_add_f64 v[1:2], v[1:2], -v[77:78]
	v_fma_f64 v[215:216], v[217:218], v[213:214], v[215:216]
	v_mov_b32_e32 v77, v213
	v_mov_b32_e32 v78, v214
	v_add_f64 v[3:4], v[3:4], -v[215:216]
.LBB115_352:
	s_or_b32 exec_lo, exec_lo, s1
	s_mov_b32 s2, exec_lo
	s_waitcnt_vscnt null, 0x0
	s_barrier
	buffer_gl0_inv
	v_cmpx_eq_u32_e32 39, v0
	s_cbranch_execz .LBB115_359
; %bb.353:
	ds_write2_b64 v255, v[73:74], v[75:76] offset1:1
	ds_write2_b64 v253, v[69:70], v[71:72] offset0:80 offset1:81
	ds_write2_b64 v253, v[65:66], v[67:68] offset0:82 offset1:83
	;; [unrolled: 1-line block ×18, first 2 shown]
	ds_read2_b64 v[213:216], v255 offset1:1
	s_waitcnt lgkmcnt(0)
	v_cmp_neq_f64_e32 vcc_lo, 0, v[213:214]
	v_cmp_neq_f64_e64 s1, 0, v[215:216]
	s_or_b32 s1, vcc_lo, s1
	s_and_b32 exec_lo, exec_lo, s1
	s_cbranch_execz .LBB115_359
; %bb.354:
	v_cmp_ngt_f64_e64 s1, |v[213:214]|, |v[215:216]|
                                        ; implicit-def: $vgpr217_vgpr218
	s_and_saveexec_b32 s3, s1
	s_xor_b32 s1, exec_lo, s3
                                        ; implicit-def: $vgpr219_vgpr220
	s_cbranch_execz .LBB115_356
; %bb.355:
	v_div_scale_f64 v[217:218], null, v[215:216], v[215:216], v[213:214]
	v_div_scale_f64 v[223:224], vcc_lo, v[213:214], v[215:216], v[213:214]
	v_rcp_f64_e32 v[219:220], v[217:218]
	v_fma_f64 v[221:222], -v[217:218], v[219:220], 1.0
	v_fma_f64 v[219:220], v[219:220], v[221:222], v[219:220]
	v_fma_f64 v[221:222], -v[217:218], v[219:220], 1.0
	v_fma_f64 v[219:220], v[219:220], v[221:222], v[219:220]
	v_mul_f64 v[221:222], v[223:224], v[219:220]
	v_fma_f64 v[217:218], -v[217:218], v[221:222], v[223:224]
	v_div_fmas_f64 v[217:218], v[217:218], v[219:220], v[221:222]
	v_div_fixup_f64 v[217:218], v[217:218], v[215:216], v[213:214]
	v_fma_f64 v[213:214], v[213:214], v[217:218], v[215:216]
	v_div_scale_f64 v[215:216], null, v[213:214], v[213:214], 1.0
	v_rcp_f64_e32 v[219:220], v[215:216]
	v_fma_f64 v[221:222], -v[215:216], v[219:220], 1.0
	v_fma_f64 v[219:220], v[219:220], v[221:222], v[219:220]
	v_fma_f64 v[221:222], -v[215:216], v[219:220], 1.0
	v_fma_f64 v[219:220], v[219:220], v[221:222], v[219:220]
	v_div_scale_f64 v[221:222], vcc_lo, 1.0, v[213:214], 1.0
	v_mul_f64 v[223:224], v[221:222], v[219:220]
	v_fma_f64 v[215:216], -v[215:216], v[223:224], v[221:222]
	v_div_fmas_f64 v[215:216], v[215:216], v[219:220], v[223:224]
	v_div_fixup_f64 v[219:220], v[215:216], v[213:214], 1.0
                                        ; implicit-def: $vgpr213_vgpr214
	v_mul_f64 v[217:218], v[217:218], v[219:220]
	v_xor_b32_e32 v220, 0x80000000, v220
.LBB115_356:
	s_andn2_saveexec_b32 s1, s1
	s_cbranch_execz .LBB115_358
; %bb.357:
	v_div_scale_f64 v[217:218], null, v[213:214], v[213:214], v[215:216]
	v_div_scale_f64 v[223:224], vcc_lo, v[215:216], v[213:214], v[215:216]
	v_rcp_f64_e32 v[219:220], v[217:218]
	v_fma_f64 v[221:222], -v[217:218], v[219:220], 1.0
	v_fma_f64 v[219:220], v[219:220], v[221:222], v[219:220]
	v_fma_f64 v[221:222], -v[217:218], v[219:220], 1.0
	v_fma_f64 v[219:220], v[219:220], v[221:222], v[219:220]
	v_mul_f64 v[221:222], v[223:224], v[219:220]
	v_fma_f64 v[217:218], -v[217:218], v[221:222], v[223:224]
	v_div_fmas_f64 v[217:218], v[217:218], v[219:220], v[221:222]
	v_div_fixup_f64 v[219:220], v[217:218], v[213:214], v[215:216]
	v_fma_f64 v[213:214], v[215:216], v[219:220], v[213:214]
	v_div_scale_f64 v[215:216], null, v[213:214], v[213:214], 1.0
	v_rcp_f64_e32 v[217:218], v[215:216]
	v_fma_f64 v[221:222], -v[215:216], v[217:218], 1.0
	v_fma_f64 v[217:218], v[217:218], v[221:222], v[217:218]
	v_fma_f64 v[221:222], -v[215:216], v[217:218], 1.0
	v_fma_f64 v[217:218], v[217:218], v[221:222], v[217:218]
	v_div_scale_f64 v[221:222], vcc_lo, 1.0, v[213:214], 1.0
	v_mul_f64 v[223:224], v[221:222], v[217:218]
	v_fma_f64 v[215:216], -v[215:216], v[223:224], v[221:222]
	v_div_fmas_f64 v[215:216], v[215:216], v[217:218], v[223:224]
	v_div_fixup_f64 v[217:218], v[215:216], v[213:214], 1.0
	v_mul_f64 v[219:220], v[219:220], -v[217:218]
.LBB115_358:
	s_or_b32 exec_lo, exec_lo, s1
	ds_write2_b64 v255, v[217:218], v[219:220] offset1:1
.LBB115_359:
	s_or_b32 exec_lo, exec_lo, s2
	s_waitcnt lgkmcnt(0)
	s_barrier
	buffer_gl0_inv
	ds_read2_b64 v[193:196], v255 offset1:1
	s_mov_b32 s1, exec_lo
	s_waitcnt lgkmcnt(0)
	buffer_store_dword v193, off, s[16:19], 0 offset:1112 ; 4-byte Folded Spill
	buffer_store_dword v194, off, s[16:19], 0 offset:1116 ; 4-byte Folded Spill
	;; [unrolled: 1-line block ×4, first 2 shown]
	v_cmpx_lt_u32_e32 39, v0
	s_cbranch_execz .LBB115_361
; %bb.360:
	s_clause 0x3
	buffer_load_dword v193, off, s[16:19], 0 offset:1112
	buffer_load_dword v194, off, s[16:19], 0 offset:1116
	;; [unrolled: 1-line block ×4, first 2 shown]
	ds_read2_b64 v[215:218], v253 offset0:80 offset1:81
	s_waitcnt vmcnt(0)
	v_mul_f64 v[213:214], v[195:196], v[75:76]
	v_mul_f64 v[75:76], v[193:194], v[75:76]
	v_fma_f64 v[213:214], v[193:194], v[73:74], -v[213:214]
	v_fma_f64 v[75:76], v[195:196], v[73:74], v[75:76]
	s_waitcnt lgkmcnt(0)
	v_mul_f64 v[73:74], v[217:218], v[75:76]
	v_fma_f64 v[73:74], v[215:216], v[213:214], -v[73:74]
	v_mul_f64 v[215:216], v[215:216], v[75:76]
	v_add_f64 v[69:70], v[69:70], -v[73:74]
	v_fma_f64 v[215:216], v[217:218], v[213:214], v[215:216]
	v_add_f64 v[71:72], v[71:72], -v[215:216]
	ds_read2_b64 v[215:218], v253 offset0:82 offset1:83
	s_waitcnt lgkmcnt(0)
	v_mul_f64 v[73:74], v[217:218], v[75:76]
	v_fma_f64 v[73:74], v[215:216], v[213:214], -v[73:74]
	v_mul_f64 v[215:216], v[215:216], v[75:76]
	v_add_f64 v[65:66], v[65:66], -v[73:74]
	v_fma_f64 v[215:216], v[217:218], v[213:214], v[215:216]
	v_add_f64 v[67:68], v[67:68], -v[215:216]
	ds_read2_b64 v[215:218], v253 offset0:84 offset1:85
	;; [unrolled: 8-line block ×17, first 2 shown]
	s_waitcnt lgkmcnt(0)
	v_mul_f64 v[73:74], v[217:218], v[75:76]
	v_fma_f64 v[73:74], v[215:216], v[213:214], -v[73:74]
	v_mul_f64 v[215:216], v[215:216], v[75:76]
	v_add_f64 v[1:2], v[1:2], -v[73:74]
	v_fma_f64 v[215:216], v[217:218], v[213:214], v[215:216]
	v_mov_b32_e32 v73, v213
	v_mov_b32_e32 v74, v214
	v_add_f64 v[3:4], v[3:4], -v[215:216]
.LBB115_361:
	s_or_b32 exec_lo, exec_lo, s1
	s_mov_b32 s2, exec_lo
	s_waitcnt_vscnt null, 0x0
	s_barrier
	buffer_gl0_inv
	v_cmpx_eq_u32_e32 40, v0
	s_cbranch_execz .LBB115_368
; %bb.362:
	ds_write2_b64 v255, v[69:70], v[71:72] offset1:1
	ds_write2_b64 v253, v[65:66], v[67:68] offset0:82 offset1:83
	ds_write2_b64 v253, v[61:62], v[63:64] offset0:84 offset1:85
	;; [unrolled: 1-line block ×17, first 2 shown]
	ds_read2_b64 v[213:216], v255 offset1:1
	s_waitcnt lgkmcnt(0)
	v_cmp_neq_f64_e32 vcc_lo, 0, v[213:214]
	v_cmp_neq_f64_e64 s1, 0, v[215:216]
	s_or_b32 s1, vcc_lo, s1
	s_and_b32 exec_lo, exec_lo, s1
	s_cbranch_execz .LBB115_368
; %bb.363:
	v_cmp_ngt_f64_e64 s1, |v[213:214]|, |v[215:216]|
                                        ; implicit-def: $vgpr217_vgpr218
	s_and_saveexec_b32 s3, s1
	s_xor_b32 s1, exec_lo, s3
                                        ; implicit-def: $vgpr219_vgpr220
	s_cbranch_execz .LBB115_365
; %bb.364:
	v_div_scale_f64 v[217:218], null, v[215:216], v[215:216], v[213:214]
	v_div_scale_f64 v[223:224], vcc_lo, v[213:214], v[215:216], v[213:214]
	v_rcp_f64_e32 v[219:220], v[217:218]
	v_fma_f64 v[221:222], -v[217:218], v[219:220], 1.0
	v_fma_f64 v[219:220], v[219:220], v[221:222], v[219:220]
	v_fma_f64 v[221:222], -v[217:218], v[219:220], 1.0
	v_fma_f64 v[219:220], v[219:220], v[221:222], v[219:220]
	v_mul_f64 v[221:222], v[223:224], v[219:220]
	v_fma_f64 v[217:218], -v[217:218], v[221:222], v[223:224]
	v_div_fmas_f64 v[217:218], v[217:218], v[219:220], v[221:222]
	v_div_fixup_f64 v[217:218], v[217:218], v[215:216], v[213:214]
	v_fma_f64 v[213:214], v[213:214], v[217:218], v[215:216]
	v_div_scale_f64 v[215:216], null, v[213:214], v[213:214], 1.0
	v_rcp_f64_e32 v[219:220], v[215:216]
	v_fma_f64 v[221:222], -v[215:216], v[219:220], 1.0
	v_fma_f64 v[219:220], v[219:220], v[221:222], v[219:220]
	v_fma_f64 v[221:222], -v[215:216], v[219:220], 1.0
	v_fma_f64 v[219:220], v[219:220], v[221:222], v[219:220]
	v_div_scale_f64 v[221:222], vcc_lo, 1.0, v[213:214], 1.0
	v_mul_f64 v[223:224], v[221:222], v[219:220]
	v_fma_f64 v[215:216], -v[215:216], v[223:224], v[221:222]
	v_div_fmas_f64 v[215:216], v[215:216], v[219:220], v[223:224]
	v_div_fixup_f64 v[219:220], v[215:216], v[213:214], 1.0
                                        ; implicit-def: $vgpr213_vgpr214
	v_mul_f64 v[217:218], v[217:218], v[219:220]
	v_xor_b32_e32 v220, 0x80000000, v220
.LBB115_365:
	s_andn2_saveexec_b32 s1, s1
	s_cbranch_execz .LBB115_367
; %bb.366:
	v_div_scale_f64 v[217:218], null, v[213:214], v[213:214], v[215:216]
	v_div_scale_f64 v[223:224], vcc_lo, v[215:216], v[213:214], v[215:216]
	v_rcp_f64_e32 v[219:220], v[217:218]
	v_fma_f64 v[221:222], -v[217:218], v[219:220], 1.0
	v_fma_f64 v[219:220], v[219:220], v[221:222], v[219:220]
	v_fma_f64 v[221:222], -v[217:218], v[219:220], 1.0
	v_fma_f64 v[219:220], v[219:220], v[221:222], v[219:220]
	v_mul_f64 v[221:222], v[223:224], v[219:220]
	v_fma_f64 v[217:218], -v[217:218], v[221:222], v[223:224]
	v_div_fmas_f64 v[217:218], v[217:218], v[219:220], v[221:222]
	v_div_fixup_f64 v[219:220], v[217:218], v[213:214], v[215:216]
	v_fma_f64 v[213:214], v[215:216], v[219:220], v[213:214]
	v_div_scale_f64 v[215:216], null, v[213:214], v[213:214], 1.0
	v_rcp_f64_e32 v[217:218], v[215:216]
	v_fma_f64 v[221:222], -v[215:216], v[217:218], 1.0
	v_fma_f64 v[217:218], v[217:218], v[221:222], v[217:218]
	v_fma_f64 v[221:222], -v[215:216], v[217:218], 1.0
	v_fma_f64 v[217:218], v[217:218], v[221:222], v[217:218]
	v_div_scale_f64 v[221:222], vcc_lo, 1.0, v[213:214], 1.0
	v_mul_f64 v[223:224], v[221:222], v[217:218]
	v_fma_f64 v[215:216], -v[215:216], v[223:224], v[221:222]
	v_div_fmas_f64 v[215:216], v[215:216], v[217:218], v[223:224]
	v_div_fixup_f64 v[217:218], v[215:216], v[213:214], 1.0
	v_mul_f64 v[219:220], v[219:220], -v[217:218]
.LBB115_367:
	s_or_b32 exec_lo, exec_lo, s1
	ds_write2_b64 v255, v[217:218], v[219:220] offset1:1
.LBB115_368:
	s_or_b32 exec_lo, exec_lo, s2
	s_waitcnt lgkmcnt(0)
	s_barrier
	buffer_gl0_inv
	ds_read2_b64 v[193:196], v255 offset1:1
	s_mov_b32 s1, exec_lo
	s_waitcnt lgkmcnt(0)
	buffer_store_dword v193, off, s[16:19], 0 offset:1128 ; 4-byte Folded Spill
	buffer_store_dword v194, off, s[16:19], 0 offset:1132 ; 4-byte Folded Spill
	;; [unrolled: 1-line block ×4, first 2 shown]
	v_cmpx_lt_u32_e32 40, v0
	s_cbranch_execz .LBB115_370
; %bb.369:
	s_clause 0x3
	buffer_load_dword v193, off, s[16:19], 0 offset:1128
	buffer_load_dword v194, off, s[16:19], 0 offset:1132
	buffer_load_dword v195, off, s[16:19], 0 offset:1136
	buffer_load_dword v196, off, s[16:19], 0 offset:1140
	ds_read2_b64 v[215:218], v253 offset0:82 offset1:83
	s_waitcnt vmcnt(0)
	v_mul_f64 v[213:214], v[195:196], v[71:72]
	v_mul_f64 v[71:72], v[193:194], v[71:72]
	v_fma_f64 v[213:214], v[193:194], v[69:70], -v[213:214]
	v_fma_f64 v[71:72], v[195:196], v[69:70], v[71:72]
	s_waitcnt lgkmcnt(0)
	v_mul_f64 v[69:70], v[217:218], v[71:72]
	v_fma_f64 v[69:70], v[215:216], v[213:214], -v[69:70]
	v_mul_f64 v[215:216], v[215:216], v[71:72]
	v_add_f64 v[65:66], v[65:66], -v[69:70]
	v_fma_f64 v[215:216], v[217:218], v[213:214], v[215:216]
	v_add_f64 v[67:68], v[67:68], -v[215:216]
	ds_read2_b64 v[215:218], v253 offset0:84 offset1:85
	s_waitcnt lgkmcnt(0)
	v_mul_f64 v[69:70], v[217:218], v[71:72]
	v_fma_f64 v[69:70], v[215:216], v[213:214], -v[69:70]
	v_mul_f64 v[215:216], v[215:216], v[71:72]
	v_add_f64 v[61:62], v[61:62], -v[69:70]
	v_fma_f64 v[215:216], v[217:218], v[213:214], v[215:216]
	v_add_f64 v[63:64], v[63:64], -v[215:216]
	ds_read2_b64 v[215:218], v253 offset0:86 offset1:87
	;; [unrolled: 8-line block ×16, first 2 shown]
	s_waitcnt lgkmcnt(0)
	v_mul_f64 v[69:70], v[217:218], v[71:72]
	v_fma_f64 v[69:70], v[215:216], v[213:214], -v[69:70]
	v_mul_f64 v[215:216], v[215:216], v[71:72]
	v_add_f64 v[1:2], v[1:2], -v[69:70]
	v_fma_f64 v[215:216], v[217:218], v[213:214], v[215:216]
	v_mov_b32_e32 v69, v213
	v_mov_b32_e32 v70, v214
	v_add_f64 v[3:4], v[3:4], -v[215:216]
.LBB115_370:
	s_or_b32 exec_lo, exec_lo, s1
	s_mov_b32 s2, exec_lo
	s_waitcnt_vscnt null, 0x0
	s_barrier
	buffer_gl0_inv
	v_cmpx_eq_u32_e32 41, v0
	s_cbranch_execz .LBB115_377
; %bb.371:
	ds_write2_b64 v255, v[65:66], v[67:68] offset1:1
	ds_write2_b64 v253, v[61:62], v[63:64] offset0:84 offset1:85
	ds_write2_b64 v253, v[57:58], v[59:60] offset0:86 offset1:87
	;; [unrolled: 1-line block ×16, first 2 shown]
	ds_read2_b64 v[213:216], v255 offset1:1
	s_waitcnt lgkmcnt(0)
	v_cmp_neq_f64_e32 vcc_lo, 0, v[213:214]
	v_cmp_neq_f64_e64 s1, 0, v[215:216]
	s_or_b32 s1, vcc_lo, s1
	s_and_b32 exec_lo, exec_lo, s1
	s_cbranch_execz .LBB115_377
; %bb.372:
	v_cmp_ngt_f64_e64 s1, |v[213:214]|, |v[215:216]|
                                        ; implicit-def: $vgpr217_vgpr218
	s_and_saveexec_b32 s3, s1
	s_xor_b32 s1, exec_lo, s3
                                        ; implicit-def: $vgpr219_vgpr220
	s_cbranch_execz .LBB115_374
; %bb.373:
	v_div_scale_f64 v[217:218], null, v[215:216], v[215:216], v[213:214]
	v_div_scale_f64 v[223:224], vcc_lo, v[213:214], v[215:216], v[213:214]
	v_rcp_f64_e32 v[219:220], v[217:218]
	v_fma_f64 v[221:222], -v[217:218], v[219:220], 1.0
	v_fma_f64 v[219:220], v[219:220], v[221:222], v[219:220]
	v_fma_f64 v[221:222], -v[217:218], v[219:220], 1.0
	v_fma_f64 v[219:220], v[219:220], v[221:222], v[219:220]
	v_mul_f64 v[221:222], v[223:224], v[219:220]
	v_fma_f64 v[217:218], -v[217:218], v[221:222], v[223:224]
	v_div_fmas_f64 v[217:218], v[217:218], v[219:220], v[221:222]
	v_div_fixup_f64 v[217:218], v[217:218], v[215:216], v[213:214]
	v_fma_f64 v[213:214], v[213:214], v[217:218], v[215:216]
	v_div_scale_f64 v[215:216], null, v[213:214], v[213:214], 1.0
	v_rcp_f64_e32 v[219:220], v[215:216]
	v_fma_f64 v[221:222], -v[215:216], v[219:220], 1.0
	v_fma_f64 v[219:220], v[219:220], v[221:222], v[219:220]
	v_fma_f64 v[221:222], -v[215:216], v[219:220], 1.0
	v_fma_f64 v[219:220], v[219:220], v[221:222], v[219:220]
	v_div_scale_f64 v[221:222], vcc_lo, 1.0, v[213:214], 1.0
	v_mul_f64 v[223:224], v[221:222], v[219:220]
	v_fma_f64 v[215:216], -v[215:216], v[223:224], v[221:222]
	v_div_fmas_f64 v[215:216], v[215:216], v[219:220], v[223:224]
	v_div_fixup_f64 v[219:220], v[215:216], v[213:214], 1.0
                                        ; implicit-def: $vgpr213_vgpr214
	v_mul_f64 v[217:218], v[217:218], v[219:220]
	v_xor_b32_e32 v220, 0x80000000, v220
.LBB115_374:
	s_andn2_saveexec_b32 s1, s1
	s_cbranch_execz .LBB115_376
; %bb.375:
	v_div_scale_f64 v[217:218], null, v[213:214], v[213:214], v[215:216]
	v_div_scale_f64 v[223:224], vcc_lo, v[215:216], v[213:214], v[215:216]
	v_rcp_f64_e32 v[219:220], v[217:218]
	v_fma_f64 v[221:222], -v[217:218], v[219:220], 1.0
	v_fma_f64 v[219:220], v[219:220], v[221:222], v[219:220]
	v_fma_f64 v[221:222], -v[217:218], v[219:220], 1.0
	v_fma_f64 v[219:220], v[219:220], v[221:222], v[219:220]
	v_mul_f64 v[221:222], v[223:224], v[219:220]
	v_fma_f64 v[217:218], -v[217:218], v[221:222], v[223:224]
	v_div_fmas_f64 v[217:218], v[217:218], v[219:220], v[221:222]
	v_div_fixup_f64 v[219:220], v[217:218], v[213:214], v[215:216]
	v_fma_f64 v[213:214], v[215:216], v[219:220], v[213:214]
	v_div_scale_f64 v[215:216], null, v[213:214], v[213:214], 1.0
	v_rcp_f64_e32 v[217:218], v[215:216]
	v_fma_f64 v[221:222], -v[215:216], v[217:218], 1.0
	v_fma_f64 v[217:218], v[217:218], v[221:222], v[217:218]
	v_fma_f64 v[221:222], -v[215:216], v[217:218], 1.0
	v_fma_f64 v[217:218], v[217:218], v[221:222], v[217:218]
	v_div_scale_f64 v[221:222], vcc_lo, 1.0, v[213:214], 1.0
	v_mul_f64 v[223:224], v[221:222], v[217:218]
	v_fma_f64 v[215:216], -v[215:216], v[223:224], v[221:222]
	v_div_fmas_f64 v[215:216], v[215:216], v[217:218], v[223:224]
	v_div_fixup_f64 v[217:218], v[215:216], v[213:214], 1.0
	v_mul_f64 v[219:220], v[219:220], -v[217:218]
.LBB115_376:
	s_or_b32 exec_lo, exec_lo, s1
	ds_write2_b64 v255, v[217:218], v[219:220] offset1:1
.LBB115_377:
	s_or_b32 exec_lo, exec_lo, s2
	s_waitcnt lgkmcnt(0)
	s_barrier
	buffer_gl0_inv
	ds_read2_b64 v[193:196], v255 offset1:1
	s_mov_b32 s1, exec_lo
	s_waitcnt lgkmcnt(0)
	buffer_store_dword v193, off, s[16:19], 0 offset:1144 ; 4-byte Folded Spill
	buffer_store_dword v194, off, s[16:19], 0 offset:1148 ; 4-byte Folded Spill
	;; [unrolled: 1-line block ×4, first 2 shown]
	v_cmpx_lt_u32_e32 41, v0
	s_cbranch_execz .LBB115_379
; %bb.378:
	s_clause 0x3
	buffer_load_dword v193, off, s[16:19], 0 offset:1144
	buffer_load_dword v194, off, s[16:19], 0 offset:1148
	;; [unrolled: 1-line block ×4, first 2 shown]
	ds_read2_b64 v[215:218], v253 offset0:84 offset1:85
	s_waitcnt vmcnt(2)
	v_mul_f64 v[213:214], v[193:194], v[67:68]
	s_waitcnt vmcnt(0)
	v_mul_f64 v[67:68], v[195:196], v[67:68]
	v_fma_f64 v[213:214], v[195:196], v[65:66], v[213:214]
	v_fma_f64 v[65:66], v[193:194], v[65:66], -v[67:68]
	s_waitcnt lgkmcnt(0)
	v_mul_f64 v[67:68], v[217:218], v[213:214]
	v_fma_f64 v[67:68], v[215:216], v[65:66], -v[67:68]
	v_mul_f64 v[215:216], v[215:216], v[213:214]
	v_add_f64 v[61:62], v[61:62], -v[67:68]
	v_fma_f64 v[215:216], v[217:218], v[65:66], v[215:216]
	v_add_f64 v[63:64], v[63:64], -v[215:216]
	ds_read2_b64 v[215:218], v253 offset0:86 offset1:87
	s_waitcnt lgkmcnt(0)
	v_mul_f64 v[67:68], v[217:218], v[213:214]
	v_fma_f64 v[67:68], v[215:216], v[65:66], -v[67:68]
	v_mul_f64 v[215:216], v[215:216], v[213:214]
	v_add_f64 v[57:58], v[57:58], -v[67:68]
	v_fma_f64 v[215:216], v[217:218], v[65:66], v[215:216]
	v_add_f64 v[59:60], v[59:60], -v[215:216]
	ds_read2_b64 v[215:218], v253 offset0:88 offset1:89
	;; [unrolled: 8-line block ×15, first 2 shown]
	s_waitcnt lgkmcnt(0)
	v_mul_f64 v[67:68], v[217:218], v[213:214]
	v_fma_f64 v[67:68], v[215:216], v[65:66], -v[67:68]
	v_mul_f64 v[215:216], v[215:216], v[213:214]
	v_add_f64 v[1:2], v[1:2], -v[67:68]
	v_fma_f64 v[215:216], v[217:218], v[65:66], v[215:216]
	v_mov_b32_e32 v67, v213
	v_mov_b32_e32 v68, v214
	v_add_f64 v[3:4], v[3:4], -v[215:216]
.LBB115_379:
	s_or_b32 exec_lo, exec_lo, s1
	s_mov_b32 s2, exec_lo
	s_waitcnt_vscnt null, 0x0
	s_barrier
	buffer_gl0_inv
	v_cmpx_eq_u32_e32 42, v0
	s_cbranch_execz .LBB115_386
; %bb.380:
	ds_write2_b64 v255, v[61:62], v[63:64] offset1:1
	ds_write2_b64 v253, v[57:58], v[59:60] offset0:86 offset1:87
	ds_write2_b64 v253, v[53:54], v[55:56] offset0:88 offset1:89
	;; [unrolled: 1-line block ×15, first 2 shown]
	ds_read2_b64 v[213:216], v255 offset1:1
	s_waitcnt lgkmcnt(0)
	v_cmp_neq_f64_e32 vcc_lo, 0, v[213:214]
	v_cmp_neq_f64_e64 s1, 0, v[215:216]
	s_or_b32 s1, vcc_lo, s1
	s_and_b32 exec_lo, exec_lo, s1
	s_cbranch_execz .LBB115_386
; %bb.381:
	v_cmp_ngt_f64_e64 s1, |v[213:214]|, |v[215:216]|
                                        ; implicit-def: $vgpr217_vgpr218
	s_and_saveexec_b32 s3, s1
	s_xor_b32 s1, exec_lo, s3
                                        ; implicit-def: $vgpr219_vgpr220
	s_cbranch_execz .LBB115_383
; %bb.382:
	v_div_scale_f64 v[217:218], null, v[215:216], v[215:216], v[213:214]
	v_div_scale_f64 v[223:224], vcc_lo, v[213:214], v[215:216], v[213:214]
	v_rcp_f64_e32 v[219:220], v[217:218]
	v_fma_f64 v[221:222], -v[217:218], v[219:220], 1.0
	v_fma_f64 v[219:220], v[219:220], v[221:222], v[219:220]
	v_fma_f64 v[221:222], -v[217:218], v[219:220], 1.0
	v_fma_f64 v[219:220], v[219:220], v[221:222], v[219:220]
	v_mul_f64 v[221:222], v[223:224], v[219:220]
	v_fma_f64 v[217:218], -v[217:218], v[221:222], v[223:224]
	v_div_fmas_f64 v[217:218], v[217:218], v[219:220], v[221:222]
	v_div_fixup_f64 v[217:218], v[217:218], v[215:216], v[213:214]
	v_fma_f64 v[213:214], v[213:214], v[217:218], v[215:216]
	v_div_scale_f64 v[215:216], null, v[213:214], v[213:214], 1.0
	v_rcp_f64_e32 v[219:220], v[215:216]
	v_fma_f64 v[221:222], -v[215:216], v[219:220], 1.0
	v_fma_f64 v[219:220], v[219:220], v[221:222], v[219:220]
	v_fma_f64 v[221:222], -v[215:216], v[219:220], 1.0
	v_fma_f64 v[219:220], v[219:220], v[221:222], v[219:220]
	v_div_scale_f64 v[221:222], vcc_lo, 1.0, v[213:214], 1.0
	v_mul_f64 v[223:224], v[221:222], v[219:220]
	v_fma_f64 v[215:216], -v[215:216], v[223:224], v[221:222]
	v_div_fmas_f64 v[215:216], v[215:216], v[219:220], v[223:224]
	v_div_fixup_f64 v[219:220], v[215:216], v[213:214], 1.0
                                        ; implicit-def: $vgpr213_vgpr214
	v_mul_f64 v[217:218], v[217:218], v[219:220]
	v_xor_b32_e32 v220, 0x80000000, v220
.LBB115_383:
	s_andn2_saveexec_b32 s1, s1
	s_cbranch_execz .LBB115_385
; %bb.384:
	v_div_scale_f64 v[217:218], null, v[213:214], v[213:214], v[215:216]
	v_div_scale_f64 v[223:224], vcc_lo, v[215:216], v[213:214], v[215:216]
	v_rcp_f64_e32 v[219:220], v[217:218]
	v_fma_f64 v[221:222], -v[217:218], v[219:220], 1.0
	v_fma_f64 v[219:220], v[219:220], v[221:222], v[219:220]
	v_fma_f64 v[221:222], -v[217:218], v[219:220], 1.0
	v_fma_f64 v[219:220], v[219:220], v[221:222], v[219:220]
	v_mul_f64 v[221:222], v[223:224], v[219:220]
	v_fma_f64 v[217:218], -v[217:218], v[221:222], v[223:224]
	v_div_fmas_f64 v[217:218], v[217:218], v[219:220], v[221:222]
	v_div_fixup_f64 v[219:220], v[217:218], v[213:214], v[215:216]
	v_fma_f64 v[213:214], v[215:216], v[219:220], v[213:214]
	v_div_scale_f64 v[215:216], null, v[213:214], v[213:214], 1.0
	v_rcp_f64_e32 v[217:218], v[215:216]
	v_fma_f64 v[221:222], -v[215:216], v[217:218], 1.0
	v_fma_f64 v[217:218], v[217:218], v[221:222], v[217:218]
	v_fma_f64 v[221:222], -v[215:216], v[217:218], 1.0
	v_fma_f64 v[217:218], v[217:218], v[221:222], v[217:218]
	v_div_scale_f64 v[221:222], vcc_lo, 1.0, v[213:214], 1.0
	v_mul_f64 v[223:224], v[221:222], v[217:218]
	v_fma_f64 v[215:216], -v[215:216], v[223:224], v[221:222]
	v_div_fmas_f64 v[215:216], v[215:216], v[217:218], v[223:224]
	v_div_fixup_f64 v[217:218], v[215:216], v[213:214], 1.0
	v_mul_f64 v[219:220], v[219:220], -v[217:218]
.LBB115_385:
	s_or_b32 exec_lo, exec_lo, s1
	ds_write2_b64 v255, v[217:218], v[219:220] offset1:1
.LBB115_386:
	s_or_b32 exec_lo, exec_lo, s2
	s_waitcnt lgkmcnt(0)
	s_barrier
	buffer_gl0_inv
	ds_read2_b64 v[193:196], v255 offset1:1
	s_mov_b32 s1, exec_lo
	s_waitcnt lgkmcnt(0)
	buffer_store_dword v193, off, s[16:19], 0 offset:1160 ; 4-byte Folded Spill
	buffer_store_dword v194, off, s[16:19], 0 offset:1164 ; 4-byte Folded Spill
	;; [unrolled: 1-line block ×4, first 2 shown]
	v_cmpx_lt_u32_e32 42, v0
	s_cbranch_execz .LBB115_388
; %bb.387:
	s_clause 0x3
	buffer_load_dword v193, off, s[16:19], 0 offset:1160
	buffer_load_dword v194, off, s[16:19], 0 offset:1164
	;; [unrolled: 1-line block ×4, first 2 shown]
	ds_read2_b64 v[215:218], v253 offset0:86 offset1:87
	s_waitcnt vmcnt(2)
	v_mul_f64 v[213:214], v[193:194], v[63:64]
	s_waitcnt vmcnt(0)
	v_mul_f64 v[63:64], v[195:196], v[63:64]
	v_fma_f64 v[213:214], v[195:196], v[61:62], v[213:214]
	v_fma_f64 v[61:62], v[193:194], v[61:62], -v[63:64]
	s_waitcnt lgkmcnt(0)
	v_mul_f64 v[63:64], v[217:218], v[213:214]
	v_fma_f64 v[63:64], v[215:216], v[61:62], -v[63:64]
	v_mul_f64 v[215:216], v[215:216], v[213:214]
	v_add_f64 v[57:58], v[57:58], -v[63:64]
	v_fma_f64 v[215:216], v[217:218], v[61:62], v[215:216]
	v_add_f64 v[59:60], v[59:60], -v[215:216]
	ds_read2_b64 v[215:218], v253 offset0:88 offset1:89
	s_waitcnt lgkmcnt(0)
	v_mul_f64 v[63:64], v[217:218], v[213:214]
	v_fma_f64 v[63:64], v[215:216], v[61:62], -v[63:64]
	v_mul_f64 v[215:216], v[215:216], v[213:214]
	v_add_f64 v[53:54], v[53:54], -v[63:64]
	v_fma_f64 v[215:216], v[217:218], v[61:62], v[215:216]
	v_add_f64 v[55:56], v[55:56], -v[215:216]
	ds_read2_b64 v[215:218], v253 offset0:90 offset1:91
	;; [unrolled: 8-line block ×14, first 2 shown]
	s_waitcnt lgkmcnt(0)
	v_mul_f64 v[63:64], v[217:218], v[213:214]
	v_fma_f64 v[63:64], v[215:216], v[61:62], -v[63:64]
	v_mul_f64 v[215:216], v[215:216], v[213:214]
	v_add_f64 v[1:2], v[1:2], -v[63:64]
	v_fma_f64 v[215:216], v[217:218], v[61:62], v[215:216]
	v_mov_b32_e32 v63, v213
	v_mov_b32_e32 v64, v214
	v_add_f64 v[3:4], v[3:4], -v[215:216]
.LBB115_388:
	s_or_b32 exec_lo, exec_lo, s1
	s_mov_b32 s2, exec_lo
	s_waitcnt_vscnt null, 0x0
	s_barrier
	buffer_gl0_inv
	v_cmpx_eq_u32_e32 43, v0
	s_cbranch_execz .LBB115_395
; %bb.389:
	ds_write2_b64 v255, v[57:58], v[59:60] offset1:1
	ds_write2_b64 v253, v[53:54], v[55:56] offset0:88 offset1:89
	ds_write2_b64 v253, v[49:50], v[51:52] offset0:90 offset1:91
	;; [unrolled: 1-line block ×14, first 2 shown]
	ds_read2_b64 v[213:216], v255 offset1:1
	s_waitcnt lgkmcnt(0)
	v_cmp_neq_f64_e32 vcc_lo, 0, v[213:214]
	v_cmp_neq_f64_e64 s1, 0, v[215:216]
	s_or_b32 s1, vcc_lo, s1
	s_and_b32 exec_lo, exec_lo, s1
	s_cbranch_execz .LBB115_395
; %bb.390:
	v_cmp_ngt_f64_e64 s1, |v[213:214]|, |v[215:216]|
                                        ; implicit-def: $vgpr217_vgpr218
	s_and_saveexec_b32 s3, s1
	s_xor_b32 s1, exec_lo, s3
                                        ; implicit-def: $vgpr219_vgpr220
	s_cbranch_execz .LBB115_392
; %bb.391:
	v_div_scale_f64 v[217:218], null, v[215:216], v[215:216], v[213:214]
	v_div_scale_f64 v[223:224], vcc_lo, v[213:214], v[215:216], v[213:214]
	v_rcp_f64_e32 v[219:220], v[217:218]
	v_fma_f64 v[221:222], -v[217:218], v[219:220], 1.0
	v_fma_f64 v[219:220], v[219:220], v[221:222], v[219:220]
	v_fma_f64 v[221:222], -v[217:218], v[219:220], 1.0
	v_fma_f64 v[219:220], v[219:220], v[221:222], v[219:220]
	v_mul_f64 v[221:222], v[223:224], v[219:220]
	v_fma_f64 v[217:218], -v[217:218], v[221:222], v[223:224]
	v_div_fmas_f64 v[217:218], v[217:218], v[219:220], v[221:222]
	v_div_fixup_f64 v[217:218], v[217:218], v[215:216], v[213:214]
	v_fma_f64 v[213:214], v[213:214], v[217:218], v[215:216]
	v_div_scale_f64 v[215:216], null, v[213:214], v[213:214], 1.0
	v_rcp_f64_e32 v[219:220], v[215:216]
	v_fma_f64 v[221:222], -v[215:216], v[219:220], 1.0
	v_fma_f64 v[219:220], v[219:220], v[221:222], v[219:220]
	v_fma_f64 v[221:222], -v[215:216], v[219:220], 1.0
	v_fma_f64 v[219:220], v[219:220], v[221:222], v[219:220]
	v_div_scale_f64 v[221:222], vcc_lo, 1.0, v[213:214], 1.0
	v_mul_f64 v[223:224], v[221:222], v[219:220]
	v_fma_f64 v[215:216], -v[215:216], v[223:224], v[221:222]
	v_div_fmas_f64 v[215:216], v[215:216], v[219:220], v[223:224]
	v_div_fixup_f64 v[219:220], v[215:216], v[213:214], 1.0
                                        ; implicit-def: $vgpr213_vgpr214
	v_mul_f64 v[217:218], v[217:218], v[219:220]
	v_xor_b32_e32 v220, 0x80000000, v220
.LBB115_392:
	s_andn2_saveexec_b32 s1, s1
	s_cbranch_execz .LBB115_394
; %bb.393:
	v_div_scale_f64 v[217:218], null, v[213:214], v[213:214], v[215:216]
	v_div_scale_f64 v[223:224], vcc_lo, v[215:216], v[213:214], v[215:216]
	v_rcp_f64_e32 v[219:220], v[217:218]
	v_fma_f64 v[221:222], -v[217:218], v[219:220], 1.0
	v_fma_f64 v[219:220], v[219:220], v[221:222], v[219:220]
	v_fma_f64 v[221:222], -v[217:218], v[219:220], 1.0
	v_fma_f64 v[219:220], v[219:220], v[221:222], v[219:220]
	v_mul_f64 v[221:222], v[223:224], v[219:220]
	v_fma_f64 v[217:218], -v[217:218], v[221:222], v[223:224]
	v_div_fmas_f64 v[217:218], v[217:218], v[219:220], v[221:222]
	v_div_fixup_f64 v[219:220], v[217:218], v[213:214], v[215:216]
	v_fma_f64 v[213:214], v[215:216], v[219:220], v[213:214]
	v_div_scale_f64 v[215:216], null, v[213:214], v[213:214], 1.0
	v_rcp_f64_e32 v[217:218], v[215:216]
	v_fma_f64 v[221:222], -v[215:216], v[217:218], 1.0
	v_fma_f64 v[217:218], v[217:218], v[221:222], v[217:218]
	v_fma_f64 v[221:222], -v[215:216], v[217:218], 1.0
	v_fma_f64 v[217:218], v[217:218], v[221:222], v[217:218]
	v_div_scale_f64 v[221:222], vcc_lo, 1.0, v[213:214], 1.0
	v_mul_f64 v[223:224], v[221:222], v[217:218]
	v_fma_f64 v[215:216], -v[215:216], v[223:224], v[221:222]
	v_div_fmas_f64 v[215:216], v[215:216], v[217:218], v[223:224]
	v_div_fixup_f64 v[217:218], v[215:216], v[213:214], 1.0
	v_mul_f64 v[219:220], v[219:220], -v[217:218]
.LBB115_394:
	s_or_b32 exec_lo, exec_lo, s1
	ds_write2_b64 v255, v[217:218], v[219:220] offset1:1
.LBB115_395:
	s_or_b32 exec_lo, exec_lo, s2
	s_waitcnt lgkmcnt(0)
	s_barrier
	buffer_gl0_inv
	ds_read2_b64 v[193:196], v255 offset1:1
	s_mov_b32 s1, exec_lo
	s_waitcnt lgkmcnt(0)
	buffer_store_dword v193, off, s[16:19], 0 offset:1176 ; 4-byte Folded Spill
	buffer_store_dword v194, off, s[16:19], 0 offset:1180 ; 4-byte Folded Spill
	;; [unrolled: 1-line block ×4, first 2 shown]
	v_cmpx_lt_u32_e32 43, v0
	s_cbranch_execz .LBB115_397
; %bb.396:
	s_clause 0x3
	buffer_load_dword v193, off, s[16:19], 0 offset:1176
	buffer_load_dword v194, off, s[16:19], 0 offset:1180
	;; [unrolled: 1-line block ×4, first 2 shown]
	ds_read2_b64 v[215:218], v253 offset0:88 offset1:89
	s_waitcnt vmcnt(2)
	v_mul_f64 v[213:214], v[193:194], v[59:60]
	s_waitcnt vmcnt(0)
	v_mul_f64 v[59:60], v[195:196], v[59:60]
	v_fma_f64 v[213:214], v[195:196], v[57:58], v[213:214]
	v_fma_f64 v[57:58], v[193:194], v[57:58], -v[59:60]
	s_waitcnt lgkmcnt(0)
	v_mul_f64 v[59:60], v[217:218], v[213:214]
	v_fma_f64 v[59:60], v[215:216], v[57:58], -v[59:60]
	v_mul_f64 v[215:216], v[215:216], v[213:214]
	v_add_f64 v[53:54], v[53:54], -v[59:60]
	v_fma_f64 v[215:216], v[217:218], v[57:58], v[215:216]
	v_add_f64 v[55:56], v[55:56], -v[215:216]
	ds_read2_b64 v[215:218], v253 offset0:90 offset1:91
	s_waitcnt lgkmcnt(0)
	v_mul_f64 v[59:60], v[217:218], v[213:214]
	v_fma_f64 v[59:60], v[215:216], v[57:58], -v[59:60]
	v_mul_f64 v[215:216], v[215:216], v[213:214]
	v_add_f64 v[49:50], v[49:50], -v[59:60]
	v_fma_f64 v[215:216], v[217:218], v[57:58], v[215:216]
	v_add_f64 v[51:52], v[51:52], -v[215:216]
	ds_read2_b64 v[215:218], v253 offset0:92 offset1:93
	;; [unrolled: 8-line block ×13, first 2 shown]
	s_waitcnt lgkmcnt(0)
	v_mul_f64 v[59:60], v[217:218], v[213:214]
	v_fma_f64 v[59:60], v[215:216], v[57:58], -v[59:60]
	v_mul_f64 v[215:216], v[215:216], v[213:214]
	v_add_f64 v[1:2], v[1:2], -v[59:60]
	v_fma_f64 v[215:216], v[217:218], v[57:58], v[215:216]
	v_mov_b32_e32 v59, v213
	v_mov_b32_e32 v60, v214
	v_add_f64 v[3:4], v[3:4], -v[215:216]
.LBB115_397:
	s_or_b32 exec_lo, exec_lo, s1
	s_mov_b32 s2, exec_lo
	s_waitcnt_vscnt null, 0x0
	s_barrier
	buffer_gl0_inv
	v_cmpx_eq_u32_e32 44, v0
	s_cbranch_execz .LBB115_404
; %bb.398:
	ds_write2_b64 v255, v[53:54], v[55:56] offset1:1
	ds_write2_b64 v253, v[49:50], v[51:52] offset0:90 offset1:91
	ds_write2_b64 v253, v[45:46], v[47:48] offset0:92 offset1:93
	;; [unrolled: 1-line block ×13, first 2 shown]
	ds_read2_b64 v[213:216], v255 offset1:1
	s_waitcnt lgkmcnt(0)
	v_cmp_neq_f64_e32 vcc_lo, 0, v[213:214]
	v_cmp_neq_f64_e64 s1, 0, v[215:216]
	s_or_b32 s1, vcc_lo, s1
	s_and_b32 exec_lo, exec_lo, s1
	s_cbranch_execz .LBB115_404
; %bb.399:
	v_cmp_ngt_f64_e64 s1, |v[213:214]|, |v[215:216]|
                                        ; implicit-def: $vgpr217_vgpr218
	s_and_saveexec_b32 s3, s1
	s_xor_b32 s1, exec_lo, s3
                                        ; implicit-def: $vgpr219_vgpr220
	s_cbranch_execz .LBB115_401
; %bb.400:
	v_div_scale_f64 v[217:218], null, v[215:216], v[215:216], v[213:214]
	v_div_scale_f64 v[223:224], vcc_lo, v[213:214], v[215:216], v[213:214]
	v_rcp_f64_e32 v[219:220], v[217:218]
	v_fma_f64 v[221:222], -v[217:218], v[219:220], 1.0
	v_fma_f64 v[219:220], v[219:220], v[221:222], v[219:220]
	v_fma_f64 v[221:222], -v[217:218], v[219:220], 1.0
	v_fma_f64 v[219:220], v[219:220], v[221:222], v[219:220]
	v_mul_f64 v[221:222], v[223:224], v[219:220]
	v_fma_f64 v[217:218], -v[217:218], v[221:222], v[223:224]
	v_div_fmas_f64 v[217:218], v[217:218], v[219:220], v[221:222]
	v_div_fixup_f64 v[217:218], v[217:218], v[215:216], v[213:214]
	v_fma_f64 v[213:214], v[213:214], v[217:218], v[215:216]
	v_div_scale_f64 v[215:216], null, v[213:214], v[213:214], 1.0
	v_rcp_f64_e32 v[219:220], v[215:216]
	v_fma_f64 v[221:222], -v[215:216], v[219:220], 1.0
	v_fma_f64 v[219:220], v[219:220], v[221:222], v[219:220]
	v_fma_f64 v[221:222], -v[215:216], v[219:220], 1.0
	v_fma_f64 v[219:220], v[219:220], v[221:222], v[219:220]
	v_div_scale_f64 v[221:222], vcc_lo, 1.0, v[213:214], 1.0
	v_mul_f64 v[223:224], v[221:222], v[219:220]
	v_fma_f64 v[215:216], -v[215:216], v[223:224], v[221:222]
	v_div_fmas_f64 v[215:216], v[215:216], v[219:220], v[223:224]
	v_div_fixup_f64 v[219:220], v[215:216], v[213:214], 1.0
                                        ; implicit-def: $vgpr213_vgpr214
	v_mul_f64 v[217:218], v[217:218], v[219:220]
	v_xor_b32_e32 v220, 0x80000000, v220
.LBB115_401:
	s_andn2_saveexec_b32 s1, s1
	s_cbranch_execz .LBB115_403
; %bb.402:
	v_div_scale_f64 v[217:218], null, v[213:214], v[213:214], v[215:216]
	v_div_scale_f64 v[223:224], vcc_lo, v[215:216], v[213:214], v[215:216]
	v_rcp_f64_e32 v[219:220], v[217:218]
	v_fma_f64 v[221:222], -v[217:218], v[219:220], 1.0
	v_fma_f64 v[219:220], v[219:220], v[221:222], v[219:220]
	v_fma_f64 v[221:222], -v[217:218], v[219:220], 1.0
	v_fma_f64 v[219:220], v[219:220], v[221:222], v[219:220]
	v_mul_f64 v[221:222], v[223:224], v[219:220]
	v_fma_f64 v[217:218], -v[217:218], v[221:222], v[223:224]
	v_div_fmas_f64 v[217:218], v[217:218], v[219:220], v[221:222]
	v_div_fixup_f64 v[219:220], v[217:218], v[213:214], v[215:216]
	v_fma_f64 v[213:214], v[215:216], v[219:220], v[213:214]
	v_div_scale_f64 v[215:216], null, v[213:214], v[213:214], 1.0
	v_rcp_f64_e32 v[217:218], v[215:216]
	v_fma_f64 v[221:222], -v[215:216], v[217:218], 1.0
	v_fma_f64 v[217:218], v[217:218], v[221:222], v[217:218]
	v_fma_f64 v[221:222], -v[215:216], v[217:218], 1.0
	v_fma_f64 v[217:218], v[217:218], v[221:222], v[217:218]
	v_div_scale_f64 v[221:222], vcc_lo, 1.0, v[213:214], 1.0
	v_mul_f64 v[223:224], v[221:222], v[217:218]
	v_fma_f64 v[215:216], -v[215:216], v[223:224], v[221:222]
	v_div_fmas_f64 v[215:216], v[215:216], v[217:218], v[223:224]
	v_div_fixup_f64 v[217:218], v[215:216], v[213:214], 1.0
	v_mul_f64 v[219:220], v[219:220], -v[217:218]
.LBB115_403:
	s_or_b32 exec_lo, exec_lo, s1
	ds_write2_b64 v255, v[217:218], v[219:220] offset1:1
.LBB115_404:
	s_or_b32 exec_lo, exec_lo, s2
	s_waitcnt lgkmcnt(0)
	s_barrier
	buffer_gl0_inv
	ds_read2_b64 v[193:196], v255 offset1:1
	s_mov_b32 s1, exec_lo
	s_waitcnt lgkmcnt(0)
	buffer_store_dword v193, off, s[16:19], 0 offset:1192 ; 4-byte Folded Spill
	buffer_store_dword v194, off, s[16:19], 0 offset:1196 ; 4-byte Folded Spill
	buffer_store_dword v195, off, s[16:19], 0 offset:1200 ; 4-byte Folded Spill
	buffer_store_dword v196, off, s[16:19], 0 offset:1204 ; 4-byte Folded Spill
	v_cmpx_lt_u32_e32 44, v0
	s_cbranch_execz .LBB115_406
; %bb.405:
	s_clause 0x3
	buffer_load_dword v193, off, s[16:19], 0 offset:1192
	buffer_load_dword v194, off, s[16:19], 0 offset:1196
	;; [unrolled: 1-line block ×4, first 2 shown]
	ds_read2_b64 v[215:218], v253 offset0:90 offset1:91
	s_waitcnt vmcnt(2)
	v_mul_f64 v[213:214], v[193:194], v[55:56]
	s_waitcnt vmcnt(0)
	v_mul_f64 v[55:56], v[195:196], v[55:56]
	v_fma_f64 v[213:214], v[195:196], v[53:54], v[213:214]
	v_fma_f64 v[53:54], v[193:194], v[53:54], -v[55:56]
	s_waitcnt lgkmcnt(0)
	v_mul_f64 v[55:56], v[217:218], v[213:214]
	v_fma_f64 v[55:56], v[215:216], v[53:54], -v[55:56]
	v_mul_f64 v[215:216], v[215:216], v[213:214]
	v_add_f64 v[49:50], v[49:50], -v[55:56]
	v_fma_f64 v[215:216], v[217:218], v[53:54], v[215:216]
	v_add_f64 v[51:52], v[51:52], -v[215:216]
	ds_read2_b64 v[215:218], v253 offset0:92 offset1:93
	s_waitcnt lgkmcnt(0)
	v_mul_f64 v[55:56], v[217:218], v[213:214]
	v_fma_f64 v[55:56], v[215:216], v[53:54], -v[55:56]
	v_mul_f64 v[215:216], v[215:216], v[213:214]
	v_add_f64 v[45:46], v[45:46], -v[55:56]
	v_fma_f64 v[215:216], v[217:218], v[53:54], v[215:216]
	v_add_f64 v[47:48], v[47:48], -v[215:216]
	ds_read2_b64 v[215:218], v253 offset0:94 offset1:95
	;; [unrolled: 8-line block ×12, first 2 shown]
	s_waitcnt lgkmcnt(0)
	v_mul_f64 v[55:56], v[217:218], v[213:214]
	v_fma_f64 v[55:56], v[215:216], v[53:54], -v[55:56]
	v_mul_f64 v[215:216], v[215:216], v[213:214]
	v_add_f64 v[1:2], v[1:2], -v[55:56]
	v_fma_f64 v[215:216], v[217:218], v[53:54], v[215:216]
	v_mov_b32_e32 v55, v213
	v_mov_b32_e32 v56, v214
	v_add_f64 v[3:4], v[3:4], -v[215:216]
.LBB115_406:
	s_or_b32 exec_lo, exec_lo, s1
	s_mov_b32 s2, exec_lo
	s_waitcnt_vscnt null, 0x0
	s_barrier
	buffer_gl0_inv
	v_cmpx_eq_u32_e32 45, v0
	s_cbranch_execz .LBB115_413
; %bb.407:
	ds_write2_b64 v255, v[49:50], v[51:52] offset1:1
	ds_write2_b64 v253, v[45:46], v[47:48] offset0:92 offset1:93
	ds_write2_b64 v253, v[41:42], v[43:44] offset0:94 offset1:95
	;; [unrolled: 1-line block ×12, first 2 shown]
	ds_read2_b64 v[213:216], v255 offset1:1
	s_waitcnt lgkmcnt(0)
	v_cmp_neq_f64_e32 vcc_lo, 0, v[213:214]
	v_cmp_neq_f64_e64 s1, 0, v[215:216]
	s_or_b32 s1, vcc_lo, s1
	s_and_b32 exec_lo, exec_lo, s1
	s_cbranch_execz .LBB115_413
; %bb.408:
	v_cmp_ngt_f64_e64 s1, |v[213:214]|, |v[215:216]|
                                        ; implicit-def: $vgpr217_vgpr218
	s_and_saveexec_b32 s3, s1
	s_xor_b32 s1, exec_lo, s3
                                        ; implicit-def: $vgpr219_vgpr220
	s_cbranch_execz .LBB115_410
; %bb.409:
	v_div_scale_f64 v[217:218], null, v[215:216], v[215:216], v[213:214]
	v_div_scale_f64 v[223:224], vcc_lo, v[213:214], v[215:216], v[213:214]
	v_rcp_f64_e32 v[219:220], v[217:218]
	v_fma_f64 v[221:222], -v[217:218], v[219:220], 1.0
	v_fma_f64 v[219:220], v[219:220], v[221:222], v[219:220]
	v_fma_f64 v[221:222], -v[217:218], v[219:220], 1.0
	v_fma_f64 v[219:220], v[219:220], v[221:222], v[219:220]
	v_mul_f64 v[221:222], v[223:224], v[219:220]
	v_fma_f64 v[217:218], -v[217:218], v[221:222], v[223:224]
	v_div_fmas_f64 v[217:218], v[217:218], v[219:220], v[221:222]
	v_div_fixup_f64 v[217:218], v[217:218], v[215:216], v[213:214]
	v_fma_f64 v[213:214], v[213:214], v[217:218], v[215:216]
	v_div_scale_f64 v[215:216], null, v[213:214], v[213:214], 1.0
	v_rcp_f64_e32 v[219:220], v[215:216]
	v_fma_f64 v[221:222], -v[215:216], v[219:220], 1.0
	v_fma_f64 v[219:220], v[219:220], v[221:222], v[219:220]
	v_fma_f64 v[221:222], -v[215:216], v[219:220], 1.0
	v_fma_f64 v[219:220], v[219:220], v[221:222], v[219:220]
	v_div_scale_f64 v[221:222], vcc_lo, 1.0, v[213:214], 1.0
	v_mul_f64 v[223:224], v[221:222], v[219:220]
	v_fma_f64 v[215:216], -v[215:216], v[223:224], v[221:222]
	v_div_fmas_f64 v[215:216], v[215:216], v[219:220], v[223:224]
	v_div_fixup_f64 v[219:220], v[215:216], v[213:214], 1.0
                                        ; implicit-def: $vgpr213_vgpr214
	v_mul_f64 v[217:218], v[217:218], v[219:220]
	v_xor_b32_e32 v220, 0x80000000, v220
.LBB115_410:
	s_andn2_saveexec_b32 s1, s1
	s_cbranch_execz .LBB115_412
; %bb.411:
	v_div_scale_f64 v[217:218], null, v[213:214], v[213:214], v[215:216]
	v_div_scale_f64 v[223:224], vcc_lo, v[215:216], v[213:214], v[215:216]
	v_rcp_f64_e32 v[219:220], v[217:218]
	v_fma_f64 v[221:222], -v[217:218], v[219:220], 1.0
	v_fma_f64 v[219:220], v[219:220], v[221:222], v[219:220]
	v_fma_f64 v[221:222], -v[217:218], v[219:220], 1.0
	v_fma_f64 v[219:220], v[219:220], v[221:222], v[219:220]
	v_mul_f64 v[221:222], v[223:224], v[219:220]
	v_fma_f64 v[217:218], -v[217:218], v[221:222], v[223:224]
	v_div_fmas_f64 v[217:218], v[217:218], v[219:220], v[221:222]
	v_div_fixup_f64 v[219:220], v[217:218], v[213:214], v[215:216]
	v_fma_f64 v[213:214], v[215:216], v[219:220], v[213:214]
	v_div_scale_f64 v[215:216], null, v[213:214], v[213:214], 1.0
	v_rcp_f64_e32 v[217:218], v[215:216]
	v_fma_f64 v[221:222], -v[215:216], v[217:218], 1.0
	v_fma_f64 v[217:218], v[217:218], v[221:222], v[217:218]
	v_fma_f64 v[221:222], -v[215:216], v[217:218], 1.0
	v_fma_f64 v[217:218], v[217:218], v[221:222], v[217:218]
	v_div_scale_f64 v[221:222], vcc_lo, 1.0, v[213:214], 1.0
	v_mul_f64 v[223:224], v[221:222], v[217:218]
	v_fma_f64 v[215:216], -v[215:216], v[223:224], v[221:222]
	v_div_fmas_f64 v[215:216], v[215:216], v[217:218], v[223:224]
	v_div_fixup_f64 v[217:218], v[215:216], v[213:214], 1.0
	v_mul_f64 v[219:220], v[219:220], -v[217:218]
.LBB115_412:
	s_or_b32 exec_lo, exec_lo, s1
	ds_write2_b64 v255, v[217:218], v[219:220] offset1:1
.LBB115_413:
	s_or_b32 exec_lo, exec_lo, s2
	s_waitcnt lgkmcnt(0)
	s_barrier
	buffer_gl0_inv
	ds_read2_b64 v[193:196], v255 offset1:1
	s_mov_b32 s1, exec_lo
	s_waitcnt lgkmcnt(0)
	buffer_store_dword v193, off, s[16:19], 0 offset:1208 ; 4-byte Folded Spill
	buffer_store_dword v194, off, s[16:19], 0 offset:1212 ; 4-byte Folded Spill
	;; [unrolled: 1-line block ×4, first 2 shown]
	v_cmpx_lt_u32_e32 45, v0
	s_cbranch_execz .LBB115_415
; %bb.414:
	s_clause 0x3
	buffer_load_dword v193, off, s[16:19], 0 offset:1208
	buffer_load_dword v194, off, s[16:19], 0 offset:1212
	buffer_load_dword v195, off, s[16:19], 0 offset:1216
	buffer_load_dword v196, off, s[16:19], 0 offset:1220
	ds_read2_b64 v[215:218], v253 offset0:92 offset1:93
	s_waitcnt vmcnt(2)
	v_mul_f64 v[213:214], v[193:194], v[51:52]
	s_waitcnt vmcnt(0)
	v_mul_f64 v[51:52], v[195:196], v[51:52]
	v_fma_f64 v[213:214], v[195:196], v[49:50], v[213:214]
	v_fma_f64 v[49:50], v[193:194], v[49:50], -v[51:52]
	s_waitcnt lgkmcnt(0)
	v_mul_f64 v[51:52], v[217:218], v[213:214]
	v_fma_f64 v[51:52], v[215:216], v[49:50], -v[51:52]
	v_mul_f64 v[215:216], v[215:216], v[213:214]
	v_add_f64 v[45:46], v[45:46], -v[51:52]
	v_fma_f64 v[215:216], v[217:218], v[49:50], v[215:216]
	v_add_f64 v[47:48], v[47:48], -v[215:216]
	ds_read2_b64 v[215:218], v253 offset0:94 offset1:95
	s_waitcnt lgkmcnt(0)
	v_mul_f64 v[51:52], v[217:218], v[213:214]
	v_fma_f64 v[51:52], v[215:216], v[49:50], -v[51:52]
	v_mul_f64 v[215:216], v[215:216], v[213:214]
	v_add_f64 v[41:42], v[41:42], -v[51:52]
	v_fma_f64 v[215:216], v[217:218], v[49:50], v[215:216]
	v_add_f64 v[43:44], v[43:44], -v[215:216]
	ds_read2_b64 v[215:218], v253 offset0:96 offset1:97
	;; [unrolled: 8-line block ×11, first 2 shown]
	s_waitcnt lgkmcnt(0)
	v_mul_f64 v[51:52], v[217:218], v[213:214]
	v_fma_f64 v[51:52], v[215:216], v[49:50], -v[51:52]
	v_mul_f64 v[215:216], v[215:216], v[213:214]
	v_add_f64 v[1:2], v[1:2], -v[51:52]
	v_fma_f64 v[215:216], v[217:218], v[49:50], v[215:216]
	v_mov_b32_e32 v51, v213
	v_mov_b32_e32 v52, v214
	v_add_f64 v[3:4], v[3:4], -v[215:216]
.LBB115_415:
	s_or_b32 exec_lo, exec_lo, s1
	s_mov_b32 s2, exec_lo
	s_waitcnt_vscnt null, 0x0
	s_barrier
	buffer_gl0_inv
	v_cmpx_eq_u32_e32 46, v0
	s_cbranch_execz .LBB115_422
; %bb.416:
	ds_write2_b64 v255, v[45:46], v[47:48] offset1:1
	ds_write2_b64 v253, v[41:42], v[43:44] offset0:94 offset1:95
	ds_write2_b64 v253, v[37:38], v[39:40] offset0:96 offset1:97
	ds_write2_b64 v253, v[33:34], v[35:36] offset0:98 offset1:99
	ds_write2_b64 v253, v[29:30], v[31:32] offset0:100 offset1:101
	ds_write2_b64 v253, v[25:26], v[27:28] offset0:102 offset1:103
	ds_write2_b64 v253, v[21:22], v[23:24] offset0:104 offset1:105
	ds_write2_b64 v253, v[17:18], v[19:20] offset0:106 offset1:107
	ds_write2_b64 v253, v[13:14], v[15:16] offset0:108 offset1:109
	ds_write2_b64 v253, v[9:10], v[11:12] offset0:110 offset1:111
	ds_write2_b64 v253, v[5:6], v[7:8] offset0:112 offset1:113
	ds_write2_b64 v253, v[1:2], v[3:4] offset0:114 offset1:115
	ds_read2_b64 v[213:216], v255 offset1:1
	s_waitcnt lgkmcnt(0)
	v_cmp_neq_f64_e32 vcc_lo, 0, v[213:214]
	v_cmp_neq_f64_e64 s1, 0, v[215:216]
	s_or_b32 s1, vcc_lo, s1
	s_and_b32 exec_lo, exec_lo, s1
	s_cbranch_execz .LBB115_422
; %bb.417:
	v_cmp_ngt_f64_e64 s1, |v[213:214]|, |v[215:216]|
                                        ; implicit-def: $vgpr217_vgpr218
	s_and_saveexec_b32 s3, s1
	s_xor_b32 s1, exec_lo, s3
                                        ; implicit-def: $vgpr219_vgpr220
	s_cbranch_execz .LBB115_419
; %bb.418:
	v_div_scale_f64 v[217:218], null, v[215:216], v[215:216], v[213:214]
	v_div_scale_f64 v[223:224], vcc_lo, v[213:214], v[215:216], v[213:214]
	v_rcp_f64_e32 v[219:220], v[217:218]
	v_fma_f64 v[221:222], -v[217:218], v[219:220], 1.0
	v_fma_f64 v[219:220], v[219:220], v[221:222], v[219:220]
	v_fma_f64 v[221:222], -v[217:218], v[219:220], 1.0
	v_fma_f64 v[219:220], v[219:220], v[221:222], v[219:220]
	v_mul_f64 v[221:222], v[223:224], v[219:220]
	v_fma_f64 v[217:218], -v[217:218], v[221:222], v[223:224]
	v_div_fmas_f64 v[217:218], v[217:218], v[219:220], v[221:222]
	v_div_fixup_f64 v[217:218], v[217:218], v[215:216], v[213:214]
	v_fma_f64 v[213:214], v[213:214], v[217:218], v[215:216]
	v_div_scale_f64 v[215:216], null, v[213:214], v[213:214], 1.0
	v_rcp_f64_e32 v[219:220], v[215:216]
	v_fma_f64 v[221:222], -v[215:216], v[219:220], 1.0
	v_fma_f64 v[219:220], v[219:220], v[221:222], v[219:220]
	v_fma_f64 v[221:222], -v[215:216], v[219:220], 1.0
	v_fma_f64 v[219:220], v[219:220], v[221:222], v[219:220]
	v_div_scale_f64 v[221:222], vcc_lo, 1.0, v[213:214], 1.0
	v_mul_f64 v[223:224], v[221:222], v[219:220]
	v_fma_f64 v[215:216], -v[215:216], v[223:224], v[221:222]
	v_div_fmas_f64 v[215:216], v[215:216], v[219:220], v[223:224]
	v_div_fixup_f64 v[219:220], v[215:216], v[213:214], 1.0
                                        ; implicit-def: $vgpr213_vgpr214
	v_mul_f64 v[217:218], v[217:218], v[219:220]
	v_xor_b32_e32 v220, 0x80000000, v220
.LBB115_419:
	s_andn2_saveexec_b32 s1, s1
	s_cbranch_execz .LBB115_421
; %bb.420:
	v_div_scale_f64 v[217:218], null, v[213:214], v[213:214], v[215:216]
	v_div_scale_f64 v[223:224], vcc_lo, v[215:216], v[213:214], v[215:216]
	v_rcp_f64_e32 v[219:220], v[217:218]
	v_fma_f64 v[221:222], -v[217:218], v[219:220], 1.0
	v_fma_f64 v[219:220], v[219:220], v[221:222], v[219:220]
	v_fma_f64 v[221:222], -v[217:218], v[219:220], 1.0
	v_fma_f64 v[219:220], v[219:220], v[221:222], v[219:220]
	v_mul_f64 v[221:222], v[223:224], v[219:220]
	v_fma_f64 v[217:218], -v[217:218], v[221:222], v[223:224]
	v_div_fmas_f64 v[217:218], v[217:218], v[219:220], v[221:222]
	v_div_fixup_f64 v[219:220], v[217:218], v[213:214], v[215:216]
	v_fma_f64 v[213:214], v[215:216], v[219:220], v[213:214]
	v_div_scale_f64 v[215:216], null, v[213:214], v[213:214], 1.0
	v_rcp_f64_e32 v[217:218], v[215:216]
	v_fma_f64 v[221:222], -v[215:216], v[217:218], 1.0
	v_fma_f64 v[217:218], v[217:218], v[221:222], v[217:218]
	v_fma_f64 v[221:222], -v[215:216], v[217:218], 1.0
	v_fma_f64 v[217:218], v[217:218], v[221:222], v[217:218]
	v_div_scale_f64 v[221:222], vcc_lo, 1.0, v[213:214], 1.0
	v_mul_f64 v[223:224], v[221:222], v[217:218]
	v_fma_f64 v[215:216], -v[215:216], v[223:224], v[221:222]
	v_div_fmas_f64 v[215:216], v[215:216], v[217:218], v[223:224]
	v_div_fixup_f64 v[217:218], v[215:216], v[213:214], 1.0
	v_mul_f64 v[219:220], v[219:220], -v[217:218]
.LBB115_421:
	s_or_b32 exec_lo, exec_lo, s1
	ds_write2_b64 v255, v[217:218], v[219:220] offset1:1
.LBB115_422:
	s_or_b32 exec_lo, exec_lo, s2
	s_waitcnt lgkmcnt(0)
	s_barrier
	buffer_gl0_inv
	ds_read2_b64 v[193:196], v255 offset1:1
	s_mov_b32 s1, exec_lo
	s_waitcnt lgkmcnt(0)
	buffer_store_dword v193, off, s[16:19], 0 offset:1224 ; 4-byte Folded Spill
	buffer_store_dword v194, off, s[16:19], 0 offset:1228 ; 4-byte Folded Spill
	;; [unrolled: 1-line block ×4, first 2 shown]
	v_cmpx_lt_u32_e32 46, v0
	s_cbranch_execz .LBB115_424
; %bb.423:
	s_clause 0x3
	buffer_load_dword v193, off, s[16:19], 0 offset:1224
	buffer_load_dword v194, off, s[16:19], 0 offset:1228
	;; [unrolled: 1-line block ×4, first 2 shown]
	ds_read2_b64 v[215:218], v253 offset0:94 offset1:95
	s_waitcnt vmcnt(2)
	v_mul_f64 v[213:214], v[193:194], v[47:48]
	s_waitcnt vmcnt(0)
	v_mul_f64 v[47:48], v[195:196], v[47:48]
	v_fma_f64 v[213:214], v[195:196], v[45:46], v[213:214]
	v_fma_f64 v[45:46], v[193:194], v[45:46], -v[47:48]
	s_waitcnt lgkmcnt(0)
	v_mul_f64 v[47:48], v[217:218], v[213:214]
	v_fma_f64 v[47:48], v[215:216], v[45:46], -v[47:48]
	v_mul_f64 v[215:216], v[215:216], v[213:214]
	v_add_f64 v[41:42], v[41:42], -v[47:48]
	v_fma_f64 v[215:216], v[217:218], v[45:46], v[215:216]
	v_add_f64 v[43:44], v[43:44], -v[215:216]
	ds_read2_b64 v[215:218], v253 offset0:96 offset1:97
	s_waitcnt lgkmcnt(0)
	v_mul_f64 v[47:48], v[217:218], v[213:214]
	v_fma_f64 v[47:48], v[215:216], v[45:46], -v[47:48]
	v_mul_f64 v[215:216], v[215:216], v[213:214]
	v_add_f64 v[37:38], v[37:38], -v[47:48]
	v_fma_f64 v[215:216], v[217:218], v[45:46], v[215:216]
	v_add_f64 v[39:40], v[39:40], -v[215:216]
	ds_read2_b64 v[215:218], v253 offset0:98 offset1:99
	;; [unrolled: 8-line block ×10, first 2 shown]
	s_waitcnt lgkmcnt(0)
	v_mul_f64 v[47:48], v[217:218], v[213:214]
	v_fma_f64 v[47:48], v[215:216], v[45:46], -v[47:48]
	v_mul_f64 v[215:216], v[215:216], v[213:214]
	v_add_f64 v[1:2], v[1:2], -v[47:48]
	v_fma_f64 v[215:216], v[217:218], v[45:46], v[215:216]
	v_mov_b32_e32 v47, v213
	v_mov_b32_e32 v48, v214
	v_add_f64 v[3:4], v[3:4], -v[215:216]
.LBB115_424:
	s_or_b32 exec_lo, exec_lo, s1
	s_mov_b32 s2, exec_lo
	s_waitcnt_vscnt null, 0x0
	s_barrier
	buffer_gl0_inv
	v_cmpx_eq_u32_e32 47, v0
	s_cbranch_execz .LBB115_431
; %bb.425:
	ds_write2_b64 v255, v[41:42], v[43:44] offset1:1
	ds_write2_b64 v253, v[37:38], v[39:40] offset0:96 offset1:97
	ds_write2_b64 v253, v[33:34], v[35:36] offset0:98 offset1:99
	;; [unrolled: 1-line block ×10, first 2 shown]
	ds_read2_b64 v[213:216], v255 offset1:1
	s_waitcnt lgkmcnt(0)
	v_cmp_neq_f64_e32 vcc_lo, 0, v[213:214]
	v_cmp_neq_f64_e64 s1, 0, v[215:216]
	s_or_b32 s1, vcc_lo, s1
	s_and_b32 exec_lo, exec_lo, s1
	s_cbranch_execz .LBB115_431
; %bb.426:
	v_cmp_ngt_f64_e64 s1, |v[213:214]|, |v[215:216]|
                                        ; implicit-def: $vgpr217_vgpr218
	s_and_saveexec_b32 s3, s1
	s_xor_b32 s1, exec_lo, s3
                                        ; implicit-def: $vgpr219_vgpr220
	s_cbranch_execz .LBB115_428
; %bb.427:
	v_div_scale_f64 v[217:218], null, v[215:216], v[215:216], v[213:214]
	v_div_scale_f64 v[223:224], vcc_lo, v[213:214], v[215:216], v[213:214]
	v_rcp_f64_e32 v[219:220], v[217:218]
	v_fma_f64 v[221:222], -v[217:218], v[219:220], 1.0
	v_fma_f64 v[219:220], v[219:220], v[221:222], v[219:220]
	v_fma_f64 v[221:222], -v[217:218], v[219:220], 1.0
	v_fma_f64 v[219:220], v[219:220], v[221:222], v[219:220]
	v_mul_f64 v[221:222], v[223:224], v[219:220]
	v_fma_f64 v[217:218], -v[217:218], v[221:222], v[223:224]
	v_div_fmas_f64 v[217:218], v[217:218], v[219:220], v[221:222]
	v_div_fixup_f64 v[217:218], v[217:218], v[215:216], v[213:214]
	v_fma_f64 v[213:214], v[213:214], v[217:218], v[215:216]
	v_div_scale_f64 v[215:216], null, v[213:214], v[213:214], 1.0
	v_rcp_f64_e32 v[219:220], v[215:216]
	v_fma_f64 v[221:222], -v[215:216], v[219:220], 1.0
	v_fma_f64 v[219:220], v[219:220], v[221:222], v[219:220]
	v_fma_f64 v[221:222], -v[215:216], v[219:220], 1.0
	v_fma_f64 v[219:220], v[219:220], v[221:222], v[219:220]
	v_div_scale_f64 v[221:222], vcc_lo, 1.0, v[213:214], 1.0
	v_mul_f64 v[223:224], v[221:222], v[219:220]
	v_fma_f64 v[215:216], -v[215:216], v[223:224], v[221:222]
	v_div_fmas_f64 v[215:216], v[215:216], v[219:220], v[223:224]
	v_div_fixup_f64 v[219:220], v[215:216], v[213:214], 1.0
                                        ; implicit-def: $vgpr213_vgpr214
	v_mul_f64 v[217:218], v[217:218], v[219:220]
	v_xor_b32_e32 v220, 0x80000000, v220
.LBB115_428:
	s_andn2_saveexec_b32 s1, s1
	s_cbranch_execz .LBB115_430
; %bb.429:
	v_div_scale_f64 v[217:218], null, v[213:214], v[213:214], v[215:216]
	v_div_scale_f64 v[223:224], vcc_lo, v[215:216], v[213:214], v[215:216]
	v_rcp_f64_e32 v[219:220], v[217:218]
	v_fma_f64 v[221:222], -v[217:218], v[219:220], 1.0
	v_fma_f64 v[219:220], v[219:220], v[221:222], v[219:220]
	v_fma_f64 v[221:222], -v[217:218], v[219:220], 1.0
	v_fma_f64 v[219:220], v[219:220], v[221:222], v[219:220]
	v_mul_f64 v[221:222], v[223:224], v[219:220]
	v_fma_f64 v[217:218], -v[217:218], v[221:222], v[223:224]
	v_div_fmas_f64 v[217:218], v[217:218], v[219:220], v[221:222]
	v_div_fixup_f64 v[219:220], v[217:218], v[213:214], v[215:216]
	v_fma_f64 v[213:214], v[215:216], v[219:220], v[213:214]
	v_div_scale_f64 v[215:216], null, v[213:214], v[213:214], 1.0
	v_rcp_f64_e32 v[217:218], v[215:216]
	v_fma_f64 v[221:222], -v[215:216], v[217:218], 1.0
	v_fma_f64 v[217:218], v[217:218], v[221:222], v[217:218]
	v_fma_f64 v[221:222], -v[215:216], v[217:218], 1.0
	v_fma_f64 v[217:218], v[217:218], v[221:222], v[217:218]
	v_div_scale_f64 v[221:222], vcc_lo, 1.0, v[213:214], 1.0
	v_mul_f64 v[223:224], v[221:222], v[217:218]
	v_fma_f64 v[215:216], -v[215:216], v[223:224], v[221:222]
	v_div_fmas_f64 v[215:216], v[215:216], v[217:218], v[223:224]
	v_div_fixup_f64 v[217:218], v[215:216], v[213:214], 1.0
	v_mul_f64 v[219:220], v[219:220], -v[217:218]
.LBB115_430:
	s_or_b32 exec_lo, exec_lo, s1
	ds_write2_b64 v255, v[217:218], v[219:220] offset1:1
.LBB115_431:
	s_or_b32 exec_lo, exec_lo, s2
	s_waitcnt lgkmcnt(0)
	s_barrier
	buffer_gl0_inv
	ds_read2_b64 v[193:196], v255 offset1:1
	s_mov_b32 s1, exec_lo
	s_waitcnt lgkmcnt(0)
	buffer_store_dword v193, off, s[16:19], 0 offset:1240 ; 4-byte Folded Spill
	buffer_store_dword v194, off, s[16:19], 0 offset:1244 ; 4-byte Folded Spill
	buffer_store_dword v195, off, s[16:19], 0 offset:1248 ; 4-byte Folded Spill
	buffer_store_dword v196, off, s[16:19], 0 offset:1252 ; 4-byte Folded Spill
	v_cmpx_lt_u32_e32 47, v0
	s_cbranch_execz .LBB115_433
; %bb.432:
	s_clause 0x3
	buffer_load_dword v193, off, s[16:19], 0 offset:1240
	buffer_load_dword v194, off, s[16:19], 0 offset:1244
	;; [unrolled: 1-line block ×4, first 2 shown]
	s_waitcnt vmcnt(2)
	v_mul_f64 v[213:214], v[193:194], v[43:44]
	s_waitcnt vmcnt(0)
	v_mul_f64 v[43:44], v[195:196], v[43:44]
	v_fma_f64 v[217:218], v[195:196], v[41:42], v[213:214]
	ds_read2_b64 v[213:216], v253 offset0:96 offset1:97
	v_fma_f64 v[41:42], v[193:194], v[41:42], -v[43:44]
	s_waitcnt lgkmcnt(0)
	v_mul_f64 v[43:44], v[215:216], v[217:218]
	v_fma_f64 v[43:44], v[213:214], v[41:42], -v[43:44]
	v_mul_f64 v[213:214], v[213:214], v[217:218]
	v_add_f64 v[37:38], v[37:38], -v[43:44]
	v_fma_f64 v[213:214], v[215:216], v[41:42], v[213:214]
	v_add_f64 v[39:40], v[39:40], -v[213:214]
	ds_read2_b64 v[213:216], v253 offset0:98 offset1:99
	s_waitcnt lgkmcnt(0)
	v_mul_f64 v[43:44], v[215:216], v[217:218]
	v_fma_f64 v[43:44], v[213:214], v[41:42], -v[43:44]
	v_mul_f64 v[213:214], v[213:214], v[217:218]
	v_add_f64 v[33:34], v[33:34], -v[43:44]
	v_fma_f64 v[213:214], v[215:216], v[41:42], v[213:214]
	v_add_f64 v[35:36], v[35:36], -v[213:214]
	ds_read2_b64 v[213:216], v253 offset0:100 offset1:101
	;; [unrolled: 8-line block ×9, first 2 shown]
	s_waitcnt lgkmcnt(0)
	v_mul_f64 v[43:44], v[215:216], v[217:218]
	v_fma_f64 v[43:44], v[213:214], v[41:42], -v[43:44]
	v_mul_f64 v[213:214], v[213:214], v[217:218]
	v_add_f64 v[1:2], v[1:2], -v[43:44]
	v_fma_f64 v[213:214], v[215:216], v[41:42], v[213:214]
	v_mov_b32_e32 v43, v217
	v_mov_b32_e32 v44, v218
	v_add_f64 v[3:4], v[3:4], -v[213:214]
.LBB115_433:
	s_or_b32 exec_lo, exec_lo, s1
	s_mov_b32 s2, exec_lo
	s_waitcnt_vscnt null, 0x0
	s_barrier
	buffer_gl0_inv
	v_cmpx_eq_u32_e32 48, v0
	s_cbranch_execz .LBB115_440
; %bb.434:
	ds_write2_b64 v255, v[37:38], v[39:40] offset1:1
	ds_write2_b64 v253, v[33:34], v[35:36] offset0:98 offset1:99
	ds_write2_b64 v253, v[29:30], v[31:32] offset0:100 offset1:101
	;; [unrolled: 1-line block ×9, first 2 shown]
	ds_read2_b64 v[213:216], v255 offset1:1
	s_waitcnt lgkmcnt(0)
	v_cmp_neq_f64_e32 vcc_lo, 0, v[213:214]
	v_cmp_neq_f64_e64 s1, 0, v[215:216]
	s_or_b32 s1, vcc_lo, s1
	s_and_b32 exec_lo, exec_lo, s1
	s_cbranch_execz .LBB115_440
; %bb.435:
	v_cmp_ngt_f64_e64 s1, |v[213:214]|, |v[215:216]|
                                        ; implicit-def: $vgpr217_vgpr218
	s_and_saveexec_b32 s3, s1
	s_xor_b32 s1, exec_lo, s3
                                        ; implicit-def: $vgpr219_vgpr220
	s_cbranch_execz .LBB115_437
; %bb.436:
	v_div_scale_f64 v[217:218], null, v[215:216], v[215:216], v[213:214]
	v_div_scale_f64 v[223:224], vcc_lo, v[213:214], v[215:216], v[213:214]
	v_rcp_f64_e32 v[219:220], v[217:218]
	v_fma_f64 v[221:222], -v[217:218], v[219:220], 1.0
	v_fma_f64 v[219:220], v[219:220], v[221:222], v[219:220]
	v_fma_f64 v[221:222], -v[217:218], v[219:220], 1.0
	v_fma_f64 v[219:220], v[219:220], v[221:222], v[219:220]
	v_mul_f64 v[221:222], v[223:224], v[219:220]
	v_fma_f64 v[217:218], -v[217:218], v[221:222], v[223:224]
	v_div_fmas_f64 v[217:218], v[217:218], v[219:220], v[221:222]
	v_div_fixup_f64 v[217:218], v[217:218], v[215:216], v[213:214]
	v_fma_f64 v[213:214], v[213:214], v[217:218], v[215:216]
	v_div_scale_f64 v[215:216], null, v[213:214], v[213:214], 1.0
	v_rcp_f64_e32 v[219:220], v[215:216]
	v_fma_f64 v[221:222], -v[215:216], v[219:220], 1.0
	v_fma_f64 v[219:220], v[219:220], v[221:222], v[219:220]
	v_fma_f64 v[221:222], -v[215:216], v[219:220], 1.0
	v_fma_f64 v[219:220], v[219:220], v[221:222], v[219:220]
	v_div_scale_f64 v[221:222], vcc_lo, 1.0, v[213:214], 1.0
	v_mul_f64 v[223:224], v[221:222], v[219:220]
	v_fma_f64 v[215:216], -v[215:216], v[223:224], v[221:222]
	v_div_fmas_f64 v[215:216], v[215:216], v[219:220], v[223:224]
	v_div_fixup_f64 v[219:220], v[215:216], v[213:214], 1.0
                                        ; implicit-def: $vgpr213_vgpr214
	v_mul_f64 v[217:218], v[217:218], v[219:220]
	v_xor_b32_e32 v220, 0x80000000, v220
.LBB115_437:
	s_andn2_saveexec_b32 s1, s1
	s_cbranch_execz .LBB115_439
; %bb.438:
	v_div_scale_f64 v[217:218], null, v[213:214], v[213:214], v[215:216]
	v_div_scale_f64 v[223:224], vcc_lo, v[215:216], v[213:214], v[215:216]
	v_rcp_f64_e32 v[219:220], v[217:218]
	v_fma_f64 v[221:222], -v[217:218], v[219:220], 1.0
	v_fma_f64 v[219:220], v[219:220], v[221:222], v[219:220]
	v_fma_f64 v[221:222], -v[217:218], v[219:220], 1.0
	v_fma_f64 v[219:220], v[219:220], v[221:222], v[219:220]
	v_mul_f64 v[221:222], v[223:224], v[219:220]
	v_fma_f64 v[217:218], -v[217:218], v[221:222], v[223:224]
	v_div_fmas_f64 v[217:218], v[217:218], v[219:220], v[221:222]
	v_div_fixup_f64 v[219:220], v[217:218], v[213:214], v[215:216]
	v_fma_f64 v[213:214], v[215:216], v[219:220], v[213:214]
	v_div_scale_f64 v[215:216], null, v[213:214], v[213:214], 1.0
	v_rcp_f64_e32 v[217:218], v[215:216]
	v_fma_f64 v[221:222], -v[215:216], v[217:218], 1.0
	v_fma_f64 v[217:218], v[217:218], v[221:222], v[217:218]
	v_fma_f64 v[221:222], -v[215:216], v[217:218], 1.0
	v_fma_f64 v[217:218], v[217:218], v[221:222], v[217:218]
	v_div_scale_f64 v[221:222], vcc_lo, 1.0, v[213:214], 1.0
	v_mul_f64 v[223:224], v[221:222], v[217:218]
	v_fma_f64 v[215:216], -v[215:216], v[223:224], v[221:222]
	v_div_fmas_f64 v[215:216], v[215:216], v[217:218], v[223:224]
	v_div_fixup_f64 v[217:218], v[215:216], v[213:214], 1.0
	v_mul_f64 v[219:220], v[219:220], -v[217:218]
.LBB115_439:
	s_or_b32 exec_lo, exec_lo, s1
	ds_write2_b64 v255, v[217:218], v[219:220] offset1:1
.LBB115_440:
	s_or_b32 exec_lo, exec_lo, s2
	s_waitcnt lgkmcnt(0)
	s_barrier
	buffer_gl0_inv
	ds_read2_b64 v[193:196], v255 offset1:1
	s_mov_b32 s1, exec_lo
	s_waitcnt lgkmcnt(0)
	buffer_store_dword v193, off, s[16:19], 0 offset:1256 ; 4-byte Folded Spill
	buffer_store_dword v194, off, s[16:19], 0 offset:1260 ; 4-byte Folded Spill
	;; [unrolled: 1-line block ×4, first 2 shown]
	v_cmpx_lt_u32_e32 48, v0
	s_cbranch_execz .LBB115_442
; %bb.441:
	s_clause 0x3
	buffer_load_dword v193, off, s[16:19], 0 offset:1256
	buffer_load_dword v194, off, s[16:19], 0 offset:1260
	;; [unrolled: 1-line block ×4, first 2 shown]
	s_waitcnt vmcnt(2)
	v_mul_f64 v[213:214], v[193:194], v[39:40]
	s_waitcnt vmcnt(0)
	v_mul_f64 v[39:40], v[195:196], v[39:40]
	v_fma_f64 v[217:218], v[195:196], v[37:38], v[213:214]
	ds_read2_b64 v[213:216], v253 offset0:98 offset1:99
	v_fma_f64 v[37:38], v[193:194], v[37:38], -v[39:40]
	s_waitcnt lgkmcnt(0)
	v_mul_f64 v[39:40], v[215:216], v[217:218]
	v_fma_f64 v[39:40], v[213:214], v[37:38], -v[39:40]
	v_mul_f64 v[213:214], v[213:214], v[217:218]
	v_add_f64 v[33:34], v[33:34], -v[39:40]
	v_fma_f64 v[213:214], v[215:216], v[37:38], v[213:214]
	v_add_f64 v[35:36], v[35:36], -v[213:214]
	ds_read2_b64 v[213:216], v253 offset0:100 offset1:101
	s_waitcnt lgkmcnt(0)
	v_mul_f64 v[39:40], v[215:216], v[217:218]
	v_fma_f64 v[39:40], v[213:214], v[37:38], -v[39:40]
	v_mul_f64 v[213:214], v[213:214], v[217:218]
	v_add_f64 v[29:30], v[29:30], -v[39:40]
	v_fma_f64 v[213:214], v[215:216], v[37:38], v[213:214]
	v_add_f64 v[31:32], v[31:32], -v[213:214]
	ds_read2_b64 v[213:216], v253 offset0:102 offset1:103
	;; [unrolled: 8-line block ×8, first 2 shown]
	s_waitcnt lgkmcnt(0)
	v_mul_f64 v[39:40], v[215:216], v[217:218]
	v_fma_f64 v[39:40], v[213:214], v[37:38], -v[39:40]
	v_mul_f64 v[213:214], v[213:214], v[217:218]
	v_add_f64 v[1:2], v[1:2], -v[39:40]
	v_fma_f64 v[213:214], v[215:216], v[37:38], v[213:214]
	v_mov_b32_e32 v39, v217
	v_mov_b32_e32 v40, v218
	v_add_f64 v[3:4], v[3:4], -v[213:214]
.LBB115_442:
	s_or_b32 exec_lo, exec_lo, s1
	s_mov_b32 s2, exec_lo
	s_waitcnt_vscnt null, 0x0
	s_barrier
	buffer_gl0_inv
	v_cmpx_eq_u32_e32 49, v0
	s_cbranch_execz .LBB115_449
; %bb.443:
	ds_write2_b64 v255, v[33:34], v[35:36] offset1:1
	ds_write2_b64 v253, v[29:30], v[31:32] offset0:100 offset1:101
	ds_write2_b64 v253, v[25:26], v[27:28] offset0:102 offset1:103
	;; [unrolled: 1-line block ×8, first 2 shown]
	ds_read2_b64 v[213:216], v255 offset1:1
	s_waitcnt lgkmcnt(0)
	v_cmp_neq_f64_e32 vcc_lo, 0, v[213:214]
	v_cmp_neq_f64_e64 s1, 0, v[215:216]
	s_or_b32 s1, vcc_lo, s1
	s_and_b32 exec_lo, exec_lo, s1
	s_cbranch_execz .LBB115_449
; %bb.444:
	v_cmp_ngt_f64_e64 s1, |v[213:214]|, |v[215:216]|
                                        ; implicit-def: $vgpr217_vgpr218
	s_and_saveexec_b32 s3, s1
	s_xor_b32 s1, exec_lo, s3
                                        ; implicit-def: $vgpr219_vgpr220
	s_cbranch_execz .LBB115_446
; %bb.445:
	v_div_scale_f64 v[217:218], null, v[215:216], v[215:216], v[213:214]
	v_div_scale_f64 v[223:224], vcc_lo, v[213:214], v[215:216], v[213:214]
	v_rcp_f64_e32 v[219:220], v[217:218]
	v_fma_f64 v[221:222], -v[217:218], v[219:220], 1.0
	v_fma_f64 v[219:220], v[219:220], v[221:222], v[219:220]
	v_fma_f64 v[221:222], -v[217:218], v[219:220], 1.0
	v_fma_f64 v[219:220], v[219:220], v[221:222], v[219:220]
	v_mul_f64 v[221:222], v[223:224], v[219:220]
	v_fma_f64 v[217:218], -v[217:218], v[221:222], v[223:224]
	v_div_fmas_f64 v[217:218], v[217:218], v[219:220], v[221:222]
	v_div_fixup_f64 v[217:218], v[217:218], v[215:216], v[213:214]
	v_fma_f64 v[213:214], v[213:214], v[217:218], v[215:216]
	v_div_scale_f64 v[215:216], null, v[213:214], v[213:214], 1.0
	v_rcp_f64_e32 v[219:220], v[215:216]
	v_fma_f64 v[221:222], -v[215:216], v[219:220], 1.0
	v_fma_f64 v[219:220], v[219:220], v[221:222], v[219:220]
	v_fma_f64 v[221:222], -v[215:216], v[219:220], 1.0
	v_fma_f64 v[219:220], v[219:220], v[221:222], v[219:220]
	v_div_scale_f64 v[221:222], vcc_lo, 1.0, v[213:214], 1.0
	v_mul_f64 v[223:224], v[221:222], v[219:220]
	v_fma_f64 v[215:216], -v[215:216], v[223:224], v[221:222]
	v_div_fmas_f64 v[215:216], v[215:216], v[219:220], v[223:224]
	v_div_fixup_f64 v[219:220], v[215:216], v[213:214], 1.0
                                        ; implicit-def: $vgpr213_vgpr214
	v_mul_f64 v[217:218], v[217:218], v[219:220]
	v_xor_b32_e32 v220, 0x80000000, v220
.LBB115_446:
	s_andn2_saveexec_b32 s1, s1
	s_cbranch_execz .LBB115_448
; %bb.447:
	v_div_scale_f64 v[217:218], null, v[213:214], v[213:214], v[215:216]
	v_div_scale_f64 v[223:224], vcc_lo, v[215:216], v[213:214], v[215:216]
	v_rcp_f64_e32 v[219:220], v[217:218]
	v_fma_f64 v[221:222], -v[217:218], v[219:220], 1.0
	v_fma_f64 v[219:220], v[219:220], v[221:222], v[219:220]
	v_fma_f64 v[221:222], -v[217:218], v[219:220], 1.0
	v_fma_f64 v[219:220], v[219:220], v[221:222], v[219:220]
	v_mul_f64 v[221:222], v[223:224], v[219:220]
	v_fma_f64 v[217:218], -v[217:218], v[221:222], v[223:224]
	v_div_fmas_f64 v[217:218], v[217:218], v[219:220], v[221:222]
	v_div_fixup_f64 v[219:220], v[217:218], v[213:214], v[215:216]
	v_fma_f64 v[213:214], v[215:216], v[219:220], v[213:214]
	v_div_scale_f64 v[215:216], null, v[213:214], v[213:214], 1.0
	v_rcp_f64_e32 v[217:218], v[215:216]
	v_fma_f64 v[221:222], -v[215:216], v[217:218], 1.0
	v_fma_f64 v[217:218], v[217:218], v[221:222], v[217:218]
	v_fma_f64 v[221:222], -v[215:216], v[217:218], 1.0
	v_fma_f64 v[217:218], v[217:218], v[221:222], v[217:218]
	v_div_scale_f64 v[221:222], vcc_lo, 1.0, v[213:214], 1.0
	v_mul_f64 v[223:224], v[221:222], v[217:218]
	v_fma_f64 v[215:216], -v[215:216], v[223:224], v[221:222]
	v_div_fmas_f64 v[215:216], v[215:216], v[217:218], v[223:224]
	v_div_fixup_f64 v[217:218], v[215:216], v[213:214], 1.0
	v_mul_f64 v[219:220], v[219:220], -v[217:218]
.LBB115_448:
	s_or_b32 exec_lo, exec_lo, s1
	ds_write2_b64 v255, v[217:218], v[219:220] offset1:1
.LBB115_449:
	s_or_b32 exec_lo, exec_lo, s2
	s_waitcnt lgkmcnt(0)
	s_barrier
	buffer_gl0_inv
	ds_read2_b64 v[193:196], v255 offset1:1
	s_mov_b32 s1, exec_lo
	s_waitcnt lgkmcnt(0)
	buffer_store_dword v193, off, s[16:19], 0 offset:1272 ; 4-byte Folded Spill
	buffer_store_dword v194, off, s[16:19], 0 offset:1276 ; 4-byte Folded Spill
	;; [unrolled: 1-line block ×4, first 2 shown]
	v_cmpx_lt_u32_e32 49, v0
	s_cbranch_execz .LBB115_451
; %bb.450:
	s_clause 0x3
	buffer_load_dword v193, off, s[16:19], 0 offset:1272
	buffer_load_dword v194, off, s[16:19], 0 offset:1276
	;; [unrolled: 1-line block ×4, first 2 shown]
	s_waitcnt vmcnt(2)
	v_mul_f64 v[213:214], v[193:194], v[35:36]
	s_waitcnt vmcnt(0)
	v_mul_f64 v[35:36], v[195:196], v[35:36]
	v_fma_f64 v[217:218], v[195:196], v[33:34], v[213:214]
	ds_read2_b64 v[213:216], v253 offset0:100 offset1:101
	v_fma_f64 v[33:34], v[193:194], v[33:34], -v[35:36]
	s_waitcnt lgkmcnt(0)
	v_mul_f64 v[35:36], v[215:216], v[217:218]
	v_fma_f64 v[35:36], v[213:214], v[33:34], -v[35:36]
	v_mul_f64 v[213:214], v[213:214], v[217:218]
	v_add_f64 v[29:30], v[29:30], -v[35:36]
	v_fma_f64 v[213:214], v[215:216], v[33:34], v[213:214]
	v_add_f64 v[31:32], v[31:32], -v[213:214]
	ds_read2_b64 v[213:216], v253 offset0:102 offset1:103
	s_waitcnt lgkmcnt(0)
	v_mul_f64 v[35:36], v[215:216], v[217:218]
	v_fma_f64 v[35:36], v[213:214], v[33:34], -v[35:36]
	v_mul_f64 v[213:214], v[213:214], v[217:218]
	v_add_f64 v[25:26], v[25:26], -v[35:36]
	v_fma_f64 v[213:214], v[215:216], v[33:34], v[213:214]
	v_add_f64 v[27:28], v[27:28], -v[213:214]
	ds_read2_b64 v[213:216], v253 offset0:104 offset1:105
	;; [unrolled: 8-line block ×7, first 2 shown]
	s_waitcnt lgkmcnt(0)
	v_mul_f64 v[35:36], v[215:216], v[217:218]
	v_fma_f64 v[35:36], v[213:214], v[33:34], -v[35:36]
	v_mul_f64 v[213:214], v[213:214], v[217:218]
	v_add_f64 v[1:2], v[1:2], -v[35:36]
	v_fma_f64 v[213:214], v[215:216], v[33:34], v[213:214]
	v_mov_b32_e32 v35, v217
	v_mov_b32_e32 v36, v218
	v_add_f64 v[3:4], v[3:4], -v[213:214]
.LBB115_451:
	s_or_b32 exec_lo, exec_lo, s1
	s_mov_b32 s2, exec_lo
	s_waitcnt_vscnt null, 0x0
	s_barrier
	buffer_gl0_inv
	v_cmpx_eq_u32_e32 50, v0
	s_cbranch_execz .LBB115_458
; %bb.452:
	ds_write2_b64 v255, v[29:30], v[31:32] offset1:1
	ds_write2_b64 v253, v[25:26], v[27:28] offset0:102 offset1:103
	ds_write2_b64 v253, v[21:22], v[23:24] offset0:104 offset1:105
	;; [unrolled: 1-line block ×7, first 2 shown]
	ds_read2_b64 v[213:216], v255 offset1:1
	s_waitcnt lgkmcnt(0)
	v_cmp_neq_f64_e32 vcc_lo, 0, v[213:214]
	v_cmp_neq_f64_e64 s1, 0, v[215:216]
	s_or_b32 s1, vcc_lo, s1
	s_and_b32 exec_lo, exec_lo, s1
	s_cbranch_execz .LBB115_458
; %bb.453:
	v_cmp_ngt_f64_e64 s1, |v[213:214]|, |v[215:216]|
                                        ; implicit-def: $vgpr217_vgpr218
	s_and_saveexec_b32 s3, s1
	s_xor_b32 s1, exec_lo, s3
                                        ; implicit-def: $vgpr219_vgpr220
	s_cbranch_execz .LBB115_455
; %bb.454:
	v_div_scale_f64 v[217:218], null, v[215:216], v[215:216], v[213:214]
	v_div_scale_f64 v[223:224], vcc_lo, v[213:214], v[215:216], v[213:214]
	v_rcp_f64_e32 v[219:220], v[217:218]
	v_fma_f64 v[221:222], -v[217:218], v[219:220], 1.0
	v_fma_f64 v[219:220], v[219:220], v[221:222], v[219:220]
	v_fma_f64 v[221:222], -v[217:218], v[219:220], 1.0
	v_fma_f64 v[219:220], v[219:220], v[221:222], v[219:220]
	v_mul_f64 v[221:222], v[223:224], v[219:220]
	v_fma_f64 v[217:218], -v[217:218], v[221:222], v[223:224]
	v_div_fmas_f64 v[217:218], v[217:218], v[219:220], v[221:222]
	v_div_fixup_f64 v[217:218], v[217:218], v[215:216], v[213:214]
	v_fma_f64 v[213:214], v[213:214], v[217:218], v[215:216]
	v_div_scale_f64 v[215:216], null, v[213:214], v[213:214], 1.0
	v_rcp_f64_e32 v[219:220], v[215:216]
	v_fma_f64 v[221:222], -v[215:216], v[219:220], 1.0
	v_fma_f64 v[219:220], v[219:220], v[221:222], v[219:220]
	v_fma_f64 v[221:222], -v[215:216], v[219:220], 1.0
	v_fma_f64 v[219:220], v[219:220], v[221:222], v[219:220]
	v_div_scale_f64 v[221:222], vcc_lo, 1.0, v[213:214], 1.0
	v_mul_f64 v[223:224], v[221:222], v[219:220]
	v_fma_f64 v[215:216], -v[215:216], v[223:224], v[221:222]
	v_div_fmas_f64 v[215:216], v[215:216], v[219:220], v[223:224]
	v_div_fixup_f64 v[219:220], v[215:216], v[213:214], 1.0
                                        ; implicit-def: $vgpr213_vgpr214
	v_mul_f64 v[217:218], v[217:218], v[219:220]
	v_xor_b32_e32 v220, 0x80000000, v220
.LBB115_455:
	s_andn2_saveexec_b32 s1, s1
	s_cbranch_execz .LBB115_457
; %bb.456:
	v_div_scale_f64 v[217:218], null, v[213:214], v[213:214], v[215:216]
	v_div_scale_f64 v[223:224], vcc_lo, v[215:216], v[213:214], v[215:216]
	v_rcp_f64_e32 v[219:220], v[217:218]
	v_fma_f64 v[221:222], -v[217:218], v[219:220], 1.0
	v_fma_f64 v[219:220], v[219:220], v[221:222], v[219:220]
	v_fma_f64 v[221:222], -v[217:218], v[219:220], 1.0
	v_fma_f64 v[219:220], v[219:220], v[221:222], v[219:220]
	v_mul_f64 v[221:222], v[223:224], v[219:220]
	v_fma_f64 v[217:218], -v[217:218], v[221:222], v[223:224]
	v_div_fmas_f64 v[217:218], v[217:218], v[219:220], v[221:222]
	v_div_fixup_f64 v[219:220], v[217:218], v[213:214], v[215:216]
	v_fma_f64 v[213:214], v[215:216], v[219:220], v[213:214]
	v_div_scale_f64 v[215:216], null, v[213:214], v[213:214], 1.0
	v_rcp_f64_e32 v[217:218], v[215:216]
	v_fma_f64 v[221:222], -v[215:216], v[217:218], 1.0
	v_fma_f64 v[217:218], v[217:218], v[221:222], v[217:218]
	v_fma_f64 v[221:222], -v[215:216], v[217:218], 1.0
	v_fma_f64 v[217:218], v[217:218], v[221:222], v[217:218]
	v_div_scale_f64 v[221:222], vcc_lo, 1.0, v[213:214], 1.0
	v_mul_f64 v[223:224], v[221:222], v[217:218]
	v_fma_f64 v[215:216], -v[215:216], v[223:224], v[221:222]
	v_div_fmas_f64 v[215:216], v[215:216], v[217:218], v[223:224]
	v_div_fixup_f64 v[217:218], v[215:216], v[213:214], 1.0
	v_mul_f64 v[219:220], v[219:220], -v[217:218]
.LBB115_457:
	s_or_b32 exec_lo, exec_lo, s1
	ds_write2_b64 v255, v[217:218], v[219:220] offset1:1
.LBB115_458:
	s_or_b32 exec_lo, exec_lo, s2
	s_waitcnt lgkmcnt(0)
	s_barrier
	buffer_gl0_inv
	ds_read2_b64 v[193:196], v255 offset1:1
	s_mov_b32 s1, exec_lo
	s_waitcnt lgkmcnt(0)
	buffer_store_dword v193, off, s[16:19], 0 offset:1288 ; 4-byte Folded Spill
	buffer_store_dword v194, off, s[16:19], 0 offset:1292 ; 4-byte Folded Spill
	;; [unrolled: 1-line block ×4, first 2 shown]
	v_cmpx_lt_u32_e32 50, v0
	s_cbranch_execz .LBB115_460
; %bb.459:
	s_clause 0x3
	buffer_load_dword v193, off, s[16:19], 0 offset:1288
	buffer_load_dword v194, off, s[16:19], 0 offset:1292
	;; [unrolled: 1-line block ×4, first 2 shown]
	s_waitcnt vmcnt(2)
	v_mul_f64 v[213:214], v[193:194], v[31:32]
	s_waitcnt vmcnt(0)
	v_mul_f64 v[31:32], v[195:196], v[31:32]
	v_fma_f64 v[217:218], v[195:196], v[29:30], v[213:214]
	ds_read2_b64 v[213:216], v253 offset0:102 offset1:103
	v_fma_f64 v[29:30], v[193:194], v[29:30], -v[31:32]
	s_waitcnt lgkmcnt(0)
	v_mul_f64 v[31:32], v[215:216], v[217:218]
	v_fma_f64 v[31:32], v[213:214], v[29:30], -v[31:32]
	v_mul_f64 v[213:214], v[213:214], v[217:218]
	v_add_f64 v[25:26], v[25:26], -v[31:32]
	v_fma_f64 v[213:214], v[215:216], v[29:30], v[213:214]
	v_add_f64 v[27:28], v[27:28], -v[213:214]
	ds_read2_b64 v[213:216], v253 offset0:104 offset1:105
	s_waitcnt lgkmcnt(0)
	v_mul_f64 v[31:32], v[215:216], v[217:218]
	v_fma_f64 v[31:32], v[213:214], v[29:30], -v[31:32]
	v_mul_f64 v[213:214], v[213:214], v[217:218]
	v_add_f64 v[21:22], v[21:22], -v[31:32]
	v_fma_f64 v[213:214], v[215:216], v[29:30], v[213:214]
	v_add_f64 v[23:24], v[23:24], -v[213:214]
	ds_read2_b64 v[213:216], v253 offset0:106 offset1:107
	;; [unrolled: 8-line block ×6, first 2 shown]
	s_waitcnt lgkmcnt(0)
	v_mul_f64 v[31:32], v[215:216], v[217:218]
	v_fma_f64 v[31:32], v[213:214], v[29:30], -v[31:32]
	v_mul_f64 v[213:214], v[213:214], v[217:218]
	v_add_f64 v[1:2], v[1:2], -v[31:32]
	v_fma_f64 v[213:214], v[215:216], v[29:30], v[213:214]
	v_mov_b32_e32 v31, v217
	v_mov_b32_e32 v32, v218
	v_add_f64 v[3:4], v[3:4], -v[213:214]
.LBB115_460:
	s_or_b32 exec_lo, exec_lo, s1
	s_mov_b32 s2, exec_lo
	s_waitcnt_vscnt null, 0x0
	s_barrier
	buffer_gl0_inv
	v_cmpx_eq_u32_e32 51, v0
	s_cbranch_execz .LBB115_467
; %bb.461:
	ds_write2_b64 v255, v[25:26], v[27:28] offset1:1
	ds_write2_b64 v253, v[21:22], v[23:24] offset0:104 offset1:105
	ds_write2_b64 v253, v[17:18], v[19:20] offset0:106 offset1:107
	;; [unrolled: 1-line block ×6, first 2 shown]
	ds_read2_b64 v[213:216], v255 offset1:1
	s_waitcnt lgkmcnt(0)
	v_cmp_neq_f64_e32 vcc_lo, 0, v[213:214]
	v_cmp_neq_f64_e64 s1, 0, v[215:216]
	s_or_b32 s1, vcc_lo, s1
	s_and_b32 exec_lo, exec_lo, s1
	s_cbranch_execz .LBB115_467
; %bb.462:
	v_cmp_ngt_f64_e64 s1, |v[213:214]|, |v[215:216]|
                                        ; implicit-def: $vgpr217_vgpr218
	s_and_saveexec_b32 s3, s1
	s_xor_b32 s1, exec_lo, s3
                                        ; implicit-def: $vgpr219_vgpr220
	s_cbranch_execz .LBB115_464
; %bb.463:
	v_div_scale_f64 v[217:218], null, v[215:216], v[215:216], v[213:214]
	v_div_scale_f64 v[223:224], vcc_lo, v[213:214], v[215:216], v[213:214]
	v_rcp_f64_e32 v[219:220], v[217:218]
	v_fma_f64 v[221:222], -v[217:218], v[219:220], 1.0
	v_fma_f64 v[219:220], v[219:220], v[221:222], v[219:220]
	v_fma_f64 v[221:222], -v[217:218], v[219:220], 1.0
	v_fma_f64 v[219:220], v[219:220], v[221:222], v[219:220]
	v_mul_f64 v[221:222], v[223:224], v[219:220]
	v_fma_f64 v[217:218], -v[217:218], v[221:222], v[223:224]
	v_div_fmas_f64 v[217:218], v[217:218], v[219:220], v[221:222]
	v_div_fixup_f64 v[217:218], v[217:218], v[215:216], v[213:214]
	v_fma_f64 v[213:214], v[213:214], v[217:218], v[215:216]
	v_div_scale_f64 v[215:216], null, v[213:214], v[213:214], 1.0
	v_rcp_f64_e32 v[219:220], v[215:216]
	v_fma_f64 v[221:222], -v[215:216], v[219:220], 1.0
	v_fma_f64 v[219:220], v[219:220], v[221:222], v[219:220]
	v_fma_f64 v[221:222], -v[215:216], v[219:220], 1.0
	v_fma_f64 v[219:220], v[219:220], v[221:222], v[219:220]
	v_div_scale_f64 v[221:222], vcc_lo, 1.0, v[213:214], 1.0
	v_mul_f64 v[223:224], v[221:222], v[219:220]
	v_fma_f64 v[215:216], -v[215:216], v[223:224], v[221:222]
	v_div_fmas_f64 v[215:216], v[215:216], v[219:220], v[223:224]
	v_div_fixup_f64 v[219:220], v[215:216], v[213:214], 1.0
                                        ; implicit-def: $vgpr213_vgpr214
	v_mul_f64 v[217:218], v[217:218], v[219:220]
	v_xor_b32_e32 v220, 0x80000000, v220
.LBB115_464:
	s_andn2_saveexec_b32 s1, s1
	s_cbranch_execz .LBB115_466
; %bb.465:
	v_div_scale_f64 v[217:218], null, v[213:214], v[213:214], v[215:216]
	v_div_scale_f64 v[223:224], vcc_lo, v[215:216], v[213:214], v[215:216]
	v_rcp_f64_e32 v[219:220], v[217:218]
	v_fma_f64 v[221:222], -v[217:218], v[219:220], 1.0
	v_fma_f64 v[219:220], v[219:220], v[221:222], v[219:220]
	v_fma_f64 v[221:222], -v[217:218], v[219:220], 1.0
	v_fma_f64 v[219:220], v[219:220], v[221:222], v[219:220]
	v_mul_f64 v[221:222], v[223:224], v[219:220]
	v_fma_f64 v[217:218], -v[217:218], v[221:222], v[223:224]
	v_div_fmas_f64 v[217:218], v[217:218], v[219:220], v[221:222]
	v_div_fixup_f64 v[219:220], v[217:218], v[213:214], v[215:216]
	v_fma_f64 v[213:214], v[215:216], v[219:220], v[213:214]
	v_div_scale_f64 v[215:216], null, v[213:214], v[213:214], 1.0
	v_rcp_f64_e32 v[217:218], v[215:216]
	v_fma_f64 v[221:222], -v[215:216], v[217:218], 1.0
	v_fma_f64 v[217:218], v[217:218], v[221:222], v[217:218]
	v_fma_f64 v[221:222], -v[215:216], v[217:218], 1.0
	v_fma_f64 v[217:218], v[217:218], v[221:222], v[217:218]
	v_div_scale_f64 v[221:222], vcc_lo, 1.0, v[213:214], 1.0
	v_mul_f64 v[223:224], v[221:222], v[217:218]
	v_fma_f64 v[215:216], -v[215:216], v[223:224], v[221:222]
	v_div_fmas_f64 v[215:216], v[215:216], v[217:218], v[223:224]
	v_div_fixup_f64 v[217:218], v[215:216], v[213:214], 1.0
	v_mul_f64 v[219:220], v[219:220], -v[217:218]
.LBB115_466:
	s_or_b32 exec_lo, exec_lo, s1
	ds_write2_b64 v255, v[217:218], v[219:220] offset1:1
.LBB115_467:
	s_or_b32 exec_lo, exec_lo, s2
	s_waitcnt lgkmcnt(0)
	s_barrier
	buffer_gl0_inv
	ds_read2_b64 v[221:224], v255 offset1:1
	s_mov_b32 s1, exec_lo
	v_cmpx_lt_u32_e32 51, v0
	s_cbranch_execz .LBB115_469
; %bb.468:
	s_waitcnt lgkmcnt(0)
	v_mul_f64 v[213:214], v[221:222], v[27:28]
	v_mul_f64 v[27:28], v[223:224], v[27:28]
	v_fma_f64 v[217:218], v[223:224], v[25:26], v[213:214]
	ds_read2_b64 v[213:216], v253 offset0:104 offset1:105
	v_fma_f64 v[25:26], v[221:222], v[25:26], -v[27:28]
	s_waitcnt lgkmcnt(0)
	v_mul_f64 v[27:28], v[215:216], v[217:218]
	v_fma_f64 v[27:28], v[213:214], v[25:26], -v[27:28]
	v_mul_f64 v[213:214], v[213:214], v[217:218]
	v_add_f64 v[21:22], v[21:22], -v[27:28]
	v_fma_f64 v[213:214], v[215:216], v[25:26], v[213:214]
	v_add_f64 v[23:24], v[23:24], -v[213:214]
	ds_read2_b64 v[213:216], v253 offset0:106 offset1:107
	s_waitcnt lgkmcnt(0)
	v_mul_f64 v[27:28], v[215:216], v[217:218]
	v_fma_f64 v[27:28], v[213:214], v[25:26], -v[27:28]
	v_mul_f64 v[213:214], v[213:214], v[217:218]
	v_add_f64 v[17:18], v[17:18], -v[27:28]
	v_fma_f64 v[213:214], v[215:216], v[25:26], v[213:214]
	v_add_f64 v[19:20], v[19:20], -v[213:214]
	ds_read2_b64 v[213:216], v253 offset0:108 offset1:109
	;; [unrolled: 8-line block ×5, first 2 shown]
	s_waitcnt lgkmcnt(0)
	v_mul_f64 v[27:28], v[215:216], v[217:218]
	v_fma_f64 v[27:28], v[213:214], v[25:26], -v[27:28]
	v_mul_f64 v[213:214], v[213:214], v[217:218]
	v_add_f64 v[1:2], v[1:2], -v[27:28]
	v_fma_f64 v[213:214], v[215:216], v[25:26], v[213:214]
	v_mov_b32_e32 v27, v217
	v_mov_b32_e32 v28, v218
	v_add_f64 v[3:4], v[3:4], -v[213:214]
.LBB115_469:
	s_or_b32 exec_lo, exec_lo, s1
	s_mov_b32 s2, exec_lo
	s_waitcnt lgkmcnt(0)
	s_barrier
	buffer_gl0_inv
	v_cmpx_eq_u32_e32 52, v0
	s_cbranch_execz .LBB115_476
; %bb.470:
	ds_write2_b64 v255, v[21:22], v[23:24] offset1:1
	ds_write2_b64 v253, v[17:18], v[19:20] offset0:106 offset1:107
	ds_write2_b64 v253, v[13:14], v[15:16] offset0:108 offset1:109
	;; [unrolled: 1-line block ×5, first 2 shown]
	ds_read2_b64 v[213:216], v255 offset1:1
	s_waitcnt lgkmcnt(0)
	v_cmp_neq_f64_e32 vcc_lo, 0, v[213:214]
	v_cmp_neq_f64_e64 s1, 0, v[215:216]
	s_or_b32 s1, vcc_lo, s1
	s_and_b32 exec_lo, exec_lo, s1
	s_cbranch_execz .LBB115_476
; %bb.471:
	v_cmp_ngt_f64_e64 s1, |v[213:214]|, |v[215:216]|
                                        ; implicit-def: $vgpr217_vgpr218
	s_and_saveexec_b32 s3, s1
	s_xor_b32 s1, exec_lo, s3
                                        ; implicit-def: $vgpr219_vgpr220
	s_cbranch_execz .LBB115_473
; %bb.472:
	v_div_scale_f64 v[217:218], null, v[215:216], v[215:216], v[213:214]
	v_mov_b32_e32 v193, v221
	v_mov_b32_e32 v194, v222
	;; [unrolled: 1-line block ×4, first 2 shown]
	v_div_scale_f64 v[223:224], vcc_lo, v[213:214], v[215:216], v[213:214]
	v_rcp_f64_e32 v[219:220], v[217:218]
	v_fma_f64 v[221:222], -v[217:218], v[219:220], 1.0
	v_fma_f64 v[219:220], v[219:220], v[221:222], v[219:220]
	v_fma_f64 v[221:222], -v[217:218], v[219:220], 1.0
	v_fma_f64 v[219:220], v[219:220], v[221:222], v[219:220]
	v_mul_f64 v[221:222], v[223:224], v[219:220]
	v_fma_f64 v[217:218], -v[217:218], v[221:222], v[223:224]
	v_div_fmas_f64 v[217:218], v[217:218], v[219:220], v[221:222]
	v_div_fixup_f64 v[217:218], v[217:218], v[215:216], v[213:214]
	v_fma_f64 v[213:214], v[213:214], v[217:218], v[215:216]
	v_div_scale_f64 v[215:216], null, v[213:214], v[213:214], 1.0
	v_rcp_f64_e32 v[219:220], v[215:216]
	v_fma_f64 v[221:222], -v[215:216], v[219:220], 1.0
	v_fma_f64 v[219:220], v[219:220], v[221:222], v[219:220]
	v_fma_f64 v[221:222], -v[215:216], v[219:220], 1.0
	v_fma_f64 v[219:220], v[219:220], v[221:222], v[219:220]
	v_div_scale_f64 v[221:222], vcc_lo, 1.0, v[213:214], 1.0
	v_mul_f64 v[223:224], v[221:222], v[219:220]
	v_fma_f64 v[215:216], -v[215:216], v[223:224], v[221:222]
	v_div_fmas_f64 v[215:216], v[215:216], v[219:220], v[223:224]
	v_mov_b32_e32 v224, v196
	v_mov_b32_e32 v223, v195
	;; [unrolled: 1-line block ×4, first 2 shown]
	v_div_fixup_f64 v[219:220], v[215:216], v[213:214], 1.0
                                        ; implicit-def: $vgpr213_vgpr214
	v_mul_f64 v[217:218], v[217:218], v[219:220]
	v_xor_b32_e32 v220, 0x80000000, v220
.LBB115_473:
	s_andn2_saveexec_b32 s1, s1
	s_cbranch_execz .LBB115_475
; %bb.474:
	v_div_scale_f64 v[217:218], null, v[213:214], v[213:214], v[215:216]
	v_mov_b32_e32 v193, v221
	v_mov_b32_e32 v194, v222
	;; [unrolled: 1-line block ×4, first 2 shown]
	v_div_scale_f64 v[223:224], vcc_lo, v[215:216], v[213:214], v[215:216]
	v_rcp_f64_e32 v[219:220], v[217:218]
	v_fma_f64 v[221:222], -v[217:218], v[219:220], 1.0
	v_fma_f64 v[219:220], v[219:220], v[221:222], v[219:220]
	v_fma_f64 v[221:222], -v[217:218], v[219:220], 1.0
	v_fma_f64 v[219:220], v[219:220], v[221:222], v[219:220]
	v_mul_f64 v[221:222], v[223:224], v[219:220]
	v_fma_f64 v[217:218], -v[217:218], v[221:222], v[223:224]
	v_div_fmas_f64 v[217:218], v[217:218], v[219:220], v[221:222]
	v_div_fixup_f64 v[219:220], v[217:218], v[213:214], v[215:216]
	v_fma_f64 v[213:214], v[215:216], v[219:220], v[213:214]
	v_div_scale_f64 v[215:216], null, v[213:214], v[213:214], 1.0
	v_rcp_f64_e32 v[217:218], v[215:216]
	v_fma_f64 v[221:222], -v[215:216], v[217:218], 1.0
	v_fma_f64 v[217:218], v[217:218], v[221:222], v[217:218]
	v_fma_f64 v[221:222], -v[215:216], v[217:218], 1.0
	v_fma_f64 v[217:218], v[217:218], v[221:222], v[217:218]
	v_div_scale_f64 v[221:222], vcc_lo, 1.0, v[213:214], 1.0
	v_mul_f64 v[223:224], v[221:222], v[217:218]
	v_fma_f64 v[215:216], -v[215:216], v[223:224], v[221:222]
	v_div_fmas_f64 v[215:216], v[215:216], v[217:218], v[223:224]
	v_mov_b32_e32 v224, v196
	v_mov_b32_e32 v223, v195
	;; [unrolled: 1-line block ×4, first 2 shown]
	v_div_fixup_f64 v[217:218], v[215:216], v[213:214], 1.0
	v_mul_f64 v[219:220], v[219:220], -v[217:218]
.LBB115_475:
	s_or_b32 exec_lo, exec_lo, s1
	ds_write2_b64 v255, v[217:218], v[219:220] offset1:1
.LBB115_476:
	s_or_b32 exec_lo, exec_lo, s2
	s_waitcnt lgkmcnt(0)
	s_barrier
	buffer_gl0_inv
	ds_read2_b64 v[193:196], v255 offset1:1
	s_mov_b32 s1, exec_lo
	s_waitcnt lgkmcnt(0)
	buffer_store_dword v193, off, s[16:19], 0 offset:1304 ; 4-byte Folded Spill
	buffer_store_dword v194, off, s[16:19], 0 offset:1308 ; 4-byte Folded Spill
	;; [unrolled: 1-line block ×4, first 2 shown]
	v_cmpx_lt_u32_e32 52, v0
	s_cbranch_execz .LBB115_478
; %bb.477:
	s_clause 0x3
	buffer_load_dword v193, off, s[16:19], 0 offset:1304
	buffer_load_dword v194, off, s[16:19], 0 offset:1308
	;; [unrolled: 1-line block ×4, first 2 shown]
	s_waitcnt vmcnt(2)
	v_mul_f64 v[213:214], v[193:194], v[23:24]
	s_waitcnt vmcnt(0)
	v_mul_f64 v[23:24], v[195:196], v[23:24]
	v_fma_f64 v[217:218], v[195:196], v[21:22], v[213:214]
	ds_read2_b64 v[213:216], v253 offset0:106 offset1:107
	v_fma_f64 v[21:22], v[193:194], v[21:22], -v[23:24]
	s_waitcnt lgkmcnt(0)
	v_mul_f64 v[23:24], v[215:216], v[217:218]
	v_fma_f64 v[23:24], v[213:214], v[21:22], -v[23:24]
	v_mul_f64 v[213:214], v[213:214], v[217:218]
	v_add_f64 v[17:18], v[17:18], -v[23:24]
	v_fma_f64 v[213:214], v[215:216], v[21:22], v[213:214]
	v_add_f64 v[19:20], v[19:20], -v[213:214]
	ds_read2_b64 v[213:216], v253 offset0:108 offset1:109
	s_waitcnt lgkmcnt(0)
	v_mul_f64 v[23:24], v[215:216], v[217:218]
	v_fma_f64 v[23:24], v[213:214], v[21:22], -v[23:24]
	v_mul_f64 v[213:214], v[213:214], v[217:218]
	v_add_f64 v[13:14], v[13:14], -v[23:24]
	v_fma_f64 v[213:214], v[215:216], v[21:22], v[213:214]
	v_add_f64 v[15:16], v[15:16], -v[213:214]
	ds_read2_b64 v[213:216], v253 offset0:110 offset1:111
	s_waitcnt lgkmcnt(0)
	v_mul_f64 v[23:24], v[215:216], v[217:218]
	v_fma_f64 v[23:24], v[213:214], v[21:22], -v[23:24]
	v_mul_f64 v[213:214], v[213:214], v[217:218]
	v_add_f64 v[9:10], v[9:10], -v[23:24]
	v_fma_f64 v[213:214], v[215:216], v[21:22], v[213:214]
	v_add_f64 v[11:12], v[11:12], -v[213:214]
	ds_read2_b64 v[213:216], v253 offset0:112 offset1:113
	s_waitcnt lgkmcnt(0)
	v_mul_f64 v[23:24], v[215:216], v[217:218]
	v_fma_f64 v[23:24], v[213:214], v[21:22], -v[23:24]
	v_mul_f64 v[213:214], v[213:214], v[217:218]
	v_add_f64 v[5:6], v[5:6], -v[23:24]
	v_fma_f64 v[213:214], v[215:216], v[21:22], v[213:214]
	v_add_f64 v[7:8], v[7:8], -v[213:214]
	ds_read2_b64 v[213:216], v253 offset0:114 offset1:115
	s_waitcnt lgkmcnt(0)
	v_mul_f64 v[23:24], v[215:216], v[217:218]
	v_fma_f64 v[23:24], v[213:214], v[21:22], -v[23:24]
	v_mul_f64 v[213:214], v[213:214], v[217:218]
	v_add_f64 v[1:2], v[1:2], -v[23:24]
	v_fma_f64 v[213:214], v[215:216], v[21:22], v[213:214]
	v_mov_b32_e32 v23, v217
	v_mov_b32_e32 v24, v218
	v_add_f64 v[3:4], v[3:4], -v[213:214]
.LBB115_478:
	s_or_b32 exec_lo, exec_lo, s1
	s_mov_b32 s2, exec_lo
	s_waitcnt_vscnt null, 0x0
	s_barrier
	buffer_gl0_inv
	v_cmpx_eq_u32_e32 53, v0
	s_cbranch_execz .LBB115_485
; %bb.479:
	ds_write2_b64 v255, v[17:18], v[19:20] offset1:1
	ds_write2_b64 v253, v[13:14], v[15:16] offset0:108 offset1:109
	ds_write2_b64 v253, v[9:10], v[11:12] offset0:110 offset1:111
	ds_write2_b64 v253, v[5:6], v[7:8] offset0:112 offset1:113
	ds_write2_b64 v253, v[1:2], v[3:4] offset0:114 offset1:115
	ds_read2_b64 v[213:216], v255 offset1:1
	s_waitcnt lgkmcnt(0)
	v_cmp_neq_f64_e32 vcc_lo, 0, v[213:214]
	v_cmp_neq_f64_e64 s1, 0, v[215:216]
	s_or_b32 s1, vcc_lo, s1
	s_and_b32 exec_lo, exec_lo, s1
	s_cbranch_execz .LBB115_485
; %bb.480:
	v_cmp_ngt_f64_e64 s1, |v[213:214]|, |v[215:216]|
                                        ; implicit-def: $vgpr217_vgpr218
	s_and_saveexec_b32 s3, s1
	s_xor_b32 s1, exec_lo, s3
                                        ; implicit-def: $vgpr219_vgpr220
	s_cbranch_execz .LBB115_482
; %bb.481:
	v_div_scale_f64 v[217:218], null, v[215:216], v[215:216], v[213:214]
	v_mov_b32_e32 v193, v221
	v_mov_b32_e32 v194, v222
	;; [unrolled: 1-line block ×4, first 2 shown]
	v_div_scale_f64 v[223:224], vcc_lo, v[213:214], v[215:216], v[213:214]
	v_rcp_f64_e32 v[219:220], v[217:218]
	v_fma_f64 v[221:222], -v[217:218], v[219:220], 1.0
	v_fma_f64 v[219:220], v[219:220], v[221:222], v[219:220]
	v_fma_f64 v[221:222], -v[217:218], v[219:220], 1.0
	v_fma_f64 v[219:220], v[219:220], v[221:222], v[219:220]
	v_mul_f64 v[221:222], v[223:224], v[219:220]
	v_fma_f64 v[217:218], -v[217:218], v[221:222], v[223:224]
	v_div_fmas_f64 v[217:218], v[217:218], v[219:220], v[221:222]
	v_div_fixup_f64 v[217:218], v[217:218], v[215:216], v[213:214]
	v_fma_f64 v[213:214], v[213:214], v[217:218], v[215:216]
	v_div_scale_f64 v[215:216], null, v[213:214], v[213:214], 1.0
	v_rcp_f64_e32 v[219:220], v[215:216]
	v_fma_f64 v[221:222], -v[215:216], v[219:220], 1.0
	v_fma_f64 v[219:220], v[219:220], v[221:222], v[219:220]
	v_fma_f64 v[221:222], -v[215:216], v[219:220], 1.0
	v_fma_f64 v[219:220], v[219:220], v[221:222], v[219:220]
	v_div_scale_f64 v[221:222], vcc_lo, 1.0, v[213:214], 1.0
	v_mul_f64 v[223:224], v[221:222], v[219:220]
	v_fma_f64 v[215:216], -v[215:216], v[223:224], v[221:222]
	v_div_fmas_f64 v[215:216], v[215:216], v[219:220], v[223:224]
	v_mov_b32_e32 v224, v196
	v_mov_b32_e32 v223, v195
	;; [unrolled: 1-line block ×4, first 2 shown]
	v_div_fixup_f64 v[219:220], v[215:216], v[213:214], 1.0
                                        ; implicit-def: $vgpr213_vgpr214
	v_mul_f64 v[217:218], v[217:218], v[219:220]
	v_xor_b32_e32 v220, 0x80000000, v220
.LBB115_482:
	s_andn2_saveexec_b32 s1, s1
	s_cbranch_execz .LBB115_484
; %bb.483:
	v_div_scale_f64 v[217:218], null, v[213:214], v[213:214], v[215:216]
	v_mov_b32_e32 v193, v221
	v_mov_b32_e32 v194, v222
	;; [unrolled: 1-line block ×4, first 2 shown]
	v_div_scale_f64 v[223:224], vcc_lo, v[215:216], v[213:214], v[215:216]
	v_rcp_f64_e32 v[219:220], v[217:218]
	v_fma_f64 v[221:222], -v[217:218], v[219:220], 1.0
	v_fma_f64 v[219:220], v[219:220], v[221:222], v[219:220]
	v_fma_f64 v[221:222], -v[217:218], v[219:220], 1.0
	v_fma_f64 v[219:220], v[219:220], v[221:222], v[219:220]
	v_mul_f64 v[221:222], v[223:224], v[219:220]
	v_fma_f64 v[217:218], -v[217:218], v[221:222], v[223:224]
	v_div_fmas_f64 v[217:218], v[217:218], v[219:220], v[221:222]
	v_div_fixup_f64 v[219:220], v[217:218], v[213:214], v[215:216]
	v_fma_f64 v[213:214], v[215:216], v[219:220], v[213:214]
	v_div_scale_f64 v[215:216], null, v[213:214], v[213:214], 1.0
	v_rcp_f64_e32 v[217:218], v[215:216]
	v_fma_f64 v[221:222], -v[215:216], v[217:218], 1.0
	v_fma_f64 v[217:218], v[217:218], v[221:222], v[217:218]
	v_fma_f64 v[221:222], -v[215:216], v[217:218], 1.0
	v_fma_f64 v[217:218], v[217:218], v[221:222], v[217:218]
	v_div_scale_f64 v[221:222], vcc_lo, 1.0, v[213:214], 1.0
	v_mul_f64 v[223:224], v[221:222], v[217:218]
	v_fma_f64 v[215:216], -v[215:216], v[223:224], v[221:222]
	v_div_fmas_f64 v[215:216], v[215:216], v[217:218], v[223:224]
	v_mov_b32_e32 v224, v196
	v_mov_b32_e32 v223, v195
	;; [unrolled: 1-line block ×4, first 2 shown]
	v_div_fixup_f64 v[217:218], v[215:216], v[213:214], 1.0
	v_mul_f64 v[219:220], v[219:220], -v[217:218]
.LBB115_484:
	s_or_b32 exec_lo, exec_lo, s1
	ds_write2_b64 v255, v[217:218], v[219:220] offset1:1
.LBB115_485:
	s_or_b32 exec_lo, exec_lo, s2
	s_waitcnt lgkmcnt(0)
	s_barrier
	buffer_gl0_inv
	ds_read2_b64 v[193:196], v255 offset1:1
	s_mov_b32 s1, exec_lo
	s_waitcnt lgkmcnt(0)
	buffer_store_dword v193, off, s[16:19], 0 offset:1320 ; 4-byte Folded Spill
	buffer_store_dword v194, off, s[16:19], 0 offset:1324 ; 4-byte Folded Spill
	;; [unrolled: 1-line block ×4, first 2 shown]
	v_cmpx_lt_u32_e32 53, v0
	s_cbranch_execz .LBB115_487
; %bb.486:
	s_clause 0x3
	buffer_load_dword v193, off, s[16:19], 0 offset:1320
	buffer_load_dword v194, off, s[16:19], 0 offset:1324
	;; [unrolled: 1-line block ×4, first 2 shown]
	s_waitcnt vmcnt(2)
	v_mul_f64 v[213:214], v[193:194], v[19:20]
	s_waitcnt vmcnt(0)
	v_mul_f64 v[19:20], v[195:196], v[19:20]
	v_fma_f64 v[217:218], v[195:196], v[17:18], v[213:214]
	ds_read2_b64 v[213:216], v253 offset0:108 offset1:109
	v_fma_f64 v[17:18], v[193:194], v[17:18], -v[19:20]
	s_waitcnt lgkmcnt(0)
	v_mul_f64 v[19:20], v[215:216], v[217:218]
	v_fma_f64 v[19:20], v[213:214], v[17:18], -v[19:20]
	v_mul_f64 v[213:214], v[213:214], v[217:218]
	v_add_f64 v[13:14], v[13:14], -v[19:20]
	v_fma_f64 v[213:214], v[215:216], v[17:18], v[213:214]
	v_add_f64 v[15:16], v[15:16], -v[213:214]
	ds_read2_b64 v[213:216], v253 offset0:110 offset1:111
	s_waitcnt lgkmcnt(0)
	v_mul_f64 v[19:20], v[215:216], v[217:218]
	v_fma_f64 v[19:20], v[213:214], v[17:18], -v[19:20]
	v_mul_f64 v[213:214], v[213:214], v[217:218]
	v_add_f64 v[9:10], v[9:10], -v[19:20]
	v_fma_f64 v[213:214], v[215:216], v[17:18], v[213:214]
	v_add_f64 v[11:12], v[11:12], -v[213:214]
	ds_read2_b64 v[213:216], v253 offset0:112 offset1:113
	;; [unrolled: 8-line block ×3, first 2 shown]
	s_waitcnt lgkmcnt(0)
	v_mul_f64 v[19:20], v[215:216], v[217:218]
	v_fma_f64 v[19:20], v[213:214], v[17:18], -v[19:20]
	v_mul_f64 v[213:214], v[213:214], v[217:218]
	v_add_f64 v[1:2], v[1:2], -v[19:20]
	v_fma_f64 v[213:214], v[215:216], v[17:18], v[213:214]
	v_mov_b32_e32 v19, v217
	v_mov_b32_e32 v20, v218
	v_add_f64 v[3:4], v[3:4], -v[213:214]
.LBB115_487:
	s_or_b32 exec_lo, exec_lo, s1
	s_mov_b32 s2, exec_lo
	s_waitcnt_vscnt null, 0x0
	s_barrier
	buffer_gl0_inv
	v_cmpx_eq_u32_e32 54, v0
	s_cbranch_execz .LBB115_494
; %bb.488:
	ds_write2_b64 v255, v[13:14], v[15:16] offset1:1
	ds_write2_b64 v253, v[9:10], v[11:12] offset0:110 offset1:111
	ds_write2_b64 v253, v[5:6], v[7:8] offset0:112 offset1:113
	;; [unrolled: 1-line block ×3, first 2 shown]
	ds_read2_b64 v[213:216], v255 offset1:1
	s_waitcnt lgkmcnt(0)
	v_cmp_neq_f64_e32 vcc_lo, 0, v[213:214]
	v_cmp_neq_f64_e64 s1, 0, v[215:216]
	s_or_b32 s1, vcc_lo, s1
	s_and_b32 exec_lo, exec_lo, s1
	s_cbranch_execz .LBB115_494
; %bb.489:
	v_cmp_ngt_f64_e64 s1, |v[213:214]|, |v[215:216]|
                                        ; implicit-def: $vgpr217_vgpr218
	s_and_saveexec_b32 s3, s1
	s_xor_b32 s1, exec_lo, s3
                                        ; implicit-def: $vgpr219_vgpr220
	s_cbranch_execz .LBB115_491
; %bb.490:
	v_div_scale_f64 v[217:218], null, v[215:216], v[215:216], v[213:214]
	v_mov_b32_e32 v193, v221
	v_mov_b32_e32 v194, v222
	;; [unrolled: 1-line block ×4, first 2 shown]
	v_div_scale_f64 v[223:224], vcc_lo, v[213:214], v[215:216], v[213:214]
	v_rcp_f64_e32 v[219:220], v[217:218]
	v_fma_f64 v[221:222], -v[217:218], v[219:220], 1.0
	v_fma_f64 v[219:220], v[219:220], v[221:222], v[219:220]
	v_fma_f64 v[221:222], -v[217:218], v[219:220], 1.0
	v_fma_f64 v[219:220], v[219:220], v[221:222], v[219:220]
	v_mul_f64 v[221:222], v[223:224], v[219:220]
	v_fma_f64 v[217:218], -v[217:218], v[221:222], v[223:224]
	v_div_fmas_f64 v[217:218], v[217:218], v[219:220], v[221:222]
	v_div_fixup_f64 v[217:218], v[217:218], v[215:216], v[213:214]
	v_fma_f64 v[213:214], v[213:214], v[217:218], v[215:216]
	v_div_scale_f64 v[215:216], null, v[213:214], v[213:214], 1.0
	v_rcp_f64_e32 v[219:220], v[215:216]
	v_fma_f64 v[221:222], -v[215:216], v[219:220], 1.0
	v_fma_f64 v[219:220], v[219:220], v[221:222], v[219:220]
	v_fma_f64 v[221:222], -v[215:216], v[219:220], 1.0
	v_fma_f64 v[219:220], v[219:220], v[221:222], v[219:220]
	v_div_scale_f64 v[221:222], vcc_lo, 1.0, v[213:214], 1.0
	v_mul_f64 v[223:224], v[221:222], v[219:220]
	v_fma_f64 v[215:216], -v[215:216], v[223:224], v[221:222]
	v_div_fmas_f64 v[215:216], v[215:216], v[219:220], v[223:224]
	v_mov_b32_e32 v224, v196
	v_mov_b32_e32 v223, v195
	;; [unrolled: 1-line block ×4, first 2 shown]
	v_div_fixup_f64 v[219:220], v[215:216], v[213:214], 1.0
                                        ; implicit-def: $vgpr213_vgpr214
	v_mul_f64 v[217:218], v[217:218], v[219:220]
	v_xor_b32_e32 v220, 0x80000000, v220
.LBB115_491:
	s_andn2_saveexec_b32 s1, s1
	s_cbranch_execz .LBB115_493
; %bb.492:
	v_div_scale_f64 v[217:218], null, v[213:214], v[213:214], v[215:216]
	v_mov_b32_e32 v193, v221
	v_mov_b32_e32 v194, v222
	;; [unrolled: 1-line block ×4, first 2 shown]
	v_div_scale_f64 v[223:224], vcc_lo, v[215:216], v[213:214], v[215:216]
	v_rcp_f64_e32 v[219:220], v[217:218]
	v_fma_f64 v[221:222], -v[217:218], v[219:220], 1.0
	v_fma_f64 v[219:220], v[219:220], v[221:222], v[219:220]
	v_fma_f64 v[221:222], -v[217:218], v[219:220], 1.0
	v_fma_f64 v[219:220], v[219:220], v[221:222], v[219:220]
	v_mul_f64 v[221:222], v[223:224], v[219:220]
	v_fma_f64 v[217:218], -v[217:218], v[221:222], v[223:224]
	v_div_fmas_f64 v[217:218], v[217:218], v[219:220], v[221:222]
	v_div_fixup_f64 v[219:220], v[217:218], v[213:214], v[215:216]
	v_fma_f64 v[213:214], v[215:216], v[219:220], v[213:214]
	v_div_scale_f64 v[215:216], null, v[213:214], v[213:214], 1.0
	v_rcp_f64_e32 v[217:218], v[215:216]
	v_fma_f64 v[221:222], -v[215:216], v[217:218], 1.0
	v_fma_f64 v[217:218], v[217:218], v[221:222], v[217:218]
	v_fma_f64 v[221:222], -v[215:216], v[217:218], 1.0
	v_fma_f64 v[217:218], v[217:218], v[221:222], v[217:218]
	v_div_scale_f64 v[221:222], vcc_lo, 1.0, v[213:214], 1.0
	v_mul_f64 v[223:224], v[221:222], v[217:218]
	v_fma_f64 v[215:216], -v[215:216], v[223:224], v[221:222]
	v_div_fmas_f64 v[215:216], v[215:216], v[217:218], v[223:224]
	v_mov_b32_e32 v224, v196
	v_mov_b32_e32 v223, v195
	v_mov_b32_e32 v222, v194
	v_mov_b32_e32 v221, v193
	v_div_fixup_f64 v[217:218], v[215:216], v[213:214], 1.0
	v_mul_f64 v[219:220], v[219:220], -v[217:218]
.LBB115_493:
	s_or_b32 exec_lo, exec_lo, s1
	ds_write2_b64 v255, v[217:218], v[219:220] offset1:1
.LBB115_494:
	s_or_b32 exec_lo, exec_lo, s2
	s_waitcnt lgkmcnt(0)
	s_barrier
	buffer_gl0_inv
	ds_read2_b64 v[193:196], v255 offset1:1
	s_mov_b32 s1, exec_lo
	s_waitcnt lgkmcnt(0)
	buffer_store_dword v193, off, s[16:19], 0 offset:1336 ; 4-byte Folded Spill
	buffer_store_dword v194, off, s[16:19], 0 offset:1340 ; 4-byte Folded Spill
	;; [unrolled: 1-line block ×4, first 2 shown]
	v_cmpx_lt_u32_e32 54, v0
	s_cbranch_execz .LBB115_496
; %bb.495:
	s_clause 0x3
	buffer_load_dword v193, off, s[16:19], 0 offset:1336
	buffer_load_dword v194, off, s[16:19], 0 offset:1340
	;; [unrolled: 1-line block ×4, first 2 shown]
	s_waitcnt vmcnt(2)
	v_mul_f64 v[213:214], v[193:194], v[15:16]
	s_waitcnt vmcnt(0)
	v_mul_f64 v[15:16], v[195:196], v[15:16]
	v_fma_f64 v[217:218], v[195:196], v[13:14], v[213:214]
	ds_read2_b64 v[213:216], v253 offset0:110 offset1:111
	v_fma_f64 v[13:14], v[193:194], v[13:14], -v[15:16]
	s_waitcnt lgkmcnt(0)
	v_mul_f64 v[15:16], v[215:216], v[217:218]
	v_fma_f64 v[15:16], v[213:214], v[13:14], -v[15:16]
	v_mul_f64 v[213:214], v[213:214], v[217:218]
	v_add_f64 v[9:10], v[9:10], -v[15:16]
	v_fma_f64 v[213:214], v[215:216], v[13:14], v[213:214]
	v_add_f64 v[11:12], v[11:12], -v[213:214]
	ds_read2_b64 v[213:216], v253 offset0:112 offset1:113
	s_waitcnt lgkmcnt(0)
	v_mul_f64 v[15:16], v[215:216], v[217:218]
	v_fma_f64 v[15:16], v[213:214], v[13:14], -v[15:16]
	v_mul_f64 v[213:214], v[213:214], v[217:218]
	v_add_f64 v[5:6], v[5:6], -v[15:16]
	v_fma_f64 v[213:214], v[215:216], v[13:14], v[213:214]
	v_add_f64 v[7:8], v[7:8], -v[213:214]
	ds_read2_b64 v[213:216], v253 offset0:114 offset1:115
	s_waitcnt lgkmcnt(0)
	v_mul_f64 v[15:16], v[215:216], v[217:218]
	v_fma_f64 v[15:16], v[213:214], v[13:14], -v[15:16]
	v_mul_f64 v[213:214], v[213:214], v[217:218]
	v_add_f64 v[1:2], v[1:2], -v[15:16]
	v_fma_f64 v[213:214], v[215:216], v[13:14], v[213:214]
	v_mov_b32_e32 v15, v217
	v_mov_b32_e32 v16, v218
	v_add_f64 v[3:4], v[3:4], -v[213:214]
.LBB115_496:
	s_or_b32 exec_lo, exec_lo, s1
	s_mov_b32 s2, exec_lo
	s_waitcnt_vscnt null, 0x0
	s_barrier
	buffer_gl0_inv
	v_cmpx_eq_u32_e32 55, v0
	s_cbranch_execz .LBB115_503
; %bb.497:
	ds_write2_b64 v255, v[9:10], v[11:12] offset1:1
	ds_write2_b64 v253, v[5:6], v[7:8] offset0:112 offset1:113
	ds_write2_b64 v253, v[1:2], v[3:4] offset0:114 offset1:115
	ds_read2_b64 v[213:216], v255 offset1:1
	s_waitcnt lgkmcnt(0)
	v_cmp_neq_f64_e32 vcc_lo, 0, v[213:214]
	v_cmp_neq_f64_e64 s1, 0, v[215:216]
	s_or_b32 s1, vcc_lo, s1
	s_and_b32 exec_lo, exec_lo, s1
	s_cbranch_execz .LBB115_503
; %bb.498:
	v_cmp_ngt_f64_e64 s1, |v[213:214]|, |v[215:216]|
                                        ; implicit-def: $vgpr217_vgpr218
	s_and_saveexec_b32 s3, s1
	s_xor_b32 s1, exec_lo, s3
                                        ; implicit-def: $vgpr219_vgpr220
	s_cbranch_execz .LBB115_500
; %bb.499:
	v_div_scale_f64 v[217:218], null, v[215:216], v[215:216], v[213:214]
	v_div_scale_f64 v[243:244], vcc_lo, v[213:214], v[215:216], v[213:214]
	v_rcp_f64_e32 v[219:220], v[217:218]
	v_fma_f64 v[241:242], -v[217:218], v[219:220], 1.0
	v_fma_f64 v[219:220], v[219:220], v[241:242], v[219:220]
	v_fma_f64 v[241:242], -v[217:218], v[219:220], 1.0
	v_fma_f64 v[219:220], v[219:220], v[241:242], v[219:220]
	v_mul_f64 v[241:242], v[243:244], v[219:220]
	v_fma_f64 v[217:218], -v[217:218], v[241:242], v[243:244]
	v_div_fmas_f64 v[217:218], v[217:218], v[219:220], v[241:242]
	v_div_fixup_f64 v[217:218], v[217:218], v[215:216], v[213:214]
	v_fma_f64 v[213:214], v[213:214], v[217:218], v[215:216]
	v_div_scale_f64 v[215:216], null, v[213:214], v[213:214], 1.0
	v_rcp_f64_e32 v[219:220], v[215:216]
	v_fma_f64 v[241:242], -v[215:216], v[219:220], 1.0
	v_fma_f64 v[219:220], v[219:220], v[241:242], v[219:220]
	v_fma_f64 v[241:242], -v[215:216], v[219:220], 1.0
	v_fma_f64 v[219:220], v[219:220], v[241:242], v[219:220]
	v_div_scale_f64 v[241:242], vcc_lo, 1.0, v[213:214], 1.0
	v_mul_f64 v[243:244], v[241:242], v[219:220]
	v_fma_f64 v[215:216], -v[215:216], v[243:244], v[241:242]
	v_div_fmas_f64 v[215:216], v[215:216], v[219:220], v[243:244]
	v_div_fixup_f64 v[219:220], v[215:216], v[213:214], 1.0
                                        ; implicit-def: $vgpr213_vgpr214
	v_mul_f64 v[217:218], v[217:218], v[219:220]
	v_xor_b32_e32 v220, 0x80000000, v220
.LBB115_500:
	s_andn2_saveexec_b32 s1, s1
	s_cbranch_execz .LBB115_502
; %bb.501:
	v_div_scale_f64 v[217:218], null, v[213:214], v[213:214], v[215:216]
	v_div_scale_f64 v[243:244], vcc_lo, v[215:216], v[213:214], v[215:216]
	v_rcp_f64_e32 v[219:220], v[217:218]
	v_fma_f64 v[241:242], -v[217:218], v[219:220], 1.0
	v_fma_f64 v[219:220], v[219:220], v[241:242], v[219:220]
	v_fma_f64 v[241:242], -v[217:218], v[219:220], 1.0
	v_fma_f64 v[219:220], v[219:220], v[241:242], v[219:220]
	v_mul_f64 v[241:242], v[243:244], v[219:220]
	v_fma_f64 v[217:218], -v[217:218], v[241:242], v[243:244]
	v_div_fmas_f64 v[217:218], v[217:218], v[219:220], v[241:242]
	v_div_fixup_f64 v[219:220], v[217:218], v[213:214], v[215:216]
	v_fma_f64 v[213:214], v[215:216], v[219:220], v[213:214]
	v_div_scale_f64 v[215:216], null, v[213:214], v[213:214], 1.0
	v_rcp_f64_e32 v[217:218], v[215:216]
	v_fma_f64 v[241:242], -v[215:216], v[217:218], 1.0
	v_fma_f64 v[217:218], v[217:218], v[241:242], v[217:218]
	v_fma_f64 v[241:242], -v[215:216], v[217:218], 1.0
	v_fma_f64 v[217:218], v[217:218], v[241:242], v[217:218]
	v_div_scale_f64 v[241:242], vcc_lo, 1.0, v[213:214], 1.0
	v_mul_f64 v[243:244], v[241:242], v[217:218]
	v_fma_f64 v[215:216], -v[215:216], v[243:244], v[241:242]
	v_div_fmas_f64 v[215:216], v[215:216], v[217:218], v[243:244]
	v_div_fixup_f64 v[217:218], v[215:216], v[213:214], 1.0
	v_mul_f64 v[219:220], v[219:220], -v[217:218]
.LBB115_502:
	s_or_b32 exec_lo, exec_lo, s1
	ds_write2_b64 v255, v[217:218], v[219:220] offset1:1
.LBB115_503:
	s_or_b32 exec_lo, exec_lo, s2
	s_waitcnt lgkmcnt(0)
	s_barrier
	buffer_gl0_inv
	ds_read2_b64 v[217:220], v255 offset1:1
	s_mov_b32 s1, exec_lo
	v_cmpx_lt_u32_e32 55, v0
	s_cbranch_execz .LBB115_505
; %bb.504:
	s_waitcnt lgkmcnt(0)
	v_mul_f64 v[213:214], v[217:218], v[11:12]
	v_mul_f64 v[11:12], v[219:220], v[11:12]
	v_fma_f64 v[241:242], v[219:220], v[9:10], v[213:214]
	ds_read2_b64 v[213:216], v253 offset0:112 offset1:113
	v_fma_f64 v[9:10], v[217:218], v[9:10], -v[11:12]
	s_waitcnt lgkmcnt(0)
	v_mul_f64 v[11:12], v[215:216], v[241:242]
	v_fma_f64 v[11:12], v[213:214], v[9:10], -v[11:12]
	v_mul_f64 v[213:214], v[213:214], v[241:242]
	v_add_f64 v[5:6], v[5:6], -v[11:12]
	v_fma_f64 v[213:214], v[215:216], v[9:10], v[213:214]
	v_add_f64 v[7:8], v[7:8], -v[213:214]
	ds_read2_b64 v[213:216], v253 offset0:114 offset1:115
	s_waitcnt lgkmcnt(0)
	v_mul_f64 v[11:12], v[215:216], v[241:242]
	v_fma_f64 v[11:12], v[213:214], v[9:10], -v[11:12]
	v_mul_f64 v[213:214], v[213:214], v[241:242]
	v_add_f64 v[1:2], v[1:2], -v[11:12]
	v_fma_f64 v[213:214], v[215:216], v[9:10], v[213:214]
	v_mov_b32_e32 v11, v241
	v_mov_b32_e32 v12, v242
	v_add_f64 v[3:4], v[3:4], -v[213:214]
.LBB115_505:
	s_or_b32 exec_lo, exec_lo, s1
	s_mov_b32 s2, exec_lo
	s_waitcnt lgkmcnt(0)
	s_barrier
	buffer_gl0_inv
	v_cmpx_eq_u32_e32 56, v0
	s_cbranch_execz .LBB115_512
; %bb.506:
	ds_write2_b64 v255, v[5:6], v[7:8] offset1:1
	ds_write2_b64 v253, v[1:2], v[3:4] offset0:114 offset1:115
	ds_read2_b64 v[213:216], v255 offset1:1
	s_waitcnt lgkmcnt(0)
	v_cmp_neq_f64_e32 vcc_lo, 0, v[213:214]
	v_cmp_neq_f64_e64 s1, 0, v[215:216]
	s_or_b32 s1, vcc_lo, s1
	s_and_b32 exec_lo, exec_lo, s1
	s_cbranch_execz .LBB115_512
; %bb.507:
	v_cmp_ngt_f64_e64 s1, |v[213:214]|, |v[215:216]|
                                        ; implicit-def: $vgpr241_vgpr242
	s_and_saveexec_b32 s3, s1
	s_xor_b32 s1, exec_lo, s3
                                        ; implicit-def: $vgpr243_vgpr244
	s_cbranch_execz .LBB115_509
; %bb.508:
	v_div_scale_f64 v[241:242], null, v[215:216], v[215:216], v[213:214]
	v_mov_b32_e32 v196, v192
	v_mov_b32_e32 v195, v191
	;; [unrolled: 1-line block ×8, first 2 shown]
	v_rcp_f64_e32 v[243:244], v[241:242]
	v_fma_f64 v[209:210], -v[241:242], v[243:244], 1.0
	v_fma_f64 v[209:210], v[243:244], v[209:210], v[243:244]
	v_div_scale_f64 v[243:244], vcc_lo, v[213:214], v[215:216], v[213:214]
	v_fma_f64 v[211:212], -v[241:242], v[209:210], 1.0
	v_fma_f64 v[209:210], v[209:210], v[211:212], v[209:210]
	v_mul_f64 v[211:212], v[243:244], v[209:210]
	v_fma_f64 v[241:242], -v[241:242], v[211:212], v[243:244]
	v_div_fmas_f64 v[209:210], v[241:242], v[209:210], v[211:212]
	v_div_fixup_f64 v[209:210], v[209:210], v[215:216], v[213:214]
	v_fma_f64 v[211:212], v[213:214], v[209:210], v[215:216]
	v_div_scale_f64 v[213:214], null, v[211:212], v[211:212], 1.0
	v_rcp_f64_e32 v[215:216], v[213:214]
	v_fma_f64 v[241:242], -v[213:214], v[215:216], 1.0
	v_fma_f64 v[215:216], v[215:216], v[241:242], v[215:216]
	v_fma_f64 v[241:242], -v[213:214], v[215:216], 1.0
	v_fma_f64 v[215:216], v[215:216], v[241:242], v[215:216]
	v_div_scale_f64 v[241:242], vcc_lo, 1.0, v[211:212], 1.0
	v_mul_f64 v[243:244], v[241:242], v[215:216]
	v_fma_f64 v[213:214], -v[213:214], v[243:244], v[241:242]
	v_div_fmas_f64 v[213:214], v[213:214], v[215:216], v[243:244]
	v_div_fixup_f64 v[243:244], v[213:214], v[211:212], 1.0
                                        ; implicit-def: $vgpr213_vgpr214
	v_mul_f64 v[241:242], v[209:210], v[243:244]
	v_mov_b32_e32 v212, v192
	v_mov_b32_e32 v211, v191
	;; [unrolled: 1-line block ×8, first 2 shown]
	v_xor_b32_e32 v244, 0x80000000, v244
.LBB115_509:
	s_andn2_saveexec_b32 s1, s1
	s_cbranch_execz .LBB115_511
; %bb.510:
	v_mov_b32_e32 v196, v192
	v_mov_b32_e32 v195, v191
	;; [unrolled: 1-line block ×8, first 2 shown]
	v_div_scale_f64 v[209:210], null, v[213:214], v[213:214], v[215:216]
	v_div_scale_f64 v[243:244], vcc_lo, v[215:216], v[213:214], v[215:216]
	v_rcp_f64_e32 v[211:212], v[209:210]
	v_fma_f64 v[241:242], -v[209:210], v[211:212], 1.0
	v_fma_f64 v[211:212], v[211:212], v[241:242], v[211:212]
	v_fma_f64 v[241:242], -v[209:210], v[211:212], 1.0
	v_fma_f64 v[211:212], v[211:212], v[241:242], v[211:212]
	v_mul_f64 v[241:242], v[243:244], v[211:212]
	v_fma_f64 v[209:210], -v[209:210], v[241:242], v[243:244]
	v_div_fmas_f64 v[209:210], v[209:210], v[211:212], v[241:242]
	v_div_fixup_f64 v[209:210], v[209:210], v[213:214], v[215:216]
	v_fma_f64 v[211:212], v[215:216], v[209:210], v[213:214]
	v_div_scale_f64 v[213:214], null, v[211:212], v[211:212], 1.0
	v_rcp_f64_e32 v[215:216], v[213:214]
	v_fma_f64 v[241:242], -v[213:214], v[215:216], 1.0
	v_fma_f64 v[215:216], v[215:216], v[241:242], v[215:216]
	v_fma_f64 v[241:242], -v[213:214], v[215:216], 1.0
	v_fma_f64 v[215:216], v[215:216], v[241:242], v[215:216]
	v_div_scale_f64 v[241:242], vcc_lo, 1.0, v[211:212], 1.0
	v_mul_f64 v[243:244], v[241:242], v[215:216]
	v_fma_f64 v[213:214], -v[213:214], v[243:244], v[241:242]
	v_div_fmas_f64 v[213:214], v[213:214], v[215:216], v[243:244]
	v_div_fixup_f64 v[241:242], v[213:214], v[211:212], 1.0
	v_mul_f64 v[243:244], v[209:210], -v[241:242]
	v_mov_b32_e32 v212, v192
	v_mov_b32_e32 v211, v191
	;; [unrolled: 1-line block ×8, first 2 shown]
.LBB115_511:
	s_or_b32 exec_lo, exec_lo, s1
	ds_write2_b64 v255, v[241:242], v[243:244] offset1:1
.LBB115_512:
	s_or_b32 exec_lo, exec_lo, s2
	s_waitcnt lgkmcnt(0)
	s_barrier
	buffer_gl0_inv
	ds_read2_b64 v[241:244], v255 offset1:1
	s_mov_b32 s1, exec_lo
	v_cmpx_lt_u32_e32 56, v0
	s_cbranch_execz .LBB115_514
; %bb.513:
	v_mov_b32_e32 v193, v209
	v_mov_b32_e32 v194, v210
	;; [unrolled: 1-line block ×4, first 2 shown]
	s_waitcnt lgkmcnt(0)
	v_mul_f64 v[209:210], v[241:242], v[7:8]
	v_mul_f64 v[7:8], v[243:244], v[7:8]
	ds_read2_b64 v[213:216], v253 offset0:114 offset1:115
	v_fma_f64 v[209:210], v[243:244], v[5:6], v[209:210]
	v_fma_f64 v[5:6], v[241:242], v[5:6], -v[7:8]
	s_waitcnt lgkmcnt(0)
	v_mul_f64 v[7:8], v[215:216], v[209:210]
	v_mul_f64 v[211:212], v[213:214], v[209:210]
	v_fma_f64 v[7:8], v[213:214], v[5:6], -v[7:8]
	v_fma_f64 v[211:212], v[215:216], v[5:6], v[211:212]
	v_add_f64 v[1:2], v[1:2], -v[7:8]
	v_add_f64 v[3:4], v[3:4], -v[211:212]
	v_mov_b32_e32 v7, v209
	v_mov_b32_e32 v8, v210
	v_mov_b32_e32 v212, v196
	v_mov_b32_e32 v211, v195
	v_mov_b32_e32 v210, v194
	v_mov_b32_e32 v209, v193
.LBB115_514:
	s_or_b32 exec_lo, exec_lo, s1
	s_mov_b32 s2, exec_lo
	s_waitcnt lgkmcnt(0)
	s_barrier
	buffer_gl0_inv
	v_cmpx_eq_u32_e32 57, v0
	s_cbranch_execz .LBB115_521
; %bb.515:
	v_cmp_neq_f64_e32 vcc_lo, 0, v[1:2]
	v_cmp_neq_f64_e64 s1, 0, v[3:4]
	ds_write2_b64 v255, v[1:2], v[3:4] offset1:1
	s_or_b32 s1, vcc_lo, s1
	s_and_b32 exec_lo, exec_lo, s1
	s_cbranch_execz .LBB115_521
; %bb.516:
	v_cmp_ngt_f64_e64 s1, |v[1:2]|, |v[3:4]|
                                        ; implicit-def: $vgpr213_vgpr214
	s_and_saveexec_b32 s3, s1
	s_xor_b32 s1, exec_lo, s3
                                        ; implicit-def: $vgpr215_vgpr216
	s_cbranch_execz .LBB115_518
; %bb.517:
	v_mov_b32_e32 v198, v12
	v_mov_b32_e32 v197, v11
	;; [unrolled: 1-line block ×204, first 2 shown]
	v_div_scale_f64 v[209:210], null, v[3:4], v[3:4], v[1:2]
	v_div_scale_f64 v[215:216], vcc_lo, v[1:2], v[3:4], v[1:2]
	buffer_store_dword v225, off, s[16:19], 0 offset:1352 ; 4-byte Folded Spill
	buffer_store_dword v226, off, s[16:19], 0 offset:1356 ; 4-byte Folded Spill
	;; [unrolled: 1-line block ×4, first 2 shown]
	v_mov_b32_e32 v225, v229
	v_mov_b32_e32 v226, v230
	;; [unrolled: 1-line block ×17, first 2 shown]
	v_rcp_f64_e32 v[211:212], v[209:210]
	v_mov_b32_e32 v202, v208
	v_fma_f64 v[213:214], -v[209:210], v[211:212], 1.0
	v_fma_f64 v[211:212], v[211:212], v[213:214], v[211:212]
	v_fma_f64 v[213:214], -v[209:210], v[211:212], 1.0
	v_fma_f64 v[211:212], v[211:212], v[213:214], v[211:212]
	v_mul_f64 v[213:214], v[215:216], v[211:212]
	v_fma_f64 v[209:210], -v[209:210], v[213:214], v[215:216]
	v_div_fmas_f64 v[209:210], v[209:210], v[211:212], v[213:214]
	v_div_fixup_f64 v[209:210], v[209:210], v[3:4], v[1:2]
	v_fma_f64 v[211:212], v[1:2], v[209:210], v[3:4]
	v_div_scale_f64 v[213:214], null, v[211:212], v[211:212], 1.0
	v_rcp_f64_e32 v[215:216], v[213:214]
	v_fma_f64 v[253:254], -v[213:214], v[215:216], 1.0
	v_fma_f64 v[215:216], v[215:216], v[253:254], v[215:216]
	v_fma_f64 v[253:254], -v[213:214], v[215:216], 1.0
	v_fma_f64 v[215:216], v[215:216], v[253:254], v[215:216]
	v_div_scale_f64 v[253:254], vcc_lo, 1.0, v[211:212], 1.0
	v_mul_f64 v[205:206], v[253:254], v[215:216]
	v_fma_f64 v[207:208], -v[213:214], v[205:206], v[253:254]
	v_div_fmas_f64 v[205:206], v[207:208], v[215:216], v[205:206]
	v_mov_b32_e32 v208, v202
	v_mov_b32_e32 v207, v201
	;; [unrolled: 1-line block ×18, first 2 shown]
	s_clause 0x3
	buffer_load_dword v225, off, s[16:19], 0 offset:1352
	buffer_load_dword v226, off, s[16:19], 0 offset:1356
	;; [unrolled: 1-line block ×4, first 2 shown]
	v_div_fixup_f64 v[215:216], v[205:206], v[211:212], 1.0
	v_mul_f64 v[213:214], v[209:210], v[215:216]
	v_mov_b32_e32 v212, v192
	v_mov_b32_e32 v211, v191
	v_mov_b32_e32 v210, v190
	v_mov_b32_e32 v209, v189
	v_mov_b32_e32 v189, v245
	v_mov_b32_e32 v190, v246
	v_mov_b32_e32 v191, v247
	v_mov_b32_e32 v192, v248
	v_mov_b32_e32 v248, v188
	v_mov_b32_e32 v247, v187
	v_mov_b32_e32 v246, v186
	v_mov_b32_e32 v245, v185
	v_mov_b32_e32 v188, v184
	v_mov_b32_e32 v187, v183
	v_mov_b32_e32 v186, v182
	v_mov_b32_e32 v185, v181
	v_mov_b32_e32 v184, v180
	v_mov_b32_e32 v183, v179
	v_mov_b32_e32 v182, v178
	v_mov_b32_e32 v181, v177
	v_mov_b32_e32 v180, v176
	v_mov_b32_e32 v179, v175
	v_mov_b32_e32 v178, v174
	v_mov_b32_e32 v177, v173
	v_mov_b32_e32 v176, v172
	v_mov_b32_e32 v175, v171
	v_mov_b32_e32 v174, v170
	v_mov_b32_e32 v173, v169
	v_mov_b32_e32 v172, v168
	v_mov_b32_e32 v171, v167
	v_mov_b32_e32 v170, v166
	v_mov_b32_e32 v169, v165
	v_mov_b32_e32 v168, v164
	v_mov_b32_e32 v167, v163
	v_mov_b32_e32 v166, v162
	v_mov_b32_e32 v165, v161
	v_mov_b32_e32 v164, v160
	v_mov_b32_e32 v163, v159
	v_mov_b32_e32 v162, v158
	v_mov_b32_e32 v161, v157
	v_mov_b32_e32 v157, v249
	v_mov_b32_e32 v158, v250
	v_mov_b32_e32 v159, v251
	v_mov_b32_e32 v160, v252
	v_mov_b32_e32 v252, v156
	v_mov_b32_e32 v251, v155
	v_mov_b32_e32 v250, v154
	v_mov_b32_e32 v249, v153
	v_mov_b32_e32 v156, v152
	v_mov_b32_e32 v155, v151
	v_mov_b32_e32 v154, v150
	v_mov_b32_e32 v153, v149
	v_mov_b32_e32 v152, v148
	v_mov_b32_e32 v151, v147
	v_mov_b32_e32 v150, v146
	v_mov_b32_e32 v149, v145
	v_mov_b32_e32 v148, v144
	v_mov_b32_e32 v147, v143
	v_mov_b32_e32 v146, v142
	v_mov_b32_e32 v145, v141
	v_mov_b32_e32 v144, v140
	v_mov_b32_e32 v143, v139
	v_mov_b32_e32 v142, v138
	v_mov_b32_e32 v141, v137
	v_mov_b32_e32 v140, v136
	v_mov_b32_e32 v139, v135
	v_mov_b32_e32 v138, v134
	v_mov_b32_e32 v137, v133
	v_mov_b32_e32 v136, v132
	v_mov_b32_e32 v135, v131
	v_mov_b32_e32 v134, v130
	v_mov_b32_e32 v133, v129
	v_mov_b32_e32 v132, v128
	v_mov_b32_e32 v131, v127
	v_mov_b32_e32 v130, v126
	v_mov_b32_e32 v129, v125
	v_mov_b32_e32 v128, v124
	v_mov_b32_e32 v127, v123
	v_mov_b32_e32 v126, v122
	v_mov_b32_e32 v125, v121
	v_mov_b32_e32 v124, v120
	v_mov_b32_e32 v123, v119
	v_mov_b32_e32 v122, v118
	v_mov_b32_e32 v121, v117
	v_mov_b32_e32 v120, v116
	v_mov_b32_e32 v119, v115
	v_mov_b32_e32 v118, v114
	v_mov_b32_e32 v117, v113
	v_mov_b32_e32 v113, v233
	v_mov_b32_e32 v114, v234
	v_mov_b32_e32 v115, v235
	v_mov_b32_e32 v116, v236
	v_mov_b32_e32 v236, v112
	v_mov_b32_e32 v235, v111
	v_mov_b32_e32 v234, v110
	v_mov_b32_e32 v233, v109
	v_mov_b32_e32 v112, v108
	v_mov_b32_e32 v111, v107
	v_mov_b32_e32 v110, v106
	v_mov_b32_e32 v109, v105
	v_mov_b32_e32 v108, v104
	v_mov_b32_e32 v107, v103
	v_mov_b32_e32 v106, v102
	v_mov_b32_e32 v105, v101
	v_mov_b32_e32 v104, v100
	v_mov_b32_e32 v103, v99
	v_mov_b32_e32 v102, v98
	v_mov_b32_e32 v101, v97
	v_mov_b32_e32 v100, v96
	v_mov_b32_e32 v99, v95
	v_mov_b32_e32 v98, v94
	v_mov_b32_e32 v97, v93
	v_mov_b32_e32 v96, v92
	v_mov_b32_e32 v95, v91
	v_mov_b32_e32 v94, v90
	v_mov_b32_e32 v93, v89
	v_mov_b32_e32 v92, v88
	v_mov_b32_e32 v91, v87
	v_mov_b32_e32 v90, v86
	v_mov_b32_e32 v89, v85
	v_mov_b32_e32 v88, v84
	v_mov_b32_e32 v87, v83
	v_mov_b32_e32 v86, v82
	v_mov_b32_e32 v85, v81
	v_mov_b32_e32 v84, v80
	v_mov_b32_e32 v83, v79
	v_mov_b32_e32 v82, v78
	v_mov_b32_e32 v81, v77
	v_mov_b32_e32 v80, v76
	v_mov_b32_e32 v79, v75
	v_mov_b32_e32 v78, v74
	v_mov_b32_e32 v77, v73
	v_mov_b32_e32 v76, v72
	v_mov_b32_e32 v75, v71
	v_mov_b32_e32 v74, v70
	v_mov_b32_e32 v73, v69
	v_mov_b32_e32 v72, v68
	v_mov_b32_e32 v71, v67
	v_mov_b32_e32 v70, v66
	v_mov_b32_e32 v69, v65
	v_mov_b32_e32 v68, v64
	v_mov_b32_e32 v67, v63
	v_mov_b32_e32 v66, v62
	v_mov_b32_e32 v65, v61
	v_mov_b32_e32 v64, v60
	v_mov_b32_e32 v63, v59
	v_mov_b32_e32 v62, v58
	v_mov_b32_e32 v61, v57
	v_mov_b32_e32 v57, v237
	v_mov_b32_e32 v58, v238
	v_mov_b32_e32 v59, v239
	v_mov_b32_e32 v60, v240
	v_mov_b32_e32 v240, v56
	v_mov_b32_e32 v239, v55
	v_mov_b32_e32 v238, v54
	v_mov_b32_e32 v237, v53
	v_mov_b32_e32 v56, v52
	v_mov_b32_e32 v55, v51
	v_mov_b32_e32 v54, v50
	v_mov_b32_e32 v53, v49
	v_mov_b32_e32 v52, v48
	v_mov_b32_e32 v51, v47
	v_mov_b32_e32 v50, v46
	v_mov_b32_e32 v49, v45
	v_mov_b32_e32 v48, v44
	v_mov_b32_e32 v47, v43
	v_mov_b32_e32 v46, v42
	v_mov_b32_e32 v45, v41
	v_mov_b32_e32 v44, v40
	v_mov_b32_e32 v43, v39
	v_mov_b32_e32 v42, v38
	v_mov_b32_e32 v41, v37
	v_mov_b32_e32 v40, v36
	v_mov_b32_e32 v39, v35
	v_mov_b32_e32 v38, v34
	v_mov_b32_e32 v37, v33
	v_mov_b32_e32 v36, v32
	v_mov_b32_e32 v35, v31
	v_mov_b32_e32 v34, v30
	v_mov_b32_e32 v33, v29
	v_mov_b32_e32 v32, v28
	v_mov_b32_e32 v31, v27
	v_mov_b32_e32 v30, v26
	v_mov_b32_e32 v29, v25
	v_mov_b32_e32 v28, v24
	v_mov_b32_e32 v27, v23
	v_mov_b32_e32 v26, v22
	v_mov_b32_e32 v25, v21
	v_mov_b32_e32 v24, v20
	v_mov_b32_e32 v23, v19
	v_mov_b32_e32 v22, v18
	v_mov_b32_e32 v21, v17
	v_mov_b32_e32 v20, v16
	v_mov_b32_e32 v19, v15
	v_mov_b32_e32 v18, v14
	v_mov_b32_e32 v17, v13
	v_mov_b32_e32 v16, v12
	v_mov_b32_e32 v15, v11
	v_mov_b32_e32 v14, v10
	v_mov_b32_e32 v13, v9
	v_mov_b32_e32 v9, v195
	v_mov_b32_e32 v10, v196
	v_mov_b32_e32 v11, v197
	v_mov_b32_e32 v12, v198
	v_xor_b32_e32 v216, 0x80000000, v216
.LBB115_518:
	s_andn2_saveexec_b32 s1, s1
	s_cbranch_execz .LBB115_520
; %bb.519:
	v_div_scale_f64 v[205:206], null, v[1:2], v[1:2], v[3:4]
	v_mov_b32_e32 v254, v208
	v_mov_b32_e32 v253, v207
	;; [unrolled: 1-line block ×10, first 2 shown]
	v_div_scale_f64 v[211:212], vcc_lo, v[3:4], v[1:2], v[3:4]
	v_rcp_f64_e32 v[207:208], v[205:206]
	v_fma_f64 v[209:210], -v[205:206], v[207:208], 1.0
	v_fma_f64 v[207:208], v[207:208], v[209:210], v[207:208]
	v_fma_f64 v[209:210], -v[205:206], v[207:208], 1.0
	v_fma_f64 v[207:208], v[207:208], v[209:210], v[207:208]
	v_mul_f64 v[209:210], v[211:212], v[207:208]
	v_fma_f64 v[205:206], -v[205:206], v[209:210], v[211:212]
	v_div_fmas_f64 v[205:206], v[205:206], v[207:208], v[209:210]
	v_div_fixup_f64 v[205:206], v[205:206], v[1:2], v[3:4]
	v_fma_f64 v[207:208], v[3:4], v[205:206], v[1:2]
	v_div_scale_f64 v[209:210], null, v[207:208], v[207:208], 1.0
	v_rcp_f64_e32 v[211:212], v[209:210]
	v_fma_f64 v[213:214], -v[209:210], v[211:212], 1.0
	v_fma_f64 v[211:212], v[211:212], v[213:214], v[211:212]
	v_fma_f64 v[213:214], -v[209:210], v[211:212], 1.0
	v_fma_f64 v[211:212], v[211:212], v[213:214], v[211:212]
	v_div_scale_f64 v[213:214], vcc_lo, 1.0, v[207:208], 1.0
	v_mul_f64 v[215:216], v[213:214], v[211:212]
	v_fma_f64 v[209:210], -v[209:210], v[215:216], v[213:214]
	v_div_fmas_f64 v[209:210], v[209:210], v[211:212], v[215:216]
	v_div_fixup_f64 v[213:214], v[209:210], v[207:208], 1.0
	v_mov_b32_e32 v212, v192
	v_mov_b32_e32 v211, v191
	;; [unrolled: 1-line block ×10, first 2 shown]
	v_mul_f64 v[215:216], v[205:206], -v[213:214]
.LBB115_520:
	s_or_b32 exec_lo, exec_lo, s1
	ds_write2_b64 v255, v[213:214], v[215:216] offset1:1
.LBB115_521:
	s_or_b32 exec_lo, exec_lo, s2
	s_waitcnt vmcnt(0) lgkmcnt(0)
	s_waitcnt_vscnt null, 0x0
	s_barrier
	buffer_gl0_inv
	ds_read2_b64 v[213:216], v255 offset1:1
	s_mov_b32 s1, exec_lo
	v_cmpx_lt_u32_e32 57, v0
	s_cbranch_execz .LBB115_523
; %bb.522:
	s_waitcnt lgkmcnt(0)
	v_mul_f64 v[205:206], v[215:216], v[3:4]
	v_mul_f64 v[3:4], v[213:214], v[3:4]
	v_fma_f64 v[205:206], v[213:214], v[1:2], -v[205:206]
	v_fma_f64 v[3:4], v[215:216], v[1:2], v[3:4]
	v_mov_b32_e32 v1, v205
	v_mov_b32_e32 v2, v206
.LBB115_523:
	s_or_b32 exec_lo, exec_lo, s1
	s_waitcnt lgkmcnt(0)
	s_barrier
	buffer_gl0_inv
	s_and_saveexec_b32 s8, s0
	s_cbranch_execz .LBB115_526
; %bb.524:
	s_clause 0x3
	buffer_load_dword v193, off, s[16:19], 0 offset:488
	buffer_load_dword v194, off, s[16:19], 0 offset:492
	buffer_load_dword v195, off, s[16:19], 0 offset:496
	buffer_load_dword v196, off, s[16:19], 0 offset:500
	v_lshlrev_b64 v[205:206], 2, v[199:200]
	s_waitcnt vmcnt(2)
	v_cmp_eq_f64_e32 vcc_lo, 0, v[193:194]
	s_waitcnt vmcnt(0)
	v_cmp_eq_f64_e64 s0, 0, v[195:196]
	s_clause 0x3
	buffer_load_dword v193, off, s[16:19], 0 offset:504
	buffer_load_dword v194, off, s[16:19], 0 offset:508
	;; [unrolled: 1-line block ×4, first 2 shown]
	s_and_b32 s0, vcc_lo, s0
	v_cndmask_b32_e64 v0, 0, 1, s0
	s_waitcnt vmcnt(2)
	v_cmp_neq_f64_e64 s1, 0, v[193:194]
	s_waitcnt vmcnt(0)
	v_cmp_neq_f64_e64 s2, 0, v[195:196]
	s_clause 0x3
	buffer_load_dword v193, off, s[16:19], 0 offset:520
	buffer_load_dword v194, off, s[16:19], 0 offset:524
	;; [unrolled: 1-line block ×4, first 2 shown]
	s_or_b32 s1, s1, s2
	s_or_b32 s0, s1, s0
	v_cndmask_b32_e64 v0, 2, v0, s0
	v_cmp_eq_u32_e64 s0, 0, v0
	s_waitcnt vmcnt(2)
	v_cmp_eq_f64_e64 s3, 0, v[193:194]
	s_waitcnt vmcnt(0)
	v_cmp_eq_f64_e64 s4, 0, v[195:196]
	s_clause 0x3
	buffer_load_dword v193, off, s[16:19], 0 offset:536
	buffer_load_dword v194, off, s[16:19], 0 offset:540
	;; [unrolled: 1-line block ×4, first 2 shown]
	s_and_b32 s3, s3, s4
	s_and_b32 s0, s3, s0
	v_cndmask_b32_e64 v0, v0, 3, s0
	v_cmp_eq_u32_e64 s0, 0, v0
	s_waitcnt vmcnt(2)
	v_cmp_eq_f64_e64 s5, 0, v[193:194]
	s_waitcnt vmcnt(0)
	v_cmp_eq_f64_e32 vcc_lo, 0, v[195:196]
	s_clause 0x3
	buffer_load_dword v193, off, s[16:19], 0 offset:552
	buffer_load_dword v194, off, s[16:19], 0 offset:556
	;; [unrolled: 1-line block ×4, first 2 shown]
	s_and_b32 s5, s5, vcc_lo
	s_and_b32 s0, s5, s0
	v_cndmask_b32_e64 v0, v0, 4, s0
	v_cmp_eq_u32_e32 vcc_lo, 0, v0
	s_waitcnt vmcnt(2)
	v_cmp_eq_f64_e64 s1, 0, v[193:194]
	s_waitcnt vmcnt(0)
	v_cmp_eq_f64_e64 s2, 0, v[195:196]
	s_clause 0x3
	buffer_load_dword v193, off, s[16:19], 0 offset:568
	buffer_load_dword v194, off, s[16:19], 0 offset:572
	buffer_load_dword v195, off, s[16:19], 0 offset:576
	buffer_load_dword v196, off, s[16:19], 0 offset:580
	s_and_b32 s1, s1, s2
	s_and_b32 s1, s1, vcc_lo
	v_cndmask_b32_e64 v0, v0, 5, s1
	v_cmp_eq_u32_e32 vcc_lo, 0, v0
	s_waitcnt vmcnt(2)
	v_cmp_eq_f64_e64 s3, 0, v[193:194]
	s_waitcnt vmcnt(0)
	v_cmp_eq_f64_e64 s4, 0, v[195:196]
	s_clause 0x3
	buffer_load_dword v193, off, s[16:19], 0 offset:584
	buffer_load_dword v194, off, s[16:19], 0 offset:588
	buffer_load_dword v195, off, s[16:19], 0 offset:592
	buffer_load_dword v196, off, s[16:19], 0 offset:596
	s_and_b32 s3, s3, s4
	s_and_b32 s3, s3, vcc_lo
	v_cndmask_b32_e64 v0, v0, 6, s3
	v_cmp_eq_u32_e32 vcc_lo, 0, v0
	s_waitcnt vmcnt(2)
	v_cmp_eq_f64_e64 s0, 0, v[193:194]
	s_waitcnt vmcnt(0)
	v_cmp_eq_f64_e64 s5, 0, v[195:196]
	s_clause 0x3
	buffer_load_dword v193, off, s[16:19], 0 offset:600
	buffer_load_dword v194, off, s[16:19], 0 offset:604
	buffer_load_dword v195, off, s[16:19], 0 offset:608
	buffer_load_dword v196, off, s[16:19], 0 offset:612
	s_and_b32 s0, s0, s5
	s_and_b32 s0, s0, vcc_lo
	v_cndmask_b32_e64 v0, v0, 7, s0
	v_cmp_eq_u32_e32 vcc_lo, 0, v0
	s_waitcnt vmcnt(2)
	v_cmp_eq_f64_e64 s1, 0, v[193:194]
	s_waitcnt vmcnt(0)
	v_cmp_eq_f64_e64 s2, 0, v[195:196]
	s_clause 0x3
	buffer_load_dword v193, off, s[16:19], 0 offset:616
	buffer_load_dword v194, off, s[16:19], 0 offset:620
	buffer_load_dword v195, off, s[16:19], 0 offset:624
	buffer_load_dword v196, off, s[16:19], 0 offset:628
	s_and_b32 s1, s1, s2
	s_and_b32 s1, s1, vcc_lo
	v_cndmask_b32_e64 v0, v0, 8, s1
	v_cmp_eq_u32_e32 vcc_lo, 0, v0
	s_waitcnt vmcnt(2)
	v_cmp_eq_f64_e64 s3, 0, v[193:194]
	s_waitcnt vmcnt(0)
	v_cmp_eq_f64_e64 s4, 0, v[195:196]
	s_clause 0x3
	buffer_load_dword v193, off, s[16:19], 0 offset:632
	buffer_load_dword v194, off, s[16:19], 0 offset:636
	buffer_load_dword v195, off, s[16:19], 0 offset:640
	buffer_load_dword v196, off, s[16:19], 0 offset:644
	s_and_b32 s3, s3, s4
	s_and_b32 s3, s3, vcc_lo
	v_cndmask_b32_e64 v0, v0, 9, s3
	v_cmp_eq_u32_e32 vcc_lo, 0, v0
	s_waitcnt vmcnt(2)
	v_cmp_eq_f64_e64 s0, 0, v[193:194]
	s_waitcnt vmcnt(0)
	v_cmp_eq_f64_e64 s5, 0, v[195:196]
	s_clause 0x3
	buffer_load_dword v193, off, s[16:19], 0 offset:648
	buffer_load_dword v194, off, s[16:19], 0 offset:652
	buffer_load_dword v195, off, s[16:19], 0 offset:656
	buffer_load_dword v196, off, s[16:19], 0 offset:660
	s_and_b32 s0, s0, s5
	s_and_b32 s0, s0, vcc_lo
	v_cndmask_b32_e64 v0, v0, 10, s0
	v_cmp_eq_u32_e32 vcc_lo, 0, v0
	s_waitcnt vmcnt(2)
	v_cmp_eq_f64_e64 s1, 0, v[193:194]
	s_waitcnt vmcnt(0)
	v_cmp_eq_f64_e64 s2, 0, v[195:196]
	s_clause 0x3
	buffer_load_dword v193, off, s[16:19], 0 offset:664
	buffer_load_dword v194, off, s[16:19], 0 offset:668
	buffer_load_dword v195, off, s[16:19], 0 offset:672
	buffer_load_dword v196, off, s[16:19], 0 offset:676
	s_and_b32 s1, s1, s2
	s_and_b32 s1, s1, vcc_lo
	v_cndmask_b32_e64 v0, v0, 11, s1
	v_cmp_eq_u32_e32 vcc_lo, 0, v0
	s_waitcnt vmcnt(2)
	v_cmp_eq_f64_e64 s3, 0, v[193:194]
	s_waitcnt vmcnt(0)
	v_cmp_eq_f64_e64 s4, 0, v[195:196]
	s_clause 0x3
	buffer_load_dword v193, off, s[16:19], 0 offset:680
	buffer_load_dword v194, off, s[16:19], 0 offset:684
	buffer_load_dword v195, off, s[16:19], 0 offset:688
	buffer_load_dword v196, off, s[16:19], 0 offset:692
	s_and_b32 s3, s3, s4
	s_and_b32 s3, s3, vcc_lo
	v_cndmask_b32_e64 v0, v0, 12, s3
	v_cmp_eq_u32_e32 vcc_lo, 0, v0
	s_waitcnt vmcnt(2)
	v_cmp_eq_f64_e64 s0, 0, v[193:194]
	s_waitcnt vmcnt(0)
	v_cmp_eq_f64_e64 s5, 0, v[195:196]
	s_clause 0x3
	buffer_load_dword v193, off, s[16:19], 0 offset:696
	buffer_load_dword v194, off, s[16:19], 0 offset:700
	buffer_load_dword v195, off, s[16:19], 0 offset:704
	buffer_load_dword v196, off, s[16:19], 0 offset:708
	s_and_b32 s0, s0, s5
	s_and_b32 s0, s0, vcc_lo
	v_cndmask_b32_e64 v0, v0, 13, s0
	v_cmp_eq_u32_e32 vcc_lo, 0, v0
	s_waitcnt vmcnt(2)
	v_cmp_eq_f64_e64 s1, 0, v[193:194]
	s_waitcnt vmcnt(0)
	v_cmp_eq_f64_e64 s2, 0, v[195:196]
	s_clause 0x3
	buffer_load_dword v193, off, s[16:19], 0 offset:712
	buffer_load_dword v194, off, s[16:19], 0 offset:716
	buffer_load_dword v195, off, s[16:19], 0 offset:720
	buffer_load_dword v196, off, s[16:19], 0 offset:724
	s_and_b32 s1, s1, s2
	s_and_b32 s1, s1, vcc_lo
	v_cndmask_b32_e64 v0, v0, 14, s1
	v_cmp_eq_u32_e32 vcc_lo, 0, v0
	s_waitcnt vmcnt(2)
	v_cmp_eq_f64_e64 s3, 0, v[193:194]
	s_waitcnt vmcnt(0)
	v_cmp_eq_f64_e64 s4, 0, v[195:196]
	s_clause 0x3
	buffer_load_dword v193, off, s[16:19], 0 offset:728
	buffer_load_dword v194, off, s[16:19], 0 offset:732
	buffer_load_dword v195, off, s[16:19], 0 offset:736
	buffer_load_dword v196, off, s[16:19], 0 offset:740
	s_and_b32 s3, s3, s4
	s_and_b32 s3, s3, vcc_lo
	v_cndmask_b32_e64 v0, v0, 15, s3
	v_cmp_eq_u32_e32 vcc_lo, 0, v0
	s_waitcnt vmcnt(2)
	v_cmp_eq_f64_e64 s0, 0, v[193:194]
	s_waitcnt vmcnt(0)
	v_cmp_eq_f64_e64 s5, 0, v[195:196]
	s_clause 0x3
	buffer_load_dword v193, off, s[16:19], 0 offset:744
	buffer_load_dword v194, off, s[16:19], 0 offset:748
	buffer_load_dword v195, off, s[16:19], 0 offset:752
	buffer_load_dword v196, off, s[16:19], 0 offset:756
	s_and_b32 s0, s0, s5
	s_and_b32 s0, s0, vcc_lo
	v_cndmask_b32_e64 v0, v0, 16, s0
	v_cmp_eq_u32_e32 vcc_lo, 0, v0
	s_waitcnt vmcnt(2)
	v_cmp_eq_f64_e64 s1, 0, v[193:194]
	s_waitcnt vmcnt(0)
	v_cmp_eq_f64_e64 s2, 0, v[195:196]
	s_clause 0x3
	buffer_load_dword v193, off, s[16:19], 0 offset:760
	buffer_load_dword v194, off, s[16:19], 0 offset:764
	buffer_load_dword v195, off, s[16:19], 0 offset:768
	buffer_load_dword v196, off, s[16:19], 0 offset:772
	s_and_b32 s1, s1, s2
	s_and_b32 s1, s1, vcc_lo
	v_cndmask_b32_e64 v0, v0, 17, s1
	v_cmp_eq_u32_e32 vcc_lo, 0, v0
	s_waitcnt vmcnt(2)
	v_cmp_eq_f64_e64 s3, 0, v[193:194]
	s_waitcnt vmcnt(0)
	v_cmp_eq_f64_e64 s4, 0, v[195:196]
	s_clause 0x3
	buffer_load_dword v193, off, s[16:19], 0 offset:776
	buffer_load_dword v194, off, s[16:19], 0 offset:780
	buffer_load_dword v195, off, s[16:19], 0 offset:784
	buffer_load_dword v196, off, s[16:19], 0 offset:788
	s_and_b32 s3, s3, s4
	s_and_b32 s3, s3, vcc_lo
	v_cndmask_b32_e64 v0, v0, 18, s3
	v_cmp_eq_u32_e32 vcc_lo, 0, v0
	s_waitcnt vmcnt(2)
	v_cmp_eq_f64_e64 s0, 0, v[193:194]
	s_waitcnt vmcnt(0)
	v_cmp_eq_f64_e64 s5, 0, v[195:196]
	s_clause 0x3
	buffer_load_dword v193, off, s[16:19], 0 offset:792
	buffer_load_dword v194, off, s[16:19], 0 offset:796
	buffer_load_dword v195, off, s[16:19], 0 offset:800
	buffer_load_dword v196, off, s[16:19], 0 offset:804
	s_and_b32 s0, s0, s5
	s_and_b32 s0, s0, vcc_lo
	v_cndmask_b32_e64 v0, v0, 19, s0
	v_cmp_eq_u32_e32 vcc_lo, 0, v0
	s_waitcnt vmcnt(2)
	v_cmp_eq_f64_e64 s1, 0, v[193:194]
	s_waitcnt vmcnt(0)
	v_cmp_eq_f64_e64 s2, 0, v[195:196]
	s_clause 0x3
	buffer_load_dword v193, off, s[16:19], 0 offset:808
	buffer_load_dword v194, off, s[16:19], 0 offset:812
	buffer_load_dword v195, off, s[16:19], 0 offset:816
	buffer_load_dword v196, off, s[16:19], 0 offset:820
	s_and_b32 s1, s1, s2
	s_and_b32 s1, s1, vcc_lo
	v_cndmask_b32_e64 v0, v0, 20, s1
	v_cmp_eq_u32_e32 vcc_lo, 0, v0
	s_waitcnt vmcnt(2)
	v_cmp_eq_f64_e64 s3, 0, v[193:194]
	s_waitcnt vmcnt(0)
	v_cmp_eq_f64_e64 s4, 0, v[195:196]
	s_clause 0x3
	buffer_load_dword v193, off, s[16:19], 0 offset:824
	buffer_load_dword v194, off, s[16:19], 0 offset:828
	buffer_load_dword v195, off, s[16:19], 0 offset:832
	buffer_load_dword v196, off, s[16:19], 0 offset:836
	s_and_b32 s3, s3, s4
	s_and_b32 s3, s3, vcc_lo
	v_cndmask_b32_e64 v0, v0, 21, s3
	v_cmp_eq_u32_e32 vcc_lo, 0, v0
	s_waitcnt vmcnt(2)
	v_cmp_eq_f64_e64 s0, 0, v[193:194]
	s_waitcnt vmcnt(0)
	v_cmp_eq_f64_e64 s5, 0, v[195:196]
	s_clause 0x3
	buffer_load_dword v193, off, s[16:19], 0 offset:840
	buffer_load_dword v194, off, s[16:19], 0 offset:844
	buffer_load_dword v195, off, s[16:19], 0 offset:848
	buffer_load_dword v196, off, s[16:19], 0 offset:852
	s_and_b32 s0, s0, s5
	s_and_b32 s0, s0, vcc_lo
	v_cndmask_b32_e64 v0, v0, 22, s0
	v_cmp_eq_u32_e32 vcc_lo, 0, v0
	s_waitcnt vmcnt(2)
	v_cmp_eq_f64_e64 s1, 0, v[193:194]
	s_waitcnt vmcnt(0)
	v_cmp_eq_f64_e64 s2, 0, v[195:196]
	s_clause 0x3
	buffer_load_dword v193, off, s[16:19], 0 offset:856
	buffer_load_dword v194, off, s[16:19], 0 offset:860
	buffer_load_dword v195, off, s[16:19], 0 offset:864
	buffer_load_dword v196, off, s[16:19], 0 offset:868
	s_and_b32 s1, s1, s2
	s_and_b32 s1, s1, vcc_lo
	v_cndmask_b32_e64 v0, v0, 23, s1
	v_cmp_eq_u32_e32 vcc_lo, 0, v0
	s_waitcnt vmcnt(2)
	v_cmp_eq_f64_e64 s3, 0, v[193:194]
	s_waitcnt vmcnt(0)
	v_cmp_eq_f64_e64 s4, 0, v[195:196]
	s_clause 0x3
	buffer_load_dword v193, off, s[16:19], 0 offset:872
	buffer_load_dword v194, off, s[16:19], 0 offset:876
	buffer_load_dword v195, off, s[16:19], 0 offset:880
	buffer_load_dword v196, off, s[16:19], 0 offset:884
	s_and_b32 s3, s3, s4
	s_and_b32 s3, s3, vcc_lo
	v_cndmask_b32_e64 v0, v0, 24, s3
	v_cmp_eq_u32_e32 vcc_lo, 0, v0
	s_waitcnt vmcnt(2)
	v_cmp_eq_f64_e64 s0, 0, v[193:194]
	s_waitcnt vmcnt(0)
	v_cmp_eq_f64_e64 s5, 0, v[195:196]
	s_clause 0x3
	buffer_load_dword v193, off, s[16:19], 0 offset:888
	buffer_load_dword v194, off, s[16:19], 0 offset:892
	buffer_load_dword v195, off, s[16:19], 0 offset:896
	buffer_load_dword v196, off, s[16:19], 0 offset:900
	s_and_b32 s0, s0, s5
	s_and_b32 s0, s0, vcc_lo
	v_cndmask_b32_e64 v0, v0, 25, s0
	v_cmp_eq_u32_e32 vcc_lo, 0, v0
	s_waitcnt vmcnt(2)
	v_cmp_eq_f64_e64 s1, 0, v[193:194]
	s_waitcnt vmcnt(0)
	v_cmp_eq_f64_e64 s2, 0, v[195:196]
	s_clause 0x3
	buffer_load_dword v193, off, s[16:19], 0 offset:904
	buffer_load_dword v194, off, s[16:19], 0 offset:908
	buffer_load_dword v195, off, s[16:19], 0 offset:912
	buffer_load_dword v196, off, s[16:19], 0 offset:916
	s_and_b32 s1, s1, s2
	s_and_b32 s1, s1, vcc_lo
	v_cndmask_b32_e64 v0, v0, 26, s1
	v_cmp_eq_u32_e32 vcc_lo, 0, v0
	s_waitcnt vmcnt(2)
	v_cmp_eq_f64_e64 s3, 0, v[193:194]
	s_waitcnt vmcnt(0)
	v_cmp_eq_f64_e64 s4, 0, v[195:196]
	s_clause 0x3
	buffer_load_dword v193, off, s[16:19], 0 offset:920
	buffer_load_dword v194, off, s[16:19], 0 offset:924
	;; [unrolled: 1-line block ×4, first 2 shown]
	s_and_b32 s1, s3, s4
	v_add_co_u32 v253, s4, s10, v205
	s_and_b32 s1, s1, vcc_lo
	v_add_co_ci_u32_e64 v254, null, s11, v206, s4
	v_cndmask_b32_e64 v0, v0, 27, s1
	v_cmp_eq_u32_e32 vcc_lo, 0, v0
	s_waitcnt vmcnt(2)
	v_cmp_eq_f64_e64 s0, 0, v[193:194]
	s_waitcnt vmcnt(0)
	v_cmp_eq_f64_e64 s5, 0, v[195:196]
	s_clause 0x3
	buffer_load_dword v193, off, s[16:19], 0 offset:936
	buffer_load_dword v194, off, s[16:19], 0 offset:940
	;; [unrolled: 1-line block ×4, first 2 shown]
	s_and_b32 s0, s0, s5
	s_and_b32 s0, s0, vcc_lo
	v_cndmask_b32_e64 v0, v0, 28, s0
	v_cmp_eq_u32_e64 s3, 0, v0
	s_waitcnt vmcnt(2)
	v_cmp_eq_f64_e64 s6, 0, v[193:194]
	s_waitcnt vmcnt(0)
	v_cmp_eq_f64_e64 s7, 0, v[195:196]
	s_clause 0x3
	buffer_load_dword v193, off, s[16:19], 0 offset:952
	buffer_load_dword v194, off, s[16:19], 0 offset:956
	;; [unrolled: 1-line block ×4, first 2 shown]
	s_and_b32 s5, s6, s7
	s_and_b32 s3, s5, s3
	v_cndmask_b32_e64 v0, v0, 29, s3
	v_cmp_eq_u32_e64 s3, 0, v0
	s_waitcnt vmcnt(2)
	v_cmp_eq_f64_e64 s1, 0, v[193:194]
	s_waitcnt vmcnt(0)
	v_cmp_eq_f64_e64 s2, 0, v[195:196]
	s_clause 0x3
	buffer_load_dword v193, off, s[16:19], 0 offset:968
	buffer_load_dword v194, off, s[16:19], 0 offset:972
	;; [unrolled: 1-line block ×4, first 2 shown]
	global_load_dword v205, v[253:254], off
	s_and_b32 s1, s1, s2
	s_and_b32 s1, s1, s3
	v_cndmask_b32_e64 v0, v0, 30, s1
	v_cmp_eq_u32_e64 s1, 0, v0
	s_waitcnt vmcnt(3)
	v_cmp_eq_f64_e32 vcc_lo, 0, v[193:194]
	s_waitcnt vmcnt(1)
	v_cmp_eq_f64_e64 s0, 0, v[195:196]
	s_clause 0x3
	buffer_load_dword v193, off, s[16:19], 0 offset:984
	buffer_load_dword v194, off, s[16:19], 0 offset:988
	;; [unrolled: 1-line block ×4, first 2 shown]
	s_and_b32 s0, vcc_lo, s0
	s_and_b32 s0, s0, s1
	v_cndmask_b32_e64 v0, v0, 31, s0
	v_cmp_eq_u32_e32 vcc_lo, 0, v0
	s_waitcnt vmcnt(2)
	v_cmp_eq_f64_e64 s4, 0, v[193:194]
	s_waitcnt vmcnt(0)
	v_cmp_eq_f64_e64 s5, 0, v[195:196]
	s_clause 0x3
	buffer_load_dword v193, off, s[16:19], 0 offset:1000
	buffer_load_dword v194, off, s[16:19], 0 offset:1004
	buffer_load_dword v195, off, s[16:19], 0 offset:1008
	buffer_load_dword v196, off, s[16:19], 0 offset:1012
	s_and_b32 s4, s4, s5
	s_and_b32 s4, s4, vcc_lo
	v_cndmask_b32_e64 v0, v0, 32, s4
	v_cmp_eq_u32_e32 vcc_lo, 0, v0
	s_waitcnt vmcnt(2)
	v_cmp_eq_f64_e64 s2, 0, v[193:194]
	s_waitcnt vmcnt(0)
	v_cmp_eq_f64_e64 s3, 0, v[195:196]
	s_clause 0x3
	buffer_load_dword v193, off, s[16:19], 0 offset:1016
	buffer_load_dword v194, off, s[16:19], 0 offset:1020
	buffer_load_dword v195, off, s[16:19], 0 offset:1024
	buffer_load_dword v196, off, s[16:19], 0 offset:1028
	s_and_b32 s2, s2, s3
	s_and_b32 s2, s2, vcc_lo
	;; [unrolled: 13-line block ×17, first 2 shown]
	v_cndmask_b32_e64 v0, v0, 48, s2
	v_cmp_eq_u32_e32 vcc_lo, 0, v0
	s_waitcnt vmcnt(2)
	v_cmp_eq_f64_e64 s0, 0, v[193:194]
	s_waitcnt vmcnt(0)
	v_cmp_eq_f64_e64 s1, 0, v[195:196]
	s_clause 0x3
	buffer_load_dword v193, off, s[16:19], 0 offset:1272
	buffer_load_dword v194, off, s[16:19], 0 offset:1276
	;; [unrolled: 1-line block ×4, first 2 shown]
	s_and_b32 s0, s0, s1
	v_cmp_eq_f64_e64 s1, 0, v[223:224]
	s_and_b32 s0, s0, vcc_lo
	v_cndmask_b32_e64 v0, v0, 49, s0
	v_cmp_eq_f64_e64 s0, 0, v[221:222]
	v_cmp_eq_u32_e32 vcc_lo, 0, v0
	s_and_b32 s0, s0, s1
	s_waitcnt vmcnt(2)
	v_cmp_eq_f64_e64 s4, 0, v[193:194]
	s_waitcnt vmcnt(0)
	v_cmp_eq_f64_e64 s5, 0, v[195:196]
	s_clause 0x3
	buffer_load_dword v193, off, s[16:19], 0 offset:1288
	buffer_load_dword v194, off, s[16:19], 0 offset:1292
	;; [unrolled: 1-line block ×4, first 2 shown]
	s_and_b32 s4, s4, s5
	s_and_b32 s4, s4, vcc_lo
	v_cndmask_b32_e64 v0, v0, 50, s4
	v_cmp_eq_u32_e32 vcc_lo, 0, v0
	s_waitcnt vmcnt(2)
	v_cmp_eq_f64_e64 s2, 0, v[193:194]
	s_waitcnt vmcnt(0)
	v_cmp_eq_f64_e64 s3, 0, v[195:196]
	s_clause 0x3
	buffer_load_dword v193, off, s[16:19], 0 offset:1304
	buffer_load_dword v194, off, s[16:19], 0 offset:1308
	;; [unrolled: 1-line block ×4, first 2 shown]
	s_and_b32 s2, s2, s3
	s_and_b32 s2, s2, vcc_lo
	v_cndmask_b32_e64 v0, v0, 51, s2
	v_cmp_eq_u32_e32 vcc_lo, 0, v0
	s_and_b32 s0, s0, vcc_lo
	v_cndmask_b32_e64 v0, v0, 52, s0
	v_cmp_eq_u32_e32 vcc_lo, 0, v0
	s_waitcnt vmcnt(2)
	v_cmp_eq_f64_e64 s4, 0, v[193:194]
	s_waitcnt vmcnt(0)
	v_cmp_eq_f64_e64 s5, 0, v[195:196]
	s_clause 0x3
	buffer_load_dword v193, off, s[16:19], 0 offset:1320
	buffer_load_dword v194, off, s[16:19], 0 offset:1324
	;; [unrolled: 1-line block ×4, first 2 shown]
	s_and_b32 s4, s4, s5
	v_cmp_eq_f64_e64 s5, 0, v[219:220]
	s_and_b32 s4, s4, vcc_lo
	v_cndmask_b32_e64 v0, v0, 53, s4
	v_cmp_eq_f64_e64 s4, 0, v[217:218]
	v_cmp_eq_u32_e32 vcc_lo, 0, v0
	s_and_b32 s4, s4, s5
	s_waitcnt vmcnt(2)
	v_cmp_eq_f64_e64 s2, 0, v[193:194]
	s_waitcnt vmcnt(0)
	v_cmp_eq_f64_e64 s3, 0, v[195:196]
	s_clause 0x3
	buffer_load_dword v193, off, s[16:19], 0 offset:1336
	buffer_load_dword v194, off, s[16:19], 0 offset:1340
	;; [unrolled: 1-line block ×4, first 2 shown]
	s_and_b32 s2, s2, s3
	v_cmp_eq_f64_e64 s3, 0, v[243:244]
	s_and_b32 s2, s2, vcc_lo
	v_cndmask_b32_e64 v0, v0, 54, s2
	v_cmp_eq_f64_e64 s2, 0, v[241:242]
	v_cmp_eq_u32_e32 vcc_lo, 0, v0
	s_and_b32 s2, s2, s3
	s_waitcnt vmcnt(2)
	v_cmp_eq_f64_e64 s0, 0, v[193:194]
	s_waitcnt vmcnt(0)
	v_cmp_eq_f64_e64 s1, 0, v[195:196]
	s_and_b32 s0, s0, s1
	v_cmp_eq_f64_e64 s1, 0, v[215:216]
	s_and_b32 s0, s0, vcc_lo
	v_cndmask_b32_e64 v0, v0, 55, s0
	v_cmp_eq_f64_e64 s0, 0, v[213:214]
	v_cmp_eq_u32_e32 vcc_lo, 0, v0
	s_and_b32 s4, s4, vcc_lo
	v_cndmask_b32_e64 v0, v0, 56, s4
	v_cmp_eq_u32_e32 vcc_lo, 0, v0
	s_and_b32 s2, s2, vcc_lo
	s_and_b32 s0, s0, s1
	v_cndmask_b32_e64 v0, v0, 57, s2
	v_cmp_eq_u32_e32 vcc_lo, 0, v0
	s_and_b32 s0, s0, vcc_lo
	v_cmp_eq_u32_e32 vcc_lo, 0, v205
	v_cndmask_b32_e64 v0, v0, 58, s0
	v_cmp_ne_u32_e64 s0, 0, v0
	s_and_b32 s0, vcc_lo, s0
	s_and_b32 exec_lo, exec_lo, s0
	s_cbranch_execz .LBB115_526
; %bb.525:
	v_add_nc_u32_e32 v0, s13, v0
	global_store_dword v[253:254], v0, off
.LBB115_526:
	s_or_b32 exec_lo, exec_lo, s8
	s_clause 0x1
	buffer_load_dword v193, off, s[16:19], 0 offset:448
	buffer_load_dword v194, off, s[16:19], 0 offset:452
	s_waitcnt vmcnt(0)
	global_store_dwordx4 v[193:194], v[245:248], off
	s_clause 0x1
	buffer_load_dword v193, off, s[16:19], 0 offset:480
	buffer_load_dword v194, off, s[16:19], 0 offset:484
	s_waitcnt vmcnt(0)
	global_store_dwordx4 v[193:194], v[249:252], off
	s_clause 0x1
	buffer_load_dword v193, off, s[16:19], 0 offset:464
	buffer_load_dword v194, off, s[16:19], 0 offset:468
	s_waitcnt vmcnt(0)
	global_store_dwordx4 v[193:194], v[201:204], off
	s_clause 0x1
	buffer_load_dword v201, off, s[16:19], 0 offset:32
	buffer_load_dword v202, off, s[16:19], 0 offset:36
	s_waitcnt vmcnt(0)
	global_store_dwordx4 v[201:202], v[225:228], off
	global_store_dwordx4 v[207:208], v[229:232], off
	s_clause 0x1
	buffer_load_dword v193, off, s[16:19], 0 offset:456
	buffer_load_dword v194, off, s[16:19], 0 offset:460
	s_waitcnt vmcnt(0)
	global_store_dwordx4 v[193:194], v[237:240], off
	s_clause 0x1
	buffer_load_dword v199, off, s[16:19], 0 offset:40
	buffer_load_dword v200, off, s[16:19], 0 offset:44
	s_waitcnt vmcnt(0)
	global_store_dwordx4 v[199:200], v[233:236], off
	s_clause 0x5
	buffer_load_dword v193, off, s[16:19], 0 offset:472
	buffer_load_dword v194, off, s[16:19], 0 offset:476
	;; [unrolled: 1-line block ×6, first 2 shown]
	s_waitcnt vmcnt(0)
	global_store_dwordx4 v[193:194], v[195:198], off
	s_clause 0x5
	buffer_load_dword v197, off, s[16:19], 0 offset:48
	buffer_load_dword v198, off, s[16:19], 0 offset:52
	buffer_load_dword v193, off, s[16:19], 0
	buffer_load_dword v194, off, s[16:19], 0 offset:4
	buffer_load_dword v195, off, s[16:19], 0 offset:8
	;; [unrolled: 1-line block ×3, first 2 shown]
	s_waitcnt vmcnt(0)
	global_store_dwordx4 v[197:198], v[193:196], off
	s_clause 0x1
	buffer_load_dword v197, off, s[16:19], 0 offset:56
	buffer_load_dword v198, off, s[16:19], 0 offset:60
	s_waitcnt vmcnt(0)
	global_store_dwordx4 v[197:198], v[209:212], off
	s_clause 0x1
	buffer_load_dword v193, off, s[16:19], 0 offset:64
	buffer_load_dword v194, off, s[16:19], 0 offset:68
	;; [unrolled: 5-line block ×49, first 2 shown]
	s_waitcnt vmcnt(0)
	global_store_dwordx4 v[5:6], v[1:4], off
.LBB115_527:
	s_endpgm
	.section	.rodata,"a",@progbits
	.p2align	6, 0x0
	.amdhsa_kernel _ZN9rocsolver6v33100L23getf2_npvt_small_kernelILi58E19rocblas_complex_numIdEiiPS3_EEvT1_T3_lS5_lPT2_S5_S5_
		.amdhsa_group_segment_fixed_size 0
		.amdhsa_private_segment_fixed_size 1372
		.amdhsa_kernarg_size 312
		.amdhsa_user_sgpr_count 6
		.amdhsa_user_sgpr_private_segment_buffer 1
		.amdhsa_user_sgpr_dispatch_ptr 0
		.amdhsa_user_sgpr_queue_ptr 0
		.amdhsa_user_sgpr_kernarg_segment_ptr 1
		.amdhsa_user_sgpr_dispatch_id 0
		.amdhsa_user_sgpr_flat_scratch_init 0
		.amdhsa_user_sgpr_private_segment_size 0
		.amdhsa_wavefront_size32 1
		.amdhsa_uses_dynamic_stack 0
		.amdhsa_system_sgpr_private_segment_wavefront_offset 1
		.amdhsa_system_sgpr_workgroup_id_x 1
		.amdhsa_system_sgpr_workgroup_id_y 1
		.amdhsa_system_sgpr_workgroup_id_z 0
		.amdhsa_system_sgpr_workgroup_info 0
		.amdhsa_system_vgpr_workitem_id 1
		.amdhsa_next_free_vgpr 256
		.amdhsa_next_free_sgpr 22
		.amdhsa_reserve_vcc 1
		.amdhsa_reserve_flat_scratch 0
		.amdhsa_float_round_mode_32 0
		.amdhsa_float_round_mode_16_64 0
		.amdhsa_float_denorm_mode_32 3
		.amdhsa_float_denorm_mode_16_64 3
		.amdhsa_dx10_clamp 1
		.amdhsa_ieee_mode 1
		.amdhsa_fp16_overflow 0
		.amdhsa_workgroup_processor_mode 1
		.amdhsa_memory_ordered 1
		.amdhsa_forward_progress 1
		.amdhsa_shared_vgpr_count 0
		.amdhsa_exception_fp_ieee_invalid_op 0
		.amdhsa_exception_fp_denorm_src 0
		.amdhsa_exception_fp_ieee_div_zero 0
		.amdhsa_exception_fp_ieee_overflow 0
		.amdhsa_exception_fp_ieee_underflow 0
		.amdhsa_exception_fp_ieee_inexact 0
		.amdhsa_exception_int_div_zero 0
	.end_amdhsa_kernel
	.section	.text._ZN9rocsolver6v33100L23getf2_npvt_small_kernelILi58E19rocblas_complex_numIdEiiPS3_EEvT1_T3_lS5_lPT2_S5_S5_,"axG",@progbits,_ZN9rocsolver6v33100L23getf2_npvt_small_kernelILi58E19rocblas_complex_numIdEiiPS3_EEvT1_T3_lS5_lPT2_S5_S5_,comdat
.Lfunc_end115:
	.size	_ZN9rocsolver6v33100L23getf2_npvt_small_kernelILi58E19rocblas_complex_numIdEiiPS3_EEvT1_T3_lS5_lPT2_S5_S5_, .Lfunc_end115-_ZN9rocsolver6v33100L23getf2_npvt_small_kernelILi58E19rocblas_complex_numIdEiiPS3_EEvT1_T3_lS5_lPT2_S5_S5_
                                        ; -- End function
	.set _ZN9rocsolver6v33100L23getf2_npvt_small_kernelILi58E19rocblas_complex_numIdEiiPS3_EEvT1_T3_lS5_lPT2_S5_S5_.num_vgpr, 256
	.set _ZN9rocsolver6v33100L23getf2_npvt_small_kernelILi58E19rocblas_complex_numIdEiiPS3_EEvT1_T3_lS5_lPT2_S5_S5_.num_agpr, 0
	.set _ZN9rocsolver6v33100L23getf2_npvt_small_kernelILi58E19rocblas_complex_numIdEiiPS3_EEvT1_T3_lS5_lPT2_S5_S5_.numbered_sgpr, 22
	.set _ZN9rocsolver6v33100L23getf2_npvt_small_kernelILi58E19rocblas_complex_numIdEiiPS3_EEvT1_T3_lS5_lPT2_S5_S5_.num_named_barrier, 0
	.set _ZN9rocsolver6v33100L23getf2_npvt_small_kernelILi58E19rocblas_complex_numIdEiiPS3_EEvT1_T3_lS5_lPT2_S5_S5_.private_seg_size, 1372
	.set _ZN9rocsolver6v33100L23getf2_npvt_small_kernelILi58E19rocblas_complex_numIdEiiPS3_EEvT1_T3_lS5_lPT2_S5_S5_.uses_vcc, 1
	.set _ZN9rocsolver6v33100L23getf2_npvt_small_kernelILi58E19rocblas_complex_numIdEiiPS3_EEvT1_T3_lS5_lPT2_S5_S5_.uses_flat_scratch, 0
	.set _ZN9rocsolver6v33100L23getf2_npvt_small_kernelILi58E19rocblas_complex_numIdEiiPS3_EEvT1_T3_lS5_lPT2_S5_S5_.has_dyn_sized_stack, 0
	.set _ZN9rocsolver6v33100L23getf2_npvt_small_kernelILi58E19rocblas_complex_numIdEiiPS3_EEvT1_T3_lS5_lPT2_S5_S5_.has_recursion, 0
	.set _ZN9rocsolver6v33100L23getf2_npvt_small_kernelILi58E19rocblas_complex_numIdEiiPS3_EEvT1_T3_lS5_lPT2_S5_S5_.has_indirect_call, 0
	.section	.AMDGPU.csdata,"",@progbits
; Kernel info:
; codeLenInByte = 164488
; TotalNumSgprs: 24
; NumVgprs: 256
; ScratchSize: 1372
; MemoryBound: 1
; FloatMode: 240
; IeeeMode: 1
; LDSByteSize: 0 bytes/workgroup (compile time only)
; SGPRBlocks: 0
; VGPRBlocks: 31
; NumSGPRsForWavesPerEU: 24
; NumVGPRsForWavesPerEU: 256
; Occupancy: 4
; WaveLimiterHint : 0
; COMPUTE_PGM_RSRC2:SCRATCH_EN: 1
; COMPUTE_PGM_RSRC2:USER_SGPR: 6
; COMPUTE_PGM_RSRC2:TRAP_HANDLER: 0
; COMPUTE_PGM_RSRC2:TGID_X_EN: 1
; COMPUTE_PGM_RSRC2:TGID_Y_EN: 1
; COMPUTE_PGM_RSRC2:TGID_Z_EN: 0
; COMPUTE_PGM_RSRC2:TIDIG_COMP_CNT: 1
	.section	.text._ZN9rocsolver6v33100L18getf2_small_kernelILi59E19rocblas_complex_numIdEiiPS3_EEvT1_T3_lS5_lPS5_llPT2_S5_S5_S7_l,"axG",@progbits,_ZN9rocsolver6v33100L18getf2_small_kernelILi59E19rocblas_complex_numIdEiiPS3_EEvT1_T3_lS5_lPS5_llPT2_S5_S5_S7_l,comdat
	.globl	_ZN9rocsolver6v33100L18getf2_small_kernelILi59E19rocblas_complex_numIdEiiPS3_EEvT1_T3_lS5_lPS5_llPT2_S5_S5_S7_l ; -- Begin function _ZN9rocsolver6v33100L18getf2_small_kernelILi59E19rocblas_complex_numIdEiiPS3_EEvT1_T3_lS5_lPS5_llPT2_S5_S5_S7_l
	.p2align	8
	.type	_ZN9rocsolver6v33100L18getf2_small_kernelILi59E19rocblas_complex_numIdEiiPS3_EEvT1_T3_lS5_lPS5_llPT2_S5_S5_S7_l,@function
_ZN9rocsolver6v33100L18getf2_small_kernelILi59E19rocblas_complex_numIdEiiPS3_EEvT1_T3_lS5_lPS5_llPT2_S5_S5_S7_l: ; @_ZN9rocsolver6v33100L18getf2_small_kernelILi59E19rocblas_complex_numIdEiiPS3_EEvT1_T3_lS5_lPS5_llPT2_S5_S5_S7_l
; %bb.0:
	s_mov_b64 s[22:23], s[2:3]
	s_mov_b64 s[20:21], s[0:1]
	s_clause 0x1
	s_load_dword s0, s[4:5], 0x6c
	s_load_dwordx2 s[16:17], s[4:5], 0x48
	s_add_u32 s20, s20, s8
	s_addc_u32 s21, s21, 0
	s_waitcnt lgkmcnt(0)
	s_lshr_b32 s0, s0, 16
	v_mad_u64_u32 v[8:9], null, s7, s0, v[1:2]
	s_mov_b32 s0, exec_lo
	v_cmpx_gt_i32_e64 s16, v8
	s_cbranch_execnz .LBB116_1
; %bb.1243:
	s_getpc_b64 s[18:19]
.Lpost_getpc18:
	s_add_u32 s18, s18, (.LBB116_1242-.Lpost_getpc18)&4294967295
	s_addc_u32 s19, s19, (.LBB116_1242-.Lpost_getpc18)>>32
	s_setpc_b64 s[18:19]
.LBB116_1:
	s_load_dwordx4 s[0:3], s[4:5], 0x50
	v_mov_b32_e32 v2, 0
	v_ashrrev_i32_e32 v9, 31, v8
	v_mov_b32_e32 v3, 0
	buffer_store_dword v2, off, s[20:23], 0 offset:16 ; 4-byte Folded Spill
	buffer_store_dword v3, off, s[20:23], 0 offset:20 ; 4-byte Folded Spill
	s_waitcnt lgkmcnt(0)
	s_cmp_eq_u64 s[0:1], 0
	s_cselect_b32 s16, -1, 0
	s_and_b32 vcc_lo, exec_lo, s16
	s_cbranch_vccnz .LBB116_3
; %bb.2:
	v_mul_lo_u32 v4, s3, v8
	v_mul_lo_u32 v5, s2, v9
	v_mad_u64_u32 v[2:3], null, s2, v8, 0
	v_add3_u32 v3, v3, v5, v4
	v_lshlrev_b64 v[2:3], 2, v[2:3]
	v_add_co_u32 v2, vcc_lo, s0, v2
	v_add_co_ci_u32_e64 v3, null, s1, v3, vcc_lo
	buffer_store_dword v2, off, s[20:23], 0 offset:16 ; 4-byte Folded Spill
	buffer_store_dword v3, off, s[20:23], 0 offset:20 ; 4-byte Folded Spill
.LBB116_3:
	s_clause 0x2
	s_load_dwordx8 s[8:15], s[4:5], 0x20
	s_load_dword s6, s[4:5], 0x18
	s_load_dwordx4 s[0:3], s[4:5], 0x8
	v_mov_b32_e32 v250, v9
	v_mov_b32_e32 v249, v8
	v_lshlrev_b32_e32 v248, 4, v0
	s_waitcnt lgkmcnt(0)
	v_mul_lo_u32 v5, s9, v8
	v_mul_lo_u32 v7, s8, v9
	v_mad_u64_u32 v[2:3], null, s8, v8, 0
	v_add3_u32 v4, s6, s6, v0
	s_lshl_b64 s[2:3], s[2:3], 4
	s_ashr_i32 s7, s6, 31
	s_clause 0x1
	s_load_dword s8, s[4:5], 0x0
	s_load_dwordx2 s[4:5], s[4:5], 0x40
	v_add_nc_u32_e32 v6, s6, v4
	v_add3_u32 v3, v3, v7, v5
	v_ashrrev_i32_e32 v5, 31, v4
	v_add_nc_u32_e32 v8, s6, v6
	v_lshlrev_b64 v[2:3], 4, v[2:3]
	v_ashrrev_i32_e32 v7, 31, v6
	v_lshlrev_b64 v[4:5], 4, v[4:5]
	v_ashrrev_i32_e32 v9, 31, v8
	v_add_nc_u32_e32 v10, s6, v8
	v_add_co_u32 v12, vcc_lo, s0, v2
	v_add_co_ci_u32_e64 v13, null, s1, v3, vcc_lo
	v_lshlrev_b64 v[2:3], 4, v[8:9]
	v_add_nc_u32_e32 v8, s6, v10
	v_add_co_u32 v255, vcc_lo, v12, s2
	v_ashrrev_i32_e32 v11, 31, v10
	v_lshlrev_b64 v[6:7], 4, v[6:7]
	v_add_nc_u32_e32 v12, s6, v8
	v_add_co_ci_u32_e64 v86, null, s3, v13, vcc_lo
	v_ashrrev_i32_e32 v9, 31, v8
	v_lshlrev_b64 v[10:11], 4, v[10:11]
	v_add_nc_u32_e32 v14, s6, v12
	v_ashrrev_i32_e32 v13, 31, v12
	v_add_co_u32 v4, vcc_lo, v255, v4
	v_add_co_ci_u32_e64 v5, null, v86, v5, vcc_lo
	v_add_nc_u32_e32 v16, s6, v14
	v_ashrrev_i32_e32 v15, 31, v14
	v_add_co_u32 v6, vcc_lo, v255, v6
	v_lshlrev_b64 v[8:9], 4, v[8:9]
	v_add_nc_u32_e32 v18, s6, v16
	v_ashrrev_i32_e32 v17, 31, v16
	v_add_co_ci_u32_e64 v7, null, v86, v7, vcc_lo
	v_add_co_u32 v2, vcc_lo, v255, v2
	v_add_nc_u32_e32 v20, s6, v18
	v_lshlrev_b64 v[12:13], 4, v[12:13]
	v_ashrrev_i32_e32 v19, 31, v18
	v_add_co_ci_u32_e64 v3, null, v86, v3, vcc_lo
	v_add_nc_u32_e32 v22, s6, v20
	v_add_co_u32 v10, vcc_lo, v255, v10
	v_lshlrev_b64 v[14:15], 4, v[14:15]
	v_ashrrev_i32_e32 v21, 31, v20
	v_add_nc_u32_e32 v24, s6, v22
	v_add_co_ci_u32_e64 v11, null, v86, v11, vcc_lo
	v_add_co_u32 v8, vcc_lo, v255, v8
	v_add_nc_u32_e32 v26, s6, v24
	v_lshlrev_b64 v[16:17], 4, v[16:17]
	v_ashrrev_i32_e32 v23, 31, v22
	v_add_co_ci_u32_e64 v9, null, v86, v9, vcc_lo
	v_add_nc_u32_e32 v28, s6, v26
	v_add_co_u32 v12, vcc_lo, v255, v12
	v_lshlrev_b64 v[18:19], 4, v[18:19]
	v_ashrrev_i32_e32 v25, 31, v24
	v_add_nc_u32_e32 v30, s6, v28
	;; [unrolled: 11-line block ×8, first 2 shown]
	v_add_co_ci_u32_e64 v37, null, v86, v37, vcc_lo
	v_add_co_u32 v38, vcc_lo, v255, v38
	v_add_nc_u32_e32 v68, s6, v66
	v_lshlrev_b64 v[44:45], 4, v[44:45]
	v_ashrrev_i32_e32 v51, 31, v50
	v_add_co_ci_u32_e64 v39, null, v86, v39, vcc_lo
	v_add_co_u32 v40, vcc_lo, v255, v40
	v_lshlrev_b64 v[46:47], 4, v[46:47]
	v_add_nc_u32_e32 v70, s6, v68
	v_ashrrev_i32_e32 v53, 31, v52
	v_add_co_ci_u32_e64 v41, null, v86, v41, vcc_lo
	v_add_co_u32 v42, vcc_lo, v255, v42
	v_lshlrev_b64 v[48:49], 4, v[48:49]
	v_ashrrev_i32_e32 v55, 31, v54
	v_add_co_ci_u32_e64 v43, null, v86, v43, vcc_lo
	v_add_co_u32 v44, vcc_lo, v255, v44
	v_lshlrev_b64 v[50:51], 4, v[50:51]
	v_ashrrev_i32_e32 v57, 31, v56
	v_add_nc_u32_e32 v72, s6, v70
	v_add_co_ci_u32_e64 v45, null, v86, v45, vcc_lo
	v_add_co_u32 v46, vcc_lo, v255, v46
	v_lshlrev_b64 v[52:53], 4, v[52:53]
	v_ashrrev_i32_e32 v59, 31, v58
	v_add_co_ci_u32_e64 v47, null, v86, v47, vcc_lo
	v_add_co_u32 v48, vcc_lo, v255, v48
	v_lshlrev_b64 v[54:55], 4, v[54:55]
	v_ashrrev_i32_e32 v61, 31, v60
	v_add_co_ci_u32_e64 v49, null, v86, v49, vcc_lo
	v_add_co_u32 v50, vcc_lo, v255, v50
	v_lshlrev_b64 v[56:57], 4, v[56:57]
	v_add_nc_u32_e32 v74, s6, v72
	v_ashrrev_i32_e32 v63, 31, v62
	v_add_co_ci_u32_e64 v51, null, v86, v51, vcc_lo
	v_add_co_u32 v52, vcc_lo, v255, v52
	v_lshlrev_b64 v[58:59], 4, v[58:59]
	v_ashrrev_i32_e32 v65, 31, v64
	v_add_co_ci_u32_e64 v53, null, v86, v53, vcc_lo
	v_add_co_u32 v54, vcc_lo, v255, v54
	v_lshlrev_b64 v[60:61], 4, v[60:61]
	v_ashrrev_i32_e32 v67, 31, v66
	v_add_nc_u32_e32 v76, s6, v74
	v_add_co_ci_u32_e64 v55, null, v86, v55, vcc_lo
	v_add_co_u32 v56, vcc_lo, v255, v56
	v_lshlrev_b64 v[62:63], 4, v[62:63]
	v_ashrrev_i32_e32 v69, 31, v68
	v_add_co_ci_u32_e64 v57, null, v86, v57, vcc_lo
	v_add_co_u32 v58, vcc_lo, v255, v58
	;; [unrolled: 22-line block ×3, first 2 shown]
	v_lshlrev_b64 v[74:75], 4, v[74:75]
	v_add_co_ci_u32_e64 v69, null, v86, v69, vcc_lo
	v_add_co_u32 v70, vcc_lo, v255, v70
	v_lshlrev_b64 v[76:77], 4, v[76:77]
	v_add_nc_u32_e32 v82, s6, v80
	v_add_co_ci_u32_e64 v71, null, v86, v71, vcc_lo
	v_add_co_u32 v72, vcc_lo, v255, v72
	v_lshlrev_b64 v[78:79], 4, v[78:79]
	v_ashrrev_i32_e32 v81, 31, v80
	v_add_co_ci_u32_e64 v73, null, v86, v73, vcc_lo
	v_add_co_u32 v74, vcc_lo, v255, v74
	v_ashrrev_i32_e32 v83, 31, v82
	v_add_nc_u32_e32 v84, s6, v82
	v_add_co_ci_u32_e64 v75, null, v86, v75, vcc_lo
	v_add_co_u32 v76, vcc_lo, v255, v76
	v_lshlrev_b64 v[80:81], 4, v[80:81]
	v_add_co_ci_u32_e64 v77, null, v86, v77, vcc_lo
	v_add_co_u32 v238, vcc_lo, v255, v78
	v_add_co_ci_u32_e64 v239, null, v86, v79, vcc_lo
	v_lshlrev_b64 v[78:79], 4, v[82:83]
	v_ashrrev_i32_e32 v85, 31, v84
	v_add_nc_u32_e32 v82, s6, v84
	v_add_co_u32 v240, vcc_lo, v255, v80
	v_add_co_ci_u32_e64 v241, null, v86, v81, vcc_lo
	v_lshlrev_b64 v[80:81], 4, v[84:85]
	v_ashrrev_i32_e32 v83, 31, v82
	v_add_nc_u32_e32 v84, s6, v82
	;; [unrolled: 5-line block ×13, first 2 shown]
	v_add_co_u32 v222, vcc_lo, v255, v80
	v_add_co_ci_u32_e64 v223, null, v86, v81, vcc_lo
	v_lshlrev_b64 v[80:81], 4, v[84:85]
	v_add_nc_u32_e32 v84, s6, v82
	v_ashrrev_i32_e32 v83, 31, v82
	v_add_co_u32 v224, vcc_lo, v255, v78
	v_add_co_ci_u32_e64 v225, null, v86, v79, vcc_lo
	v_ashrrev_i32_e32 v85, 31, v84
	v_lshlrev_b64 v[78:79], 4, v[82:83]
	v_add_co_u32 v218, vcc_lo, v255, v80
	v_add_co_ci_u32_e64 v219, null, v86, v81, vcc_lo
	v_lshlrev_b64 v[80:81], 4, v[84:85]
	v_add_nc_u32_e32 v82, s6, v84
	v_add_co_u32 v220, vcc_lo, v255, v78
	v_add_co_ci_u32_e64 v221, null, v86, v79, vcc_lo
	v_ashrrev_i32_e32 v83, 31, v82
	v_add_co_u32 v214, vcc_lo, v255, v80
	v_add_co_ci_u32_e64 v215, null, v86, v81, vcc_lo
	v_add_co_u32 v80, vcc_lo, v255, v248
	v_add_co_ci_u32_e64 v81, null, 0, v86, vcc_lo
	v_lshlrev_b64 v[78:79], 4, v[82:83]
	s_lshl_b64 s[2:3], s[6:7], 4
	buffer_store_dword v86, off, s[20:23], 0 offset:88 ; 4-byte Folded Spill
	v_add_co_u32 v82, vcc_lo, v80, s2
	v_add_co_ci_u32_e64 v83, null, s3, v81, vcc_lo
	v_add_co_u32 v216, vcc_lo, v255, v78
	v_add_co_ci_u32_e64 v217, null, v86, v79, vcc_lo
	s_clause 0x1
	global_load_dwordx4 v[210:213], v[80:81], off
	global_load_dwordx4 v[78:81], v[82:83], off
	s_waitcnt lgkmcnt(0)
	s_max_i32 s0, s8, 59
	s_cmp_lt_i32 s8, 2
	s_waitcnt vmcnt(0)
	buffer_store_dword v78, off, s[20:23], 0 offset:56 ; 4-byte Folded Spill
	buffer_store_dword v79, off, s[20:23], 0 offset:60 ; 4-byte Folded Spill
	buffer_store_dword v80, off, s[20:23], 0 offset:64 ; 4-byte Folded Spill
	buffer_store_dword v81, off, s[20:23], 0 offset:68 ; 4-byte Folded Spill
	global_load_dwordx4 v[78:81], v[4:5], off
	s_waitcnt vmcnt(0)
	buffer_store_dword v78, off, s[20:23], 0 offset:40 ; 4-byte Folded Spill
	buffer_store_dword v79, off, s[20:23], 0 offset:44 ; 4-byte Folded Spill
	buffer_store_dword v80, off, s[20:23], 0 offset:48 ; 4-byte Folded Spill
	buffer_store_dword v81, off, s[20:23], 0 offset:52 ; 4-byte Folded Spill
	global_load_dwordx4 v[4:7], v[6:7], off
	;; [unrolled: 6-line block ×3, first 2 shown]
	s_waitcnt vmcnt(0)
	buffer_store_dword v2, off, s[20:23], 0 offset:92 ; 4-byte Folded Spill
	buffer_store_dword v3, off, s[20:23], 0 offset:96 ; 4-byte Folded Spill
	;; [unrolled: 1-line block ×4, first 2 shown]
	s_clause 0x35
	global_load_dwordx4 v[2:5], v[10:11], off
	global_load_dwordx4 v[206:209], v[8:9], off
	;; [unrolled: 1-line block ×54, first 2 shown]
	buffer_store_dword v210, off, s[20:23], 0 offset:72 ; 4-byte Folded Spill
	buffer_store_dword v211, off, s[20:23], 0 offset:76 ; 4-byte Folded Spill
	;; [unrolled: 1-line block ×4, first 2 shown]
	v_mul_lo_u32 v214, s0, v1
	v_mov_b32_e32 v246, 0
	v_lshl_add_u32 v1, v214, 4, 0
	v_add_nc_u32_e32 v215, v1, v248
	v_lshlrev_b32_e32 v248, 4, v214
	ds_write2_b64 v215, v[210:211], v[212:213] offset1:1
	s_waitcnt vmcnt(0) lgkmcnt(0)
	s_waitcnt_vscnt null, 0x0
	s_barrier
	buffer_gl0_inv
	ds_read2_b64 v[238:241], v1 offset1:1
	buffer_store_dword v206, off, s[20:23], 0 ; 4-byte Folded Spill
	buffer_store_dword v207, off, s[20:23], 0 offset:4 ; 4-byte Folded Spill
	buffer_store_dword v208, off, s[20:23], 0 offset:8 ; 4-byte Folded Spill
	;; [unrolled: 1-line block ×3, first 2 shown]
	s_cbranch_scc1 .LBB116_6
; %bb.4:
	v_add3_u32 v247, v248, 0, 16
	v_mov_b32_e32 v246, 0
	s_mov_b32 s0, 1
	s_inst_prefetch 0x1
	.p2align	6
.LBB116_5:                              ; =>This Inner Loop Header: Depth=1
	s_waitcnt lgkmcnt(0)
	v_cmp_gt_f64_e32 vcc_lo, 0, v[238:239]
	v_xor_b32_e32 v214, 0x80000000, v239
	ds_read2_b64 v[251:254], v247 offset1:1
	v_xor_b32_e32 v216, 0x80000000, v241
	v_add_nc_u32_e32 v247, 16, v247
	s_waitcnt lgkmcnt(0)
	v_xor_b32_e32 v218, 0x80000000, v254
	v_cndmask_b32_e32 v215, v239, v214, vcc_lo
	v_cmp_gt_f64_e32 vcc_lo, 0, v[240:241]
	v_mov_b32_e32 v214, v238
	v_cndmask_b32_e32 v217, v241, v216, vcc_lo
	v_cmp_gt_f64_e32 vcc_lo, 0, v[251:252]
	v_mov_b32_e32 v216, v240
	v_add_f64 v[214:215], v[214:215], v[216:217]
	v_xor_b32_e32 v216, 0x80000000, v252
	v_cndmask_b32_e32 v217, v252, v216, vcc_lo
	v_cmp_gt_f64_e32 vcc_lo, 0, v[253:254]
	v_mov_b32_e32 v216, v251
	v_cndmask_b32_e32 v219, v254, v218, vcc_lo
	v_mov_b32_e32 v218, v253
	v_add_f64 v[216:217], v[216:217], v[218:219]
	v_cmp_lt_f64_e32 vcc_lo, v[214:215], v[216:217]
	v_cndmask_b32_e32 v239, v239, v252, vcc_lo
	v_cndmask_b32_e32 v238, v238, v251, vcc_lo
	;; [unrolled: 1-line block ×4, first 2 shown]
	v_cndmask_b32_e64 v246, v246, s0, vcc_lo
	s_add_i32 s0, s0, 1
	s_cmp_eq_u32 s8, s0
	s_cbranch_scc0 .LBB116_5
.LBB116_6:
	s_inst_prefetch 0x2
	s_waitcnt lgkmcnt(0)
	v_cmp_neq_f64_e32 vcc_lo, 0, v[238:239]
	v_cmp_neq_f64_e64 s0, 0, v[240:241]
	v_mov_b32_e32 v209, v13
	v_mov_b32_e32 v208, v12
	;; [unrolled: 1-line block ×10, first 2 shown]
	s_or_b32 s1, vcc_lo, s0
	s_mov_b32 s0, exec_lo
	s_clause 0x3
	buffer_load_dword v2, off, s[20:23], 0 offset:92
	buffer_load_dword v3, off, s[20:23], 0 offset:96
	;; [unrolled: 1-line block ×4, first 2 shown]
	s_and_b32 s1, s0, s1
	s_mov_b32 exec_lo, s1
	s_cbranch_execz .LBB116_12
; %bb.7:
	v_cmp_ngt_f64_e64 s1, |v[238:239]|, |v[240:241]|
	s_and_saveexec_b32 s7, s1
	s_xor_b32 s1, exec_lo, s7
	s_cbranch_execz .LBB116_9
; %bb.8:
	v_div_scale_f64 v[214:215], null, v[240:241], v[240:241], v[238:239]
	v_div_scale_f64 v[220:221], vcc_lo, v[238:239], v[240:241], v[238:239]
	v_rcp_f64_e32 v[216:217], v[214:215]
	v_fma_f64 v[218:219], -v[214:215], v[216:217], 1.0
	v_fma_f64 v[216:217], v[216:217], v[218:219], v[216:217]
	v_fma_f64 v[218:219], -v[214:215], v[216:217], 1.0
	v_fma_f64 v[216:217], v[216:217], v[218:219], v[216:217]
	v_mul_f64 v[218:219], v[220:221], v[216:217]
	v_fma_f64 v[214:215], -v[214:215], v[218:219], v[220:221]
	v_div_fmas_f64 v[214:215], v[214:215], v[216:217], v[218:219]
	v_div_fixup_f64 v[214:215], v[214:215], v[240:241], v[238:239]
	v_fma_f64 v[216:217], v[238:239], v[214:215], v[240:241]
	v_div_scale_f64 v[218:219], null, v[216:217], v[216:217], 1.0
	v_rcp_f64_e32 v[220:221], v[218:219]
	v_fma_f64 v[222:223], -v[218:219], v[220:221], 1.0
	v_fma_f64 v[220:221], v[220:221], v[222:223], v[220:221]
	v_fma_f64 v[222:223], -v[218:219], v[220:221], 1.0
	v_fma_f64 v[220:221], v[220:221], v[222:223], v[220:221]
	v_div_scale_f64 v[222:223], vcc_lo, 1.0, v[216:217], 1.0
	v_mul_f64 v[224:225], v[222:223], v[220:221]
	v_fma_f64 v[218:219], -v[218:219], v[224:225], v[222:223]
	v_div_fmas_f64 v[218:219], v[218:219], v[220:221], v[224:225]
	v_div_fixup_f64 v[240:241], v[218:219], v[216:217], 1.0
	v_mul_f64 v[238:239], v[214:215], v[240:241]
	v_xor_b32_e32 v241, 0x80000000, v241
.LBB116_9:
	s_andn2_saveexec_b32 s1, s1
	s_cbranch_execz .LBB116_11
; %bb.10:
	v_div_scale_f64 v[214:215], null, v[238:239], v[238:239], v[240:241]
	v_div_scale_f64 v[220:221], vcc_lo, v[240:241], v[238:239], v[240:241]
	v_rcp_f64_e32 v[216:217], v[214:215]
	v_fma_f64 v[218:219], -v[214:215], v[216:217], 1.0
	v_fma_f64 v[216:217], v[216:217], v[218:219], v[216:217]
	v_fma_f64 v[218:219], -v[214:215], v[216:217], 1.0
	v_fma_f64 v[216:217], v[216:217], v[218:219], v[216:217]
	v_mul_f64 v[218:219], v[220:221], v[216:217]
	v_fma_f64 v[214:215], -v[214:215], v[218:219], v[220:221]
	v_div_fmas_f64 v[214:215], v[214:215], v[216:217], v[218:219]
	v_div_fixup_f64 v[214:215], v[214:215], v[238:239], v[240:241]
	v_fma_f64 v[216:217], v[240:241], v[214:215], v[238:239]
	v_div_scale_f64 v[218:219], null, v[216:217], v[216:217], 1.0
	v_rcp_f64_e32 v[220:221], v[218:219]
	v_fma_f64 v[222:223], -v[218:219], v[220:221], 1.0
	v_fma_f64 v[220:221], v[220:221], v[222:223], v[220:221]
	v_fma_f64 v[222:223], -v[218:219], v[220:221], 1.0
	v_fma_f64 v[220:221], v[220:221], v[222:223], v[220:221]
	v_div_scale_f64 v[222:223], vcc_lo, 1.0, v[216:217], 1.0
	v_mul_f64 v[224:225], v[222:223], v[220:221]
	v_fma_f64 v[218:219], -v[218:219], v[224:225], v[222:223]
	v_div_fmas_f64 v[218:219], v[218:219], v[220:221], v[224:225]
	v_div_fixup_f64 v[238:239], v[218:219], v[216:217], 1.0
	v_mul_f64 v[240:241], v[214:215], -v[238:239]
.LBB116_11:
	s_or_b32 exec_lo, exec_lo, s1
	v_mov_b32_e32 v253, 0
	v_mov_b32_e32 v251, 2
.LBB116_12:
	s_or_b32 exec_lo, exec_lo, s0
	s_mov_b32 s0, exec_lo
	v_cmpx_ne_u32_e64 v0, v246
	s_xor_b32 s0, exec_lo, s0
	s_cbranch_execz .LBB116_18
; %bb.13:
	s_mov_b32 s1, exec_lo
	v_cmpx_eq_u32_e32 0, v0
	s_cbranch_execz .LBB116_17
; %bb.14:
	v_cmp_ne_u32_e32 vcc_lo, 0, v246
	s_xor_b32 s7, s16, -1
	s_and_b32 s9, s7, vcc_lo
	s_and_saveexec_b32 s7, s9
	s_cbranch_execz .LBB116_16
; %bb.15:
	s_clause 0x1
	buffer_load_dword v210, off, s[20:23], 0 offset:16
	buffer_load_dword v211, off, s[20:23], 0 offset:20
	v_ashrrev_i32_e32 v247, 31, v246
	v_lshlrev_b64 v[214:215], 2, v[246:247]
	s_waitcnt vmcnt(1)
	v_add_co_u32 v214, vcc_lo, v210, v214
	s_waitcnt vmcnt(0)
	v_add_co_ci_u32_e64 v215, null, v211, v215, vcc_lo
	s_clause 0x1
	global_load_dword v0, v[214:215], off
	global_load_dword v216, v[210:211], off
	s_waitcnt vmcnt(1)
	global_store_dword v[210:211], v0, off
	s_waitcnt vmcnt(0)
	global_store_dword v[214:215], v216, off
.LBB116_16:
	s_or_b32 exec_lo, exec_lo, s7
	v_mov_b32_e32 v0, v246
.LBB116_17:
	s_or_b32 exec_lo, exec_lo, s1
.LBB116_18:
	s_or_saveexec_b32 s0, s0
	v_mov_b32_e32 v252, v0
	s_xor_b32 exec_lo, exec_lo, s0
	s_cbranch_execz .LBB116_20
; %bb.19:
	s_clause 0x3
	buffer_load_dword v210, off, s[20:23], 0 offset:56
	buffer_load_dword v211, off, s[20:23], 0 offset:60
	;; [unrolled: 1-line block ×4, first 2 shown]
	v_mov_b32_e32 v252, 0
	s_waitcnt vmcnt(0)
	ds_write2_b64 v1, v[210:211], v[212:213] offset0:2 offset1:3
	s_clause 0x3
	buffer_load_dword v210, off, s[20:23], 0 offset:40
	buffer_load_dword v211, off, s[20:23], 0 offset:44
	;; [unrolled: 1-line block ×4, first 2 shown]
	s_waitcnt vmcnt(0)
	ds_write2_b64 v1, v[210:211], v[212:213] offset0:4 offset1:5
	s_clause 0x3
	buffer_load_dword v210, off, s[20:23], 0 offset:24
	buffer_load_dword v211, off, s[20:23], 0 offset:28
	;; [unrolled: 1-line block ×4, first 2 shown]
	s_waitcnt vmcnt(0)
	ds_write2_b64 v1, v[210:211], v[212:213] offset0:6 offset1:7
	ds_write2_b64 v1, v[2:3], v[4:5] offset0:8 offset1:9
	;; [unrolled: 1-line block ×3, first 2 shown]
	s_clause 0x3
	buffer_load_dword v210, off, s[20:23], 0
	buffer_load_dword v211, off, s[20:23], 0 offset:4
	buffer_load_dword v212, off, s[20:23], 0 offset:8
	;; [unrolled: 1-line block ×3, first 2 shown]
	s_waitcnt vmcnt(0)
	ds_write2_b64 v1, v[210:211], v[212:213] offset0:12 offset1:13
	ds_write2_b64 v1, v[206:207], v[208:209] offset0:14 offset1:15
	;; [unrolled: 1-line block ×53, first 2 shown]
.LBB116_20:
	s_or_b32 exec_lo, exec_lo, s0
	s_mov_b32 s0, exec_lo
	s_waitcnt vmcnt(0) lgkmcnt(0)
	s_waitcnt_vscnt null, 0x0
	s_barrier
	buffer_gl0_inv
	v_cmpx_lt_i32_e32 0, v252
	s_cbranch_execz .LBB116_22
; %bb.21:
	s_clause 0x3
	buffer_load_dword v216, off, s[20:23], 0 offset:72
	buffer_load_dword v217, off, s[20:23], 0 offset:76
	;; [unrolled: 1-line block ×4, first 2 shown]
	s_waitcnt vmcnt(0)
	v_mul_f64 v[214:215], v[240:241], v[218:219]
	v_fma_f64 v[246:247], v[238:239], v[216:217], -v[214:215]
	v_mul_f64 v[214:215], v[238:239], v[218:219]
	v_fma_f64 v[218:219], v[240:241], v[216:217], v[214:215]
	ds_read2_b64 v[238:241], v1 offset0:2 offset1:3
	s_clause 0x3
	buffer_load_dword v210, off, s[20:23], 0 offset:56
	buffer_load_dword v211, off, s[20:23], 0 offset:60
	buffer_load_dword v212, off, s[20:23], 0 offset:64
	buffer_load_dword v213, off, s[20:23], 0 offset:68
	s_waitcnt lgkmcnt(0)
	v_mul_f64 v[214:215], v[240:241], v[218:219]
	v_mul_f64 v[216:217], v[238:239], v[218:219]
	v_fma_f64 v[214:215], v[238:239], v[246:247], -v[214:215]
	v_fma_f64 v[216:217], v[240:241], v[246:247], v[216:217]
	s_waitcnt vmcnt(2)
	v_add_f64 v[210:211], v[210:211], -v[214:215]
	s_waitcnt vmcnt(0)
	v_add_f64 v[212:213], v[212:213], -v[216:217]
	buffer_store_dword v210, off, s[20:23], 0 offset:56 ; 4-byte Folded Spill
	buffer_store_dword v211, off, s[20:23], 0 offset:60 ; 4-byte Folded Spill
	buffer_store_dword v212, off, s[20:23], 0 offset:64 ; 4-byte Folded Spill
	buffer_store_dword v213, off, s[20:23], 0 offset:68 ; 4-byte Folded Spill
	ds_read2_b64 v[238:241], v1 offset0:4 offset1:5
	s_clause 0x3
	buffer_load_dword v210, off, s[20:23], 0 offset:40
	buffer_load_dword v211, off, s[20:23], 0 offset:44
	buffer_load_dword v212, off, s[20:23], 0 offset:48
	buffer_load_dword v213, off, s[20:23], 0 offset:52
	s_waitcnt lgkmcnt(0)
	v_mul_f64 v[214:215], v[240:241], v[218:219]
	v_mul_f64 v[216:217], v[238:239], v[218:219]
	v_fma_f64 v[214:215], v[238:239], v[246:247], -v[214:215]
	v_fma_f64 v[216:217], v[240:241], v[246:247], v[216:217]
	s_waitcnt vmcnt(2)
	v_add_f64 v[210:211], v[210:211], -v[214:215]
	s_waitcnt vmcnt(0)
	v_add_f64 v[212:213], v[212:213], -v[216:217]
	buffer_store_dword v210, off, s[20:23], 0 offset:40 ; 4-byte Folded Spill
	buffer_store_dword v211, off, s[20:23], 0 offset:44 ; 4-byte Folded Spill
	buffer_store_dword v212, off, s[20:23], 0 offset:48 ; 4-byte Folded Spill
	buffer_store_dword v213, off, s[20:23], 0 offset:52 ; 4-byte Folded Spill
	;; [unrolled: 19-line block ×3, first 2 shown]
	ds_read2_b64 v[238:241], v1 offset0:8 offset1:9
	s_waitcnt lgkmcnt(0)
	v_mul_f64 v[214:215], v[240:241], v[218:219]
	v_mul_f64 v[216:217], v[238:239], v[218:219]
	v_fma_f64 v[214:215], v[238:239], v[246:247], -v[214:215]
	v_fma_f64 v[216:217], v[240:241], v[246:247], v[216:217]
	ds_read2_b64 v[238:241], v1 offset0:10 offset1:11
	v_add_f64 v[2:3], v[2:3], -v[214:215]
	v_add_f64 v[4:5], v[4:5], -v[216:217]
	s_waitcnt lgkmcnt(0)
	v_mul_f64 v[214:215], v[240:241], v[218:219]
	v_mul_f64 v[216:217], v[238:239], v[218:219]
	v_fma_f64 v[214:215], v[238:239], v[246:247], -v[214:215]
	v_fma_f64 v[216:217], v[240:241], v[246:247], v[216:217]
	ds_read2_b64 v[238:241], v1 offset0:12 offset1:13
	s_clause 0x3
	buffer_load_dword v210, off, s[20:23], 0
	buffer_load_dword v211, off, s[20:23], 0 offset:4
	buffer_load_dword v212, off, s[20:23], 0 offset:8
	;; [unrolled: 1-line block ×3, first 2 shown]
	v_add_f64 v[10:11], v[10:11], -v[214:215]
	v_add_f64 v[12:13], v[12:13], -v[216:217]
	s_waitcnt lgkmcnt(0)
	v_mul_f64 v[214:215], v[240:241], v[218:219]
	v_mul_f64 v[216:217], v[238:239], v[218:219]
	v_fma_f64 v[214:215], v[238:239], v[246:247], -v[214:215]
	v_fma_f64 v[216:217], v[240:241], v[246:247], v[216:217]
	s_waitcnt vmcnt(2)
	v_add_f64 v[210:211], v[210:211], -v[214:215]
	s_waitcnt vmcnt(0)
	v_add_f64 v[212:213], v[212:213], -v[216:217]
	buffer_store_dword v210, off, s[20:23], 0 ; 4-byte Folded Spill
	buffer_store_dword v211, off, s[20:23], 0 offset:4 ; 4-byte Folded Spill
	buffer_store_dword v212, off, s[20:23], 0 offset:8 ; 4-byte Folded Spill
	;; [unrolled: 1-line block ×3, first 2 shown]
	ds_read2_b64 v[238:241], v1 offset0:14 offset1:15
	s_waitcnt lgkmcnt(0)
	v_mul_f64 v[214:215], v[240:241], v[218:219]
	v_mul_f64 v[216:217], v[238:239], v[218:219]
	v_fma_f64 v[214:215], v[238:239], v[246:247], -v[214:215]
	v_fma_f64 v[216:217], v[240:241], v[246:247], v[216:217]
	ds_read2_b64 v[238:241], v1 offset0:16 offset1:17
	v_add_f64 v[206:207], v[206:207], -v[214:215]
	v_add_f64 v[208:209], v[208:209], -v[216:217]
	s_waitcnt lgkmcnt(0)
	v_mul_f64 v[214:215], v[240:241], v[218:219]
	v_mul_f64 v[216:217], v[238:239], v[218:219]
	v_fma_f64 v[214:215], v[238:239], v[246:247], -v[214:215]
	v_fma_f64 v[216:217], v[240:241], v[246:247], v[216:217]
	ds_read2_b64 v[238:241], v1 offset0:18 offset1:19
	v_add_f64 v[202:203], v[202:203], -v[214:215]
	v_add_f64 v[204:205], v[204:205], -v[216:217]
	;; [unrolled: 8-line block ×51, first 2 shown]
	s_waitcnt lgkmcnt(0)
	v_mul_f64 v[214:215], v[240:241], v[218:219]
	v_mul_f64 v[216:217], v[238:239], v[218:219]
	v_fma_f64 v[214:215], v[238:239], v[246:247], -v[214:215]
	v_fma_f64 v[216:217], v[240:241], v[246:247], v[216:217]
	v_add_f64 v[226:227], v[226:227], -v[214:215]
	v_add_f64 v[228:229], v[228:229], -v[216:217]
	v_mov_b32_e32 v216, v246
	v_mov_b32_e32 v217, v247
	buffer_store_dword v216, off, s[20:23], 0 offset:72 ; 4-byte Folded Spill
	buffer_store_dword v217, off, s[20:23], 0 offset:76 ; 4-byte Folded Spill
	;; [unrolled: 1-line block ×4, first 2 shown]
.LBB116_22:
	s_or_b32 exec_lo, exec_lo, s0
	s_waitcnt_vscnt null, 0x0
	s_barrier
	buffer_gl0_inv
	s_clause 0x3
	buffer_load_dword v210, off, s[20:23], 0 offset:56
	buffer_load_dword v211, off, s[20:23], 0 offset:60
	;; [unrolled: 1-line block ×4, first 2 shown]
	v_lshl_add_u32 v214, v252, 4, v1
	v_mov_b32_e32 v246, 1
	s_cmp_lt_i32 s8, 3
	s_waitcnt vmcnt(0)
	ds_write2_b64 v214, v[210:211], v[212:213] offset1:1
	s_waitcnt lgkmcnt(0)
	s_barrier
	buffer_gl0_inv
	ds_read2_b64 v[238:241], v1 offset0:2 offset1:3
	s_cbranch_scc1 .LBB116_25
; %bb.23:
	v_add3_u32 v247, v248, 0, 32
	v_mov_b32_e32 v246, 1
	s_mov_b32 s0, 2
	s_inst_prefetch 0x1
	.p2align	6
.LBB116_24:                             ; =>This Inner Loop Header: Depth=1
	s_waitcnt lgkmcnt(0)
	v_cmp_gt_f64_e32 vcc_lo, 0, v[238:239]
	v_xor_b32_e32 v214, 0x80000000, v239
	ds_read2_b64 v[242:245], v247 offset1:1
	v_xor_b32_e32 v216, 0x80000000, v241
	v_add_nc_u32_e32 v247, 16, v247
	s_waitcnt lgkmcnt(0)
	v_xor_b32_e32 v218, 0x80000000, v245
	v_cndmask_b32_e32 v215, v239, v214, vcc_lo
	v_cmp_gt_f64_e32 vcc_lo, 0, v[240:241]
	v_mov_b32_e32 v214, v238
	v_cndmask_b32_e32 v217, v241, v216, vcc_lo
	v_cmp_gt_f64_e32 vcc_lo, 0, v[242:243]
	v_mov_b32_e32 v216, v240
	v_add_f64 v[214:215], v[214:215], v[216:217]
	v_xor_b32_e32 v216, 0x80000000, v243
	v_cndmask_b32_e32 v217, v243, v216, vcc_lo
	v_cmp_gt_f64_e32 vcc_lo, 0, v[244:245]
	v_mov_b32_e32 v216, v242
	v_cndmask_b32_e32 v219, v245, v218, vcc_lo
	v_mov_b32_e32 v218, v244
	v_add_f64 v[216:217], v[216:217], v[218:219]
	v_cmp_lt_f64_e32 vcc_lo, v[214:215], v[216:217]
	v_cndmask_b32_e32 v239, v239, v243, vcc_lo
	v_cndmask_b32_e32 v238, v238, v242, vcc_lo
	;; [unrolled: 1-line block ×4, first 2 shown]
	v_cndmask_b32_e64 v246, v246, s0, vcc_lo
	s_add_i32 s0, s0, 1
	s_cmp_lg_u32 s8, s0
	s_cbranch_scc1 .LBB116_24
.LBB116_25:
	s_inst_prefetch 0x2
	s_waitcnt lgkmcnt(0)
	v_cmp_neq_f64_e32 vcc_lo, 0, v[238:239]
	v_cmp_neq_f64_e64 s0, 0, v[240:241]
	s_or_b32 s1, vcc_lo, s0
	s_and_saveexec_b32 s0, s1
	s_cbranch_execz .LBB116_31
; %bb.26:
	v_cmp_ngt_f64_e64 s1, |v[238:239]|, |v[240:241]|
	s_and_saveexec_b32 s7, s1
	s_xor_b32 s1, exec_lo, s7
	s_cbranch_execz .LBB116_28
; %bb.27:
	v_div_scale_f64 v[214:215], null, v[240:241], v[240:241], v[238:239]
	v_div_scale_f64 v[220:221], vcc_lo, v[238:239], v[240:241], v[238:239]
	v_rcp_f64_e32 v[216:217], v[214:215]
	v_fma_f64 v[218:219], -v[214:215], v[216:217], 1.0
	v_fma_f64 v[216:217], v[216:217], v[218:219], v[216:217]
	v_fma_f64 v[218:219], -v[214:215], v[216:217], 1.0
	v_fma_f64 v[216:217], v[216:217], v[218:219], v[216:217]
	v_mul_f64 v[218:219], v[220:221], v[216:217]
	v_fma_f64 v[214:215], -v[214:215], v[218:219], v[220:221]
	v_div_fmas_f64 v[214:215], v[214:215], v[216:217], v[218:219]
	v_div_fixup_f64 v[214:215], v[214:215], v[240:241], v[238:239]
	v_fma_f64 v[216:217], v[238:239], v[214:215], v[240:241]
	v_div_scale_f64 v[218:219], null, v[216:217], v[216:217], 1.0
	v_rcp_f64_e32 v[220:221], v[218:219]
	v_fma_f64 v[222:223], -v[218:219], v[220:221], 1.0
	v_fma_f64 v[220:221], v[220:221], v[222:223], v[220:221]
	v_fma_f64 v[222:223], -v[218:219], v[220:221], 1.0
	v_fma_f64 v[220:221], v[220:221], v[222:223], v[220:221]
	v_div_scale_f64 v[222:223], vcc_lo, 1.0, v[216:217], 1.0
	v_mul_f64 v[224:225], v[222:223], v[220:221]
	v_fma_f64 v[218:219], -v[218:219], v[224:225], v[222:223]
	v_div_fmas_f64 v[218:219], v[218:219], v[220:221], v[224:225]
	v_div_fixup_f64 v[240:241], v[218:219], v[216:217], 1.0
	v_mul_f64 v[238:239], v[214:215], v[240:241]
	v_xor_b32_e32 v241, 0x80000000, v241
.LBB116_28:
	s_andn2_saveexec_b32 s1, s1
	s_cbranch_execz .LBB116_30
; %bb.29:
	v_div_scale_f64 v[214:215], null, v[238:239], v[238:239], v[240:241]
	v_div_scale_f64 v[220:221], vcc_lo, v[240:241], v[238:239], v[240:241]
	v_rcp_f64_e32 v[216:217], v[214:215]
	v_fma_f64 v[218:219], -v[214:215], v[216:217], 1.0
	v_fma_f64 v[216:217], v[216:217], v[218:219], v[216:217]
	v_fma_f64 v[218:219], -v[214:215], v[216:217], 1.0
	v_fma_f64 v[216:217], v[216:217], v[218:219], v[216:217]
	v_mul_f64 v[218:219], v[220:221], v[216:217]
	v_fma_f64 v[214:215], -v[214:215], v[218:219], v[220:221]
	v_div_fmas_f64 v[214:215], v[214:215], v[216:217], v[218:219]
	v_div_fixup_f64 v[214:215], v[214:215], v[238:239], v[240:241]
	v_fma_f64 v[216:217], v[240:241], v[214:215], v[238:239]
	v_div_scale_f64 v[218:219], null, v[216:217], v[216:217], 1.0
	v_rcp_f64_e32 v[220:221], v[218:219]
	v_fma_f64 v[222:223], -v[218:219], v[220:221], 1.0
	v_fma_f64 v[220:221], v[220:221], v[222:223], v[220:221]
	v_fma_f64 v[222:223], -v[218:219], v[220:221], 1.0
	v_fma_f64 v[220:221], v[220:221], v[222:223], v[220:221]
	v_div_scale_f64 v[222:223], vcc_lo, 1.0, v[216:217], 1.0
	v_mul_f64 v[224:225], v[222:223], v[220:221]
	v_fma_f64 v[218:219], -v[218:219], v[224:225], v[222:223]
	v_div_fmas_f64 v[218:219], v[218:219], v[220:221], v[224:225]
	v_div_fixup_f64 v[238:239], v[218:219], v[216:217], 1.0
	v_mul_f64 v[240:241], v[214:215], -v[238:239]
.LBB116_30:
	s_or_b32 exec_lo, exec_lo, s1
	v_mov_b32_e32 v251, v253
.LBB116_31:
	s_or_b32 exec_lo, exec_lo, s0
	s_mov_b32 s0, exec_lo
	v_cmpx_ne_u32_e64 v252, v246
	s_xor_b32 s0, exec_lo, s0
	s_cbranch_execz .LBB116_37
; %bb.32:
	s_mov_b32 s1, exec_lo
	v_cmpx_eq_u32_e32 1, v252
	s_cbranch_execz .LBB116_36
; %bb.33:
	v_cmp_ne_u32_e32 vcc_lo, 1, v246
	s_xor_b32 s7, s16, -1
	s_and_b32 s9, s7, vcc_lo
	s_and_saveexec_b32 s7, s9
	s_cbranch_execz .LBB116_35
; %bb.34:
	s_clause 0x1
	buffer_load_dword v210, off, s[20:23], 0 offset:16
	buffer_load_dword v211, off, s[20:23], 0 offset:20
	v_ashrrev_i32_e32 v247, 31, v246
	v_lshlrev_b64 v[214:215], 2, v[246:247]
	s_waitcnt vmcnt(1)
	v_add_co_u32 v214, vcc_lo, v210, v214
	s_waitcnt vmcnt(0)
	v_add_co_ci_u32_e64 v215, null, v211, v215, vcc_lo
	s_clause 0x1
	global_load_dword v0, v[214:215], off
	global_load_dword v216, v[210:211], off offset:4
	s_waitcnt vmcnt(1)
	global_store_dword v[210:211], v0, off offset:4
	s_waitcnt vmcnt(0)
	global_store_dword v[214:215], v216, off
.LBB116_35:
	s_or_b32 exec_lo, exec_lo, s7
	v_mov_b32_e32 v252, v246
	v_mov_b32_e32 v0, v246
.LBB116_36:
	s_or_b32 exec_lo, exec_lo, s1
.LBB116_37:
	s_andn2_saveexec_b32 s0, s0
	s_cbranch_execz .LBB116_39
; %bb.38:
	s_clause 0x3
	buffer_load_dword v210, off, s[20:23], 0 offset:40
	buffer_load_dword v211, off, s[20:23], 0 offset:44
	;; [unrolled: 1-line block ×4, first 2 shown]
	v_mov_b32_e32 v252, 1
	s_waitcnt vmcnt(0)
	ds_write2_b64 v1, v[210:211], v[212:213] offset0:4 offset1:5
	s_clause 0x3
	buffer_load_dword v210, off, s[20:23], 0 offset:24
	buffer_load_dword v211, off, s[20:23], 0 offset:28
	;; [unrolled: 1-line block ×4, first 2 shown]
	s_waitcnt vmcnt(0)
	ds_write2_b64 v1, v[210:211], v[212:213] offset0:6 offset1:7
	ds_write2_b64 v1, v[2:3], v[4:5] offset0:8 offset1:9
	ds_write2_b64 v1, v[10:11], v[12:13] offset0:10 offset1:11
	s_clause 0x3
	buffer_load_dword v210, off, s[20:23], 0
	buffer_load_dword v211, off, s[20:23], 0 offset:4
	buffer_load_dword v212, off, s[20:23], 0 offset:8
	;; [unrolled: 1-line block ×3, first 2 shown]
	s_waitcnt vmcnt(0)
	ds_write2_b64 v1, v[210:211], v[212:213] offset0:12 offset1:13
	ds_write2_b64 v1, v[206:207], v[208:209] offset0:14 offset1:15
	;; [unrolled: 1-line block ×53, first 2 shown]
.LBB116_39:
	s_or_b32 exec_lo, exec_lo, s0
	s_mov_b32 s0, exec_lo
	s_waitcnt lgkmcnt(0)
	s_waitcnt_vscnt null, 0x0
	s_barrier
	buffer_gl0_inv
	v_cmpx_lt_i32_e32 1, v252
	s_cbranch_execz .LBB116_41
; %bb.40:
	s_clause 0x3
	buffer_load_dword v216, off, s[20:23], 0 offset:56
	buffer_load_dword v217, off, s[20:23], 0 offset:60
	;; [unrolled: 1-line block ×4, first 2 shown]
	s_waitcnt vmcnt(0)
	v_mul_f64 v[214:215], v[240:241], v[218:219]
	v_fma_f64 v[246:247], v[238:239], v[216:217], -v[214:215]
	v_mul_f64 v[214:215], v[238:239], v[218:219]
	v_fma_f64 v[218:219], v[240:241], v[216:217], v[214:215]
	ds_read2_b64 v[238:241], v1 offset0:4 offset1:5
	s_clause 0x3
	buffer_load_dword v210, off, s[20:23], 0 offset:40
	buffer_load_dword v211, off, s[20:23], 0 offset:44
	;; [unrolled: 1-line block ×4, first 2 shown]
	s_waitcnt lgkmcnt(0)
	v_mul_f64 v[214:215], v[240:241], v[218:219]
	v_mul_f64 v[216:217], v[238:239], v[218:219]
	v_fma_f64 v[214:215], v[238:239], v[246:247], -v[214:215]
	v_fma_f64 v[216:217], v[240:241], v[246:247], v[216:217]
	s_waitcnt vmcnt(2)
	v_add_f64 v[210:211], v[210:211], -v[214:215]
	s_waitcnt vmcnt(0)
	v_add_f64 v[212:213], v[212:213], -v[216:217]
	buffer_store_dword v210, off, s[20:23], 0 offset:40 ; 4-byte Folded Spill
	buffer_store_dword v211, off, s[20:23], 0 offset:44 ; 4-byte Folded Spill
	buffer_store_dword v212, off, s[20:23], 0 offset:48 ; 4-byte Folded Spill
	buffer_store_dword v213, off, s[20:23], 0 offset:52 ; 4-byte Folded Spill
	ds_read2_b64 v[238:241], v1 offset0:6 offset1:7
	s_clause 0x3
	buffer_load_dword v210, off, s[20:23], 0 offset:24
	buffer_load_dword v211, off, s[20:23], 0 offset:28
	;; [unrolled: 1-line block ×4, first 2 shown]
	s_waitcnt lgkmcnt(0)
	v_mul_f64 v[214:215], v[240:241], v[218:219]
	v_mul_f64 v[216:217], v[238:239], v[218:219]
	v_fma_f64 v[214:215], v[238:239], v[246:247], -v[214:215]
	v_fma_f64 v[216:217], v[240:241], v[246:247], v[216:217]
	s_waitcnt vmcnt(2)
	v_add_f64 v[210:211], v[210:211], -v[214:215]
	s_waitcnt vmcnt(0)
	v_add_f64 v[212:213], v[212:213], -v[216:217]
	buffer_store_dword v210, off, s[20:23], 0 offset:24 ; 4-byte Folded Spill
	buffer_store_dword v211, off, s[20:23], 0 offset:28 ; 4-byte Folded Spill
	;; [unrolled: 1-line block ×4, first 2 shown]
	ds_read2_b64 v[238:241], v1 offset0:8 offset1:9
	s_waitcnt lgkmcnt(0)
	v_mul_f64 v[214:215], v[240:241], v[218:219]
	v_mul_f64 v[216:217], v[238:239], v[218:219]
	v_fma_f64 v[214:215], v[238:239], v[246:247], -v[214:215]
	v_fma_f64 v[216:217], v[240:241], v[246:247], v[216:217]
	ds_read2_b64 v[238:241], v1 offset0:10 offset1:11
	v_add_f64 v[2:3], v[2:3], -v[214:215]
	v_add_f64 v[4:5], v[4:5], -v[216:217]
	s_waitcnt lgkmcnt(0)
	v_mul_f64 v[214:215], v[240:241], v[218:219]
	v_mul_f64 v[216:217], v[238:239], v[218:219]
	v_fma_f64 v[214:215], v[238:239], v[246:247], -v[214:215]
	v_fma_f64 v[216:217], v[240:241], v[246:247], v[216:217]
	ds_read2_b64 v[238:241], v1 offset0:12 offset1:13
	s_clause 0x3
	buffer_load_dword v210, off, s[20:23], 0
	buffer_load_dword v211, off, s[20:23], 0 offset:4
	buffer_load_dword v212, off, s[20:23], 0 offset:8
	;; [unrolled: 1-line block ×3, first 2 shown]
	v_add_f64 v[10:11], v[10:11], -v[214:215]
	v_add_f64 v[12:13], v[12:13], -v[216:217]
	s_waitcnt lgkmcnt(0)
	v_mul_f64 v[214:215], v[240:241], v[218:219]
	v_mul_f64 v[216:217], v[238:239], v[218:219]
	v_fma_f64 v[214:215], v[238:239], v[246:247], -v[214:215]
	v_fma_f64 v[216:217], v[240:241], v[246:247], v[216:217]
	s_waitcnt vmcnt(2)
	v_add_f64 v[210:211], v[210:211], -v[214:215]
	s_waitcnt vmcnt(0)
	v_add_f64 v[212:213], v[212:213], -v[216:217]
	buffer_store_dword v210, off, s[20:23], 0 ; 4-byte Folded Spill
	buffer_store_dword v211, off, s[20:23], 0 offset:4 ; 4-byte Folded Spill
	buffer_store_dword v212, off, s[20:23], 0 offset:8 ; 4-byte Folded Spill
	;; [unrolled: 1-line block ×3, first 2 shown]
	ds_read2_b64 v[238:241], v1 offset0:14 offset1:15
	s_waitcnt lgkmcnt(0)
	v_mul_f64 v[214:215], v[240:241], v[218:219]
	v_mul_f64 v[216:217], v[238:239], v[218:219]
	v_fma_f64 v[214:215], v[238:239], v[246:247], -v[214:215]
	v_fma_f64 v[216:217], v[240:241], v[246:247], v[216:217]
	ds_read2_b64 v[238:241], v1 offset0:16 offset1:17
	v_add_f64 v[206:207], v[206:207], -v[214:215]
	v_add_f64 v[208:209], v[208:209], -v[216:217]
	s_waitcnt lgkmcnt(0)
	v_mul_f64 v[214:215], v[240:241], v[218:219]
	v_mul_f64 v[216:217], v[238:239], v[218:219]
	v_fma_f64 v[214:215], v[238:239], v[246:247], -v[214:215]
	v_fma_f64 v[216:217], v[240:241], v[246:247], v[216:217]
	ds_read2_b64 v[238:241], v1 offset0:18 offset1:19
	v_add_f64 v[202:203], v[202:203], -v[214:215]
	v_add_f64 v[204:205], v[204:205], -v[216:217]
	;; [unrolled: 8-line block ×51, first 2 shown]
	s_waitcnt lgkmcnt(0)
	v_mul_f64 v[214:215], v[240:241], v[218:219]
	v_mul_f64 v[216:217], v[238:239], v[218:219]
	v_fma_f64 v[214:215], v[238:239], v[246:247], -v[214:215]
	v_fma_f64 v[216:217], v[240:241], v[246:247], v[216:217]
	v_add_f64 v[226:227], v[226:227], -v[214:215]
	v_add_f64 v[228:229], v[228:229], -v[216:217]
	v_mov_b32_e32 v216, v246
	v_mov_b32_e32 v217, v247
	buffer_store_dword v216, off, s[20:23], 0 offset:56 ; 4-byte Folded Spill
	buffer_store_dword v217, off, s[20:23], 0 offset:60 ; 4-byte Folded Spill
	;; [unrolled: 1-line block ×4, first 2 shown]
.LBB116_41:
	s_or_b32 exec_lo, exec_lo, s0
	s_waitcnt_vscnt null, 0x0
	s_barrier
	buffer_gl0_inv
	s_clause 0x3
	buffer_load_dword v210, off, s[20:23], 0 offset:40
	buffer_load_dword v211, off, s[20:23], 0 offset:44
	;; [unrolled: 1-line block ×4, first 2 shown]
	v_lshl_add_u32 v214, v252, 4, v1
	v_mov_b32_e32 v246, 2
	s_cmp_lt_i32 s8, 4
	s_waitcnt vmcnt(0)
	ds_write2_b64 v214, v[210:211], v[212:213] offset1:1
	s_waitcnt lgkmcnt(0)
	s_barrier
	buffer_gl0_inv
	ds_read2_b64 v[238:241], v1 offset0:4 offset1:5
	s_cbranch_scc1 .LBB116_44
; %bb.42:
	v_add3_u32 v247, v248, 0, 48
	v_mov_b32_e32 v246, 2
	s_mov_b32 s0, 3
	s_inst_prefetch 0x1
	.p2align	6
.LBB116_43:                             ; =>This Inner Loop Header: Depth=1
	s_waitcnt lgkmcnt(0)
	v_cmp_gt_f64_e32 vcc_lo, 0, v[238:239]
	v_xor_b32_e32 v214, 0x80000000, v239
	ds_read2_b64 v[242:245], v247 offset1:1
	v_xor_b32_e32 v216, 0x80000000, v241
	v_add_nc_u32_e32 v247, 16, v247
	s_waitcnt lgkmcnt(0)
	v_xor_b32_e32 v218, 0x80000000, v245
	v_cndmask_b32_e32 v215, v239, v214, vcc_lo
	v_cmp_gt_f64_e32 vcc_lo, 0, v[240:241]
	v_mov_b32_e32 v214, v238
	v_cndmask_b32_e32 v217, v241, v216, vcc_lo
	v_cmp_gt_f64_e32 vcc_lo, 0, v[242:243]
	v_mov_b32_e32 v216, v240
	v_add_f64 v[214:215], v[214:215], v[216:217]
	v_xor_b32_e32 v216, 0x80000000, v243
	v_cndmask_b32_e32 v217, v243, v216, vcc_lo
	v_cmp_gt_f64_e32 vcc_lo, 0, v[244:245]
	v_mov_b32_e32 v216, v242
	v_cndmask_b32_e32 v219, v245, v218, vcc_lo
	v_mov_b32_e32 v218, v244
	v_add_f64 v[216:217], v[216:217], v[218:219]
	v_cmp_lt_f64_e32 vcc_lo, v[214:215], v[216:217]
	v_cndmask_b32_e32 v239, v239, v243, vcc_lo
	v_cndmask_b32_e32 v238, v238, v242, vcc_lo
	v_cndmask_b32_e32 v241, v241, v245, vcc_lo
	v_cndmask_b32_e32 v240, v240, v244, vcc_lo
	v_cndmask_b32_e64 v246, v246, s0, vcc_lo
	s_add_i32 s0, s0, 1
	s_cmp_lg_u32 s8, s0
	s_cbranch_scc1 .LBB116_43
.LBB116_44:
	s_inst_prefetch 0x2
	s_waitcnt lgkmcnt(0)
	v_cmp_eq_f64_e32 vcc_lo, 0, v[238:239]
	v_cmp_eq_f64_e64 s0, 0, v[240:241]
	s_and_b32 s0, vcc_lo, s0
	s_and_saveexec_b32 s1, s0
	s_xor_b32 s0, exec_lo, s1
; %bb.45:
	v_cmp_ne_u32_e32 vcc_lo, 0, v251
	v_cndmask_b32_e32 v251, 3, v251, vcc_lo
; %bb.46:
	s_andn2_saveexec_b32 s0, s0
	s_cbranch_execz .LBB116_52
; %bb.47:
	v_cmp_ngt_f64_e64 s1, |v[238:239]|, |v[240:241]|
	s_and_saveexec_b32 s7, s1
	s_xor_b32 s1, exec_lo, s7
	s_cbranch_execz .LBB116_49
; %bb.48:
	v_div_scale_f64 v[214:215], null, v[240:241], v[240:241], v[238:239]
	v_div_scale_f64 v[220:221], vcc_lo, v[238:239], v[240:241], v[238:239]
	v_rcp_f64_e32 v[216:217], v[214:215]
	v_fma_f64 v[218:219], -v[214:215], v[216:217], 1.0
	v_fma_f64 v[216:217], v[216:217], v[218:219], v[216:217]
	v_fma_f64 v[218:219], -v[214:215], v[216:217], 1.0
	v_fma_f64 v[216:217], v[216:217], v[218:219], v[216:217]
	v_mul_f64 v[218:219], v[220:221], v[216:217]
	v_fma_f64 v[214:215], -v[214:215], v[218:219], v[220:221]
	v_div_fmas_f64 v[214:215], v[214:215], v[216:217], v[218:219]
	v_div_fixup_f64 v[214:215], v[214:215], v[240:241], v[238:239]
	v_fma_f64 v[216:217], v[238:239], v[214:215], v[240:241]
	v_div_scale_f64 v[218:219], null, v[216:217], v[216:217], 1.0
	v_rcp_f64_e32 v[220:221], v[218:219]
	v_fma_f64 v[222:223], -v[218:219], v[220:221], 1.0
	v_fma_f64 v[220:221], v[220:221], v[222:223], v[220:221]
	v_fma_f64 v[222:223], -v[218:219], v[220:221], 1.0
	v_fma_f64 v[220:221], v[220:221], v[222:223], v[220:221]
	v_div_scale_f64 v[222:223], vcc_lo, 1.0, v[216:217], 1.0
	v_mul_f64 v[224:225], v[222:223], v[220:221]
	v_fma_f64 v[218:219], -v[218:219], v[224:225], v[222:223]
	v_div_fmas_f64 v[218:219], v[218:219], v[220:221], v[224:225]
	v_div_fixup_f64 v[240:241], v[218:219], v[216:217], 1.0
	v_mul_f64 v[238:239], v[214:215], v[240:241]
	v_xor_b32_e32 v241, 0x80000000, v241
.LBB116_49:
	s_andn2_saveexec_b32 s1, s1
	s_cbranch_execz .LBB116_51
; %bb.50:
	v_div_scale_f64 v[214:215], null, v[238:239], v[238:239], v[240:241]
	v_div_scale_f64 v[220:221], vcc_lo, v[240:241], v[238:239], v[240:241]
	v_rcp_f64_e32 v[216:217], v[214:215]
	v_fma_f64 v[218:219], -v[214:215], v[216:217], 1.0
	v_fma_f64 v[216:217], v[216:217], v[218:219], v[216:217]
	v_fma_f64 v[218:219], -v[214:215], v[216:217], 1.0
	v_fma_f64 v[216:217], v[216:217], v[218:219], v[216:217]
	v_mul_f64 v[218:219], v[220:221], v[216:217]
	v_fma_f64 v[214:215], -v[214:215], v[218:219], v[220:221]
	v_div_fmas_f64 v[214:215], v[214:215], v[216:217], v[218:219]
	v_div_fixup_f64 v[214:215], v[214:215], v[238:239], v[240:241]
	v_fma_f64 v[216:217], v[240:241], v[214:215], v[238:239]
	v_div_scale_f64 v[218:219], null, v[216:217], v[216:217], 1.0
	v_rcp_f64_e32 v[220:221], v[218:219]
	v_fma_f64 v[222:223], -v[218:219], v[220:221], 1.0
	v_fma_f64 v[220:221], v[220:221], v[222:223], v[220:221]
	v_fma_f64 v[222:223], -v[218:219], v[220:221], 1.0
	v_fma_f64 v[220:221], v[220:221], v[222:223], v[220:221]
	v_div_scale_f64 v[222:223], vcc_lo, 1.0, v[216:217], 1.0
	v_mul_f64 v[224:225], v[222:223], v[220:221]
	v_fma_f64 v[218:219], -v[218:219], v[224:225], v[222:223]
	v_div_fmas_f64 v[218:219], v[218:219], v[220:221], v[224:225]
	v_div_fixup_f64 v[238:239], v[218:219], v[216:217], 1.0
	v_mul_f64 v[240:241], v[214:215], -v[238:239]
.LBB116_51:
	s_or_b32 exec_lo, exec_lo, s1
.LBB116_52:
	s_or_b32 exec_lo, exec_lo, s0
	s_mov_b32 s0, exec_lo
	v_cmpx_ne_u32_e64 v252, v246
	s_xor_b32 s0, exec_lo, s0
	s_cbranch_execz .LBB116_58
; %bb.53:
	s_mov_b32 s1, exec_lo
	v_cmpx_eq_u32_e32 2, v252
	s_cbranch_execz .LBB116_57
; %bb.54:
	v_cmp_ne_u32_e32 vcc_lo, 2, v246
	s_xor_b32 s7, s16, -1
	s_and_b32 s9, s7, vcc_lo
	s_and_saveexec_b32 s7, s9
	s_cbranch_execz .LBB116_56
; %bb.55:
	s_clause 0x1
	buffer_load_dword v210, off, s[20:23], 0 offset:16
	buffer_load_dword v211, off, s[20:23], 0 offset:20
	v_ashrrev_i32_e32 v247, 31, v246
	v_lshlrev_b64 v[214:215], 2, v[246:247]
	s_waitcnt vmcnt(1)
	v_add_co_u32 v214, vcc_lo, v210, v214
	s_waitcnt vmcnt(0)
	v_add_co_ci_u32_e64 v215, null, v211, v215, vcc_lo
	s_clause 0x1
	global_load_dword v0, v[214:215], off
	global_load_dword v216, v[210:211], off offset:8
	s_waitcnt vmcnt(1)
	global_store_dword v[210:211], v0, off offset:8
	s_waitcnt vmcnt(0)
	global_store_dword v[214:215], v216, off
.LBB116_56:
	s_or_b32 exec_lo, exec_lo, s7
	v_mov_b32_e32 v252, v246
	v_mov_b32_e32 v0, v246
.LBB116_57:
	s_or_b32 exec_lo, exec_lo, s1
.LBB116_58:
	s_andn2_saveexec_b32 s0, s0
	s_cbranch_execz .LBB116_60
; %bb.59:
	s_clause 0x3
	buffer_load_dword v210, off, s[20:23], 0 offset:24
	buffer_load_dword v211, off, s[20:23], 0 offset:28
	;; [unrolled: 1-line block ×4, first 2 shown]
	v_mov_b32_e32 v252, 2
	s_waitcnt vmcnt(0)
	ds_write2_b64 v1, v[210:211], v[212:213] offset0:6 offset1:7
	ds_write2_b64 v1, v[2:3], v[4:5] offset0:8 offset1:9
	;; [unrolled: 1-line block ×3, first 2 shown]
	s_clause 0x3
	buffer_load_dword v210, off, s[20:23], 0
	buffer_load_dword v211, off, s[20:23], 0 offset:4
	buffer_load_dword v212, off, s[20:23], 0 offset:8
	;; [unrolled: 1-line block ×3, first 2 shown]
	s_waitcnt vmcnt(0)
	ds_write2_b64 v1, v[210:211], v[212:213] offset0:12 offset1:13
	ds_write2_b64 v1, v[206:207], v[208:209] offset0:14 offset1:15
	;; [unrolled: 1-line block ×53, first 2 shown]
.LBB116_60:
	s_or_b32 exec_lo, exec_lo, s0
	s_mov_b32 s0, exec_lo
	s_waitcnt lgkmcnt(0)
	s_waitcnt_vscnt null, 0x0
	s_barrier
	buffer_gl0_inv
	v_cmpx_lt_i32_e32 2, v252
	s_cbranch_execz .LBB116_62
; %bb.61:
	s_clause 0x3
	buffer_load_dword v216, off, s[20:23], 0 offset:40
	buffer_load_dword v217, off, s[20:23], 0 offset:44
	;; [unrolled: 1-line block ×4, first 2 shown]
	s_waitcnt vmcnt(0)
	v_mul_f64 v[214:215], v[240:241], v[218:219]
	v_fma_f64 v[246:247], v[238:239], v[216:217], -v[214:215]
	v_mul_f64 v[214:215], v[238:239], v[218:219]
	v_fma_f64 v[218:219], v[240:241], v[216:217], v[214:215]
	ds_read2_b64 v[238:241], v1 offset0:6 offset1:7
	s_clause 0x3
	buffer_load_dword v210, off, s[20:23], 0 offset:24
	buffer_load_dword v211, off, s[20:23], 0 offset:28
	;; [unrolled: 1-line block ×4, first 2 shown]
	s_waitcnt lgkmcnt(0)
	v_mul_f64 v[214:215], v[240:241], v[218:219]
	v_mul_f64 v[216:217], v[238:239], v[218:219]
	v_fma_f64 v[214:215], v[238:239], v[246:247], -v[214:215]
	v_fma_f64 v[216:217], v[240:241], v[246:247], v[216:217]
	s_waitcnt vmcnt(2)
	v_add_f64 v[210:211], v[210:211], -v[214:215]
	s_waitcnt vmcnt(0)
	v_add_f64 v[212:213], v[212:213], -v[216:217]
	buffer_store_dword v210, off, s[20:23], 0 offset:24 ; 4-byte Folded Spill
	buffer_store_dword v211, off, s[20:23], 0 offset:28 ; 4-byte Folded Spill
	;; [unrolled: 1-line block ×4, first 2 shown]
	ds_read2_b64 v[238:241], v1 offset0:8 offset1:9
	s_waitcnt lgkmcnt(0)
	v_mul_f64 v[214:215], v[240:241], v[218:219]
	v_mul_f64 v[216:217], v[238:239], v[218:219]
	v_fma_f64 v[214:215], v[238:239], v[246:247], -v[214:215]
	v_fma_f64 v[216:217], v[240:241], v[246:247], v[216:217]
	ds_read2_b64 v[238:241], v1 offset0:10 offset1:11
	v_add_f64 v[2:3], v[2:3], -v[214:215]
	v_add_f64 v[4:5], v[4:5], -v[216:217]
	s_waitcnt lgkmcnt(0)
	v_mul_f64 v[214:215], v[240:241], v[218:219]
	v_mul_f64 v[216:217], v[238:239], v[218:219]
	v_fma_f64 v[214:215], v[238:239], v[246:247], -v[214:215]
	v_fma_f64 v[216:217], v[240:241], v[246:247], v[216:217]
	ds_read2_b64 v[238:241], v1 offset0:12 offset1:13
	s_clause 0x3
	buffer_load_dword v210, off, s[20:23], 0
	buffer_load_dword v211, off, s[20:23], 0 offset:4
	buffer_load_dword v212, off, s[20:23], 0 offset:8
	;; [unrolled: 1-line block ×3, first 2 shown]
	v_add_f64 v[10:11], v[10:11], -v[214:215]
	v_add_f64 v[12:13], v[12:13], -v[216:217]
	s_waitcnt lgkmcnt(0)
	v_mul_f64 v[214:215], v[240:241], v[218:219]
	v_mul_f64 v[216:217], v[238:239], v[218:219]
	v_fma_f64 v[214:215], v[238:239], v[246:247], -v[214:215]
	v_fma_f64 v[216:217], v[240:241], v[246:247], v[216:217]
	s_waitcnt vmcnt(2)
	v_add_f64 v[210:211], v[210:211], -v[214:215]
	s_waitcnt vmcnt(0)
	v_add_f64 v[212:213], v[212:213], -v[216:217]
	buffer_store_dword v210, off, s[20:23], 0 ; 4-byte Folded Spill
	buffer_store_dword v211, off, s[20:23], 0 offset:4 ; 4-byte Folded Spill
	buffer_store_dword v212, off, s[20:23], 0 offset:8 ; 4-byte Folded Spill
	;; [unrolled: 1-line block ×3, first 2 shown]
	ds_read2_b64 v[238:241], v1 offset0:14 offset1:15
	s_waitcnt lgkmcnt(0)
	v_mul_f64 v[214:215], v[240:241], v[218:219]
	v_mul_f64 v[216:217], v[238:239], v[218:219]
	v_fma_f64 v[214:215], v[238:239], v[246:247], -v[214:215]
	v_fma_f64 v[216:217], v[240:241], v[246:247], v[216:217]
	ds_read2_b64 v[238:241], v1 offset0:16 offset1:17
	v_add_f64 v[206:207], v[206:207], -v[214:215]
	v_add_f64 v[208:209], v[208:209], -v[216:217]
	s_waitcnt lgkmcnt(0)
	v_mul_f64 v[214:215], v[240:241], v[218:219]
	v_mul_f64 v[216:217], v[238:239], v[218:219]
	v_fma_f64 v[214:215], v[238:239], v[246:247], -v[214:215]
	v_fma_f64 v[216:217], v[240:241], v[246:247], v[216:217]
	ds_read2_b64 v[238:241], v1 offset0:18 offset1:19
	v_add_f64 v[202:203], v[202:203], -v[214:215]
	v_add_f64 v[204:205], v[204:205], -v[216:217]
	;; [unrolled: 8-line block ×51, first 2 shown]
	s_waitcnt lgkmcnt(0)
	v_mul_f64 v[214:215], v[240:241], v[218:219]
	v_mul_f64 v[216:217], v[238:239], v[218:219]
	v_fma_f64 v[214:215], v[238:239], v[246:247], -v[214:215]
	v_fma_f64 v[216:217], v[240:241], v[246:247], v[216:217]
	v_add_f64 v[226:227], v[226:227], -v[214:215]
	v_add_f64 v[228:229], v[228:229], -v[216:217]
	v_mov_b32_e32 v216, v246
	v_mov_b32_e32 v217, v247
	buffer_store_dword v216, off, s[20:23], 0 offset:40 ; 4-byte Folded Spill
	buffer_store_dword v217, off, s[20:23], 0 offset:44 ; 4-byte Folded Spill
	;; [unrolled: 1-line block ×4, first 2 shown]
.LBB116_62:
	s_or_b32 exec_lo, exec_lo, s0
	s_waitcnt_vscnt null, 0x0
	s_barrier
	buffer_gl0_inv
	s_clause 0x3
	buffer_load_dword v210, off, s[20:23], 0 offset:24
	buffer_load_dword v211, off, s[20:23], 0 offset:28
	;; [unrolled: 1-line block ×4, first 2 shown]
	v_lshl_add_u32 v214, v252, 4, v1
	v_mov_b32_e32 v246, 3
	s_cmp_lt_i32 s8, 5
	s_mov_b32 s0, 4
	s_waitcnt vmcnt(0)
	ds_write2_b64 v214, v[210:211], v[212:213] offset1:1
	s_waitcnt lgkmcnt(0)
	s_barrier
	buffer_gl0_inv
	ds_read2_b64 v[238:241], v1 offset0:6 offset1:7
	s_cbranch_scc1 .LBB116_65
; %bb.63:
	v_add3_u32 v247, v248, 0, 64
	v_mov_b32_e32 v246, 3
	s_inst_prefetch 0x1
	.p2align	6
.LBB116_64:                             ; =>This Inner Loop Header: Depth=1
	s_waitcnt lgkmcnt(0)
	v_cmp_gt_f64_e32 vcc_lo, 0, v[238:239]
	v_xor_b32_e32 v214, 0x80000000, v239
	ds_read2_b64 v[242:245], v247 offset1:1
	v_xor_b32_e32 v216, 0x80000000, v241
	v_add_nc_u32_e32 v247, 16, v247
	s_waitcnt lgkmcnt(0)
	v_xor_b32_e32 v218, 0x80000000, v245
	v_cndmask_b32_e32 v215, v239, v214, vcc_lo
	v_cmp_gt_f64_e32 vcc_lo, 0, v[240:241]
	v_mov_b32_e32 v214, v238
	v_cndmask_b32_e32 v217, v241, v216, vcc_lo
	v_cmp_gt_f64_e32 vcc_lo, 0, v[242:243]
	v_mov_b32_e32 v216, v240
	v_add_f64 v[214:215], v[214:215], v[216:217]
	v_xor_b32_e32 v216, 0x80000000, v243
	v_cndmask_b32_e32 v217, v243, v216, vcc_lo
	v_cmp_gt_f64_e32 vcc_lo, 0, v[244:245]
	v_mov_b32_e32 v216, v242
	v_cndmask_b32_e32 v219, v245, v218, vcc_lo
	v_mov_b32_e32 v218, v244
	v_add_f64 v[216:217], v[216:217], v[218:219]
	v_cmp_lt_f64_e32 vcc_lo, v[214:215], v[216:217]
	v_cndmask_b32_e32 v239, v239, v243, vcc_lo
	v_cndmask_b32_e32 v238, v238, v242, vcc_lo
	;; [unrolled: 1-line block ×4, first 2 shown]
	v_cndmask_b32_e64 v246, v246, s0, vcc_lo
	s_add_i32 s0, s0, 1
	s_cmp_lg_u32 s8, s0
	s_cbranch_scc1 .LBB116_64
.LBB116_65:
	s_inst_prefetch 0x2
	s_waitcnt lgkmcnt(0)
	v_cmp_eq_f64_e32 vcc_lo, 0, v[238:239]
	v_cmp_eq_f64_e64 s0, 0, v[240:241]
	s_and_b32 s0, vcc_lo, s0
	s_and_saveexec_b32 s1, s0
	s_xor_b32 s0, exec_lo, s1
; %bb.66:
	v_cmp_ne_u32_e32 vcc_lo, 0, v251
	v_cndmask_b32_e32 v251, 4, v251, vcc_lo
; %bb.67:
	s_andn2_saveexec_b32 s0, s0
	s_cbranch_execz .LBB116_73
; %bb.68:
	v_cmp_ngt_f64_e64 s1, |v[238:239]|, |v[240:241]|
	s_and_saveexec_b32 s7, s1
	s_xor_b32 s1, exec_lo, s7
	s_cbranch_execz .LBB116_70
; %bb.69:
	v_div_scale_f64 v[214:215], null, v[240:241], v[240:241], v[238:239]
	v_div_scale_f64 v[220:221], vcc_lo, v[238:239], v[240:241], v[238:239]
	v_rcp_f64_e32 v[216:217], v[214:215]
	v_fma_f64 v[218:219], -v[214:215], v[216:217], 1.0
	v_fma_f64 v[216:217], v[216:217], v[218:219], v[216:217]
	v_fma_f64 v[218:219], -v[214:215], v[216:217], 1.0
	v_fma_f64 v[216:217], v[216:217], v[218:219], v[216:217]
	v_mul_f64 v[218:219], v[220:221], v[216:217]
	v_fma_f64 v[214:215], -v[214:215], v[218:219], v[220:221]
	v_div_fmas_f64 v[214:215], v[214:215], v[216:217], v[218:219]
	v_div_fixup_f64 v[214:215], v[214:215], v[240:241], v[238:239]
	v_fma_f64 v[216:217], v[238:239], v[214:215], v[240:241]
	v_div_scale_f64 v[218:219], null, v[216:217], v[216:217], 1.0
	v_rcp_f64_e32 v[220:221], v[218:219]
	v_fma_f64 v[222:223], -v[218:219], v[220:221], 1.0
	v_fma_f64 v[220:221], v[220:221], v[222:223], v[220:221]
	v_fma_f64 v[222:223], -v[218:219], v[220:221], 1.0
	v_fma_f64 v[220:221], v[220:221], v[222:223], v[220:221]
	v_div_scale_f64 v[222:223], vcc_lo, 1.0, v[216:217], 1.0
	v_mul_f64 v[224:225], v[222:223], v[220:221]
	v_fma_f64 v[218:219], -v[218:219], v[224:225], v[222:223]
	v_div_fmas_f64 v[218:219], v[218:219], v[220:221], v[224:225]
	v_div_fixup_f64 v[240:241], v[218:219], v[216:217], 1.0
	v_mul_f64 v[238:239], v[214:215], v[240:241]
	v_xor_b32_e32 v241, 0x80000000, v241
.LBB116_70:
	s_andn2_saveexec_b32 s1, s1
	s_cbranch_execz .LBB116_72
; %bb.71:
	v_div_scale_f64 v[214:215], null, v[238:239], v[238:239], v[240:241]
	v_div_scale_f64 v[220:221], vcc_lo, v[240:241], v[238:239], v[240:241]
	v_rcp_f64_e32 v[216:217], v[214:215]
	v_fma_f64 v[218:219], -v[214:215], v[216:217], 1.0
	v_fma_f64 v[216:217], v[216:217], v[218:219], v[216:217]
	v_fma_f64 v[218:219], -v[214:215], v[216:217], 1.0
	v_fma_f64 v[216:217], v[216:217], v[218:219], v[216:217]
	v_mul_f64 v[218:219], v[220:221], v[216:217]
	v_fma_f64 v[214:215], -v[214:215], v[218:219], v[220:221]
	v_div_fmas_f64 v[214:215], v[214:215], v[216:217], v[218:219]
	v_div_fixup_f64 v[214:215], v[214:215], v[238:239], v[240:241]
	v_fma_f64 v[216:217], v[240:241], v[214:215], v[238:239]
	v_div_scale_f64 v[218:219], null, v[216:217], v[216:217], 1.0
	v_rcp_f64_e32 v[220:221], v[218:219]
	v_fma_f64 v[222:223], -v[218:219], v[220:221], 1.0
	v_fma_f64 v[220:221], v[220:221], v[222:223], v[220:221]
	v_fma_f64 v[222:223], -v[218:219], v[220:221], 1.0
	v_fma_f64 v[220:221], v[220:221], v[222:223], v[220:221]
	v_div_scale_f64 v[222:223], vcc_lo, 1.0, v[216:217], 1.0
	v_mul_f64 v[224:225], v[222:223], v[220:221]
	v_fma_f64 v[218:219], -v[218:219], v[224:225], v[222:223]
	v_div_fmas_f64 v[218:219], v[218:219], v[220:221], v[224:225]
	v_div_fixup_f64 v[238:239], v[218:219], v[216:217], 1.0
	v_mul_f64 v[240:241], v[214:215], -v[238:239]
.LBB116_72:
	s_or_b32 exec_lo, exec_lo, s1
.LBB116_73:
	s_or_b32 exec_lo, exec_lo, s0
	s_mov_b32 s0, exec_lo
	v_cmpx_ne_u32_e64 v252, v246
	s_xor_b32 s0, exec_lo, s0
	s_cbranch_execz .LBB116_79
; %bb.74:
	s_mov_b32 s1, exec_lo
	v_cmpx_eq_u32_e32 3, v252
	s_cbranch_execz .LBB116_78
; %bb.75:
	v_cmp_ne_u32_e32 vcc_lo, 3, v246
	s_xor_b32 s7, s16, -1
	s_and_b32 s9, s7, vcc_lo
	s_and_saveexec_b32 s7, s9
	s_cbranch_execz .LBB116_77
; %bb.76:
	s_clause 0x1
	buffer_load_dword v210, off, s[20:23], 0 offset:16
	buffer_load_dword v211, off, s[20:23], 0 offset:20
	v_ashrrev_i32_e32 v247, 31, v246
	v_lshlrev_b64 v[214:215], 2, v[246:247]
	s_waitcnt vmcnt(1)
	v_add_co_u32 v214, vcc_lo, v210, v214
	s_waitcnt vmcnt(0)
	v_add_co_ci_u32_e64 v215, null, v211, v215, vcc_lo
	s_clause 0x1
	global_load_dword v0, v[214:215], off
	global_load_dword v216, v[210:211], off offset:12
	s_waitcnt vmcnt(1)
	global_store_dword v[210:211], v0, off offset:12
	s_waitcnt vmcnt(0)
	global_store_dword v[214:215], v216, off
.LBB116_77:
	s_or_b32 exec_lo, exec_lo, s7
	v_mov_b32_e32 v252, v246
	v_mov_b32_e32 v0, v246
.LBB116_78:
	s_or_b32 exec_lo, exec_lo, s1
.LBB116_79:
	s_andn2_saveexec_b32 s0, s0
	s_cbranch_execz .LBB116_81
; %bb.80:
	ds_write2_b64 v1, v[2:3], v[4:5] offset0:8 offset1:9
	ds_write2_b64 v1, v[10:11], v[12:13] offset0:10 offset1:11
	s_clause 0x3
	buffer_load_dword v210, off, s[20:23], 0
	buffer_load_dword v211, off, s[20:23], 0 offset:4
	buffer_load_dword v212, off, s[20:23], 0 offset:8
	buffer_load_dword v213, off, s[20:23], 0 offset:12
	v_mov_b32_e32 v252, 3
	s_waitcnt vmcnt(0)
	ds_write2_b64 v1, v[210:211], v[212:213] offset0:12 offset1:13
	ds_write2_b64 v1, v[206:207], v[208:209] offset0:14 offset1:15
	;; [unrolled: 1-line block ×53, first 2 shown]
.LBB116_81:
	s_or_b32 exec_lo, exec_lo, s0
	s_mov_b32 s0, exec_lo
	s_waitcnt lgkmcnt(0)
	s_waitcnt_vscnt null, 0x0
	s_barrier
	buffer_gl0_inv
	v_cmpx_lt_i32_e32 3, v252
	s_cbranch_execz .LBB116_83
; %bb.82:
	s_clause 0x3
	buffer_load_dword v210, off, s[20:23], 0 offset:24
	buffer_load_dword v211, off, s[20:23], 0 offset:28
	;; [unrolled: 1-line block ×4, first 2 shown]
	s_waitcnt vmcnt(0)
	v_mul_f64 v[214:215], v[240:241], v[212:213]
	v_fma_f64 v[246:247], v[238:239], v[210:211], -v[214:215]
	v_mul_f64 v[214:215], v[238:239], v[212:213]
	v_fma_f64 v[212:213], v[240:241], v[210:211], v[214:215]
	ds_read2_b64 v[238:241], v1 offset0:8 offset1:9
	v_mov_b32_e32 v210, v246
	v_mov_b32_e32 v211, v247
	s_waitcnt lgkmcnt(0)
	v_mul_f64 v[214:215], v[240:241], v[212:213]
	v_mul_f64 v[216:217], v[238:239], v[212:213]
	v_fma_f64 v[214:215], v[238:239], v[246:247], -v[214:215]
	v_fma_f64 v[216:217], v[240:241], v[246:247], v[216:217]
	ds_read2_b64 v[238:241], v1 offset0:10 offset1:11
	v_add_f64 v[2:3], v[2:3], -v[214:215]
	v_add_f64 v[4:5], v[4:5], -v[216:217]
	s_waitcnt lgkmcnt(0)
	v_mul_f64 v[214:215], v[240:241], v[212:213]
	v_mul_f64 v[216:217], v[238:239], v[212:213]
	v_fma_f64 v[214:215], v[238:239], v[246:247], -v[214:215]
	v_fma_f64 v[216:217], v[240:241], v[246:247], v[216:217]
	ds_read2_b64 v[238:241], v1 offset0:12 offset1:13
	s_clause 0x3
	buffer_load_dword v218, off, s[20:23], 0
	buffer_load_dword v219, off, s[20:23], 0 offset:4
	buffer_load_dword v220, off, s[20:23], 0 offset:8
	;; [unrolled: 1-line block ×3, first 2 shown]
	v_add_f64 v[10:11], v[10:11], -v[214:215]
	v_add_f64 v[12:13], v[12:13], -v[216:217]
	s_waitcnt lgkmcnt(0)
	v_mul_f64 v[214:215], v[240:241], v[212:213]
	v_mul_f64 v[216:217], v[238:239], v[212:213]
	v_fma_f64 v[214:215], v[238:239], v[246:247], -v[214:215]
	v_fma_f64 v[216:217], v[240:241], v[246:247], v[216:217]
	s_waitcnt vmcnt(2)
	v_add_f64 v[218:219], v[218:219], -v[214:215]
	s_waitcnt vmcnt(0)
	v_add_f64 v[220:221], v[220:221], -v[216:217]
	buffer_store_dword v218, off, s[20:23], 0 ; 4-byte Folded Spill
	buffer_store_dword v219, off, s[20:23], 0 offset:4 ; 4-byte Folded Spill
	buffer_store_dword v220, off, s[20:23], 0 offset:8 ; 4-byte Folded Spill
	;; [unrolled: 1-line block ×3, first 2 shown]
	ds_read2_b64 v[238:241], v1 offset0:14 offset1:15
	s_waitcnt lgkmcnt(0)
	v_mul_f64 v[214:215], v[240:241], v[212:213]
	v_mul_f64 v[216:217], v[238:239], v[212:213]
	v_fma_f64 v[214:215], v[238:239], v[246:247], -v[214:215]
	v_fma_f64 v[216:217], v[240:241], v[246:247], v[216:217]
	ds_read2_b64 v[238:241], v1 offset0:16 offset1:17
	v_add_f64 v[206:207], v[206:207], -v[214:215]
	v_add_f64 v[208:209], v[208:209], -v[216:217]
	s_waitcnt lgkmcnt(0)
	v_mul_f64 v[214:215], v[240:241], v[212:213]
	v_mul_f64 v[216:217], v[238:239], v[212:213]
	v_fma_f64 v[214:215], v[238:239], v[246:247], -v[214:215]
	v_fma_f64 v[216:217], v[240:241], v[246:247], v[216:217]
	ds_read2_b64 v[238:241], v1 offset0:18 offset1:19
	v_add_f64 v[202:203], v[202:203], -v[214:215]
	v_add_f64 v[204:205], v[204:205], -v[216:217]
	;; [unrolled: 8-line block ×51, first 2 shown]
	s_waitcnt lgkmcnt(0)
	v_mul_f64 v[214:215], v[240:241], v[212:213]
	v_mul_f64 v[216:217], v[238:239], v[212:213]
	buffer_store_dword v210, off, s[20:23], 0 offset:24 ; 4-byte Folded Spill
	buffer_store_dword v211, off, s[20:23], 0 offset:28 ; 4-byte Folded Spill
	;; [unrolled: 1-line block ×4, first 2 shown]
	v_fma_f64 v[214:215], v[238:239], v[246:247], -v[214:215]
	v_fma_f64 v[216:217], v[240:241], v[246:247], v[216:217]
	v_add_f64 v[226:227], v[226:227], -v[214:215]
	v_add_f64 v[228:229], v[228:229], -v[216:217]
.LBB116_83:
	s_or_b32 exec_lo, exec_lo, s0
	v_lshl_add_u32 v214, v252, 4, v1
	s_waitcnt_vscnt null, 0x0
	s_barrier
	buffer_gl0_inv
	v_mov_b32_e32 v246, 4
	ds_write2_b64 v214, v[2:3], v[4:5] offset1:1
	s_waitcnt lgkmcnt(0)
	s_barrier
	buffer_gl0_inv
	ds_read2_b64 v[238:241], v1 offset0:8 offset1:9
	s_cmp_lt_i32 s8, 6
	s_cbranch_scc1 .LBB116_86
; %bb.84:
	v_mov_b32_e32 v246, 4
	v_add3_u32 v247, v248, 0, 0x50
	s_mov_b32 s0, 5
	s_inst_prefetch 0x1
	.p2align	6
.LBB116_85:                             ; =>This Inner Loop Header: Depth=1
	s_waitcnt lgkmcnt(0)
	v_cmp_gt_f64_e32 vcc_lo, 0, v[238:239]
	v_xor_b32_e32 v214, 0x80000000, v239
	ds_read2_b64 v[242:245], v247 offset1:1
	v_xor_b32_e32 v216, 0x80000000, v241
	v_add_nc_u32_e32 v247, 16, v247
	s_waitcnt lgkmcnt(0)
	v_xor_b32_e32 v218, 0x80000000, v245
	v_cndmask_b32_e32 v215, v239, v214, vcc_lo
	v_cmp_gt_f64_e32 vcc_lo, 0, v[240:241]
	v_mov_b32_e32 v214, v238
	v_cndmask_b32_e32 v217, v241, v216, vcc_lo
	v_cmp_gt_f64_e32 vcc_lo, 0, v[242:243]
	v_mov_b32_e32 v216, v240
	v_add_f64 v[214:215], v[214:215], v[216:217]
	v_xor_b32_e32 v216, 0x80000000, v243
	v_cndmask_b32_e32 v217, v243, v216, vcc_lo
	v_cmp_gt_f64_e32 vcc_lo, 0, v[244:245]
	v_mov_b32_e32 v216, v242
	v_cndmask_b32_e32 v219, v245, v218, vcc_lo
	v_mov_b32_e32 v218, v244
	v_add_f64 v[216:217], v[216:217], v[218:219]
	v_cmp_lt_f64_e32 vcc_lo, v[214:215], v[216:217]
	v_cndmask_b32_e32 v239, v239, v243, vcc_lo
	v_cndmask_b32_e32 v238, v238, v242, vcc_lo
	v_cndmask_b32_e32 v241, v241, v245, vcc_lo
	v_cndmask_b32_e32 v240, v240, v244, vcc_lo
	v_cndmask_b32_e64 v246, v246, s0, vcc_lo
	s_add_i32 s0, s0, 1
	s_cmp_lg_u32 s8, s0
	s_cbranch_scc1 .LBB116_85
.LBB116_86:
	s_inst_prefetch 0x2
	s_waitcnt lgkmcnt(0)
	v_cmp_eq_f64_e32 vcc_lo, 0, v[238:239]
	v_cmp_eq_f64_e64 s0, 0, v[240:241]
	s_and_b32 s0, vcc_lo, s0
	s_and_saveexec_b32 s1, s0
	s_xor_b32 s0, exec_lo, s1
; %bb.87:
	v_cmp_ne_u32_e32 vcc_lo, 0, v251
	v_cndmask_b32_e32 v251, 5, v251, vcc_lo
; %bb.88:
	s_andn2_saveexec_b32 s0, s0
	s_cbranch_execz .LBB116_94
; %bb.89:
	v_cmp_ngt_f64_e64 s1, |v[238:239]|, |v[240:241]|
	s_and_saveexec_b32 s7, s1
	s_xor_b32 s1, exec_lo, s7
	s_cbranch_execz .LBB116_91
; %bb.90:
	v_div_scale_f64 v[214:215], null, v[240:241], v[240:241], v[238:239]
	v_div_scale_f64 v[220:221], vcc_lo, v[238:239], v[240:241], v[238:239]
	v_rcp_f64_e32 v[216:217], v[214:215]
	v_fma_f64 v[218:219], -v[214:215], v[216:217], 1.0
	v_fma_f64 v[216:217], v[216:217], v[218:219], v[216:217]
	v_fma_f64 v[218:219], -v[214:215], v[216:217], 1.0
	v_fma_f64 v[216:217], v[216:217], v[218:219], v[216:217]
	v_mul_f64 v[218:219], v[220:221], v[216:217]
	v_fma_f64 v[214:215], -v[214:215], v[218:219], v[220:221]
	v_div_fmas_f64 v[214:215], v[214:215], v[216:217], v[218:219]
	v_div_fixup_f64 v[214:215], v[214:215], v[240:241], v[238:239]
	v_fma_f64 v[216:217], v[238:239], v[214:215], v[240:241]
	v_div_scale_f64 v[218:219], null, v[216:217], v[216:217], 1.0
	v_rcp_f64_e32 v[220:221], v[218:219]
	v_fma_f64 v[222:223], -v[218:219], v[220:221], 1.0
	v_fma_f64 v[220:221], v[220:221], v[222:223], v[220:221]
	v_fma_f64 v[222:223], -v[218:219], v[220:221], 1.0
	v_fma_f64 v[220:221], v[220:221], v[222:223], v[220:221]
	v_div_scale_f64 v[222:223], vcc_lo, 1.0, v[216:217], 1.0
	v_mul_f64 v[224:225], v[222:223], v[220:221]
	v_fma_f64 v[218:219], -v[218:219], v[224:225], v[222:223]
	v_div_fmas_f64 v[218:219], v[218:219], v[220:221], v[224:225]
	v_div_fixup_f64 v[240:241], v[218:219], v[216:217], 1.0
	v_mul_f64 v[238:239], v[214:215], v[240:241]
	v_xor_b32_e32 v241, 0x80000000, v241
.LBB116_91:
	s_andn2_saveexec_b32 s1, s1
	s_cbranch_execz .LBB116_93
; %bb.92:
	v_div_scale_f64 v[214:215], null, v[238:239], v[238:239], v[240:241]
	v_div_scale_f64 v[220:221], vcc_lo, v[240:241], v[238:239], v[240:241]
	v_rcp_f64_e32 v[216:217], v[214:215]
	v_fma_f64 v[218:219], -v[214:215], v[216:217], 1.0
	v_fma_f64 v[216:217], v[216:217], v[218:219], v[216:217]
	v_fma_f64 v[218:219], -v[214:215], v[216:217], 1.0
	v_fma_f64 v[216:217], v[216:217], v[218:219], v[216:217]
	v_mul_f64 v[218:219], v[220:221], v[216:217]
	v_fma_f64 v[214:215], -v[214:215], v[218:219], v[220:221]
	v_div_fmas_f64 v[214:215], v[214:215], v[216:217], v[218:219]
	v_div_fixup_f64 v[214:215], v[214:215], v[238:239], v[240:241]
	v_fma_f64 v[216:217], v[240:241], v[214:215], v[238:239]
	v_div_scale_f64 v[218:219], null, v[216:217], v[216:217], 1.0
	v_rcp_f64_e32 v[220:221], v[218:219]
	v_fma_f64 v[222:223], -v[218:219], v[220:221], 1.0
	v_fma_f64 v[220:221], v[220:221], v[222:223], v[220:221]
	v_fma_f64 v[222:223], -v[218:219], v[220:221], 1.0
	v_fma_f64 v[220:221], v[220:221], v[222:223], v[220:221]
	v_div_scale_f64 v[222:223], vcc_lo, 1.0, v[216:217], 1.0
	v_mul_f64 v[224:225], v[222:223], v[220:221]
	v_fma_f64 v[218:219], -v[218:219], v[224:225], v[222:223]
	v_div_fmas_f64 v[218:219], v[218:219], v[220:221], v[224:225]
	v_div_fixup_f64 v[238:239], v[218:219], v[216:217], 1.0
	v_mul_f64 v[240:241], v[214:215], -v[238:239]
.LBB116_93:
	s_or_b32 exec_lo, exec_lo, s1
.LBB116_94:
	s_or_b32 exec_lo, exec_lo, s0
	s_mov_b32 s0, exec_lo
	v_cmpx_ne_u32_e64 v252, v246
	s_xor_b32 s0, exec_lo, s0
	s_cbranch_execz .LBB116_100
; %bb.95:
	s_mov_b32 s1, exec_lo
	v_cmpx_eq_u32_e32 4, v252
	s_cbranch_execz .LBB116_99
; %bb.96:
	v_cmp_ne_u32_e32 vcc_lo, 4, v246
	s_xor_b32 s7, s16, -1
	s_and_b32 s9, s7, vcc_lo
	s_and_saveexec_b32 s7, s9
	s_cbranch_execz .LBB116_98
; %bb.97:
	s_clause 0x1
	buffer_load_dword v210, off, s[20:23], 0 offset:16
	buffer_load_dword v211, off, s[20:23], 0 offset:20
	v_ashrrev_i32_e32 v247, 31, v246
	v_lshlrev_b64 v[214:215], 2, v[246:247]
	s_waitcnt vmcnt(1)
	v_add_co_u32 v214, vcc_lo, v210, v214
	s_waitcnt vmcnt(0)
	v_add_co_ci_u32_e64 v215, null, v211, v215, vcc_lo
	s_clause 0x1
	global_load_dword v0, v[214:215], off
	global_load_dword v216, v[210:211], off offset:16
	s_waitcnt vmcnt(1)
	global_store_dword v[210:211], v0, off offset:16
	s_waitcnt vmcnt(0)
	global_store_dword v[214:215], v216, off
.LBB116_98:
	s_or_b32 exec_lo, exec_lo, s7
	v_mov_b32_e32 v252, v246
	v_mov_b32_e32 v0, v246
.LBB116_99:
	s_or_b32 exec_lo, exec_lo, s1
.LBB116_100:
	s_andn2_saveexec_b32 s0, s0
	s_cbranch_execz .LBB116_102
; %bb.101:
	ds_write2_b64 v1, v[10:11], v[12:13] offset0:10 offset1:11
	s_clause 0x3
	buffer_load_dword v210, off, s[20:23], 0
	buffer_load_dword v211, off, s[20:23], 0 offset:4
	buffer_load_dword v212, off, s[20:23], 0 offset:8
	;; [unrolled: 1-line block ×3, first 2 shown]
	v_mov_b32_e32 v252, 4
	s_waitcnt vmcnt(0)
	ds_write2_b64 v1, v[210:211], v[212:213] offset0:12 offset1:13
	ds_write2_b64 v1, v[206:207], v[208:209] offset0:14 offset1:15
	ds_write2_b64 v1, v[202:203], v[204:205] offset0:16 offset1:17
	ds_write2_b64 v1, v[198:199], v[200:201] offset0:18 offset1:19
	ds_write2_b64 v1, v[194:195], v[196:197] offset0:20 offset1:21
	ds_write2_b64 v1, v[190:191], v[192:193] offset0:22 offset1:23
	ds_write2_b64 v1, v[186:187], v[188:189] offset0:24 offset1:25
	ds_write2_b64 v1, v[182:183], v[184:185] offset0:26 offset1:27
	ds_write2_b64 v1, v[178:179], v[180:181] offset0:28 offset1:29
	ds_write2_b64 v1, v[174:175], v[176:177] offset0:30 offset1:31
	ds_write2_b64 v1, v[170:171], v[172:173] offset0:32 offset1:33
	ds_write2_b64 v1, v[166:167], v[168:169] offset0:34 offset1:35
	ds_write2_b64 v1, v[162:163], v[164:165] offset0:36 offset1:37
	ds_write2_b64 v1, v[158:159], v[160:161] offset0:38 offset1:39
	ds_write2_b64 v1, v[154:155], v[156:157] offset0:40 offset1:41
	ds_write2_b64 v1, v[150:151], v[152:153] offset0:42 offset1:43
	ds_write2_b64 v1, v[146:147], v[148:149] offset0:44 offset1:45
	ds_write2_b64 v1, v[142:143], v[144:145] offset0:46 offset1:47
	ds_write2_b64 v1, v[138:139], v[140:141] offset0:48 offset1:49
	ds_write2_b64 v1, v[134:135], v[136:137] offset0:50 offset1:51
	ds_write2_b64 v1, v[130:131], v[132:133] offset0:52 offset1:53
	ds_write2_b64 v1, v[126:127], v[128:129] offset0:54 offset1:55
	ds_write2_b64 v1, v[122:123], v[124:125] offset0:56 offset1:57
	ds_write2_b64 v1, v[118:119], v[120:121] offset0:58 offset1:59
	ds_write2_b64 v1, v[114:115], v[116:117] offset0:60 offset1:61
	ds_write2_b64 v1, v[110:111], v[112:113] offset0:62 offset1:63
	ds_write2_b64 v1, v[106:107], v[108:109] offset0:64 offset1:65
	ds_write2_b64 v1, v[102:103], v[104:105] offset0:66 offset1:67
	ds_write2_b64 v1, v[98:99], v[100:101] offset0:68 offset1:69
	ds_write2_b64 v1, v[94:95], v[96:97] offset0:70 offset1:71
	ds_write2_b64 v1, v[90:91], v[92:93] offset0:72 offset1:73
	ds_write2_b64 v1, v[86:87], v[88:89] offset0:74 offset1:75
	ds_write2_b64 v1, v[82:83], v[84:85] offset0:76 offset1:77
	ds_write2_b64 v1, v[78:79], v[80:81] offset0:78 offset1:79
	ds_write2_b64 v1, v[74:75], v[76:77] offset0:80 offset1:81
	ds_write2_b64 v1, v[70:71], v[72:73] offset0:82 offset1:83
	ds_write2_b64 v1, v[66:67], v[68:69] offset0:84 offset1:85
	ds_write2_b64 v1, v[62:63], v[64:65] offset0:86 offset1:87
	ds_write2_b64 v1, v[58:59], v[60:61] offset0:88 offset1:89
	ds_write2_b64 v1, v[54:55], v[56:57] offset0:90 offset1:91
	ds_write2_b64 v1, v[50:51], v[52:53] offset0:92 offset1:93
	ds_write2_b64 v1, v[46:47], v[48:49] offset0:94 offset1:95
	ds_write2_b64 v1, v[42:43], v[44:45] offset0:96 offset1:97
	ds_write2_b64 v1, v[38:39], v[40:41] offset0:98 offset1:99
	ds_write2_b64 v1, v[34:35], v[36:37] offset0:100 offset1:101
	ds_write2_b64 v1, v[30:31], v[32:33] offset0:102 offset1:103
	ds_write2_b64 v1, v[26:27], v[28:29] offset0:104 offset1:105
	ds_write2_b64 v1, v[22:23], v[24:25] offset0:106 offset1:107
	ds_write2_b64 v1, v[18:19], v[20:21] offset0:108 offset1:109
	ds_write2_b64 v1, v[14:15], v[16:17] offset0:110 offset1:111
	ds_write2_b64 v1, v[232:233], v[234:235] offset0:112 offset1:113
	ds_write2_b64 v1, v[6:7], v[8:9] offset0:114 offset1:115
	ds_write2_b64 v1, v[226:227], v[228:229] offset0:116 offset1:117
.LBB116_102:
	s_or_b32 exec_lo, exec_lo, s0
	s_mov_b32 s0, exec_lo
	s_waitcnt lgkmcnt(0)
	s_waitcnt_vscnt null, 0x0
	s_barrier
	buffer_gl0_inv
	v_cmpx_lt_i32_e32 4, v252
	s_cbranch_execz .LBB116_104
; %bb.103:
	v_mul_f64 v[214:215], v[240:241], v[4:5]
	v_fma_f64 v[246:247], v[238:239], v[2:3], -v[214:215]
	v_mul_f64 v[214:215], v[238:239], v[4:5]
	v_fma_f64 v[4:5], v[240:241], v[2:3], v[214:215]
	ds_read2_b64 v[238:241], v1 offset0:10 offset1:11
	v_mov_b32_e32 v2, v246
	v_mov_b32_e32 v3, v247
	s_waitcnt lgkmcnt(0)
	v_mul_f64 v[214:215], v[240:241], v[4:5]
	v_mul_f64 v[216:217], v[238:239], v[4:5]
	v_fma_f64 v[214:215], v[238:239], v[246:247], -v[214:215]
	v_fma_f64 v[216:217], v[240:241], v[246:247], v[216:217]
	ds_read2_b64 v[238:241], v1 offset0:12 offset1:13
	s_clause 0x3
	buffer_load_dword v210, off, s[20:23], 0
	buffer_load_dword v211, off, s[20:23], 0 offset:4
	buffer_load_dword v212, off, s[20:23], 0 offset:8
	;; [unrolled: 1-line block ×3, first 2 shown]
	v_add_f64 v[10:11], v[10:11], -v[214:215]
	v_add_f64 v[12:13], v[12:13], -v[216:217]
	s_waitcnt lgkmcnt(0)
	v_mul_f64 v[214:215], v[240:241], v[4:5]
	v_mul_f64 v[216:217], v[238:239], v[4:5]
	v_fma_f64 v[214:215], v[238:239], v[246:247], -v[214:215]
	v_fma_f64 v[216:217], v[240:241], v[246:247], v[216:217]
	s_waitcnt vmcnt(2)
	v_add_f64 v[210:211], v[210:211], -v[214:215]
	s_waitcnt vmcnt(0)
	v_add_f64 v[212:213], v[212:213], -v[216:217]
	buffer_store_dword v210, off, s[20:23], 0 ; 4-byte Folded Spill
	buffer_store_dword v211, off, s[20:23], 0 offset:4 ; 4-byte Folded Spill
	buffer_store_dword v212, off, s[20:23], 0 offset:8 ; 4-byte Folded Spill
	buffer_store_dword v213, off, s[20:23], 0 offset:12 ; 4-byte Folded Spill
	ds_read2_b64 v[238:241], v1 offset0:14 offset1:15
	s_waitcnt lgkmcnt(0)
	v_mul_f64 v[214:215], v[240:241], v[4:5]
	v_mul_f64 v[216:217], v[238:239], v[4:5]
	v_fma_f64 v[214:215], v[238:239], v[246:247], -v[214:215]
	v_fma_f64 v[216:217], v[240:241], v[246:247], v[216:217]
	ds_read2_b64 v[238:241], v1 offset0:16 offset1:17
	v_add_f64 v[206:207], v[206:207], -v[214:215]
	v_add_f64 v[208:209], v[208:209], -v[216:217]
	s_waitcnt lgkmcnt(0)
	v_mul_f64 v[214:215], v[240:241], v[4:5]
	v_mul_f64 v[216:217], v[238:239], v[4:5]
	v_fma_f64 v[214:215], v[238:239], v[246:247], -v[214:215]
	v_fma_f64 v[216:217], v[240:241], v[246:247], v[216:217]
	ds_read2_b64 v[238:241], v1 offset0:18 offset1:19
	v_add_f64 v[202:203], v[202:203], -v[214:215]
	v_add_f64 v[204:205], v[204:205], -v[216:217]
	;; [unrolled: 8-line block ×51, first 2 shown]
	s_waitcnt lgkmcnt(0)
	v_mul_f64 v[214:215], v[240:241], v[4:5]
	v_mul_f64 v[216:217], v[238:239], v[4:5]
	v_fma_f64 v[214:215], v[238:239], v[246:247], -v[214:215]
	v_fma_f64 v[216:217], v[240:241], v[246:247], v[216:217]
	v_add_f64 v[226:227], v[226:227], -v[214:215]
	v_add_f64 v[228:229], v[228:229], -v[216:217]
.LBB116_104:
	s_or_b32 exec_lo, exec_lo, s0
	v_lshl_add_u32 v214, v252, 4, v1
	s_waitcnt_vscnt null, 0x0
	s_barrier
	buffer_gl0_inv
	v_mov_b32_e32 v246, 5
	ds_write2_b64 v214, v[10:11], v[12:13] offset1:1
	s_waitcnt lgkmcnt(0)
	s_barrier
	buffer_gl0_inv
	ds_read2_b64 v[238:241], v1 offset0:10 offset1:11
	s_cmp_lt_i32 s8, 7
	s_cbranch_scc1 .LBB116_107
; %bb.105:
	v_add3_u32 v247, v248, 0, 0x60
	v_mov_b32_e32 v246, 5
	s_mov_b32 s0, 6
	s_inst_prefetch 0x1
	.p2align	6
.LBB116_106:                            ; =>This Inner Loop Header: Depth=1
	s_waitcnt lgkmcnt(0)
	v_cmp_gt_f64_e32 vcc_lo, 0, v[238:239]
	v_xor_b32_e32 v214, 0x80000000, v239
	ds_read2_b64 v[242:245], v247 offset1:1
	v_xor_b32_e32 v216, 0x80000000, v241
	v_add_nc_u32_e32 v247, 16, v247
	s_waitcnt lgkmcnt(0)
	v_xor_b32_e32 v218, 0x80000000, v245
	v_cndmask_b32_e32 v215, v239, v214, vcc_lo
	v_cmp_gt_f64_e32 vcc_lo, 0, v[240:241]
	v_mov_b32_e32 v214, v238
	v_cndmask_b32_e32 v217, v241, v216, vcc_lo
	v_cmp_gt_f64_e32 vcc_lo, 0, v[242:243]
	v_mov_b32_e32 v216, v240
	v_add_f64 v[214:215], v[214:215], v[216:217]
	v_xor_b32_e32 v216, 0x80000000, v243
	v_cndmask_b32_e32 v217, v243, v216, vcc_lo
	v_cmp_gt_f64_e32 vcc_lo, 0, v[244:245]
	v_mov_b32_e32 v216, v242
	v_cndmask_b32_e32 v219, v245, v218, vcc_lo
	v_mov_b32_e32 v218, v244
	v_add_f64 v[216:217], v[216:217], v[218:219]
	v_cmp_lt_f64_e32 vcc_lo, v[214:215], v[216:217]
	v_cndmask_b32_e32 v239, v239, v243, vcc_lo
	v_cndmask_b32_e32 v238, v238, v242, vcc_lo
	;; [unrolled: 1-line block ×4, first 2 shown]
	v_cndmask_b32_e64 v246, v246, s0, vcc_lo
	s_add_i32 s0, s0, 1
	s_cmp_lg_u32 s8, s0
	s_cbranch_scc1 .LBB116_106
.LBB116_107:
	s_inst_prefetch 0x2
	s_waitcnt lgkmcnt(0)
	v_cmp_eq_f64_e32 vcc_lo, 0, v[238:239]
	v_cmp_eq_f64_e64 s0, 0, v[240:241]
	s_and_b32 s0, vcc_lo, s0
	s_and_saveexec_b32 s1, s0
	s_xor_b32 s0, exec_lo, s1
; %bb.108:
	v_cmp_ne_u32_e32 vcc_lo, 0, v251
	v_cndmask_b32_e32 v251, 6, v251, vcc_lo
; %bb.109:
	s_andn2_saveexec_b32 s0, s0
	s_cbranch_execz .LBB116_115
; %bb.110:
	v_cmp_ngt_f64_e64 s1, |v[238:239]|, |v[240:241]|
	s_and_saveexec_b32 s7, s1
	s_xor_b32 s1, exec_lo, s7
	s_cbranch_execz .LBB116_112
; %bb.111:
	v_div_scale_f64 v[214:215], null, v[240:241], v[240:241], v[238:239]
	v_div_scale_f64 v[220:221], vcc_lo, v[238:239], v[240:241], v[238:239]
	v_rcp_f64_e32 v[216:217], v[214:215]
	v_fma_f64 v[218:219], -v[214:215], v[216:217], 1.0
	v_fma_f64 v[216:217], v[216:217], v[218:219], v[216:217]
	v_fma_f64 v[218:219], -v[214:215], v[216:217], 1.0
	v_fma_f64 v[216:217], v[216:217], v[218:219], v[216:217]
	v_mul_f64 v[218:219], v[220:221], v[216:217]
	v_fma_f64 v[214:215], -v[214:215], v[218:219], v[220:221]
	v_div_fmas_f64 v[214:215], v[214:215], v[216:217], v[218:219]
	v_div_fixup_f64 v[214:215], v[214:215], v[240:241], v[238:239]
	v_fma_f64 v[216:217], v[238:239], v[214:215], v[240:241]
	v_div_scale_f64 v[218:219], null, v[216:217], v[216:217], 1.0
	v_rcp_f64_e32 v[220:221], v[218:219]
	v_fma_f64 v[222:223], -v[218:219], v[220:221], 1.0
	v_fma_f64 v[220:221], v[220:221], v[222:223], v[220:221]
	v_fma_f64 v[222:223], -v[218:219], v[220:221], 1.0
	v_fma_f64 v[220:221], v[220:221], v[222:223], v[220:221]
	v_div_scale_f64 v[222:223], vcc_lo, 1.0, v[216:217], 1.0
	v_mul_f64 v[224:225], v[222:223], v[220:221]
	v_fma_f64 v[218:219], -v[218:219], v[224:225], v[222:223]
	v_div_fmas_f64 v[218:219], v[218:219], v[220:221], v[224:225]
	v_div_fixup_f64 v[240:241], v[218:219], v[216:217], 1.0
	v_mul_f64 v[238:239], v[214:215], v[240:241]
	v_xor_b32_e32 v241, 0x80000000, v241
.LBB116_112:
	s_andn2_saveexec_b32 s1, s1
	s_cbranch_execz .LBB116_114
; %bb.113:
	v_div_scale_f64 v[214:215], null, v[238:239], v[238:239], v[240:241]
	v_div_scale_f64 v[220:221], vcc_lo, v[240:241], v[238:239], v[240:241]
	v_rcp_f64_e32 v[216:217], v[214:215]
	v_fma_f64 v[218:219], -v[214:215], v[216:217], 1.0
	v_fma_f64 v[216:217], v[216:217], v[218:219], v[216:217]
	v_fma_f64 v[218:219], -v[214:215], v[216:217], 1.0
	v_fma_f64 v[216:217], v[216:217], v[218:219], v[216:217]
	v_mul_f64 v[218:219], v[220:221], v[216:217]
	v_fma_f64 v[214:215], -v[214:215], v[218:219], v[220:221]
	v_div_fmas_f64 v[214:215], v[214:215], v[216:217], v[218:219]
	v_div_fixup_f64 v[214:215], v[214:215], v[238:239], v[240:241]
	v_fma_f64 v[216:217], v[240:241], v[214:215], v[238:239]
	v_div_scale_f64 v[218:219], null, v[216:217], v[216:217], 1.0
	v_rcp_f64_e32 v[220:221], v[218:219]
	v_fma_f64 v[222:223], -v[218:219], v[220:221], 1.0
	v_fma_f64 v[220:221], v[220:221], v[222:223], v[220:221]
	v_fma_f64 v[222:223], -v[218:219], v[220:221], 1.0
	v_fma_f64 v[220:221], v[220:221], v[222:223], v[220:221]
	v_div_scale_f64 v[222:223], vcc_lo, 1.0, v[216:217], 1.0
	v_mul_f64 v[224:225], v[222:223], v[220:221]
	v_fma_f64 v[218:219], -v[218:219], v[224:225], v[222:223]
	v_div_fmas_f64 v[218:219], v[218:219], v[220:221], v[224:225]
	v_div_fixup_f64 v[238:239], v[218:219], v[216:217], 1.0
	v_mul_f64 v[240:241], v[214:215], -v[238:239]
.LBB116_114:
	s_or_b32 exec_lo, exec_lo, s1
.LBB116_115:
	s_or_b32 exec_lo, exec_lo, s0
	s_mov_b32 s0, exec_lo
	v_cmpx_ne_u32_e64 v252, v246
	s_xor_b32 s0, exec_lo, s0
	s_cbranch_execz .LBB116_121
; %bb.116:
	s_mov_b32 s1, exec_lo
	v_cmpx_eq_u32_e32 5, v252
	s_cbranch_execz .LBB116_120
; %bb.117:
	v_cmp_ne_u32_e32 vcc_lo, 5, v246
	s_xor_b32 s7, s16, -1
	s_and_b32 s9, s7, vcc_lo
	s_and_saveexec_b32 s7, s9
	s_cbranch_execz .LBB116_119
; %bb.118:
	s_clause 0x1
	buffer_load_dword v210, off, s[20:23], 0 offset:16
	buffer_load_dword v211, off, s[20:23], 0 offset:20
	v_ashrrev_i32_e32 v247, 31, v246
	v_lshlrev_b64 v[214:215], 2, v[246:247]
	s_waitcnt vmcnt(1)
	v_add_co_u32 v214, vcc_lo, v210, v214
	s_waitcnt vmcnt(0)
	v_add_co_ci_u32_e64 v215, null, v211, v215, vcc_lo
	s_clause 0x1
	global_load_dword v0, v[214:215], off
	global_load_dword v216, v[210:211], off offset:20
	s_waitcnt vmcnt(1)
	global_store_dword v[210:211], v0, off offset:20
	s_waitcnt vmcnt(0)
	global_store_dword v[214:215], v216, off
.LBB116_119:
	s_or_b32 exec_lo, exec_lo, s7
	v_mov_b32_e32 v252, v246
	v_mov_b32_e32 v0, v246
.LBB116_120:
	s_or_b32 exec_lo, exec_lo, s1
.LBB116_121:
	s_andn2_saveexec_b32 s0, s0
	s_cbranch_execz .LBB116_123
; %bb.122:
	s_clause 0x3
	buffer_load_dword v210, off, s[20:23], 0
	buffer_load_dword v211, off, s[20:23], 0 offset:4
	buffer_load_dword v212, off, s[20:23], 0 offset:8
	;; [unrolled: 1-line block ×3, first 2 shown]
	v_mov_b32_e32 v252, 5
	s_waitcnt vmcnt(0)
	ds_write2_b64 v1, v[210:211], v[212:213] offset0:12 offset1:13
	ds_write2_b64 v1, v[206:207], v[208:209] offset0:14 offset1:15
	;; [unrolled: 1-line block ×53, first 2 shown]
.LBB116_123:
	s_or_b32 exec_lo, exec_lo, s0
	s_mov_b32 s0, exec_lo
	s_waitcnt lgkmcnt(0)
	s_waitcnt_vscnt null, 0x0
	s_barrier
	buffer_gl0_inv
	v_cmpx_lt_i32_e32 5, v252
	s_cbranch_execz .LBB116_125
; %bb.124:
	v_mul_f64 v[214:215], v[240:241], v[12:13]
	v_fma_f64 v[246:247], v[238:239], v[10:11], -v[214:215]
	v_mul_f64 v[214:215], v[238:239], v[12:13]
	v_fma_f64 v[12:13], v[240:241], v[10:11], v[214:215]
	ds_read2_b64 v[238:241], v1 offset0:12 offset1:13
	s_clause 0x3
	buffer_load_dword v210, off, s[20:23], 0
	buffer_load_dword v211, off, s[20:23], 0 offset:4
	buffer_load_dword v212, off, s[20:23], 0 offset:8
	;; [unrolled: 1-line block ×3, first 2 shown]
	v_mov_b32_e32 v10, v246
	v_mov_b32_e32 v11, v247
	s_waitcnt lgkmcnt(0)
	v_mul_f64 v[214:215], v[240:241], v[12:13]
	v_mul_f64 v[216:217], v[238:239], v[12:13]
	v_fma_f64 v[214:215], v[238:239], v[246:247], -v[214:215]
	v_fma_f64 v[216:217], v[240:241], v[246:247], v[216:217]
	s_waitcnt vmcnt(2)
	v_add_f64 v[210:211], v[210:211], -v[214:215]
	s_waitcnt vmcnt(0)
	v_add_f64 v[212:213], v[212:213], -v[216:217]
	buffer_store_dword v210, off, s[20:23], 0 ; 4-byte Folded Spill
	buffer_store_dword v211, off, s[20:23], 0 offset:4 ; 4-byte Folded Spill
	buffer_store_dword v212, off, s[20:23], 0 offset:8 ; 4-byte Folded Spill
	;; [unrolled: 1-line block ×3, first 2 shown]
	ds_read2_b64 v[238:241], v1 offset0:14 offset1:15
	s_waitcnt lgkmcnt(0)
	v_mul_f64 v[214:215], v[240:241], v[12:13]
	v_mul_f64 v[216:217], v[238:239], v[12:13]
	v_fma_f64 v[214:215], v[238:239], v[246:247], -v[214:215]
	v_fma_f64 v[216:217], v[240:241], v[246:247], v[216:217]
	ds_read2_b64 v[238:241], v1 offset0:16 offset1:17
	v_add_f64 v[206:207], v[206:207], -v[214:215]
	v_add_f64 v[208:209], v[208:209], -v[216:217]
	s_waitcnt lgkmcnt(0)
	v_mul_f64 v[214:215], v[240:241], v[12:13]
	v_mul_f64 v[216:217], v[238:239], v[12:13]
	v_fma_f64 v[214:215], v[238:239], v[246:247], -v[214:215]
	v_fma_f64 v[216:217], v[240:241], v[246:247], v[216:217]
	ds_read2_b64 v[238:241], v1 offset0:18 offset1:19
	v_add_f64 v[202:203], v[202:203], -v[214:215]
	v_add_f64 v[204:205], v[204:205], -v[216:217]
	;; [unrolled: 8-line block ×51, first 2 shown]
	s_waitcnt lgkmcnt(0)
	v_mul_f64 v[214:215], v[240:241], v[12:13]
	v_mul_f64 v[216:217], v[238:239], v[12:13]
	v_fma_f64 v[214:215], v[238:239], v[246:247], -v[214:215]
	v_fma_f64 v[216:217], v[240:241], v[246:247], v[216:217]
	v_add_f64 v[226:227], v[226:227], -v[214:215]
	v_add_f64 v[228:229], v[228:229], -v[216:217]
.LBB116_125:
	s_or_b32 exec_lo, exec_lo, s0
	s_waitcnt_vscnt null, 0x0
	s_barrier
	buffer_gl0_inv
	s_clause 0x3
	buffer_load_dword v210, off, s[20:23], 0
	buffer_load_dword v211, off, s[20:23], 0 offset:4
	buffer_load_dword v212, off, s[20:23], 0 offset:8
	;; [unrolled: 1-line block ×3, first 2 shown]
	v_lshl_add_u32 v214, v252, 4, v1
	v_mov_b32_e32 v246, 6
	s_cmp_lt_i32 s8, 8
	s_waitcnt vmcnt(0)
	ds_write2_b64 v214, v[210:211], v[212:213] offset1:1
	s_waitcnt lgkmcnt(0)
	s_barrier
	buffer_gl0_inv
	ds_read2_b64 v[238:241], v1 offset0:12 offset1:13
	s_cbranch_scc1 .LBB116_128
; %bb.126:
	v_add3_u32 v247, v248, 0, 0x70
	v_mov_b32_e32 v246, 6
	s_mov_b32 s0, 7
	s_inst_prefetch 0x1
	.p2align	6
.LBB116_127:                            ; =>This Inner Loop Header: Depth=1
	s_waitcnt lgkmcnt(0)
	v_cmp_gt_f64_e32 vcc_lo, 0, v[238:239]
	v_xor_b32_e32 v214, 0x80000000, v239
	ds_read2_b64 v[242:245], v247 offset1:1
	v_xor_b32_e32 v216, 0x80000000, v241
	v_add_nc_u32_e32 v247, 16, v247
	s_waitcnt lgkmcnt(0)
	v_xor_b32_e32 v218, 0x80000000, v245
	v_cndmask_b32_e32 v215, v239, v214, vcc_lo
	v_cmp_gt_f64_e32 vcc_lo, 0, v[240:241]
	v_mov_b32_e32 v214, v238
	v_cndmask_b32_e32 v217, v241, v216, vcc_lo
	v_cmp_gt_f64_e32 vcc_lo, 0, v[242:243]
	v_mov_b32_e32 v216, v240
	v_add_f64 v[214:215], v[214:215], v[216:217]
	v_xor_b32_e32 v216, 0x80000000, v243
	v_cndmask_b32_e32 v217, v243, v216, vcc_lo
	v_cmp_gt_f64_e32 vcc_lo, 0, v[244:245]
	v_mov_b32_e32 v216, v242
	v_cndmask_b32_e32 v219, v245, v218, vcc_lo
	v_mov_b32_e32 v218, v244
	v_add_f64 v[216:217], v[216:217], v[218:219]
	v_cmp_lt_f64_e32 vcc_lo, v[214:215], v[216:217]
	v_cndmask_b32_e32 v239, v239, v243, vcc_lo
	v_cndmask_b32_e32 v238, v238, v242, vcc_lo
	;; [unrolled: 1-line block ×4, first 2 shown]
	v_cndmask_b32_e64 v246, v246, s0, vcc_lo
	s_add_i32 s0, s0, 1
	s_cmp_lg_u32 s8, s0
	s_cbranch_scc1 .LBB116_127
.LBB116_128:
	s_inst_prefetch 0x2
	s_waitcnt lgkmcnt(0)
	v_cmp_eq_f64_e32 vcc_lo, 0, v[238:239]
	v_cmp_eq_f64_e64 s0, 0, v[240:241]
	s_and_b32 s0, vcc_lo, s0
	s_and_saveexec_b32 s1, s0
	s_xor_b32 s0, exec_lo, s1
; %bb.129:
	v_cmp_ne_u32_e32 vcc_lo, 0, v251
	v_cndmask_b32_e32 v251, 7, v251, vcc_lo
; %bb.130:
	s_andn2_saveexec_b32 s0, s0
	s_cbranch_execz .LBB116_136
; %bb.131:
	v_cmp_ngt_f64_e64 s1, |v[238:239]|, |v[240:241]|
	s_and_saveexec_b32 s7, s1
	s_xor_b32 s1, exec_lo, s7
	s_cbranch_execz .LBB116_133
; %bb.132:
	v_div_scale_f64 v[214:215], null, v[240:241], v[240:241], v[238:239]
	v_div_scale_f64 v[220:221], vcc_lo, v[238:239], v[240:241], v[238:239]
	v_rcp_f64_e32 v[216:217], v[214:215]
	v_fma_f64 v[218:219], -v[214:215], v[216:217], 1.0
	v_fma_f64 v[216:217], v[216:217], v[218:219], v[216:217]
	v_fma_f64 v[218:219], -v[214:215], v[216:217], 1.0
	v_fma_f64 v[216:217], v[216:217], v[218:219], v[216:217]
	v_mul_f64 v[218:219], v[220:221], v[216:217]
	v_fma_f64 v[214:215], -v[214:215], v[218:219], v[220:221]
	v_div_fmas_f64 v[214:215], v[214:215], v[216:217], v[218:219]
	v_div_fixup_f64 v[214:215], v[214:215], v[240:241], v[238:239]
	v_fma_f64 v[216:217], v[238:239], v[214:215], v[240:241]
	v_div_scale_f64 v[218:219], null, v[216:217], v[216:217], 1.0
	v_rcp_f64_e32 v[220:221], v[218:219]
	v_fma_f64 v[222:223], -v[218:219], v[220:221], 1.0
	v_fma_f64 v[220:221], v[220:221], v[222:223], v[220:221]
	v_fma_f64 v[222:223], -v[218:219], v[220:221], 1.0
	v_fma_f64 v[220:221], v[220:221], v[222:223], v[220:221]
	v_div_scale_f64 v[222:223], vcc_lo, 1.0, v[216:217], 1.0
	v_mul_f64 v[224:225], v[222:223], v[220:221]
	v_fma_f64 v[218:219], -v[218:219], v[224:225], v[222:223]
	v_div_fmas_f64 v[218:219], v[218:219], v[220:221], v[224:225]
	v_div_fixup_f64 v[240:241], v[218:219], v[216:217], 1.0
	v_mul_f64 v[238:239], v[214:215], v[240:241]
	v_xor_b32_e32 v241, 0x80000000, v241
.LBB116_133:
	s_andn2_saveexec_b32 s1, s1
	s_cbranch_execz .LBB116_135
; %bb.134:
	v_div_scale_f64 v[214:215], null, v[238:239], v[238:239], v[240:241]
	v_div_scale_f64 v[220:221], vcc_lo, v[240:241], v[238:239], v[240:241]
	v_rcp_f64_e32 v[216:217], v[214:215]
	v_fma_f64 v[218:219], -v[214:215], v[216:217], 1.0
	v_fma_f64 v[216:217], v[216:217], v[218:219], v[216:217]
	v_fma_f64 v[218:219], -v[214:215], v[216:217], 1.0
	v_fma_f64 v[216:217], v[216:217], v[218:219], v[216:217]
	v_mul_f64 v[218:219], v[220:221], v[216:217]
	v_fma_f64 v[214:215], -v[214:215], v[218:219], v[220:221]
	v_div_fmas_f64 v[214:215], v[214:215], v[216:217], v[218:219]
	v_div_fixup_f64 v[214:215], v[214:215], v[238:239], v[240:241]
	v_fma_f64 v[216:217], v[240:241], v[214:215], v[238:239]
	v_div_scale_f64 v[218:219], null, v[216:217], v[216:217], 1.0
	v_rcp_f64_e32 v[220:221], v[218:219]
	v_fma_f64 v[222:223], -v[218:219], v[220:221], 1.0
	v_fma_f64 v[220:221], v[220:221], v[222:223], v[220:221]
	v_fma_f64 v[222:223], -v[218:219], v[220:221], 1.0
	v_fma_f64 v[220:221], v[220:221], v[222:223], v[220:221]
	v_div_scale_f64 v[222:223], vcc_lo, 1.0, v[216:217], 1.0
	v_mul_f64 v[224:225], v[222:223], v[220:221]
	v_fma_f64 v[218:219], -v[218:219], v[224:225], v[222:223]
	v_div_fmas_f64 v[218:219], v[218:219], v[220:221], v[224:225]
	v_div_fixup_f64 v[238:239], v[218:219], v[216:217], 1.0
	v_mul_f64 v[240:241], v[214:215], -v[238:239]
.LBB116_135:
	s_or_b32 exec_lo, exec_lo, s1
.LBB116_136:
	s_or_b32 exec_lo, exec_lo, s0
	s_mov_b32 s0, exec_lo
	v_cmpx_ne_u32_e64 v252, v246
	s_xor_b32 s0, exec_lo, s0
	s_cbranch_execz .LBB116_142
; %bb.137:
	s_mov_b32 s1, exec_lo
	v_cmpx_eq_u32_e32 6, v252
	s_cbranch_execz .LBB116_141
; %bb.138:
	v_cmp_ne_u32_e32 vcc_lo, 6, v246
	s_xor_b32 s7, s16, -1
	s_and_b32 s9, s7, vcc_lo
	s_and_saveexec_b32 s7, s9
	s_cbranch_execz .LBB116_140
; %bb.139:
	s_clause 0x1
	buffer_load_dword v210, off, s[20:23], 0 offset:16
	buffer_load_dword v211, off, s[20:23], 0 offset:20
	v_ashrrev_i32_e32 v247, 31, v246
	v_lshlrev_b64 v[214:215], 2, v[246:247]
	s_waitcnt vmcnt(1)
	v_add_co_u32 v214, vcc_lo, v210, v214
	s_waitcnt vmcnt(0)
	v_add_co_ci_u32_e64 v215, null, v211, v215, vcc_lo
	s_clause 0x1
	global_load_dword v0, v[214:215], off
	global_load_dword v216, v[210:211], off offset:24
	s_waitcnt vmcnt(1)
	global_store_dword v[210:211], v0, off offset:24
	s_waitcnt vmcnt(0)
	global_store_dword v[214:215], v216, off
.LBB116_140:
	s_or_b32 exec_lo, exec_lo, s7
	v_mov_b32_e32 v252, v246
	v_mov_b32_e32 v0, v246
.LBB116_141:
	s_or_b32 exec_lo, exec_lo, s1
.LBB116_142:
	s_andn2_saveexec_b32 s0, s0
	s_cbranch_execz .LBB116_144
; %bb.143:
	v_mov_b32_e32 v252, 6
	ds_write2_b64 v1, v[206:207], v[208:209] offset0:14 offset1:15
	ds_write2_b64 v1, v[202:203], v[204:205] offset0:16 offset1:17
	ds_write2_b64 v1, v[198:199], v[200:201] offset0:18 offset1:19
	ds_write2_b64 v1, v[194:195], v[196:197] offset0:20 offset1:21
	ds_write2_b64 v1, v[190:191], v[192:193] offset0:22 offset1:23
	ds_write2_b64 v1, v[186:187], v[188:189] offset0:24 offset1:25
	ds_write2_b64 v1, v[182:183], v[184:185] offset0:26 offset1:27
	ds_write2_b64 v1, v[178:179], v[180:181] offset0:28 offset1:29
	ds_write2_b64 v1, v[174:175], v[176:177] offset0:30 offset1:31
	ds_write2_b64 v1, v[170:171], v[172:173] offset0:32 offset1:33
	ds_write2_b64 v1, v[166:167], v[168:169] offset0:34 offset1:35
	ds_write2_b64 v1, v[162:163], v[164:165] offset0:36 offset1:37
	ds_write2_b64 v1, v[158:159], v[160:161] offset0:38 offset1:39
	ds_write2_b64 v1, v[154:155], v[156:157] offset0:40 offset1:41
	ds_write2_b64 v1, v[150:151], v[152:153] offset0:42 offset1:43
	ds_write2_b64 v1, v[146:147], v[148:149] offset0:44 offset1:45
	ds_write2_b64 v1, v[142:143], v[144:145] offset0:46 offset1:47
	ds_write2_b64 v1, v[138:139], v[140:141] offset0:48 offset1:49
	ds_write2_b64 v1, v[134:135], v[136:137] offset0:50 offset1:51
	ds_write2_b64 v1, v[130:131], v[132:133] offset0:52 offset1:53
	ds_write2_b64 v1, v[126:127], v[128:129] offset0:54 offset1:55
	ds_write2_b64 v1, v[122:123], v[124:125] offset0:56 offset1:57
	ds_write2_b64 v1, v[118:119], v[120:121] offset0:58 offset1:59
	ds_write2_b64 v1, v[114:115], v[116:117] offset0:60 offset1:61
	ds_write2_b64 v1, v[110:111], v[112:113] offset0:62 offset1:63
	ds_write2_b64 v1, v[106:107], v[108:109] offset0:64 offset1:65
	ds_write2_b64 v1, v[102:103], v[104:105] offset0:66 offset1:67
	ds_write2_b64 v1, v[98:99], v[100:101] offset0:68 offset1:69
	ds_write2_b64 v1, v[94:95], v[96:97] offset0:70 offset1:71
	ds_write2_b64 v1, v[90:91], v[92:93] offset0:72 offset1:73
	ds_write2_b64 v1, v[86:87], v[88:89] offset0:74 offset1:75
	ds_write2_b64 v1, v[82:83], v[84:85] offset0:76 offset1:77
	ds_write2_b64 v1, v[78:79], v[80:81] offset0:78 offset1:79
	ds_write2_b64 v1, v[74:75], v[76:77] offset0:80 offset1:81
	ds_write2_b64 v1, v[70:71], v[72:73] offset0:82 offset1:83
	ds_write2_b64 v1, v[66:67], v[68:69] offset0:84 offset1:85
	ds_write2_b64 v1, v[62:63], v[64:65] offset0:86 offset1:87
	ds_write2_b64 v1, v[58:59], v[60:61] offset0:88 offset1:89
	ds_write2_b64 v1, v[54:55], v[56:57] offset0:90 offset1:91
	ds_write2_b64 v1, v[50:51], v[52:53] offset0:92 offset1:93
	ds_write2_b64 v1, v[46:47], v[48:49] offset0:94 offset1:95
	ds_write2_b64 v1, v[42:43], v[44:45] offset0:96 offset1:97
	ds_write2_b64 v1, v[38:39], v[40:41] offset0:98 offset1:99
	ds_write2_b64 v1, v[34:35], v[36:37] offset0:100 offset1:101
	ds_write2_b64 v1, v[30:31], v[32:33] offset0:102 offset1:103
	ds_write2_b64 v1, v[26:27], v[28:29] offset0:104 offset1:105
	ds_write2_b64 v1, v[22:23], v[24:25] offset0:106 offset1:107
	ds_write2_b64 v1, v[18:19], v[20:21] offset0:108 offset1:109
	ds_write2_b64 v1, v[14:15], v[16:17] offset0:110 offset1:111
	ds_write2_b64 v1, v[232:233], v[234:235] offset0:112 offset1:113
	ds_write2_b64 v1, v[6:7], v[8:9] offset0:114 offset1:115
	ds_write2_b64 v1, v[226:227], v[228:229] offset0:116 offset1:117
.LBB116_144:
	s_or_b32 exec_lo, exec_lo, s0
	s_mov_b32 s0, exec_lo
	s_waitcnt lgkmcnt(0)
	s_waitcnt_vscnt null, 0x0
	s_barrier
	buffer_gl0_inv
	v_cmpx_lt_i32_e32 6, v252
	s_cbranch_execz .LBB116_146
; %bb.145:
	s_clause 0x3
	buffer_load_dword v210, off, s[20:23], 0
	buffer_load_dword v211, off, s[20:23], 0 offset:4
	buffer_load_dword v212, off, s[20:23], 0 offset:8
	;; [unrolled: 1-line block ×3, first 2 shown]
	s_waitcnt vmcnt(0)
	v_mul_f64 v[214:215], v[240:241], v[212:213]
	v_mul_f64 v[212:213], v[238:239], v[212:213]
	v_fma_f64 v[246:247], v[238:239], v[210:211], -v[214:215]
	v_fma_f64 v[212:213], v[240:241], v[210:211], v[212:213]
	ds_read2_b64 v[238:241], v1 offset0:14 offset1:15
	s_waitcnt lgkmcnt(0)
	v_mul_f64 v[210:211], v[240:241], v[212:213]
	v_mul_f64 v[214:215], v[238:239], v[212:213]
	v_fma_f64 v[210:211], v[238:239], v[246:247], -v[210:211]
	v_fma_f64 v[214:215], v[240:241], v[246:247], v[214:215]
	ds_read2_b64 v[238:241], v1 offset0:16 offset1:17
	v_add_f64 v[206:207], v[206:207], -v[210:211]
	v_add_f64 v[208:209], v[208:209], -v[214:215]
	s_waitcnt lgkmcnt(0)
	v_mul_f64 v[210:211], v[240:241], v[212:213]
	v_mul_f64 v[214:215], v[238:239], v[212:213]
	v_fma_f64 v[210:211], v[238:239], v[246:247], -v[210:211]
	v_fma_f64 v[214:215], v[240:241], v[246:247], v[214:215]
	ds_read2_b64 v[238:241], v1 offset0:18 offset1:19
	v_add_f64 v[202:203], v[202:203], -v[210:211]
	v_add_f64 v[204:205], v[204:205], -v[214:215]
	s_waitcnt lgkmcnt(0)
	v_mul_f64 v[210:211], v[240:241], v[212:213]
	v_mul_f64 v[214:215], v[238:239], v[212:213]
	v_fma_f64 v[210:211], v[238:239], v[246:247], -v[210:211]
	v_fma_f64 v[214:215], v[240:241], v[246:247], v[214:215]
	ds_read2_b64 v[238:241], v1 offset0:20 offset1:21
	v_add_f64 v[198:199], v[198:199], -v[210:211]
	v_add_f64 v[200:201], v[200:201], -v[214:215]
	s_waitcnt lgkmcnt(0)
	v_mul_f64 v[210:211], v[240:241], v[212:213]
	v_mul_f64 v[214:215], v[238:239], v[212:213]
	v_fma_f64 v[210:211], v[238:239], v[246:247], -v[210:211]
	v_fma_f64 v[214:215], v[240:241], v[246:247], v[214:215]
	ds_read2_b64 v[238:241], v1 offset0:22 offset1:23
	v_add_f64 v[194:195], v[194:195], -v[210:211]
	v_add_f64 v[196:197], v[196:197], -v[214:215]
	s_waitcnt lgkmcnt(0)
	v_mul_f64 v[210:211], v[240:241], v[212:213]
	v_mul_f64 v[214:215], v[238:239], v[212:213]
	v_fma_f64 v[210:211], v[238:239], v[246:247], -v[210:211]
	v_fma_f64 v[214:215], v[240:241], v[246:247], v[214:215]
	ds_read2_b64 v[238:241], v1 offset0:24 offset1:25
	v_add_f64 v[190:191], v[190:191], -v[210:211]
	v_add_f64 v[192:193], v[192:193], -v[214:215]
	s_waitcnt lgkmcnt(0)
	v_mul_f64 v[210:211], v[240:241], v[212:213]
	v_mul_f64 v[214:215], v[238:239], v[212:213]
	v_fma_f64 v[210:211], v[238:239], v[246:247], -v[210:211]
	v_fma_f64 v[214:215], v[240:241], v[246:247], v[214:215]
	ds_read2_b64 v[238:241], v1 offset0:26 offset1:27
	v_add_f64 v[186:187], v[186:187], -v[210:211]
	v_add_f64 v[188:189], v[188:189], -v[214:215]
	s_waitcnt lgkmcnt(0)
	v_mul_f64 v[210:211], v[240:241], v[212:213]
	v_mul_f64 v[214:215], v[238:239], v[212:213]
	v_fma_f64 v[210:211], v[238:239], v[246:247], -v[210:211]
	v_fma_f64 v[214:215], v[240:241], v[246:247], v[214:215]
	ds_read2_b64 v[238:241], v1 offset0:28 offset1:29
	v_add_f64 v[182:183], v[182:183], -v[210:211]
	v_add_f64 v[184:185], v[184:185], -v[214:215]
	s_waitcnt lgkmcnt(0)
	v_mul_f64 v[210:211], v[240:241], v[212:213]
	v_mul_f64 v[214:215], v[238:239], v[212:213]
	v_fma_f64 v[210:211], v[238:239], v[246:247], -v[210:211]
	v_fma_f64 v[214:215], v[240:241], v[246:247], v[214:215]
	ds_read2_b64 v[238:241], v1 offset0:30 offset1:31
	v_add_f64 v[178:179], v[178:179], -v[210:211]
	v_add_f64 v[180:181], v[180:181], -v[214:215]
	s_waitcnt lgkmcnt(0)
	v_mul_f64 v[210:211], v[240:241], v[212:213]
	v_mul_f64 v[214:215], v[238:239], v[212:213]
	v_fma_f64 v[210:211], v[238:239], v[246:247], -v[210:211]
	v_fma_f64 v[214:215], v[240:241], v[246:247], v[214:215]
	ds_read2_b64 v[238:241], v1 offset0:32 offset1:33
	v_add_f64 v[174:175], v[174:175], -v[210:211]
	v_add_f64 v[176:177], v[176:177], -v[214:215]
	s_waitcnt lgkmcnt(0)
	v_mul_f64 v[210:211], v[240:241], v[212:213]
	v_mul_f64 v[214:215], v[238:239], v[212:213]
	v_fma_f64 v[210:211], v[238:239], v[246:247], -v[210:211]
	v_fma_f64 v[214:215], v[240:241], v[246:247], v[214:215]
	ds_read2_b64 v[238:241], v1 offset0:34 offset1:35
	v_add_f64 v[170:171], v[170:171], -v[210:211]
	v_add_f64 v[172:173], v[172:173], -v[214:215]
	s_waitcnt lgkmcnt(0)
	v_mul_f64 v[210:211], v[240:241], v[212:213]
	v_mul_f64 v[214:215], v[238:239], v[212:213]
	v_fma_f64 v[210:211], v[238:239], v[246:247], -v[210:211]
	v_fma_f64 v[214:215], v[240:241], v[246:247], v[214:215]
	ds_read2_b64 v[238:241], v1 offset0:36 offset1:37
	v_add_f64 v[166:167], v[166:167], -v[210:211]
	v_add_f64 v[168:169], v[168:169], -v[214:215]
	s_waitcnt lgkmcnt(0)
	v_mul_f64 v[210:211], v[240:241], v[212:213]
	v_mul_f64 v[214:215], v[238:239], v[212:213]
	v_fma_f64 v[210:211], v[238:239], v[246:247], -v[210:211]
	v_fma_f64 v[214:215], v[240:241], v[246:247], v[214:215]
	ds_read2_b64 v[238:241], v1 offset0:38 offset1:39
	v_add_f64 v[162:163], v[162:163], -v[210:211]
	v_add_f64 v[164:165], v[164:165], -v[214:215]
	s_waitcnt lgkmcnt(0)
	v_mul_f64 v[210:211], v[240:241], v[212:213]
	v_mul_f64 v[214:215], v[238:239], v[212:213]
	v_fma_f64 v[210:211], v[238:239], v[246:247], -v[210:211]
	v_fma_f64 v[214:215], v[240:241], v[246:247], v[214:215]
	ds_read2_b64 v[238:241], v1 offset0:40 offset1:41
	v_add_f64 v[158:159], v[158:159], -v[210:211]
	v_add_f64 v[160:161], v[160:161], -v[214:215]
	s_waitcnt lgkmcnt(0)
	v_mul_f64 v[210:211], v[240:241], v[212:213]
	v_mul_f64 v[214:215], v[238:239], v[212:213]
	v_fma_f64 v[210:211], v[238:239], v[246:247], -v[210:211]
	v_fma_f64 v[214:215], v[240:241], v[246:247], v[214:215]
	ds_read2_b64 v[238:241], v1 offset0:42 offset1:43
	v_add_f64 v[154:155], v[154:155], -v[210:211]
	v_add_f64 v[156:157], v[156:157], -v[214:215]
	s_waitcnt lgkmcnt(0)
	v_mul_f64 v[210:211], v[240:241], v[212:213]
	v_mul_f64 v[214:215], v[238:239], v[212:213]
	v_fma_f64 v[210:211], v[238:239], v[246:247], -v[210:211]
	v_fma_f64 v[214:215], v[240:241], v[246:247], v[214:215]
	ds_read2_b64 v[238:241], v1 offset0:44 offset1:45
	v_add_f64 v[150:151], v[150:151], -v[210:211]
	v_add_f64 v[152:153], v[152:153], -v[214:215]
	s_waitcnt lgkmcnt(0)
	v_mul_f64 v[210:211], v[240:241], v[212:213]
	v_mul_f64 v[214:215], v[238:239], v[212:213]
	v_fma_f64 v[210:211], v[238:239], v[246:247], -v[210:211]
	v_fma_f64 v[214:215], v[240:241], v[246:247], v[214:215]
	ds_read2_b64 v[238:241], v1 offset0:46 offset1:47
	v_add_f64 v[146:147], v[146:147], -v[210:211]
	v_add_f64 v[148:149], v[148:149], -v[214:215]
	s_waitcnt lgkmcnt(0)
	v_mul_f64 v[210:211], v[240:241], v[212:213]
	v_mul_f64 v[214:215], v[238:239], v[212:213]
	v_fma_f64 v[210:211], v[238:239], v[246:247], -v[210:211]
	v_fma_f64 v[214:215], v[240:241], v[246:247], v[214:215]
	ds_read2_b64 v[238:241], v1 offset0:48 offset1:49
	v_add_f64 v[142:143], v[142:143], -v[210:211]
	v_add_f64 v[144:145], v[144:145], -v[214:215]
	s_waitcnt lgkmcnt(0)
	v_mul_f64 v[210:211], v[240:241], v[212:213]
	v_mul_f64 v[214:215], v[238:239], v[212:213]
	v_fma_f64 v[210:211], v[238:239], v[246:247], -v[210:211]
	v_fma_f64 v[214:215], v[240:241], v[246:247], v[214:215]
	ds_read2_b64 v[238:241], v1 offset0:50 offset1:51
	v_add_f64 v[138:139], v[138:139], -v[210:211]
	v_add_f64 v[140:141], v[140:141], -v[214:215]
	s_waitcnt lgkmcnt(0)
	v_mul_f64 v[210:211], v[240:241], v[212:213]
	v_mul_f64 v[214:215], v[238:239], v[212:213]
	v_fma_f64 v[210:211], v[238:239], v[246:247], -v[210:211]
	v_fma_f64 v[214:215], v[240:241], v[246:247], v[214:215]
	ds_read2_b64 v[238:241], v1 offset0:52 offset1:53
	v_add_f64 v[134:135], v[134:135], -v[210:211]
	v_add_f64 v[136:137], v[136:137], -v[214:215]
	s_waitcnt lgkmcnt(0)
	v_mul_f64 v[210:211], v[240:241], v[212:213]
	v_mul_f64 v[214:215], v[238:239], v[212:213]
	v_fma_f64 v[210:211], v[238:239], v[246:247], -v[210:211]
	v_fma_f64 v[214:215], v[240:241], v[246:247], v[214:215]
	ds_read2_b64 v[238:241], v1 offset0:54 offset1:55
	v_add_f64 v[130:131], v[130:131], -v[210:211]
	v_add_f64 v[132:133], v[132:133], -v[214:215]
	s_waitcnt lgkmcnt(0)
	v_mul_f64 v[210:211], v[240:241], v[212:213]
	v_mul_f64 v[214:215], v[238:239], v[212:213]
	v_fma_f64 v[210:211], v[238:239], v[246:247], -v[210:211]
	v_fma_f64 v[214:215], v[240:241], v[246:247], v[214:215]
	ds_read2_b64 v[238:241], v1 offset0:56 offset1:57
	v_add_f64 v[126:127], v[126:127], -v[210:211]
	v_add_f64 v[128:129], v[128:129], -v[214:215]
	s_waitcnt lgkmcnt(0)
	v_mul_f64 v[210:211], v[240:241], v[212:213]
	v_mul_f64 v[214:215], v[238:239], v[212:213]
	v_fma_f64 v[210:211], v[238:239], v[246:247], -v[210:211]
	v_fma_f64 v[214:215], v[240:241], v[246:247], v[214:215]
	ds_read2_b64 v[238:241], v1 offset0:58 offset1:59
	v_add_f64 v[122:123], v[122:123], -v[210:211]
	v_add_f64 v[124:125], v[124:125], -v[214:215]
	s_waitcnt lgkmcnt(0)
	v_mul_f64 v[210:211], v[240:241], v[212:213]
	v_mul_f64 v[214:215], v[238:239], v[212:213]
	v_fma_f64 v[210:211], v[238:239], v[246:247], -v[210:211]
	v_fma_f64 v[214:215], v[240:241], v[246:247], v[214:215]
	ds_read2_b64 v[238:241], v1 offset0:60 offset1:61
	v_add_f64 v[118:119], v[118:119], -v[210:211]
	v_add_f64 v[120:121], v[120:121], -v[214:215]
	s_waitcnt lgkmcnt(0)
	v_mul_f64 v[210:211], v[240:241], v[212:213]
	v_mul_f64 v[214:215], v[238:239], v[212:213]
	v_fma_f64 v[210:211], v[238:239], v[246:247], -v[210:211]
	v_fma_f64 v[214:215], v[240:241], v[246:247], v[214:215]
	ds_read2_b64 v[238:241], v1 offset0:62 offset1:63
	v_add_f64 v[114:115], v[114:115], -v[210:211]
	v_add_f64 v[116:117], v[116:117], -v[214:215]
	s_waitcnt lgkmcnt(0)
	v_mul_f64 v[210:211], v[240:241], v[212:213]
	v_mul_f64 v[214:215], v[238:239], v[212:213]
	v_fma_f64 v[210:211], v[238:239], v[246:247], -v[210:211]
	v_fma_f64 v[214:215], v[240:241], v[246:247], v[214:215]
	ds_read2_b64 v[238:241], v1 offset0:64 offset1:65
	v_add_f64 v[110:111], v[110:111], -v[210:211]
	v_add_f64 v[112:113], v[112:113], -v[214:215]
	s_waitcnt lgkmcnt(0)
	v_mul_f64 v[210:211], v[240:241], v[212:213]
	v_mul_f64 v[214:215], v[238:239], v[212:213]
	v_fma_f64 v[210:211], v[238:239], v[246:247], -v[210:211]
	v_fma_f64 v[214:215], v[240:241], v[246:247], v[214:215]
	ds_read2_b64 v[238:241], v1 offset0:66 offset1:67
	v_add_f64 v[106:107], v[106:107], -v[210:211]
	v_add_f64 v[108:109], v[108:109], -v[214:215]
	s_waitcnt lgkmcnt(0)
	v_mul_f64 v[210:211], v[240:241], v[212:213]
	v_mul_f64 v[214:215], v[238:239], v[212:213]
	v_fma_f64 v[210:211], v[238:239], v[246:247], -v[210:211]
	v_fma_f64 v[214:215], v[240:241], v[246:247], v[214:215]
	ds_read2_b64 v[238:241], v1 offset0:68 offset1:69
	v_add_f64 v[102:103], v[102:103], -v[210:211]
	v_add_f64 v[104:105], v[104:105], -v[214:215]
	s_waitcnt lgkmcnt(0)
	v_mul_f64 v[210:211], v[240:241], v[212:213]
	v_mul_f64 v[214:215], v[238:239], v[212:213]
	v_fma_f64 v[210:211], v[238:239], v[246:247], -v[210:211]
	v_fma_f64 v[214:215], v[240:241], v[246:247], v[214:215]
	ds_read2_b64 v[238:241], v1 offset0:70 offset1:71
	v_add_f64 v[98:99], v[98:99], -v[210:211]
	v_add_f64 v[100:101], v[100:101], -v[214:215]
	s_waitcnt lgkmcnt(0)
	v_mul_f64 v[210:211], v[240:241], v[212:213]
	v_mul_f64 v[214:215], v[238:239], v[212:213]
	v_fma_f64 v[210:211], v[238:239], v[246:247], -v[210:211]
	v_fma_f64 v[214:215], v[240:241], v[246:247], v[214:215]
	ds_read2_b64 v[238:241], v1 offset0:72 offset1:73
	v_add_f64 v[94:95], v[94:95], -v[210:211]
	v_add_f64 v[96:97], v[96:97], -v[214:215]
	s_waitcnt lgkmcnt(0)
	v_mul_f64 v[210:211], v[240:241], v[212:213]
	v_mul_f64 v[214:215], v[238:239], v[212:213]
	v_fma_f64 v[210:211], v[238:239], v[246:247], -v[210:211]
	v_fma_f64 v[214:215], v[240:241], v[246:247], v[214:215]
	ds_read2_b64 v[238:241], v1 offset0:74 offset1:75
	v_add_f64 v[90:91], v[90:91], -v[210:211]
	v_add_f64 v[92:93], v[92:93], -v[214:215]
	s_waitcnt lgkmcnt(0)
	v_mul_f64 v[210:211], v[240:241], v[212:213]
	v_mul_f64 v[214:215], v[238:239], v[212:213]
	v_fma_f64 v[210:211], v[238:239], v[246:247], -v[210:211]
	v_fma_f64 v[214:215], v[240:241], v[246:247], v[214:215]
	ds_read2_b64 v[238:241], v1 offset0:76 offset1:77
	v_add_f64 v[86:87], v[86:87], -v[210:211]
	v_add_f64 v[88:89], v[88:89], -v[214:215]
	s_waitcnt lgkmcnt(0)
	v_mul_f64 v[210:211], v[240:241], v[212:213]
	v_mul_f64 v[214:215], v[238:239], v[212:213]
	v_fma_f64 v[210:211], v[238:239], v[246:247], -v[210:211]
	v_fma_f64 v[214:215], v[240:241], v[246:247], v[214:215]
	ds_read2_b64 v[238:241], v1 offset0:78 offset1:79
	v_add_f64 v[82:83], v[82:83], -v[210:211]
	v_add_f64 v[84:85], v[84:85], -v[214:215]
	s_waitcnt lgkmcnt(0)
	v_mul_f64 v[210:211], v[240:241], v[212:213]
	v_mul_f64 v[214:215], v[238:239], v[212:213]
	v_fma_f64 v[210:211], v[238:239], v[246:247], -v[210:211]
	v_fma_f64 v[214:215], v[240:241], v[246:247], v[214:215]
	ds_read2_b64 v[238:241], v1 offset0:80 offset1:81
	v_add_f64 v[78:79], v[78:79], -v[210:211]
	v_add_f64 v[80:81], v[80:81], -v[214:215]
	s_waitcnt lgkmcnt(0)
	v_mul_f64 v[210:211], v[240:241], v[212:213]
	v_mul_f64 v[214:215], v[238:239], v[212:213]
	v_fma_f64 v[210:211], v[238:239], v[246:247], -v[210:211]
	v_fma_f64 v[214:215], v[240:241], v[246:247], v[214:215]
	ds_read2_b64 v[238:241], v1 offset0:82 offset1:83
	v_add_f64 v[74:75], v[74:75], -v[210:211]
	v_add_f64 v[76:77], v[76:77], -v[214:215]
	s_waitcnt lgkmcnt(0)
	v_mul_f64 v[210:211], v[240:241], v[212:213]
	v_mul_f64 v[214:215], v[238:239], v[212:213]
	v_fma_f64 v[210:211], v[238:239], v[246:247], -v[210:211]
	v_fma_f64 v[214:215], v[240:241], v[246:247], v[214:215]
	ds_read2_b64 v[238:241], v1 offset0:84 offset1:85
	v_add_f64 v[70:71], v[70:71], -v[210:211]
	v_add_f64 v[72:73], v[72:73], -v[214:215]
	s_waitcnt lgkmcnt(0)
	v_mul_f64 v[210:211], v[240:241], v[212:213]
	v_mul_f64 v[214:215], v[238:239], v[212:213]
	v_fma_f64 v[210:211], v[238:239], v[246:247], -v[210:211]
	v_fma_f64 v[214:215], v[240:241], v[246:247], v[214:215]
	ds_read2_b64 v[238:241], v1 offset0:86 offset1:87
	v_add_f64 v[66:67], v[66:67], -v[210:211]
	v_add_f64 v[68:69], v[68:69], -v[214:215]
	s_waitcnt lgkmcnt(0)
	v_mul_f64 v[210:211], v[240:241], v[212:213]
	v_mul_f64 v[214:215], v[238:239], v[212:213]
	v_fma_f64 v[210:211], v[238:239], v[246:247], -v[210:211]
	v_fma_f64 v[214:215], v[240:241], v[246:247], v[214:215]
	ds_read2_b64 v[238:241], v1 offset0:88 offset1:89
	v_add_f64 v[62:63], v[62:63], -v[210:211]
	v_add_f64 v[64:65], v[64:65], -v[214:215]
	s_waitcnt lgkmcnt(0)
	v_mul_f64 v[210:211], v[240:241], v[212:213]
	v_mul_f64 v[214:215], v[238:239], v[212:213]
	v_fma_f64 v[210:211], v[238:239], v[246:247], -v[210:211]
	v_fma_f64 v[214:215], v[240:241], v[246:247], v[214:215]
	ds_read2_b64 v[238:241], v1 offset0:90 offset1:91
	v_add_f64 v[58:59], v[58:59], -v[210:211]
	v_add_f64 v[60:61], v[60:61], -v[214:215]
	s_waitcnt lgkmcnt(0)
	v_mul_f64 v[210:211], v[240:241], v[212:213]
	v_mul_f64 v[214:215], v[238:239], v[212:213]
	v_fma_f64 v[210:211], v[238:239], v[246:247], -v[210:211]
	v_fma_f64 v[214:215], v[240:241], v[246:247], v[214:215]
	ds_read2_b64 v[238:241], v1 offset0:92 offset1:93
	v_add_f64 v[54:55], v[54:55], -v[210:211]
	v_add_f64 v[56:57], v[56:57], -v[214:215]
	s_waitcnt lgkmcnt(0)
	v_mul_f64 v[210:211], v[240:241], v[212:213]
	v_mul_f64 v[214:215], v[238:239], v[212:213]
	v_fma_f64 v[210:211], v[238:239], v[246:247], -v[210:211]
	v_fma_f64 v[214:215], v[240:241], v[246:247], v[214:215]
	ds_read2_b64 v[238:241], v1 offset0:94 offset1:95
	v_add_f64 v[50:51], v[50:51], -v[210:211]
	v_add_f64 v[52:53], v[52:53], -v[214:215]
	s_waitcnt lgkmcnt(0)
	v_mul_f64 v[210:211], v[240:241], v[212:213]
	v_mul_f64 v[214:215], v[238:239], v[212:213]
	v_fma_f64 v[210:211], v[238:239], v[246:247], -v[210:211]
	v_fma_f64 v[214:215], v[240:241], v[246:247], v[214:215]
	ds_read2_b64 v[238:241], v1 offset0:96 offset1:97
	v_add_f64 v[46:47], v[46:47], -v[210:211]
	v_add_f64 v[48:49], v[48:49], -v[214:215]
	s_waitcnt lgkmcnt(0)
	v_mul_f64 v[210:211], v[240:241], v[212:213]
	v_mul_f64 v[214:215], v[238:239], v[212:213]
	v_fma_f64 v[210:211], v[238:239], v[246:247], -v[210:211]
	v_fma_f64 v[214:215], v[240:241], v[246:247], v[214:215]
	ds_read2_b64 v[238:241], v1 offset0:98 offset1:99
	v_add_f64 v[42:43], v[42:43], -v[210:211]
	v_add_f64 v[44:45], v[44:45], -v[214:215]
	s_waitcnt lgkmcnt(0)
	v_mul_f64 v[210:211], v[240:241], v[212:213]
	v_mul_f64 v[214:215], v[238:239], v[212:213]
	v_fma_f64 v[210:211], v[238:239], v[246:247], -v[210:211]
	v_fma_f64 v[214:215], v[240:241], v[246:247], v[214:215]
	ds_read2_b64 v[238:241], v1 offset0:100 offset1:101
	v_add_f64 v[38:39], v[38:39], -v[210:211]
	v_add_f64 v[40:41], v[40:41], -v[214:215]
	s_waitcnt lgkmcnt(0)
	v_mul_f64 v[210:211], v[240:241], v[212:213]
	v_mul_f64 v[214:215], v[238:239], v[212:213]
	v_fma_f64 v[210:211], v[238:239], v[246:247], -v[210:211]
	v_fma_f64 v[214:215], v[240:241], v[246:247], v[214:215]
	ds_read2_b64 v[238:241], v1 offset0:102 offset1:103
	v_add_f64 v[34:35], v[34:35], -v[210:211]
	v_add_f64 v[36:37], v[36:37], -v[214:215]
	s_waitcnt lgkmcnt(0)
	v_mul_f64 v[210:211], v[240:241], v[212:213]
	v_mul_f64 v[214:215], v[238:239], v[212:213]
	v_fma_f64 v[210:211], v[238:239], v[246:247], -v[210:211]
	v_fma_f64 v[214:215], v[240:241], v[246:247], v[214:215]
	ds_read2_b64 v[238:241], v1 offset0:104 offset1:105
	v_add_f64 v[30:31], v[30:31], -v[210:211]
	v_add_f64 v[32:33], v[32:33], -v[214:215]
	s_waitcnt lgkmcnt(0)
	v_mul_f64 v[210:211], v[240:241], v[212:213]
	v_mul_f64 v[214:215], v[238:239], v[212:213]
	v_fma_f64 v[210:211], v[238:239], v[246:247], -v[210:211]
	v_fma_f64 v[214:215], v[240:241], v[246:247], v[214:215]
	ds_read2_b64 v[238:241], v1 offset0:106 offset1:107
	v_add_f64 v[26:27], v[26:27], -v[210:211]
	v_add_f64 v[28:29], v[28:29], -v[214:215]
	s_waitcnt lgkmcnt(0)
	v_mul_f64 v[210:211], v[240:241], v[212:213]
	v_mul_f64 v[214:215], v[238:239], v[212:213]
	v_fma_f64 v[210:211], v[238:239], v[246:247], -v[210:211]
	v_fma_f64 v[214:215], v[240:241], v[246:247], v[214:215]
	ds_read2_b64 v[238:241], v1 offset0:108 offset1:109
	v_add_f64 v[22:23], v[22:23], -v[210:211]
	v_add_f64 v[24:25], v[24:25], -v[214:215]
	s_waitcnt lgkmcnt(0)
	v_mul_f64 v[210:211], v[240:241], v[212:213]
	v_mul_f64 v[214:215], v[238:239], v[212:213]
	v_fma_f64 v[210:211], v[238:239], v[246:247], -v[210:211]
	v_fma_f64 v[214:215], v[240:241], v[246:247], v[214:215]
	ds_read2_b64 v[238:241], v1 offset0:110 offset1:111
	v_add_f64 v[18:19], v[18:19], -v[210:211]
	v_add_f64 v[20:21], v[20:21], -v[214:215]
	s_waitcnt lgkmcnt(0)
	v_mul_f64 v[210:211], v[240:241], v[212:213]
	v_mul_f64 v[214:215], v[238:239], v[212:213]
	v_fma_f64 v[210:211], v[238:239], v[246:247], -v[210:211]
	v_fma_f64 v[214:215], v[240:241], v[246:247], v[214:215]
	ds_read2_b64 v[238:241], v1 offset0:112 offset1:113
	v_add_f64 v[14:15], v[14:15], -v[210:211]
	v_add_f64 v[16:17], v[16:17], -v[214:215]
	s_waitcnt lgkmcnt(0)
	v_mul_f64 v[210:211], v[240:241], v[212:213]
	v_mul_f64 v[214:215], v[238:239], v[212:213]
	v_fma_f64 v[210:211], v[238:239], v[246:247], -v[210:211]
	v_fma_f64 v[214:215], v[240:241], v[246:247], v[214:215]
	ds_read2_b64 v[238:241], v1 offset0:114 offset1:115
	v_add_f64 v[232:233], v[232:233], -v[210:211]
	v_add_f64 v[234:235], v[234:235], -v[214:215]
	s_waitcnt lgkmcnt(0)
	v_mul_f64 v[210:211], v[240:241], v[212:213]
	v_mul_f64 v[214:215], v[238:239], v[212:213]
	v_fma_f64 v[210:211], v[238:239], v[246:247], -v[210:211]
	v_fma_f64 v[214:215], v[240:241], v[246:247], v[214:215]
	ds_read2_b64 v[238:241], v1 offset0:116 offset1:117
	v_add_f64 v[6:7], v[6:7], -v[210:211]
	v_add_f64 v[8:9], v[8:9], -v[214:215]
	s_waitcnt lgkmcnt(0)
	v_mul_f64 v[210:211], v[240:241], v[212:213]
	v_mul_f64 v[214:215], v[238:239], v[212:213]
	v_fma_f64 v[210:211], v[238:239], v[246:247], -v[210:211]
	v_fma_f64 v[214:215], v[240:241], v[246:247], v[214:215]
	v_add_f64 v[226:227], v[226:227], -v[210:211]
	v_add_f64 v[228:229], v[228:229], -v[214:215]
	v_mov_b32_e32 v210, v246
	v_mov_b32_e32 v211, v247
	buffer_store_dword v210, off, s[20:23], 0 ; 4-byte Folded Spill
	buffer_store_dword v211, off, s[20:23], 0 offset:4 ; 4-byte Folded Spill
	buffer_store_dword v212, off, s[20:23], 0 offset:8 ; 4-byte Folded Spill
	;; [unrolled: 1-line block ×3, first 2 shown]
.LBB116_146:
	s_or_b32 exec_lo, exec_lo, s0
	v_lshl_add_u32 v214, v252, 4, v1
	s_waitcnt_vscnt null, 0x0
	s_barrier
	buffer_gl0_inv
	v_mov_b32_e32 v246, 7
	ds_write2_b64 v214, v[206:207], v[208:209] offset1:1
	s_waitcnt lgkmcnt(0)
	s_barrier
	buffer_gl0_inv
	ds_read2_b64 v[238:241], v1 offset0:14 offset1:15
	s_cmp_lt_i32 s8, 9
	s_cbranch_scc1 .LBB116_149
; %bb.147:
	v_add3_u32 v247, v248, 0, 0x80
	v_mov_b32_e32 v246, 7
	s_mov_b32 s0, 8
	s_inst_prefetch 0x1
	.p2align	6
.LBB116_148:                            ; =>This Inner Loop Header: Depth=1
	s_waitcnt lgkmcnt(0)
	v_cmp_gt_f64_e32 vcc_lo, 0, v[238:239]
	v_xor_b32_e32 v214, 0x80000000, v239
	ds_read2_b64 v[242:245], v247 offset1:1
	v_xor_b32_e32 v216, 0x80000000, v241
	v_add_nc_u32_e32 v247, 16, v247
	s_waitcnt lgkmcnt(0)
	v_xor_b32_e32 v218, 0x80000000, v245
	v_cndmask_b32_e32 v215, v239, v214, vcc_lo
	v_cmp_gt_f64_e32 vcc_lo, 0, v[240:241]
	v_mov_b32_e32 v214, v238
	v_cndmask_b32_e32 v217, v241, v216, vcc_lo
	v_cmp_gt_f64_e32 vcc_lo, 0, v[242:243]
	v_mov_b32_e32 v216, v240
	v_add_f64 v[214:215], v[214:215], v[216:217]
	v_xor_b32_e32 v216, 0x80000000, v243
	v_cndmask_b32_e32 v217, v243, v216, vcc_lo
	v_cmp_gt_f64_e32 vcc_lo, 0, v[244:245]
	v_mov_b32_e32 v216, v242
	v_cndmask_b32_e32 v219, v245, v218, vcc_lo
	v_mov_b32_e32 v218, v244
	v_add_f64 v[216:217], v[216:217], v[218:219]
	v_cmp_lt_f64_e32 vcc_lo, v[214:215], v[216:217]
	v_cndmask_b32_e32 v239, v239, v243, vcc_lo
	v_cndmask_b32_e32 v238, v238, v242, vcc_lo
	;; [unrolled: 1-line block ×4, first 2 shown]
	v_cndmask_b32_e64 v246, v246, s0, vcc_lo
	s_add_i32 s0, s0, 1
	s_cmp_lg_u32 s8, s0
	s_cbranch_scc1 .LBB116_148
.LBB116_149:
	s_inst_prefetch 0x2
	s_waitcnt lgkmcnt(0)
	v_cmp_eq_f64_e32 vcc_lo, 0, v[238:239]
	v_cmp_eq_f64_e64 s0, 0, v[240:241]
	s_and_b32 s0, vcc_lo, s0
	s_and_saveexec_b32 s1, s0
	s_xor_b32 s0, exec_lo, s1
; %bb.150:
	v_cmp_ne_u32_e32 vcc_lo, 0, v251
	v_cndmask_b32_e32 v251, 8, v251, vcc_lo
; %bb.151:
	s_andn2_saveexec_b32 s0, s0
	s_cbranch_execz .LBB116_157
; %bb.152:
	v_cmp_ngt_f64_e64 s1, |v[238:239]|, |v[240:241]|
	s_and_saveexec_b32 s7, s1
	s_xor_b32 s1, exec_lo, s7
	s_cbranch_execz .LBB116_154
; %bb.153:
	v_div_scale_f64 v[214:215], null, v[240:241], v[240:241], v[238:239]
	v_div_scale_f64 v[220:221], vcc_lo, v[238:239], v[240:241], v[238:239]
	v_rcp_f64_e32 v[216:217], v[214:215]
	v_fma_f64 v[218:219], -v[214:215], v[216:217], 1.0
	v_fma_f64 v[216:217], v[216:217], v[218:219], v[216:217]
	v_fma_f64 v[218:219], -v[214:215], v[216:217], 1.0
	v_fma_f64 v[216:217], v[216:217], v[218:219], v[216:217]
	v_mul_f64 v[218:219], v[220:221], v[216:217]
	v_fma_f64 v[214:215], -v[214:215], v[218:219], v[220:221]
	v_div_fmas_f64 v[214:215], v[214:215], v[216:217], v[218:219]
	v_div_fixup_f64 v[214:215], v[214:215], v[240:241], v[238:239]
	v_fma_f64 v[216:217], v[238:239], v[214:215], v[240:241]
	v_div_scale_f64 v[218:219], null, v[216:217], v[216:217], 1.0
	v_rcp_f64_e32 v[220:221], v[218:219]
	v_fma_f64 v[222:223], -v[218:219], v[220:221], 1.0
	v_fma_f64 v[220:221], v[220:221], v[222:223], v[220:221]
	v_fma_f64 v[222:223], -v[218:219], v[220:221], 1.0
	v_fma_f64 v[220:221], v[220:221], v[222:223], v[220:221]
	v_div_scale_f64 v[222:223], vcc_lo, 1.0, v[216:217], 1.0
	v_mul_f64 v[224:225], v[222:223], v[220:221]
	v_fma_f64 v[218:219], -v[218:219], v[224:225], v[222:223]
	v_div_fmas_f64 v[218:219], v[218:219], v[220:221], v[224:225]
	v_div_fixup_f64 v[240:241], v[218:219], v[216:217], 1.0
	v_mul_f64 v[238:239], v[214:215], v[240:241]
	v_xor_b32_e32 v241, 0x80000000, v241
.LBB116_154:
	s_andn2_saveexec_b32 s1, s1
	s_cbranch_execz .LBB116_156
; %bb.155:
	v_div_scale_f64 v[214:215], null, v[238:239], v[238:239], v[240:241]
	v_div_scale_f64 v[220:221], vcc_lo, v[240:241], v[238:239], v[240:241]
	v_rcp_f64_e32 v[216:217], v[214:215]
	v_fma_f64 v[218:219], -v[214:215], v[216:217], 1.0
	v_fma_f64 v[216:217], v[216:217], v[218:219], v[216:217]
	v_fma_f64 v[218:219], -v[214:215], v[216:217], 1.0
	v_fma_f64 v[216:217], v[216:217], v[218:219], v[216:217]
	v_mul_f64 v[218:219], v[220:221], v[216:217]
	v_fma_f64 v[214:215], -v[214:215], v[218:219], v[220:221]
	v_div_fmas_f64 v[214:215], v[214:215], v[216:217], v[218:219]
	v_div_fixup_f64 v[214:215], v[214:215], v[238:239], v[240:241]
	v_fma_f64 v[216:217], v[240:241], v[214:215], v[238:239]
	v_div_scale_f64 v[218:219], null, v[216:217], v[216:217], 1.0
	v_rcp_f64_e32 v[220:221], v[218:219]
	v_fma_f64 v[222:223], -v[218:219], v[220:221], 1.0
	v_fma_f64 v[220:221], v[220:221], v[222:223], v[220:221]
	v_fma_f64 v[222:223], -v[218:219], v[220:221], 1.0
	v_fma_f64 v[220:221], v[220:221], v[222:223], v[220:221]
	v_div_scale_f64 v[222:223], vcc_lo, 1.0, v[216:217], 1.0
	v_mul_f64 v[224:225], v[222:223], v[220:221]
	v_fma_f64 v[218:219], -v[218:219], v[224:225], v[222:223]
	v_div_fmas_f64 v[218:219], v[218:219], v[220:221], v[224:225]
	v_div_fixup_f64 v[238:239], v[218:219], v[216:217], 1.0
	v_mul_f64 v[240:241], v[214:215], -v[238:239]
.LBB116_156:
	s_or_b32 exec_lo, exec_lo, s1
.LBB116_157:
	s_or_b32 exec_lo, exec_lo, s0
	s_mov_b32 s0, exec_lo
	v_cmpx_ne_u32_e64 v252, v246
	s_xor_b32 s0, exec_lo, s0
	s_cbranch_execz .LBB116_163
; %bb.158:
	s_mov_b32 s1, exec_lo
	v_cmpx_eq_u32_e32 7, v252
	s_cbranch_execz .LBB116_162
; %bb.159:
	v_cmp_ne_u32_e32 vcc_lo, 7, v246
	s_xor_b32 s7, s16, -1
	s_and_b32 s9, s7, vcc_lo
	s_and_saveexec_b32 s7, s9
	s_cbranch_execz .LBB116_161
; %bb.160:
	s_clause 0x1
	buffer_load_dword v210, off, s[20:23], 0 offset:16
	buffer_load_dword v211, off, s[20:23], 0 offset:20
	v_ashrrev_i32_e32 v247, 31, v246
	v_lshlrev_b64 v[214:215], 2, v[246:247]
	s_waitcnt vmcnt(1)
	v_add_co_u32 v214, vcc_lo, v210, v214
	s_waitcnt vmcnt(0)
	v_add_co_ci_u32_e64 v215, null, v211, v215, vcc_lo
	s_clause 0x1
	global_load_dword v0, v[214:215], off
	global_load_dword v216, v[210:211], off offset:28
	s_waitcnt vmcnt(1)
	global_store_dword v[210:211], v0, off offset:28
	s_waitcnt vmcnt(0)
	global_store_dword v[214:215], v216, off
.LBB116_161:
	s_or_b32 exec_lo, exec_lo, s7
	v_mov_b32_e32 v252, v246
	v_mov_b32_e32 v0, v246
.LBB116_162:
	s_or_b32 exec_lo, exec_lo, s1
.LBB116_163:
	s_andn2_saveexec_b32 s0, s0
	s_cbranch_execz .LBB116_165
; %bb.164:
	v_mov_b32_e32 v252, 7
	ds_write2_b64 v1, v[202:203], v[204:205] offset0:16 offset1:17
	ds_write2_b64 v1, v[198:199], v[200:201] offset0:18 offset1:19
	;; [unrolled: 1-line block ×51, first 2 shown]
.LBB116_165:
	s_or_b32 exec_lo, exec_lo, s0
	s_mov_b32 s0, exec_lo
	s_waitcnt lgkmcnt(0)
	s_waitcnt_vscnt null, 0x0
	s_barrier
	buffer_gl0_inv
	v_cmpx_lt_i32_e32 7, v252
	s_cbranch_execz .LBB116_167
; %bb.166:
	v_mul_f64 v[214:215], v[240:241], v[208:209]
	v_mul_f64 v[208:209], v[238:239], v[208:209]
	v_fma_f64 v[246:247], v[238:239], v[206:207], -v[214:215]
	v_fma_f64 v[208:209], v[240:241], v[206:207], v[208:209]
	ds_read2_b64 v[238:241], v1 offset0:16 offset1:17
	s_waitcnt lgkmcnt(0)
	v_mul_f64 v[206:207], v[240:241], v[208:209]
	v_mul_f64 v[214:215], v[238:239], v[208:209]
	v_fma_f64 v[206:207], v[238:239], v[246:247], -v[206:207]
	v_fma_f64 v[214:215], v[240:241], v[246:247], v[214:215]
	ds_read2_b64 v[238:241], v1 offset0:18 offset1:19
	v_add_f64 v[202:203], v[202:203], -v[206:207]
	v_add_f64 v[204:205], v[204:205], -v[214:215]
	s_waitcnt lgkmcnt(0)
	v_mul_f64 v[206:207], v[240:241], v[208:209]
	v_mul_f64 v[214:215], v[238:239], v[208:209]
	v_fma_f64 v[206:207], v[238:239], v[246:247], -v[206:207]
	v_fma_f64 v[214:215], v[240:241], v[246:247], v[214:215]
	ds_read2_b64 v[238:241], v1 offset0:20 offset1:21
	v_add_f64 v[198:199], v[198:199], -v[206:207]
	v_add_f64 v[200:201], v[200:201], -v[214:215]
	;; [unrolled: 8-line block ×50, first 2 shown]
	s_waitcnt lgkmcnt(0)
	v_mul_f64 v[206:207], v[240:241], v[208:209]
	v_mul_f64 v[214:215], v[238:239], v[208:209]
	v_fma_f64 v[206:207], v[238:239], v[246:247], -v[206:207]
	v_fma_f64 v[214:215], v[240:241], v[246:247], v[214:215]
	v_add_f64 v[226:227], v[226:227], -v[206:207]
	v_add_f64 v[228:229], v[228:229], -v[214:215]
	v_mov_b32_e32 v206, v246
	v_mov_b32_e32 v207, v247
.LBB116_167:
	s_or_b32 exec_lo, exec_lo, s0
	v_lshl_add_u32 v214, v252, 4, v1
	s_barrier
	buffer_gl0_inv
	v_mov_b32_e32 v246, 8
	ds_write2_b64 v214, v[202:203], v[204:205] offset1:1
	s_waitcnt lgkmcnt(0)
	s_barrier
	buffer_gl0_inv
	ds_read2_b64 v[238:241], v1 offset0:16 offset1:17
	s_cmp_lt_i32 s8, 10
	s_cbranch_scc1 .LBB116_170
; %bb.168:
	v_add3_u32 v247, v248, 0, 0x90
	v_mov_b32_e32 v246, 8
	s_mov_b32 s0, 9
	s_inst_prefetch 0x1
	.p2align	6
.LBB116_169:                            ; =>This Inner Loop Header: Depth=1
	s_waitcnt lgkmcnt(0)
	v_cmp_gt_f64_e32 vcc_lo, 0, v[238:239]
	v_xor_b32_e32 v214, 0x80000000, v239
	ds_read2_b64 v[242:245], v247 offset1:1
	v_xor_b32_e32 v216, 0x80000000, v241
	v_add_nc_u32_e32 v247, 16, v247
	s_waitcnt lgkmcnt(0)
	v_xor_b32_e32 v218, 0x80000000, v245
	v_cndmask_b32_e32 v215, v239, v214, vcc_lo
	v_cmp_gt_f64_e32 vcc_lo, 0, v[240:241]
	v_mov_b32_e32 v214, v238
	v_cndmask_b32_e32 v217, v241, v216, vcc_lo
	v_cmp_gt_f64_e32 vcc_lo, 0, v[242:243]
	v_mov_b32_e32 v216, v240
	v_add_f64 v[214:215], v[214:215], v[216:217]
	v_xor_b32_e32 v216, 0x80000000, v243
	v_cndmask_b32_e32 v217, v243, v216, vcc_lo
	v_cmp_gt_f64_e32 vcc_lo, 0, v[244:245]
	v_mov_b32_e32 v216, v242
	v_cndmask_b32_e32 v219, v245, v218, vcc_lo
	v_mov_b32_e32 v218, v244
	v_add_f64 v[216:217], v[216:217], v[218:219]
	v_cmp_lt_f64_e32 vcc_lo, v[214:215], v[216:217]
	v_cndmask_b32_e32 v239, v239, v243, vcc_lo
	v_cndmask_b32_e32 v238, v238, v242, vcc_lo
	;; [unrolled: 1-line block ×4, first 2 shown]
	v_cndmask_b32_e64 v246, v246, s0, vcc_lo
	s_add_i32 s0, s0, 1
	s_cmp_lg_u32 s8, s0
	s_cbranch_scc1 .LBB116_169
.LBB116_170:
	s_inst_prefetch 0x2
	s_waitcnt lgkmcnt(0)
	v_cmp_eq_f64_e32 vcc_lo, 0, v[238:239]
	v_cmp_eq_f64_e64 s0, 0, v[240:241]
	s_and_b32 s0, vcc_lo, s0
	s_and_saveexec_b32 s1, s0
	s_xor_b32 s0, exec_lo, s1
; %bb.171:
	v_cmp_ne_u32_e32 vcc_lo, 0, v251
	v_cndmask_b32_e32 v251, 9, v251, vcc_lo
; %bb.172:
	s_andn2_saveexec_b32 s0, s0
	s_cbranch_execz .LBB116_178
; %bb.173:
	v_cmp_ngt_f64_e64 s1, |v[238:239]|, |v[240:241]|
	s_and_saveexec_b32 s7, s1
	s_xor_b32 s1, exec_lo, s7
	s_cbranch_execz .LBB116_175
; %bb.174:
	v_div_scale_f64 v[214:215], null, v[240:241], v[240:241], v[238:239]
	v_div_scale_f64 v[220:221], vcc_lo, v[238:239], v[240:241], v[238:239]
	v_rcp_f64_e32 v[216:217], v[214:215]
	v_fma_f64 v[218:219], -v[214:215], v[216:217], 1.0
	v_fma_f64 v[216:217], v[216:217], v[218:219], v[216:217]
	v_fma_f64 v[218:219], -v[214:215], v[216:217], 1.0
	v_fma_f64 v[216:217], v[216:217], v[218:219], v[216:217]
	v_mul_f64 v[218:219], v[220:221], v[216:217]
	v_fma_f64 v[214:215], -v[214:215], v[218:219], v[220:221]
	v_div_fmas_f64 v[214:215], v[214:215], v[216:217], v[218:219]
	v_div_fixup_f64 v[214:215], v[214:215], v[240:241], v[238:239]
	v_fma_f64 v[216:217], v[238:239], v[214:215], v[240:241]
	v_div_scale_f64 v[218:219], null, v[216:217], v[216:217], 1.0
	v_rcp_f64_e32 v[220:221], v[218:219]
	v_fma_f64 v[222:223], -v[218:219], v[220:221], 1.0
	v_fma_f64 v[220:221], v[220:221], v[222:223], v[220:221]
	v_fma_f64 v[222:223], -v[218:219], v[220:221], 1.0
	v_fma_f64 v[220:221], v[220:221], v[222:223], v[220:221]
	v_div_scale_f64 v[222:223], vcc_lo, 1.0, v[216:217], 1.0
	v_mul_f64 v[224:225], v[222:223], v[220:221]
	v_fma_f64 v[218:219], -v[218:219], v[224:225], v[222:223]
	v_div_fmas_f64 v[218:219], v[218:219], v[220:221], v[224:225]
	v_div_fixup_f64 v[240:241], v[218:219], v[216:217], 1.0
	v_mul_f64 v[238:239], v[214:215], v[240:241]
	v_xor_b32_e32 v241, 0x80000000, v241
.LBB116_175:
	s_andn2_saveexec_b32 s1, s1
	s_cbranch_execz .LBB116_177
; %bb.176:
	v_div_scale_f64 v[214:215], null, v[238:239], v[238:239], v[240:241]
	v_div_scale_f64 v[220:221], vcc_lo, v[240:241], v[238:239], v[240:241]
	v_rcp_f64_e32 v[216:217], v[214:215]
	v_fma_f64 v[218:219], -v[214:215], v[216:217], 1.0
	v_fma_f64 v[216:217], v[216:217], v[218:219], v[216:217]
	v_fma_f64 v[218:219], -v[214:215], v[216:217], 1.0
	v_fma_f64 v[216:217], v[216:217], v[218:219], v[216:217]
	v_mul_f64 v[218:219], v[220:221], v[216:217]
	v_fma_f64 v[214:215], -v[214:215], v[218:219], v[220:221]
	v_div_fmas_f64 v[214:215], v[214:215], v[216:217], v[218:219]
	v_div_fixup_f64 v[214:215], v[214:215], v[238:239], v[240:241]
	v_fma_f64 v[216:217], v[240:241], v[214:215], v[238:239]
	v_div_scale_f64 v[218:219], null, v[216:217], v[216:217], 1.0
	v_rcp_f64_e32 v[220:221], v[218:219]
	v_fma_f64 v[222:223], -v[218:219], v[220:221], 1.0
	v_fma_f64 v[220:221], v[220:221], v[222:223], v[220:221]
	v_fma_f64 v[222:223], -v[218:219], v[220:221], 1.0
	v_fma_f64 v[220:221], v[220:221], v[222:223], v[220:221]
	v_div_scale_f64 v[222:223], vcc_lo, 1.0, v[216:217], 1.0
	v_mul_f64 v[224:225], v[222:223], v[220:221]
	v_fma_f64 v[218:219], -v[218:219], v[224:225], v[222:223]
	v_div_fmas_f64 v[218:219], v[218:219], v[220:221], v[224:225]
	v_div_fixup_f64 v[238:239], v[218:219], v[216:217], 1.0
	v_mul_f64 v[240:241], v[214:215], -v[238:239]
.LBB116_177:
	s_or_b32 exec_lo, exec_lo, s1
.LBB116_178:
	s_or_b32 exec_lo, exec_lo, s0
	s_mov_b32 s0, exec_lo
	v_cmpx_ne_u32_e64 v252, v246
	s_xor_b32 s0, exec_lo, s0
	s_cbranch_execz .LBB116_184
; %bb.179:
	s_mov_b32 s1, exec_lo
	v_cmpx_eq_u32_e32 8, v252
	s_cbranch_execz .LBB116_183
; %bb.180:
	v_cmp_ne_u32_e32 vcc_lo, 8, v246
	s_xor_b32 s7, s16, -1
	s_and_b32 s9, s7, vcc_lo
	s_and_saveexec_b32 s7, s9
	s_cbranch_execz .LBB116_182
; %bb.181:
	s_clause 0x1
	buffer_load_dword v210, off, s[20:23], 0 offset:16
	buffer_load_dword v211, off, s[20:23], 0 offset:20
	v_ashrrev_i32_e32 v247, 31, v246
	v_lshlrev_b64 v[214:215], 2, v[246:247]
	s_waitcnt vmcnt(1)
	v_add_co_u32 v214, vcc_lo, v210, v214
	s_waitcnt vmcnt(0)
	v_add_co_ci_u32_e64 v215, null, v211, v215, vcc_lo
	s_clause 0x1
	global_load_dword v0, v[214:215], off
	global_load_dword v216, v[210:211], off offset:32
	s_waitcnt vmcnt(1)
	global_store_dword v[210:211], v0, off offset:32
	s_waitcnt vmcnt(0)
	global_store_dword v[214:215], v216, off
.LBB116_182:
	s_or_b32 exec_lo, exec_lo, s7
	v_mov_b32_e32 v252, v246
	v_mov_b32_e32 v0, v246
.LBB116_183:
	s_or_b32 exec_lo, exec_lo, s1
.LBB116_184:
	s_andn2_saveexec_b32 s0, s0
	s_cbranch_execz .LBB116_186
; %bb.185:
	v_mov_b32_e32 v252, 8
	ds_write2_b64 v1, v[198:199], v[200:201] offset0:18 offset1:19
	ds_write2_b64 v1, v[194:195], v[196:197] offset0:20 offset1:21
	;; [unrolled: 1-line block ×50, first 2 shown]
.LBB116_186:
	s_or_b32 exec_lo, exec_lo, s0
	s_mov_b32 s0, exec_lo
	s_waitcnt lgkmcnt(0)
	s_waitcnt_vscnt null, 0x0
	s_barrier
	buffer_gl0_inv
	v_cmpx_lt_i32_e32 8, v252
	s_cbranch_execz .LBB116_188
; %bb.187:
	v_mul_f64 v[214:215], v[240:241], v[204:205]
	v_mul_f64 v[204:205], v[238:239], v[204:205]
	v_fma_f64 v[246:247], v[238:239], v[202:203], -v[214:215]
	v_fma_f64 v[204:205], v[240:241], v[202:203], v[204:205]
	ds_read2_b64 v[238:241], v1 offset0:18 offset1:19
	s_waitcnt lgkmcnt(0)
	v_mul_f64 v[202:203], v[240:241], v[204:205]
	v_mul_f64 v[214:215], v[238:239], v[204:205]
	v_fma_f64 v[202:203], v[238:239], v[246:247], -v[202:203]
	v_fma_f64 v[214:215], v[240:241], v[246:247], v[214:215]
	ds_read2_b64 v[238:241], v1 offset0:20 offset1:21
	v_add_f64 v[198:199], v[198:199], -v[202:203]
	v_add_f64 v[200:201], v[200:201], -v[214:215]
	s_waitcnt lgkmcnt(0)
	v_mul_f64 v[202:203], v[240:241], v[204:205]
	v_mul_f64 v[214:215], v[238:239], v[204:205]
	v_fma_f64 v[202:203], v[238:239], v[246:247], -v[202:203]
	v_fma_f64 v[214:215], v[240:241], v[246:247], v[214:215]
	ds_read2_b64 v[238:241], v1 offset0:22 offset1:23
	v_add_f64 v[194:195], v[194:195], -v[202:203]
	v_add_f64 v[196:197], v[196:197], -v[214:215]
	;; [unrolled: 8-line block ×49, first 2 shown]
	s_waitcnt lgkmcnt(0)
	v_mul_f64 v[202:203], v[240:241], v[204:205]
	v_mul_f64 v[214:215], v[238:239], v[204:205]
	v_fma_f64 v[202:203], v[238:239], v[246:247], -v[202:203]
	v_fma_f64 v[214:215], v[240:241], v[246:247], v[214:215]
	v_add_f64 v[226:227], v[226:227], -v[202:203]
	v_add_f64 v[228:229], v[228:229], -v[214:215]
	v_mov_b32_e32 v202, v246
	v_mov_b32_e32 v203, v247
.LBB116_188:
	s_or_b32 exec_lo, exec_lo, s0
	v_lshl_add_u32 v214, v252, 4, v1
	s_barrier
	buffer_gl0_inv
	v_mov_b32_e32 v246, 9
	ds_write2_b64 v214, v[198:199], v[200:201] offset1:1
	s_waitcnt lgkmcnt(0)
	s_barrier
	buffer_gl0_inv
	ds_read2_b64 v[238:241], v1 offset0:18 offset1:19
	s_cmp_lt_i32 s8, 11
	s_cbranch_scc1 .LBB116_191
; %bb.189:
	v_add3_u32 v247, v248, 0, 0xa0
	v_mov_b32_e32 v246, 9
	s_mov_b32 s0, 10
	s_inst_prefetch 0x1
	.p2align	6
.LBB116_190:                            ; =>This Inner Loop Header: Depth=1
	s_waitcnt lgkmcnt(0)
	v_cmp_gt_f64_e32 vcc_lo, 0, v[238:239]
	v_xor_b32_e32 v214, 0x80000000, v239
	ds_read2_b64 v[242:245], v247 offset1:1
	v_xor_b32_e32 v216, 0x80000000, v241
	v_add_nc_u32_e32 v247, 16, v247
	s_waitcnt lgkmcnt(0)
	v_xor_b32_e32 v218, 0x80000000, v245
	v_cndmask_b32_e32 v215, v239, v214, vcc_lo
	v_cmp_gt_f64_e32 vcc_lo, 0, v[240:241]
	v_mov_b32_e32 v214, v238
	v_cndmask_b32_e32 v217, v241, v216, vcc_lo
	v_cmp_gt_f64_e32 vcc_lo, 0, v[242:243]
	v_mov_b32_e32 v216, v240
	v_add_f64 v[214:215], v[214:215], v[216:217]
	v_xor_b32_e32 v216, 0x80000000, v243
	v_cndmask_b32_e32 v217, v243, v216, vcc_lo
	v_cmp_gt_f64_e32 vcc_lo, 0, v[244:245]
	v_mov_b32_e32 v216, v242
	v_cndmask_b32_e32 v219, v245, v218, vcc_lo
	v_mov_b32_e32 v218, v244
	v_add_f64 v[216:217], v[216:217], v[218:219]
	v_cmp_lt_f64_e32 vcc_lo, v[214:215], v[216:217]
	v_cndmask_b32_e32 v239, v239, v243, vcc_lo
	v_cndmask_b32_e32 v238, v238, v242, vcc_lo
	;; [unrolled: 1-line block ×4, first 2 shown]
	v_cndmask_b32_e64 v246, v246, s0, vcc_lo
	s_add_i32 s0, s0, 1
	s_cmp_lg_u32 s8, s0
	s_cbranch_scc1 .LBB116_190
.LBB116_191:
	s_inst_prefetch 0x2
	s_waitcnt lgkmcnt(0)
	v_cmp_eq_f64_e32 vcc_lo, 0, v[238:239]
	v_cmp_eq_f64_e64 s0, 0, v[240:241]
	s_and_b32 s0, vcc_lo, s0
	s_and_saveexec_b32 s1, s0
	s_xor_b32 s0, exec_lo, s1
; %bb.192:
	v_cmp_ne_u32_e32 vcc_lo, 0, v251
	v_cndmask_b32_e32 v251, 10, v251, vcc_lo
; %bb.193:
	s_andn2_saveexec_b32 s0, s0
	s_cbranch_execz .LBB116_199
; %bb.194:
	v_cmp_ngt_f64_e64 s1, |v[238:239]|, |v[240:241]|
	s_and_saveexec_b32 s7, s1
	s_xor_b32 s1, exec_lo, s7
	s_cbranch_execz .LBB116_196
; %bb.195:
	v_div_scale_f64 v[214:215], null, v[240:241], v[240:241], v[238:239]
	v_div_scale_f64 v[220:221], vcc_lo, v[238:239], v[240:241], v[238:239]
	v_rcp_f64_e32 v[216:217], v[214:215]
	v_fma_f64 v[218:219], -v[214:215], v[216:217], 1.0
	v_fma_f64 v[216:217], v[216:217], v[218:219], v[216:217]
	v_fma_f64 v[218:219], -v[214:215], v[216:217], 1.0
	v_fma_f64 v[216:217], v[216:217], v[218:219], v[216:217]
	v_mul_f64 v[218:219], v[220:221], v[216:217]
	v_fma_f64 v[214:215], -v[214:215], v[218:219], v[220:221]
	v_div_fmas_f64 v[214:215], v[214:215], v[216:217], v[218:219]
	v_div_fixup_f64 v[214:215], v[214:215], v[240:241], v[238:239]
	v_fma_f64 v[216:217], v[238:239], v[214:215], v[240:241]
	v_div_scale_f64 v[218:219], null, v[216:217], v[216:217], 1.0
	v_rcp_f64_e32 v[220:221], v[218:219]
	v_fma_f64 v[222:223], -v[218:219], v[220:221], 1.0
	v_fma_f64 v[220:221], v[220:221], v[222:223], v[220:221]
	v_fma_f64 v[222:223], -v[218:219], v[220:221], 1.0
	v_fma_f64 v[220:221], v[220:221], v[222:223], v[220:221]
	v_div_scale_f64 v[222:223], vcc_lo, 1.0, v[216:217], 1.0
	v_mul_f64 v[224:225], v[222:223], v[220:221]
	v_fma_f64 v[218:219], -v[218:219], v[224:225], v[222:223]
	v_div_fmas_f64 v[218:219], v[218:219], v[220:221], v[224:225]
	v_div_fixup_f64 v[240:241], v[218:219], v[216:217], 1.0
	v_mul_f64 v[238:239], v[214:215], v[240:241]
	v_xor_b32_e32 v241, 0x80000000, v241
.LBB116_196:
	s_andn2_saveexec_b32 s1, s1
	s_cbranch_execz .LBB116_198
; %bb.197:
	v_div_scale_f64 v[214:215], null, v[238:239], v[238:239], v[240:241]
	v_div_scale_f64 v[220:221], vcc_lo, v[240:241], v[238:239], v[240:241]
	v_rcp_f64_e32 v[216:217], v[214:215]
	v_fma_f64 v[218:219], -v[214:215], v[216:217], 1.0
	v_fma_f64 v[216:217], v[216:217], v[218:219], v[216:217]
	v_fma_f64 v[218:219], -v[214:215], v[216:217], 1.0
	v_fma_f64 v[216:217], v[216:217], v[218:219], v[216:217]
	v_mul_f64 v[218:219], v[220:221], v[216:217]
	v_fma_f64 v[214:215], -v[214:215], v[218:219], v[220:221]
	v_div_fmas_f64 v[214:215], v[214:215], v[216:217], v[218:219]
	v_div_fixup_f64 v[214:215], v[214:215], v[238:239], v[240:241]
	v_fma_f64 v[216:217], v[240:241], v[214:215], v[238:239]
	v_div_scale_f64 v[218:219], null, v[216:217], v[216:217], 1.0
	v_rcp_f64_e32 v[220:221], v[218:219]
	v_fma_f64 v[222:223], -v[218:219], v[220:221], 1.0
	v_fma_f64 v[220:221], v[220:221], v[222:223], v[220:221]
	v_fma_f64 v[222:223], -v[218:219], v[220:221], 1.0
	v_fma_f64 v[220:221], v[220:221], v[222:223], v[220:221]
	v_div_scale_f64 v[222:223], vcc_lo, 1.0, v[216:217], 1.0
	v_mul_f64 v[224:225], v[222:223], v[220:221]
	v_fma_f64 v[218:219], -v[218:219], v[224:225], v[222:223]
	v_div_fmas_f64 v[218:219], v[218:219], v[220:221], v[224:225]
	v_div_fixup_f64 v[238:239], v[218:219], v[216:217], 1.0
	v_mul_f64 v[240:241], v[214:215], -v[238:239]
.LBB116_198:
	s_or_b32 exec_lo, exec_lo, s1
.LBB116_199:
	s_or_b32 exec_lo, exec_lo, s0
	s_mov_b32 s0, exec_lo
	v_cmpx_ne_u32_e64 v252, v246
	s_xor_b32 s0, exec_lo, s0
	s_cbranch_execz .LBB116_205
; %bb.200:
	s_mov_b32 s1, exec_lo
	v_cmpx_eq_u32_e32 9, v252
	s_cbranch_execz .LBB116_204
; %bb.201:
	v_cmp_ne_u32_e32 vcc_lo, 9, v246
	s_xor_b32 s7, s16, -1
	s_and_b32 s9, s7, vcc_lo
	s_and_saveexec_b32 s7, s9
	s_cbranch_execz .LBB116_203
; %bb.202:
	s_clause 0x1
	buffer_load_dword v210, off, s[20:23], 0 offset:16
	buffer_load_dword v211, off, s[20:23], 0 offset:20
	v_ashrrev_i32_e32 v247, 31, v246
	v_lshlrev_b64 v[214:215], 2, v[246:247]
	s_waitcnt vmcnt(1)
	v_add_co_u32 v214, vcc_lo, v210, v214
	s_waitcnt vmcnt(0)
	v_add_co_ci_u32_e64 v215, null, v211, v215, vcc_lo
	s_clause 0x1
	global_load_dword v0, v[214:215], off
	global_load_dword v216, v[210:211], off offset:36
	s_waitcnt vmcnt(1)
	global_store_dword v[210:211], v0, off offset:36
	s_waitcnt vmcnt(0)
	global_store_dword v[214:215], v216, off
.LBB116_203:
	s_or_b32 exec_lo, exec_lo, s7
	v_mov_b32_e32 v252, v246
	v_mov_b32_e32 v0, v246
.LBB116_204:
	s_or_b32 exec_lo, exec_lo, s1
.LBB116_205:
	s_andn2_saveexec_b32 s0, s0
	s_cbranch_execz .LBB116_207
; %bb.206:
	v_mov_b32_e32 v252, 9
	ds_write2_b64 v1, v[194:195], v[196:197] offset0:20 offset1:21
	ds_write2_b64 v1, v[190:191], v[192:193] offset0:22 offset1:23
	;; [unrolled: 1-line block ×49, first 2 shown]
.LBB116_207:
	s_or_b32 exec_lo, exec_lo, s0
	s_mov_b32 s0, exec_lo
	s_waitcnt lgkmcnt(0)
	s_waitcnt_vscnt null, 0x0
	s_barrier
	buffer_gl0_inv
	v_cmpx_lt_i32_e32 9, v252
	s_cbranch_execz .LBB116_209
; %bb.208:
	v_mul_f64 v[214:215], v[240:241], v[200:201]
	v_mul_f64 v[200:201], v[238:239], v[200:201]
	v_fma_f64 v[246:247], v[238:239], v[198:199], -v[214:215]
	v_fma_f64 v[200:201], v[240:241], v[198:199], v[200:201]
	ds_read2_b64 v[238:241], v1 offset0:20 offset1:21
	s_waitcnt lgkmcnt(0)
	v_mul_f64 v[198:199], v[240:241], v[200:201]
	v_mul_f64 v[214:215], v[238:239], v[200:201]
	v_fma_f64 v[198:199], v[238:239], v[246:247], -v[198:199]
	v_fma_f64 v[214:215], v[240:241], v[246:247], v[214:215]
	ds_read2_b64 v[238:241], v1 offset0:22 offset1:23
	v_add_f64 v[194:195], v[194:195], -v[198:199]
	v_add_f64 v[196:197], v[196:197], -v[214:215]
	s_waitcnt lgkmcnt(0)
	v_mul_f64 v[198:199], v[240:241], v[200:201]
	v_mul_f64 v[214:215], v[238:239], v[200:201]
	v_fma_f64 v[198:199], v[238:239], v[246:247], -v[198:199]
	v_fma_f64 v[214:215], v[240:241], v[246:247], v[214:215]
	ds_read2_b64 v[238:241], v1 offset0:24 offset1:25
	v_add_f64 v[190:191], v[190:191], -v[198:199]
	v_add_f64 v[192:193], v[192:193], -v[214:215]
	;; [unrolled: 8-line block ×48, first 2 shown]
	s_waitcnt lgkmcnt(0)
	v_mul_f64 v[198:199], v[240:241], v[200:201]
	v_mul_f64 v[214:215], v[238:239], v[200:201]
	v_fma_f64 v[198:199], v[238:239], v[246:247], -v[198:199]
	v_fma_f64 v[214:215], v[240:241], v[246:247], v[214:215]
	v_add_f64 v[226:227], v[226:227], -v[198:199]
	v_add_f64 v[228:229], v[228:229], -v[214:215]
	v_mov_b32_e32 v198, v246
	v_mov_b32_e32 v199, v247
.LBB116_209:
	s_or_b32 exec_lo, exec_lo, s0
	v_lshl_add_u32 v214, v252, 4, v1
	s_barrier
	buffer_gl0_inv
	v_mov_b32_e32 v246, 10
	ds_write2_b64 v214, v[194:195], v[196:197] offset1:1
	s_waitcnt lgkmcnt(0)
	s_barrier
	buffer_gl0_inv
	ds_read2_b64 v[238:241], v1 offset0:20 offset1:21
	s_cmp_lt_i32 s8, 12
	s_cbranch_scc1 .LBB116_212
; %bb.210:
	v_add3_u32 v247, v248, 0, 0xb0
	v_mov_b32_e32 v246, 10
	s_mov_b32 s0, 11
	s_inst_prefetch 0x1
	.p2align	6
.LBB116_211:                            ; =>This Inner Loop Header: Depth=1
	s_waitcnt lgkmcnt(0)
	v_cmp_gt_f64_e32 vcc_lo, 0, v[238:239]
	v_xor_b32_e32 v214, 0x80000000, v239
	ds_read2_b64 v[242:245], v247 offset1:1
	v_xor_b32_e32 v216, 0x80000000, v241
	v_add_nc_u32_e32 v247, 16, v247
	s_waitcnt lgkmcnt(0)
	v_xor_b32_e32 v218, 0x80000000, v245
	v_cndmask_b32_e32 v215, v239, v214, vcc_lo
	v_cmp_gt_f64_e32 vcc_lo, 0, v[240:241]
	v_mov_b32_e32 v214, v238
	v_cndmask_b32_e32 v217, v241, v216, vcc_lo
	v_cmp_gt_f64_e32 vcc_lo, 0, v[242:243]
	v_mov_b32_e32 v216, v240
	v_add_f64 v[214:215], v[214:215], v[216:217]
	v_xor_b32_e32 v216, 0x80000000, v243
	v_cndmask_b32_e32 v217, v243, v216, vcc_lo
	v_cmp_gt_f64_e32 vcc_lo, 0, v[244:245]
	v_mov_b32_e32 v216, v242
	v_cndmask_b32_e32 v219, v245, v218, vcc_lo
	v_mov_b32_e32 v218, v244
	v_add_f64 v[216:217], v[216:217], v[218:219]
	v_cmp_lt_f64_e32 vcc_lo, v[214:215], v[216:217]
	v_cndmask_b32_e32 v239, v239, v243, vcc_lo
	v_cndmask_b32_e32 v238, v238, v242, vcc_lo
	;; [unrolled: 1-line block ×4, first 2 shown]
	v_cndmask_b32_e64 v246, v246, s0, vcc_lo
	s_add_i32 s0, s0, 1
	s_cmp_lg_u32 s8, s0
	s_cbranch_scc1 .LBB116_211
.LBB116_212:
	s_inst_prefetch 0x2
	s_waitcnt lgkmcnt(0)
	v_cmp_eq_f64_e32 vcc_lo, 0, v[238:239]
	v_cmp_eq_f64_e64 s0, 0, v[240:241]
	s_and_b32 s0, vcc_lo, s0
	s_and_saveexec_b32 s1, s0
	s_xor_b32 s0, exec_lo, s1
; %bb.213:
	v_cmp_ne_u32_e32 vcc_lo, 0, v251
	v_cndmask_b32_e32 v251, 11, v251, vcc_lo
; %bb.214:
	s_andn2_saveexec_b32 s0, s0
	s_cbranch_execz .LBB116_220
; %bb.215:
	v_cmp_ngt_f64_e64 s1, |v[238:239]|, |v[240:241]|
	s_and_saveexec_b32 s7, s1
	s_xor_b32 s1, exec_lo, s7
	s_cbranch_execz .LBB116_217
; %bb.216:
	v_div_scale_f64 v[214:215], null, v[240:241], v[240:241], v[238:239]
	v_div_scale_f64 v[220:221], vcc_lo, v[238:239], v[240:241], v[238:239]
	v_rcp_f64_e32 v[216:217], v[214:215]
	v_fma_f64 v[218:219], -v[214:215], v[216:217], 1.0
	v_fma_f64 v[216:217], v[216:217], v[218:219], v[216:217]
	v_fma_f64 v[218:219], -v[214:215], v[216:217], 1.0
	v_fma_f64 v[216:217], v[216:217], v[218:219], v[216:217]
	v_mul_f64 v[218:219], v[220:221], v[216:217]
	v_fma_f64 v[214:215], -v[214:215], v[218:219], v[220:221]
	v_div_fmas_f64 v[214:215], v[214:215], v[216:217], v[218:219]
	v_div_fixup_f64 v[214:215], v[214:215], v[240:241], v[238:239]
	v_fma_f64 v[216:217], v[238:239], v[214:215], v[240:241]
	v_div_scale_f64 v[218:219], null, v[216:217], v[216:217], 1.0
	v_rcp_f64_e32 v[220:221], v[218:219]
	v_fma_f64 v[222:223], -v[218:219], v[220:221], 1.0
	v_fma_f64 v[220:221], v[220:221], v[222:223], v[220:221]
	v_fma_f64 v[222:223], -v[218:219], v[220:221], 1.0
	v_fma_f64 v[220:221], v[220:221], v[222:223], v[220:221]
	v_div_scale_f64 v[222:223], vcc_lo, 1.0, v[216:217], 1.0
	v_mul_f64 v[224:225], v[222:223], v[220:221]
	v_fma_f64 v[218:219], -v[218:219], v[224:225], v[222:223]
	v_div_fmas_f64 v[218:219], v[218:219], v[220:221], v[224:225]
	v_div_fixup_f64 v[240:241], v[218:219], v[216:217], 1.0
	v_mul_f64 v[238:239], v[214:215], v[240:241]
	v_xor_b32_e32 v241, 0x80000000, v241
.LBB116_217:
	s_andn2_saveexec_b32 s1, s1
	s_cbranch_execz .LBB116_219
; %bb.218:
	v_div_scale_f64 v[214:215], null, v[238:239], v[238:239], v[240:241]
	v_div_scale_f64 v[220:221], vcc_lo, v[240:241], v[238:239], v[240:241]
	v_rcp_f64_e32 v[216:217], v[214:215]
	v_fma_f64 v[218:219], -v[214:215], v[216:217], 1.0
	v_fma_f64 v[216:217], v[216:217], v[218:219], v[216:217]
	v_fma_f64 v[218:219], -v[214:215], v[216:217], 1.0
	v_fma_f64 v[216:217], v[216:217], v[218:219], v[216:217]
	v_mul_f64 v[218:219], v[220:221], v[216:217]
	v_fma_f64 v[214:215], -v[214:215], v[218:219], v[220:221]
	v_div_fmas_f64 v[214:215], v[214:215], v[216:217], v[218:219]
	v_div_fixup_f64 v[214:215], v[214:215], v[238:239], v[240:241]
	v_fma_f64 v[216:217], v[240:241], v[214:215], v[238:239]
	v_div_scale_f64 v[218:219], null, v[216:217], v[216:217], 1.0
	v_rcp_f64_e32 v[220:221], v[218:219]
	v_fma_f64 v[222:223], -v[218:219], v[220:221], 1.0
	v_fma_f64 v[220:221], v[220:221], v[222:223], v[220:221]
	v_fma_f64 v[222:223], -v[218:219], v[220:221], 1.0
	v_fma_f64 v[220:221], v[220:221], v[222:223], v[220:221]
	v_div_scale_f64 v[222:223], vcc_lo, 1.0, v[216:217], 1.0
	v_mul_f64 v[224:225], v[222:223], v[220:221]
	v_fma_f64 v[218:219], -v[218:219], v[224:225], v[222:223]
	v_div_fmas_f64 v[218:219], v[218:219], v[220:221], v[224:225]
	v_div_fixup_f64 v[238:239], v[218:219], v[216:217], 1.0
	v_mul_f64 v[240:241], v[214:215], -v[238:239]
.LBB116_219:
	s_or_b32 exec_lo, exec_lo, s1
.LBB116_220:
	s_or_b32 exec_lo, exec_lo, s0
	s_mov_b32 s0, exec_lo
	v_cmpx_ne_u32_e64 v252, v246
	s_xor_b32 s0, exec_lo, s0
	s_cbranch_execz .LBB116_226
; %bb.221:
	s_mov_b32 s1, exec_lo
	v_cmpx_eq_u32_e32 10, v252
	s_cbranch_execz .LBB116_225
; %bb.222:
	v_cmp_ne_u32_e32 vcc_lo, 10, v246
	s_xor_b32 s7, s16, -1
	s_and_b32 s9, s7, vcc_lo
	s_and_saveexec_b32 s7, s9
	s_cbranch_execz .LBB116_224
; %bb.223:
	s_clause 0x1
	buffer_load_dword v210, off, s[20:23], 0 offset:16
	buffer_load_dword v211, off, s[20:23], 0 offset:20
	v_ashrrev_i32_e32 v247, 31, v246
	v_lshlrev_b64 v[214:215], 2, v[246:247]
	s_waitcnt vmcnt(1)
	v_add_co_u32 v214, vcc_lo, v210, v214
	s_waitcnt vmcnt(0)
	v_add_co_ci_u32_e64 v215, null, v211, v215, vcc_lo
	s_clause 0x1
	global_load_dword v0, v[214:215], off
	global_load_dword v216, v[210:211], off offset:40
	s_waitcnt vmcnt(1)
	global_store_dword v[210:211], v0, off offset:40
	s_waitcnt vmcnt(0)
	global_store_dword v[214:215], v216, off
.LBB116_224:
	s_or_b32 exec_lo, exec_lo, s7
	v_mov_b32_e32 v252, v246
	v_mov_b32_e32 v0, v246
.LBB116_225:
	s_or_b32 exec_lo, exec_lo, s1
.LBB116_226:
	s_andn2_saveexec_b32 s0, s0
	s_cbranch_execz .LBB116_228
; %bb.227:
	v_mov_b32_e32 v252, 10
	ds_write2_b64 v1, v[190:191], v[192:193] offset0:22 offset1:23
	ds_write2_b64 v1, v[186:187], v[188:189] offset0:24 offset1:25
	;; [unrolled: 1-line block ×48, first 2 shown]
.LBB116_228:
	s_or_b32 exec_lo, exec_lo, s0
	s_mov_b32 s0, exec_lo
	s_waitcnt lgkmcnt(0)
	s_waitcnt_vscnt null, 0x0
	s_barrier
	buffer_gl0_inv
	v_cmpx_lt_i32_e32 10, v252
	s_cbranch_execz .LBB116_230
; %bb.229:
	v_mul_f64 v[214:215], v[240:241], v[196:197]
	v_mul_f64 v[196:197], v[238:239], v[196:197]
	v_fma_f64 v[246:247], v[238:239], v[194:195], -v[214:215]
	v_fma_f64 v[196:197], v[240:241], v[194:195], v[196:197]
	ds_read2_b64 v[238:241], v1 offset0:22 offset1:23
	s_waitcnt lgkmcnt(0)
	v_mul_f64 v[194:195], v[240:241], v[196:197]
	v_mul_f64 v[214:215], v[238:239], v[196:197]
	v_fma_f64 v[194:195], v[238:239], v[246:247], -v[194:195]
	v_fma_f64 v[214:215], v[240:241], v[246:247], v[214:215]
	ds_read2_b64 v[238:241], v1 offset0:24 offset1:25
	v_add_f64 v[190:191], v[190:191], -v[194:195]
	v_add_f64 v[192:193], v[192:193], -v[214:215]
	s_waitcnt lgkmcnt(0)
	v_mul_f64 v[194:195], v[240:241], v[196:197]
	v_mul_f64 v[214:215], v[238:239], v[196:197]
	v_fma_f64 v[194:195], v[238:239], v[246:247], -v[194:195]
	v_fma_f64 v[214:215], v[240:241], v[246:247], v[214:215]
	ds_read2_b64 v[238:241], v1 offset0:26 offset1:27
	v_add_f64 v[186:187], v[186:187], -v[194:195]
	v_add_f64 v[188:189], v[188:189], -v[214:215]
	;; [unrolled: 8-line block ×47, first 2 shown]
	s_waitcnt lgkmcnt(0)
	v_mul_f64 v[194:195], v[240:241], v[196:197]
	v_mul_f64 v[214:215], v[238:239], v[196:197]
	v_fma_f64 v[194:195], v[238:239], v[246:247], -v[194:195]
	v_fma_f64 v[214:215], v[240:241], v[246:247], v[214:215]
	v_add_f64 v[226:227], v[226:227], -v[194:195]
	v_add_f64 v[228:229], v[228:229], -v[214:215]
	v_mov_b32_e32 v194, v246
	v_mov_b32_e32 v195, v247
.LBB116_230:
	s_or_b32 exec_lo, exec_lo, s0
	v_lshl_add_u32 v214, v252, 4, v1
	s_barrier
	buffer_gl0_inv
	v_mov_b32_e32 v246, 11
	ds_write2_b64 v214, v[190:191], v[192:193] offset1:1
	s_waitcnt lgkmcnt(0)
	s_barrier
	buffer_gl0_inv
	ds_read2_b64 v[238:241], v1 offset0:22 offset1:23
	s_cmp_lt_i32 s8, 13
	s_cbranch_scc1 .LBB116_233
; %bb.231:
	v_add3_u32 v247, v248, 0, 0xc0
	v_mov_b32_e32 v246, 11
	s_mov_b32 s0, 12
	s_inst_prefetch 0x1
	.p2align	6
.LBB116_232:                            ; =>This Inner Loop Header: Depth=1
	s_waitcnt lgkmcnt(0)
	v_cmp_gt_f64_e32 vcc_lo, 0, v[238:239]
	v_xor_b32_e32 v214, 0x80000000, v239
	ds_read2_b64 v[242:245], v247 offset1:1
	v_xor_b32_e32 v216, 0x80000000, v241
	v_add_nc_u32_e32 v247, 16, v247
	s_waitcnt lgkmcnt(0)
	v_xor_b32_e32 v218, 0x80000000, v245
	v_cndmask_b32_e32 v215, v239, v214, vcc_lo
	v_cmp_gt_f64_e32 vcc_lo, 0, v[240:241]
	v_mov_b32_e32 v214, v238
	v_cndmask_b32_e32 v217, v241, v216, vcc_lo
	v_cmp_gt_f64_e32 vcc_lo, 0, v[242:243]
	v_mov_b32_e32 v216, v240
	v_add_f64 v[214:215], v[214:215], v[216:217]
	v_xor_b32_e32 v216, 0x80000000, v243
	v_cndmask_b32_e32 v217, v243, v216, vcc_lo
	v_cmp_gt_f64_e32 vcc_lo, 0, v[244:245]
	v_mov_b32_e32 v216, v242
	v_cndmask_b32_e32 v219, v245, v218, vcc_lo
	v_mov_b32_e32 v218, v244
	v_add_f64 v[216:217], v[216:217], v[218:219]
	v_cmp_lt_f64_e32 vcc_lo, v[214:215], v[216:217]
	v_cndmask_b32_e32 v239, v239, v243, vcc_lo
	v_cndmask_b32_e32 v238, v238, v242, vcc_lo
	v_cndmask_b32_e32 v241, v241, v245, vcc_lo
	v_cndmask_b32_e32 v240, v240, v244, vcc_lo
	v_cndmask_b32_e64 v246, v246, s0, vcc_lo
	s_add_i32 s0, s0, 1
	s_cmp_lg_u32 s8, s0
	s_cbranch_scc1 .LBB116_232
.LBB116_233:
	s_inst_prefetch 0x2
	s_waitcnt lgkmcnt(0)
	v_cmp_eq_f64_e32 vcc_lo, 0, v[238:239]
	v_cmp_eq_f64_e64 s0, 0, v[240:241]
	s_and_b32 s0, vcc_lo, s0
	s_and_saveexec_b32 s1, s0
	s_xor_b32 s0, exec_lo, s1
; %bb.234:
	v_cmp_ne_u32_e32 vcc_lo, 0, v251
	v_cndmask_b32_e32 v251, 12, v251, vcc_lo
; %bb.235:
	s_andn2_saveexec_b32 s0, s0
	s_cbranch_execz .LBB116_241
; %bb.236:
	v_cmp_ngt_f64_e64 s1, |v[238:239]|, |v[240:241]|
	s_and_saveexec_b32 s7, s1
	s_xor_b32 s1, exec_lo, s7
	s_cbranch_execz .LBB116_238
; %bb.237:
	v_div_scale_f64 v[214:215], null, v[240:241], v[240:241], v[238:239]
	v_div_scale_f64 v[220:221], vcc_lo, v[238:239], v[240:241], v[238:239]
	v_rcp_f64_e32 v[216:217], v[214:215]
	v_fma_f64 v[218:219], -v[214:215], v[216:217], 1.0
	v_fma_f64 v[216:217], v[216:217], v[218:219], v[216:217]
	v_fma_f64 v[218:219], -v[214:215], v[216:217], 1.0
	v_fma_f64 v[216:217], v[216:217], v[218:219], v[216:217]
	v_mul_f64 v[218:219], v[220:221], v[216:217]
	v_fma_f64 v[214:215], -v[214:215], v[218:219], v[220:221]
	v_div_fmas_f64 v[214:215], v[214:215], v[216:217], v[218:219]
	v_div_fixup_f64 v[214:215], v[214:215], v[240:241], v[238:239]
	v_fma_f64 v[216:217], v[238:239], v[214:215], v[240:241]
	v_div_scale_f64 v[218:219], null, v[216:217], v[216:217], 1.0
	v_rcp_f64_e32 v[220:221], v[218:219]
	v_fma_f64 v[222:223], -v[218:219], v[220:221], 1.0
	v_fma_f64 v[220:221], v[220:221], v[222:223], v[220:221]
	v_fma_f64 v[222:223], -v[218:219], v[220:221], 1.0
	v_fma_f64 v[220:221], v[220:221], v[222:223], v[220:221]
	v_div_scale_f64 v[222:223], vcc_lo, 1.0, v[216:217], 1.0
	v_mul_f64 v[224:225], v[222:223], v[220:221]
	v_fma_f64 v[218:219], -v[218:219], v[224:225], v[222:223]
	v_div_fmas_f64 v[218:219], v[218:219], v[220:221], v[224:225]
	v_div_fixup_f64 v[240:241], v[218:219], v[216:217], 1.0
	v_mul_f64 v[238:239], v[214:215], v[240:241]
	v_xor_b32_e32 v241, 0x80000000, v241
.LBB116_238:
	s_andn2_saveexec_b32 s1, s1
	s_cbranch_execz .LBB116_240
; %bb.239:
	v_div_scale_f64 v[214:215], null, v[238:239], v[238:239], v[240:241]
	v_div_scale_f64 v[220:221], vcc_lo, v[240:241], v[238:239], v[240:241]
	v_rcp_f64_e32 v[216:217], v[214:215]
	v_fma_f64 v[218:219], -v[214:215], v[216:217], 1.0
	v_fma_f64 v[216:217], v[216:217], v[218:219], v[216:217]
	v_fma_f64 v[218:219], -v[214:215], v[216:217], 1.0
	v_fma_f64 v[216:217], v[216:217], v[218:219], v[216:217]
	v_mul_f64 v[218:219], v[220:221], v[216:217]
	v_fma_f64 v[214:215], -v[214:215], v[218:219], v[220:221]
	v_div_fmas_f64 v[214:215], v[214:215], v[216:217], v[218:219]
	v_div_fixup_f64 v[214:215], v[214:215], v[238:239], v[240:241]
	v_fma_f64 v[216:217], v[240:241], v[214:215], v[238:239]
	v_div_scale_f64 v[218:219], null, v[216:217], v[216:217], 1.0
	v_rcp_f64_e32 v[220:221], v[218:219]
	v_fma_f64 v[222:223], -v[218:219], v[220:221], 1.0
	v_fma_f64 v[220:221], v[220:221], v[222:223], v[220:221]
	v_fma_f64 v[222:223], -v[218:219], v[220:221], 1.0
	v_fma_f64 v[220:221], v[220:221], v[222:223], v[220:221]
	v_div_scale_f64 v[222:223], vcc_lo, 1.0, v[216:217], 1.0
	v_mul_f64 v[224:225], v[222:223], v[220:221]
	v_fma_f64 v[218:219], -v[218:219], v[224:225], v[222:223]
	v_div_fmas_f64 v[218:219], v[218:219], v[220:221], v[224:225]
	v_div_fixup_f64 v[238:239], v[218:219], v[216:217], 1.0
	v_mul_f64 v[240:241], v[214:215], -v[238:239]
.LBB116_240:
	s_or_b32 exec_lo, exec_lo, s1
.LBB116_241:
	s_or_b32 exec_lo, exec_lo, s0
	s_mov_b32 s0, exec_lo
	v_cmpx_ne_u32_e64 v252, v246
	s_xor_b32 s0, exec_lo, s0
	s_cbranch_execz .LBB116_247
; %bb.242:
	s_mov_b32 s1, exec_lo
	v_cmpx_eq_u32_e32 11, v252
	s_cbranch_execz .LBB116_246
; %bb.243:
	v_cmp_ne_u32_e32 vcc_lo, 11, v246
	s_xor_b32 s7, s16, -1
	s_and_b32 s9, s7, vcc_lo
	s_and_saveexec_b32 s7, s9
	s_cbranch_execz .LBB116_245
; %bb.244:
	s_clause 0x1
	buffer_load_dword v210, off, s[20:23], 0 offset:16
	buffer_load_dword v211, off, s[20:23], 0 offset:20
	v_ashrrev_i32_e32 v247, 31, v246
	v_lshlrev_b64 v[214:215], 2, v[246:247]
	s_waitcnt vmcnt(1)
	v_add_co_u32 v214, vcc_lo, v210, v214
	s_waitcnt vmcnt(0)
	v_add_co_ci_u32_e64 v215, null, v211, v215, vcc_lo
	s_clause 0x1
	global_load_dword v0, v[214:215], off
	global_load_dword v216, v[210:211], off offset:44
	s_waitcnt vmcnt(1)
	global_store_dword v[210:211], v0, off offset:44
	s_waitcnt vmcnt(0)
	global_store_dword v[214:215], v216, off
.LBB116_245:
	s_or_b32 exec_lo, exec_lo, s7
	v_mov_b32_e32 v252, v246
	v_mov_b32_e32 v0, v246
.LBB116_246:
	s_or_b32 exec_lo, exec_lo, s1
.LBB116_247:
	s_andn2_saveexec_b32 s0, s0
	s_cbranch_execz .LBB116_249
; %bb.248:
	v_mov_b32_e32 v252, 11
	ds_write2_b64 v1, v[186:187], v[188:189] offset0:24 offset1:25
	ds_write2_b64 v1, v[182:183], v[184:185] offset0:26 offset1:27
	;; [unrolled: 1-line block ×47, first 2 shown]
.LBB116_249:
	s_or_b32 exec_lo, exec_lo, s0
	s_mov_b32 s0, exec_lo
	s_waitcnt lgkmcnt(0)
	s_waitcnt_vscnt null, 0x0
	s_barrier
	buffer_gl0_inv
	v_cmpx_lt_i32_e32 11, v252
	s_cbranch_execz .LBB116_251
; %bb.250:
	v_mul_f64 v[214:215], v[240:241], v[192:193]
	v_mul_f64 v[192:193], v[238:239], v[192:193]
	v_fma_f64 v[246:247], v[238:239], v[190:191], -v[214:215]
	v_fma_f64 v[192:193], v[240:241], v[190:191], v[192:193]
	ds_read2_b64 v[238:241], v1 offset0:24 offset1:25
	s_waitcnt lgkmcnt(0)
	v_mul_f64 v[190:191], v[240:241], v[192:193]
	v_mul_f64 v[214:215], v[238:239], v[192:193]
	v_fma_f64 v[190:191], v[238:239], v[246:247], -v[190:191]
	v_fma_f64 v[214:215], v[240:241], v[246:247], v[214:215]
	ds_read2_b64 v[238:241], v1 offset0:26 offset1:27
	v_add_f64 v[186:187], v[186:187], -v[190:191]
	v_add_f64 v[188:189], v[188:189], -v[214:215]
	s_waitcnt lgkmcnt(0)
	v_mul_f64 v[190:191], v[240:241], v[192:193]
	v_mul_f64 v[214:215], v[238:239], v[192:193]
	v_fma_f64 v[190:191], v[238:239], v[246:247], -v[190:191]
	v_fma_f64 v[214:215], v[240:241], v[246:247], v[214:215]
	ds_read2_b64 v[238:241], v1 offset0:28 offset1:29
	v_add_f64 v[182:183], v[182:183], -v[190:191]
	v_add_f64 v[184:185], v[184:185], -v[214:215]
	;; [unrolled: 8-line block ×46, first 2 shown]
	s_waitcnt lgkmcnt(0)
	v_mul_f64 v[190:191], v[240:241], v[192:193]
	v_mul_f64 v[214:215], v[238:239], v[192:193]
	v_fma_f64 v[190:191], v[238:239], v[246:247], -v[190:191]
	v_fma_f64 v[214:215], v[240:241], v[246:247], v[214:215]
	v_add_f64 v[226:227], v[226:227], -v[190:191]
	v_add_f64 v[228:229], v[228:229], -v[214:215]
	v_mov_b32_e32 v190, v246
	v_mov_b32_e32 v191, v247
.LBB116_251:
	s_or_b32 exec_lo, exec_lo, s0
	v_lshl_add_u32 v214, v252, 4, v1
	s_barrier
	buffer_gl0_inv
	v_mov_b32_e32 v246, 12
	ds_write2_b64 v214, v[186:187], v[188:189] offset1:1
	s_waitcnt lgkmcnt(0)
	s_barrier
	buffer_gl0_inv
	ds_read2_b64 v[238:241], v1 offset0:24 offset1:25
	s_cmp_lt_i32 s8, 14
	s_cbranch_scc1 .LBB116_254
; %bb.252:
	v_add3_u32 v247, v248, 0, 0xd0
	v_mov_b32_e32 v246, 12
	s_mov_b32 s0, 13
	s_inst_prefetch 0x1
	.p2align	6
.LBB116_253:                            ; =>This Inner Loop Header: Depth=1
	s_waitcnt lgkmcnt(0)
	v_cmp_gt_f64_e32 vcc_lo, 0, v[238:239]
	v_xor_b32_e32 v214, 0x80000000, v239
	ds_read2_b64 v[242:245], v247 offset1:1
	v_xor_b32_e32 v216, 0x80000000, v241
	v_add_nc_u32_e32 v247, 16, v247
	s_waitcnt lgkmcnt(0)
	v_xor_b32_e32 v218, 0x80000000, v245
	v_cndmask_b32_e32 v215, v239, v214, vcc_lo
	v_cmp_gt_f64_e32 vcc_lo, 0, v[240:241]
	v_mov_b32_e32 v214, v238
	v_cndmask_b32_e32 v217, v241, v216, vcc_lo
	v_cmp_gt_f64_e32 vcc_lo, 0, v[242:243]
	v_mov_b32_e32 v216, v240
	v_add_f64 v[214:215], v[214:215], v[216:217]
	v_xor_b32_e32 v216, 0x80000000, v243
	v_cndmask_b32_e32 v217, v243, v216, vcc_lo
	v_cmp_gt_f64_e32 vcc_lo, 0, v[244:245]
	v_mov_b32_e32 v216, v242
	v_cndmask_b32_e32 v219, v245, v218, vcc_lo
	v_mov_b32_e32 v218, v244
	v_add_f64 v[216:217], v[216:217], v[218:219]
	v_cmp_lt_f64_e32 vcc_lo, v[214:215], v[216:217]
	v_cndmask_b32_e32 v239, v239, v243, vcc_lo
	v_cndmask_b32_e32 v238, v238, v242, vcc_lo
	;; [unrolled: 1-line block ×4, first 2 shown]
	v_cndmask_b32_e64 v246, v246, s0, vcc_lo
	s_add_i32 s0, s0, 1
	s_cmp_lg_u32 s8, s0
	s_cbranch_scc1 .LBB116_253
.LBB116_254:
	s_inst_prefetch 0x2
	s_waitcnt lgkmcnt(0)
	v_cmp_eq_f64_e32 vcc_lo, 0, v[238:239]
	v_cmp_eq_f64_e64 s0, 0, v[240:241]
	s_and_b32 s0, vcc_lo, s0
	s_and_saveexec_b32 s1, s0
	s_xor_b32 s0, exec_lo, s1
; %bb.255:
	v_cmp_ne_u32_e32 vcc_lo, 0, v251
	v_cndmask_b32_e32 v251, 13, v251, vcc_lo
; %bb.256:
	s_andn2_saveexec_b32 s0, s0
	s_cbranch_execz .LBB116_262
; %bb.257:
	v_cmp_ngt_f64_e64 s1, |v[238:239]|, |v[240:241]|
	s_and_saveexec_b32 s7, s1
	s_xor_b32 s1, exec_lo, s7
	s_cbranch_execz .LBB116_259
; %bb.258:
	v_div_scale_f64 v[214:215], null, v[240:241], v[240:241], v[238:239]
	v_div_scale_f64 v[220:221], vcc_lo, v[238:239], v[240:241], v[238:239]
	v_rcp_f64_e32 v[216:217], v[214:215]
	v_fma_f64 v[218:219], -v[214:215], v[216:217], 1.0
	v_fma_f64 v[216:217], v[216:217], v[218:219], v[216:217]
	v_fma_f64 v[218:219], -v[214:215], v[216:217], 1.0
	v_fma_f64 v[216:217], v[216:217], v[218:219], v[216:217]
	v_mul_f64 v[218:219], v[220:221], v[216:217]
	v_fma_f64 v[214:215], -v[214:215], v[218:219], v[220:221]
	v_div_fmas_f64 v[214:215], v[214:215], v[216:217], v[218:219]
	v_div_fixup_f64 v[214:215], v[214:215], v[240:241], v[238:239]
	v_fma_f64 v[216:217], v[238:239], v[214:215], v[240:241]
	v_div_scale_f64 v[218:219], null, v[216:217], v[216:217], 1.0
	v_rcp_f64_e32 v[220:221], v[218:219]
	v_fma_f64 v[222:223], -v[218:219], v[220:221], 1.0
	v_fma_f64 v[220:221], v[220:221], v[222:223], v[220:221]
	v_fma_f64 v[222:223], -v[218:219], v[220:221], 1.0
	v_fma_f64 v[220:221], v[220:221], v[222:223], v[220:221]
	v_div_scale_f64 v[222:223], vcc_lo, 1.0, v[216:217], 1.0
	v_mul_f64 v[224:225], v[222:223], v[220:221]
	v_fma_f64 v[218:219], -v[218:219], v[224:225], v[222:223]
	v_div_fmas_f64 v[218:219], v[218:219], v[220:221], v[224:225]
	v_div_fixup_f64 v[240:241], v[218:219], v[216:217], 1.0
	v_mul_f64 v[238:239], v[214:215], v[240:241]
	v_xor_b32_e32 v241, 0x80000000, v241
.LBB116_259:
	s_andn2_saveexec_b32 s1, s1
	s_cbranch_execz .LBB116_261
; %bb.260:
	v_div_scale_f64 v[214:215], null, v[238:239], v[238:239], v[240:241]
	v_div_scale_f64 v[220:221], vcc_lo, v[240:241], v[238:239], v[240:241]
	v_rcp_f64_e32 v[216:217], v[214:215]
	v_fma_f64 v[218:219], -v[214:215], v[216:217], 1.0
	v_fma_f64 v[216:217], v[216:217], v[218:219], v[216:217]
	v_fma_f64 v[218:219], -v[214:215], v[216:217], 1.0
	v_fma_f64 v[216:217], v[216:217], v[218:219], v[216:217]
	v_mul_f64 v[218:219], v[220:221], v[216:217]
	v_fma_f64 v[214:215], -v[214:215], v[218:219], v[220:221]
	v_div_fmas_f64 v[214:215], v[214:215], v[216:217], v[218:219]
	v_div_fixup_f64 v[214:215], v[214:215], v[238:239], v[240:241]
	v_fma_f64 v[216:217], v[240:241], v[214:215], v[238:239]
	v_div_scale_f64 v[218:219], null, v[216:217], v[216:217], 1.0
	v_rcp_f64_e32 v[220:221], v[218:219]
	v_fma_f64 v[222:223], -v[218:219], v[220:221], 1.0
	v_fma_f64 v[220:221], v[220:221], v[222:223], v[220:221]
	v_fma_f64 v[222:223], -v[218:219], v[220:221], 1.0
	v_fma_f64 v[220:221], v[220:221], v[222:223], v[220:221]
	v_div_scale_f64 v[222:223], vcc_lo, 1.0, v[216:217], 1.0
	v_mul_f64 v[224:225], v[222:223], v[220:221]
	v_fma_f64 v[218:219], -v[218:219], v[224:225], v[222:223]
	v_div_fmas_f64 v[218:219], v[218:219], v[220:221], v[224:225]
	v_div_fixup_f64 v[238:239], v[218:219], v[216:217], 1.0
	v_mul_f64 v[240:241], v[214:215], -v[238:239]
.LBB116_261:
	s_or_b32 exec_lo, exec_lo, s1
.LBB116_262:
	s_or_b32 exec_lo, exec_lo, s0
	s_mov_b32 s0, exec_lo
	v_cmpx_ne_u32_e64 v252, v246
	s_xor_b32 s0, exec_lo, s0
	s_cbranch_execz .LBB116_268
; %bb.263:
	s_mov_b32 s1, exec_lo
	v_cmpx_eq_u32_e32 12, v252
	s_cbranch_execz .LBB116_267
; %bb.264:
	v_cmp_ne_u32_e32 vcc_lo, 12, v246
	s_xor_b32 s7, s16, -1
	s_and_b32 s9, s7, vcc_lo
	s_and_saveexec_b32 s7, s9
	s_cbranch_execz .LBB116_266
; %bb.265:
	s_clause 0x1
	buffer_load_dword v210, off, s[20:23], 0 offset:16
	buffer_load_dword v211, off, s[20:23], 0 offset:20
	v_ashrrev_i32_e32 v247, 31, v246
	v_lshlrev_b64 v[214:215], 2, v[246:247]
	s_waitcnt vmcnt(1)
	v_add_co_u32 v214, vcc_lo, v210, v214
	s_waitcnt vmcnt(0)
	v_add_co_ci_u32_e64 v215, null, v211, v215, vcc_lo
	s_clause 0x1
	global_load_dword v0, v[214:215], off
	global_load_dword v216, v[210:211], off offset:48
	s_waitcnt vmcnt(1)
	global_store_dword v[210:211], v0, off offset:48
	s_waitcnt vmcnt(0)
	global_store_dword v[214:215], v216, off
.LBB116_266:
	s_or_b32 exec_lo, exec_lo, s7
	v_mov_b32_e32 v252, v246
	v_mov_b32_e32 v0, v246
.LBB116_267:
	s_or_b32 exec_lo, exec_lo, s1
.LBB116_268:
	s_andn2_saveexec_b32 s0, s0
	s_cbranch_execz .LBB116_270
; %bb.269:
	v_mov_b32_e32 v252, 12
	ds_write2_b64 v1, v[182:183], v[184:185] offset0:26 offset1:27
	ds_write2_b64 v1, v[178:179], v[180:181] offset0:28 offset1:29
	;; [unrolled: 1-line block ×46, first 2 shown]
.LBB116_270:
	s_or_b32 exec_lo, exec_lo, s0
	s_mov_b32 s0, exec_lo
	s_waitcnt lgkmcnt(0)
	s_waitcnt_vscnt null, 0x0
	s_barrier
	buffer_gl0_inv
	v_cmpx_lt_i32_e32 12, v252
	s_cbranch_execz .LBB116_272
; %bb.271:
	v_mul_f64 v[214:215], v[240:241], v[188:189]
	v_mul_f64 v[188:189], v[238:239], v[188:189]
	v_fma_f64 v[246:247], v[238:239], v[186:187], -v[214:215]
	v_fma_f64 v[188:189], v[240:241], v[186:187], v[188:189]
	ds_read2_b64 v[238:241], v1 offset0:26 offset1:27
	s_waitcnt lgkmcnt(0)
	v_mul_f64 v[186:187], v[240:241], v[188:189]
	v_mul_f64 v[214:215], v[238:239], v[188:189]
	v_fma_f64 v[186:187], v[238:239], v[246:247], -v[186:187]
	v_fma_f64 v[214:215], v[240:241], v[246:247], v[214:215]
	ds_read2_b64 v[238:241], v1 offset0:28 offset1:29
	v_add_f64 v[182:183], v[182:183], -v[186:187]
	v_add_f64 v[184:185], v[184:185], -v[214:215]
	s_waitcnt lgkmcnt(0)
	v_mul_f64 v[186:187], v[240:241], v[188:189]
	v_mul_f64 v[214:215], v[238:239], v[188:189]
	v_fma_f64 v[186:187], v[238:239], v[246:247], -v[186:187]
	v_fma_f64 v[214:215], v[240:241], v[246:247], v[214:215]
	ds_read2_b64 v[238:241], v1 offset0:30 offset1:31
	v_add_f64 v[178:179], v[178:179], -v[186:187]
	v_add_f64 v[180:181], v[180:181], -v[214:215]
	;; [unrolled: 8-line block ×45, first 2 shown]
	s_waitcnt lgkmcnt(0)
	v_mul_f64 v[186:187], v[240:241], v[188:189]
	v_mul_f64 v[214:215], v[238:239], v[188:189]
	v_fma_f64 v[186:187], v[238:239], v[246:247], -v[186:187]
	v_fma_f64 v[214:215], v[240:241], v[246:247], v[214:215]
	v_add_f64 v[226:227], v[226:227], -v[186:187]
	v_add_f64 v[228:229], v[228:229], -v[214:215]
	v_mov_b32_e32 v186, v246
	v_mov_b32_e32 v187, v247
.LBB116_272:
	s_or_b32 exec_lo, exec_lo, s0
	v_lshl_add_u32 v214, v252, 4, v1
	s_barrier
	buffer_gl0_inv
	v_mov_b32_e32 v246, 13
	ds_write2_b64 v214, v[182:183], v[184:185] offset1:1
	s_waitcnt lgkmcnt(0)
	s_barrier
	buffer_gl0_inv
	ds_read2_b64 v[238:241], v1 offset0:26 offset1:27
	s_cmp_lt_i32 s8, 15
	s_cbranch_scc1 .LBB116_275
; %bb.273:
	v_add3_u32 v247, v248, 0, 0xe0
	v_mov_b32_e32 v246, 13
	s_mov_b32 s0, 14
	s_inst_prefetch 0x1
	.p2align	6
.LBB116_274:                            ; =>This Inner Loop Header: Depth=1
	s_waitcnt lgkmcnt(0)
	v_cmp_gt_f64_e32 vcc_lo, 0, v[238:239]
	v_xor_b32_e32 v214, 0x80000000, v239
	ds_read2_b64 v[242:245], v247 offset1:1
	v_xor_b32_e32 v216, 0x80000000, v241
	v_add_nc_u32_e32 v247, 16, v247
	s_waitcnt lgkmcnt(0)
	v_xor_b32_e32 v218, 0x80000000, v245
	v_cndmask_b32_e32 v215, v239, v214, vcc_lo
	v_cmp_gt_f64_e32 vcc_lo, 0, v[240:241]
	v_mov_b32_e32 v214, v238
	v_cndmask_b32_e32 v217, v241, v216, vcc_lo
	v_cmp_gt_f64_e32 vcc_lo, 0, v[242:243]
	v_mov_b32_e32 v216, v240
	v_add_f64 v[214:215], v[214:215], v[216:217]
	v_xor_b32_e32 v216, 0x80000000, v243
	v_cndmask_b32_e32 v217, v243, v216, vcc_lo
	v_cmp_gt_f64_e32 vcc_lo, 0, v[244:245]
	v_mov_b32_e32 v216, v242
	v_cndmask_b32_e32 v219, v245, v218, vcc_lo
	v_mov_b32_e32 v218, v244
	v_add_f64 v[216:217], v[216:217], v[218:219]
	v_cmp_lt_f64_e32 vcc_lo, v[214:215], v[216:217]
	v_cndmask_b32_e32 v239, v239, v243, vcc_lo
	v_cndmask_b32_e32 v238, v238, v242, vcc_lo
	;; [unrolled: 1-line block ×4, first 2 shown]
	v_cndmask_b32_e64 v246, v246, s0, vcc_lo
	s_add_i32 s0, s0, 1
	s_cmp_lg_u32 s8, s0
	s_cbranch_scc1 .LBB116_274
.LBB116_275:
	s_inst_prefetch 0x2
	s_waitcnt lgkmcnt(0)
	v_cmp_eq_f64_e32 vcc_lo, 0, v[238:239]
	v_cmp_eq_f64_e64 s0, 0, v[240:241]
	s_and_b32 s0, vcc_lo, s0
	s_and_saveexec_b32 s1, s0
	s_xor_b32 s0, exec_lo, s1
; %bb.276:
	v_cmp_ne_u32_e32 vcc_lo, 0, v251
	v_cndmask_b32_e32 v251, 14, v251, vcc_lo
; %bb.277:
	s_andn2_saveexec_b32 s0, s0
	s_cbranch_execz .LBB116_283
; %bb.278:
	v_cmp_ngt_f64_e64 s1, |v[238:239]|, |v[240:241]|
	s_and_saveexec_b32 s7, s1
	s_xor_b32 s1, exec_lo, s7
	s_cbranch_execz .LBB116_280
; %bb.279:
	v_div_scale_f64 v[214:215], null, v[240:241], v[240:241], v[238:239]
	v_div_scale_f64 v[220:221], vcc_lo, v[238:239], v[240:241], v[238:239]
	v_rcp_f64_e32 v[216:217], v[214:215]
	v_fma_f64 v[218:219], -v[214:215], v[216:217], 1.0
	v_fma_f64 v[216:217], v[216:217], v[218:219], v[216:217]
	v_fma_f64 v[218:219], -v[214:215], v[216:217], 1.0
	v_fma_f64 v[216:217], v[216:217], v[218:219], v[216:217]
	v_mul_f64 v[218:219], v[220:221], v[216:217]
	v_fma_f64 v[214:215], -v[214:215], v[218:219], v[220:221]
	v_div_fmas_f64 v[214:215], v[214:215], v[216:217], v[218:219]
	v_div_fixup_f64 v[214:215], v[214:215], v[240:241], v[238:239]
	v_fma_f64 v[216:217], v[238:239], v[214:215], v[240:241]
	v_div_scale_f64 v[218:219], null, v[216:217], v[216:217], 1.0
	v_rcp_f64_e32 v[220:221], v[218:219]
	v_fma_f64 v[222:223], -v[218:219], v[220:221], 1.0
	v_fma_f64 v[220:221], v[220:221], v[222:223], v[220:221]
	v_fma_f64 v[222:223], -v[218:219], v[220:221], 1.0
	v_fma_f64 v[220:221], v[220:221], v[222:223], v[220:221]
	v_div_scale_f64 v[222:223], vcc_lo, 1.0, v[216:217], 1.0
	v_mul_f64 v[224:225], v[222:223], v[220:221]
	v_fma_f64 v[218:219], -v[218:219], v[224:225], v[222:223]
	v_div_fmas_f64 v[218:219], v[218:219], v[220:221], v[224:225]
	v_div_fixup_f64 v[240:241], v[218:219], v[216:217], 1.0
	v_mul_f64 v[238:239], v[214:215], v[240:241]
	v_xor_b32_e32 v241, 0x80000000, v241
.LBB116_280:
	s_andn2_saveexec_b32 s1, s1
	s_cbranch_execz .LBB116_282
; %bb.281:
	v_div_scale_f64 v[214:215], null, v[238:239], v[238:239], v[240:241]
	v_div_scale_f64 v[220:221], vcc_lo, v[240:241], v[238:239], v[240:241]
	v_rcp_f64_e32 v[216:217], v[214:215]
	v_fma_f64 v[218:219], -v[214:215], v[216:217], 1.0
	v_fma_f64 v[216:217], v[216:217], v[218:219], v[216:217]
	v_fma_f64 v[218:219], -v[214:215], v[216:217], 1.0
	v_fma_f64 v[216:217], v[216:217], v[218:219], v[216:217]
	v_mul_f64 v[218:219], v[220:221], v[216:217]
	v_fma_f64 v[214:215], -v[214:215], v[218:219], v[220:221]
	v_div_fmas_f64 v[214:215], v[214:215], v[216:217], v[218:219]
	v_div_fixup_f64 v[214:215], v[214:215], v[238:239], v[240:241]
	v_fma_f64 v[216:217], v[240:241], v[214:215], v[238:239]
	v_div_scale_f64 v[218:219], null, v[216:217], v[216:217], 1.0
	v_rcp_f64_e32 v[220:221], v[218:219]
	v_fma_f64 v[222:223], -v[218:219], v[220:221], 1.0
	v_fma_f64 v[220:221], v[220:221], v[222:223], v[220:221]
	v_fma_f64 v[222:223], -v[218:219], v[220:221], 1.0
	v_fma_f64 v[220:221], v[220:221], v[222:223], v[220:221]
	v_div_scale_f64 v[222:223], vcc_lo, 1.0, v[216:217], 1.0
	v_mul_f64 v[224:225], v[222:223], v[220:221]
	v_fma_f64 v[218:219], -v[218:219], v[224:225], v[222:223]
	v_div_fmas_f64 v[218:219], v[218:219], v[220:221], v[224:225]
	v_div_fixup_f64 v[238:239], v[218:219], v[216:217], 1.0
	v_mul_f64 v[240:241], v[214:215], -v[238:239]
.LBB116_282:
	s_or_b32 exec_lo, exec_lo, s1
.LBB116_283:
	s_or_b32 exec_lo, exec_lo, s0
	s_mov_b32 s0, exec_lo
	v_cmpx_ne_u32_e64 v252, v246
	s_xor_b32 s0, exec_lo, s0
	s_cbranch_execz .LBB116_289
; %bb.284:
	s_mov_b32 s1, exec_lo
	v_cmpx_eq_u32_e32 13, v252
	s_cbranch_execz .LBB116_288
; %bb.285:
	v_cmp_ne_u32_e32 vcc_lo, 13, v246
	s_xor_b32 s7, s16, -1
	s_and_b32 s9, s7, vcc_lo
	s_and_saveexec_b32 s7, s9
	s_cbranch_execz .LBB116_287
; %bb.286:
	s_clause 0x1
	buffer_load_dword v210, off, s[20:23], 0 offset:16
	buffer_load_dword v211, off, s[20:23], 0 offset:20
	v_ashrrev_i32_e32 v247, 31, v246
	v_lshlrev_b64 v[214:215], 2, v[246:247]
	s_waitcnt vmcnt(1)
	v_add_co_u32 v214, vcc_lo, v210, v214
	s_waitcnt vmcnt(0)
	v_add_co_ci_u32_e64 v215, null, v211, v215, vcc_lo
	s_clause 0x1
	global_load_dword v0, v[214:215], off
	global_load_dword v216, v[210:211], off offset:52
	s_waitcnt vmcnt(1)
	global_store_dword v[210:211], v0, off offset:52
	s_waitcnt vmcnt(0)
	global_store_dword v[214:215], v216, off
.LBB116_287:
	s_or_b32 exec_lo, exec_lo, s7
	v_mov_b32_e32 v252, v246
	v_mov_b32_e32 v0, v246
.LBB116_288:
	s_or_b32 exec_lo, exec_lo, s1
.LBB116_289:
	s_andn2_saveexec_b32 s0, s0
	s_cbranch_execz .LBB116_291
; %bb.290:
	v_mov_b32_e32 v252, 13
	ds_write2_b64 v1, v[178:179], v[180:181] offset0:28 offset1:29
	ds_write2_b64 v1, v[174:175], v[176:177] offset0:30 offset1:31
	;; [unrolled: 1-line block ×45, first 2 shown]
.LBB116_291:
	s_or_b32 exec_lo, exec_lo, s0
	s_mov_b32 s0, exec_lo
	s_waitcnt lgkmcnt(0)
	s_waitcnt_vscnt null, 0x0
	s_barrier
	buffer_gl0_inv
	v_cmpx_lt_i32_e32 13, v252
	s_cbranch_execz .LBB116_293
; %bb.292:
	v_mul_f64 v[214:215], v[240:241], v[184:185]
	v_mul_f64 v[184:185], v[238:239], v[184:185]
	v_fma_f64 v[246:247], v[238:239], v[182:183], -v[214:215]
	v_fma_f64 v[184:185], v[240:241], v[182:183], v[184:185]
	ds_read2_b64 v[238:241], v1 offset0:28 offset1:29
	s_waitcnt lgkmcnt(0)
	v_mul_f64 v[182:183], v[240:241], v[184:185]
	v_mul_f64 v[214:215], v[238:239], v[184:185]
	v_fma_f64 v[182:183], v[238:239], v[246:247], -v[182:183]
	v_fma_f64 v[214:215], v[240:241], v[246:247], v[214:215]
	ds_read2_b64 v[238:241], v1 offset0:30 offset1:31
	v_add_f64 v[178:179], v[178:179], -v[182:183]
	v_add_f64 v[180:181], v[180:181], -v[214:215]
	s_waitcnt lgkmcnt(0)
	v_mul_f64 v[182:183], v[240:241], v[184:185]
	v_mul_f64 v[214:215], v[238:239], v[184:185]
	v_fma_f64 v[182:183], v[238:239], v[246:247], -v[182:183]
	v_fma_f64 v[214:215], v[240:241], v[246:247], v[214:215]
	ds_read2_b64 v[238:241], v1 offset0:32 offset1:33
	v_add_f64 v[174:175], v[174:175], -v[182:183]
	v_add_f64 v[176:177], v[176:177], -v[214:215]
	;; [unrolled: 8-line block ×44, first 2 shown]
	s_waitcnt lgkmcnt(0)
	v_mul_f64 v[182:183], v[240:241], v[184:185]
	v_mul_f64 v[214:215], v[238:239], v[184:185]
	v_fma_f64 v[182:183], v[238:239], v[246:247], -v[182:183]
	v_fma_f64 v[214:215], v[240:241], v[246:247], v[214:215]
	v_add_f64 v[226:227], v[226:227], -v[182:183]
	v_add_f64 v[228:229], v[228:229], -v[214:215]
	v_mov_b32_e32 v182, v246
	v_mov_b32_e32 v183, v247
.LBB116_293:
	s_or_b32 exec_lo, exec_lo, s0
	v_lshl_add_u32 v214, v252, 4, v1
	s_barrier
	buffer_gl0_inv
	v_mov_b32_e32 v246, 14
	ds_write2_b64 v214, v[178:179], v[180:181] offset1:1
	s_waitcnt lgkmcnt(0)
	s_barrier
	buffer_gl0_inv
	ds_read2_b64 v[238:241], v1 offset0:28 offset1:29
	s_cmp_lt_i32 s8, 16
	s_cbranch_scc1 .LBB116_296
; %bb.294:
	v_add3_u32 v247, v248, 0, 0xf0
	v_mov_b32_e32 v246, 14
	s_mov_b32 s0, 15
	s_inst_prefetch 0x1
	.p2align	6
.LBB116_295:                            ; =>This Inner Loop Header: Depth=1
	s_waitcnt lgkmcnt(0)
	v_cmp_gt_f64_e32 vcc_lo, 0, v[238:239]
	v_xor_b32_e32 v214, 0x80000000, v239
	ds_read2_b64 v[242:245], v247 offset1:1
	v_xor_b32_e32 v216, 0x80000000, v241
	v_add_nc_u32_e32 v247, 16, v247
	s_waitcnt lgkmcnt(0)
	v_xor_b32_e32 v218, 0x80000000, v245
	v_cndmask_b32_e32 v215, v239, v214, vcc_lo
	v_cmp_gt_f64_e32 vcc_lo, 0, v[240:241]
	v_mov_b32_e32 v214, v238
	v_cndmask_b32_e32 v217, v241, v216, vcc_lo
	v_cmp_gt_f64_e32 vcc_lo, 0, v[242:243]
	v_mov_b32_e32 v216, v240
	v_add_f64 v[214:215], v[214:215], v[216:217]
	v_xor_b32_e32 v216, 0x80000000, v243
	v_cndmask_b32_e32 v217, v243, v216, vcc_lo
	v_cmp_gt_f64_e32 vcc_lo, 0, v[244:245]
	v_mov_b32_e32 v216, v242
	v_cndmask_b32_e32 v219, v245, v218, vcc_lo
	v_mov_b32_e32 v218, v244
	v_add_f64 v[216:217], v[216:217], v[218:219]
	v_cmp_lt_f64_e32 vcc_lo, v[214:215], v[216:217]
	v_cndmask_b32_e32 v239, v239, v243, vcc_lo
	v_cndmask_b32_e32 v238, v238, v242, vcc_lo
	;; [unrolled: 1-line block ×4, first 2 shown]
	v_cndmask_b32_e64 v246, v246, s0, vcc_lo
	s_add_i32 s0, s0, 1
	s_cmp_lg_u32 s8, s0
	s_cbranch_scc1 .LBB116_295
.LBB116_296:
	s_inst_prefetch 0x2
	s_waitcnt lgkmcnt(0)
	v_cmp_eq_f64_e32 vcc_lo, 0, v[238:239]
	v_cmp_eq_f64_e64 s0, 0, v[240:241]
	s_and_b32 s0, vcc_lo, s0
	s_and_saveexec_b32 s1, s0
	s_xor_b32 s0, exec_lo, s1
; %bb.297:
	v_cmp_ne_u32_e32 vcc_lo, 0, v251
	v_cndmask_b32_e32 v251, 15, v251, vcc_lo
; %bb.298:
	s_andn2_saveexec_b32 s0, s0
	s_cbranch_execz .LBB116_304
; %bb.299:
	v_cmp_ngt_f64_e64 s1, |v[238:239]|, |v[240:241]|
	s_and_saveexec_b32 s7, s1
	s_xor_b32 s1, exec_lo, s7
	s_cbranch_execz .LBB116_301
; %bb.300:
	v_div_scale_f64 v[214:215], null, v[240:241], v[240:241], v[238:239]
	v_div_scale_f64 v[220:221], vcc_lo, v[238:239], v[240:241], v[238:239]
	v_rcp_f64_e32 v[216:217], v[214:215]
	v_fma_f64 v[218:219], -v[214:215], v[216:217], 1.0
	v_fma_f64 v[216:217], v[216:217], v[218:219], v[216:217]
	v_fma_f64 v[218:219], -v[214:215], v[216:217], 1.0
	v_fma_f64 v[216:217], v[216:217], v[218:219], v[216:217]
	v_mul_f64 v[218:219], v[220:221], v[216:217]
	v_fma_f64 v[214:215], -v[214:215], v[218:219], v[220:221]
	v_div_fmas_f64 v[214:215], v[214:215], v[216:217], v[218:219]
	v_div_fixup_f64 v[214:215], v[214:215], v[240:241], v[238:239]
	v_fma_f64 v[216:217], v[238:239], v[214:215], v[240:241]
	v_div_scale_f64 v[218:219], null, v[216:217], v[216:217], 1.0
	v_rcp_f64_e32 v[220:221], v[218:219]
	v_fma_f64 v[222:223], -v[218:219], v[220:221], 1.0
	v_fma_f64 v[220:221], v[220:221], v[222:223], v[220:221]
	v_fma_f64 v[222:223], -v[218:219], v[220:221], 1.0
	v_fma_f64 v[220:221], v[220:221], v[222:223], v[220:221]
	v_div_scale_f64 v[222:223], vcc_lo, 1.0, v[216:217], 1.0
	v_mul_f64 v[224:225], v[222:223], v[220:221]
	v_fma_f64 v[218:219], -v[218:219], v[224:225], v[222:223]
	v_div_fmas_f64 v[218:219], v[218:219], v[220:221], v[224:225]
	v_div_fixup_f64 v[240:241], v[218:219], v[216:217], 1.0
	v_mul_f64 v[238:239], v[214:215], v[240:241]
	v_xor_b32_e32 v241, 0x80000000, v241
.LBB116_301:
	s_andn2_saveexec_b32 s1, s1
	s_cbranch_execz .LBB116_303
; %bb.302:
	v_div_scale_f64 v[214:215], null, v[238:239], v[238:239], v[240:241]
	v_div_scale_f64 v[220:221], vcc_lo, v[240:241], v[238:239], v[240:241]
	v_rcp_f64_e32 v[216:217], v[214:215]
	v_fma_f64 v[218:219], -v[214:215], v[216:217], 1.0
	v_fma_f64 v[216:217], v[216:217], v[218:219], v[216:217]
	v_fma_f64 v[218:219], -v[214:215], v[216:217], 1.0
	v_fma_f64 v[216:217], v[216:217], v[218:219], v[216:217]
	v_mul_f64 v[218:219], v[220:221], v[216:217]
	v_fma_f64 v[214:215], -v[214:215], v[218:219], v[220:221]
	v_div_fmas_f64 v[214:215], v[214:215], v[216:217], v[218:219]
	v_div_fixup_f64 v[214:215], v[214:215], v[238:239], v[240:241]
	v_fma_f64 v[216:217], v[240:241], v[214:215], v[238:239]
	v_div_scale_f64 v[218:219], null, v[216:217], v[216:217], 1.0
	v_rcp_f64_e32 v[220:221], v[218:219]
	v_fma_f64 v[222:223], -v[218:219], v[220:221], 1.0
	v_fma_f64 v[220:221], v[220:221], v[222:223], v[220:221]
	v_fma_f64 v[222:223], -v[218:219], v[220:221], 1.0
	v_fma_f64 v[220:221], v[220:221], v[222:223], v[220:221]
	v_div_scale_f64 v[222:223], vcc_lo, 1.0, v[216:217], 1.0
	v_mul_f64 v[224:225], v[222:223], v[220:221]
	v_fma_f64 v[218:219], -v[218:219], v[224:225], v[222:223]
	v_div_fmas_f64 v[218:219], v[218:219], v[220:221], v[224:225]
	v_div_fixup_f64 v[238:239], v[218:219], v[216:217], 1.0
	v_mul_f64 v[240:241], v[214:215], -v[238:239]
.LBB116_303:
	s_or_b32 exec_lo, exec_lo, s1
.LBB116_304:
	s_or_b32 exec_lo, exec_lo, s0
	s_mov_b32 s0, exec_lo
	v_cmpx_ne_u32_e64 v252, v246
	s_xor_b32 s0, exec_lo, s0
	s_cbranch_execz .LBB116_310
; %bb.305:
	s_mov_b32 s1, exec_lo
	v_cmpx_eq_u32_e32 14, v252
	s_cbranch_execz .LBB116_309
; %bb.306:
	v_cmp_ne_u32_e32 vcc_lo, 14, v246
	s_xor_b32 s7, s16, -1
	s_and_b32 s9, s7, vcc_lo
	s_and_saveexec_b32 s7, s9
	s_cbranch_execz .LBB116_308
; %bb.307:
	s_clause 0x1
	buffer_load_dword v210, off, s[20:23], 0 offset:16
	buffer_load_dword v211, off, s[20:23], 0 offset:20
	v_ashrrev_i32_e32 v247, 31, v246
	v_lshlrev_b64 v[214:215], 2, v[246:247]
	s_waitcnt vmcnt(1)
	v_add_co_u32 v214, vcc_lo, v210, v214
	s_waitcnt vmcnt(0)
	v_add_co_ci_u32_e64 v215, null, v211, v215, vcc_lo
	s_clause 0x1
	global_load_dword v0, v[214:215], off
	global_load_dword v216, v[210:211], off offset:56
	s_waitcnt vmcnt(1)
	global_store_dword v[210:211], v0, off offset:56
	s_waitcnt vmcnt(0)
	global_store_dword v[214:215], v216, off
.LBB116_308:
	s_or_b32 exec_lo, exec_lo, s7
	v_mov_b32_e32 v252, v246
	v_mov_b32_e32 v0, v246
.LBB116_309:
	s_or_b32 exec_lo, exec_lo, s1
.LBB116_310:
	s_andn2_saveexec_b32 s0, s0
	s_cbranch_execz .LBB116_312
; %bb.311:
	v_mov_b32_e32 v252, 14
	ds_write2_b64 v1, v[174:175], v[176:177] offset0:30 offset1:31
	ds_write2_b64 v1, v[170:171], v[172:173] offset0:32 offset1:33
	;; [unrolled: 1-line block ×44, first 2 shown]
.LBB116_312:
	s_or_b32 exec_lo, exec_lo, s0
	s_mov_b32 s0, exec_lo
	s_waitcnt lgkmcnt(0)
	s_waitcnt_vscnt null, 0x0
	s_barrier
	buffer_gl0_inv
	v_cmpx_lt_i32_e32 14, v252
	s_cbranch_execz .LBB116_314
; %bb.313:
	v_mul_f64 v[214:215], v[240:241], v[180:181]
	v_mul_f64 v[180:181], v[238:239], v[180:181]
	v_fma_f64 v[246:247], v[238:239], v[178:179], -v[214:215]
	v_fma_f64 v[180:181], v[240:241], v[178:179], v[180:181]
	ds_read2_b64 v[238:241], v1 offset0:30 offset1:31
	s_waitcnt lgkmcnt(0)
	v_mul_f64 v[178:179], v[240:241], v[180:181]
	v_mul_f64 v[214:215], v[238:239], v[180:181]
	v_fma_f64 v[178:179], v[238:239], v[246:247], -v[178:179]
	v_fma_f64 v[214:215], v[240:241], v[246:247], v[214:215]
	ds_read2_b64 v[238:241], v1 offset0:32 offset1:33
	v_add_f64 v[174:175], v[174:175], -v[178:179]
	v_add_f64 v[176:177], v[176:177], -v[214:215]
	s_waitcnt lgkmcnt(0)
	v_mul_f64 v[178:179], v[240:241], v[180:181]
	v_mul_f64 v[214:215], v[238:239], v[180:181]
	v_fma_f64 v[178:179], v[238:239], v[246:247], -v[178:179]
	v_fma_f64 v[214:215], v[240:241], v[246:247], v[214:215]
	ds_read2_b64 v[238:241], v1 offset0:34 offset1:35
	v_add_f64 v[170:171], v[170:171], -v[178:179]
	v_add_f64 v[172:173], v[172:173], -v[214:215]
	;; [unrolled: 8-line block ×43, first 2 shown]
	s_waitcnt lgkmcnt(0)
	v_mul_f64 v[178:179], v[240:241], v[180:181]
	v_mul_f64 v[214:215], v[238:239], v[180:181]
	v_fma_f64 v[178:179], v[238:239], v[246:247], -v[178:179]
	v_fma_f64 v[214:215], v[240:241], v[246:247], v[214:215]
	v_add_f64 v[226:227], v[226:227], -v[178:179]
	v_add_f64 v[228:229], v[228:229], -v[214:215]
	v_mov_b32_e32 v178, v246
	v_mov_b32_e32 v179, v247
.LBB116_314:
	s_or_b32 exec_lo, exec_lo, s0
	v_lshl_add_u32 v214, v252, 4, v1
	s_barrier
	buffer_gl0_inv
	v_mov_b32_e32 v246, 15
	ds_write2_b64 v214, v[174:175], v[176:177] offset1:1
	s_waitcnt lgkmcnt(0)
	s_barrier
	buffer_gl0_inv
	ds_read2_b64 v[238:241], v1 offset0:30 offset1:31
	s_cmp_lt_i32 s8, 17
	s_cbranch_scc1 .LBB116_317
; %bb.315:
	v_add3_u32 v247, v248, 0, 0x100
	v_mov_b32_e32 v246, 15
	s_mov_b32 s0, 16
	s_inst_prefetch 0x1
	.p2align	6
.LBB116_316:                            ; =>This Inner Loop Header: Depth=1
	s_waitcnt lgkmcnt(0)
	v_cmp_gt_f64_e32 vcc_lo, 0, v[238:239]
	v_xor_b32_e32 v214, 0x80000000, v239
	ds_read2_b64 v[242:245], v247 offset1:1
	v_xor_b32_e32 v216, 0x80000000, v241
	v_add_nc_u32_e32 v247, 16, v247
	s_waitcnt lgkmcnt(0)
	v_xor_b32_e32 v218, 0x80000000, v245
	v_cndmask_b32_e32 v215, v239, v214, vcc_lo
	v_cmp_gt_f64_e32 vcc_lo, 0, v[240:241]
	v_mov_b32_e32 v214, v238
	v_cndmask_b32_e32 v217, v241, v216, vcc_lo
	v_cmp_gt_f64_e32 vcc_lo, 0, v[242:243]
	v_mov_b32_e32 v216, v240
	v_add_f64 v[214:215], v[214:215], v[216:217]
	v_xor_b32_e32 v216, 0x80000000, v243
	v_cndmask_b32_e32 v217, v243, v216, vcc_lo
	v_cmp_gt_f64_e32 vcc_lo, 0, v[244:245]
	v_mov_b32_e32 v216, v242
	v_cndmask_b32_e32 v219, v245, v218, vcc_lo
	v_mov_b32_e32 v218, v244
	v_add_f64 v[216:217], v[216:217], v[218:219]
	v_cmp_lt_f64_e32 vcc_lo, v[214:215], v[216:217]
	v_cndmask_b32_e32 v239, v239, v243, vcc_lo
	v_cndmask_b32_e32 v238, v238, v242, vcc_lo
	v_cndmask_b32_e32 v241, v241, v245, vcc_lo
	v_cndmask_b32_e32 v240, v240, v244, vcc_lo
	v_cndmask_b32_e64 v246, v246, s0, vcc_lo
	s_add_i32 s0, s0, 1
	s_cmp_lg_u32 s8, s0
	s_cbranch_scc1 .LBB116_316
.LBB116_317:
	s_inst_prefetch 0x2
	s_waitcnt lgkmcnt(0)
	v_cmp_eq_f64_e32 vcc_lo, 0, v[238:239]
	v_cmp_eq_f64_e64 s0, 0, v[240:241]
	s_and_b32 s0, vcc_lo, s0
	s_and_saveexec_b32 s1, s0
	s_xor_b32 s0, exec_lo, s1
; %bb.318:
	v_cmp_ne_u32_e32 vcc_lo, 0, v251
	v_cndmask_b32_e32 v251, 16, v251, vcc_lo
; %bb.319:
	s_andn2_saveexec_b32 s0, s0
	s_cbranch_execz .LBB116_325
; %bb.320:
	v_cmp_ngt_f64_e64 s1, |v[238:239]|, |v[240:241]|
	s_and_saveexec_b32 s7, s1
	s_xor_b32 s1, exec_lo, s7
	s_cbranch_execz .LBB116_322
; %bb.321:
	v_div_scale_f64 v[214:215], null, v[240:241], v[240:241], v[238:239]
	v_div_scale_f64 v[220:221], vcc_lo, v[238:239], v[240:241], v[238:239]
	v_rcp_f64_e32 v[216:217], v[214:215]
	v_fma_f64 v[218:219], -v[214:215], v[216:217], 1.0
	v_fma_f64 v[216:217], v[216:217], v[218:219], v[216:217]
	v_fma_f64 v[218:219], -v[214:215], v[216:217], 1.0
	v_fma_f64 v[216:217], v[216:217], v[218:219], v[216:217]
	v_mul_f64 v[218:219], v[220:221], v[216:217]
	v_fma_f64 v[214:215], -v[214:215], v[218:219], v[220:221]
	v_div_fmas_f64 v[214:215], v[214:215], v[216:217], v[218:219]
	v_div_fixup_f64 v[214:215], v[214:215], v[240:241], v[238:239]
	v_fma_f64 v[216:217], v[238:239], v[214:215], v[240:241]
	v_div_scale_f64 v[218:219], null, v[216:217], v[216:217], 1.0
	v_rcp_f64_e32 v[220:221], v[218:219]
	v_fma_f64 v[222:223], -v[218:219], v[220:221], 1.0
	v_fma_f64 v[220:221], v[220:221], v[222:223], v[220:221]
	v_fma_f64 v[222:223], -v[218:219], v[220:221], 1.0
	v_fma_f64 v[220:221], v[220:221], v[222:223], v[220:221]
	v_div_scale_f64 v[222:223], vcc_lo, 1.0, v[216:217], 1.0
	v_mul_f64 v[224:225], v[222:223], v[220:221]
	v_fma_f64 v[218:219], -v[218:219], v[224:225], v[222:223]
	v_div_fmas_f64 v[218:219], v[218:219], v[220:221], v[224:225]
	v_div_fixup_f64 v[240:241], v[218:219], v[216:217], 1.0
	v_mul_f64 v[238:239], v[214:215], v[240:241]
	v_xor_b32_e32 v241, 0x80000000, v241
.LBB116_322:
	s_andn2_saveexec_b32 s1, s1
	s_cbranch_execz .LBB116_324
; %bb.323:
	v_div_scale_f64 v[214:215], null, v[238:239], v[238:239], v[240:241]
	v_div_scale_f64 v[220:221], vcc_lo, v[240:241], v[238:239], v[240:241]
	v_rcp_f64_e32 v[216:217], v[214:215]
	v_fma_f64 v[218:219], -v[214:215], v[216:217], 1.0
	v_fma_f64 v[216:217], v[216:217], v[218:219], v[216:217]
	v_fma_f64 v[218:219], -v[214:215], v[216:217], 1.0
	v_fma_f64 v[216:217], v[216:217], v[218:219], v[216:217]
	v_mul_f64 v[218:219], v[220:221], v[216:217]
	v_fma_f64 v[214:215], -v[214:215], v[218:219], v[220:221]
	v_div_fmas_f64 v[214:215], v[214:215], v[216:217], v[218:219]
	v_div_fixup_f64 v[214:215], v[214:215], v[238:239], v[240:241]
	v_fma_f64 v[216:217], v[240:241], v[214:215], v[238:239]
	v_div_scale_f64 v[218:219], null, v[216:217], v[216:217], 1.0
	v_rcp_f64_e32 v[220:221], v[218:219]
	v_fma_f64 v[222:223], -v[218:219], v[220:221], 1.0
	v_fma_f64 v[220:221], v[220:221], v[222:223], v[220:221]
	v_fma_f64 v[222:223], -v[218:219], v[220:221], 1.0
	v_fma_f64 v[220:221], v[220:221], v[222:223], v[220:221]
	v_div_scale_f64 v[222:223], vcc_lo, 1.0, v[216:217], 1.0
	v_mul_f64 v[224:225], v[222:223], v[220:221]
	v_fma_f64 v[218:219], -v[218:219], v[224:225], v[222:223]
	v_div_fmas_f64 v[218:219], v[218:219], v[220:221], v[224:225]
	v_div_fixup_f64 v[238:239], v[218:219], v[216:217], 1.0
	v_mul_f64 v[240:241], v[214:215], -v[238:239]
.LBB116_324:
	s_or_b32 exec_lo, exec_lo, s1
.LBB116_325:
	s_or_b32 exec_lo, exec_lo, s0
	s_mov_b32 s0, exec_lo
	v_cmpx_ne_u32_e64 v252, v246
	s_xor_b32 s0, exec_lo, s0
	s_cbranch_execz .LBB116_331
; %bb.326:
	s_mov_b32 s1, exec_lo
	v_cmpx_eq_u32_e32 15, v252
	s_cbranch_execz .LBB116_330
; %bb.327:
	v_cmp_ne_u32_e32 vcc_lo, 15, v246
	s_xor_b32 s7, s16, -1
	s_and_b32 s9, s7, vcc_lo
	s_and_saveexec_b32 s7, s9
	s_cbranch_execz .LBB116_329
; %bb.328:
	s_clause 0x1
	buffer_load_dword v210, off, s[20:23], 0 offset:16
	buffer_load_dword v211, off, s[20:23], 0 offset:20
	v_ashrrev_i32_e32 v247, 31, v246
	v_lshlrev_b64 v[214:215], 2, v[246:247]
	s_waitcnt vmcnt(1)
	v_add_co_u32 v214, vcc_lo, v210, v214
	s_waitcnt vmcnt(0)
	v_add_co_ci_u32_e64 v215, null, v211, v215, vcc_lo
	s_clause 0x1
	global_load_dword v0, v[214:215], off
	global_load_dword v216, v[210:211], off offset:60
	s_waitcnt vmcnt(1)
	global_store_dword v[210:211], v0, off offset:60
	s_waitcnt vmcnt(0)
	global_store_dword v[214:215], v216, off
.LBB116_329:
	s_or_b32 exec_lo, exec_lo, s7
	v_mov_b32_e32 v252, v246
	v_mov_b32_e32 v0, v246
.LBB116_330:
	s_or_b32 exec_lo, exec_lo, s1
.LBB116_331:
	s_andn2_saveexec_b32 s0, s0
	s_cbranch_execz .LBB116_333
; %bb.332:
	v_mov_b32_e32 v252, 15
	ds_write2_b64 v1, v[170:171], v[172:173] offset0:32 offset1:33
	ds_write2_b64 v1, v[166:167], v[168:169] offset0:34 offset1:35
	;; [unrolled: 1-line block ×43, first 2 shown]
.LBB116_333:
	s_or_b32 exec_lo, exec_lo, s0
	s_mov_b32 s0, exec_lo
	s_waitcnt lgkmcnt(0)
	s_waitcnt_vscnt null, 0x0
	s_barrier
	buffer_gl0_inv
	v_cmpx_lt_i32_e32 15, v252
	s_cbranch_execz .LBB116_335
; %bb.334:
	v_mul_f64 v[214:215], v[240:241], v[176:177]
	v_mul_f64 v[176:177], v[238:239], v[176:177]
	v_fma_f64 v[246:247], v[238:239], v[174:175], -v[214:215]
	v_fma_f64 v[176:177], v[240:241], v[174:175], v[176:177]
	ds_read2_b64 v[238:241], v1 offset0:32 offset1:33
	s_waitcnt lgkmcnt(0)
	v_mul_f64 v[174:175], v[240:241], v[176:177]
	v_mul_f64 v[214:215], v[238:239], v[176:177]
	v_fma_f64 v[174:175], v[238:239], v[246:247], -v[174:175]
	v_fma_f64 v[214:215], v[240:241], v[246:247], v[214:215]
	ds_read2_b64 v[238:241], v1 offset0:34 offset1:35
	v_add_f64 v[170:171], v[170:171], -v[174:175]
	v_add_f64 v[172:173], v[172:173], -v[214:215]
	s_waitcnt lgkmcnt(0)
	v_mul_f64 v[174:175], v[240:241], v[176:177]
	v_mul_f64 v[214:215], v[238:239], v[176:177]
	v_fma_f64 v[174:175], v[238:239], v[246:247], -v[174:175]
	v_fma_f64 v[214:215], v[240:241], v[246:247], v[214:215]
	ds_read2_b64 v[238:241], v1 offset0:36 offset1:37
	v_add_f64 v[166:167], v[166:167], -v[174:175]
	v_add_f64 v[168:169], v[168:169], -v[214:215]
	;; [unrolled: 8-line block ×42, first 2 shown]
	s_waitcnt lgkmcnt(0)
	v_mul_f64 v[174:175], v[240:241], v[176:177]
	v_mul_f64 v[214:215], v[238:239], v[176:177]
	v_fma_f64 v[174:175], v[238:239], v[246:247], -v[174:175]
	v_fma_f64 v[214:215], v[240:241], v[246:247], v[214:215]
	v_add_f64 v[226:227], v[226:227], -v[174:175]
	v_add_f64 v[228:229], v[228:229], -v[214:215]
	v_mov_b32_e32 v174, v246
	v_mov_b32_e32 v175, v247
.LBB116_335:
	s_or_b32 exec_lo, exec_lo, s0
	v_lshl_add_u32 v214, v252, 4, v1
	s_barrier
	buffer_gl0_inv
	v_mov_b32_e32 v246, 16
	ds_write2_b64 v214, v[170:171], v[172:173] offset1:1
	s_waitcnt lgkmcnt(0)
	s_barrier
	buffer_gl0_inv
	ds_read2_b64 v[238:241], v1 offset0:32 offset1:33
	s_cmp_lt_i32 s8, 18
	s_cbranch_scc1 .LBB116_338
; %bb.336:
	v_add3_u32 v247, v248, 0, 0x110
	v_mov_b32_e32 v246, 16
	s_mov_b32 s0, 17
	s_inst_prefetch 0x1
	.p2align	6
.LBB116_337:                            ; =>This Inner Loop Header: Depth=1
	s_waitcnt lgkmcnt(0)
	v_cmp_gt_f64_e32 vcc_lo, 0, v[238:239]
	v_xor_b32_e32 v214, 0x80000000, v239
	ds_read2_b64 v[242:245], v247 offset1:1
	v_xor_b32_e32 v216, 0x80000000, v241
	v_add_nc_u32_e32 v247, 16, v247
	s_waitcnt lgkmcnt(0)
	v_xor_b32_e32 v218, 0x80000000, v245
	v_cndmask_b32_e32 v215, v239, v214, vcc_lo
	v_cmp_gt_f64_e32 vcc_lo, 0, v[240:241]
	v_mov_b32_e32 v214, v238
	v_cndmask_b32_e32 v217, v241, v216, vcc_lo
	v_cmp_gt_f64_e32 vcc_lo, 0, v[242:243]
	v_mov_b32_e32 v216, v240
	v_add_f64 v[214:215], v[214:215], v[216:217]
	v_xor_b32_e32 v216, 0x80000000, v243
	v_cndmask_b32_e32 v217, v243, v216, vcc_lo
	v_cmp_gt_f64_e32 vcc_lo, 0, v[244:245]
	v_mov_b32_e32 v216, v242
	v_cndmask_b32_e32 v219, v245, v218, vcc_lo
	v_mov_b32_e32 v218, v244
	v_add_f64 v[216:217], v[216:217], v[218:219]
	v_cmp_lt_f64_e32 vcc_lo, v[214:215], v[216:217]
	v_cndmask_b32_e32 v239, v239, v243, vcc_lo
	v_cndmask_b32_e32 v238, v238, v242, vcc_lo
	;; [unrolled: 1-line block ×4, first 2 shown]
	v_cndmask_b32_e64 v246, v246, s0, vcc_lo
	s_add_i32 s0, s0, 1
	s_cmp_lg_u32 s8, s0
	s_cbranch_scc1 .LBB116_337
.LBB116_338:
	s_inst_prefetch 0x2
	s_waitcnt lgkmcnt(0)
	v_cmp_eq_f64_e32 vcc_lo, 0, v[238:239]
	v_cmp_eq_f64_e64 s0, 0, v[240:241]
	s_and_b32 s0, vcc_lo, s0
	s_and_saveexec_b32 s1, s0
	s_xor_b32 s0, exec_lo, s1
; %bb.339:
	v_cmp_ne_u32_e32 vcc_lo, 0, v251
	v_cndmask_b32_e32 v251, 17, v251, vcc_lo
; %bb.340:
	s_andn2_saveexec_b32 s0, s0
	s_cbranch_execz .LBB116_346
; %bb.341:
	v_cmp_ngt_f64_e64 s1, |v[238:239]|, |v[240:241]|
	s_and_saveexec_b32 s7, s1
	s_xor_b32 s1, exec_lo, s7
	s_cbranch_execz .LBB116_343
; %bb.342:
	v_div_scale_f64 v[214:215], null, v[240:241], v[240:241], v[238:239]
	v_div_scale_f64 v[220:221], vcc_lo, v[238:239], v[240:241], v[238:239]
	v_rcp_f64_e32 v[216:217], v[214:215]
	v_fma_f64 v[218:219], -v[214:215], v[216:217], 1.0
	v_fma_f64 v[216:217], v[216:217], v[218:219], v[216:217]
	v_fma_f64 v[218:219], -v[214:215], v[216:217], 1.0
	v_fma_f64 v[216:217], v[216:217], v[218:219], v[216:217]
	v_mul_f64 v[218:219], v[220:221], v[216:217]
	v_fma_f64 v[214:215], -v[214:215], v[218:219], v[220:221]
	v_div_fmas_f64 v[214:215], v[214:215], v[216:217], v[218:219]
	v_div_fixup_f64 v[214:215], v[214:215], v[240:241], v[238:239]
	v_fma_f64 v[216:217], v[238:239], v[214:215], v[240:241]
	v_div_scale_f64 v[218:219], null, v[216:217], v[216:217], 1.0
	v_rcp_f64_e32 v[220:221], v[218:219]
	v_fma_f64 v[222:223], -v[218:219], v[220:221], 1.0
	v_fma_f64 v[220:221], v[220:221], v[222:223], v[220:221]
	v_fma_f64 v[222:223], -v[218:219], v[220:221], 1.0
	v_fma_f64 v[220:221], v[220:221], v[222:223], v[220:221]
	v_div_scale_f64 v[222:223], vcc_lo, 1.0, v[216:217], 1.0
	v_mul_f64 v[224:225], v[222:223], v[220:221]
	v_fma_f64 v[218:219], -v[218:219], v[224:225], v[222:223]
	v_div_fmas_f64 v[218:219], v[218:219], v[220:221], v[224:225]
	v_div_fixup_f64 v[240:241], v[218:219], v[216:217], 1.0
	v_mul_f64 v[238:239], v[214:215], v[240:241]
	v_xor_b32_e32 v241, 0x80000000, v241
.LBB116_343:
	s_andn2_saveexec_b32 s1, s1
	s_cbranch_execz .LBB116_345
; %bb.344:
	v_div_scale_f64 v[214:215], null, v[238:239], v[238:239], v[240:241]
	v_div_scale_f64 v[220:221], vcc_lo, v[240:241], v[238:239], v[240:241]
	v_rcp_f64_e32 v[216:217], v[214:215]
	v_fma_f64 v[218:219], -v[214:215], v[216:217], 1.0
	v_fma_f64 v[216:217], v[216:217], v[218:219], v[216:217]
	v_fma_f64 v[218:219], -v[214:215], v[216:217], 1.0
	v_fma_f64 v[216:217], v[216:217], v[218:219], v[216:217]
	v_mul_f64 v[218:219], v[220:221], v[216:217]
	v_fma_f64 v[214:215], -v[214:215], v[218:219], v[220:221]
	v_div_fmas_f64 v[214:215], v[214:215], v[216:217], v[218:219]
	v_div_fixup_f64 v[214:215], v[214:215], v[238:239], v[240:241]
	v_fma_f64 v[216:217], v[240:241], v[214:215], v[238:239]
	v_div_scale_f64 v[218:219], null, v[216:217], v[216:217], 1.0
	v_rcp_f64_e32 v[220:221], v[218:219]
	v_fma_f64 v[222:223], -v[218:219], v[220:221], 1.0
	v_fma_f64 v[220:221], v[220:221], v[222:223], v[220:221]
	v_fma_f64 v[222:223], -v[218:219], v[220:221], 1.0
	v_fma_f64 v[220:221], v[220:221], v[222:223], v[220:221]
	v_div_scale_f64 v[222:223], vcc_lo, 1.0, v[216:217], 1.0
	v_mul_f64 v[224:225], v[222:223], v[220:221]
	v_fma_f64 v[218:219], -v[218:219], v[224:225], v[222:223]
	v_div_fmas_f64 v[218:219], v[218:219], v[220:221], v[224:225]
	v_div_fixup_f64 v[238:239], v[218:219], v[216:217], 1.0
	v_mul_f64 v[240:241], v[214:215], -v[238:239]
.LBB116_345:
	s_or_b32 exec_lo, exec_lo, s1
.LBB116_346:
	s_or_b32 exec_lo, exec_lo, s0
	s_mov_b32 s0, exec_lo
	v_cmpx_ne_u32_e64 v252, v246
	s_xor_b32 s0, exec_lo, s0
	s_cbranch_execz .LBB116_352
; %bb.347:
	s_mov_b32 s1, exec_lo
	v_cmpx_eq_u32_e32 16, v252
	s_cbranch_execz .LBB116_351
; %bb.348:
	v_cmp_ne_u32_e32 vcc_lo, 16, v246
	s_xor_b32 s7, s16, -1
	s_and_b32 s9, s7, vcc_lo
	s_and_saveexec_b32 s7, s9
	s_cbranch_execz .LBB116_350
; %bb.349:
	s_clause 0x1
	buffer_load_dword v210, off, s[20:23], 0 offset:16
	buffer_load_dword v211, off, s[20:23], 0 offset:20
	v_ashrrev_i32_e32 v247, 31, v246
	v_lshlrev_b64 v[214:215], 2, v[246:247]
	s_waitcnt vmcnt(1)
	v_add_co_u32 v214, vcc_lo, v210, v214
	s_waitcnt vmcnt(0)
	v_add_co_ci_u32_e64 v215, null, v211, v215, vcc_lo
	s_clause 0x1
	global_load_dword v0, v[214:215], off
	global_load_dword v216, v[210:211], off offset:64
	s_waitcnt vmcnt(1)
	global_store_dword v[210:211], v0, off offset:64
	s_waitcnt vmcnt(0)
	global_store_dword v[214:215], v216, off
.LBB116_350:
	s_or_b32 exec_lo, exec_lo, s7
	v_mov_b32_e32 v252, v246
	v_mov_b32_e32 v0, v246
.LBB116_351:
	s_or_b32 exec_lo, exec_lo, s1
.LBB116_352:
	s_andn2_saveexec_b32 s0, s0
	s_cbranch_execz .LBB116_354
; %bb.353:
	v_mov_b32_e32 v252, 16
	ds_write2_b64 v1, v[166:167], v[168:169] offset0:34 offset1:35
	ds_write2_b64 v1, v[162:163], v[164:165] offset0:36 offset1:37
	ds_write2_b64 v1, v[158:159], v[160:161] offset0:38 offset1:39
	ds_write2_b64 v1, v[154:155], v[156:157] offset0:40 offset1:41
	ds_write2_b64 v1, v[150:151], v[152:153] offset0:42 offset1:43
	ds_write2_b64 v1, v[146:147], v[148:149] offset0:44 offset1:45
	ds_write2_b64 v1, v[142:143], v[144:145] offset0:46 offset1:47
	ds_write2_b64 v1, v[138:139], v[140:141] offset0:48 offset1:49
	ds_write2_b64 v1, v[134:135], v[136:137] offset0:50 offset1:51
	ds_write2_b64 v1, v[130:131], v[132:133] offset0:52 offset1:53
	ds_write2_b64 v1, v[126:127], v[128:129] offset0:54 offset1:55
	ds_write2_b64 v1, v[122:123], v[124:125] offset0:56 offset1:57
	ds_write2_b64 v1, v[118:119], v[120:121] offset0:58 offset1:59
	ds_write2_b64 v1, v[114:115], v[116:117] offset0:60 offset1:61
	ds_write2_b64 v1, v[110:111], v[112:113] offset0:62 offset1:63
	ds_write2_b64 v1, v[106:107], v[108:109] offset0:64 offset1:65
	ds_write2_b64 v1, v[102:103], v[104:105] offset0:66 offset1:67
	ds_write2_b64 v1, v[98:99], v[100:101] offset0:68 offset1:69
	ds_write2_b64 v1, v[94:95], v[96:97] offset0:70 offset1:71
	ds_write2_b64 v1, v[90:91], v[92:93] offset0:72 offset1:73
	ds_write2_b64 v1, v[86:87], v[88:89] offset0:74 offset1:75
	ds_write2_b64 v1, v[82:83], v[84:85] offset0:76 offset1:77
	ds_write2_b64 v1, v[78:79], v[80:81] offset0:78 offset1:79
	ds_write2_b64 v1, v[74:75], v[76:77] offset0:80 offset1:81
	ds_write2_b64 v1, v[70:71], v[72:73] offset0:82 offset1:83
	ds_write2_b64 v1, v[66:67], v[68:69] offset0:84 offset1:85
	ds_write2_b64 v1, v[62:63], v[64:65] offset0:86 offset1:87
	ds_write2_b64 v1, v[58:59], v[60:61] offset0:88 offset1:89
	ds_write2_b64 v1, v[54:55], v[56:57] offset0:90 offset1:91
	ds_write2_b64 v1, v[50:51], v[52:53] offset0:92 offset1:93
	ds_write2_b64 v1, v[46:47], v[48:49] offset0:94 offset1:95
	ds_write2_b64 v1, v[42:43], v[44:45] offset0:96 offset1:97
	ds_write2_b64 v1, v[38:39], v[40:41] offset0:98 offset1:99
	ds_write2_b64 v1, v[34:35], v[36:37] offset0:100 offset1:101
	ds_write2_b64 v1, v[30:31], v[32:33] offset0:102 offset1:103
	ds_write2_b64 v1, v[26:27], v[28:29] offset0:104 offset1:105
	ds_write2_b64 v1, v[22:23], v[24:25] offset0:106 offset1:107
	ds_write2_b64 v1, v[18:19], v[20:21] offset0:108 offset1:109
	ds_write2_b64 v1, v[14:15], v[16:17] offset0:110 offset1:111
	ds_write2_b64 v1, v[232:233], v[234:235] offset0:112 offset1:113
	ds_write2_b64 v1, v[6:7], v[8:9] offset0:114 offset1:115
	ds_write2_b64 v1, v[226:227], v[228:229] offset0:116 offset1:117
.LBB116_354:
	s_or_b32 exec_lo, exec_lo, s0
	s_mov_b32 s0, exec_lo
	s_waitcnt lgkmcnt(0)
	s_waitcnt_vscnt null, 0x0
	s_barrier
	buffer_gl0_inv
	v_cmpx_lt_i32_e32 16, v252
	s_cbranch_execz .LBB116_356
; %bb.355:
	v_mul_f64 v[214:215], v[240:241], v[172:173]
	v_mul_f64 v[172:173], v[238:239], v[172:173]
	v_fma_f64 v[246:247], v[238:239], v[170:171], -v[214:215]
	v_fma_f64 v[172:173], v[240:241], v[170:171], v[172:173]
	ds_read2_b64 v[238:241], v1 offset0:34 offset1:35
	s_waitcnt lgkmcnt(0)
	v_mul_f64 v[170:171], v[240:241], v[172:173]
	v_mul_f64 v[214:215], v[238:239], v[172:173]
	v_fma_f64 v[170:171], v[238:239], v[246:247], -v[170:171]
	v_fma_f64 v[214:215], v[240:241], v[246:247], v[214:215]
	ds_read2_b64 v[238:241], v1 offset0:36 offset1:37
	v_add_f64 v[166:167], v[166:167], -v[170:171]
	v_add_f64 v[168:169], v[168:169], -v[214:215]
	s_waitcnt lgkmcnt(0)
	v_mul_f64 v[170:171], v[240:241], v[172:173]
	v_mul_f64 v[214:215], v[238:239], v[172:173]
	v_fma_f64 v[170:171], v[238:239], v[246:247], -v[170:171]
	v_fma_f64 v[214:215], v[240:241], v[246:247], v[214:215]
	ds_read2_b64 v[238:241], v1 offset0:38 offset1:39
	v_add_f64 v[162:163], v[162:163], -v[170:171]
	v_add_f64 v[164:165], v[164:165], -v[214:215]
	s_waitcnt lgkmcnt(0)
	v_mul_f64 v[170:171], v[240:241], v[172:173]
	v_mul_f64 v[214:215], v[238:239], v[172:173]
	v_fma_f64 v[170:171], v[238:239], v[246:247], -v[170:171]
	v_fma_f64 v[214:215], v[240:241], v[246:247], v[214:215]
	ds_read2_b64 v[238:241], v1 offset0:40 offset1:41
	v_add_f64 v[158:159], v[158:159], -v[170:171]
	v_add_f64 v[160:161], v[160:161], -v[214:215]
	s_waitcnt lgkmcnt(0)
	v_mul_f64 v[170:171], v[240:241], v[172:173]
	v_mul_f64 v[214:215], v[238:239], v[172:173]
	v_fma_f64 v[170:171], v[238:239], v[246:247], -v[170:171]
	v_fma_f64 v[214:215], v[240:241], v[246:247], v[214:215]
	ds_read2_b64 v[238:241], v1 offset0:42 offset1:43
	v_add_f64 v[154:155], v[154:155], -v[170:171]
	v_add_f64 v[156:157], v[156:157], -v[214:215]
	s_waitcnt lgkmcnt(0)
	v_mul_f64 v[170:171], v[240:241], v[172:173]
	v_mul_f64 v[214:215], v[238:239], v[172:173]
	v_fma_f64 v[170:171], v[238:239], v[246:247], -v[170:171]
	v_fma_f64 v[214:215], v[240:241], v[246:247], v[214:215]
	ds_read2_b64 v[238:241], v1 offset0:44 offset1:45
	v_add_f64 v[150:151], v[150:151], -v[170:171]
	v_add_f64 v[152:153], v[152:153], -v[214:215]
	s_waitcnt lgkmcnt(0)
	v_mul_f64 v[170:171], v[240:241], v[172:173]
	v_mul_f64 v[214:215], v[238:239], v[172:173]
	v_fma_f64 v[170:171], v[238:239], v[246:247], -v[170:171]
	v_fma_f64 v[214:215], v[240:241], v[246:247], v[214:215]
	ds_read2_b64 v[238:241], v1 offset0:46 offset1:47
	v_add_f64 v[146:147], v[146:147], -v[170:171]
	v_add_f64 v[148:149], v[148:149], -v[214:215]
	s_waitcnt lgkmcnt(0)
	v_mul_f64 v[170:171], v[240:241], v[172:173]
	v_mul_f64 v[214:215], v[238:239], v[172:173]
	v_fma_f64 v[170:171], v[238:239], v[246:247], -v[170:171]
	v_fma_f64 v[214:215], v[240:241], v[246:247], v[214:215]
	ds_read2_b64 v[238:241], v1 offset0:48 offset1:49
	v_add_f64 v[142:143], v[142:143], -v[170:171]
	v_add_f64 v[144:145], v[144:145], -v[214:215]
	s_waitcnt lgkmcnt(0)
	v_mul_f64 v[170:171], v[240:241], v[172:173]
	v_mul_f64 v[214:215], v[238:239], v[172:173]
	v_fma_f64 v[170:171], v[238:239], v[246:247], -v[170:171]
	v_fma_f64 v[214:215], v[240:241], v[246:247], v[214:215]
	ds_read2_b64 v[238:241], v1 offset0:50 offset1:51
	v_add_f64 v[138:139], v[138:139], -v[170:171]
	v_add_f64 v[140:141], v[140:141], -v[214:215]
	s_waitcnt lgkmcnt(0)
	v_mul_f64 v[170:171], v[240:241], v[172:173]
	v_mul_f64 v[214:215], v[238:239], v[172:173]
	v_fma_f64 v[170:171], v[238:239], v[246:247], -v[170:171]
	v_fma_f64 v[214:215], v[240:241], v[246:247], v[214:215]
	ds_read2_b64 v[238:241], v1 offset0:52 offset1:53
	v_add_f64 v[134:135], v[134:135], -v[170:171]
	v_add_f64 v[136:137], v[136:137], -v[214:215]
	s_waitcnt lgkmcnt(0)
	v_mul_f64 v[170:171], v[240:241], v[172:173]
	v_mul_f64 v[214:215], v[238:239], v[172:173]
	v_fma_f64 v[170:171], v[238:239], v[246:247], -v[170:171]
	v_fma_f64 v[214:215], v[240:241], v[246:247], v[214:215]
	ds_read2_b64 v[238:241], v1 offset0:54 offset1:55
	v_add_f64 v[130:131], v[130:131], -v[170:171]
	v_add_f64 v[132:133], v[132:133], -v[214:215]
	s_waitcnt lgkmcnt(0)
	v_mul_f64 v[170:171], v[240:241], v[172:173]
	v_mul_f64 v[214:215], v[238:239], v[172:173]
	v_fma_f64 v[170:171], v[238:239], v[246:247], -v[170:171]
	v_fma_f64 v[214:215], v[240:241], v[246:247], v[214:215]
	ds_read2_b64 v[238:241], v1 offset0:56 offset1:57
	v_add_f64 v[126:127], v[126:127], -v[170:171]
	v_add_f64 v[128:129], v[128:129], -v[214:215]
	s_waitcnt lgkmcnt(0)
	v_mul_f64 v[170:171], v[240:241], v[172:173]
	v_mul_f64 v[214:215], v[238:239], v[172:173]
	v_fma_f64 v[170:171], v[238:239], v[246:247], -v[170:171]
	v_fma_f64 v[214:215], v[240:241], v[246:247], v[214:215]
	ds_read2_b64 v[238:241], v1 offset0:58 offset1:59
	v_add_f64 v[122:123], v[122:123], -v[170:171]
	v_add_f64 v[124:125], v[124:125], -v[214:215]
	s_waitcnt lgkmcnt(0)
	v_mul_f64 v[170:171], v[240:241], v[172:173]
	v_mul_f64 v[214:215], v[238:239], v[172:173]
	v_fma_f64 v[170:171], v[238:239], v[246:247], -v[170:171]
	v_fma_f64 v[214:215], v[240:241], v[246:247], v[214:215]
	ds_read2_b64 v[238:241], v1 offset0:60 offset1:61
	v_add_f64 v[118:119], v[118:119], -v[170:171]
	v_add_f64 v[120:121], v[120:121], -v[214:215]
	s_waitcnt lgkmcnt(0)
	v_mul_f64 v[170:171], v[240:241], v[172:173]
	v_mul_f64 v[214:215], v[238:239], v[172:173]
	v_fma_f64 v[170:171], v[238:239], v[246:247], -v[170:171]
	v_fma_f64 v[214:215], v[240:241], v[246:247], v[214:215]
	ds_read2_b64 v[238:241], v1 offset0:62 offset1:63
	v_add_f64 v[114:115], v[114:115], -v[170:171]
	v_add_f64 v[116:117], v[116:117], -v[214:215]
	s_waitcnt lgkmcnt(0)
	v_mul_f64 v[170:171], v[240:241], v[172:173]
	v_mul_f64 v[214:215], v[238:239], v[172:173]
	v_fma_f64 v[170:171], v[238:239], v[246:247], -v[170:171]
	v_fma_f64 v[214:215], v[240:241], v[246:247], v[214:215]
	ds_read2_b64 v[238:241], v1 offset0:64 offset1:65
	v_add_f64 v[110:111], v[110:111], -v[170:171]
	v_add_f64 v[112:113], v[112:113], -v[214:215]
	s_waitcnt lgkmcnt(0)
	v_mul_f64 v[170:171], v[240:241], v[172:173]
	v_mul_f64 v[214:215], v[238:239], v[172:173]
	v_fma_f64 v[170:171], v[238:239], v[246:247], -v[170:171]
	v_fma_f64 v[214:215], v[240:241], v[246:247], v[214:215]
	ds_read2_b64 v[238:241], v1 offset0:66 offset1:67
	v_add_f64 v[106:107], v[106:107], -v[170:171]
	v_add_f64 v[108:109], v[108:109], -v[214:215]
	s_waitcnt lgkmcnt(0)
	v_mul_f64 v[170:171], v[240:241], v[172:173]
	v_mul_f64 v[214:215], v[238:239], v[172:173]
	v_fma_f64 v[170:171], v[238:239], v[246:247], -v[170:171]
	v_fma_f64 v[214:215], v[240:241], v[246:247], v[214:215]
	ds_read2_b64 v[238:241], v1 offset0:68 offset1:69
	v_add_f64 v[102:103], v[102:103], -v[170:171]
	v_add_f64 v[104:105], v[104:105], -v[214:215]
	s_waitcnt lgkmcnt(0)
	v_mul_f64 v[170:171], v[240:241], v[172:173]
	v_mul_f64 v[214:215], v[238:239], v[172:173]
	v_fma_f64 v[170:171], v[238:239], v[246:247], -v[170:171]
	v_fma_f64 v[214:215], v[240:241], v[246:247], v[214:215]
	ds_read2_b64 v[238:241], v1 offset0:70 offset1:71
	v_add_f64 v[98:99], v[98:99], -v[170:171]
	v_add_f64 v[100:101], v[100:101], -v[214:215]
	s_waitcnt lgkmcnt(0)
	v_mul_f64 v[170:171], v[240:241], v[172:173]
	v_mul_f64 v[214:215], v[238:239], v[172:173]
	v_fma_f64 v[170:171], v[238:239], v[246:247], -v[170:171]
	v_fma_f64 v[214:215], v[240:241], v[246:247], v[214:215]
	ds_read2_b64 v[238:241], v1 offset0:72 offset1:73
	v_add_f64 v[94:95], v[94:95], -v[170:171]
	v_add_f64 v[96:97], v[96:97], -v[214:215]
	s_waitcnt lgkmcnt(0)
	v_mul_f64 v[170:171], v[240:241], v[172:173]
	v_mul_f64 v[214:215], v[238:239], v[172:173]
	v_fma_f64 v[170:171], v[238:239], v[246:247], -v[170:171]
	v_fma_f64 v[214:215], v[240:241], v[246:247], v[214:215]
	ds_read2_b64 v[238:241], v1 offset0:74 offset1:75
	v_add_f64 v[90:91], v[90:91], -v[170:171]
	v_add_f64 v[92:93], v[92:93], -v[214:215]
	s_waitcnt lgkmcnt(0)
	v_mul_f64 v[170:171], v[240:241], v[172:173]
	v_mul_f64 v[214:215], v[238:239], v[172:173]
	v_fma_f64 v[170:171], v[238:239], v[246:247], -v[170:171]
	v_fma_f64 v[214:215], v[240:241], v[246:247], v[214:215]
	ds_read2_b64 v[238:241], v1 offset0:76 offset1:77
	v_add_f64 v[86:87], v[86:87], -v[170:171]
	v_add_f64 v[88:89], v[88:89], -v[214:215]
	s_waitcnt lgkmcnt(0)
	v_mul_f64 v[170:171], v[240:241], v[172:173]
	v_mul_f64 v[214:215], v[238:239], v[172:173]
	v_fma_f64 v[170:171], v[238:239], v[246:247], -v[170:171]
	v_fma_f64 v[214:215], v[240:241], v[246:247], v[214:215]
	ds_read2_b64 v[238:241], v1 offset0:78 offset1:79
	v_add_f64 v[82:83], v[82:83], -v[170:171]
	v_add_f64 v[84:85], v[84:85], -v[214:215]
	s_waitcnt lgkmcnt(0)
	v_mul_f64 v[170:171], v[240:241], v[172:173]
	v_mul_f64 v[214:215], v[238:239], v[172:173]
	v_fma_f64 v[170:171], v[238:239], v[246:247], -v[170:171]
	v_fma_f64 v[214:215], v[240:241], v[246:247], v[214:215]
	ds_read2_b64 v[238:241], v1 offset0:80 offset1:81
	v_add_f64 v[78:79], v[78:79], -v[170:171]
	v_add_f64 v[80:81], v[80:81], -v[214:215]
	s_waitcnt lgkmcnt(0)
	v_mul_f64 v[170:171], v[240:241], v[172:173]
	v_mul_f64 v[214:215], v[238:239], v[172:173]
	v_fma_f64 v[170:171], v[238:239], v[246:247], -v[170:171]
	v_fma_f64 v[214:215], v[240:241], v[246:247], v[214:215]
	ds_read2_b64 v[238:241], v1 offset0:82 offset1:83
	v_add_f64 v[74:75], v[74:75], -v[170:171]
	v_add_f64 v[76:77], v[76:77], -v[214:215]
	s_waitcnt lgkmcnt(0)
	v_mul_f64 v[170:171], v[240:241], v[172:173]
	v_mul_f64 v[214:215], v[238:239], v[172:173]
	v_fma_f64 v[170:171], v[238:239], v[246:247], -v[170:171]
	v_fma_f64 v[214:215], v[240:241], v[246:247], v[214:215]
	ds_read2_b64 v[238:241], v1 offset0:84 offset1:85
	v_add_f64 v[70:71], v[70:71], -v[170:171]
	v_add_f64 v[72:73], v[72:73], -v[214:215]
	s_waitcnt lgkmcnt(0)
	v_mul_f64 v[170:171], v[240:241], v[172:173]
	v_mul_f64 v[214:215], v[238:239], v[172:173]
	v_fma_f64 v[170:171], v[238:239], v[246:247], -v[170:171]
	v_fma_f64 v[214:215], v[240:241], v[246:247], v[214:215]
	ds_read2_b64 v[238:241], v1 offset0:86 offset1:87
	v_add_f64 v[66:67], v[66:67], -v[170:171]
	v_add_f64 v[68:69], v[68:69], -v[214:215]
	s_waitcnt lgkmcnt(0)
	v_mul_f64 v[170:171], v[240:241], v[172:173]
	v_mul_f64 v[214:215], v[238:239], v[172:173]
	v_fma_f64 v[170:171], v[238:239], v[246:247], -v[170:171]
	v_fma_f64 v[214:215], v[240:241], v[246:247], v[214:215]
	ds_read2_b64 v[238:241], v1 offset0:88 offset1:89
	v_add_f64 v[62:63], v[62:63], -v[170:171]
	v_add_f64 v[64:65], v[64:65], -v[214:215]
	s_waitcnt lgkmcnt(0)
	v_mul_f64 v[170:171], v[240:241], v[172:173]
	v_mul_f64 v[214:215], v[238:239], v[172:173]
	v_fma_f64 v[170:171], v[238:239], v[246:247], -v[170:171]
	v_fma_f64 v[214:215], v[240:241], v[246:247], v[214:215]
	ds_read2_b64 v[238:241], v1 offset0:90 offset1:91
	v_add_f64 v[58:59], v[58:59], -v[170:171]
	v_add_f64 v[60:61], v[60:61], -v[214:215]
	s_waitcnt lgkmcnt(0)
	v_mul_f64 v[170:171], v[240:241], v[172:173]
	v_mul_f64 v[214:215], v[238:239], v[172:173]
	v_fma_f64 v[170:171], v[238:239], v[246:247], -v[170:171]
	v_fma_f64 v[214:215], v[240:241], v[246:247], v[214:215]
	ds_read2_b64 v[238:241], v1 offset0:92 offset1:93
	v_add_f64 v[54:55], v[54:55], -v[170:171]
	v_add_f64 v[56:57], v[56:57], -v[214:215]
	s_waitcnt lgkmcnt(0)
	v_mul_f64 v[170:171], v[240:241], v[172:173]
	v_mul_f64 v[214:215], v[238:239], v[172:173]
	v_fma_f64 v[170:171], v[238:239], v[246:247], -v[170:171]
	v_fma_f64 v[214:215], v[240:241], v[246:247], v[214:215]
	ds_read2_b64 v[238:241], v1 offset0:94 offset1:95
	v_add_f64 v[50:51], v[50:51], -v[170:171]
	v_add_f64 v[52:53], v[52:53], -v[214:215]
	s_waitcnt lgkmcnt(0)
	v_mul_f64 v[170:171], v[240:241], v[172:173]
	v_mul_f64 v[214:215], v[238:239], v[172:173]
	v_fma_f64 v[170:171], v[238:239], v[246:247], -v[170:171]
	v_fma_f64 v[214:215], v[240:241], v[246:247], v[214:215]
	ds_read2_b64 v[238:241], v1 offset0:96 offset1:97
	v_add_f64 v[46:47], v[46:47], -v[170:171]
	v_add_f64 v[48:49], v[48:49], -v[214:215]
	s_waitcnt lgkmcnt(0)
	v_mul_f64 v[170:171], v[240:241], v[172:173]
	v_mul_f64 v[214:215], v[238:239], v[172:173]
	v_fma_f64 v[170:171], v[238:239], v[246:247], -v[170:171]
	v_fma_f64 v[214:215], v[240:241], v[246:247], v[214:215]
	ds_read2_b64 v[238:241], v1 offset0:98 offset1:99
	v_add_f64 v[42:43], v[42:43], -v[170:171]
	v_add_f64 v[44:45], v[44:45], -v[214:215]
	s_waitcnt lgkmcnt(0)
	v_mul_f64 v[170:171], v[240:241], v[172:173]
	v_mul_f64 v[214:215], v[238:239], v[172:173]
	v_fma_f64 v[170:171], v[238:239], v[246:247], -v[170:171]
	v_fma_f64 v[214:215], v[240:241], v[246:247], v[214:215]
	ds_read2_b64 v[238:241], v1 offset0:100 offset1:101
	v_add_f64 v[38:39], v[38:39], -v[170:171]
	v_add_f64 v[40:41], v[40:41], -v[214:215]
	s_waitcnt lgkmcnt(0)
	v_mul_f64 v[170:171], v[240:241], v[172:173]
	v_mul_f64 v[214:215], v[238:239], v[172:173]
	v_fma_f64 v[170:171], v[238:239], v[246:247], -v[170:171]
	v_fma_f64 v[214:215], v[240:241], v[246:247], v[214:215]
	ds_read2_b64 v[238:241], v1 offset0:102 offset1:103
	v_add_f64 v[34:35], v[34:35], -v[170:171]
	v_add_f64 v[36:37], v[36:37], -v[214:215]
	s_waitcnt lgkmcnt(0)
	v_mul_f64 v[170:171], v[240:241], v[172:173]
	v_mul_f64 v[214:215], v[238:239], v[172:173]
	v_fma_f64 v[170:171], v[238:239], v[246:247], -v[170:171]
	v_fma_f64 v[214:215], v[240:241], v[246:247], v[214:215]
	ds_read2_b64 v[238:241], v1 offset0:104 offset1:105
	v_add_f64 v[30:31], v[30:31], -v[170:171]
	v_add_f64 v[32:33], v[32:33], -v[214:215]
	s_waitcnt lgkmcnt(0)
	v_mul_f64 v[170:171], v[240:241], v[172:173]
	v_mul_f64 v[214:215], v[238:239], v[172:173]
	v_fma_f64 v[170:171], v[238:239], v[246:247], -v[170:171]
	v_fma_f64 v[214:215], v[240:241], v[246:247], v[214:215]
	ds_read2_b64 v[238:241], v1 offset0:106 offset1:107
	v_add_f64 v[26:27], v[26:27], -v[170:171]
	v_add_f64 v[28:29], v[28:29], -v[214:215]
	s_waitcnt lgkmcnt(0)
	v_mul_f64 v[170:171], v[240:241], v[172:173]
	v_mul_f64 v[214:215], v[238:239], v[172:173]
	v_fma_f64 v[170:171], v[238:239], v[246:247], -v[170:171]
	v_fma_f64 v[214:215], v[240:241], v[246:247], v[214:215]
	ds_read2_b64 v[238:241], v1 offset0:108 offset1:109
	v_add_f64 v[22:23], v[22:23], -v[170:171]
	v_add_f64 v[24:25], v[24:25], -v[214:215]
	s_waitcnt lgkmcnt(0)
	v_mul_f64 v[170:171], v[240:241], v[172:173]
	v_mul_f64 v[214:215], v[238:239], v[172:173]
	v_fma_f64 v[170:171], v[238:239], v[246:247], -v[170:171]
	v_fma_f64 v[214:215], v[240:241], v[246:247], v[214:215]
	ds_read2_b64 v[238:241], v1 offset0:110 offset1:111
	v_add_f64 v[18:19], v[18:19], -v[170:171]
	v_add_f64 v[20:21], v[20:21], -v[214:215]
	s_waitcnt lgkmcnt(0)
	v_mul_f64 v[170:171], v[240:241], v[172:173]
	v_mul_f64 v[214:215], v[238:239], v[172:173]
	v_fma_f64 v[170:171], v[238:239], v[246:247], -v[170:171]
	v_fma_f64 v[214:215], v[240:241], v[246:247], v[214:215]
	ds_read2_b64 v[238:241], v1 offset0:112 offset1:113
	v_add_f64 v[14:15], v[14:15], -v[170:171]
	v_add_f64 v[16:17], v[16:17], -v[214:215]
	s_waitcnt lgkmcnt(0)
	v_mul_f64 v[170:171], v[240:241], v[172:173]
	v_mul_f64 v[214:215], v[238:239], v[172:173]
	v_fma_f64 v[170:171], v[238:239], v[246:247], -v[170:171]
	v_fma_f64 v[214:215], v[240:241], v[246:247], v[214:215]
	ds_read2_b64 v[238:241], v1 offset0:114 offset1:115
	v_add_f64 v[232:233], v[232:233], -v[170:171]
	v_add_f64 v[234:235], v[234:235], -v[214:215]
	s_waitcnt lgkmcnt(0)
	v_mul_f64 v[170:171], v[240:241], v[172:173]
	v_mul_f64 v[214:215], v[238:239], v[172:173]
	v_fma_f64 v[170:171], v[238:239], v[246:247], -v[170:171]
	v_fma_f64 v[214:215], v[240:241], v[246:247], v[214:215]
	ds_read2_b64 v[238:241], v1 offset0:116 offset1:117
	v_add_f64 v[6:7], v[6:7], -v[170:171]
	v_add_f64 v[8:9], v[8:9], -v[214:215]
	s_waitcnt lgkmcnt(0)
	v_mul_f64 v[170:171], v[240:241], v[172:173]
	v_mul_f64 v[214:215], v[238:239], v[172:173]
	v_fma_f64 v[170:171], v[238:239], v[246:247], -v[170:171]
	v_fma_f64 v[214:215], v[240:241], v[246:247], v[214:215]
	v_add_f64 v[226:227], v[226:227], -v[170:171]
	v_add_f64 v[228:229], v[228:229], -v[214:215]
	v_mov_b32_e32 v170, v246
	v_mov_b32_e32 v171, v247
.LBB116_356:
	s_or_b32 exec_lo, exec_lo, s0
	v_lshl_add_u32 v214, v252, 4, v1
	s_barrier
	buffer_gl0_inv
	v_mov_b32_e32 v246, 17
	ds_write2_b64 v214, v[166:167], v[168:169] offset1:1
	s_waitcnt lgkmcnt(0)
	s_barrier
	buffer_gl0_inv
	ds_read2_b64 v[238:241], v1 offset0:34 offset1:35
	s_cmp_lt_i32 s8, 19
	s_cbranch_scc1 .LBB116_359
; %bb.357:
	v_add3_u32 v247, v248, 0, 0x120
	v_mov_b32_e32 v246, 17
	s_mov_b32 s0, 18
	s_inst_prefetch 0x1
	.p2align	6
.LBB116_358:                            ; =>This Inner Loop Header: Depth=1
	s_waitcnt lgkmcnt(0)
	v_cmp_gt_f64_e32 vcc_lo, 0, v[238:239]
	v_xor_b32_e32 v214, 0x80000000, v239
	ds_read2_b64 v[242:245], v247 offset1:1
	v_xor_b32_e32 v216, 0x80000000, v241
	v_add_nc_u32_e32 v247, 16, v247
	s_waitcnt lgkmcnt(0)
	v_xor_b32_e32 v218, 0x80000000, v245
	v_cndmask_b32_e32 v215, v239, v214, vcc_lo
	v_cmp_gt_f64_e32 vcc_lo, 0, v[240:241]
	v_mov_b32_e32 v214, v238
	v_cndmask_b32_e32 v217, v241, v216, vcc_lo
	v_cmp_gt_f64_e32 vcc_lo, 0, v[242:243]
	v_mov_b32_e32 v216, v240
	v_add_f64 v[214:215], v[214:215], v[216:217]
	v_xor_b32_e32 v216, 0x80000000, v243
	v_cndmask_b32_e32 v217, v243, v216, vcc_lo
	v_cmp_gt_f64_e32 vcc_lo, 0, v[244:245]
	v_mov_b32_e32 v216, v242
	v_cndmask_b32_e32 v219, v245, v218, vcc_lo
	v_mov_b32_e32 v218, v244
	v_add_f64 v[216:217], v[216:217], v[218:219]
	v_cmp_lt_f64_e32 vcc_lo, v[214:215], v[216:217]
	v_cndmask_b32_e32 v239, v239, v243, vcc_lo
	v_cndmask_b32_e32 v238, v238, v242, vcc_lo
	;; [unrolled: 1-line block ×4, first 2 shown]
	v_cndmask_b32_e64 v246, v246, s0, vcc_lo
	s_add_i32 s0, s0, 1
	s_cmp_lg_u32 s8, s0
	s_cbranch_scc1 .LBB116_358
.LBB116_359:
	s_inst_prefetch 0x2
	s_waitcnt lgkmcnt(0)
	v_cmp_eq_f64_e32 vcc_lo, 0, v[238:239]
	v_cmp_eq_f64_e64 s0, 0, v[240:241]
	s_and_b32 s0, vcc_lo, s0
	s_and_saveexec_b32 s1, s0
	s_xor_b32 s0, exec_lo, s1
; %bb.360:
	v_cmp_ne_u32_e32 vcc_lo, 0, v251
	v_cndmask_b32_e32 v251, 18, v251, vcc_lo
; %bb.361:
	s_andn2_saveexec_b32 s0, s0
	s_cbranch_execz .LBB116_367
; %bb.362:
	v_cmp_ngt_f64_e64 s1, |v[238:239]|, |v[240:241]|
	s_and_saveexec_b32 s7, s1
	s_xor_b32 s1, exec_lo, s7
	s_cbranch_execz .LBB116_364
; %bb.363:
	v_div_scale_f64 v[214:215], null, v[240:241], v[240:241], v[238:239]
	v_div_scale_f64 v[220:221], vcc_lo, v[238:239], v[240:241], v[238:239]
	v_rcp_f64_e32 v[216:217], v[214:215]
	v_fma_f64 v[218:219], -v[214:215], v[216:217], 1.0
	v_fma_f64 v[216:217], v[216:217], v[218:219], v[216:217]
	v_fma_f64 v[218:219], -v[214:215], v[216:217], 1.0
	v_fma_f64 v[216:217], v[216:217], v[218:219], v[216:217]
	v_mul_f64 v[218:219], v[220:221], v[216:217]
	v_fma_f64 v[214:215], -v[214:215], v[218:219], v[220:221]
	v_div_fmas_f64 v[214:215], v[214:215], v[216:217], v[218:219]
	v_div_fixup_f64 v[214:215], v[214:215], v[240:241], v[238:239]
	v_fma_f64 v[216:217], v[238:239], v[214:215], v[240:241]
	v_div_scale_f64 v[218:219], null, v[216:217], v[216:217], 1.0
	v_rcp_f64_e32 v[220:221], v[218:219]
	v_fma_f64 v[222:223], -v[218:219], v[220:221], 1.0
	v_fma_f64 v[220:221], v[220:221], v[222:223], v[220:221]
	v_fma_f64 v[222:223], -v[218:219], v[220:221], 1.0
	v_fma_f64 v[220:221], v[220:221], v[222:223], v[220:221]
	v_div_scale_f64 v[222:223], vcc_lo, 1.0, v[216:217], 1.0
	v_mul_f64 v[224:225], v[222:223], v[220:221]
	v_fma_f64 v[218:219], -v[218:219], v[224:225], v[222:223]
	v_div_fmas_f64 v[218:219], v[218:219], v[220:221], v[224:225]
	v_div_fixup_f64 v[240:241], v[218:219], v[216:217], 1.0
	v_mul_f64 v[238:239], v[214:215], v[240:241]
	v_xor_b32_e32 v241, 0x80000000, v241
.LBB116_364:
	s_andn2_saveexec_b32 s1, s1
	s_cbranch_execz .LBB116_366
; %bb.365:
	v_div_scale_f64 v[214:215], null, v[238:239], v[238:239], v[240:241]
	v_div_scale_f64 v[220:221], vcc_lo, v[240:241], v[238:239], v[240:241]
	v_rcp_f64_e32 v[216:217], v[214:215]
	v_fma_f64 v[218:219], -v[214:215], v[216:217], 1.0
	v_fma_f64 v[216:217], v[216:217], v[218:219], v[216:217]
	v_fma_f64 v[218:219], -v[214:215], v[216:217], 1.0
	v_fma_f64 v[216:217], v[216:217], v[218:219], v[216:217]
	v_mul_f64 v[218:219], v[220:221], v[216:217]
	v_fma_f64 v[214:215], -v[214:215], v[218:219], v[220:221]
	v_div_fmas_f64 v[214:215], v[214:215], v[216:217], v[218:219]
	v_div_fixup_f64 v[214:215], v[214:215], v[238:239], v[240:241]
	v_fma_f64 v[216:217], v[240:241], v[214:215], v[238:239]
	v_div_scale_f64 v[218:219], null, v[216:217], v[216:217], 1.0
	v_rcp_f64_e32 v[220:221], v[218:219]
	v_fma_f64 v[222:223], -v[218:219], v[220:221], 1.0
	v_fma_f64 v[220:221], v[220:221], v[222:223], v[220:221]
	v_fma_f64 v[222:223], -v[218:219], v[220:221], 1.0
	v_fma_f64 v[220:221], v[220:221], v[222:223], v[220:221]
	v_div_scale_f64 v[222:223], vcc_lo, 1.0, v[216:217], 1.0
	v_mul_f64 v[224:225], v[222:223], v[220:221]
	v_fma_f64 v[218:219], -v[218:219], v[224:225], v[222:223]
	v_div_fmas_f64 v[218:219], v[218:219], v[220:221], v[224:225]
	v_div_fixup_f64 v[238:239], v[218:219], v[216:217], 1.0
	v_mul_f64 v[240:241], v[214:215], -v[238:239]
.LBB116_366:
	s_or_b32 exec_lo, exec_lo, s1
.LBB116_367:
	s_or_b32 exec_lo, exec_lo, s0
	s_mov_b32 s0, exec_lo
	v_cmpx_ne_u32_e64 v252, v246
	s_xor_b32 s0, exec_lo, s0
	s_cbranch_execz .LBB116_373
; %bb.368:
	s_mov_b32 s1, exec_lo
	v_cmpx_eq_u32_e32 17, v252
	s_cbranch_execz .LBB116_372
; %bb.369:
	v_cmp_ne_u32_e32 vcc_lo, 17, v246
	s_xor_b32 s7, s16, -1
	s_and_b32 s9, s7, vcc_lo
	s_and_saveexec_b32 s7, s9
	s_cbranch_execz .LBB116_371
; %bb.370:
	s_clause 0x1
	buffer_load_dword v210, off, s[20:23], 0 offset:16
	buffer_load_dword v211, off, s[20:23], 0 offset:20
	v_ashrrev_i32_e32 v247, 31, v246
	v_lshlrev_b64 v[214:215], 2, v[246:247]
	s_waitcnt vmcnt(1)
	v_add_co_u32 v214, vcc_lo, v210, v214
	s_waitcnt vmcnt(0)
	v_add_co_ci_u32_e64 v215, null, v211, v215, vcc_lo
	s_clause 0x1
	global_load_dword v0, v[214:215], off
	global_load_dword v216, v[210:211], off offset:68
	s_waitcnt vmcnt(1)
	global_store_dword v[210:211], v0, off offset:68
	s_waitcnt vmcnt(0)
	global_store_dword v[214:215], v216, off
.LBB116_371:
	s_or_b32 exec_lo, exec_lo, s7
	v_mov_b32_e32 v252, v246
	v_mov_b32_e32 v0, v246
.LBB116_372:
	s_or_b32 exec_lo, exec_lo, s1
.LBB116_373:
	s_andn2_saveexec_b32 s0, s0
	s_cbranch_execz .LBB116_375
; %bb.374:
	v_mov_b32_e32 v252, 17
	ds_write2_b64 v1, v[162:163], v[164:165] offset0:36 offset1:37
	ds_write2_b64 v1, v[158:159], v[160:161] offset0:38 offset1:39
	;; [unrolled: 1-line block ×41, first 2 shown]
.LBB116_375:
	s_or_b32 exec_lo, exec_lo, s0
	s_mov_b32 s0, exec_lo
	s_waitcnt lgkmcnt(0)
	s_waitcnt_vscnt null, 0x0
	s_barrier
	buffer_gl0_inv
	v_cmpx_lt_i32_e32 17, v252
	s_cbranch_execz .LBB116_377
; %bb.376:
	v_mul_f64 v[214:215], v[240:241], v[168:169]
	v_mul_f64 v[168:169], v[238:239], v[168:169]
	v_fma_f64 v[246:247], v[238:239], v[166:167], -v[214:215]
	v_fma_f64 v[168:169], v[240:241], v[166:167], v[168:169]
	ds_read2_b64 v[238:241], v1 offset0:36 offset1:37
	s_waitcnt lgkmcnt(0)
	v_mul_f64 v[166:167], v[240:241], v[168:169]
	v_mul_f64 v[214:215], v[238:239], v[168:169]
	v_fma_f64 v[166:167], v[238:239], v[246:247], -v[166:167]
	v_fma_f64 v[214:215], v[240:241], v[246:247], v[214:215]
	ds_read2_b64 v[238:241], v1 offset0:38 offset1:39
	v_add_f64 v[162:163], v[162:163], -v[166:167]
	v_add_f64 v[164:165], v[164:165], -v[214:215]
	s_waitcnt lgkmcnt(0)
	v_mul_f64 v[166:167], v[240:241], v[168:169]
	v_mul_f64 v[214:215], v[238:239], v[168:169]
	v_fma_f64 v[166:167], v[238:239], v[246:247], -v[166:167]
	v_fma_f64 v[214:215], v[240:241], v[246:247], v[214:215]
	ds_read2_b64 v[238:241], v1 offset0:40 offset1:41
	v_add_f64 v[158:159], v[158:159], -v[166:167]
	v_add_f64 v[160:161], v[160:161], -v[214:215]
	s_waitcnt lgkmcnt(0)
	v_mul_f64 v[166:167], v[240:241], v[168:169]
	v_mul_f64 v[214:215], v[238:239], v[168:169]
	v_fma_f64 v[166:167], v[238:239], v[246:247], -v[166:167]
	v_fma_f64 v[214:215], v[240:241], v[246:247], v[214:215]
	ds_read2_b64 v[238:241], v1 offset0:42 offset1:43
	v_add_f64 v[154:155], v[154:155], -v[166:167]
	v_add_f64 v[156:157], v[156:157], -v[214:215]
	s_waitcnt lgkmcnt(0)
	v_mul_f64 v[166:167], v[240:241], v[168:169]
	v_mul_f64 v[214:215], v[238:239], v[168:169]
	v_fma_f64 v[166:167], v[238:239], v[246:247], -v[166:167]
	v_fma_f64 v[214:215], v[240:241], v[246:247], v[214:215]
	ds_read2_b64 v[238:241], v1 offset0:44 offset1:45
	v_add_f64 v[150:151], v[150:151], -v[166:167]
	v_add_f64 v[152:153], v[152:153], -v[214:215]
	s_waitcnt lgkmcnt(0)
	v_mul_f64 v[166:167], v[240:241], v[168:169]
	v_mul_f64 v[214:215], v[238:239], v[168:169]
	v_fma_f64 v[166:167], v[238:239], v[246:247], -v[166:167]
	v_fma_f64 v[214:215], v[240:241], v[246:247], v[214:215]
	ds_read2_b64 v[238:241], v1 offset0:46 offset1:47
	v_add_f64 v[146:147], v[146:147], -v[166:167]
	v_add_f64 v[148:149], v[148:149], -v[214:215]
	s_waitcnt lgkmcnt(0)
	v_mul_f64 v[166:167], v[240:241], v[168:169]
	v_mul_f64 v[214:215], v[238:239], v[168:169]
	v_fma_f64 v[166:167], v[238:239], v[246:247], -v[166:167]
	v_fma_f64 v[214:215], v[240:241], v[246:247], v[214:215]
	ds_read2_b64 v[238:241], v1 offset0:48 offset1:49
	v_add_f64 v[142:143], v[142:143], -v[166:167]
	v_add_f64 v[144:145], v[144:145], -v[214:215]
	s_waitcnt lgkmcnt(0)
	v_mul_f64 v[166:167], v[240:241], v[168:169]
	v_mul_f64 v[214:215], v[238:239], v[168:169]
	v_fma_f64 v[166:167], v[238:239], v[246:247], -v[166:167]
	v_fma_f64 v[214:215], v[240:241], v[246:247], v[214:215]
	ds_read2_b64 v[238:241], v1 offset0:50 offset1:51
	v_add_f64 v[138:139], v[138:139], -v[166:167]
	v_add_f64 v[140:141], v[140:141], -v[214:215]
	s_waitcnt lgkmcnt(0)
	v_mul_f64 v[166:167], v[240:241], v[168:169]
	v_mul_f64 v[214:215], v[238:239], v[168:169]
	v_fma_f64 v[166:167], v[238:239], v[246:247], -v[166:167]
	v_fma_f64 v[214:215], v[240:241], v[246:247], v[214:215]
	ds_read2_b64 v[238:241], v1 offset0:52 offset1:53
	v_add_f64 v[134:135], v[134:135], -v[166:167]
	v_add_f64 v[136:137], v[136:137], -v[214:215]
	s_waitcnt lgkmcnt(0)
	v_mul_f64 v[166:167], v[240:241], v[168:169]
	v_mul_f64 v[214:215], v[238:239], v[168:169]
	v_fma_f64 v[166:167], v[238:239], v[246:247], -v[166:167]
	v_fma_f64 v[214:215], v[240:241], v[246:247], v[214:215]
	ds_read2_b64 v[238:241], v1 offset0:54 offset1:55
	v_add_f64 v[130:131], v[130:131], -v[166:167]
	v_add_f64 v[132:133], v[132:133], -v[214:215]
	s_waitcnt lgkmcnt(0)
	v_mul_f64 v[166:167], v[240:241], v[168:169]
	v_mul_f64 v[214:215], v[238:239], v[168:169]
	v_fma_f64 v[166:167], v[238:239], v[246:247], -v[166:167]
	v_fma_f64 v[214:215], v[240:241], v[246:247], v[214:215]
	ds_read2_b64 v[238:241], v1 offset0:56 offset1:57
	v_add_f64 v[126:127], v[126:127], -v[166:167]
	v_add_f64 v[128:129], v[128:129], -v[214:215]
	s_waitcnt lgkmcnt(0)
	v_mul_f64 v[166:167], v[240:241], v[168:169]
	v_mul_f64 v[214:215], v[238:239], v[168:169]
	v_fma_f64 v[166:167], v[238:239], v[246:247], -v[166:167]
	v_fma_f64 v[214:215], v[240:241], v[246:247], v[214:215]
	ds_read2_b64 v[238:241], v1 offset0:58 offset1:59
	v_add_f64 v[122:123], v[122:123], -v[166:167]
	v_add_f64 v[124:125], v[124:125], -v[214:215]
	s_waitcnt lgkmcnt(0)
	v_mul_f64 v[166:167], v[240:241], v[168:169]
	v_mul_f64 v[214:215], v[238:239], v[168:169]
	v_fma_f64 v[166:167], v[238:239], v[246:247], -v[166:167]
	v_fma_f64 v[214:215], v[240:241], v[246:247], v[214:215]
	ds_read2_b64 v[238:241], v1 offset0:60 offset1:61
	v_add_f64 v[118:119], v[118:119], -v[166:167]
	v_add_f64 v[120:121], v[120:121], -v[214:215]
	s_waitcnt lgkmcnt(0)
	v_mul_f64 v[166:167], v[240:241], v[168:169]
	v_mul_f64 v[214:215], v[238:239], v[168:169]
	v_fma_f64 v[166:167], v[238:239], v[246:247], -v[166:167]
	v_fma_f64 v[214:215], v[240:241], v[246:247], v[214:215]
	ds_read2_b64 v[238:241], v1 offset0:62 offset1:63
	v_add_f64 v[114:115], v[114:115], -v[166:167]
	v_add_f64 v[116:117], v[116:117], -v[214:215]
	s_waitcnt lgkmcnt(0)
	v_mul_f64 v[166:167], v[240:241], v[168:169]
	v_mul_f64 v[214:215], v[238:239], v[168:169]
	v_fma_f64 v[166:167], v[238:239], v[246:247], -v[166:167]
	v_fma_f64 v[214:215], v[240:241], v[246:247], v[214:215]
	ds_read2_b64 v[238:241], v1 offset0:64 offset1:65
	v_add_f64 v[110:111], v[110:111], -v[166:167]
	v_add_f64 v[112:113], v[112:113], -v[214:215]
	s_waitcnt lgkmcnt(0)
	v_mul_f64 v[166:167], v[240:241], v[168:169]
	v_mul_f64 v[214:215], v[238:239], v[168:169]
	v_fma_f64 v[166:167], v[238:239], v[246:247], -v[166:167]
	v_fma_f64 v[214:215], v[240:241], v[246:247], v[214:215]
	ds_read2_b64 v[238:241], v1 offset0:66 offset1:67
	v_add_f64 v[106:107], v[106:107], -v[166:167]
	v_add_f64 v[108:109], v[108:109], -v[214:215]
	s_waitcnt lgkmcnt(0)
	v_mul_f64 v[166:167], v[240:241], v[168:169]
	v_mul_f64 v[214:215], v[238:239], v[168:169]
	v_fma_f64 v[166:167], v[238:239], v[246:247], -v[166:167]
	v_fma_f64 v[214:215], v[240:241], v[246:247], v[214:215]
	ds_read2_b64 v[238:241], v1 offset0:68 offset1:69
	v_add_f64 v[102:103], v[102:103], -v[166:167]
	v_add_f64 v[104:105], v[104:105], -v[214:215]
	s_waitcnt lgkmcnt(0)
	v_mul_f64 v[166:167], v[240:241], v[168:169]
	v_mul_f64 v[214:215], v[238:239], v[168:169]
	v_fma_f64 v[166:167], v[238:239], v[246:247], -v[166:167]
	v_fma_f64 v[214:215], v[240:241], v[246:247], v[214:215]
	ds_read2_b64 v[238:241], v1 offset0:70 offset1:71
	v_add_f64 v[98:99], v[98:99], -v[166:167]
	v_add_f64 v[100:101], v[100:101], -v[214:215]
	s_waitcnt lgkmcnt(0)
	v_mul_f64 v[166:167], v[240:241], v[168:169]
	v_mul_f64 v[214:215], v[238:239], v[168:169]
	v_fma_f64 v[166:167], v[238:239], v[246:247], -v[166:167]
	v_fma_f64 v[214:215], v[240:241], v[246:247], v[214:215]
	ds_read2_b64 v[238:241], v1 offset0:72 offset1:73
	v_add_f64 v[94:95], v[94:95], -v[166:167]
	v_add_f64 v[96:97], v[96:97], -v[214:215]
	s_waitcnt lgkmcnt(0)
	v_mul_f64 v[166:167], v[240:241], v[168:169]
	v_mul_f64 v[214:215], v[238:239], v[168:169]
	v_fma_f64 v[166:167], v[238:239], v[246:247], -v[166:167]
	v_fma_f64 v[214:215], v[240:241], v[246:247], v[214:215]
	ds_read2_b64 v[238:241], v1 offset0:74 offset1:75
	v_add_f64 v[90:91], v[90:91], -v[166:167]
	v_add_f64 v[92:93], v[92:93], -v[214:215]
	s_waitcnt lgkmcnt(0)
	v_mul_f64 v[166:167], v[240:241], v[168:169]
	v_mul_f64 v[214:215], v[238:239], v[168:169]
	v_fma_f64 v[166:167], v[238:239], v[246:247], -v[166:167]
	v_fma_f64 v[214:215], v[240:241], v[246:247], v[214:215]
	ds_read2_b64 v[238:241], v1 offset0:76 offset1:77
	v_add_f64 v[86:87], v[86:87], -v[166:167]
	v_add_f64 v[88:89], v[88:89], -v[214:215]
	s_waitcnt lgkmcnt(0)
	v_mul_f64 v[166:167], v[240:241], v[168:169]
	v_mul_f64 v[214:215], v[238:239], v[168:169]
	v_fma_f64 v[166:167], v[238:239], v[246:247], -v[166:167]
	v_fma_f64 v[214:215], v[240:241], v[246:247], v[214:215]
	ds_read2_b64 v[238:241], v1 offset0:78 offset1:79
	v_add_f64 v[82:83], v[82:83], -v[166:167]
	v_add_f64 v[84:85], v[84:85], -v[214:215]
	s_waitcnt lgkmcnt(0)
	v_mul_f64 v[166:167], v[240:241], v[168:169]
	v_mul_f64 v[214:215], v[238:239], v[168:169]
	v_fma_f64 v[166:167], v[238:239], v[246:247], -v[166:167]
	v_fma_f64 v[214:215], v[240:241], v[246:247], v[214:215]
	ds_read2_b64 v[238:241], v1 offset0:80 offset1:81
	v_add_f64 v[78:79], v[78:79], -v[166:167]
	v_add_f64 v[80:81], v[80:81], -v[214:215]
	s_waitcnt lgkmcnt(0)
	v_mul_f64 v[166:167], v[240:241], v[168:169]
	v_mul_f64 v[214:215], v[238:239], v[168:169]
	v_fma_f64 v[166:167], v[238:239], v[246:247], -v[166:167]
	v_fma_f64 v[214:215], v[240:241], v[246:247], v[214:215]
	ds_read2_b64 v[238:241], v1 offset0:82 offset1:83
	v_add_f64 v[74:75], v[74:75], -v[166:167]
	v_add_f64 v[76:77], v[76:77], -v[214:215]
	s_waitcnt lgkmcnt(0)
	v_mul_f64 v[166:167], v[240:241], v[168:169]
	v_mul_f64 v[214:215], v[238:239], v[168:169]
	v_fma_f64 v[166:167], v[238:239], v[246:247], -v[166:167]
	v_fma_f64 v[214:215], v[240:241], v[246:247], v[214:215]
	ds_read2_b64 v[238:241], v1 offset0:84 offset1:85
	v_add_f64 v[70:71], v[70:71], -v[166:167]
	v_add_f64 v[72:73], v[72:73], -v[214:215]
	s_waitcnt lgkmcnt(0)
	v_mul_f64 v[166:167], v[240:241], v[168:169]
	v_mul_f64 v[214:215], v[238:239], v[168:169]
	v_fma_f64 v[166:167], v[238:239], v[246:247], -v[166:167]
	v_fma_f64 v[214:215], v[240:241], v[246:247], v[214:215]
	ds_read2_b64 v[238:241], v1 offset0:86 offset1:87
	v_add_f64 v[66:67], v[66:67], -v[166:167]
	v_add_f64 v[68:69], v[68:69], -v[214:215]
	s_waitcnt lgkmcnt(0)
	v_mul_f64 v[166:167], v[240:241], v[168:169]
	v_mul_f64 v[214:215], v[238:239], v[168:169]
	v_fma_f64 v[166:167], v[238:239], v[246:247], -v[166:167]
	v_fma_f64 v[214:215], v[240:241], v[246:247], v[214:215]
	ds_read2_b64 v[238:241], v1 offset0:88 offset1:89
	v_add_f64 v[62:63], v[62:63], -v[166:167]
	v_add_f64 v[64:65], v[64:65], -v[214:215]
	s_waitcnt lgkmcnt(0)
	v_mul_f64 v[166:167], v[240:241], v[168:169]
	v_mul_f64 v[214:215], v[238:239], v[168:169]
	v_fma_f64 v[166:167], v[238:239], v[246:247], -v[166:167]
	v_fma_f64 v[214:215], v[240:241], v[246:247], v[214:215]
	ds_read2_b64 v[238:241], v1 offset0:90 offset1:91
	v_add_f64 v[58:59], v[58:59], -v[166:167]
	v_add_f64 v[60:61], v[60:61], -v[214:215]
	s_waitcnt lgkmcnt(0)
	v_mul_f64 v[166:167], v[240:241], v[168:169]
	v_mul_f64 v[214:215], v[238:239], v[168:169]
	v_fma_f64 v[166:167], v[238:239], v[246:247], -v[166:167]
	v_fma_f64 v[214:215], v[240:241], v[246:247], v[214:215]
	ds_read2_b64 v[238:241], v1 offset0:92 offset1:93
	v_add_f64 v[54:55], v[54:55], -v[166:167]
	v_add_f64 v[56:57], v[56:57], -v[214:215]
	s_waitcnt lgkmcnt(0)
	v_mul_f64 v[166:167], v[240:241], v[168:169]
	v_mul_f64 v[214:215], v[238:239], v[168:169]
	v_fma_f64 v[166:167], v[238:239], v[246:247], -v[166:167]
	v_fma_f64 v[214:215], v[240:241], v[246:247], v[214:215]
	ds_read2_b64 v[238:241], v1 offset0:94 offset1:95
	v_add_f64 v[50:51], v[50:51], -v[166:167]
	v_add_f64 v[52:53], v[52:53], -v[214:215]
	s_waitcnt lgkmcnt(0)
	v_mul_f64 v[166:167], v[240:241], v[168:169]
	v_mul_f64 v[214:215], v[238:239], v[168:169]
	v_fma_f64 v[166:167], v[238:239], v[246:247], -v[166:167]
	v_fma_f64 v[214:215], v[240:241], v[246:247], v[214:215]
	ds_read2_b64 v[238:241], v1 offset0:96 offset1:97
	v_add_f64 v[46:47], v[46:47], -v[166:167]
	v_add_f64 v[48:49], v[48:49], -v[214:215]
	s_waitcnt lgkmcnt(0)
	v_mul_f64 v[166:167], v[240:241], v[168:169]
	v_mul_f64 v[214:215], v[238:239], v[168:169]
	v_fma_f64 v[166:167], v[238:239], v[246:247], -v[166:167]
	v_fma_f64 v[214:215], v[240:241], v[246:247], v[214:215]
	ds_read2_b64 v[238:241], v1 offset0:98 offset1:99
	v_add_f64 v[42:43], v[42:43], -v[166:167]
	v_add_f64 v[44:45], v[44:45], -v[214:215]
	s_waitcnt lgkmcnt(0)
	v_mul_f64 v[166:167], v[240:241], v[168:169]
	v_mul_f64 v[214:215], v[238:239], v[168:169]
	v_fma_f64 v[166:167], v[238:239], v[246:247], -v[166:167]
	v_fma_f64 v[214:215], v[240:241], v[246:247], v[214:215]
	ds_read2_b64 v[238:241], v1 offset0:100 offset1:101
	v_add_f64 v[38:39], v[38:39], -v[166:167]
	v_add_f64 v[40:41], v[40:41], -v[214:215]
	s_waitcnt lgkmcnt(0)
	v_mul_f64 v[166:167], v[240:241], v[168:169]
	v_mul_f64 v[214:215], v[238:239], v[168:169]
	v_fma_f64 v[166:167], v[238:239], v[246:247], -v[166:167]
	v_fma_f64 v[214:215], v[240:241], v[246:247], v[214:215]
	ds_read2_b64 v[238:241], v1 offset0:102 offset1:103
	v_add_f64 v[34:35], v[34:35], -v[166:167]
	v_add_f64 v[36:37], v[36:37], -v[214:215]
	s_waitcnt lgkmcnt(0)
	v_mul_f64 v[166:167], v[240:241], v[168:169]
	v_mul_f64 v[214:215], v[238:239], v[168:169]
	v_fma_f64 v[166:167], v[238:239], v[246:247], -v[166:167]
	v_fma_f64 v[214:215], v[240:241], v[246:247], v[214:215]
	ds_read2_b64 v[238:241], v1 offset0:104 offset1:105
	v_add_f64 v[30:31], v[30:31], -v[166:167]
	v_add_f64 v[32:33], v[32:33], -v[214:215]
	s_waitcnt lgkmcnt(0)
	v_mul_f64 v[166:167], v[240:241], v[168:169]
	v_mul_f64 v[214:215], v[238:239], v[168:169]
	v_fma_f64 v[166:167], v[238:239], v[246:247], -v[166:167]
	v_fma_f64 v[214:215], v[240:241], v[246:247], v[214:215]
	ds_read2_b64 v[238:241], v1 offset0:106 offset1:107
	v_add_f64 v[26:27], v[26:27], -v[166:167]
	v_add_f64 v[28:29], v[28:29], -v[214:215]
	s_waitcnt lgkmcnt(0)
	v_mul_f64 v[166:167], v[240:241], v[168:169]
	v_mul_f64 v[214:215], v[238:239], v[168:169]
	v_fma_f64 v[166:167], v[238:239], v[246:247], -v[166:167]
	v_fma_f64 v[214:215], v[240:241], v[246:247], v[214:215]
	ds_read2_b64 v[238:241], v1 offset0:108 offset1:109
	v_add_f64 v[22:23], v[22:23], -v[166:167]
	v_add_f64 v[24:25], v[24:25], -v[214:215]
	s_waitcnt lgkmcnt(0)
	v_mul_f64 v[166:167], v[240:241], v[168:169]
	v_mul_f64 v[214:215], v[238:239], v[168:169]
	v_fma_f64 v[166:167], v[238:239], v[246:247], -v[166:167]
	v_fma_f64 v[214:215], v[240:241], v[246:247], v[214:215]
	ds_read2_b64 v[238:241], v1 offset0:110 offset1:111
	v_add_f64 v[18:19], v[18:19], -v[166:167]
	v_add_f64 v[20:21], v[20:21], -v[214:215]
	s_waitcnt lgkmcnt(0)
	v_mul_f64 v[166:167], v[240:241], v[168:169]
	v_mul_f64 v[214:215], v[238:239], v[168:169]
	v_fma_f64 v[166:167], v[238:239], v[246:247], -v[166:167]
	v_fma_f64 v[214:215], v[240:241], v[246:247], v[214:215]
	ds_read2_b64 v[238:241], v1 offset0:112 offset1:113
	v_add_f64 v[14:15], v[14:15], -v[166:167]
	v_add_f64 v[16:17], v[16:17], -v[214:215]
	s_waitcnt lgkmcnt(0)
	v_mul_f64 v[166:167], v[240:241], v[168:169]
	v_mul_f64 v[214:215], v[238:239], v[168:169]
	v_fma_f64 v[166:167], v[238:239], v[246:247], -v[166:167]
	v_fma_f64 v[214:215], v[240:241], v[246:247], v[214:215]
	ds_read2_b64 v[238:241], v1 offset0:114 offset1:115
	v_add_f64 v[232:233], v[232:233], -v[166:167]
	v_add_f64 v[234:235], v[234:235], -v[214:215]
	s_waitcnt lgkmcnt(0)
	v_mul_f64 v[166:167], v[240:241], v[168:169]
	v_mul_f64 v[214:215], v[238:239], v[168:169]
	v_fma_f64 v[166:167], v[238:239], v[246:247], -v[166:167]
	v_fma_f64 v[214:215], v[240:241], v[246:247], v[214:215]
	ds_read2_b64 v[238:241], v1 offset0:116 offset1:117
	v_add_f64 v[6:7], v[6:7], -v[166:167]
	v_add_f64 v[8:9], v[8:9], -v[214:215]
	s_waitcnt lgkmcnt(0)
	v_mul_f64 v[166:167], v[240:241], v[168:169]
	v_mul_f64 v[214:215], v[238:239], v[168:169]
	v_fma_f64 v[166:167], v[238:239], v[246:247], -v[166:167]
	v_fma_f64 v[214:215], v[240:241], v[246:247], v[214:215]
	v_add_f64 v[226:227], v[226:227], -v[166:167]
	v_add_f64 v[228:229], v[228:229], -v[214:215]
	v_mov_b32_e32 v166, v246
	v_mov_b32_e32 v167, v247
.LBB116_377:
	s_or_b32 exec_lo, exec_lo, s0
	v_lshl_add_u32 v214, v252, 4, v1
	s_barrier
	buffer_gl0_inv
	v_mov_b32_e32 v246, 18
	ds_write2_b64 v214, v[162:163], v[164:165] offset1:1
	s_waitcnt lgkmcnt(0)
	s_barrier
	buffer_gl0_inv
	ds_read2_b64 v[238:241], v1 offset0:36 offset1:37
	s_cmp_lt_i32 s8, 20
	s_cbranch_scc1 .LBB116_380
; %bb.378:
	v_add3_u32 v247, v248, 0, 0x130
	v_mov_b32_e32 v246, 18
	s_mov_b32 s0, 19
	s_inst_prefetch 0x1
	.p2align	6
.LBB116_379:                            ; =>This Inner Loop Header: Depth=1
	s_waitcnt lgkmcnt(0)
	v_cmp_gt_f64_e32 vcc_lo, 0, v[238:239]
	v_xor_b32_e32 v214, 0x80000000, v239
	ds_read2_b64 v[242:245], v247 offset1:1
	v_xor_b32_e32 v216, 0x80000000, v241
	v_add_nc_u32_e32 v247, 16, v247
	s_waitcnt lgkmcnt(0)
	v_xor_b32_e32 v218, 0x80000000, v245
	v_cndmask_b32_e32 v215, v239, v214, vcc_lo
	v_cmp_gt_f64_e32 vcc_lo, 0, v[240:241]
	v_mov_b32_e32 v214, v238
	v_cndmask_b32_e32 v217, v241, v216, vcc_lo
	v_cmp_gt_f64_e32 vcc_lo, 0, v[242:243]
	v_mov_b32_e32 v216, v240
	v_add_f64 v[214:215], v[214:215], v[216:217]
	v_xor_b32_e32 v216, 0x80000000, v243
	v_cndmask_b32_e32 v217, v243, v216, vcc_lo
	v_cmp_gt_f64_e32 vcc_lo, 0, v[244:245]
	v_mov_b32_e32 v216, v242
	v_cndmask_b32_e32 v219, v245, v218, vcc_lo
	v_mov_b32_e32 v218, v244
	v_add_f64 v[216:217], v[216:217], v[218:219]
	v_cmp_lt_f64_e32 vcc_lo, v[214:215], v[216:217]
	v_cndmask_b32_e32 v239, v239, v243, vcc_lo
	v_cndmask_b32_e32 v238, v238, v242, vcc_lo
	;; [unrolled: 1-line block ×4, first 2 shown]
	v_cndmask_b32_e64 v246, v246, s0, vcc_lo
	s_add_i32 s0, s0, 1
	s_cmp_lg_u32 s8, s0
	s_cbranch_scc1 .LBB116_379
.LBB116_380:
	s_inst_prefetch 0x2
	s_waitcnt lgkmcnt(0)
	v_cmp_eq_f64_e32 vcc_lo, 0, v[238:239]
	v_cmp_eq_f64_e64 s0, 0, v[240:241]
	s_and_b32 s0, vcc_lo, s0
	s_and_saveexec_b32 s1, s0
	s_xor_b32 s0, exec_lo, s1
; %bb.381:
	v_cmp_ne_u32_e32 vcc_lo, 0, v251
	v_cndmask_b32_e32 v251, 19, v251, vcc_lo
; %bb.382:
	s_andn2_saveexec_b32 s0, s0
	s_cbranch_execz .LBB116_388
; %bb.383:
	v_cmp_ngt_f64_e64 s1, |v[238:239]|, |v[240:241]|
	s_and_saveexec_b32 s7, s1
	s_xor_b32 s1, exec_lo, s7
	s_cbranch_execz .LBB116_385
; %bb.384:
	v_div_scale_f64 v[214:215], null, v[240:241], v[240:241], v[238:239]
	v_div_scale_f64 v[220:221], vcc_lo, v[238:239], v[240:241], v[238:239]
	v_rcp_f64_e32 v[216:217], v[214:215]
	v_fma_f64 v[218:219], -v[214:215], v[216:217], 1.0
	v_fma_f64 v[216:217], v[216:217], v[218:219], v[216:217]
	v_fma_f64 v[218:219], -v[214:215], v[216:217], 1.0
	v_fma_f64 v[216:217], v[216:217], v[218:219], v[216:217]
	v_mul_f64 v[218:219], v[220:221], v[216:217]
	v_fma_f64 v[214:215], -v[214:215], v[218:219], v[220:221]
	v_div_fmas_f64 v[214:215], v[214:215], v[216:217], v[218:219]
	v_div_fixup_f64 v[214:215], v[214:215], v[240:241], v[238:239]
	v_fma_f64 v[216:217], v[238:239], v[214:215], v[240:241]
	v_div_scale_f64 v[218:219], null, v[216:217], v[216:217], 1.0
	v_rcp_f64_e32 v[220:221], v[218:219]
	v_fma_f64 v[222:223], -v[218:219], v[220:221], 1.0
	v_fma_f64 v[220:221], v[220:221], v[222:223], v[220:221]
	v_fma_f64 v[222:223], -v[218:219], v[220:221], 1.0
	v_fma_f64 v[220:221], v[220:221], v[222:223], v[220:221]
	v_div_scale_f64 v[222:223], vcc_lo, 1.0, v[216:217], 1.0
	v_mul_f64 v[224:225], v[222:223], v[220:221]
	v_fma_f64 v[218:219], -v[218:219], v[224:225], v[222:223]
	v_div_fmas_f64 v[218:219], v[218:219], v[220:221], v[224:225]
	v_div_fixup_f64 v[240:241], v[218:219], v[216:217], 1.0
	v_mul_f64 v[238:239], v[214:215], v[240:241]
	v_xor_b32_e32 v241, 0x80000000, v241
.LBB116_385:
	s_andn2_saveexec_b32 s1, s1
	s_cbranch_execz .LBB116_387
; %bb.386:
	v_div_scale_f64 v[214:215], null, v[238:239], v[238:239], v[240:241]
	v_div_scale_f64 v[220:221], vcc_lo, v[240:241], v[238:239], v[240:241]
	v_rcp_f64_e32 v[216:217], v[214:215]
	v_fma_f64 v[218:219], -v[214:215], v[216:217], 1.0
	v_fma_f64 v[216:217], v[216:217], v[218:219], v[216:217]
	v_fma_f64 v[218:219], -v[214:215], v[216:217], 1.0
	v_fma_f64 v[216:217], v[216:217], v[218:219], v[216:217]
	v_mul_f64 v[218:219], v[220:221], v[216:217]
	v_fma_f64 v[214:215], -v[214:215], v[218:219], v[220:221]
	v_div_fmas_f64 v[214:215], v[214:215], v[216:217], v[218:219]
	v_div_fixup_f64 v[214:215], v[214:215], v[238:239], v[240:241]
	v_fma_f64 v[216:217], v[240:241], v[214:215], v[238:239]
	v_div_scale_f64 v[218:219], null, v[216:217], v[216:217], 1.0
	v_rcp_f64_e32 v[220:221], v[218:219]
	v_fma_f64 v[222:223], -v[218:219], v[220:221], 1.0
	v_fma_f64 v[220:221], v[220:221], v[222:223], v[220:221]
	v_fma_f64 v[222:223], -v[218:219], v[220:221], 1.0
	v_fma_f64 v[220:221], v[220:221], v[222:223], v[220:221]
	v_div_scale_f64 v[222:223], vcc_lo, 1.0, v[216:217], 1.0
	v_mul_f64 v[224:225], v[222:223], v[220:221]
	v_fma_f64 v[218:219], -v[218:219], v[224:225], v[222:223]
	v_div_fmas_f64 v[218:219], v[218:219], v[220:221], v[224:225]
	v_div_fixup_f64 v[238:239], v[218:219], v[216:217], 1.0
	v_mul_f64 v[240:241], v[214:215], -v[238:239]
.LBB116_387:
	s_or_b32 exec_lo, exec_lo, s1
.LBB116_388:
	s_or_b32 exec_lo, exec_lo, s0
	s_mov_b32 s0, exec_lo
	v_cmpx_ne_u32_e64 v252, v246
	s_xor_b32 s0, exec_lo, s0
	s_cbranch_execz .LBB116_394
; %bb.389:
	s_mov_b32 s1, exec_lo
	v_cmpx_eq_u32_e32 18, v252
	s_cbranch_execz .LBB116_393
; %bb.390:
	v_cmp_ne_u32_e32 vcc_lo, 18, v246
	s_xor_b32 s7, s16, -1
	s_and_b32 s9, s7, vcc_lo
	s_and_saveexec_b32 s7, s9
	s_cbranch_execz .LBB116_392
; %bb.391:
	s_clause 0x1
	buffer_load_dword v210, off, s[20:23], 0 offset:16
	buffer_load_dword v211, off, s[20:23], 0 offset:20
	v_ashrrev_i32_e32 v247, 31, v246
	v_lshlrev_b64 v[214:215], 2, v[246:247]
	s_waitcnt vmcnt(1)
	v_add_co_u32 v214, vcc_lo, v210, v214
	s_waitcnt vmcnt(0)
	v_add_co_ci_u32_e64 v215, null, v211, v215, vcc_lo
	s_clause 0x1
	global_load_dword v0, v[214:215], off
	global_load_dword v216, v[210:211], off offset:72
	s_waitcnt vmcnt(1)
	global_store_dword v[210:211], v0, off offset:72
	s_waitcnt vmcnt(0)
	global_store_dword v[214:215], v216, off
.LBB116_392:
	s_or_b32 exec_lo, exec_lo, s7
	v_mov_b32_e32 v252, v246
	v_mov_b32_e32 v0, v246
.LBB116_393:
	s_or_b32 exec_lo, exec_lo, s1
.LBB116_394:
	s_andn2_saveexec_b32 s0, s0
	s_cbranch_execz .LBB116_396
; %bb.395:
	v_mov_b32_e32 v252, 18
	ds_write2_b64 v1, v[158:159], v[160:161] offset0:38 offset1:39
	ds_write2_b64 v1, v[154:155], v[156:157] offset0:40 offset1:41
	;; [unrolled: 1-line block ×40, first 2 shown]
.LBB116_396:
	s_or_b32 exec_lo, exec_lo, s0
	s_mov_b32 s0, exec_lo
	s_waitcnt lgkmcnt(0)
	s_waitcnt_vscnt null, 0x0
	s_barrier
	buffer_gl0_inv
	v_cmpx_lt_i32_e32 18, v252
	s_cbranch_execz .LBB116_398
; %bb.397:
	v_mul_f64 v[214:215], v[240:241], v[164:165]
	v_mul_f64 v[164:165], v[238:239], v[164:165]
	v_fma_f64 v[246:247], v[238:239], v[162:163], -v[214:215]
	v_fma_f64 v[164:165], v[240:241], v[162:163], v[164:165]
	ds_read2_b64 v[238:241], v1 offset0:38 offset1:39
	s_waitcnt lgkmcnt(0)
	v_mul_f64 v[162:163], v[240:241], v[164:165]
	v_mul_f64 v[214:215], v[238:239], v[164:165]
	v_fma_f64 v[162:163], v[238:239], v[246:247], -v[162:163]
	v_fma_f64 v[214:215], v[240:241], v[246:247], v[214:215]
	ds_read2_b64 v[238:241], v1 offset0:40 offset1:41
	v_add_f64 v[158:159], v[158:159], -v[162:163]
	v_add_f64 v[160:161], v[160:161], -v[214:215]
	s_waitcnt lgkmcnt(0)
	v_mul_f64 v[162:163], v[240:241], v[164:165]
	v_mul_f64 v[214:215], v[238:239], v[164:165]
	v_fma_f64 v[162:163], v[238:239], v[246:247], -v[162:163]
	v_fma_f64 v[214:215], v[240:241], v[246:247], v[214:215]
	ds_read2_b64 v[238:241], v1 offset0:42 offset1:43
	v_add_f64 v[154:155], v[154:155], -v[162:163]
	v_add_f64 v[156:157], v[156:157], -v[214:215]
	;; [unrolled: 8-line block ×39, first 2 shown]
	s_waitcnt lgkmcnt(0)
	v_mul_f64 v[162:163], v[240:241], v[164:165]
	v_mul_f64 v[214:215], v[238:239], v[164:165]
	v_fma_f64 v[162:163], v[238:239], v[246:247], -v[162:163]
	v_fma_f64 v[214:215], v[240:241], v[246:247], v[214:215]
	v_add_f64 v[226:227], v[226:227], -v[162:163]
	v_add_f64 v[228:229], v[228:229], -v[214:215]
	v_mov_b32_e32 v162, v246
	v_mov_b32_e32 v163, v247
.LBB116_398:
	s_or_b32 exec_lo, exec_lo, s0
	v_lshl_add_u32 v214, v252, 4, v1
	s_barrier
	buffer_gl0_inv
	v_mov_b32_e32 v246, 19
	ds_write2_b64 v214, v[158:159], v[160:161] offset1:1
	s_waitcnt lgkmcnt(0)
	s_barrier
	buffer_gl0_inv
	ds_read2_b64 v[238:241], v1 offset0:38 offset1:39
	s_cmp_lt_i32 s8, 21
	s_cbranch_scc1 .LBB116_401
; %bb.399:
	v_add3_u32 v247, v248, 0, 0x140
	v_mov_b32_e32 v246, 19
	s_mov_b32 s0, 20
	s_inst_prefetch 0x1
	.p2align	6
.LBB116_400:                            ; =>This Inner Loop Header: Depth=1
	s_waitcnt lgkmcnt(0)
	v_cmp_gt_f64_e32 vcc_lo, 0, v[238:239]
	v_xor_b32_e32 v214, 0x80000000, v239
	ds_read2_b64 v[242:245], v247 offset1:1
	v_xor_b32_e32 v216, 0x80000000, v241
	v_add_nc_u32_e32 v247, 16, v247
	s_waitcnt lgkmcnt(0)
	v_xor_b32_e32 v218, 0x80000000, v245
	v_cndmask_b32_e32 v215, v239, v214, vcc_lo
	v_cmp_gt_f64_e32 vcc_lo, 0, v[240:241]
	v_mov_b32_e32 v214, v238
	v_cndmask_b32_e32 v217, v241, v216, vcc_lo
	v_cmp_gt_f64_e32 vcc_lo, 0, v[242:243]
	v_mov_b32_e32 v216, v240
	v_add_f64 v[214:215], v[214:215], v[216:217]
	v_xor_b32_e32 v216, 0x80000000, v243
	v_cndmask_b32_e32 v217, v243, v216, vcc_lo
	v_cmp_gt_f64_e32 vcc_lo, 0, v[244:245]
	v_mov_b32_e32 v216, v242
	v_cndmask_b32_e32 v219, v245, v218, vcc_lo
	v_mov_b32_e32 v218, v244
	v_add_f64 v[216:217], v[216:217], v[218:219]
	v_cmp_lt_f64_e32 vcc_lo, v[214:215], v[216:217]
	v_cndmask_b32_e32 v239, v239, v243, vcc_lo
	v_cndmask_b32_e32 v238, v238, v242, vcc_lo
	;; [unrolled: 1-line block ×4, first 2 shown]
	v_cndmask_b32_e64 v246, v246, s0, vcc_lo
	s_add_i32 s0, s0, 1
	s_cmp_lg_u32 s8, s0
	s_cbranch_scc1 .LBB116_400
.LBB116_401:
	s_inst_prefetch 0x2
	s_waitcnt lgkmcnt(0)
	v_cmp_eq_f64_e32 vcc_lo, 0, v[238:239]
	v_cmp_eq_f64_e64 s0, 0, v[240:241]
	s_and_b32 s0, vcc_lo, s0
	s_and_saveexec_b32 s1, s0
	s_xor_b32 s0, exec_lo, s1
; %bb.402:
	v_cmp_ne_u32_e32 vcc_lo, 0, v251
	v_cndmask_b32_e32 v251, 20, v251, vcc_lo
; %bb.403:
	s_andn2_saveexec_b32 s0, s0
	s_cbranch_execz .LBB116_409
; %bb.404:
	v_cmp_ngt_f64_e64 s1, |v[238:239]|, |v[240:241]|
	s_and_saveexec_b32 s7, s1
	s_xor_b32 s1, exec_lo, s7
	s_cbranch_execz .LBB116_406
; %bb.405:
	v_div_scale_f64 v[214:215], null, v[240:241], v[240:241], v[238:239]
	v_div_scale_f64 v[220:221], vcc_lo, v[238:239], v[240:241], v[238:239]
	v_rcp_f64_e32 v[216:217], v[214:215]
	v_fma_f64 v[218:219], -v[214:215], v[216:217], 1.0
	v_fma_f64 v[216:217], v[216:217], v[218:219], v[216:217]
	v_fma_f64 v[218:219], -v[214:215], v[216:217], 1.0
	v_fma_f64 v[216:217], v[216:217], v[218:219], v[216:217]
	v_mul_f64 v[218:219], v[220:221], v[216:217]
	v_fma_f64 v[214:215], -v[214:215], v[218:219], v[220:221]
	v_div_fmas_f64 v[214:215], v[214:215], v[216:217], v[218:219]
	v_div_fixup_f64 v[214:215], v[214:215], v[240:241], v[238:239]
	v_fma_f64 v[216:217], v[238:239], v[214:215], v[240:241]
	v_div_scale_f64 v[218:219], null, v[216:217], v[216:217], 1.0
	v_rcp_f64_e32 v[220:221], v[218:219]
	v_fma_f64 v[222:223], -v[218:219], v[220:221], 1.0
	v_fma_f64 v[220:221], v[220:221], v[222:223], v[220:221]
	v_fma_f64 v[222:223], -v[218:219], v[220:221], 1.0
	v_fma_f64 v[220:221], v[220:221], v[222:223], v[220:221]
	v_div_scale_f64 v[222:223], vcc_lo, 1.0, v[216:217], 1.0
	v_mul_f64 v[224:225], v[222:223], v[220:221]
	v_fma_f64 v[218:219], -v[218:219], v[224:225], v[222:223]
	v_div_fmas_f64 v[218:219], v[218:219], v[220:221], v[224:225]
	v_div_fixup_f64 v[240:241], v[218:219], v[216:217], 1.0
	v_mul_f64 v[238:239], v[214:215], v[240:241]
	v_xor_b32_e32 v241, 0x80000000, v241
.LBB116_406:
	s_andn2_saveexec_b32 s1, s1
	s_cbranch_execz .LBB116_408
; %bb.407:
	v_div_scale_f64 v[214:215], null, v[238:239], v[238:239], v[240:241]
	v_div_scale_f64 v[220:221], vcc_lo, v[240:241], v[238:239], v[240:241]
	v_rcp_f64_e32 v[216:217], v[214:215]
	v_fma_f64 v[218:219], -v[214:215], v[216:217], 1.0
	v_fma_f64 v[216:217], v[216:217], v[218:219], v[216:217]
	v_fma_f64 v[218:219], -v[214:215], v[216:217], 1.0
	v_fma_f64 v[216:217], v[216:217], v[218:219], v[216:217]
	v_mul_f64 v[218:219], v[220:221], v[216:217]
	v_fma_f64 v[214:215], -v[214:215], v[218:219], v[220:221]
	v_div_fmas_f64 v[214:215], v[214:215], v[216:217], v[218:219]
	v_div_fixup_f64 v[214:215], v[214:215], v[238:239], v[240:241]
	v_fma_f64 v[216:217], v[240:241], v[214:215], v[238:239]
	v_div_scale_f64 v[218:219], null, v[216:217], v[216:217], 1.0
	v_rcp_f64_e32 v[220:221], v[218:219]
	v_fma_f64 v[222:223], -v[218:219], v[220:221], 1.0
	v_fma_f64 v[220:221], v[220:221], v[222:223], v[220:221]
	v_fma_f64 v[222:223], -v[218:219], v[220:221], 1.0
	v_fma_f64 v[220:221], v[220:221], v[222:223], v[220:221]
	v_div_scale_f64 v[222:223], vcc_lo, 1.0, v[216:217], 1.0
	v_mul_f64 v[224:225], v[222:223], v[220:221]
	v_fma_f64 v[218:219], -v[218:219], v[224:225], v[222:223]
	v_div_fmas_f64 v[218:219], v[218:219], v[220:221], v[224:225]
	v_div_fixup_f64 v[238:239], v[218:219], v[216:217], 1.0
	v_mul_f64 v[240:241], v[214:215], -v[238:239]
.LBB116_408:
	s_or_b32 exec_lo, exec_lo, s1
.LBB116_409:
	s_or_b32 exec_lo, exec_lo, s0
	s_mov_b32 s0, exec_lo
	v_cmpx_ne_u32_e64 v252, v246
	s_xor_b32 s0, exec_lo, s0
	s_cbranch_execz .LBB116_415
; %bb.410:
	s_mov_b32 s1, exec_lo
	v_cmpx_eq_u32_e32 19, v252
	s_cbranch_execz .LBB116_414
; %bb.411:
	v_cmp_ne_u32_e32 vcc_lo, 19, v246
	s_xor_b32 s7, s16, -1
	s_and_b32 s9, s7, vcc_lo
	s_and_saveexec_b32 s7, s9
	s_cbranch_execz .LBB116_413
; %bb.412:
	s_clause 0x1
	buffer_load_dword v210, off, s[20:23], 0 offset:16
	buffer_load_dword v211, off, s[20:23], 0 offset:20
	v_ashrrev_i32_e32 v247, 31, v246
	v_lshlrev_b64 v[214:215], 2, v[246:247]
	s_waitcnt vmcnt(1)
	v_add_co_u32 v214, vcc_lo, v210, v214
	s_waitcnt vmcnt(0)
	v_add_co_ci_u32_e64 v215, null, v211, v215, vcc_lo
	s_clause 0x1
	global_load_dword v0, v[214:215], off
	global_load_dword v216, v[210:211], off offset:76
	s_waitcnt vmcnt(1)
	global_store_dword v[210:211], v0, off offset:76
	s_waitcnt vmcnt(0)
	global_store_dword v[214:215], v216, off
.LBB116_413:
	s_or_b32 exec_lo, exec_lo, s7
	v_mov_b32_e32 v252, v246
	v_mov_b32_e32 v0, v246
.LBB116_414:
	s_or_b32 exec_lo, exec_lo, s1
.LBB116_415:
	s_andn2_saveexec_b32 s0, s0
	s_cbranch_execz .LBB116_417
; %bb.416:
	v_mov_b32_e32 v252, 19
	ds_write2_b64 v1, v[154:155], v[156:157] offset0:40 offset1:41
	ds_write2_b64 v1, v[150:151], v[152:153] offset0:42 offset1:43
	ds_write2_b64 v1, v[146:147], v[148:149] offset0:44 offset1:45
	ds_write2_b64 v1, v[142:143], v[144:145] offset0:46 offset1:47
	ds_write2_b64 v1, v[138:139], v[140:141] offset0:48 offset1:49
	ds_write2_b64 v1, v[134:135], v[136:137] offset0:50 offset1:51
	ds_write2_b64 v1, v[130:131], v[132:133] offset0:52 offset1:53
	ds_write2_b64 v1, v[126:127], v[128:129] offset0:54 offset1:55
	ds_write2_b64 v1, v[122:123], v[124:125] offset0:56 offset1:57
	ds_write2_b64 v1, v[118:119], v[120:121] offset0:58 offset1:59
	ds_write2_b64 v1, v[114:115], v[116:117] offset0:60 offset1:61
	ds_write2_b64 v1, v[110:111], v[112:113] offset0:62 offset1:63
	ds_write2_b64 v1, v[106:107], v[108:109] offset0:64 offset1:65
	ds_write2_b64 v1, v[102:103], v[104:105] offset0:66 offset1:67
	ds_write2_b64 v1, v[98:99], v[100:101] offset0:68 offset1:69
	ds_write2_b64 v1, v[94:95], v[96:97] offset0:70 offset1:71
	ds_write2_b64 v1, v[90:91], v[92:93] offset0:72 offset1:73
	ds_write2_b64 v1, v[86:87], v[88:89] offset0:74 offset1:75
	ds_write2_b64 v1, v[82:83], v[84:85] offset0:76 offset1:77
	ds_write2_b64 v1, v[78:79], v[80:81] offset0:78 offset1:79
	ds_write2_b64 v1, v[74:75], v[76:77] offset0:80 offset1:81
	ds_write2_b64 v1, v[70:71], v[72:73] offset0:82 offset1:83
	ds_write2_b64 v1, v[66:67], v[68:69] offset0:84 offset1:85
	ds_write2_b64 v1, v[62:63], v[64:65] offset0:86 offset1:87
	ds_write2_b64 v1, v[58:59], v[60:61] offset0:88 offset1:89
	ds_write2_b64 v1, v[54:55], v[56:57] offset0:90 offset1:91
	ds_write2_b64 v1, v[50:51], v[52:53] offset0:92 offset1:93
	ds_write2_b64 v1, v[46:47], v[48:49] offset0:94 offset1:95
	ds_write2_b64 v1, v[42:43], v[44:45] offset0:96 offset1:97
	ds_write2_b64 v1, v[38:39], v[40:41] offset0:98 offset1:99
	ds_write2_b64 v1, v[34:35], v[36:37] offset0:100 offset1:101
	ds_write2_b64 v1, v[30:31], v[32:33] offset0:102 offset1:103
	ds_write2_b64 v1, v[26:27], v[28:29] offset0:104 offset1:105
	ds_write2_b64 v1, v[22:23], v[24:25] offset0:106 offset1:107
	ds_write2_b64 v1, v[18:19], v[20:21] offset0:108 offset1:109
	ds_write2_b64 v1, v[14:15], v[16:17] offset0:110 offset1:111
	ds_write2_b64 v1, v[232:233], v[234:235] offset0:112 offset1:113
	ds_write2_b64 v1, v[6:7], v[8:9] offset0:114 offset1:115
	ds_write2_b64 v1, v[226:227], v[228:229] offset0:116 offset1:117
.LBB116_417:
	s_or_b32 exec_lo, exec_lo, s0
	s_mov_b32 s0, exec_lo
	s_waitcnt lgkmcnt(0)
	s_waitcnt_vscnt null, 0x0
	s_barrier
	buffer_gl0_inv
	v_cmpx_lt_i32_e32 19, v252
	s_cbranch_execz .LBB116_419
; %bb.418:
	v_mul_f64 v[214:215], v[240:241], v[160:161]
	v_mul_f64 v[160:161], v[238:239], v[160:161]
	v_fma_f64 v[246:247], v[238:239], v[158:159], -v[214:215]
	v_fma_f64 v[160:161], v[240:241], v[158:159], v[160:161]
	ds_read2_b64 v[238:241], v1 offset0:40 offset1:41
	s_waitcnt lgkmcnt(0)
	v_mul_f64 v[158:159], v[240:241], v[160:161]
	v_mul_f64 v[214:215], v[238:239], v[160:161]
	v_fma_f64 v[158:159], v[238:239], v[246:247], -v[158:159]
	v_fma_f64 v[214:215], v[240:241], v[246:247], v[214:215]
	ds_read2_b64 v[238:241], v1 offset0:42 offset1:43
	v_add_f64 v[154:155], v[154:155], -v[158:159]
	v_add_f64 v[156:157], v[156:157], -v[214:215]
	s_waitcnt lgkmcnt(0)
	v_mul_f64 v[158:159], v[240:241], v[160:161]
	v_mul_f64 v[214:215], v[238:239], v[160:161]
	v_fma_f64 v[158:159], v[238:239], v[246:247], -v[158:159]
	v_fma_f64 v[214:215], v[240:241], v[246:247], v[214:215]
	ds_read2_b64 v[238:241], v1 offset0:44 offset1:45
	v_add_f64 v[150:151], v[150:151], -v[158:159]
	v_add_f64 v[152:153], v[152:153], -v[214:215]
	;; [unrolled: 8-line block ×38, first 2 shown]
	s_waitcnt lgkmcnt(0)
	v_mul_f64 v[158:159], v[240:241], v[160:161]
	v_mul_f64 v[214:215], v[238:239], v[160:161]
	v_fma_f64 v[158:159], v[238:239], v[246:247], -v[158:159]
	v_fma_f64 v[214:215], v[240:241], v[246:247], v[214:215]
	v_add_f64 v[226:227], v[226:227], -v[158:159]
	v_add_f64 v[228:229], v[228:229], -v[214:215]
	v_mov_b32_e32 v158, v246
	v_mov_b32_e32 v159, v247
.LBB116_419:
	s_or_b32 exec_lo, exec_lo, s0
	v_lshl_add_u32 v214, v252, 4, v1
	s_barrier
	buffer_gl0_inv
	v_mov_b32_e32 v246, 20
	ds_write2_b64 v214, v[154:155], v[156:157] offset1:1
	s_waitcnt lgkmcnt(0)
	s_barrier
	buffer_gl0_inv
	ds_read2_b64 v[238:241], v1 offset0:40 offset1:41
	s_cmp_lt_i32 s8, 22
	s_cbranch_scc1 .LBB116_422
; %bb.420:
	v_add3_u32 v247, v248, 0, 0x150
	v_mov_b32_e32 v246, 20
	s_mov_b32 s0, 21
	s_inst_prefetch 0x1
	.p2align	6
.LBB116_421:                            ; =>This Inner Loop Header: Depth=1
	s_waitcnt lgkmcnt(0)
	v_cmp_gt_f64_e32 vcc_lo, 0, v[238:239]
	v_xor_b32_e32 v214, 0x80000000, v239
	ds_read2_b64 v[242:245], v247 offset1:1
	v_xor_b32_e32 v216, 0x80000000, v241
	v_add_nc_u32_e32 v247, 16, v247
	s_waitcnt lgkmcnt(0)
	v_xor_b32_e32 v218, 0x80000000, v245
	v_cndmask_b32_e32 v215, v239, v214, vcc_lo
	v_cmp_gt_f64_e32 vcc_lo, 0, v[240:241]
	v_mov_b32_e32 v214, v238
	v_cndmask_b32_e32 v217, v241, v216, vcc_lo
	v_cmp_gt_f64_e32 vcc_lo, 0, v[242:243]
	v_mov_b32_e32 v216, v240
	v_add_f64 v[214:215], v[214:215], v[216:217]
	v_xor_b32_e32 v216, 0x80000000, v243
	v_cndmask_b32_e32 v217, v243, v216, vcc_lo
	v_cmp_gt_f64_e32 vcc_lo, 0, v[244:245]
	v_mov_b32_e32 v216, v242
	v_cndmask_b32_e32 v219, v245, v218, vcc_lo
	v_mov_b32_e32 v218, v244
	v_add_f64 v[216:217], v[216:217], v[218:219]
	v_cmp_lt_f64_e32 vcc_lo, v[214:215], v[216:217]
	v_cndmask_b32_e32 v239, v239, v243, vcc_lo
	v_cndmask_b32_e32 v238, v238, v242, vcc_lo
	;; [unrolled: 1-line block ×4, first 2 shown]
	v_cndmask_b32_e64 v246, v246, s0, vcc_lo
	s_add_i32 s0, s0, 1
	s_cmp_lg_u32 s8, s0
	s_cbranch_scc1 .LBB116_421
.LBB116_422:
	s_inst_prefetch 0x2
	s_waitcnt lgkmcnt(0)
	v_cmp_eq_f64_e32 vcc_lo, 0, v[238:239]
	v_cmp_eq_f64_e64 s0, 0, v[240:241]
	s_and_b32 s0, vcc_lo, s0
	s_and_saveexec_b32 s1, s0
	s_xor_b32 s0, exec_lo, s1
; %bb.423:
	v_cmp_ne_u32_e32 vcc_lo, 0, v251
	v_cndmask_b32_e32 v251, 21, v251, vcc_lo
; %bb.424:
	s_andn2_saveexec_b32 s0, s0
	s_cbranch_execz .LBB116_430
; %bb.425:
	v_cmp_ngt_f64_e64 s1, |v[238:239]|, |v[240:241]|
	s_and_saveexec_b32 s7, s1
	s_xor_b32 s1, exec_lo, s7
	s_cbranch_execz .LBB116_427
; %bb.426:
	v_div_scale_f64 v[214:215], null, v[240:241], v[240:241], v[238:239]
	v_div_scale_f64 v[220:221], vcc_lo, v[238:239], v[240:241], v[238:239]
	v_rcp_f64_e32 v[216:217], v[214:215]
	v_fma_f64 v[218:219], -v[214:215], v[216:217], 1.0
	v_fma_f64 v[216:217], v[216:217], v[218:219], v[216:217]
	v_fma_f64 v[218:219], -v[214:215], v[216:217], 1.0
	v_fma_f64 v[216:217], v[216:217], v[218:219], v[216:217]
	v_mul_f64 v[218:219], v[220:221], v[216:217]
	v_fma_f64 v[214:215], -v[214:215], v[218:219], v[220:221]
	v_div_fmas_f64 v[214:215], v[214:215], v[216:217], v[218:219]
	v_div_fixup_f64 v[214:215], v[214:215], v[240:241], v[238:239]
	v_fma_f64 v[216:217], v[238:239], v[214:215], v[240:241]
	v_div_scale_f64 v[218:219], null, v[216:217], v[216:217], 1.0
	v_rcp_f64_e32 v[220:221], v[218:219]
	v_fma_f64 v[222:223], -v[218:219], v[220:221], 1.0
	v_fma_f64 v[220:221], v[220:221], v[222:223], v[220:221]
	v_fma_f64 v[222:223], -v[218:219], v[220:221], 1.0
	v_fma_f64 v[220:221], v[220:221], v[222:223], v[220:221]
	v_div_scale_f64 v[222:223], vcc_lo, 1.0, v[216:217], 1.0
	v_mul_f64 v[224:225], v[222:223], v[220:221]
	v_fma_f64 v[218:219], -v[218:219], v[224:225], v[222:223]
	v_div_fmas_f64 v[218:219], v[218:219], v[220:221], v[224:225]
	v_div_fixup_f64 v[240:241], v[218:219], v[216:217], 1.0
	v_mul_f64 v[238:239], v[214:215], v[240:241]
	v_xor_b32_e32 v241, 0x80000000, v241
.LBB116_427:
	s_andn2_saveexec_b32 s1, s1
	s_cbranch_execz .LBB116_429
; %bb.428:
	v_div_scale_f64 v[214:215], null, v[238:239], v[238:239], v[240:241]
	v_div_scale_f64 v[220:221], vcc_lo, v[240:241], v[238:239], v[240:241]
	v_rcp_f64_e32 v[216:217], v[214:215]
	v_fma_f64 v[218:219], -v[214:215], v[216:217], 1.0
	v_fma_f64 v[216:217], v[216:217], v[218:219], v[216:217]
	v_fma_f64 v[218:219], -v[214:215], v[216:217], 1.0
	v_fma_f64 v[216:217], v[216:217], v[218:219], v[216:217]
	v_mul_f64 v[218:219], v[220:221], v[216:217]
	v_fma_f64 v[214:215], -v[214:215], v[218:219], v[220:221]
	v_div_fmas_f64 v[214:215], v[214:215], v[216:217], v[218:219]
	v_div_fixup_f64 v[214:215], v[214:215], v[238:239], v[240:241]
	v_fma_f64 v[216:217], v[240:241], v[214:215], v[238:239]
	v_div_scale_f64 v[218:219], null, v[216:217], v[216:217], 1.0
	v_rcp_f64_e32 v[220:221], v[218:219]
	v_fma_f64 v[222:223], -v[218:219], v[220:221], 1.0
	v_fma_f64 v[220:221], v[220:221], v[222:223], v[220:221]
	v_fma_f64 v[222:223], -v[218:219], v[220:221], 1.0
	v_fma_f64 v[220:221], v[220:221], v[222:223], v[220:221]
	v_div_scale_f64 v[222:223], vcc_lo, 1.0, v[216:217], 1.0
	v_mul_f64 v[224:225], v[222:223], v[220:221]
	v_fma_f64 v[218:219], -v[218:219], v[224:225], v[222:223]
	v_div_fmas_f64 v[218:219], v[218:219], v[220:221], v[224:225]
	v_div_fixup_f64 v[238:239], v[218:219], v[216:217], 1.0
	v_mul_f64 v[240:241], v[214:215], -v[238:239]
.LBB116_429:
	s_or_b32 exec_lo, exec_lo, s1
.LBB116_430:
	s_or_b32 exec_lo, exec_lo, s0
	s_mov_b32 s0, exec_lo
	v_cmpx_ne_u32_e64 v252, v246
	s_xor_b32 s0, exec_lo, s0
	s_cbranch_execz .LBB116_436
; %bb.431:
	s_mov_b32 s1, exec_lo
	v_cmpx_eq_u32_e32 20, v252
	s_cbranch_execz .LBB116_435
; %bb.432:
	v_cmp_ne_u32_e32 vcc_lo, 20, v246
	s_xor_b32 s7, s16, -1
	s_and_b32 s9, s7, vcc_lo
	s_and_saveexec_b32 s7, s9
	s_cbranch_execz .LBB116_434
; %bb.433:
	s_clause 0x1
	buffer_load_dword v210, off, s[20:23], 0 offset:16
	buffer_load_dword v211, off, s[20:23], 0 offset:20
	v_ashrrev_i32_e32 v247, 31, v246
	v_lshlrev_b64 v[214:215], 2, v[246:247]
	s_waitcnt vmcnt(1)
	v_add_co_u32 v214, vcc_lo, v210, v214
	s_waitcnt vmcnt(0)
	v_add_co_ci_u32_e64 v215, null, v211, v215, vcc_lo
	s_clause 0x1
	global_load_dword v0, v[214:215], off
	global_load_dword v216, v[210:211], off offset:80
	s_waitcnt vmcnt(1)
	global_store_dword v[210:211], v0, off offset:80
	s_waitcnt vmcnt(0)
	global_store_dword v[214:215], v216, off
.LBB116_434:
	s_or_b32 exec_lo, exec_lo, s7
	v_mov_b32_e32 v252, v246
	v_mov_b32_e32 v0, v246
.LBB116_435:
	s_or_b32 exec_lo, exec_lo, s1
.LBB116_436:
	s_andn2_saveexec_b32 s0, s0
	s_cbranch_execz .LBB116_438
; %bb.437:
	v_mov_b32_e32 v252, 20
	ds_write2_b64 v1, v[150:151], v[152:153] offset0:42 offset1:43
	ds_write2_b64 v1, v[146:147], v[148:149] offset0:44 offset1:45
	;; [unrolled: 1-line block ×38, first 2 shown]
.LBB116_438:
	s_or_b32 exec_lo, exec_lo, s0
	s_mov_b32 s0, exec_lo
	s_waitcnt lgkmcnt(0)
	s_waitcnt_vscnt null, 0x0
	s_barrier
	buffer_gl0_inv
	v_cmpx_lt_i32_e32 20, v252
	s_cbranch_execz .LBB116_440
; %bb.439:
	v_mul_f64 v[214:215], v[240:241], v[156:157]
	v_mul_f64 v[156:157], v[238:239], v[156:157]
	v_fma_f64 v[246:247], v[238:239], v[154:155], -v[214:215]
	v_fma_f64 v[156:157], v[240:241], v[154:155], v[156:157]
	ds_read2_b64 v[238:241], v1 offset0:42 offset1:43
	s_waitcnt lgkmcnt(0)
	v_mul_f64 v[154:155], v[240:241], v[156:157]
	v_mul_f64 v[214:215], v[238:239], v[156:157]
	v_fma_f64 v[154:155], v[238:239], v[246:247], -v[154:155]
	v_fma_f64 v[214:215], v[240:241], v[246:247], v[214:215]
	ds_read2_b64 v[238:241], v1 offset0:44 offset1:45
	v_add_f64 v[150:151], v[150:151], -v[154:155]
	v_add_f64 v[152:153], v[152:153], -v[214:215]
	s_waitcnt lgkmcnt(0)
	v_mul_f64 v[154:155], v[240:241], v[156:157]
	v_mul_f64 v[214:215], v[238:239], v[156:157]
	v_fma_f64 v[154:155], v[238:239], v[246:247], -v[154:155]
	v_fma_f64 v[214:215], v[240:241], v[246:247], v[214:215]
	ds_read2_b64 v[238:241], v1 offset0:46 offset1:47
	v_add_f64 v[146:147], v[146:147], -v[154:155]
	v_add_f64 v[148:149], v[148:149], -v[214:215]
	;; [unrolled: 8-line block ×37, first 2 shown]
	s_waitcnt lgkmcnt(0)
	v_mul_f64 v[154:155], v[240:241], v[156:157]
	v_mul_f64 v[214:215], v[238:239], v[156:157]
	v_fma_f64 v[154:155], v[238:239], v[246:247], -v[154:155]
	v_fma_f64 v[214:215], v[240:241], v[246:247], v[214:215]
	v_add_f64 v[226:227], v[226:227], -v[154:155]
	v_add_f64 v[228:229], v[228:229], -v[214:215]
	v_mov_b32_e32 v154, v246
	v_mov_b32_e32 v155, v247
.LBB116_440:
	s_or_b32 exec_lo, exec_lo, s0
	v_lshl_add_u32 v214, v252, 4, v1
	s_barrier
	buffer_gl0_inv
	v_mov_b32_e32 v246, 21
	ds_write2_b64 v214, v[150:151], v[152:153] offset1:1
	s_waitcnt lgkmcnt(0)
	s_barrier
	buffer_gl0_inv
	ds_read2_b64 v[238:241], v1 offset0:42 offset1:43
	s_cmp_lt_i32 s8, 23
	s_cbranch_scc1 .LBB116_443
; %bb.441:
	v_add3_u32 v247, v248, 0, 0x160
	v_mov_b32_e32 v246, 21
	s_mov_b32 s0, 22
	s_inst_prefetch 0x1
	.p2align	6
.LBB116_442:                            ; =>This Inner Loop Header: Depth=1
	s_waitcnt lgkmcnt(0)
	v_cmp_gt_f64_e32 vcc_lo, 0, v[238:239]
	v_xor_b32_e32 v214, 0x80000000, v239
	ds_read2_b64 v[242:245], v247 offset1:1
	v_xor_b32_e32 v216, 0x80000000, v241
	v_add_nc_u32_e32 v247, 16, v247
	s_waitcnt lgkmcnt(0)
	v_xor_b32_e32 v218, 0x80000000, v245
	v_cndmask_b32_e32 v215, v239, v214, vcc_lo
	v_cmp_gt_f64_e32 vcc_lo, 0, v[240:241]
	v_mov_b32_e32 v214, v238
	v_cndmask_b32_e32 v217, v241, v216, vcc_lo
	v_cmp_gt_f64_e32 vcc_lo, 0, v[242:243]
	v_mov_b32_e32 v216, v240
	v_add_f64 v[214:215], v[214:215], v[216:217]
	v_xor_b32_e32 v216, 0x80000000, v243
	v_cndmask_b32_e32 v217, v243, v216, vcc_lo
	v_cmp_gt_f64_e32 vcc_lo, 0, v[244:245]
	v_mov_b32_e32 v216, v242
	v_cndmask_b32_e32 v219, v245, v218, vcc_lo
	v_mov_b32_e32 v218, v244
	v_add_f64 v[216:217], v[216:217], v[218:219]
	v_cmp_lt_f64_e32 vcc_lo, v[214:215], v[216:217]
	v_cndmask_b32_e32 v239, v239, v243, vcc_lo
	v_cndmask_b32_e32 v238, v238, v242, vcc_lo
	v_cndmask_b32_e32 v241, v241, v245, vcc_lo
	v_cndmask_b32_e32 v240, v240, v244, vcc_lo
	v_cndmask_b32_e64 v246, v246, s0, vcc_lo
	s_add_i32 s0, s0, 1
	s_cmp_lg_u32 s8, s0
	s_cbranch_scc1 .LBB116_442
.LBB116_443:
	s_inst_prefetch 0x2
	s_waitcnt lgkmcnt(0)
	v_cmp_eq_f64_e32 vcc_lo, 0, v[238:239]
	v_cmp_eq_f64_e64 s0, 0, v[240:241]
	s_and_b32 s0, vcc_lo, s0
	s_and_saveexec_b32 s1, s0
	s_xor_b32 s0, exec_lo, s1
; %bb.444:
	v_cmp_ne_u32_e32 vcc_lo, 0, v251
	v_cndmask_b32_e32 v251, 22, v251, vcc_lo
; %bb.445:
	s_andn2_saveexec_b32 s0, s0
	s_cbranch_execz .LBB116_451
; %bb.446:
	v_cmp_ngt_f64_e64 s1, |v[238:239]|, |v[240:241]|
	s_and_saveexec_b32 s7, s1
	s_xor_b32 s1, exec_lo, s7
	s_cbranch_execz .LBB116_448
; %bb.447:
	v_div_scale_f64 v[214:215], null, v[240:241], v[240:241], v[238:239]
	v_div_scale_f64 v[220:221], vcc_lo, v[238:239], v[240:241], v[238:239]
	v_rcp_f64_e32 v[216:217], v[214:215]
	v_fma_f64 v[218:219], -v[214:215], v[216:217], 1.0
	v_fma_f64 v[216:217], v[216:217], v[218:219], v[216:217]
	v_fma_f64 v[218:219], -v[214:215], v[216:217], 1.0
	v_fma_f64 v[216:217], v[216:217], v[218:219], v[216:217]
	v_mul_f64 v[218:219], v[220:221], v[216:217]
	v_fma_f64 v[214:215], -v[214:215], v[218:219], v[220:221]
	v_div_fmas_f64 v[214:215], v[214:215], v[216:217], v[218:219]
	v_div_fixup_f64 v[214:215], v[214:215], v[240:241], v[238:239]
	v_fma_f64 v[216:217], v[238:239], v[214:215], v[240:241]
	v_div_scale_f64 v[218:219], null, v[216:217], v[216:217], 1.0
	v_rcp_f64_e32 v[220:221], v[218:219]
	v_fma_f64 v[222:223], -v[218:219], v[220:221], 1.0
	v_fma_f64 v[220:221], v[220:221], v[222:223], v[220:221]
	v_fma_f64 v[222:223], -v[218:219], v[220:221], 1.0
	v_fma_f64 v[220:221], v[220:221], v[222:223], v[220:221]
	v_div_scale_f64 v[222:223], vcc_lo, 1.0, v[216:217], 1.0
	v_mul_f64 v[224:225], v[222:223], v[220:221]
	v_fma_f64 v[218:219], -v[218:219], v[224:225], v[222:223]
	v_div_fmas_f64 v[218:219], v[218:219], v[220:221], v[224:225]
	v_div_fixup_f64 v[240:241], v[218:219], v[216:217], 1.0
	v_mul_f64 v[238:239], v[214:215], v[240:241]
	v_xor_b32_e32 v241, 0x80000000, v241
.LBB116_448:
	s_andn2_saveexec_b32 s1, s1
	s_cbranch_execz .LBB116_450
; %bb.449:
	v_div_scale_f64 v[214:215], null, v[238:239], v[238:239], v[240:241]
	v_div_scale_f64 v[220:221], vcc_lo, v[240:241], v[238:239], v[240:241]
	v_rcp_f64_e32 v[216:217], v[214:215]
	v_fma_f64 v[218:219], -v[214:215], v[216:217], 1.0
	v_fma_f64 v[216:217], v[216:217], v[218:219], v[216:217]
	v_fma_f64 v[218:219], -v[214:215], v[216:217], 1.0
	v_fma_f64 v[216:217], v[216:217], v[218:219], v[216:217]
	v_mul_f64 v[218:219], v[220:221], v[216:217]
	v_fma_f64 v[214:215], -v[214:215], v[218:219], v[220:221]
	v_div_fmas_f64 v[214:215], v[214:215], v[216:217], v[218:219]
	v_div_fixup_f64 v[214:215], v[214:215], v[238:239], v[240:241]
	v_fma_f64 v[216:217], v[240:241], v[214:215], v[238:239]
	v_div_scale_f64 v[218:219], null, v[216:217], v[216:217], 1.0
	v_rcp_f64_e32 v[220:221], v[218:219]
	v_fma_f64 v[222:223], -v[218:219], v[220:221], 1.0
	v_fma_f64 v[220:221], v[220:221], v[222:223], v[220:221]
	v_fma_f64 v[222:223], -v[218:219], v[220:221], 1.0
	v_fma_f64 v[220:221], v[220:221], v[222:223], v[220:221]
	v_div_scale_f64 v[222:223], vcc_lo, 1.0, v[216:217], 1.0
	v_mul_f64 v[224:225], v[222:223], v[220:221]
	v_fma_f64 v[218:219], -v[218:219], v[224:225], v[222:223]
	v_div_fmas_f64 v[218:219], v[218:219], v[220:221], v[224:225]
	v_div_fixup_f64 v[238:239], v[218:219], v[216:217], 1.0
	v_mul_f64 v[240:241], v[214:215], -v[238:239]
.LBB116_450:
	s_or_b32 exec_lo, exec_lo, s1
.LBB116_451:
	s_or_b32 exec_lo, exec_lo, s0
	s_mov_b32 s0, exec_lo
	v_cmpx_ne_u32_e64 v252, v246
	s_xor_b32 s0, exec_lo, s0
	s_cbranch_execz .LBB116_457
; %bb.452:
	s_mov_b32 s1, exec_lo
	v_cmpx_eq_u32_e32 21, v252
	s_cbranch_execz .LBB116_456
; %bb.453:
	v_cmp_ne_u32_e32 vcc_lo, 21, v246
	s_xor_b32 s7, s16, -1
	s_and_b32 s9, s7, vcc_lo
	s_and_saveexec_b32 s7, s9
	s_cbranch_execz .LBB116_455
; %bb.454:
	s_clause 0x1
	buffer_load_dword v210, off, s[20:23], 0 offset:16
	buffer_load_dword v211, off, s[20:23], 0 offset:20
	v_ashrrev_i32_e32 v247, 31, v246
	v_lshlrev_b64 v[214:215], 2, v[246:247]
	s_waitcnt vmcnt(1)
	v_add_co_u32 v214, vcc_lo, v210, v214
	s_waitcnt vmcnt(0)
	v_add_co_ci_u32_e64 v215, null, v211, v215, vcc_lo
	s_clause 0x1
	global_load_dword v0, v[214:215], off
	global_load_dword v216, v[210:211], off offset:84
	s_waitcnt vmcnt(1)
	global_store_dword v[210:211], v0, off offset:84
	s_waitcnt vmcnt(0)
	global_store_dword v[214:215], v216, off
.LBB116_455:
	s_or_b32 exec_lo, exec_lo, s7
	v_mov_b32_e32 v252, v246
	v_mov_b32_e32 v0, v246
.LBB116_456:
	s_or_b32 exec_lo, exec_lo, s1
.LBB116_457:
	s_andn2_saveexec_b32 s0, s0
	s_cbranch_execz .LBB116_459
; %bb.458:
	v_mov_b32_e32 v252, 21
	ds_write2_b64 v1, v[146:147], v[148:149] offset0:44 offset1:45
	ds_write2_b64 v1, v[142:143], v[144:145] offset0:46 offset1:47
	;; [unrolled: 1-line block ×37, first 2 shown]
.LBB116_459:
	s_or_b32 exec_lo, exec_lo, s0
	s_mov_b32 s0, exec_lo
	s_waitcnt lgkmcnt(0)
	s_waitcnt_vscnt null, 0x0
	s_barrier
	buffer_gl0_inv
	v_cmpx_lt_i32_e32 21, v252
	s_cbranch_execz .LBB116_461
; %bb.460:
	v_mul_f64 v[214:215], v[240:241], v[152:153]
	v_mul_f64 v[152:153], v[238:239], v[152:153]
	v_fma_f64 v[246:247], v[238:239], v[150:151], -v[214:215]
	v_fma_f64 v[152:153], v[240:241], v[150:151], v[152:153]
	ds_read2_b64 v[238:241], v1 offset0:44 offset1:45
	s_waitcnt lgkmcnt(0)
	v_mul_f64 v[150:151], v[240:241], v[152:153]
	v_mul_f64 v[214:215], v[238:239], v[152:153]
	v_fma_f64 v[150:151], v[238:239], v[246:247], -v[150:151]
	v_fma_f64 v[214:215], v[240:241], v[246:247], v[214:215]
	ds_read2_b64 v[238:241], v1 offset0:46 offset1:47
	v_add_f64 v[146:147], v[146:147], -v[150:151]
	v_add_f64 v[148:149], v[148:149], -v[214:215]
	s_waitcnt lgkmcnt(0)
	v_mul_f64 v[150:151], v[240:241], v[152:153]
	v_mul_f64 v[214:215], v[238:239], v[152:153]
	v_fma_f64 v[150:151], v[238:239], v[246:247], -v[150:151]
	v_fma_f64 v[214:215], v[240:241], v[246:247], v[214:215]
	ds_read2_b64 v[238:241], v1 offset0:48 offset1:49
	v_add_f64 v[142:143], v[142:143], -v[150:151]
	v_add_f64 v[144:145], v[144:145], -v[214:215]
	;; [unrolled: 8-line block ×36, first 2 shown]
	s_waitcnt lgkmcnt(0)
	v_mul_f64 v[150:151], v[240:241], v[152:153]
	v_mul_f64 v[214:215], v[238:239], v[152:153]
	v_fma_f64 v[150:151], v[238:239], v[246:247], -v[150:151]
	v_fma_f64 v[214:215], v[240:241], v[246:247], v[214:215]
	v_add_f64 v[226:227], v[226:227], -v[150:151]
	v_add_f64 v[228:229], v[228:229], -v[214:215]
	v_mov_b32_e32 v150, v246
	v_mov_b32_e32 v151, v247
.LBB116_461:
	s_or_b32 exec_lo, exec_lo, s0
	v_lshl_add_u32 v214, v252, 4, v1
	s_barrier
	buffer_gl0_inv
	v_mov_b32_e32 v246, 22
	ds_write2_b64 v214, v[146:147], v[148:149] offset1:1
	s_waitcnt lgkmcnt(0)
	s_barrier
	buffer_gl0_inv
	ds_read2_b64 v[238:241], v1 offset0:44 offset1:45
	s_cmp_lt_i32 s8, 24
	s_cbranch_scc1 .LBB116_464
; %bb.462:
	v_add3_u32 v247, v248, 0, 0x170
	v_mov_b32_e32 v246, 22
	s_mov_b32 s0, 23
	s_inst_prefetch 0x1
	.p2align	6
.LBB116_463:                            ; =>This Inner Loop Header: Depth=1
	s_waitcnt lgkmcnt(0)
	v_cmp_gt_f64_e32 vcc_lo, 0, v[238:239]
	v_xor_b32_e32 v214, 0x80000000, v239
	ds_read2_b64 v[242:245], v247 offset1:1
	v_xor_b32_e32 v216, 0x80000000, v241
	v_add_nc_u32_e32 v247, 16, v247
	s_waitcnt lgkmcnt(0)
	v_xor_b32_e32 v218, 0x80000000, v245
	v_cndmask_b32_e32 v215, v239, v214, vcc_lo
	v_cmp_gt_f64_e32 vcc_lo, 0, v[240:241]
	v_mov_b32_e32 v214, v238
	v_cndmask_b32_e32 v217, v241, v216, vcc_lo
	v_cmp_gt_f64_e32 vcc_lo, 0, v[242:243]
	v_mov_b32_e32 v216, v240
	v_add_f64 v[214:215], v[214:215], v[216:217]
	v_xor_b32_e32 v216, 0x80000000, v243
	v_cndmask_b32_e32 v217, v243, v216, vcc_lo
	v_cmp_gt_f64_e32 vcc_lo, 0, v[244:245]
	v_mov_b32_e32 v216, v242
	v_cndmask_b32_e32 v219, v245, v218, vcc_lo
	v_mov_b32_e32 v218, v244
	v_add_f64 v[216:217], v[216:217], v[218:219]
	v_cmp_lt_f64_e32 vcc_lo, v[214:215], v[216:217]
	v_cndmask_b32_e32 v239, v239, v243, vcc_lo
	v_cndmask_b32_e32 v238, v238, v242, vcc_lo
	;; [unrolled: 1-line block ×4, first 2 shown]
	v_cndmask_b32_e64 v246, v246, s0, vcc_lo
	s_add_i32 s0, s0, 1
	s_cmp_lg_u32 s8, s0
	s_cbranch_scc1 .LBB116_463
.LBB116_464:
	s_inst_prefetch 0x2
	s_waitcnt lgkmcnt(0)
	v_cmp_eq_f64_e32 vcc_lo, 0, v[238:239]
	v_cmp_eq_f64_e64 s0, 0, v[240:241]
	s_and_b32 s0, vcc_lo, s0
	s_and_saveexec_b32 s1, s0
	s_xor_b32 s0, exec_lo, s1
; %bb.465:
	v_cmp_ne_u32_e32 vcc_lo, 0, v251
	v_cndmask_b32_e32 v251, 23, v251, vcc_lo
; %bb.466:
	s_andn2_saveexec_b32 s0, s0
	s_cbranch_execz .LBB116_472
; %bb.467:
	v_cmp_ngt_f64_e64 s1, |v[238:239]|, |v[240:241]|
	s_and_saveexec_b32 s7, s1
	s_xor_b32 s1, exec_lo, s7
	s_cbranch_execz .LBB116_469
; %bb.468:
	v_div_scale_f64 v[214:215], null, v[240:241], v[240:241], v[238:239]
	v_div_scale_f64 v[220:221], vcc_lo, v[238:239], v[240:241], v[238:239]
	v_rcp_f64_e32 v[216:217], v[214:215]
	v_fma_f64 v[218:219], -v[214:215], v[216:217], 1.0
	v_fma_f64 v[216:217], v[216:217], v[218:219], v[216:217]
	v_fma_f64 v[218:219], -v[214:215], v[216:217], 1.0
	v_fma_f64 v[216:217], v[216:217], v[218:219], v[216:217]
	v_mul_f64 v[218:219], v[220:221], v[216:217]
	v_fma_f64 v[214:215], -v[214:215], v[218:219], v[220:221]
	v_div_fmas_f64 v[214:215], v[214:215], v[216:217], v[218:219]
	v_div_fixup_f64 v[214:215], v[214:215], v[240:241], v[238:239]
	v_fma_f64 v[216:217], v[238:239], v[214:215], v[240:241]
	v_div_scale_f64 v[218:219], null, v[216:217], v[216:217], 1.0
	v_rcp_f64_e32 v[220:221], v[218:219]
	v_fma_f64 v[222:223], -v[218:219], v[220:221], 1.0
	v_fma_f64 v[220:221], v[220:221], v[222:223], v[220:221]
	v_fma_f64 v[222:223], -v[218:219], v[220:221], 1.0
	v_fma_f64 v[220:221], v[220:221], v[222:223], v[220:221]
	v_div_scale_f64 v[222:223], vcc_lo, 1.0, v[216:217], 1.0
	v_mul_f64 v[224:225], v[222:223], v[220:221]
	v_fma_f64 v[218:219], -v[218:219], v[224:225], v[222:223]
	v_div_fmas_f64 v[218:219], v[218:219], v[220:221], v[224:225]
	v_div_fixup_f64 v[240:241], v[218:219], v[216:217], 1.0
	v_mul_f64 v[238:239], v[214:215], v[240:241]
	v_xor_b32_e32 v241, 0x80000000, v241
.LBB116_469:
	s_andn2_saveexec_b32 s1, s1
	s_cbranch_execz .LBB116_471
; %bb.470:
	v_div_scale_f64 v[214:215], null, v[238:239], v[238:239], v[240:241]
	v_div_scale_f64 v[220:221], vcc_lo, v[240:241], v[238:239], v[240:241]
	v_rcp_f64_e32 v[216:217], v[214:215]
	v_fma_f64 v[218:219], -v[214:215], v[216:217], 1.0
	v_fma_f64 v[216:217], v[216:217], v[218:219], v[216:217]
	v_fma_f64 v[218:219], -v[214:215], v[216:217], 1.0
	v_fma_f64 v[216:217], v[216:217], v[218:219], v[216:217]
	v_mul_f64 v[218:219], v[220:221], v[216:217]
	v_fma_f64 v[214:215], -v[214:215], v[218:219], v[220:221]
	v_div_fmas_f64 v[214:215], v[214:215], v[216:217], v[218:219]
	v_div_fixup_f64 v[214:215], v[214:215], v[238:239], v[240:241]
	v_fma_f64 v[216:217], v[240:241], v[214:215], v[238:239]
	v_div_scale_f64 v[218:219], null, v[216:217], v[216:217], 1.0
	v_rcp_f64_e32 v[220:221], v[218:219]
	v_fma_f64 v[222:223], -v[218:219], v[220:221], 1.0
	v_fma_f64 v[220:221], v[220:221], v[222:223], v[220:221]
	v_fma_f64 v[222:223], -v[218:219], v[220:221], 1.0
	v_fma_f64 v[220:221], v[220:221], v[222:223], v[220:221]
	v_div_scale_f64 v[222:223], vcc_lo, 1.0, v[216:217], 1.0
	v_mul_f64 v[224:225], v[222:223], v[220:221]
	v_fma_f64 v[218:219], -v[218:219], v[224:225], v[222:223]
	v_div_fmas_f64 v[218:219], v[218:219], v[220:221], v[224:225]
	v_div_fixup_f64 v[238:239], v[218:219], v[216:217], 1.0
	v_mul_f64 v[240:241], v[214:215], -v[238:239]
.LBB116_471:
	s_or_b32 exec_lo, exec_lo, s1
.LBB116_472:
	s_or_b32 exec_lo, exec_lo, s0
	s_mov_b32 s0, exec_lo
	v_cmpx_ne_u32_e64 v252, v246
	s_xor_b32 s0, exec_lo, s0
	s_cbranch_execz .LBB116_478
; %bb.473:
	s_mov_b32 s1, exec_lo
	v_cmpx_eq_u32_e32 22, v252
	s_cbranch_execz .LBB116_477
; %bb.474:
	v_cmp_ne_u32_e32 vcc_lo, 22, v246
	s_xor_b32 s7, s16, -1
	s_and_b32 s9, s7, vcc_lo
	s_and_saveexec_b32 s7, s9
	s_cbranch_execz .LBB116_476
; %bb.475:
	s_clause 0x1
	buffer_load_dword v210, off, s[20:23], 0 offset:16
	buffer_load_dword v211, off, s[20:23], 0 offset:20
	v_ashrrev_i32_e32 v247, 31, v246
	v_lshlrev_b64 v[214:215], 2, v[246:247]
	s_waitcnt vmcnt(1)
	v_add_co_u32 v214, vcc_lo, v210, v214
	s_waitcnt vmcnt(0)
	v_add_co_ci_u32_e64 v215, null, v211, v215, vcc_lo
	s_clause 0x1
	global_load_dword v0, v[214:215], off
	global_load_dword v216, v[210:211], off offset:88
	s_waitcnt vmcnt(1)
	global_store_dword v[210:211], v0, off offset:88
	s_waitcnt vmcnt(0)
	global_store_dword v[214:215], v216, off
.LBB116_476:
	s_or_b32 exec_lo, exec_lo, s7
	v_mov_b32_e32 v252, v246
	v_mov_b32_e32 v0, v246
.LBB116_477:
	s_or_b32 exec_lo, exec_lo, s1
.LBB116_478:
	s_andn2_saveexec_b32 s0, s0
	s_cbranch_execz .LBB116_480
; %bb.479:
	v_mov_b32_e32 v252, 22
	ds_write2_b64 v1, v[142:143], v[144:145] offset0:46 offset1:47
	ds_write2_b64 v1, v[138:139], v[140:141] offset0:48 offset1:49
	;; [unrolled: 1-line block ×36, first 2 shown]
.LBB116_480:
	s_or_b32 exec_lo, exec_lo, s0
	s_mov_b32 s0, exec_lo
	s_waitcnt lgkmcnt(0)
	s_waitcnt_vscnt null, 0x0
	s_barrier
	buffer_gl0_inv
	v_cmpx_lt_i32_e32 22, v252
	s_cbranch_execz .LBB116_482
; %bb.481:
	v_mul_f64 v[214:215], v[240:241], v[148:149]
	v_mul_f64 v[148:149], v[238:239], v[148:149]
	v_fma_f64 v[246:247], v[238:239], v[146:147], -v[214:215]
	v_fma_f64 v[148:149], v[240:241], v[146:147], v[148:149]
	ds_read2_b64 v[238:241], v1 offset0:46 offset1:47
	s_waitcnt lgkmcnt(0)
	v_mul_f64 v[146:147], v[240:241], v[148:149]
	v_mul_f64 v[214:215], v[238:239], v[148:149]
	v_fma_f64 v[146:147], v[238:239], v[246:247], -v[146:147]
	v_fma_f64 v[214:215], v[240:241], v[246:247], v[214:215]
	ds_read2_b64 v[238:241], v1 offset0:48 offset1:49
	v_add_f64 v[142:143], v[142:143], -v[146:147]
	v_add_f64 v[144:145], v[144:145], -v[214:215]
	s_waitcnt lgkmcnt(0)
	v_mul_f64 v[146:147], v[240:241], v[148:149]
	v_mul_f64 v[214:215], v[238:239], v[148:149]
	v_fma_f64 v[146:147], v[238:239], v[246:247], -v[146:147]
	v_fma_f64 v[214:215], v[240:241], v[246:247], v[214:215]
	ds_read2_b64 v[238:241], v1 offset0:50 offset1:51
	v_add_f64 v[138:139], v[138:139], -v[146:147]
	v_add_f64 v[140:141], v[140:141], -v[214:215]
	s_waitcnt lgkmcnt(0)
	v_mul_f64 v[146:147], v[240:241], v[148:149]
	v_mul_f64 v[214:215], v[238:239], v[148:149]
	v_fma_f64 v[146:147], v[238:239], v[246:247], -v[146:147]
	v_fma_f64 v[214:215], v[240:241], v[246:247], v[214:215]
	ds_read2_b64 v[238:241], v1 offset0:52 offset1:53
	v_add_f64 v[134:135], v[134:135], -v[146:147]
	v_add_f64 v[136:137], v[136:137], -v[214:215]
	s_waitcnt lgkmcnt(0)
	v_mul_f64 v[146:147], v[240:241], v[148:149]
	v_mul_f64 v[214:215], v[238:239], v[148:149]
	v_fma_f64 v[146:147], v[238:239], v[246:247], -v[146:147]
	v_fma_f64 v[214:215], v[240:241], v[246:247], v[214:215]
	ds_read2_b64 v[238:241], v1 offset0:54 offset1:55
	v_add_f64 v[130:131], v[130:131], -v[146:147]
	v_add_f64 v[132:133], v[132:133], -v[214:215]
	s_waitcnt lgkmcnt(0)
	v_mul_f64 v[146:147], v[240:241], v[148:149]
	v_mul_f64 v[214:215], v[238:239], v[148:149]
	v_fma_f64 v[146:147], v[238:239], v[246:247], -v[146:147]
	v_fma_f64 v[214:215], v[240:241], v[246:247], v[214:215]
	ds_read2_b64 v[238:241], v1 offset0:56 offset1:57
	v_add_f64 v[126:127], v[126:127], -v[146:147]
	v_add_f64 v[128:129], v[128:129], -v[214:215]
	s_waitcnt lgkmcnt(0)
	v_mul_f64 v[146:147], v[240:241], v[148:149]
	v_mul_f64 v[214:215], v[238:239], v[148:149]
	v_fma_f64 v[146:147], v[238:239], v[246:247], -v[146:147]
	v_fma_f64 v[214:215], v[240:241], v[246:247], v[214:215]
	ds_read2_b64 v[238:241], v1 offset0:58 offset1:59
	v_add_f64 v[122:123], v[122:123], -v[146:147]
	v_add_f64 v[124:125], v[124:125], -v[214:215]
	s_waitcnt lgkmcnt(0)
	v_mul_f64 v[146:147], v[240:241], v[148:149]
	v_mul_f64 v[214:215], v[238:239], v[148:149]
	v_fma_f64 v[146:147], v[238:239], v[246:247], -v[146:147]
	v_fma_f64 v[214:215], v[240:241], v[246:247], v[214:215]
	ds_read2_b64 v[238:241], v1 offset0:60 offset1:61
	v_add_f64 v[118:119], v[118:119], -v[146:147]
	v_add_f64 v[120:121], v[120:121], -v[214:215]
	s_waitcnt lgkmcnt(0)
	v_mul_f64 v[146:147], v[240:241], v[148:149]
	v_mul_f64 v[214:215], v[238:239], v[148:149]
	v_fma_f64 v[146:147], v[238:239], v[246:247], -v[146:147]
	v_fma_f64 v[214:215], v[240:241], v[246:247], v[214:215]
	ds_read2_b64 v[238:241], v1 offset0:62 offset1:63
	v_add_f64 v[114:115], v[114:115], -v[146:147]
	v_add_f64 v[116:117], v[116:117], -v[214:215]
	s_waitcnt lgkmcnt(0)
	v_mul_f64 v[146:147], v[240:241], v[148:149]
	v_mul_f64 v[214:215], v[238:239], v[148:149]
	v_fma_f64 v[146:147], v[238:239], v[246:247], -v[146:147]
	v_fma_f64 v[214:215], v[240:241], v[246:247], v[214:215]
	ds_read2_b64 v[238:241], v1 offset0:64 offset1:65
	v_add_f64 v[110:111], v[110:111], -v[146:147]
	v_add_f64 v[112:113], v[112:113], -v[214:215]
	s_waitcnt lgkmcnt(0)
	v_mul_f64 v[146:147], v[240:241], v[148:149]
	v_mul_f64 v[214:215], v[238:239], v[148:149]
	v_fma_f64 v[146:147], v[238:239], v[246:247], -v[146:147]
	v_fma_f64 v[214:215], v[240:241], v[246:247], v[214:215]
	ds_read2_b64 v[238:241], v1 offset0:66 offset1:67
	v_add_f64 v[106:107], v[106:107], -v[146:147]
	v_add_f64 v[108:109], v[108:109], -v[214:215]
	s_waitcnt lgkmcnt(0)
	v_mul_f64 v[146:147], v[240:241], v[148:149]
	v_mul_f64 v[214:215], v[238:239], v[148:149]
	v_fma_f64 v[146:147], v[238:239], v[246:247], -v[146:147]
	v_fma_f64 v[214:215], v[240:241], v[246:247], v[214:215]
	ds_read2_b64 v[238:241], v1 offset0:68 offset1:69
	v_add_f64 v[102:103], v[102:103], -v[146:147]
	v_add_f64 v[104:105], v[104:105], -v[214:215]
	s_waitcnt lgkmcnt(0)
	v_mul_f64 v[146:147], v[240:241], v[148:149]
	v_mul_f64 v[214:215], v[238:239], v[148:149]
	v_fma_f64 v[146:147], v[238:239], v[246:247], -v[146:147]
	v_fma_f64 v[214:215], v[240:241], v[246:247], v[214:215]
	ds_read2_b64 v[238:241], v1 offset0:70 offset1:71
	v_add_f64 v[98:99], v[98:99], -v[146:147]
	v_add_f64 v[100:101], v[100:101], -v[214:215]
	s_waitcnt lgkmcnt(0)
	v_mul_f64 v[146:147], v[240:241], v[148:149]
	v_mul_f64 v[214:215], v[238:239], v[148:149]
	v_fma_f64 v[146:147], v[238:239], v[246:247], -v[146:147]
	v_fma_f64 v[214:215], v[240:241], v[246:247], v[214:215]
	ds_read2_b64 v[238:241], v1 offset0:72 offset1:73
	v_add_f64 v[94:95], v[94:95], -v[146:147]
	v_add_f64 v[96:97], v[96:97], -v[214:215]
	s_waitcnt lgkmcnt(0)
	v_mul_f64 v[146:147], v[240:241], v[148:149]
	v_mul_f64 v[214:215], v[238:239], v[148:149]
	v_fma_f64 v[146:147], v[238:239], v[246:247], -v[146:147]
	v_fma_f64 v[214:215], v[240:241], v[246:247], v[214:215]
	ds_read2_b64 v[238:241], v1 offset0:74 offset1:75
	v_add_f64 v[90:91], v[90:91], -v[146:147]
	v_add_f64 v[92:93], v[92:93], -v[214:215]
	s_waitcnt lgkmcnt(0)
	v_mul_f64 v[146:147], v[240:241], v[148:149]
	v_mul_f64 v[214:215], v[238:239], v[148:149]
	v_fma_f64 v[146:147], v[238:239], v[246:247], -v[146:147]
	v_fma_f64 v[214:215], v[240:241], v[246:247], v[214:215]
	ds_read2_b64 v[238:241], v1 offset0:76 offset1:77
	v_add_f64 v[86:87], v[86:87], -v[146:147]
	v_add_f64 v[88:89], v[88:89], -v[214:215]
	s_waitcnt lgkmcnt(0)
	v_mul_f64 v[146:147], v[240:241], v[148:149]
	v_mul_f64 v[214:215], v[238:239], v[148:149]
	v_fma_f64 v[146:147], v[238:239], v[246:247], -v[146:147]
	v_fma_f64 v[214:215], v[240:241], v[246:247], v[214:215]
	ds_read2_b64 v[238:241], v1 offset0:78 offset1:79
	v_add_f64 v[82:83], v[82:83], -v[146:147]
	v_add_f64 v[84:85], v[84:85], -v[214:215]
	s_waitcnt lgkmcnt(0)
	v_mul_f64 v[146:147], v[240:241], v[148:149]
	v_mul_f64 v[214:215], v[238:239], v[148:149]
	v_fma_f64 v[146:147], v[238:239], v[246:247], -v[146:147]
	v_fma_f64 v[214:215], v[240:241], v[246:247], v[214:215]
	ds_read2_b64 v[238:241], v1 offset0:80 offset1:81
	v_add_f64 v[78:79], v[78:79], -v[146:147]
	v_add_f64 v[80:81], v[80:81], -v[214:215]
	s_waitcnt lgkmcnt(0)
	v_mul_f64 v[146:147], v[240:241], v[148:149]
	v_mul_f64 v[214:215], v[238:239], v[148:149]
	v_fma_f64 v[146:147], v[238:239], v[246:247], -v[146:147]
	v_fma_f64 v[214:215], v[240:241], v[246:247], v[214:215]
	ds_read2_b64 v[238:241], v1 offset0:82 offset1:83
	v_add_f64 v[74:75], v[74:75], -v[146:147]
	v_add_f64 v[76:77], v[76:77], -v[214:215]
	s_waitcnt lgkmcnt(0)
	v_mul_f64 v[146:147], v[240:241], v[148:149]
	v_mul_f64 v[214:215], v[238:239], v[148:149]
	v_fma_f64 v[146:147], v[238:239], v[246:247], -v[146:147]
	v_fma_f64 v[214:215], v[240:241], v[246:247], v[214:215]
	ds_read2_b64 v[238:241], v1 offset0:84 offset1:85
	v_add_f64 v[70:71], v[70:71], -v[146:147]
	v_add_f64 v[72:73], v[72:73], -v[214:215]
	s_waitcnt lgkmcnt(0)
	v_mul_f64 v[146:147], v[240:241], v[148:149]
	v_mul_f64 v[214:215], v[238:239], v[148:149]
	v_fma_f64 v[146:147], v[238:239], v[246:247], -v[146:147]
	v_fma_f64 v[214:215], v[240:241], v[246:247], v[214:215]
	ds_read2_b64 v[238:241], v1 offset0:86 offset1:87
	v_add_f64 v[66:67], v[66:67], -v[146:147]
	v_add_f64 v[68:69], v[68:69], -v[214:215]
	s_waitcnt lgkmcnt(0)
	v_mul_f64 v[146:147], v[240:241], v[148:149]
	v_mul_f64 v[214:215], v[238:239], v[148:149]
	v_fma_f64 v[146:147], v[238:239], v[246:247], -v[146:147]
	v_fma_f64 v[214:215], v[240:241], v[246:247], v[214:215]
	ds_read2_b64 v[238:241], v1 offset0:88 offset1:89
	v_add_f64 v[62:63], v[62:63], -v[146:147]
	v_add_f64 v[64:65], v[64:65], -v[214:215]
	s_waitcnt lgkmcnt(0)
	v_mul_f64 v[146:147], v[240:241], v[148:149]
	v_mul_f64 v[214:215], v[238:239], v[148:149]
	v_fma_f64 v[146:147], v[238:239], v[246:247], -v[146:147]
	v_fma_f64 v[214:215], v[240:241], v[246:247], v[214:215]
	ds_read2_b64 v[238:241], v1 offset0:90 offset1:91
	v_add_f64 v[58:59], v[58:59], -v[146:147]
	v_add_f64 v[60:61], v[60:61], -v[214:215]
	s_waitcnt lgkmcnt(0)
	v_mul_f64 v[146:147], v[240:241], v[148:149]
	v_mul_f64 v[214:215], v[238:239], v[148:149]
	v_fma_f64 v[146:147], v[238:239], v[246:247], -v[146:147]
	v_fma_f64 v[214:215], v[240:241], v[246:247], v[214:215]
	ds_read2_b64 v[238:241], v1 offset0:92 offset1:93
	v_add_f64 v[54:55], v[54:55], -v[146:147]
	v_add_f64 v[56:57], v[56:57], -v[214:215]
	s_waitcnt lgkmcnt(0)
	v_mul_f64 v[146:147], v[240:241], v[148:149]
	v_mul_f64 v[214:215], v[238:239], v[148:149]
	v_fma_f64 v[146:147], v[238:239], v[246:247], -v[146:147]
	v_fma_f64 v[214:215], v[240:241], v[246:247], v[214:215]
	ds_read2_b64 v[238:241], v1 offset0:94 offset1:95
	v_add_f64 v[50:51], v[50:51], -v[146:147]
	v_add_f64 v[52:53], v[52:53], -v[214:215]
	s_waitcnt lgkmcnt(0)
	v_mul_f64 v[146:147], v[240:241], v[148:149]
	v_mul_f64 v[214:215], v[238:239], v[148:149]
	v_fma_f64 v[146:147], v[238:239], v[246:247], -v[146:147]
	v_fma_f64 v[214:215], v[240:241], v[246:247], v[214:215]
	ds_read2_b64 v[238:241], v1 offset0:96 offset1:97
	v_add_f64 v[46:47], v[46:47], -v[146:147]
	v_add_f64 v[48:49], v[48:49], -v[214:215]
	s_waitcnt lgkmcnt(0)
	v_mul_f64 v[146:147], v[240:241], v[148:149]
	v_mul_f64 v[214:215], v[238:239], v[148:149]
	v_fma_f64 v[146:147], v[238:239], v[246:247], -v[146:147]
	v_fma_f64 v[214:215], v[240:241], v[246:247], v[214:215]
	ds_read2_b64 v[238:241], v1 offset0:98 offset1:99
	v_add_f64 v[42:43], v[42:43], -v[146:147]
	v_add_f64 v[44:45], v[44:45], -v[214:215]
	s_waitcnt lgkmcnt(0)
	v_mul_f64 v[146:147], v[240:241], v[148:149]
	v_mul_f64 v[214:215], v[238:239], v[148:149]
	v_fma_f64 v[146:147], v[238:239], v[246:247], -v[146:147]
	v_fma_f64 v[214:215], v[240:241], v[246:247], v[214:215]
	ds_read2_b64 v[238:241], v1 offset0:100 offset1:101
	v_add_f64 v[38:39], v[38:39], -v[146:147]
	v_add_f64 v[40:41], v[40:41], -v[214:215]
	s_waitcnt lgkmcnt(0)
	v_mul_f64 v[146:147], v[240:241], v[148:149]
	v_mul_f64 v[214:215], v[238:239], v[148:149]
	v_fma_f64 v[146:147], v[238:239], v[246:247], -v[146:147]
	v_fma_f64 v[214:215], v[240:241], v[246:247], v[214:215]
	ds_read2_b64 v[238:241], v1 offset0:102 offset1:103
	v_add_f64 v[34:35], v[34:35], -v[146:147]
	v_add_f64 v[36:37], v[36:37], -v[214:215]
	s_waitcnt lgkmcnt(0)
	v_mul_f64 v[146:147], v[240:241], v[148:149]
	v_mul_f64 v[214:215], v[238:239], v[148:149]
	v_fma_f64 v[146:147], v[238:239], v[246:247], -v[146:147]
	v_fma_f64 v[214:215], v[240:241], v[246:247], v[214:215]
	ds_read2_b64 v[238:241], v1 offset0:104 offset1:105
	v_add_f64 v[30:31], v[30:31], -v[146:147]
	v_add_f64 v[32:33], v[32:33], -v[214:215]
	s_waitcnt lgkmcnt(0)
	v_mul_f64 v[146:147], v[240:241], v[148:149]
	v_mul_f64 v[214:215], v[238:239], v[148:149]
	v_fma_f64 v[146:147], v[238:239], v[246:247], -v[146:147]
	v_fma_f64 v[214:215], v[240:241], v[246:247], v[214:215]
	ds_read2_b64 v[238:241], v1 offset0:106 offset1:107
	v_add_f64 v[26:27], v[26:27], -v[146:147]
	v_add_f64 v[28:29], v[28:29], -v[214:215]
	s_waitcnt lgkmcnt(0)
	v_mul_f64 v[146:147], v[240:241], v[148:149]
	v_mul_f64 v[214:215], v[238:239], v[148:149]
	v_fma_f64 v[146:147], v[238:239], v[246:247], -v[146:147]
	v_fma_f64 v[214:215], v[240:241], v[246:247], v[214:215]
	ds_read2_b64 v[238:241], v1 offset0:108 offset1:109
	v_add_f64 v[22:23], v[22:23], -v[146:147]
	v_add_f64 v[24:25], v[24:25], -v[214:215]
	s_waitcnt lgkmcnt(0)
	v_mul_f64 v[146:147], v[240:241], v[148:149]
	v_mul_f64 v[214:215], v[238:239], v[148:149]
	v_fma_f64 v[146:147], v[238:239], v[246:247], -v[146:147]
	v_fma_f64 v[214:215], v[240:241], v[246:247], v[214:215]
	ds_read2_b64 v[238:241], v1 offset0:110 offset1:111
	v_add_f64 v[18:19], v[18:19], -v[146:147]
	v_add_f64 v[20:21], v[20:21], -v[214:215]
	s_waitcnt lgkmcnt(0)
	v_mul_f64 v[146:147], v[240:241], v[148:149]
	v_mul_f64 v[214:215], v[238:239], v[148:149]
	v_fma_f64 v[146:147], v[238:239], v[246:247], -v[146:147]
	v_fma_f64 v[214:215], v[240:241], v[246:247], v[214:215]
	ds_read2_b64 v[238:241], v1 offset0:112 offset1:113
	v_add_f64 v[14:15], v[14:15], -v[146:147]
	v_add_f64 v[16:17], v[16:17], -v[214:215]
	s_waitcnt lgkmcnt(0)
	v_mul_f64 v[146:147], v[240:241], v[148:149]
	v_mul_f64 v[214:215], v[238:239], v[148:149]
	v_fma_f64 v[146:147], v[238:239], v[246:247], -v[146:147]
	v_fma_f64 v[214:215], v[240:241], v[246:247], v[214:215]
	ds_read2_b64 v[238:241], v1 offset0:114 offset1:115
	v_add_f64 v[232:233], v[232:233], -v[146:147]
	v_add_f64 v[234:235], v[234:235], -v[214:215]
	s_waitcnt lgkmcnt(0)
	v_mul_f64 v[146:147], v[240:241], v[148:149]
	v_mul_f64 v[214:215], v[238:239], v[148:149]
	v_fma_f64 v[146:147], v[238:239], v[246:247], -v[146:147]
	v_fma_f64 v[214:215], v[240:241], v[246:247], v[214:215]
	ds_read2_b64 v[238:241], v1 offset0:116 offset1:117
	v_add_f64 v[6:7], v[6:7], -v[146:147]
	v_add_f64 v[8:9], v[8:9], -v[214:215]
	s_waitcnt lgkmcnt(0)
	v_mul_f64 v[146:147], v[240:241], v[148:149]
	v_mul_f64 v[214:215], v[238:239], v[148:149]
	v_fma_f64 v[146:147], v[238:239], v[246:247], -v[146:147]
	v_fma_f64 v[214:215], v[240:241], v[246:247], v[214:215]
	v_add_f64 v[226:227], v[226:227], -v[146:147]
	v_add_f64 v[228:229], v[228:229], -v[214:215]
	v_mov_b32_e32 v146, v246
	v_mov_b32_e32 v147, v247
.LBB116_482:
	s_or_b32 exec_lo, exec_lo, s0
	v_lshl_add_u32 v214, v252, 4, v1
	s_barrier
	buffer_gl0_inv
	v_mov_b32_e32 v246, 23
	ds_write2_b64 v214, v[142:143], v[144:145] offset1:1
	s_waitcnt lgkmcnt(0)
	s_barrier
	buffer_gl0_inv
	ds_read2_b64 v[238:241], v1 offset0:46 offset1:47
	s_cmp_lt_i32 s8, 25
	s_cbranch_scc1 .LBB116_485
; %bb.483:
	v_add3_u32 v247, v248, 0, 0x180
	v_mov_b32_e32 v246, 23
	s_mov_b32 s0, 24
	s_inst_prefetch 0x1
	.p2align	6
.LBB116_484:                            ; =>This Inner Loop Header: Depth=1
	s_waitcnt lgkmcnt(0)
	v_cmp_gt_f64_e32 vcc_lo, 0, v[238:239]
	v_xor_b32_e32 v214, 0x80000000, v239
	ds_read2_b64 v[242:245], v247 offset1:1
	v_xor_b32_e32 v216, 0x80000000, v241
	v_add_nc_u32_e32 v247, 16, v247
	s_waitcnt lgkmcnt(0)
	v_xor_b32_e32 v218, 0x80000000, v245
	v_cndmask_b32_e32 v215, v239, v214, vcc_lo
	v_cmp_gt_f64_e32 vcc_lo, 0, v[240:241]
	v_mov_b32_e32 v214, v238
	v_cndmask_b32_e32 v217, v241, v216, vcc_lo
	v_cmp_gt_f64_e32 vcc_lo, 0, v[242:243]
	v_mov_b32_e32 v216, v240
	v_add_f64 v[214:215], v[214:215], v[216:217]
	v_xor_b32_e32 v216, 0x80000000, v243
	v_cndmask_b32_e32 v217, v243, v216, vcc_lo
	v_cmp_gt_f64_e32 vcc_lo, 0, v[244:245]
	v_mov_b32_e32 v216, v242
	v_cndmask_b32_e32 v219, v245, v218, vcc_lo
	v_mov_b32_e32 v218, v244
	v_add_f64 v[216:217], v[216:217], v[218:219]
	v_cmp_lt_f64_e32 vcc_lo, v[214:215], v[216:217]
	v_cndmask_b32_e32 v239, v239, v243, vcc_lo
	v_cndmask_b32_e32 v238, v238, v242, vcc_lo
	;; [unrolled: 1-line block ×4, first 2 shown]
	v_cndmask_b32_e64 v246, v246, s0, vcc_lo
	s_add_i32 s0, s0, 1
	s_cmp_lg_u32 s8, s0
	s_cbranch_scc1 .LBB116_484
.LBB116_485:
	s_inst_prefetch 0x2
	s_waitcnt lgkmcnt(0)
	v_cmp_eq_f64_e32 vcc_lo, 0, v[238:239]
	v_cmp_eq_f64_e64 s0, 0, v[240:241]
	s_and_b32 s0, vcc_lo, s0
	s_and_saveexec_b32 s1, s0
	s_xor_b32 s0, exec_lo, s1
; %bb.486:
	v_cmp_ne_u32_e32 vcc_lo, 0, v251
	v_cndmask_b32_e32 v251, 24, v251, vcc_lo
; %bb.487:
	s_andn2_saveexec_b32 s0, s0
	s_cbranch_execz .LBB116_493
; %bb.488:
	v_cmp_ngt_f64_e64 s1, |v[238:239]|, |v[240:241]|
	s_and_saveexec_b32 s7, s1
	s_xor_b32 s1, exec_lo, s7
	s_cbranch_execz .LBB116_490
; %bb.489:
	v_div_scale_f64 v[214:215], null, v[240:241], v[240:241], v[238:239]
	v_div_scale_f64 v[220:221], vcc_lo, v[238:239], v[240:241], v[238:239]
	v_rcp_f64_e32 v[216:217], v[214:215]
	v_fma_f64 v[218:219], -v[214:215], v[216:217], 1.0
	v_fma_f64 v[216:217], v[216:217], v[218:219], v[216:217]
	v_fma_f64 v[218:219], -v[214:215], v[216:217], 1.0
	v_fma_f64 v[216:217], v[216:217], v[218:219], v[216:217]
	v_mul_f64 v[218:219], v[220:221], v[216:217]
	v_fma_f64 v[214:215], -v[214:215], v[218:219], v[220:221]
	v_div_fmas_f64 v[214:215], v[214:215], v[216:217], v[218:219]
	v_div_fixup_f64 v[214:215], v[214:215], v[240:241], v[238:239]
	v_fma_f64 v[216:217], v[238:239], v[214:215], v[240:241]
	v_div_scale_f64 v[218:219], null, v[216:217], v[216:217], 1.0
	v_rcp_f64_e32 v[220:221], v[218:219]
	v_fma_f64 v[222:223], -v[218:219], v[220:221], 1.0
	v_fma_f64 v[220:221], v[220:221], v[222:223], v[220:221]
	v_fma_f64 v[222:223], -v[218:219], v[220:221], 1.0
	v_fma_f64 v[220:221], v[220:221], v[222:223], v[220:221]
	v_div_scale_f64 v[222:223], vcc_lo, 1.0, v[216:217], 1.0
	v_mul_f64 v[224:225], v[222:223], v[220:221]
	v_fma_f64 v[218:219], -v[218:219], v[224:225], v[222:223]
	v_div_fmas_f64 v[218:219], v[218:219], v[220:221], v[224:225]
	v_div_fixup_f64 v[240:241], v[218:219], v[216:217], 1.0
	v_mul_f64 v[238:239], v[214:215], v[240:241]
	v_xor_b32_e32 v241, 0x80000000, v241
.LBB116_490:
	s_andn2_saveexec_b32 s1, s1
	s_cbranch_execz .LBB116_492
; %bb.491:
	v_div_scale_f64 v[214:215], null, v[238:239], v[238:239], v[240:241]
	v_div_scale_f64 v[220:221], vcc_lo, v[240:241], v[238:239], v[240:241]
	v_rcp_f64_e32 v[216:217], v[214:215]
	v_fma_f64 v[218:219], -v[214:215], v[216:217], 1.0
	v_fma_f64 v[216:217], v[216:217], v[218:219], v[216:217]
	v_fma_f64 v[218:219], -v[214:215], v[216:217], 1.0
	v_fma_f64 v[216:217], v[216:217], v[218:219], v[216:217]
	v_mul_f64 v[218:219], v[220:221], v[216:217]
	v_fma_f64 v[214:215], -v[214:215], v[218:219], v[220:221]
	v_div_fmas_f64 v[214:215], v[214:215], v[216:217], v[218:219]
	v_div_fixup_f64 v[214:215], v[214:215], v[238:239], v[240:241]
	v_fma_f64 v[216:217], v[240:241], v[214:215], v[238:239]
	v_div_scale_f64 v[218:219], null, v[216:217], v[216:217], 1.0
	v_rcp_f64_e32 v[220:221], v[218:219]
	v_fma_f64 v[222:223], -v[218:219], v[220:221], 1.0
	v_fma_f64 v[220:221], v[220:221], v[222:223], v[220:221]
	v_fma_f64 v[222:223], -v[218:219], v[220:221], 1.0
	v_fma_f64 v[220:221], v[220:221], v[222:223], v[220:221]
	v_div_scale_f64 v[222:223], vcc_lo, 1.0, v[216:217], 1.0
	v_mul_f64 v[224:225], v[222:223], v[220:221]
	v_fma_f64 v[218:219], -v[218:219], v[224:225], v[222:223]
	v_div_fmas_f64 v[218:219], v[218:219], v[220:221], v[224:225]
	v_div_fixup_f64 v[238:239], v[218:219], v[216:217], 1.0
	v_mul_f64 v[240:241], v[214:215], -v[238:239]
.LBB116_492:
	s_or_b32 exec_lo, exec_lo, s1
.LBB116_493:
	s_or_b32 exec_lo, exec_lo, s0
	s_mov_b32 s0, exec_lo
	v_cmpx_ne_u32_e64 v252, v246
	s_xor_b32 s0, exec_lo, s0
	s_cbranch_execz .LBB116_499
; %bb.494:
	s_mov_b32 s1, exec_lo
	v_cmpx_eq_u32_e32 23, v252
	s_cbranch_execz .LBB116_498
; %bb.495:
	v_cmp_ne_u32_e32 vcc_lo, 23, v246
	s_xor_b32 s7, s16, -1
	s_and_b32 s9, s7, vcc_lo
	s_and_saveexec_b32 s7, s9
	s_cbranch_execz .LBB116_497
; %bb.496:
	s_clause 0x1
	buffer_load_dword v210, off, s[20:23], 0 offset:16
	buffer_load_dword v211, off, s[20:23], 0 offset:20
	v_ashrrev_i32_e32 v247, 31, v246
	v_lshlrev_b64 v[214:215], 2, v[246:247]
	s_waitcnt vmcnt(1)
	v_add_co_u32 v214, vcc_lo, v210, v214
	s_waitcnt vmcnt(0)
	v_add_co_ci_u32_e64 v215, null, v211, v215, vcc_lo
	s_clause 0x1
	global_load_dword v0, v[214:215], off
	global_load_dword v216, v[210:211], off offset:92
	s_waitcnt vmcnt(1)
	global_store_dword v[210:211], v0, off offset:92
	s_waitcnt vmcnt(0)
	global_store_dword v[214:215], v216, off
.LBB116_497:
	s_or_b32 exec_lo, exec_lo, s7
	v_mov_b32_e32 v252, v246
	v_mov_b32_e32 v0, v246
.LBB116_498:
	s_or_b32 exec_lo, exec_lo, s1
.LBB116_499:
	s_andn2_saveexec_b32 s0, s0
	s_cbranch_execz .LBB116_501
; %bb.500:
	v_mov_b32_e32 v252, 23
	ds_write2_b64 v1, v[138:139], v[140:141] offset0:48 offset1:49
	ds_write2_b64 v1, v[134:135], v[136:137] offset0:50 offset1:51
	;; [unrolled: 1-line block ×35, first 2 shown]
.LBB116_501:
	s_or_b32 exec_lo, exec_lo, s0
	s_mov_b32 s0, exec_lo
	s_waitcnt lgkmcnt(0)
	s_waitcnt_vscnt null, 0x0
	s_barrier
	buffer_gl0_inv
	v_cmpx_lt_i32_e32 23, v252
	s_cbranch_execz .LBB116_503
; %bb.502:
	v_mul_f64 v[214:215], v[240:241], v[144:145]
	v_mul_f64 v[144:145], v[238:239], v[144:145]
	v_fma_f64 v[246:247], v[238:239], v[142:143], -v[214:215]
	v_fma_f64 v[144:145], v[240:241], v[142:143], v[144:145]
	ds_read2_b64 v[238:241], v1 offset0:48 offset1:49
	s_waitcnt lgkmcnt(0)
	v_mul_f64 v[142:143], v[240:241], v[144:145]
	v_mul_f64 v[214:215], v[238:239], v[144:145]
	v_fma_f64 v[142:143], v[238:239], v[246:247], -v[142:143]
	v_fma_f64 v[214:215], v[240:241], v[246:247], v[214:215]
	ds_read2_b64 v[238:241], v1 offset0:50 offset1:51
	v_add_f64 v[138:139], v[138:139], -v[142:143]
	v_add_f64 v[140:141], v[140:141], -v[214:215]
	s_waitcnt lgkmcnt(0)
	v_mul_f64 v[142:143], v[240:241], v[144:145]
	v_mul_f64 v[214:215], v[238:239], v[144:145]
	v_fma_f64 v[142:143], v[238:239], v[246:247], -v[142:143]
	v_fma_f64 v[214:215], v[240:241], v[246:247], v[214:215]
	ds_read2_b64 v[238:241], v1 offset0:52 offset1:53
	v_add_f64 v[134:135], v[134:135], -v[142:143]
	v_add_f64 v[136:137], v[136:137], -v[214:215]
	s_waitcnt lgkmcnt(0)
	v_mul_f64 v[142:143], v[240:241], v[144:145]
	v_mul_f64 v[214:215], v[238:239], v[144:145]
	v_fma_f64 v[142:143], v[238:239], v[246:247], -v[142:143]
	v_fma_f64 v[214:215], v[240:241], v[246:247], v[214:215]
	ds_read2_b64 v[238:241], v1 offset0:54 offset1:55
	v_add_f64 v[130:131], v[130:131], -v[142:143]
	v_add_f64 v[132:133], v[132:133], -v[214:215]
	s_waitcnt lgkmcnt(0)
	v_mul_f64 v[142:143], v[240:241], v[144:145]
	v_mul_f64 v[214:215], v[238:239], v[144:145]
	v_fma_f64 v[142:143], v[238:239], v[246:247], -v[142:143]
	v_fma_f64 v[214:215], v[240:241], v[246:247], v[214:215]
	ds_read2_b64 v[238:241], v1 offset0:56 offset1:57
	v_add_f64 v[126:127], v[126:127], -v[142:143]
	v_add_f64 v[128:129], v[128:129], -v[214:215]
	s_waitcnt lgkmcnt(0)
	v_mul_f64 v[142:143], v[240:241], v[144:145]
	v_mul_f64 v[214:215], v[238:239], v[144:145]
	v_fma_f64 v[142:143], v[238:239], v[246:247], -v[142:143]
	v_fma_f64 v[214:215], v[240:241], v[246:247], v[214:215]
	ds_read2_b64 v[238:241], v1 offset0:58 offset1:59
	v_add_f64 v[122:123], v[122:123], -v[142:143]
	v_add_f64 v[124:125], v[124:125], -v[214:215]
	s_waitcnt lgkmcnt(0)
	v_mul_f64 v[142:143], v[240:241], v[144:145]
	v_mul_f64 v[214:215], v[238:239], v[144:145]
	v_fma_f64 v[142:143], v[238:239], v[246:247], -v[142:143]
	v_fma_f64 v[214:215], v[240:241], v[246:247], v[214:215]
	ds_read2_b64 v[238:241], v1 offset0:60 offset1:61
	v_add_f64 v[118:119], v[118:119], -v[142:143]
	v_add_f64 v[120:121], v[120:121], -v[214:215]
	s_waitcnt lgkmcnt(0)
	v_mul_f64 v[142:143], v[240:241], v[144:145]
	v_mul_f64 v[214:215], v[238:239], v[144:145]
	v_fma_f64 v[142:143], v[238:239], v[246:247], -v[142:143]
	v_fma_f64 v[214:215], v[240:241], v[246:247], v[214:215]
	ds_read2_b64 v[238:241], v1 offset0:62 offset1:63
	v_add_f64 v[114:115], v[114:115], -v[142:143]
	v_add_f64 v[116:117], v[116:117], -v[214:215]
	s_waitcnt lgkmcnt(0)
	v_mul_f64 v[142:143], v[240:241], v[144:145]
	v_mul_f64 v[214:215], v[238:239], v[144:145]
	v_fma_f64 v[142:143], v[238:239], v[246:247], -v[142:143]
	v_fma_f64 v[214:215], v[240:241], v[246:247], v[214:215]
	ds_read2_b64 v[238:241], v1 offset0:64 offset1:65
	v_add_f64 v[110:111], v[110:111], -v[142:143]
	v_add_f64 v[112:113], v[112:113], -v[214:215]
	s_waitcnt lgkmcnt(0)
	v_mul_f64 v[142:143], v[240:241], v[144:145]
	v_mul_f64 v[214:215], v[238:239], v[144:145]
	v_fma_f64 v[142:143], v[238:239], v[246:247], -v[142:143]
	v_fma_f64 v[214:215], v[240:241], v[246:247], v[214:215]
	ds_read2_b64 v[238:241], v1 offset0:66 offset1:67
	v_add_f64 v[106:107], v[106:107], -v[142:143]
	v_add_f64 v[108:109], v[108:109], -v[214:215]
	s_waitcnt lgkmcnt(0)
	v_mul_f64 v[142:143], v[240:241], v[144:145]
	v_mul_f64 v[214:215], v[238:239], v[144:145]
	v_fma_f64 v[142:143], v[238:239], v[246:247], -v[142:143]
	v_fma_f64 v[214:215], v[240:241], v[246:247], v[214:215]
	ds_read2_b64 v[238:241], v1 offset0:68 offset1:69
	v_add_f64 v[102:103], v[102:103], -v[142:143]
	v_add_f64 v[104:105], v[104:105], -v[214:215]
	s_waitcnt lgkmcnt(0)
	v_mul_f64 v[142:143], v[240:241], v[144:145]
	v_mul_f64 v[214:215], v[238:239], v[144:145]
	v_fma_f64 v[142:143], v[238:239], v[246:247], -v[142:143]
	v_fma_f64 v[214:215], v[240:241], v[246:247], v[214:215]
	ds_read2_b64 v[238:241], v1 offset0:70 offset1:71
	v_add_f64 v[98:99], v[98:99], -v[142:143]
	v_add_f64 v[100:101], v[100:101], -v[214:215]
	s_waitcnt lgkmcnt(0)
	v_mul_f64 v[142:143], v[240:241], v[144:145]
	v_mul_f64 v[214:215], v[238:239], v[144:145]
	v_fma_f64 v[142:143], v[238:239], v[246:247], -v[142:143]
	v_fma_f64 v[214:215], v[240:241], v[246:247], v[214:215]
	ds_read2_b64 v[238:241], v1 offset0:72 offset1:73
	v_add_f64 v[94:95], v[94:95], -v[142:143]
	v_add_f64 v[96:97], v[96:97], -v[214:215]
	s_waitcnt lgkmcnt(0)
	v_mul_f64 v[142:143], v[240:241], v[144:145]
	v_mul_f64 v[214:215], v[238:239], v[144:145]
	v_fma_f64 v[142:143], v[238:239], v[246:247], -v[142:143]
	v_fma_f64 v[214:215], v[240:241], v[246:247], v[214:215]
	ds_read2_b64 v[238:241], v1 offset0:74 offset1:75
	v_add_f64 v[90:91], v[90:91], -v[142:143]
	v_add_f64 v[92:93], v[92:93], -v[214:215]
	s_waitcnt lgkmcnt(0)
	v_mul_f64 v[142:143], v[240:241], v[144:145]
	v_mul_f64 v[214:215], v[238:239], v[144:145]
	v_fma_f64 v[142:143], v[238:239], v[246:247], -v[142:143]
	v_fma_f64 v[214:215], v[240:241], v[246:247], v[214:215]
	ds_read2_b64 v[238:241], v1 offset0:76 offset1:77
	v_add_f64 v[86:87], v[86:87], -v[142:143]
	v_add_f64 v[88:89], v[88:89], -v[214:215]
	s_waitcnt lgkmcnt(0)
	v_mul_f64 v[142:143], v[240:241], v[144:145]
	v_mul_f64 v[214:215], v[238:239], v[144:145]
	v_fma_f64 v[142:143], v[238:239], v[246:247], -v[142:143]
	v_fma_f64 v[214:215], v[240:241], v[246:247], v[214:215]
	ds_read2_b64 v[238:241], v1 offset0:78 offset1:79
	v_add_f64 v[82:83], v[82:83], -v[142:143]
	v_add_f64 v[84:85], v[84:85], -v[214:215]
	s_waitcnt lgkmcnt(0)
	v_mul_f64 v[142:143], v[240:241], v[144:145]
	v_mul_f64 v[214:215], v[238:239], v[144:145]
	v_fma_f64 v[142:143], v[238:239], v[246:247], -v[142:143]
	v_fma_f64 v[214:215], v[240:241], v[246:247], v[214:215]
	ds_read2_b64 v[238:241], v1 offset0:80 offset1:81
	v_add_f64 v[78:79], v[78:79], -v[142:143]
	v_add_f64 v[80:81], v[80:81], -v[214:215]
	s_waitcnt lgkmcnt(0)
	v_mul_f64 v[142:143], v[240:241], v[144:145]
	v_mul_f64 v[214:215], v[238:239], v[144:145]
	v_fma_f64 v[142:143], v[238:239], v[246:247], -v[142:143]
	v_fma_f64 v[214:215], v[240:241], v[246:247], v[214:215]
	ds_read2_b64 v[238:241], v1 offset0:82 offset1:83
	v_add_f64 v[74:75], v[74:75], -v[142:143]
	v_add_f64 v[76:77], v[76:77], -v[214:215]
	s_waitcnt lgkmcnt(0)
	v_mul_f64 v[142:143], v[240:241], v[144:145]
	v_mul_f64 v[214:215], v[238:239], v[144:145]
	v_fma_f64 v[142:143], v[238:239], v[246:247], -v[142:143]
	v_fma_f64 v[214:215], v[240:241], v[246:247], v[214:215]
	ds_read2_b64 v[238:241], v1 offset0:84 offset1:85
	v_add_f64 v[70:71], v[70:71], -v[142:143]
	v_add_f64 v[72:73], v[72:73], -v[214:215]
	s_waitcnt lgkmcnt(0)
	v_mul_f64 v[142:143], v[240:241], v[144:145]
	v_mul_f64 v[214:215], v[238:239], v[144:145]
	v_fma_f64 v[142:143], v[238:239], v[246:247], -v[142:143]
	v_fma_f64 v[214:215], v[240:241], v[246:247], v[214:215]
	ds_read2_b64 v[238:241], v1 offset0:86 offset1:87
	v_add_f64 v[66:67], v[66:67], -v[142:143]
	v_add_f64 v[68:69], v[68:69], -v[214:215]
	s_waitcnt lgkmcnt(0)
	v_mul_f64 v[142:143], v[240:241], v[144:145]
	v_mul_f64 v[214:215], v[238:239], v[144:145]
	v_fma_f64 v[142:143], v[238:239], v[246:247], -v[142:143]
	v_fma_f64 v[214:215], v[240:241], v[246:247], v[214:215]
	ds_read2_b64 v[238:241], v1 offset0:88 offset1:89
	v_add_f64 v[62:63], v[62:63], -v[142:143]
	v_add_f64 v[64:65], v[64:65], -v[214:215]
	s_waitcnt lgkmcnt(0)
	v_mul_f64 v[142:143], v[240:241], v[144:145]
	v_mul_f64 v[214:215], v[238:239], v[144:145]
	v_fma_f64 v[142:143], v[238:239], v[246:247], -v[142:143]
	v_fma_f64 v[214:215], v[240:241], v[246:247], v[214:215]
	ds_read2_b64 v[238:241], v1 offset0:90 offset1:91
	v_add_f64 v[58:59], v[58:59], -v[142:143]
	v_add_f64 v[60:61], v[60:61], -v[214:215]
	s_waitcnt lgkmcnt(0)
	v_mul_f64 v[142:143], v[240:241], v[144:145]
	v_mul_f64 v[214:215], v[238:239], v[144:145]
	v_fma_f64 v[142:143], v[238:239], v[246:247], -v[142:143]
	v_fma_f64 v[214:215], v[240:241], v[246:247], v[214:215]
	ds_read2_b64 v[238:241], v1 offset0:92 offset1:93
	v_add_f64 v[54:55], v[54:55], -v[142:143]
	v_add_f64 v[56:57], v[56:57], -v[214:215]
	s_waitcnt lgkmcnt(0)
	v_mul_f64 v[142:143], v[240:241], v[144:145]
	v_mul_f64 v[214:215], v[238:239], v[144:145]
	v_fma_f64 v[142:143], v[238:239], v[246:247], -v[142:143]
	v_fma_f64 v[214:215], v[240:241], v[246:247], v[214:215]
	ds_read2_b64 v[238:241], v1 offset0:94 offset1:95
	v_add_f64 v[50:51], v[50:51], -v[142:143]
	v_add_f64 v[52:53], v[52:53], -v[214:215]
	s_waitcnt lgkmcnt(0)
	v_mul_f64 v[142:143], v[240:241], v[144:145]
	v_mul_f64 v[214:215], v[238:239], v[144:145]
	v_fma_f64 v[142:143], v[238:239], v[246:247], -v[142:143]
	v_fma_f64 v[214:215], v[240:241], v[246:247], v[214:215]
	ds_read2_b64 v[238:241], v1 offset0:96 offset1:97
	v_add_f64 v[46:47], v[46:47], -v[142:143]
	v_add_f64 v[48:49], v[48:49], -v[214:215]
	s_waitcnt lgkmcnt(0)
	v_mul_f64 v[142:143], v[240:241], v[144:145]
	v_mul_f64 v[214:215], v[238:239], v[144:145]
	v_fma_f64 v[142:143], v[238:239], v[246:247], -v[142:143]
	v_fma_f64 v[214:215], v[240:241], v[246:247], v[214:215]
	ds_read2_b64 v[238:241], v1 offset0:98 offset1:99
	v_add_f64 v[42:43], v[42:43], -v[142:143]
	v_add_f64 v[44:45], v[44:45], -v[214:215]
	s_waitcnt lgkmcnt(0)
	v_mul_f64 v[142:143], v[240:241], v[144:145]
	v_mul_f64 v[214:215], v[238:239], v[144:145]
	v_fma_f64 v[142:143], v[238:239], v[246:247], -v[142:143]
	v_fma_f64 v[214:215], v[240:241], v[246:247], v[214:215]
	ds_read2_b64 v[238:241], v1 offset0:100 offset1:101
	v_add_f64 v[38:39], v[38:39], -v[142:143]
	v_add_f64 v[40:41], v[40:41], -v[214:215]
	s_waitcnt lgkmcnt(0)
	v_mul_f64 v[142:143], v[240:241], v[144:145]
	v_mul_f64 v[214:215], v[238:239], v[144:145]
	v_fma_f64 v[142:143], v[238:239], v[246:247], -v[142:143]
	v_fma_f64 v[214:215], v[240:241], v[246:247], v[214:215]
	ds_read2_b64 v[238:241], v1 offset0:102 offset1:103
	v_add_f64 v[34:35], v[34:35], -v[142:143]
	v_add_f64 v[36:37], v[36:37], -v[214:215]
	s_waitcnt lgkmcnt(0)
	v_mul_f64 v[142:143], v[240:241], v[144:145]
	v_mul_f64 v[214:215], v[238:239], v[144:145]
	v_fma_f64 v[142:143], v[238:239], v[246:247], -v[142:143]
	v_fma_f64 v[214:215], v[240:241], v[246:247], v[214:215]
	ds_read2_b64 v[238:241], v1 offset0:104 offset1:105
	v_add_f64 v[30:31], v[30:31], -v[142:143]
	v_add_f64 v[32:33], v[32:33], -v[214:215]
	s_waitcnt lgkmcnt(0)
	v_mul_f64 v[142:143], v[240:241], v[144:145]
	v_mul_f64 v[214:215], v[238:239], v[144:145]
	v_fma_f64 v[142:143], v[238:239], v[246:247], -v[142:143]
	v_fma_f64 v[214:215], v[240:241], v[246:247], v[214:215]
	ds_read2_b64 v[238:241], v1 offset0:106 offset1:107
	v_add_f64 v[26:27], v[26:27], -v[142:143]
	v_add_f64 v[28:29], v[28:29], -v[214:215]
	s_waitcnt lgkmcnt(0)
	v_mul_f64 v[142:143], v[240:241], v[144:145]
	v_mul_f64 v[214:215], v[238:239], v[144:145]
	v_fma_f64 v[142:143], v[238:239], v[246:247], -v[142:143]
	v_fma_f64 v[214:215], v[240:241], v[246:247], v[214:215]
	ds_read2_b64 v[238:241], v1 offset0:108 offset1:109
	v_add_f64 v[22:23], v[22:23], -v[142:143]
	v_add_f64 v[24:25], v[24:25], -v[214:215]
	s_waitcnt lgkmcnt(0)
	v_mul_f64 v[142:143], v[240:241], v[144:145]
	v_mul_f64 v[214:215], v[238:239], v[144:145]
	v_fma_f64 v[142:143], v[238:239], v[246:247], -v[142:143]
	v_fma_f64 v[214:215], v[240:241], v[246:247], v[214:215]
	ds_read2_b64 v[238:241], v1 offset0:110 offset1:111
	v_add_f64 v[18:19], v[18:19], -v[142:143]
	v_add_f64 v[20:21], v[20:21], -v[214:215]
	s_waitcnt lgkmcnt(0)
	v_mul_f64 v[142:143], v[240:241], v[144:145]
	v_mul_f64 v[214:215], v[238:239], v[144:145]
	v_fma_f64 v[142:143], v[238:239], v[246:247], -v[142:143]
	v_fma_f64 v[214:215], v[240:241], v[246:247], v[214:215]
	ds_read2_b64 v[238:241], v1 offset0:112 offset1:113
	v_add_f64 v[14:15], v[14:15], -v[142:143]
	v_add_f64 v[16:17], v[16:17], -v[214:215]
	s_waitcnt lgkmcnt(0)
	v_mul_f64 v[142:143], v[240:241], v[144:145]
	v_mul_f64 v[214:215], v[238:239], v[144:145]
	v_fma_f64 v[142:143], v[238:239], v[246:247], -v[142:143]
	v_fma_f64 v[214:215], v[240:241], v[246:247], v[214:215]
	ds_read2_b64 v[238:241], v1 offset0:114 offset1:115
	v_add_f64 v[232:233], v[232:233], -v[142:143]
	v_add_f64 v[234:235], v[234:235], -v[214:215]
	s_waitcnt lgkmcnt(0)
	v_mul_f64 v[142:143], v[240:241], v[144:145]
	v_mul_f64 v[214:215], v[238:239], v[144:145]
	v_fma_f64 v[142:143], v[238:239], v[246:247], -v[142:143]
	v_fma_f64 v[214:215], v[240:241], v[246:247], v[214:215]
	ds_read2_b64 v[238:241], v1 offset0:116 offset1:117
	v_add_f64 v[6:7], v[6:7], -v[142:143]
	v_add_f64 v[8:9], v[8:9], -v[214:215]
	s_waitcnt lgkmcnt(0)
	v_mul_f64 v[142:143], v[240:241], v[144:145]
	v_mul_f64 v[214:215], v[238:239], v[144:145]
	v_fma_f64 v[142:143], v[238:239], v[246:247], -v[142:143]
	v_fma_f64 v[214:215], v[240:241], v[246:247], v[214:215]
	v_add_f64 v[226:227], v[226:227], -v[142:143]
	v_add_f64 v[228:229], v[228:229], -v[214:215]
	v_mov_b32_e32 v142, v246
	v_mov_b32_e32 v143, v247
.LBB116_503:
	s_or_b32 exec_lo, exec_lo, s0
	v_lshl_add_u32 v214, v252, 4, v1
	s_barrier
	buffer_gl0_inv
	v_mov_b32_e32 v246, 24
	ds_write2_b64 v214, v[138:139], v[140:141] offset1:1
	s_waitcnt lgkmcnt(0)
	s_barrier
	buffer_gl0_inv
	ds_read2_b64 v[238:241], v1 offset0:48 offset1:49
	s_cmp_lt_i32 s8, 26
	s_cbranch_scc1 .LBB116_506
; %bb.504:
	v_add3_u32 v247, v248, 0, 0x190
	v_mov_b32_e32 v246, 24
	s_mov_b32 s0, 25
	s_inst_prefetch 0x1
	.p2align	6
.LBB116_505:                            ; =>This Inner Loop Header: Depth=1
	s_waitcnt lgkmcnt(0)
	v_cmp_gt_f64_e32 vcc_lo, 0, v[238:239]
	v_xor_b32_e32 v214, 0x80000000, v239
	ds_read2_b64 v[242:245], v247 offset1:1
	v_xor_b32_e32 v216, 0x80000000, v241
	v_add_nc_u32_e32 v247, 16, v247
	s_waitcnt lgkmcnt(0)
	v_xor_b32_e32 v218, 0x80000000, v245
	v_cndmask_b32_e32 v215, v239, v214, vcc_lo
	v_cmp_gt_f64_e32 vcc_lo, 0, v[240:241]
	v_mov_b32_e32 v214, v238
	v_cndmask_b32_e32 v217, v241, v216, vcc_lo
	v_cmp_gt_f64_e32 vcc_lo, 0, v[242:243]
	v_mov_b32_e32 v216, v240
	v_add_f64 v[214:215], v[214:215], v[216:217]
	v_xor_b32_e32 v216, 0x80000000, v243
	v_cndmask_b32_e32 v217, v243, v216, vcc_lo
	v_cmp_gt_f64_e32 vcc_lo, 0, v[244:245]
	v_mov_b32_e32 v216, v242
	v_cndmask_b32_e32 v219, v245, v218, vcc_lo
	v_mov_b32_e32 v218, v244
	v_add_f64 v[216:217], v[216:217], v[218:219]
	v_cmp_lt_f64_e32 vcc_lo, v[214:215], v[216:217]
	v_cndmask_b32_e32 v239, v239, v243, vcc_lo
	v_cndmask_b32_e32 v238, v238, v242, vcc_lo
	;; [unrolled: 1-line block ×4, first 2 shown]
	v_cndmask_b32_e64 v246, v246, s0, vcc_lo
	s_add_i32 s0, s0, 1
	s_cmp_lg_u32 s8, s0
	s_cbranch_scc1 .LBB116_505
.LBB116_506:
	s_inst_prefetch 0x2
	s_waitcnt lgkmcnt(0)
	v_cmp_eq_f64_e32 vcc_lo, 0, v[238:239]
	v_cmp_eq_f64_e64 s0, 0, v[240:241]
	s_and_b32 s0, vcc_lo, s0
	s_and_saveexec_b32 s1, s0
	s_xor_b32 s0, exec_lo, s1
; %bb.507:
	v_cmp_ne_u32_e32 vcc_lo, 0, v251
	v_cndmask_b32_e32 v251, 25, v251, vcc_lo
; %bb.508:
	s_andn2_saveexec_b32 s0, s0
	s_cbranch_execz .LBB116_514
; %bb.509:
	v_cmp_ngt_f64_e64 s1, |v[238:239]|, |v[240:241]|
	s_and_saveexec_b32 s7, s1
	s_xor_b32 s1, exec_lo, s7
	s_cbranch_execz .LBB116_511
; %bb.510:
	v_div_scale_f64 v[214:215], null, v[240:241], v[240:241], v[238:239]
	v_div_scale_f64 v[220:221], vcc_lo, v[238:239], v[240:241], v[238:239]
	v_rcp_f64_e32 v[216:217], v[214:215]
	v_fma_f64 v[218:219], -v[214:215], v[216:217], 1.0
	v_fma_f64 v[216:217], v[216:217], v[218:219], v[216:217]
	v_fma_f64 v[218:219], -v[214:215], v[216:217], 1.0
	v_fma_f64 v[216:217], v[216:217], v[218:219], v[216:217]
	v_mul_f64 v[218:219], v[220:221], v[216:217]
	v_fma_f64 v[214:215], -v[214:215], v[218:219], v[220:221]
	v_div_fmas_f64 v[214:215], v[214:215], v[216:217], v[218:219]
	v_div_fixup_f64 v[214:215], v[214:215], v[240:241], v[238:239]
	v_fma_f64 v[216:217], v[238:239], v[214:215], v[240:241]
	v_div_scale_f64 v[218:219], null, v[216:217], v[216:217], 1.0
	v_rcp_f64_e32 v[220:221], v[218:219]
	v_fma_f64 v[222:223], -v[218:219], v[220:221], 1.0
	v_fma_f64 v[220:221], v[220:221], v[222:223], v[220:221]
	v_fma_f64 v[222:223], -v[218:219], v[220:221], 1.0
	v_fma_f64 v[220:221], v[220:221], v[222:223], v[220:221]
	v_div_scale_f64 v[222:223], vcc_lo, 1.0, v[216:217], 1.0
	v_mul_f64 v[224:225], v[222:223], v[220:221]
	v_fma_f64 v[218:219], -v[218:219], v[224:225], v[222:223]
	v_div_fmas_f64 v[218:219], v[218:219], v[220:221], v[224:225]
	v_div_fixup_f64 v[240:241], v[218:219], v[216:217], 1.0
	v_mul_f64 v[238:239], v[214:215], v[240:241]
	v_xor_b32_e32 v241, 0x80000000, v241
.LBB116_511:
	s_andn2_saveexec_b32 s1, s1
	s_cbranch_execz .LBB116_513
; %bb.512:
	v_div_scale_f64 v[214:215], null, v[238:239], v[238:239], v[240:241]
	v_div_scale_f64 v[220:221], vcc_lo, v[240:241], v[238:239], v[240:241]
	v_rcp_f64_e32 v[216:217], v[214:215]
	v_fma_f64 v[218:219], -v[214:215], v[216:217], 1.0
	v_fma_f64 v[216:217], v[216:217], v[218:219], v[216:217]
	v_fma_f64 v[218:219], -v[214:215], v[216:217], 1.0
	v_fma_f64 v[216:217], v[216:217], v[218:219], v[216:217]
	v_mul_f64 v[218:219], v[220:221], v[216:217]
	v_fma_f64 v[214:215], -v[214:215], v[218:219], v[220:221]
	v_div_fmas_f64 v[214:215], v[214:215], v[216:217], v[218:219]
	v_div_fixup_f64 v[214:215], v[214:215], v[238:239], v[240:241]
	v_fma_f64 v[216:217], v[240:241], v[214:215], v[238:239]
	v_div_scale_f64 v[218:219], null, v[216:217], v[216:217], 1.0
	v_rcp_f64_e32 v[220:221], v[218:219]
	v_fma_f64 v[222:223], -v[218:219], v[220:221], 1.0
	v_fma_f64 v[220:221], v[220:221], v[222:223], v[220:221]
	v_fma_f64 v[222:223], -v[218:219], v[220:221], 1.0
	v_fma_f64 v[220:221], v[220:221], v[222:223], v[220:221]
	v_div_scale_f64 v[222:223], vcc_lo, 1.0, v[216:217], 1.0
	v_mul_f64 v[224:225], v[222:223], v[220:221]
	v_fma_f64 v[218:219], -v[218:219], v[224:225], v[222:223]
	v_div_fmas_f64 v[218:219], v[218:219], v[220:221], v[224:225]
	v_div_fixup_f64 v[238:239], v[218:219], v[216:217], 1.0
	v_mul_f64 v[240:241], v[214:215], -v[238:239]
.LBB116_513:
	s_or_b32 exec_lo, exec_lo, s1
.LBB116_514:
	s_or_b32 exec_lo, exec_lo, s0
	s_mov_b32 s0, exec_lo
	v_cmpx_ne_u32_e64 v252, v246
	s_xor_b32 s0, exec_lo, s0
	s_cbranch_execz .LBB116_520
; %bb.515:
	s_mov_b32 s1, exec_lo
	v_cmpx_eq_u32_e32 24, v252
	s_cbranch_execz .LBB116_519
; %bb.516:
	v_cmp_ne_u32_e32 vcc_lo, 24, v246
	s_xor_b32 s7, s16, -1
	s_and_b32 s9, s7, vcc_lo
	s_and_saveexec_b32 s7, s9
	s_cbranch_execz .LBB116_518
; %bb.517:
	s_clause 0x1
	buffer_load_dword v210, off, s[20:23], 0 offset:16
	buffer_load_dword v211, off, s[20:23], 0 offset:20
	v_ashrrev_i32_e32 v247, 31, v246
	v_lshlrev_b64 v[214:215], 2, v[246:247]
	s_waitcnt vmcnt(1)
	v_add_co_u32 v214, vcc_lo, v210, v214
	s_waitcnt vmcnt(0)
	v_add_co_ci_u32_e64 v215, null, v211, v215, vcc_lo
	s_clause 0x1
	global_load_dword v0, v[214:215], off
	global_load_dword v216, v[210:211], off offset:96
	s_waitcnt vmcnt(1)
	global_store_dword v[210:211], v0, off offset:96
	s_waitcnt vmcnt(0)
	global_store_dword v[214:215], v216, off
.LBB116_518:
	s_or_b32 exec_lo, exec_lo, s7
	v_mov_b32_e32 v252, v246
	v_mov_b32_e32 v0, v246
.LBB116_519:
	s_or_b32 exec_lo, exec_lo, s1
.LBB116_520:
	s_andn2_saveexec_b32 s0, s0
	s_cbranch_execz .LBB116_522
; %bb.521:
	v_mov_b32_e32 v252, 24
	ds_write2_b64 v1, v[134:135], v[136:137] offset0:50 offset1:51
	ds_write2_b64 v1, v[130:131], v[132:133] offset0:52 offset1:53
	;; [unrolled: 1-line block ×34, first 2 shown]
.LBB116_522:
	s_or_b32 exec_lo, exec_lo, s0
	s_mov_b32 s0, exec_lo
	s_waitcnt lgkmcnt(0)
	s_waitcnt_vscnt null, 0x0
	s_barrier
	buffer_gl0_inv
	v_cmpx_lt_i32_e32 24, v252
	s_cbranch_execz .LBB116_524
; %bb.523:
	v_mul_f64 v[214:215], v[240:241], v[140:141]
	v_mul_f64 v[140:141], v[238:239], v[140:141]
	v_fma_f64 v[246:247], v[238:239], v[138:139], -v[214:215]
	v_fma_f64 v[140:141], v[240:241], v[138:139], v[140:141]
	ds_read2_b64 v[238:241], v1 offset0:50 offset1:51
	s_waitcnt lgkmcnt(0)
	v_mul_f64 v[138:139], v[240:241], v[140:141]
	v_mul_f64 v[214:215], v[238:239], v[140:141]
	v_fma_f64 v[138:139], v[238:239], v[246:247], -v[138:139]
	v_fma_f64 v[214:215], v[240:241], v[246:247], v[214:215]
	ds_read2_b64 v[238:241], v1 offset0:52 offset1:53
	v_add_f64 v[134:135], v[134:135], -v[138:139]
	v_add_f64 v[136:137], v[136:137], -v[214:215]
	s_waitcnt lgkmcnt(0)
	v_mul_f64 v[138:139], v[240:241], v[140:141]
	v_mul_f64 v[214:215], v[238:239], v[140:141]
	v_fma_f64 v[138:139], v[238:239], v[246:247], -v[138:139]
	v_fma_f64 v[214:215], v[240:241], v[246:247], v[214:215]
	ds_read2_b64 v[238:241], v1 offset0:54 offset1:55
	v_add_f64 v[130:131], v[130:131], -v[138:139]
	v_add_f64 v[132:133], v[132:133], -v[214:215]
	s_waitcnt lgkmcnt(0)
	v_mul_f64 v[138:139], v[240:241], v[140:141]
	v_mul_f64 v[214:215], v[238:239], v[140:141]
	v_fma_f64 v[138:139], v[238:239], v[246:247], -v[138:139]
	v_fma_f64 v[214:215], v[240:241], v[246:247], v[214:215]
	ds_read2_b64 v[238:241], v1 offset0:56 offset1:57
	v_add_f64 v[126:127], v[126:127], -v[138:139]
	v_add_f64 v[128:129], v[128:129], -v[214:215]
	s_waitcnt lgkmcnt(0)
	v_mul_f64 v[138:139], v[240:241], v[140:141]
	v_mul_f64 v[214:215], v[238:239], v[140:141]
	v_fma_f64 v[138:139], v[238:239], v[246:247], -v[138:139]
	v_fma_f64 v[214:215], v[240:241], v[246:247], v[214:215]
	ds_read2_b64 v[238:241], v1 offset0:58 offset1:59
	v_add_f64 v[122:123], v[122:123], -v[138:139]
	v_add_f64 v[124:125], v[124:125], -v[214:215]
	s_waitcnt lgkmcnt(0)
	v_mul_f64 v[138:139], v[240:241], v[140:141]
	v_mul_f64 v[214:215], v[238:239], v[140:141]
	v_fma_f64 v[138:139], v[238:239], v[246:247], -v[138:139]
	v_fma_f64 v[214:215], v[240:241], v[246:247], v[214:215]
	ds_read2_b64 v[238:241], v1 offset0:60 offset1:61
	v_add_f64 v[118:119], v[118:119], -v[138:139]
	v_add_f64 v[120:121], v[120:121], -v[214:215]
	s_waitcnt lgkmcnt(0)
	v_mul_f64 v[138:139], v[240:241], v[140:141]
	v_mul_f64 v[214:215], v[238:239], v[140:141]
	v_fma_f64 v[138:139], v[238:239], v[246:247], -v[138:139]
	v_fma_f64 v[214:215], v[240:241], v[246:247], v[214:215]
	ds_read2_b64 v[238:241], v1 offset0:62 offset1:63
	v_add_f64 v[114:115], v[114:115], -v[138:139]
	v_add_f64 v[116:117], v[116:117], -v[214:215]
	s_waitcnt lgkmcnt(0)
	v_mul_f64 v[138:139], v[240:241], v[140:141]
	v_mul_f64 v[214:215], v[238:239], v[140:141]
	v_fma_f64 v[138:139], v[238:239], v[246:247], -v[138:139]
	v_fma_f64 v[214:215], v[240:241], v[246:247], v[214:215]
	ds_read2_b64 v[238:241], v1 offset0:64 offset1:65
	v_add_f64 v[110:111], v[110:111], -v[138:139]
	v_add_f64 v[112:113], v[112:113], -v[214:215]
	s_waitcnt lgkmcnt(0)
	v_mul_f64 v[138:139], v[240:241], v[140:141]
	v_mul_f64 v[214:215], v[238:239], v[140:141]
	v_fma_f64 v[138:139], v[238:239], v[246:247], -v[138:139]
	v_fma_f64 v[214:215], v[240:241], v[246:247], v[214:215]
	ds_read2_b64 v[238:241], v1 offset0:66 offset1:67
	v_add_f64 v[106:107], v[106:107], -v[138:139]
	v_add_f64 v[108:109], v[108:109], -v[214:215]
	s_waitcnt lgkmcnt(0)
	v_mul_f64 v[138:139], v[240:241], v[140:141]
	v_mul_f64 v[214:215], v[238:239], v[140:141]
	v_fma_f64 v[138:139], v[238:239], v[246:247], -v[138:139]
	v_fma_f64 v[214:215], v[240:241], v[246:247], v[214:215]
	ds_read2_b64 v[238:241], v1 offset0:68 offset1:69
	v_add_f64 v[102:103], v[102:103], -v[138:139]
	v_add_f64 v[104:105], v[104:105], -v[214:215]
	s_waitcnt lgkmcnt(0)
	v_mul_f64 v[138:139], v[240:241], v[140:141]
	v_mul_f64 v[214:215], v[238:239], v[140:141]
	v_fma_f64 v[138:139], v[238:239], v[246:247], -v[138:139]
	v_fma_f64 v[214:215], v[240:241], v[246:247], v[214:215]
	ds_read2_b64 v[238:241], v1 offset0:70 offset1:71
	v_add_f64 v[98:99], v[98:99], -v[138:139]
	v_add_f64 v[100:101], v[100:101], -v[214:215]
	s_waitcnt lgkmcnt(0)
	v_mul_f64 v[138:139], v[240:241], v[140:141]
	v_mul_f64 v[214:215], v[238:239], v[140:141]
	v_fma_f64 v[138:139], v[238:239], v[246:247], -v[138:139]
	v_fma_f64 v[214:215], v[240:241], v[246:247], v[214:215]
	ds_read2_b64 v[238:241], v1 offset0:72 offset1:73
	v_add_f64 v[94:95], v[94:95], -v[138:139]
	v_add_f64 v[96:97], v[96:97], -v[214:215]
	s_waitcnt lgkmcnt(0)
	v_mul_f64 v[138:139], v[240:241], v[140:141]
	v_mul_f64 v[214:215], v[238:239], v[140:141]
	v_fma_f64 v[138:139], v[238:239], v[246:247], -v[138:139]
	v_fma_f64 v[214:215], v[240:241], v[246:247], v[214:215]
	ds_read2_b64 v[238:241], v1 offset0:74 offset1:75
	v_add_f64 v[90:91], v[90:91], -v[138:139]
	v_add_f64 v[92:93], v[92:93], -v[214:215]
	s_waitcnt lgkmcnt(0)
	v_mul_f64 v[138:139], v[240:241], v[140:141]
	v_mul_f64 v[214:215], v[238:239], v[140:141]
	v_fma_f64 v[138:139], v[238:239], v[246:247], -v[138:139]
	v_fma_f64 v[214:215], v[240:241], v[246:247], v[214:215]
	ds_read2_b64 v[238:241], v1 offset0:76 offset1:77
	v_add_f64 v[86:87], v[86:87], -v[138:139]
	v_add_f64 v[88:89], v[88:89], -v[214:215]
	s_waitcnt lgkmcnt(0)
	v_mul_f64 v[138:139], v[240:241], v[140:141]
	v_mul_f64 v[214:215], v[238:239], v[140:141]
	v_fma_f64 v[138:139], v[238:239], v[246:247], -v[138:139]
	v_fma_f64 v[214:215], v[240:241], v[246:247], v[214:215]
	ds_read2_b64 v[238:241], v1 offset0:78 offset1:79
	v_add_f64 v[82:83], v[82:83], -v[138:139]
	v_add_f64 v[84:85], v[84:85], -v[214:215]
	s_waitcnt lgkmcnt(0)
	v_mul_f64 v[138:139], v[240:241], v[140:141]
	v_mul_f64 v[214:215], v[238:239], v[140:141]
	v_fma_f64 v[138:139], v[238:239], v[246:247], -v[138:139]
	v_fma_f64 v[214:215], v[240:241], v[246:247], v[214:215]
	ds_read2_b64 v[238:241], v1 offset0:80 offset1:81
	v_add_f64 v[78:79], v[78:79], -v[138:139]
	v_add_f64 v[80:81], v[80:81], -v[214:215]
	s_waitcnt lgkmcnt(0)
	v_mul_f64 v[138:139], v[240:241], v[140:141]
	v_mul_f64 v[214:215], v[238:239], v[140:141]
	v_fma_f64 v[138:139], v[238:239], v[246:247], -v[138:139]
	v_fma_f64 v[214:215], v[240:241], v[246:247], v[214:215]
	ds_read2_b64 v[238:241], v1 offset0:82 offset1:83
	v_add_f64 v[74:75], v[74:75], -v[138:139]
	v_add_f64 v[76:77], v[76:77], -v[214:215]
	s_waitcnt lgkmcnt(0)
	v_mul_f64 v[138:139], v[240:241], v[140:141]
	v_mul_f64 v[214:215], v[238:239], v[140:141]
	v_fma_f64 v[138:139], v[238:239], v[246:247], -v[138:139]
	v_fma_f64 v[214:215], v[240:241], v[246:247], v[214:215]
	ds_read2_b64 v[238:241], v1 offset0:84 offset1:85
	v_add_f64 v[70:71], v[70:71], -v[138:139]
	v_add_f64 v[72:73], v[72:73], -v[214:215]
	s_waitcnt lgkmcnt(0)
	v_mul_f64 v[138:139], v[240:241], v[140:141]
	v_mul_f64 v[214:215], v[238:239], v[140:141]
	v_fma_f64 v[138:139], v[238:239], v[246:247], -v[138:139]
	v_fma_f64 v[214:215], v[240:241], v[246:247], v[214:215]
	ds_read2_b64 v[238:241], v1 offset0:86 offset1:87
	v_add_f64 v[66:67], v[66:67], -v[138:139]
	v_add_f64 v[68:69], v[68:69], -v[214:215]
	s_waitcnt lgkmcnt(0)
	v_mul_f64 v[138:139], v[240:241], v[140:141]
	v_mul_f64 v[214:215], v[238:239], v[140:141]
	v_fma_f64 v[138:139], v[238:239], v[246:247], -v[138:139]
	v_fma_f64 v[214:215], v[240:241], v[246:247], v[214:215]
	ds_read2_b64 v[238:241], v1 offset0:88 offset1:89
	v_add_f64 v[62:63], v[62:63], -v[138:139]
	v_add_f64 v[64:65], v[64:65], -v[214:215]
	s_waitcnt lgkmcnt(0)
	v_mul_f64 v[138:139], v[240:241], v[140:141]
	v_mul_f64 v[214:215], v[238:239], v[140:141]
	v_fma_f64 v[138:139], v[238:239], v[246:247], -v[138:139]
	v_fma_f64 v[214:215], v[240:241], v[246:247], v[214:215]
	ds_read2_b64 v[238:241], v1 offset0:90 offset1:91
	v_add_f64 v[58:59], v[58:59], -v[138:139]
	v_add_f64 v[60:61], v[60:61], -v[214:215]
	s_waitcnt lgkmcnt(0)
	v_mul_f64 v[138:139], v[240:241], v[140:141]
	v_mul_f64 v[214:215], v[238:239], v[140:141]
	v_fma_f64 v[138:139], v[238:239], v[246:247], -v[138:139]
	v_fma_f64 v[214:215], v[240:241], v[246:247], v[214:215]
	ds_read2_b64 v[238:241], v1 offset0:92 offset1:93
	v_add_f64 v[54:55], v[54:55], -v[138:139]
	v_add_f64 v[56:57], v[56:57], -v[214:215]
	s_waitcnt lgkmcnt(0)
	v_mul_f64 v[138:139], v[240:241], v[140:141]
	v_mul_f64 v[214:215], v[238:239], v[140:141]
	v_fma_f64 v[138:139], v[238:239], v[246:247], -v[138:139]
	v_fma_f64 v[214:215], v[240:241], v[246:247], v[214:215]
	ds_read2_b64 v[238:241], v1 offset0:94 offset1:95
	v_add_f64 v[50:51], v[50:51], -v[138:139]
	v_add_f64 v[52:53], v[52:53], -v[214:215]
	s_waitcnt lgkmcnt(0)
	v_mul_f64 v[138:139], v[240:241], v[140:141]
	v_mul_f64 v[214:215], v[238:239], v[140:141]
	v_fma_f64 v[138:139], v[238:239], v[246:247], -v[138:139]
	v_fma_f64 v[214:215], v[240:241], v[246:247], v[214:215]
	ds_read2_b64 v[238:241], v1 offset0:96 offset1:97
	v_add_f64 v[46:47], v[46:47], -v[138:139]
	v_add_f64 v[48:49], v[48:49], -v[214:215]
	s_waitcnt lgkmcnt(0)
	v_mul_f64 v[138:139], v[240:241], v[140:141]
	v_mul_f64 v[214:215], v[238:239], v[140:141]
	v_fma_f64 v[138:139], v[238:239], v[246:247], -v[138:139]
	v_fma_f64 v[214:215], v[240:241], v[246:247], v[214:215]
	ds_read2_b64 v[238:241], v1 offset0:98 offset1:99
	v_add_f64 v[42:43], v[42:43], -v[138:139]
	v_add_f64 v[44:45], v[44:45], -v[214:215]
	s_waitcnt lgkmcnt(0)
	v_mul_f64 v[138:139], v[240:241], v[140:141]
	v_mul_f64 v[214:215], v[238:239], v[140:141]
	v_fma_f64 v[138:139], v[238:239], v[246:247], -v[138:139]
	v_fma_f64 v[214:215], v[240:241], v[246:247], v[214:215]
	ds_read2_b64 v[238:241], v1 offset0:100 offset1:101
	v_add_f64 v[38:39], v[38:39], -v[138:139]
	v_add_f64 v[40:41], v[40:41], -v[214:215]
	s_waitcnt lgkmcnt(0)
	v_mul_f64 v[138:139], v[240:241], v[140:141]
	v_mul_f64 v[214:215], v[238:239], v[140:141]
	v_fma_f64 v[138:139], v[238:239], v[246:247], -v[138:139]
	v_fma_f64 v[214:215], v[240:241], v[246:247], v[214:215]
	ds_read2_b64 v[238:241], v1 offset0:102 offset1:103
	v_add_f64 v[34:35], v[34:35], -v[138:139]
	v_add_f64 v[36:37], v[36:37], -v[214:215]
	s_waitcnt lgkmcnt(0)
	v_mul_f64 v[138:139], v[240:241], v[140:141]
	v_mul_f64 v[214:215], v[238:239], v[140:141]
	v_fma_f64 v[138:139], v[238:239], v[246:247], -v[138:139]
	v_fma_f64 v[214:215], v[240:241], v[246:247], v[214:215]
	ds_read2_b64 v[238:241], v1 offset0:104 offset1:105
	v_add_f64 v[30:31], v[30:31], -v[138:139]
	v_add_f64 v[32:33], v[32:33], -v[214:215]
	s_waitcnt lgkmcnt(0)
	v_mul_f64 v[138:139], v[240:241], v[140:141]
	v_mul_f64 v[214:215], v[238:239], v[140:141]
	v_fma_f64 v[138:139], v[238:239], v[246:247], -v[138:139]
	v_fma_f64 v[214:215], v[240:241], v[246:247], v[214:215]
	ds_read2_b64 v[238:241], v1 offset0:106 offset1:107
	v_add_f64 v[26:27], v[26:27], -v[138:139]
	v_add_f64 v[28:29], v[28:29], -v[214:215]
	s_waitcnt lgkmcnt(0)
	v_mul_f64 v[138:139], v[240:241], v[140:141]
	v_mul_f64 v[214:215], v[238:239], v[140:141]
	v_fma_f64 v[138:139], v[238:239], v[246:247], -v[138:139]
	v_fma_f64 v[214:215], v[240:241], v[246:247], v[214:215]
	ds_read2_b64 v[238:241], v1 offset0:108 offset1:109
	v_add_f64 v[22:23], v[22:23], -v[138:139]
	v_add_f64 v[24:25], v[24:25], -v[214:215]
	s_waitcnt lgkmcnt(0)
	v_mul_f64 v[138:139], v[240:241], v[140:141]
	v_mul_f64 v[214:215], v[238:239], v[140:141]
	v_fma_f64 v[138:139], v[238:239], v[246:247], -v[138:139]
	v_fma_f64 v[214:215], v[240:241], v[246:247], v[214:215]
	ds_read2_b64 v[238:241], v1 offset0:110 offset1:111
	v_add_f64 v[18:19], v[18:19], -v[138:139]
	v_add_f64 v[20:21], v[20:21], -v[214:215]
	s_waitcnt lgkmcnt(0)
	v_mul_f64 v[138:139], v[240:241], v[140:141]
	v_mul_f64 v[214:215], v[238:239], v[140:141]
	v_fma_f64 v[138:139], v[238:239], v[246:247], -v[138:139]
	v_fma_f64 v[214:215], v[240:241], v[246:247], v[214:215]
	ds_read2_b64 v[238:241], v1 offset0:112 offset1:113
	v_add_f64 v[14:15], v[14:15], -v[138:139]
	v_add_f64 v[16:17], v[16:17], -v[214:215]
	s_waitcnt lgkmcnt(0)
	v_mul_f64 v[138:139], v[240:241], v[140:141]
	v_mul_f64 v[214:215], v[238:239], v[140:141]
	v_fma_f64 v[138:139], v[238:239], v[246:247], -v[138:139]
	v_fma_f64 v[214:215], v[240:241], v[246:247], v[214:215]
	ds_read2_b64 v[238:241], v1 offset0:114 offset1:115
	v_add_f64 v[232:233], v[232:233], -v[138:139]
	v_add_f64 v[234:235], v[234:235], -v[214:215]
	s_waitcnt lgkmcnt(0)
	v_mul_f64 v[138:139], v[240:241], v[140:141]
	v_mul_f64 v[214:215], v[238:239], v[140:141]
	v_fma_f64 v[138:139], v[238:239], v[246:247], -v[138:139]
	v_fma_f64 v[214:215], v[240:241], v[246:247], v[214:215]
	ds_read2_b64 v[238:241], v1 offset0:116 offset1:117
	v_add_f64 v[6:7], v[6:7], -v[138:139]
	v_add_f64 v[8:9], v[8:9], -v[214:215]
	s_waitcnt lgkmcnt(0)
	v_mul_f64 v[138:139], v[240:241], v[140:141]
	v_mul_f64 v[214:215], v[238:239], v[140:141]
	v_fma_f64 v[138:139], v[238:239], v[246:247], -v[138:139]
	v_fma_f64 v[214:215], v[240:241], v[246:247], v[214:215]
	v_add_f64 v[226:227], v[226:227], -v[138:139]
	v_add_f64 v[228:229], v[228:229], -v[214:215]
	v_mov_b32_e32 v138, v246
	v_mov_b32_e32 v139, v247
.LBB116_524:
	s_or_b32 exec_lo, exec_lo, s0
	v_lshl_add_u32 v214, v252, 4, v1
	s_barrier
	buffer_gl0_inv
	v_mov_b32_e32 v246, 25
	ds_write2_b64 v214, v[134:135], v[136:137] offset1:1
	s_waitcnt lgkmcnt(0)
	s_barrier
	buffer_gl0_inv
	ds_read2_b64 v[238:241], v1 offset0:50 offset1:51
	s_cmp_lt_i32 s8, 27
	s_cbranch_scc1 .LBB116_527
; %bb.525:
	v_add3_u32 v247, v248, 0, 0x1a0
	v_mov_b32_e32 v246, 25
	s_mov_b32 s0, 26
	s_inst_prefetch 0x1
	.p2align	6
.LBB116_526:                            ; =>This Inner Loop Header: Depth=1
	s_waitcnt lgkmcnt(0)
	v_cmp_gt_f64_e32 vcc_lo, 0, v[238:239]
	v_xor_b32_e32 v214, 0x80000000, v239
	ds_read2_b64 v[242:245], v247 offset1:1
	v_xor_b32_e32 v216, 0x80000000, v241
	v_add_nc_u32_e32 v247, 16, v247
	s_waitcnt lgkmcnt(0)
	v_xor_b32_e32 v218, 0x80000000, v245
	v_cndmask_b32_e32 v215, v239, v214, vcc_lo
	v_cmp_gt_f64_e32 vcc_lo, 0, v[240:241]
	v_mov_b32_e32 v214, v238
	v_cndmask_b32_e32 v217, v241, v216, vcc_lo
	v_cmp_gt_f64_e32 vcc_lo, 0, v[242:243]
	v_mov_b32_e32 v216, v240
	v_add_f64 v[214:215], v[214:215], v[216:217]
	v_xor_b32_e32 v216, 0x80000000, v243
	v_cndmask_b32_e32 v217, v243, v216, vcc_lo
	v_cmp_gt_f64_e32 vcc_lo, 0, v[244:245]
	v_mov_b32_e32 v216, v242
	v_cndmask_b32_e32 v219, v245, v218, vcc_lo
	v_mov_b32_e32 v218, v244
	v_add_f64 v[216:217], v[216:217], v[218:219]
	v_cmp_lt_f64_e32 vcc_lo, v[214:215], v[216:217]
	v_cndmask_b32_e32 v239, v239, v243, vcc_lo
	v_cndmask_b32_e32 v238, v238, v242, vcc_lo
	;; [unrolled: 1-line block ×4, first 2 shown]
	v_cndmask_b32_e64 v246, v246, s0, vcc_lo
	s_add_i32 s0, s0, 1
	s_cmp_lg_u32 s8, s0
	s_cbranch_scc1 .LBB116_526
.LBB116_527:
	s_inst_prefetch 0x2
	s_waitcnt lgkmcnt(0)
	v_cmp_eq_f64_e32 vcc_lo, 0, v[238:239]
	v_cmp_eq_f64_e64 s0, 0, v[240:241]
	s_and_b32 s0, vcc_lo, s0
	s_and_saveexec_b32 s1, s0
	s_xor_b32 s0, exec_lo, s1
; %bb.528:
	v_cmp_ne_u32_e32 vcc_lo, 0, v251
	v_cndmask_b32_e32 v251, 26, v251, vcc_lo
; %bb.529:
	s_andn2_saveexec_b32 s0, s0
	s_cbranch_execz .LBB116_535
; %bb.530:
	v_cmp_ngt_f64_e64 s1, |v[238:239]|, |v[240:241]|
	s_and_saveexec_b32 s7, s1
	s_xor_b32 s1, exec_lo, s7
	s_cbranch_execz .LBB116_532
; %bb.531:
	v_div_scale_f64 v[214:215], null, v[240:241], v[240:241], v[238:239]
	v_div_scale_f64 v[220:221], vcc_lo, v[238:239], v[240:241], v[238:239]
	v_rcp_f64_e32 v[216:217], v[214:215]
	v_fma_f64 v[218:219], -v[214:215], v[216:217], 1.0
	v_fma_f64 v[216:217], v[216:217], v[218:219], v[216:217]
	v_fma_f64 v[218:219], -v[214:215], v[216:217], 1.0
	v_fma_f64 v[216:217], v[216:217], v[218:219], v[216:217]
	v_mul_f64 v[218:219], v[220:221], v[216:217]
	v_fma_f64 v[214:215], -v[214:215], v[218:219], v[220:221]
	v_div_fmas_f64 v[214:215], v[214:215], v[216:217], v[218:219]
	v_div_fixup_f64 v[214:215], v[214:215], v[240:241], v[238:239]
	v_fma_f64 v[216:217], v[238:239], v[214:215], v[240:241]
	v_div_scale_f64 v[218:219], null, v[216:217], v[216:217], 1.0
	v_rcp_f64_e32 v[220:221], v[218:219]
	v_fma_f64 v[222:223], -v[218:219], v[220:221], 1.0
	v_fma_f64 v[220:221], v[220:221], v[222:223], v[220:221]
	v_fma_f64 v[222:223], -v[218:219], v[220:221], 1.0
	v_fma_f64 v[220:221], v[220:221], v[222:223], v[220:221]
	v_div_scale_f64 v[222:223], vcc_lo, 1.0, v[216:217], 1.0
	v_mul_f64 v[224:225], v[222:223], v[220:221]
	v_fma_f64 v[218:219], -v[218:219], v[224:225], v[222:223]
	v_div_fmas_f64 v[218:219], v[218:219], v[220:221], v[224:225]
	v_div_fixup_f64 v[240:241], v[218:219], v[216:217], 1.0
	v_mul_f64 v[238:239], v[214:215], v[240:241]
	v_xor_b32_e32 v241, 0x80000000, v241
.LBB116_532:
	s_andn2_saveexec_b32 s1, s1
	s_cbranch_execz .LBB116_534
; %bb.533:
	v_div_scale_f64 v[214:215], null, v[238:239], v[238:239], v[240:241]
	v_div_scale_f64 v[220:221], vcc_lo, v[240:241], v[238:239], v[240:241]
	v_rcp_f64_e32 v[216:217], v[214:215]
	v_fma_f64 v[218:219], -v[214:215], v[216:217], 1.0
	v_fma_f64 v[216:217], v[216:217], v[218:219], v[216:217]
	v_fma_f64 v[218:219], -v[214:215], v[216:217], 1.0
	v_fma_f64 v[216:217], v[216:217], v[218:219], v[216:217]
	v_mul_f64 v[218:219], v[220:221], v[216:217]
	v_fma_f64 v[214:215], -v[214:215], v[218:219], v[220:221]
	v_div_fmas_f64 v[214:215], v[214:215], v[216:217], v[218:219]
	v_div_fixup_f64 v[214:215], v[214:215], v[238:239], v[240:241]
	v_fma_f64 v[216:217], v[240:241], v[214:215], v[238:239]
	v_div_scale_f64 v[218:219], null, v[216:217], v[216:217], 1.0
	v_rcp_f64_e32 v[220:221], v[218:219]
	v_fma_f64 v[222:223], -v[218:219], v[220:221], 1.0
	v_fma_f64 v[220:221], v[220:221], v[222:223], v[220:221]
	v_fma_f64 v[222:223], -v[218:219], v[220:221], 1.0
	v_fma_f64 v[220:221], v[220:221], v[222:223], v[220:221]
	v_div_scale_f64 v[222:223], vcc_lo, 1.0, v[216:217], 1.0
	v_mul_f64 v[224:225], v[222:223], v[220:221]
	v_fma_f64 v[218:219], -v[218:219], v[224:225], v[222:223]
	v_div_fmas_f64 v[218:219], v[218:219], v[220:221], v[224:225]
	v_div_fixup_f64 v[238:239], v[218:219], v[216:217], 1.0
	v_mul_f64 v[240:241], v[214:215], -v[238:239]
.LBB116_534:
	s_or_b32 exec_lo, exec_lo, s1
.LBB116_535:
	s_or_b32 exec_lo, exec_lo, s0
	s_mov_b32 s0, exec_lo
	v_cmpx_ne_u32_e64 v252, v246
	s_xor_b32 s0, exec_lo, s0
	s_cbranch_execz .LBB116_541
; %bb.536:
	s_mov_b32 s1, exec_lo
	v_cmpx_eq_u32_e32 25, v252
	s_cbranch_execz .LBB116_540
; %bb.537:
	v_cmp_ne_u32_e32 vcc_lo, 25, v246
	s_xor_b32 s7, s16, -1
	s_and_b32 s9, s7, vcc_lo
	s_and_saveexec_b32 s7, s9
	s_cbranch_execz .LBB116_539
; %bb.538:
	s_clause 0x1
	buffer_load_dword v210, off, s[20:23], 0 offset:16
	buffer_load_dword v211, off, s[20:23], 0 offset:20
	v_ashrrev_i32_e32 v247, 31, v246
	v_lshlrev_b64 v[214:215], 2, v[246:247]
	s_waitcnt vmcnt(1)
	v_add_co_u32 v214, vcc_lo, v210, v214
	s_waitcnt vmcnt(0)
	v_add_co_ci_u32_e64 v215, null, v211, v215, vcc_lo
	s_clause 0x1
	global_load_dword v0, v[214:215], off
	global_load_dword v216, v[210:211], off offset:100
	s_waitcnt vmcnt(1)
	global_store_dword v[210:211], v0, off offset:100
	s_waitcnt vmcnt(0)
	global_store_dword v[214:215], v216, off
.LBB116_539:
	s_or_b32 exec_lo, exec_lo, s7
	v_mov_b32_e32 v252, v246
	v_mov_b32_e32 v0, v246
.LBB116_540:
	s_or_b32 exec_lo, exec_lo, s1
.LBB116_541:
	s_andn2_saveexec_b32 s0, s0
	s_cbranch_execz .LBB116_543
; %bb.542:
	v_mov_b32_e32 v252, 25
	ds_write2_b64 v1, v[130:131], v[132:133] offset0:52 offset1:53
	ds_write2_b64 v1, v[126:127], v[128:129] offset0:54 offset1:55
	;; [unrolled: 1-line block ×33, first 2 shown]
.LBB116_543:
	s_or_b32 exec_lo, exec_lo, s0
	s_mov_b32 s0, exec_lo
	s_waitcnt lgkmcnt(0)
	s_waitcnt_vscnt null, 0x0
	s_barrier
	buffer_gl0_inv
	v_cmpx_lt_i32_e32 25, v252
	s_cbranch_execz .LBB116_545
; %bb.544:
	v_mul_f64 v[214:215], v[240:241], v[136:137]
	v_mul_f64 v[136:137], v[238:239], v[136:137]
	v_fma_f64 v[246:247], v[238:239], v[134:135], -v[214:215]
	v_fma_f64 v[136:137], v[240:241], v[134:135], v[136:137]
	ds_read2_b64 v[238:241], v1 offset0:52 offset1:53
	s_waitcnt lgkmcnt(0)
	v_mul_f64 v[134:135], v[240:241], v[136:137]
	v_mul_f64 v[214:215], v[238:239], v[136:137]
	v_fma_f64 v[134:135], v[238:239], v[246:247], -v[134:135]
	v_fma_f64 v[214:215], v[240:241], v[246:247], v[214:215]
	ds_read2_b64 v[238:241], v1 offset0:54 offset1:55
	v_add_f64 v[130:131], v[130:131], -v[134:135]
	v_add_f64 v[132:133], v[132:133], -v[214:215]
	s_waitcnt lgkmcnt(0)
	v_mul_f64 v[134:135], v[240:241], v[136:137]
	v_mul_f64 v[214:215], v[238:239], v[136:137]
	v_fma_f64 v[134:135], v[238:239], v[246:247], -v[134:135]
	v_fma_f64 v[214:215], v[240:241], v[246:247], v[214:215]
	ds_read2_b64 v[238:241], v1 offset0:56 offset1:57
	v_add_f64 v[126:127], v[126:127], -v[134:135]
	v_add_f64 v[128:129], v[128:129], -v[214:215]
	;; [unrolled: 8-line block ×32, first 2 shown]
	s_waitcnt lgkmcnt(0)
	v_mul_f64 v[134:135], v[240:241], v[136:137]
	v_mul_f64 v[214:215], v[238:239], v[136:137]
	v_fma_f64 v[134:135], v[238:239], v[246:247], -v[134:135]
	v_fma_f64 v[214:215], v[240:241], v[246:247], v[214:215]
	v_add_f64 v[226:227], v[226:227], -v[134:135]
	v_add_f64 v[228:229], v[228:229], -v[214:215]
	v_mov_b32_e32 v134, v246
	v_mov_b32_e32 v135, v247
.LBB116_545:
	s_or_b32 exec_lo, exec_lo, s0
	v_lshl_add_u32 v214, v252, 4, v1
	s_barrier
	buffer_gl0_inv
	v_mov_b32_e32 v246, 26
	ds_write2_b64 v214, v[130:131], v[132:133] offset1:1
	s_waitcnt lgkmcnt(0)
	s_barrier
	buffer_gl0_inv
	ds_read2_b64 v[238:241], v1 offset0:52 offset1:53
	s_cmp_lt_i32 s8, 28
	s_cbranch_scc1 .LBB116_548
; %bb.546:
	v_add3_u32 v247, v248, 0, 0x1b0
	v_mov_b32_e32 v246, 26
	s_mov_b32 s0, 27
	s_inst_prefetch 0x1
	.p2align	6
.LBB116_547:                            ; =>This Inner Loop Header: Depth=1
	s_waitcnt lgkmcnt(0)
	v_cmp_gt_f64_e32 vcc_lo, 0, v[238:239]
	v_xor_b32_e32 v214, 0x80000000, v239
	ds_read2_b64 v[242:245], v247 offset1:1
	v_xor_b32_e32 v216, 0x80000000, v241
	v_add_nc_u32_e32 v247, 16, v247
	s_waitcnt lgkmcnt(0)
	v_xor_b32_e32 v218, 0x80000000, v245
	v_cndmask_b32_e32 v215, v239, v214, vcc_lo
	v_cmp_gt_f64_e32 vcc_lo, 0, v[240:241]
	v_mov_b32_e32 v214, v238
	v_cndmask_b32_e32 v217, v241, v216, vcc_lo
	v_cmp_gt_f64_e32 vcc_lo, 0, v[242:243]
	v_mov_b32_e32 v216, v240
	v_add_f64 v[214:215], v[214:215], v[216:217]
	v_xor_b32_e32 v216, 0x80000000, v243
	v_cndmask_b32_e32 v217, v243, v216, vcc_lo
	v_cmp_gt_f64_e32 vcc_lo, 0, v[244:245]
	v_mov_b32_e32 v216, v242
	v_cndmask_b32_e32 v219, v245, v218, vcc_lo
	v_mov_b32_e32 v218, v244
	v_add_f64 v[216:217], v[216:217], v[218:219]
	v_cmp_lt_f64_e32 vcc_lo, v[214:215], v[216:217]
	v_cndmask_b32_e32 v239, v239, v243, vcc_lo
	v_cndmask_b32_e32 v238, v238, v242, vcc_lo
	;; [unrolled: 1-line block ×4, first 2 shown]
	v_cndmask_b32_e64 v246, v246, s0, vcc_lo
	s_add_i32 s0, s0, 1
	s_cmp_lg_u32 s8, s0
	s_cbranch_scc1 .LBB116_547
.LBB116_548:
	s_inst_prefetch 0x2
	s_waitcnt lgkmcnt(0)
	v_cmp_eq_f64_e32 vcc_lo, 0, v[238:239]
	v_cmp_eq_f64_e64 s0, 0, v[240:241]
	s_and_b32 s0, vcc_lo, s0
	s_and_saveexec_b32 s1, s0
	s_xor_b32 s0, exec_lo, s1
; %bb.549:
	v_cmp_ne_u32_e32 vcc_lo, 0, v251
	v_cndmask_b32_e32 v251, 27, v251, vcc_lo
; %bb.550:
	s_andn2_saveexec_b32 s0, s0
	s_cbranch_execz .LBB116_556
; %bb.551:
	v_cmp_ngt_f64_e64 s1, |v[238:239]|, |v[240:241]|
	s_and_saveexec_b32 s7, s1
	s_xor_b32 s1, exec_lo, s7
	s_cbranch_execz .LBB116_553
; %bb.552:
	v_div_scale_f64 v[214:215], null, v[240:241], v[240:241], v[238:239]
	v_div_scale_f64 v[220:221], vcc_lo, v[238:239], v[240:241], v[238:239]
	v_rcp_f64_e32 v[216:217], v[214:215]
	v_fma_f64 v[218:219], -v[214:215], v[216:217], 1.0
	v_fma_f64 v[216:217], v[216:217], v[218:219], v[216:217]
	v_fma_f64 v[218:219], -v[214:215], v[216:217], 1.0
	v_fma_f64 v[216:217], v[216:217], v[218:219], v[216:217]
	v_mul_f64 v[218:219], v[220:221], v[216:217]
	v_fma_f64 v[214:215], -v[214:215], v[218:219], v[220:221]
	v_div_fmas_f64 v[214:215], v[214:215], v[216:217], v[218:219]
	v_div_fixup_f64 v[214:215], v[214:215], v[240:241], v[238:239]
	v_fma_f64 v[216:217], v[238:239], v[214:215], v[240:241]
	v_div_scale_f64 v[218:219], null, v[216:217], v[216:217], 1.0
	v_rcp_f64_e32 v[220:221], v[218:219]
	v_fma_f64 v[222:223], -v[218:219], v[220:221], 1.0
	v_fma_f64 v[220:221], v[220:221], v[222:223], v[220:221]
	v_fma_f64 v[222:223], -v[218:219], v[220:221], 1.0
	v_fma_f64 v[220:221], v[220:221], v[222:223], v[220:221]
	v_div_scale_f64 v[222:223], vcc_lo, 1.0, v[216:217], 1.0
	v_mul_f64 v[224:225], v[222:223], v[220:221]
	v_fma_f64 v[218:219], -v[218:219], v[224:225], v[222:223]
	v_div_fmas_f64 v[218:219], v[218:219], v[220:221], v[224:225]
	v_div_fixup_f64 v[240:241], v[218:219], v[216:217], 1.0
	v_mul_f64 v[238:239], v[214:215], v[240:241]
	v_xor_b32_e32 v241, 0x80000000, v241
.LBB116_553:
	s_andn2_saveexec_b32 s1, s1
	s_cbranch_execz .LBB116_555
; %bb.554:
	v_div_scale_f64 v[214:215], null, v[238:239], v[238:239], v[240:241]
	v_div_scale_f64 v[220:221], vcc_lo, v[240:241], v[238:239], v[240:241]
	v_rcp_f64_e32 v[216:217], v[214:215]
	v_fma_f64 v[218:219], -v[214:215], v[216:217], 1.0
	v_fma_f64 v[216:217], v[216:217], v[218:219], v[216:217]
	v_fma_f64 v[218:219], -v[214:215], v[216:217], 1.0
	v_fma_f64 v[216:217], v[216:217], v[218:219], v[216:217]
	v_mul_f64 v[218:219], v[220:221], v[216:217]
	v_fma_f64 v[214:215], -v[214:215], v[218:219], v[220:221]
	v_div_fmas_f64 v[214:215], v[214:215], v[216:217], v[218:219]
	v_div_fixup_f64 v[214:215], v[214:215], v[238:239], v[240:241]
	v_fma_f64 v[216:217], v[240:241], v[214:215], v[238:239]
	v_div_scale_f64 v[218:219], null, v[216:217], v[216:217], 1.0
	v_rcp_f64_e32 v[220:221], v[218:219]
	v_fma_f64 v[222:223], -v[218:219], v[220:221], 1.0
	v_fma_f64 v[220:221], v[220:221], v[222:223], v[220:221]
	v_fma_f64 v[222:223], -v[218:219], v[220:221], 1.0
	v_fma_f64 v[220:221], v[220:221], v[222:223], v[220:221]
	v_div_scale_f64 v[222:223], vcc_lo, 1.0, v[216:217], 1.0
	v_mul_f64 v[224:225], v[222:223], v[220:221]
	v_fma_f64 v[218:219], -v[218:219], v[224:225], v[222:223]
	v_div_fmas_f64 v[218:219], v[218:219], v[220:221], v[224:225]
	v_div_fixup_f64 v[238:239], v[218:219], v[216:217], 1.0
	v_mul_f64 v[240:241], v[214:215], -v[238:239]
.LBB116_555:
	s_or_b32 exec_lo, exec_lo, s1
.LBB116_556:
	s_or_b32 exec_lo, exec_lo, s0
	s_mov_b32 s0, exec_lo
	v_cmpx_ne_u32_e64 v252, v246
	s_xor_b32 s0, exec_lo, s0
	s_cbranch_execz .LBB116_562
; %bb.557:
	s_mov_b32 s1, exec_lo
	v_cmpx_eq_u32_e32 26, v252
	s_cbranch_execz .LBB116_561
; %bb.558:
	v_cmp_ne_u32_e32 vcc_lo, 26, v246
	s_xor_b32 s7, s16, -1
	s_and_b32 s9, s7, vcc_lo
	s_and_saveexec_b32 s7, s9
	s_cbranch_execz .LBB116_560
; %bb.559:
	s_clause 0x1
	buffer_load_dword v210, off, s[20:23], 0 offset:16
	buffer_load_dword v211, off, s[20:23], 0 offset:20
	v_ashrrev_i32_e32 v247, 31, v246
	v_lshlrev_b64 v[214:215], 2, v[246:247]
	s_waitcnt vmcnt(1)
	v_add_co_u32 v214, vcc_lo, v210, v214
	s_waitcnt vmcnt(0)
	v_add_co_ci_u32_e64 v215, null, v211, v215, vcc_lo
	s_clause 0x1
	global_load_dword v0, v[214:215], off
	global_load_dword v216, v[210:211], off offset:104
	s_waitcnt vmcnt(1)
	global_store_dword v[210:211], v0, off offset:104
	s_waitcnt vmcnt(0)
	global_store_dword v[214:215], v216, off
.LBB116_560:
	s_or_b32 exec_lo, exec_lo, s7
	v_mov_b32_e32 v252, v246
	v_mov_b32_e32 v0, v246
.LBB116_561:
	s_or_b32 exec_lo, exec_lo, s1
.LBB116_562:
	s_andn2_saveexec_b32 s0, s0
	s_cbranch_execz .LBB116_564
; %bb.563:
	v_mov_b32_e32 v252, 26
	ds_write2_b64 v1, v[126:127], v[128:129] offset0:54 offset1:55
	ds_write2_b64 v1, v[122:123], v[124:125] offset0:56 offset1:57
	;; [unrolled: 1-line block ×32, first 2 shown]
.LBB116_564:
	s_or_b32 exec_lo, exec_lo, s0
	s_mov_b32 s0, exec_lo
	s_waitcnt lgkmcnt(0)
	s_waitcnt_vscnt null, 0x0
	s_barrier
	buffer_gl0_inv
	v_cmpx_lt_i32_e32 26, v252
	s_cbranch_execz .LBB116_566
; %bb.565:
	v_mul_f64 v[214:215], v[240:241], v[132:133]
	v_mul_f64 v[132:133], v[238:239], v[132:133]
	v_fma_f64 v[246:247], v[238:239], v[130:131], -v[214:215]
	v_fma_f64 v[132:133], v[240:241], v[130:131], v[132:133]
	ds_read2_b64 v[238:241], v1 offset0:54 offset1:55
	s_waitcnt lgkmcnt(0)
	v_mul_f64 v[130:131], v[240:241], v[132:133]
	v_mul_f64 v[214:215], v[238:239], v[132:133]
	v_fma_f64 v[130:131], v[238:239], v[246:247], -v[130:131]
	v_fma_f64 v[214:215], v[240:241], v[246:247], v[214:215]
	ds_read2_b64 v[238:241], v1 offset0:56 offset1:57
	v_add_f64 v[126:127], v[126:127], -v[130:131]
	v_add_f64 v[128:129], v[128:129], -v[214:215]
	s_waitcnt lgkmcnt(0)
	v_mul_f64 v[130:131], v[240:241], v[132:133]
	v_mul_f64 v[214:215], v[238:239], v[132:133]
	v_fma_f64 v[130:131], v[238:239], v[246:247], -v[130:131]
	v_fma_f64 v[214:215], v[240:241], v[246:247], v[214:215]
	ds_read2_b64 v[238:241], v1 offset0:58 offset1:59
	v_add_f64 v[122:123], v[122:123], -v[130:131]
	v_add_f64 v[124:125], v[124:125], -v[214:215]
	;; [unrolled: 8-line block ×31, first 2 shown]
	s_waitcnt lgkmcnt(0)
	v_mul_f64 v[130:131], v[240:241], v[132:133]
	v_mul_f64 v[214:215], v[238:239], v[132:133]
	v_fma_f64 v[130:131], v[238:239], v[246:247], -v[130:131]
	v_fma_f64 v[214:215], v[240:241], v[246:247], v[214:215]
	v_add_f64 v[226:227], v[226:227], -v[130:131]
	v_add_f64 v[228:229], v[228:229], -v[214:215]
	v_mov_b32_e32 v130, v246
	v_mov_b32_e32 v131, v247
.LBB116_566:
	s_or_b32 exec_lo, exec_lo, s0
	v_lshl_add_u32 v214, v252, 4, v1
	s_barrier
	buffer_gl0_inv
	v_mov_b32_e32 v246, 27
	ds_write2_b64 v214, v[126:127], v[128:129] offset1:1
	s_waitcnt lgkmcnt(0)
	s_barrier
	buffer_gl0_inv
	ds_read2_b64 v[238:241], v1 offset0:54 offset1:55
	s_cmp_lt_i32 s8, 29
	s_cbranch_scc1 .LBB116_569
; %bb.567:
	v_add3_u32 v247, v248, 0, 0x1c0
	v_mov_b32_e32 v246, 27
	s_mov_b32 s0, 28
	s_inst_prefetch 0x1
	.p2align	6
.LBB116_568:                            ; =>This Inner Loop Header: Depth=1
	s_waitcnt lgkmcnt(0)
	v_cmp_gt_f64_e32 vcc_lo, 0, v[238:239]
	v_xor_b32_e32 v214, 0x80000000, v239
	ds_read2_b64 v[242:245], v247 offset1:1
	v_xor_b32_e32 v216, 0x80000000, v241
	v_add_nc_u32_e32 v247, 16, v247
	s_waitcnt lgkmcnt(0)
	v_xor_b32_e32 v218, 0x80000000, v245
	v_cndmask_b32_e32 v215, v239, v214, vcc_lo
	v_cmp_gt_f64_e32 vcc_lo, 0, v[240:241]
	v_mov_b32_e32 v214, v238
	v_cndmask_b32_e32 v217, v241, v216, vcc_lo
	v_cmp_gt_f64_e32 vcc_lo, 0, v[242:243]
	v_mov_b32_e32 v216, v240
	v_add_f64 v[214:215], v[214:215], v[216:217]
	v_xor_b32_e32 v216, 0x80000000, v243
	v_cndmask_b32_e32 v217, v243, v216, vcc_lo
	v_cmp_gt_f64_e32 vcc_lo, 0, v[244:245]
	v_mov_b32_e32 v216, v242
	v_cndmask_b32_e32 v219, v245, v218, vcc_lo
	v_mov_b32_e32 v218, v244
	v_add_f64 v[216:217], v[216:217], v[218:219]
	v_cmp_lt_f64_e32 vcc_lo, v[214:215], v[216:217]
	v_cndmask_b32_e32 v239, v239, v243, vcc_lo
	v_cndmask_b32_e32 v238, v238, v242, vcc_lo
	;; [unrolled: 1-line block ×4, first 2 shown]
	v_cndmask_b32_e64 v246, v246, s0, vcc_lo
	s_add_i32 s0, s0, 1
	s_cmp_lg_u32 s8, s0
	s_cbranch_scc1 .LBB116_568
.LBB116_569:
	s_inst_prefetch 0x2
	s_waitcnt lgkmcnt(0)
	v_cmp_eq_f64_e32 vcc_lo, 0, v[238:239]
	v_cmp_eq_f64_e64 s0, 0, v[240:241]
	s_and_b32 s0, vcc_lo, s0
	s_and_saveexec_b32 s1, s0
	s_xor_b32 s0, exec_lo, s1
; %bb.570:
	v_cmp_ne_u32_e32 vcc_lo, 0, v251
	v_cndmask_b32_e32 v251, 28, v251, vcc_lo
; %bb.571:
	s_andn2_saveexec_b32 s0, s0
	s_cbranch_execz .LBB116_577
; %bb.572:
	v_cmp_ngt_f64_e64 s1, |v[238:239]|, |v[240:241]|
	s_and_saveexec_b32 s7, s1
	s_xor_b32 s1, exec_lo, s7
	s_cbranch_execz .LBB116_574
; %bb.573:
	v_div_scale_f64 v[214:215], null, v[240:241], v[240:241], v[238:239]
	v_div_scale_f64 v[220:221], vcc_lo, v[238:239], v[240:241], v[238:239]
	v_rcp_f64_e32 v[216:217], v[214:215]
	v_fma_f64 v[218:219], -v[214:215], v[216:217], 1.0
	v_fma_f64 v[216:217], v[216:217], v[218:219], v[216:217]
	v_fma_f64 v[218:219], -v[214:215], v[216:217], 1.0
	v_fma_f64 v[216:217], v[216:217], v[218:219], v[216:217]
	v_mul_f64 v[218:219], v[220:221], v[216:217]
	v_fma_f64 v[214:215], -v[214:215], v[218:219], v[220:221]
	v_div_fmas_f64 v[214:215], v[214:215], v[216:217], v[218:219]
	v_div_fixup_f64 v[214:215], v[214:215], v[240:241], v[238:239]
	v_fma_f64 v[216:217], v[238:239], v[214:215], v[240:241]
	v_div_scale_f64 v[218:219], null, v[216:217], v[216:217], 1.0
	v_rcp_f64_e32 v[220:221], v[218:219]
	v_fma_f64 v[222:223], -v[218:219], v[220:221], 1.0
	v_fma_f64 v[220:221], v[220:221], v[222:223], v[220:221]
	v_fma_f64 v[222:223], -v[218:219], v[220:221], 1.0
	v_fma_f64 v[220:221], v[220:221], v[222:223], v[220:221]
	v_div_scale_f64 v[222:223], vcc_lo, 1.0, v[216:217], 1.0
	v_mul_f64 v[224:225], v[222:223], v[220:221]
	v_fma_f64 v[218:219], -v[218:219], v[224:225], v[222:223]
	v_div_fmas_f64 v[218:219], v[218:219], v[220:221], v[224:225]
	v_div_fixup_f64 v[240:241], v[218:219], v[216:217], 1.0
	v_mul_f64 v[238:239], v[214:215], v[240:241]
	v_xor_b32_e32 v241, 0x80000000, v241
.LBB116_574:
	s_andn2_saveexec_b32 s1, s1
	s_cbranch_execz .LBB116_576
; %bb.575:
	v_div_scale_f64 v[214:215], null, v[238:239], v[238:239], v[240:241]
	v_div_scale_f64 v[220:221], vcc_lo, v[240:241], v[238:239], v[240:241]
	v_rcp_f64_e32 v[216:217], v[214:215]
	v_fma_f64 v[218:219], -v[214:215], v[216:217], 1.0
	v_fma_f64 v[216:217], v[216:217], v[218:219], v[216:217]
	v_fma_f64 v[218:219], -v[214:215], v[216:217], 1.0
	v_fma_f64 v[216:217], v[216:217], v[218:219], v[216:217]
	v_mul_f64 v[218:219], v[220:221], v[216:217]
	v_fma_f64 v[214:215], -v[214:215], v[218:219], v[220:221]
	v_div_fmas_f64 v[214:215], v[214:215], v[216:217], v[218:219]
	v_div_fixup_f64 v[214:215], v[214:215], v[238:239], v[240:241]
	v_fma_f64 v[216:217], v[240:241], v[214:215], v[238:239]
	v_div_scale_f64 v[218:219], null, v[216:217], v[216:217], 1.0
	v_rcp_f64_e32 v[220:221], v[218:219]
	v_fma_f64 v[222:223], -v[218:219], v[220:221], 1.0
	v_fma_f64 v[220:221], v[220:221], v[222:223], v[220:221]
	v_fma_f64 v[222:223], -v[218:219], v[220:221], 1.0
	v_fma_f64 v[220:221], v[220:221], v[222:223], v[220:221]
	v_div_scale_f64 v[222:223], vcc_lo, 1.0, v[216:217], 1.0
	v_mul_f64 v[224:225], v[222:223], v[220:221]
	v_fma_f64 v[218:219], -v[218:219], v[224:225], v[222:223]
	v_div_fmas_f64 v[218:219], v[218:219], v[220:221], v[224:225]
	v_div_fixup_f64 v[238:239], v[218:219], v[216:217], 1.0
	v_mul_f64 v[240:241], v[214:215], -v[238:239]
.LBB116_576:
	s_or_b32 exec_lo, exec_lo, s1
.LBB116_577:
	s_or_b32 exec_lo, exec_lo, s0
	s_mov_b32 s0, exec_lo
	v_cmpx_ne_u32_e64 v252, v246
	s_xor_b32 s0, exec_lo, s0
	s_cbranch_execz .LBB116_583
; %bb.578:
	s_mov_b32 s1, exec_lo
	v_cmpx_eq_u32_e32 27, v252
	s_cbranch_execz .LBB116_582
; %bb.579:
	v_cmp_ne_u32_e32 vcc_lo, 27, v246
	s_xor_b32 s7, s16, -1
	s_and_b32 s9, s7, vcc_lo
	s_and_saveexec_b32 s7, s9
	s_cbranch_execz .LBB116_581
; %bb.580:
	s_clause 0x1
	buffer_load_dword v210, off, s[20:23], 0 offset:16
	buffer_load_dword v211, off, s[20:23], 0 offset:20
	v_ashrrev_i32_e32 v247, 31, v246
	v_lshlrev_b64 v[214:215], 2, v[246:247]
	s_waitcnt vmcnt(1)
	v_add_co_u32 v214, vcc_lo, v210, v214
	s_waitcnt vmcnt(0)
	v_add_co_ci_u32_e64 v215, null, v211, v215, vcc_lo
	s_clause 0x1
	global_load_dword v0, v[214:215], off
	global_load_dword v216, v[210:211], off offset:108
	s_waitcnt vmcnt(1)
	global_store_dword v[210:211], v0, off offset:108
	s_waitcnt vmcnt(0)
	global_store_dword v[214:215], v216, off
.LBB116_581:
	s_or_b32 exec_lo, exec_lo, s7
	v_mov_b32_e32 v252, v246
	v_mov_b32_e32 v0, v246
.LBB116_582:
	s_or_b32 exec_lo, exec_lo, s1
.LBB116_583:
	s_andn2_saveexec_b32 s0, s0
	s_cbranch_execz .LBB116_585
; %bb.584:
	v_mov_b32_e32 v252, 27
	ds_write2_b64 v1, v[122:123], v[124:125] offset0:56 offset1:57
	ds_write2_b64 v1, v[118:119], v[120:121] offset0:58 offset1:59
	;; [unrolled: 1-line block ×31, first 2 shown]
.LBB116_585:
	s_or_b32 exec_lo, exec_lo, s0
	s_mov_b32 s0, exec_lo
	s_waitcnt lgkmcnt(0)
	s_waitcnt_vscnt null, 0x0
	s_barrier
	buffer_gl0_inv
	v_cmpx_lt_i32_e32 27, v252
	s_cbranch_execz .LBB116_587
; %bb.586:
	v_mul_f64 v[214:215], v[240:241], v[128:129]
	v_mul_f64 v[128:129], v[238:239], v[128:129]
	v_fma_f64 v[246:247], v[238:239], v[126:127], -v[214:215]
	v_fma_f64 v[128:129], v[240:241], v[126:127], v[128:129]
	ds_read2_b64 v[238:241], v1 offset0:56 offset1:57
	s_waitcnt lgkmcnt(0)
	v_mul_f64 v[126:127], v[240:241], v[128:129]
	v_mul_f64 v[214:215], v[238:239], v[128:129]
	v_fma_f64 v[126:127], v[238:239], v[246:247], -v[126:127]
	v_fma_f64 v[214:215], v[240:241], v[246:247], v[214:215]
	ds_read2_b64 v[238:241], v1 offset0:58 offset1:59
	v_add_f64 v[122:123], v[122:123], -v[126:127]
	v_add_f64 v[124:125], v[124:125], -v[214:215]
	s_waitcnt lgkmcnt(0)
	v_mul_f64 v[126:127], v[240:241], v[128:129]
	v_mul_f64 v[214:215], v[238:239], v[128:129]
	v_fma_f64 v[126:127], v[238:239], v[246:247], -v[126:127]
	v_fma_f64 v[214:215], v[240:241], v[246:247], v[214:215]
	ds_read2_b64 v[238:241], v1 offset0:60 offset1:61
	v_add_f64 v[118:119], v[118:119], -v[126:127]
	v_add_f64 v[120:121], v[120:121], -v[214:215]
	s_waitcnt lgkmcnt(0)
	v_mul_f64 v[126:127], v[240:241], v[128:129]
	v_mul_f64 v[214:215], v[238:239], v[128:129]
	v_fma_f64 v[126:127], v[238:239], v[246:247], -v[126:127]
	v_fma_f64 v[214:215], v[240:241], v[246:247], v[214:215]
	ds_read2_b64 v[238:241], v1 offset0:62 offset1:63
	v_add_f64 v[114:115], v[114:115], -v[126:127]
	v_add_f64 v[116:117], v[116:117], -v[214:215]
	s_waitcnt lgkmcnt(0)
	v_mul_f64 v[126:127], v[240:241], v[128:129]
	v_mul_f64 v[214:215], v[238:239], v[128:129]
	v_fma_f64 v[126:127], v[238:239], v[246:247], -v[126:127]
	v_fma_f64 v[214:215], v[240:241], v[246:247], v[214:215]
	ds_read2_b64 v[238:241], v1 offset0:64 offset1:65
	v_add_f64 v[110:111], v[110:111], -v[126:127]
	v_add_f64 v[112:113], v[112:113], -v[214:215]
	s_waitcnt lgkmcnt(0)
	v_mul_f64 v[126:127], v[240:241], v[128:129]
	v_mul_f64 v[214:215], v[238:239], v[128:129]
	v_fma_f64 v[126:127], v[238:239], v[246:247], -v[126:127]
	v_fma_f64 v[214:215], v[240:241], v[246:247], v[214:215]
	ds_read2_b64 v[238:241], v1 offset0:66 offset1:67
	v_add_f64 v[106:107], v[106:107], -v[126:127]
	v_add_f64 v[108:109], v[108:109], -v[214:215]
	s_waitcnt lgkmcnt(0)
	v_mul_f64 v[126:127], v[240:241], v[128:129]
	v_mul_f64 v[214:215], v[238:239], v[128:129]
	v_fma_f64 v[126:127], v[238:239], v[246:247], -v[126:127]
	v_fma_f64 v[214:215], v[240:241], v[246:247], v[214:215]
	ds_read2_b64 v[238:241], v1 offset0:68 offset1:69
	v_add_f64 v[102:103], v[102:103], -v[126:127]
	v_add_f64 v[104:105], v[104:105], -v[214:215]
	s_waitcnt lgkmcnt(0)
	v_mul_f64 v[126:127], v[240:241], v[128:129]
	v_mul_f64 v[214:215], v[238:239], v[128:129]
	v_fma_f64 v[126:127], v[238:239], v[246:247], -v[126:127]
	v_fma_f64 v[214:215], v[240:241], v[246:247], v[214:215]
	ds_read2_b64 v[238:241], v1 offset0:70 offset1:71
	v_add_f64 v[98:99], v[98:99], -v[126:127]
	v_add_f64 v[100:101], v[100:101], -v[214:215]
	s_waitcnt lgkmcnt(0)
	v_mul_f64 v[126:127], v[240:241], v[128:129]
	v_mul_f64 v[214:215], v[238:239], v[128:129]
	v_fma_f64 v[126:127], v[238:239], v[246:247], -v[126:127]
	v_fma_f64 v[214:215], v[240:241], v[246:247], v[214:215]
	ds_read2_b64 v[238:241], v1 offset0:72 offset1:73
	v_add_f64 v[94:95], v[94:95], -v[126:127]
	v_add_f64 v[96:97], v[96:97], -v[214:215]
	s_waitcnt lgkmcnt(0)
	v_mul_f64 v[126:127], v[240:241], v[128:129]
	v_mul_f64 v[214:215], v[238:239], v[128:129]
	v_fma_f64 v[126:127], v[238:239], v[246:247], -v[126:127]
	v_fma_f64 v[214:215], v[240:241], v[246:247], v[214:215]
	ds_read2_b64 v[238:241], v1 offset0:74 offset1:75
	v_add_f64 v[90:91], v[90:91], -v[126:127]
	v_add_f64 v[92:93], v[92:93], -v[214:215]
	s_waitcnt lgkmcnt(0)
	v_mul_f64 v[126:127], v[240:241], v[128:129]
	v_mul_f64 v[214:215], v[238:239], v[128:129]
	v_fma_f64 v[126:127], v[238:239], v[246:247], -v[126:127]
	v_fma_f64 v[214:215], v[240:241], v[246:247], v[214:215]
	ds_read2_b64 v[238:241], v1 offset0:76 offset1:77
	v_add_f64 v[86:87], v[86:87], -v[126:127]
	v_add_f64 v[88:89], v[88:89], -v[214:215]
	s_waitcnt lgkmcnt(0)
	v_mul_f64 v[126:127], v[240:241], v[128:129]
	v_mul_f64 v[214:215], v[238:239], v[128:129]
	v_fma_f64 v[126:127], v[238:239], v[246:247], -v[126:127]
	v_fma_f64 v[214:215], v[240:241], v[246:247], v[214:215]
	ds_read2_b64 v[238:241], v1 offset0:78 offset1:79
	v_add_f64 v[82:83], v[82:83], -v[126:127]
	v_add_f64 v[84:85], v[84:85], -v[214:215]
	s_waitcnt lgkmcnt(0)
	v_mul_f64 v[126:127], v[240:241], v[128:129]
	v_mul_f64 v[214:215], v[238:239], v[128:129]
	v_fma_f64 v[126:127], v[238:239], v[246:247], -v[126:127]
	v_fma_f64 v[214:215], v[240:241], v[246:247], v[214:215]
	ds_read2_b64 v[238:241], v1 offset0:80 offset1:81
	v_add_f64 v[78:79], v[78:79], -v[126:127]
	v_add_f64 v[80:81], v[80:81], -v[214:215]
	s_waitcnt lgkmcnt(0)
	v_mul_f64 v[126:127], v[240:241], v[128:129]
	v_mul_f64 v[214:215], v[238:239], v[128:129]
	v_fma_f64 v[126:127], v[238:239], v[246:247], -v[126:127]
	v_fma_f64 v[214:215], v[240:241], v[246:247], v[214:215]
	ds_read2_b64 v[238:241], v1 offset0:82 offset1:83
	v_add_f64 v[74:75], v[74:75], -v[126:127]
	v_add_f64 v[76:77], v[76:77], -v[214:215]
	s_waitcnt lgkmcnt(0)
	v_mul_f64 v[126:127], v[240:241], v[128:129]
	v_mul_f64 v[214:215], v[238:239], v[128:129]
	v_fma_f64 v[126:127], v[238:239], v[246:247], -v[126:127]
	v_fma_f64 v[214:215], v[240:241], v[246:247], v[214:215]
	ds_read2_b64 v[238:241], v1 offset0:84 offset1:85
	v_add_f64 v[70:71], v[70:71], -v[126:127]
	v_add_f64 v[72:73], v[72:73], -v[214:215]
	s_waitcnt lgkmcnt(0)
	v_mul_f64 v[126:127], v[240:241], v[128:129]
	v_mul_f64 v[214:215], v[238:239], v[128:129]
	v_fma_f64 v[126:127], v[238:239], v[246:247], -v[126:127]
	v_fma_f64 v[214:215], v[240:241], v[246:247], v[214:215]
	ds_read2_b64 v[238:241], v1 offset0:86 offset1:87
	v_add_f64 v[66:67], v[66:67], -v[126:127]
	v_add_f64 v[68:69], v[68:69], -v[214:215]
	s_waitcnt lgkmcnt(0)
	v_mul_f64 v[126:127], v[240:241], v[128:129]
	v_mul_f64 v[214:215], v[238:239], v[128:129]
	v_fma_f64 v[126:127], v[238:239], v[246:247], -v[126:127]
	v_fma_f64 v[214:215], v[240:241], v[246:247], v[214:215]
	ds_read2_b64 v[238:241], v1 offset0:88 offset1:89
	v_add_f64 v[62:63], v[62:63], -v[126:127]
	v_add_f64 v[64:65], v[64:65], -v[214:215]
	s_waitcnt lgkmcnt(0)
	v_mul_f64 v[126:127], v[240:241], v[128:129]
	v_mul_f64 v[214:215], v[238:239], v[128:129]
	v_fma_f64 v[126:127], v[238:239], v[246:247], -v[126:127]
	v_fma_f64 v[214:215], v[240:241], v[246:247], v[214:215]
	ds_read2_b64 v[238:241], v1 offset0:90 offset1:91
	v_add_f64 v[58:59], v[58:59], -v[126:127]
	v_add_f64 v[60:61], v[60:61], -v[214:215]
	s_waitcnt lgkmcnt(0)
	v_mul_f64 v[126:127], v[240:241], v[128:129]
	v_mul_f64 v[214:215], v[238:239], v[128:129]
	v_fma_f64 v[126:127], v[238:239], v[246:247], -v[126:127]
	v_fma_f64 v[214:215], v[240:241], v[246:247], v[214:215]
	ds_read2_b64 v[238:241], v1 offset0:92 offset1:93
	v_add_f64 v[54:55], v[54:55], -v[126:127]
	v_add_f64 v[56:57], v[56:57], -v[214:215]
	s_waitcnt lgkmcnt(0)
	v_mul_f64 v[126:127], v[240:241], v[128:129]
	v_mul_f64 v[214:215], v[238:239], v[128:129]
	v_fma_f64 v[126:127], v[238:239], v[246:247], -v[126:127]
	v_fma_f64 v[214:215], v[240:241], v[246:247], v[214:215]
	ds_read2_b64 v[238:241], v1 offset0:94 offset1:95
	v_add_f64 v[50:51], v[50:51], -v[126:127]
	v_add_f64 v[52:53], v[52:53], -v[214:215]
	s_waitcnt lgkmcnt(0)
	v_mul_f64 v[126:127], v[240:241], v[128:129]
	v_mul_f64 v[214:215], v[238:239], v[128:129]
	v_fma_f64 v[126:127], v[238:239], v[246:247], -v[126:127]
	v_fma_f64 v[214:215], v[240:241], v[246:247], v[214:215]
	ds_read2_b64 v[238:241], v1 offset0:96 offset1:97
	v_add_f64 v[46:47], v[46:47], -v[126:127]
	v_add_f64 v[48:49], v[48:49], -v[214:215]
	s_waitcnt lgkmcnt(0)
	v_mul_f64 v[126:127], v[240:241], v[128:129]
	v_mul_f64 v[214:215], v[238:239], v[128:129]
	v_fma_f64 v[126:127], v[238:239], v[246:247], -v[126:127]
	v_fma_f64 v[214:215], v[240:241], v[246:247], v[214:215]
	ds_read2_b64 v[238:241], v1 offset0:98 offset1:99
	v_add_f64 v[42:43], v[42:43], -v[126:127]
	v_add_f64 v[44:45], v[44:45], -v[214:215]
	s_waitcnt lgkmcnt(0)
	v_mul_f64 v[126:127], v[240:241], v[128:129]
	v_mul_f64 v[214:215], v[238:239], v[128:129]
	v_fma_f64 v[126:127], v[238:239], v[246:247], -v[126:127]
	v_fma_f64 v[214:215], v[240:241], v[246:247], v[214:215]
	ds_read2_b64 v[238:241], v1 offset0:100 offset1:101
	v_add_f64 v[38:39], v[38:39], -v[126:127]
	v_add_f64 v[40:41], v[40:41], -v[214:215]
	s_waitcnt lgkmcnt(0)
	v_mul_f64 v[126:127], v[240:241], v[128:129]
	v_mul_f64 v[214:215], v[238:239], v[128:129]
	v_fma_f64 v[126:127], v[238:239], v[246:247], -v[126:127]
	v_fma_f64 v[214:215], v[240:241], v[246:247], v[214:215]
	ds_read2_b64 v[238:241], v1 offset0:102 offset1:103
	v_add_f64 v[34:35], v[34:35], -v[126:127]
	v_add_f64 v[36:37], v[36:37], -v[214:215]
	s_waitcnt lgkmcnt(0)
	v_mul_f64 v[126:127], v[240:241], v[128:129]
	v_mul_f64 v[214:215], v[238:239], v[128:129]
	v_fma_f64 v[126:127], v[238:239], v[246:247], -v[126:127]
	v_fma_f64 v[214:215], v[240:241], v[246:247], v[214:215]
	ds_read2_b64 v[238:241], v1 offset0:104 offset1:105
	v_add_f64 v[30:31], v[30:31], -v[126:127]
	v_add_f64 v[32:33], v[32:33], -v[214:215]
	s_waitcnt lgkmcnt(0)
	v_mul_f64 v[126:127], v[240:241], v[128:129]
	v_mul_f64 v[214:215], v[238:239], v[128:129]
	v_fma_f64 v[126:127], v[238:239], v[246:247], -v[126:127]
	v_fma_f64 v[214:215], v[240:241], v[246:247], v[214:215]
	ds_read2_b64 v[238:241], v1 offset0:106 offset1:107
	v_add_f64 v[26:27], v[26:27], -v[126:127]
	v_add_f64 v[28:29], v[28:29], -v[214:215]
	s_waitcnt lgkmcnt(0)
	v_mul_f64 v[126:127], v[240:241], v[128:129]
	v_mul_f64 v[214:215], v[238:239], v[128:129]
	v_fma_f64 v[126:127], v[238:239], v[246:247], -v[126:127]
	v_fma_f64 v[214:215], v[240:241], v[246:247], v[214:215]
	ds_read2_b64 v[238:241], v1 offset0:108 offset1:109
	v_add_f64 v[22:23], v[22:23], -v[126:127]
	v_add_f64 v[24:25], v[24:25], -v[214:215]
	s_waitcnt lgkmcnt(0)
	v_mul_f64 v[126:127], v[240:241], v[128:129]
	v_mul_f64 v[214:215], v[238:239], v[128:129]
	v_fma_f64 v[126:127], v[238:239], v[246:247], -v[126:127]
	v_fma_f64 v[214:215], v[240:241], v[246:247], v[214:215]
	ds_read2_b64 v[238:241], v1 offset0:110 offset1:111
	v_add_f64 v[18:19], v[18:19], -v[126:127]
	v_add_f64 v[20:21], v[20:21], -v[214:215]
	s_waitcnt lgkmcnt(0)
	v_mul_f64 v[126:127], v[240:241], v[128:129]
	v_mul_f64 v[214:215], v[238:239], v[128:129]
	v_fma_f64 v[126:127], v[238:239], v[246:247], -v[126:127]
	v_fma_f64 v[214:215], v[240:241], v[246:247], v[214:215]
	ds_read2_b64 v[238:241], v1 offset0:112 offset1:113
	v_add_f64 v[14:15], v[14:15], -v[126:127]
	v_add_f64 v[16:17], v[16:17], -v[214:215]
	s_waitcnt lgkmcnt(0)
	v_mul_f64 v[126:127], v[240:241], v[128:129]
	v_mul_f64 v[214:215], v[238:239], v[128:129]
	v_fma_f64 v[126:127], v[238:239], v[246:247], -v[126:127]
	v_fma_f64 v[214:215], v[240:241], v[246:247], v[214:215]
	ds_read2_b64 v[238:241], v1 offset0:114 offset1:115
	v_add_f64 v[232:233], v[232:233], -v[126:127]
	v_add_f64 v[234:235], v[234:235], -v[214:215]
	s_waitcnt lgkmcnt(0)
	v_mul_f64 v[126:127], v[240:241], v[128:129]
	v_mul_f64 v[214:215], v[238:239], v[128:129]
	v_fma_f64 v[126:127], v[238:239], v[246:247], -v[126:127]
	v_fma_f64 v[214:215], v[240:241], v[246:247], v[214:215]
	ds_read2_b64 v[238:241], v1 offset0:116 offset1:117
	v_add_f64 v[6:7], v[6:7], -v[126:127]
	v_add_f64 v[8:9], v[8:9], -v[214:215]
	s_waitcnt lgkmcnt(0)
	v_mul_f64 v[126:127], v[240:241], v[128:129]
	v_mul_f64 v[214:215], v[238:239], v[128:129]
	v_fma_f64 v[126:127], v[238:239], v[246:247], -v[126:127]
	v_fma_f64 v[214:215], v[240:241], v[246:247], v[214:215]
	v_add_f64 v[226:227], v[226:227], -v[126:127]
	v_add_f64 v[228:229], v[228:229], -v[214:215]
	v_mov_b32_e32 v126, v246
	v_mov_b32_e32 v127, v247
.LBB116_587:
	s_or_b32 exec_lo, exec_lo, s0
	v_lshl_add_u32 v214, v252, 4, v1
	s_barrier
	buffer_gl0_inv
	v_mov_b32_e32 v246, 28
	ds_write2_b64 v214, v[122:123], v[124:125] offset1:1
	s_waitcnt lgkmcnt(0)
	s_barrier
	buffer_gl0_inv
	ds_read2_b64 v[238:241], v1 offset0:56 offset1:57
	s_cmp_lt_i32 s8, 30
	s_cbranch_scc1 .LBB116_590
; %bb.588:
	v_add3_u32 v247, v248, 0, 0x1d0
	v_mov_b32_e32 v246, 28
	s_mov_b32 s0, 29
	s_inst_prefetch 0x1
	.p2align	6
.LBB116_589:                            ; =>This Inner Loop Header: Depth=1
	s_waitcnt lgkmcnt(0)
	v_cmp_gt_f64_e32 vcc_lo, 0, v[238:239]
	v_xor_b32_e32 v214, 0x80000000, v239
	ds_read2_b64 v[242:245], v247 offset1:1
	v_xor_b32_e32 v216, 0x80000000, v241
	v_add_nc_u32_e32 v247, 16, v247
	s_waitcnt lgkmcnt(0)
	v_xor_b32_e32 v218, 0x80000000, v245
	v_cndmask_b32_e32 v215, v239, v214, vcc_lo
	v_cmp_gt_f64_e32 vcc_lo, 0, v[240:241]
	v_mov_b32_e32 v214, v238
	v_cndmask_b32_e32 v217, v241, v216, vcc_lo
	v_cmp_gt_f64_e32 vcc_lo, 0, v[242:243]
	v_mov_b32_e32 v216, v240
	v_add_f64 v[214:215], v[214:215], v[216:217]
	v_xor_b32_e32 v216, 0x80000000, v243
	v_cndmask_b32_e32 v217, v243, v216, vcc_lo
	v_cmp_gt_f64_e32 vcc_lo, 0, v[244:245]
	v_mov_b32_e32 v216, v242
	v_cndmask_b32_e32 v219, v245, v218, vcc_lo
	v_mov_b32_e32 v218, v244
	v_add_f64 v[216:217], v[216:217], v[218:219]
	v_cmp_lt_f64_e32 vcc_lo, v[214:215], v[216:217]
	v_cndmask_b32_e32 v239, v239, v243, vcc_lo
	v_cndmask_b32_e32 v238, v238, v242, vcc_lo
	;; [unrolled: 1-line block ×4, first 2 shown]
	v_cndmask_b32_e64 v246, v246, s0, vcc_lo
	s_add_i32 s0, s0, 1
	s_cmp_lg_u32 s8, s0
	s_cbranch_scc1 .LBB116_589
.LBB116_590:
	s_inst_prefetch 0x2
	s_waitcnt lgkmcnt(0)
	v_cmp_eq_f64_e32 vcc_lo, 0, v[238:239]
	v_cmp_eq_f64_e64 s0, 0, v[240:241]
	s_and_b32 s0, vcc_lo, s0
	s_and_saveexec_b32 s1, s0
	s_xor_b32 s0, exec_lo, s1
; %bb.591:
	v_cmp_ne_u32_e32 vcc_lo, 0, v251
	v_cndmask_b32_e32 v251, 29, v251, vcc_lo
; %bb.592:
	s_andn2_saveexec_b32 s0, s0
	s_cbranch_execz .LBB116_598
; %bb.593:
	v_cmp_ngt_f64_e64 s1, |v[238:239]|, |v[240:241]|
	s_and_saveexec_b32 s7, s1
	s_xor_b32 s1, exec_lo, s7
	s_cbranch_execz .LBB116_595
; %bb.594:
	v_div_scale_f64 v[214:215], null, v[240:241], v[240:241], v[238:239]
	v_div_scale_f64 v[220:221], vcc_lo, v[238:239], v[240:241], v[238:239]
	v_rcp_f64_e32 v[216:217], v[214:215]
	v_fma_f64 v[218:219], -v[214:215], v[216:217], 1.0
	v_fma_f64 v[216:217], v[216:217], v[218:219], v[216:217]
	v_fma_f64 v[218:219], -v[214:215], v[216:217], 1.0
	v_fma_f64 v[216:217], v[216:217], v[218:219], v[216:217]
	v_mul_f64 v[218:219], v[220:221], v[216:217]
	v_fma_f64 v[214:215], -v[214:215], v[218:219], v[220:221]
	v_div_fmas_f64 v[214:215], v[214:215], v[216:217], v[218:219]
	v_div_fixup_f64 v[214:215], v[214:215], v[240:241], v[238:239]
	v_fma_f64 v[216:217], v[238:239], v[214:215], v[240:241]
	v_div_scale_f64 v[218:219], null, v[216:217], v[216:217], 1.0
	v_rcp_f64_e32 v[220:221], v[218:219]
	v_fma_f64 v[222:223], -v[218:219], v[220:221], 1.0
	v_fma_f64 v[220:221], v[220:221], v[222:223], v[220:221]
	v_fma_f64 v[222:223], -v[218:219], v[220:221], 1.0
	v_fma_f64 v[220:221], v[220:221], v[222:223], v[220:221]
	v_div_scale_f64 v[222:223], vcc_lo, 1.0, v[216:217], 1.0
	v_mul_f64 v[224:225], v[222:223], v[220:221]
	v_fma_f64 v[218:219], -v[218:219], v[224:225], v[222:223]
	v_div_fmas_f64 v[218:219], v[218:219], v[220:221], v[224:225]
	v_div_fixup_f64 v[240:241], v[218:219], v[216:217], 1.0
	v_mul_f64 v[238:239], v[214:215], v[240:241]
	v_xor_b32_e32 v241, 0x80000000, v241
.LBB116_595:
	s_andn2_saveexec_b32 s1, s1
	s_cbranch_execz .LBB116_597
; %bb.596:
	v_div_scale_f64 v[214:215], null, v[238:239], v[238:239], v[240:241]
	v_div_scale_f64 v[220:221], vcc_lo, v[240:241], v[238:239], v[240:241]
	v_rcp_f64_e32 v[216:217], v[214:215]
	v_fma_f64 v[218:219], -v[214:215], v[216:217], 1.0
	v_fma_f64 v[216:217], v[216:217], v[218:219], v[216:217]
	v_fma_f64 v[218:219], -v[214:215], v[216:217], 1.0
	v_fma_f64 v[216:217], v[216:217], v[218:219], v[216:217]
	v_mul_f64 v[218:219], v[220:221], v[216:217]
	v_fma_f64 v[214:215], -v[214:215], v[218:219], v[220:221]
	v_div_fmas_f64 v[214:215], v[214:215], v[216:217], v[218:219]
	v_div_fixup_f64 v[214:215], v[214:215], v[238:239], v[240:241]
	v_fma_f64 v[216:217], v[240:241], v[214:215], v[238:239]
	v_div_scale_f64 v[218:219], null, v[216:217], v[216:217], 1.0
	v_rcp_f64_e32 v[220:221], v[218:219]
	v_fma_f64 v[222:223], -v[218:219], v[220:221], 1.0
	v_fma_f64 v[220:221], v[220:221], v[222:223], v[220:221]
	v_fma_f64 v[222:223], -v[218:219], v[220:221], 1.0
	v_fma_f64 v[220:221], v[220:221], v[222:223], v[220:221]
	v_div_scale_f64 v[222:223], vcc_lo, 1.0, v[216:217], 1.0
	v_mul_f64 v[224:225], v[222:223], v[220:221]
	v_fma_f64 v[218:219], -v[218:219], v[224:225], v[222:223]
	v_div_fmas_f64 v[218:219], v[218:219], v[220:221], v[224:225]
	v_div_fixup_f64 v[238:239], v[218:219], v[216:217], 1.0
	v_mul_f64 v[240:241], v[214:215], -v[238:239]
.LBB116_597:
	s_or_b32 exec_lo, exec_lo, s1
.LBB116_598:
	s_or_b32 exec_lo, exec_lo, s0
	s_mov_b32 s0, exec_lo
	v_cmpx_ne_u32_e64 v252, v246
	s_xor_b32 s0, exec_lo, s0
	s_cbranch_execz .LBB116_604
; %bb.599:
	s_mov_b32 s1, exec_lo
	v_cmpx_eq_u32_e32 28, v252
	s_cbranch_execz .LBB116_603
; %bb.600:
	v_cmp_ne_u32_e32 vcc_lo, 28, v246
	s_xor_b32 s7, s16, -1
	s_and_b32 s9, s7, vcc_lo
	s_and_saveexec_b32 s7, s9
	s_cbranch_execz .LBB116_602
; %bb.601:
	s_clause 0x1
	buffer_load_dword v210, off, s[20:23], 0 offset:16
	buffer_load_dword v211, off, s[20:23], 0 offset:20
	v_ashrrev_i32_e32 v247, 31, v246
	v_lshlrev_b64 v[214:215], 2, v[246:247]
	s_waitcnt vmcnt(1)
	v_add_co_u32 v214, vcc_lo, v210, v214
	s_waitcnt vmcnt(0)
	v_add_co_ci_u32_e64 v215, null, v211, v215, vcc_lo
	s_clause 0x1
	global_load_dword v0, v[214:215], off
	global_load_dword v216, v[210:211], off offset:112
	s_waitcnt vmcnt(1)
	global_store_dword v[210:211], v0, off offset:112
	s_waitcnt vmcnt(0)
	global_store_dword v[214:215], v216, off
.LBB116_602:
	s_or_b32 exec_lo, exec_lo, s7
	v_mov_b32_e32 v252, v246
	v_mov_b32_e32 v0, v246
.LBB116_603:
	s_or_b32 exec_lo, exec_lo, s1
.LBB116_604:
	s_andn2_saveexec_b32 s0, s0
	s_cbranch_execz .LBB116_606
; %bb.605:
	v_mov_b32_e32 v252, 28
	ds_write2_b64 v1, v[118:119], v[120:121] offset0:58 offset1:59
	ds_write2_b64 v1, v[114:115], v[116:117] offset0:60 offset1:61
	;; [unrolled: 1-line block ×30, first 2 shown]
.LBB116_606:
	s_or_b32 exec_lo, exec_lo, s0
	s_mov_b32 s0, exec_lo
	s_waitcnt lgkmcnt(0)
	s_waitcnt_vscnt null, 0x0
	s_barrier
	buffer_gl0_inv
	v_cmpx_lt_i32_e32 28, v252
	s_cbranch_execz .LBB116_608
; %bb.607:
	v_mul_f64 v[214:215], v[240:241], v[124:125]
	v_mul_f64 v[124:125], v[238:239], v[124:125]
	v_fma_f64 v[246:247], v[238:239], v[122:123], -v[214:215]
	v_fma_f64 v[124:125], v[240:241], v[122:123], v[124:125]
	ds_read2_b64 v[238:241], v1 offset0:58 offset1:59
	s_waitcnt lgkmcnt(0)
	v_mul_f64 v[122:123], v[240:241], v[124:125]
	v_mul_f64 v[214:215], v[238:239], v[124:125]
	v_fma_f64 v[122:123], v[238:239], v[246:247], -v[122:123]
	v_fma_f64 v[214:215], v[240:241], v[246:247], v[214:215]
	ds_read2_b64 v[238:241], v1 offset0:60 offset1:61
	v_add_f64 v[118:119], v[118:119], -v[122:123]
	v_add_f64 v[120:121], v[120:121], -v[214:215]
	s_waitcnt lgkmcnt(0)
	v_mul_f64 v[122:123], v[240:241], v[124:125]
	v_mul_f64 v[214:215], v[238:239], v[124:125]
	v_fma_f64 v[122:123], v[238:239], v[246:247], -v[122:123]
	v_fma_f64 v[214:215], v[240:241], v[246:247], v[214:215]
	ds_read2_b64 v[238:241], v1 offset0:62 offset1:63
	v_add_f64 v[114:115], v[114:115], -v[122:123]
	v_add_f64 v[116:117], v[116:117], -v[214:215]
	;; [unrolled: 8-line block ×29, first 2 shown]
	s_waitcnt lgkmcnt(0)
	v_mul_f64 v[122:123], v[240:241], v[124:125]
	v_mul_f64 v[214:215], v[238:239], v[124:125]
	v_fma_f64 v[122:123], v[238:239], v[246:247], -v[122:123]
	v_fma_f64 v[214:215], v[240:241], v[246:247], v[214:215]
	v_add_f64 v[226:227], v[226:227], -v[122:123]
	v_add_f64 v[228:229], v[228:229], -v[214:215]
	v_mov_b32_e32 v122, v246
	v_mov_b32_e32 v123, v247
.LBB116_608:
	s_or_b32 exec_lo, exec_lo, s0
	v_lshl_add_u32 v214, v252, 4, v1
	s_barrier
	buffer_gl0_inv
	v_mov_b32_e32 v246, 29
	ds_write2_b64 v214, v[118:119], v[120:121] offset1:1
	s_waitcnt lgkmcnt(0)
	s_barrier
	buffer_gl0_inv
	ds_read2_b64 v[238:241], v1 offset0:58 offset1:59
	s_cmp_lt_i32 s8, 31
	s_cbranch_scc1 .LBB116_611
; %bb.609:
	v_add3_u32 v247, v248, 0, 0x1e0
	v_mov_b32_e32 v246, 29
	s_mov_b32 s0, 30
	s_inst_prefetch 0x1
	.p2align	6
.LBB116_610:                            ; =>This Inner Loop Header: Depth=1
	s_waitcnt lgkmcnt(0)
	v_cmp_gt_f64_e32 vcc_lo, 0, v[238:239]
	v_xor_b32_e32 v214, 0x80000000, v239
	ds_read2_b64 v[242:245], v247 offset1:1
	v_xor_b32_e32 v216, 0x80000000, v241
	v_add_nc_u32_e32 v247, 16, v247
	s_waitcnt lgkmcnt(0)
	v_xor_b32_e32 v218, 0x80000000, v245
	v_cndmask_b32_e32 v215, v239, v214, vcc_lo
	v_cmp_gt_f64_e32 vcc_lo, 0, v[240:241]
	v_mov_b32_e32 v214, v238
	v_cndmask_b32_e32 v217, v241, v216, vcc_lo
	v_cmp_gt_f64_e32 vcc_lo, 0, v[242:243]
	v_mov_b32_e32 v216, v240
	v_add_f64 v[214:215], v[214:215], v[216:217]
	v_xor_b32_e32 v216, 0x80000000, v243
	v_cndmask_b32_e32 v217, v243, v216, vcc_lo
	v_cmp_gt_f64_e32 vcc_lo, 0, v[244:245]
	v_mov_b32_e32 v216, v242
	v_cndmask_b32_e32 v219, v245, v218, vcc_lo
	v_mov_b32_e32 v218, v244
	v_add_f64 v[216:217], v[216:217], v[218:219]
	v_cmp_lt_f64_e32 vcc_lo, v[214:215], v[216:217]
	v_cndmask_b32_e32 v239, v239, v243, vcc_lo
	v_cndmask_b32_e32 v238, v238, v242, vcc_lo
	;; [unrolled: 1-line block ×4, first 2 shown]
	v_cndmask_b32_e64 v246, v246, s0, vcc_lo
	s_add_i32 s0, s0, 1
	s_cmp_lg_u32 s8, s0
	s_cbranch_scc1 .LBB116_610
.LBB116_611:
	s_inst_prefetch 0x2
	s_waitcnt lgkmcnt(0)
	v_cmp_eq_f64_e32 vcc_lo, 0, v[238:239]
	v_cmp_eq_f64_e64 s0, 0, v[240:241]
	s_and_b32 s0, vcc_lo, s0
	s_and_saveexec_b32 s1, s0
	s_xor_b32 s0, exec_lo, s1
; %bb.612:
	v_cmp_ne_u32_e32 vcc_lo, 0, v251
	v_cndmask_b32_e32 v251, 30, v251, vcc_lo
; %bb.613:
	s_andn2_saveexec_b32 s0, s0
	s_cbranch_execz .LBB116_619
; %bb.614:
	v_cmp_ngt_f64_e64 s1, |v[238:239]|, |v[240:241]|
	s_and_saveexec_b32 s7, s1
	s_xor_b32 s1, exec_lo, s7
	s_cbranch_execz .LBB116_616
; %bb.615:
	v_div_scale_f64 v[214:215], null, v[240:241], v[240:241], v[238:239]
	v_div_scale_f64 v[220:221], vcc_lo, v[238:239], v[240:241], v[238:239]
	v_rcp_f64_e32 v[216:217], v[214:215]
	v_fma_f64 v[218:219], -v[214:215], v[216:217], 1.0
	v_fma_f64 v[216:217], v[216:217], v[218:219], v[216:217]
	v_fma_f64 v[218:219], -v[214:215], v[216:217], 1.0
	v_fma_f64 v[216:217], v[216:217], v[218:219], v[216:217]
	v_mul_f64 v[218:219], v[220:221], v[216:217]
	v_fma_f64 v[214:215], -v[214:215], v[218:219], v[220:221]
	v_div_fmas_f64 v[214:215], v[214:215], v[216:217], v[218:219]
	v_div_fixup_f64 v[214:215], v[214:215], v[240:241], v[238:239]
	v_fma_f64 v[216:217], v[238:239], v[214:215], v[240:241]
	v_div_scale_f64 v[218:219], null, v[216:217], v[216:217], 1.0
	v_rcp_f64_e32 v[220:221], v[218:219]
	v_fma_f64 v[222:223], -v[218:219], v[220:221], 1.0
	v_fma_f64 v[220:221], v[220:221], v[222:223], v[220:221]
	v_fma_f64 v[222:223], -v[218:219], v[220:221], 1.0
	v_fma_f64 v[220:221], v[220:221], v[222:223], v[220:221]
	v_div_scale_f64 v[222:223], vcc_lo, 1.0, v[216:217], 1.0
	v_mul_f64 v[224:225], v[222:223], v[220:221]
	v_fma_f64 v[218:219], -v[218:219], v[224:225], v[222:223]
	v_div_fmas_f64 v[218:219], v[218:219], v[220:221], v[224:225]
	v_div_fixup_f64 v[240:241], v[218:219], v[216:217], 1.0
	v_mul_f64 v[238:239], v[214:215], v[240:241]
	v_xor_b32_e32 v241, 0x80000000, v241
.LBB116_616:
	s_andn2_saveexec_b32 s1, s1
	s_cbranch_execz .LBB116_618
; %bb.617:
	v_div_scale_f64 v[214:215], null, v[238:239], v[238:239], v[240:241]
	v_div_scale_f64 v[220:221], vcc_lo, v[240:241], v[238:239], v[240:241]
	v_rcp_f64_e32 v[216:217], v[214:215]
	v_fma_f64 v[218:219], -v[214:215], v[216:217], 1.0
	v_fma_f64 v[216:217], v[216:217], v[218:219], v[216:217]
	v_fma_f64 v[218:219], -v[214:215], v[216:217], 1.0
	v_fma_f64 v[216:217], v[216:217], v[218:219], v[216:217]
	v_mul_f64 v[218:219], v[220:221], v[216:217]
	v_fma_f64 v[214:215], -v[214:215], v[218:219], v[220:221]
	v_div_fmas_f64 v[214:215], v[214:215], v[216:217], v[218:219]
	v_div_fixup_f64 v[214:215], v[214:215], v[238:239], v[240:241]
	v_fma_f64 v[216:217], v[240:241], v[214:215], v[238:239]
	v_div_scale_f64 v[218:219], null, v[216:217], v[216:217], 1.0
	v_rcp_f64_e32 v[220:221], v[218:219]
	v_fma_f64 v[222:223], -v[218:219], v[220:221], 1.0
	v_fma_f64 v[220:221], v[220:221], v[222:223], v[220:221]
	v_fma_f64 v[222:223], -v[218:219], v[220:221], 1.0
	v_fma_f64 v[220:221], v[220:221], v[222:223], v[220:221]
	v_div_scale_f64 v[222:223], vcc_lo, 1.0, v[216:217], 1.0
	v_mul_f64 v[224:225], v[222:223], v[220:221]
	v_fma_f64 v[218:219], -v[218:219], v[224:225], v[222:223]
	v_div_fmas_f64 v[218:219], v[218:219], v[220:221], v[224:225]
	v_div_fixup_f64 v[238:239], v[218:219], v[216:217], 1.0
	v_mul_f64 v[240:241], v[214:215], -v[238:239]
.LBB116_618:
	s_or_b32 exec_lo, exec_lo, s1
.LBB116_619:
	s_or_b32 exec_lo, exec_lo, s0
	s_mov_b32 s0, exec_lo
	v_cmpx_ne_u32_e64 v252, v246
	s_xor_b32 s0, exec_lo, s0
	s_cbranch_execz .LBB116_625
; %bb.620:
	s_mov_b32 s1, exec_lo
	v_cmpx_eq_u32_e32 29, v252
	s_cbranch_execz .LBB116_624
; %bb.621:
	v_cmp_ne_u32_e32 vcc_lo, 29, v246
	s_xor_b32 s7, s16, -1
	s_and_b32 s9, s7, vcc_lo
	s_and_saveexec_b32 s7, s9
	s_cbranch_execz .LBB116_623
; %bb.622:
	s_clause 0x1
	buffer_load_dword v210, off, s[20:23], 0 offset:16
	buffer_load_dword v211, off, s[20:23], 0 offset:20
	v_ashrrev_i32_e32 v247, 31, v246
	v_lshlrev_b64 v[214:215], 2, v[246:247]
	s_waitcnt vmcnt(1)
	v_add_co_u32 v214, vcc_lo, v210, v214
	s_waitcnt vmcnt(0)
	v_add_co_ci_u32_e64 v215, null, v211, v215, vcc_lo
	s_clause 0x1
	global_load_dword v0, v[214:215], off
	global_load_dword v216, v[210:211], off offset:116
	s_waitcnt vmcnt(1)
	global_store_dword v[210:211], v0, off offset:116
	s_waitcnt vmcnt(0)
	global_store_dword v[214:215], v216, off
.LBB116_623:
	s_or_b32 exec_lo, exec_lo, s7
	v_mov_b32_e32 v252, v246
	v_mov_b32_e32 v0, v246
.LBB116_624:
	s_or_b32 exec_lo, exec_lo, s1
.LBB116_625:
	s_andn2_saveexec_b32 s0, s0
	s_cbranch_execz .LBB116_627
; %bb.626:
	v_mov_b32_e32 v252, 29
	ds_write2_b64 v1, v[114:115], v[116:117] offset0:60 offset1:61
	ds_write2_b64 v1, v[110:111], v[112:113] offset0:62 offset1:63
	;; [unrolled: 1-line block ×29, first 2 shown]
.LBB116_627:
	s_or_b32 exec_lo, exec_lo, s0
	s_mov_b32 s0, exec_lo
	s_waitcnt lgkmcnt(0)
	s_waitcnt_vscnt null, 0x0
	s_barrier
	buffer_gl0_inv
	v_cmpx_lt_i32_e32 29, v252
	s_cbranch_execz .LBB116_629
; %bb.628:
	v_mul_f64 v[214:215], v[240:241], v[120:121]
	v_mul_f64 v[120:121], v[238:239], v[120:121]
	v_fma_f64 v[246:247], v[238:239], v[118:119], -v[214:215]
	v_fma_f64 v[120:121], v[240:241], v[118:119], v[120:121]
	ds_read2_b64 v[238:241], v1 offset0:60 offset1:61
	s_waitcnt lgkmcnt(0)
	v_mul_f64 v[118:119], v[240:241], v[120:121]
	v_mul_f64 v[214:215], v[238:239], v[120:121]
	v_fma_f64 v[118:119], v[238:239], v[246:247], -v[118:119]
	v_fma_f64 v[214:215], v[240:241], v[246:247], v[214:215]
	ds_read2_b64 v[238:241], v1 offset0:62 offset1:63
	v_add_f64 v[114:115], v[114:115], -v[118:119]
	v_add_f64 v[116:117], v[116:117], -v[214:215]
	s_waitcnt lgkmcnt(0)
	v_mul_f64 v[118:119], v[240:241], v[120:121]
	v_mul_f64 v[214:215], v[238:239], v[120:121]
	v_fma_f64 v[118:119], v[238:239], v[246:247], -v[118:119]
	v_fma_f64 v[214:215], v[240:241], v[246:247], v[214:215]
	ds_read2_b64 v[238:241], v1 offset0:64 offset1:65
	v_add_f64 v[110:111], v[110:111], -v[118:119]
	v_add_f64 v[112:113], v[112:113], -v[214:215]
	;; [unrolled: 8-line block ×28, first 2 shown]
	s_waitcnt lgkmcnt(0)
	v_mul_f64 v[118:119], v[240:241], v[120:121]
	v_mul_f64 v[214:215], v[238:239], v[120:121]
	v_fma_f64 v[118:119], v[238:239], v[246:247], -v[118:119]
	v_fma_f64 v[214:215], v[240:241], v[246:247], v[214:215]
	v_add_f64 v[226:227], v[226:227], -v[118:119]
	v_add_f64 v[228:229], v[228:229], -v[214:215]
	v_mov_b32_e32 v118, v246
	v_mov_b32_e32 v119, v247
.LBB116_629:
	s_or_b32 exec_lo, exec_lo, s0
	v_lshl_add_u32 v214, v252, 4, v1
	s_barrier
	buffer_gl0_inv
	v_mov_b32_e32 v246, 30
	ds_write2_b64 v214, v[114:115], v[116:117] offset1:1
	s_waitcnt lgkmcnt(0)
	s_barrier
	buffer_gl0_inv
	ds_read2_b64 v[238:241], v1 offset0:60 offset1:61
	s_cmp_lt_i32 s8, 32
	s_cbranch_scc1 .LBB116_632
; %bb.630:
	v_add3_u32 v247, v248, 0, 0x1f0
	v_mov_b32_e32 v246, 30
	s_mov_b32 s0, 31
	s_inst_prefetch 0x1
	.p2align	6
.LBB116_631:                            ; =>This Inner Loop Header: Depth=1
	s_waitcnt lgkmcnt(0)
	v_cmp_gt_f64_e32 vcc_lo, 0, v[238:239]
	v_xor_b32_e32 v214, 0x80000000, v239
	ds_read2_b64 v[242:245], v247 offset1:1
	v_xor_b32_e32 v216, 0x80000000, v241
	v_add_nc_u32_e32 v247, 16, v247
	s_waitcnt lgkmcnt(0)
	v_xor_b32_e32 v218, 0x80000000, v245
	v_cndmask_b32_e32 v215, v239, v214, vcc_lo
	v_cmp_gt_f64_e32 vcc_lo, 0, v[240:241]
	v_mov_b32_e32 v214, v238
	v_cndmask_b32_e32 v217, v241, v216, vcc_lo
	v_cmp_gt_f64_e32 vcc_lo, 0, v[242:243]
	v_mov_b32_e32 v216, v240
	v_add_f64 v[214:215], v[214:215], v[216:217]
	v_xor_b32_e32 v216, 0x80000000, v243
	v_cndmask_b32_e32 v217, v243, v216, vcc_lo
	v_cmp_gt_f64_e32 vcc_lo, 0, v[244:245]
	v_mov_b32_e32 v216, v242
	v_cndmask_b32_e32 v219, v245, v218, vcc_lo
	v_mov_b32_e32 v218, v244
	v_add_f64 v[216:217], v[216:217], v[218:219]
	v_cmp_lt_f64_e32 vcc_lo, v[214:215], v[216:217]
	v_cndmask_b32_e32 v239, v239, v243, vcc_lo
	v_cndmask_b32_e32 v238, v238, v242, vcc_lo
	;; [unrolled: 1-line block ×4, first 2 shown]
	v_cndmask_b32_e64 v246, v246, s0, vcc_lo
	s_add_i32 s0, s0, 1
	s_cmp_lg_u32 s8, s0
	s_cbranch_scc1 .LBB116_631
.LBB116_632:
	s_inst_prefetch 0x2
	s_waitcnt lgkmcnt(0)
	v_cmp_eq_f64_e32 vcc_lo, 0, v[238:239]
	v_cmp_eq_f64_e64 s0, 0, v[240:241]
	s_and_b32 s0, vcc_lo, s0
	s_and_saveexec_b32 s1, s0
	s_xor_b32 s0, exec_lo, s1
; %bb.633:
	v_cmp_ne_u32_e32 vcc_lo, 0, v251
	v_cndmask_b32_e32 v251, 31, v251, vcc_lo
; %bb.634:
	s_andn2_saveexec_b32 s0, s0
	s_cbranch_execz .LBB116_640
; %bb.635:
	v_cmp_ngt_f64_e64 s1, |v[238:239]|, |v[240:241]|
	s_and_saveexec_b32 s7, s1
	s_xor_b32 s1, exec_lo, s7
	s_cbranch_execz .LBB116_637
; %bb.636:
	v_div_scale_f64 v[214:215], null, v[240:241], v[240:241], v[238:239]
	v_div_scale_f64 v[220:221], vcc_lo, v[238:239], v[240:241], v[238:239]
	v_rcp_f64_e32 v[216:217], v[214:215]
	v_fma_f64 v[218:219], -v[214:215], v[216:217], 1.0
	v_fma_f64 v[216:217], v[216:217], v[218:219], v[216:217]
	v_fma_f64 v[218:219], -v[214:215], v[216:217], 1.0
	v_fma_f64 v[216:217], v[216:217], v[218:219], v[216:217]
	v_mul_f64 v[218:219], v[220:221], v[216:217]
	v_fma_f64 v[214:215], -v[214:215], v[218:219], v[220:221]
	v_div_fmas_f64 v[214:215], v[214:215], v[216:217], v[218:219]
	v_div_fixup_f64 v[214:215], v[214:215], v[240:241], v[238:239]
	v_fma_f64 v[216:217], v[238:239], v[214:215], v[240:241]
	v_div_scale_f64 v[218:219], null, v[216:217], v[216:217], 1.0
	v_rcp_f64_e32 v[220:221], v[218:219]
	v_fma_f64 v[222:223], -v[218:219], v[220:221], 1.0
	v_fma_f64 v[220:221], v[220:221], v[222:223], v[220:221]
	v_fma_f64 v[222:223], -v[218:219], v[220:221], 1.0
	v_fma_f64 v[220:221], v[220:221], v[222:223], v[220:221]
	v_div_scale_f64 v[222:223], vcc_lo, 1.0, v[216:217], 1.0
	v_mul_f64 v[224:225], v[222:223], v[220:221]
	v_fma_f64 v[218:219], -v[218:219], v[224:225], v[222:223]
	v_div_fmas_f64 v[218:219], v[218:219], v[220:221], v[224:225]
	v_div_fixup_f64 v[240:241], v[218:219], v[216:217], 1.0
	v_mul_f64 v[238:239], v[214:215], v[240:241]
	v_xor_b32_e32 v241, 0x80000000, v241
.LBB116_637:
	s_andn2_saveexec_b32 s1, s1
	s_cbranch_execz .LBB116_639
; %bb.638:
	v_div_scale_f64 v[214:215], null, v[238:239], v[238:239], v[240:241]
	v_div_scale_f64 v[220:221], vcc_lo, v[240:241], v[238:239], v[240:241]
	v_rcp_f64_e32 v[216:217], v[214:215]
	v_fma_f64 v[218:219], -v[214:215], v[216:217], 1.0
	v_fma_f64 v[216:217], v[216:217], v[218:219], v[216:217]
	v_fma_f64 v[218:219], -v[214:215], v[216:217], 1.0
	v_fma_f64 v[216:217], v[216:217], v[218:219], v[216:217]
	v_mul_f64 v[218:219], v[220:221], v[216:217]
	v_fma_f64 v[214:215], -v[214:215], v[218:219], v[220:221]
	v_div_fmas_f64 v[214:215], v[214:215], v[216:217], v[218:219]
	v_div_fixup_f64 v[214:215], v[214:215], v[238:239], v[240:241]
	v_fma_f64 v[216:217], v[240:241], v[214:215], v[238:239]
	v_div_scale_f64 v[218:219], null, v[216:217], v[216:217], 1.0
	v_rcp_f64_e32 v[220:221], v[218:219]
	v_fma_f64 v[222:223], -v[218:219], v[220:221], 1.0
	v_fma_f64 v[220:221], v[220:221], v[222:223], v[220:221]
	v_fma_f64 v[222:223], -v[218:219], v[220:221], 1.0
	v_fma_f64 v[220:221], v[220:221], v[222:223], v[220:221]
	v_div_scale_f64 v[222:223], vcc_lo, 1.0, v[216:217], 1.0
	v_mul_f64 v[224:225], v[222:223], v[220:221]
	v_fma_f64 v[218:219], -v[218:219], v[224:225], v[222:223]
	v_div_fmas_f64 v[218:219], v[218:219], v[220:221], v[224:225]
	v_div_fixup_f64 v[238:239], v[218:219], v[216:217], 1.0
	v_mul_f64 v[240:241], v[214:215], -v[238:239]
.LBB116_639:
	s_or_b32 exec_lo, exec_lo, s1
.LBB116_640:
	s_or_b32 exec_lo, exec_lo, s0
	s_mov_b32 s0, exec_lo
	v_cmpx_ne_u32_e64 v252, v246
	s_xor_b32 s0, exec_lo, s0
	s_cbranch_execz .LBB116_646
; %bb.641:
	s_mov_b32 s1, exec_lo
	v_cmpx_eq_u32_e32 30, v252
	s_cbranch_execz .LBB116_645
; %bb.642:
	v_cmp_ne_u32_e32 vcc_lo, 30, v246
	s_xor_b32 s7, s16, -1
	s_and_b32 s9, s7, vcc_lo
	s_and_saveexec_b32 s7, s9
	s_cbranch_execz .LBB116_644
; %bb.643:
	s_clause 0x1
	buffer_load_dword v210, off, s[20:23], 0 offset:16
	buffer_load_dword v211, off, s[20:23], 0 offset:20
	v_ashrrev_i32_e32 v247, 31, v246
	v_lshlrev_b64 v[214:215], 2, v[246:247]
	s_waitcnt vmcnt(1)
	v_add_co_u32 v214, vcc_lo, v210, v214
	s_waitcnt vmcnt(0)
	v_add_co_ci_u32_e64 v215, null, v211, v215, vcc_lo
	s_clause 0x1
	global_load_dword v0, v[214:215], off
	global_load_dword v216, v[210:211], off offset:120
	s_waitcnt vmcnt(1)
	global_store_dword v[210:211], v0, off offset:120
	s_waitcnt vmcnt(0)
	global_store_dword v[214:215], v216, off
.LBB116_644:
	s_or_b32 exec_lo, exec_lo, s7
	v_mov_b32_e32 v252, v246
	v_mov_b32_e32 v0, v246
.LBB116_645:
	s_or_b32 exec_lo, exec_lo, s1
.LBB116_646:
	s_andn2_saveexec_b32 s0, s0
	s_cbranch_execz .LBB116_648
; %bb.647:
	v_mov_b32_e32 v252, 30
	ds_write2_b64 v1, v[110:111], v[112:113] offset0:62 offset1:63
	ds_write2_b64 v1, v[106:107], v[108:109] offset0:64 offset1:65
	;; [unrolled: 1-line block ×28, first 2 shown]
.LBB116_648:
	s_or_b32 exec_lo, exec_lo, s0
	s_mov_b32 s0, exec_lo
	s_waitcnt lgkmcnt(0)
	s_waitcnt_vscnt null, 0x0
	s_barrier
	buffer_gl0_inv
	v_cmpx_lt_i32_e32 30, v252
	s_cbranch_execz .LBB116_650
; %bb.649:
	v_mul_f64 v[214:215], v[240:241], v[116:117]
	v_mul_f64 v[116:117], v[238:239], v[116:117]
	v_fma_f64 v[246:247], v[238:239], v[114:115], -v[214:215]
	v_fma_f64 v[116:117], v[240:241], v[114:115], v[116:117]
	ds_read2_b64 v[238:241], v1 offset0:62 offset1:63
	s_waitcnt lgkmcnt(0)
	v_mul_f64 v[114:115], v[240:241], v[116:117]
	v_mul_f64 v[214:215], v[238:239], v[116:117]
	v_fma_f64 v[114:115], v[238:239], v[246:247], -v[114:115]
	v_fma_f64 v[214:215], v[240:241], v[246:247], v[214:215]
	ds_read2_b64 v[238:241], v1 offset0:64 offset1:65
	v_add_f64 v[110:111], v[110:111], -v[114:115]
	v_add_f64 v[112:113], v[112:113], -v[214:215]
	s_waitcnt lgkmcnt(0)
	v_mul_f64 v[114:115], v[240:241], v[116:117]
	v_mul_f64 v[214:215], v[238:239], v[116:117]
	v_fma_f64 v[114:115], v[238:239], v[246:247], -v[114:115]
	v_fma_f64 v[214:215], v[240:241], v[246:247], v[214:215]
	ds_read2_b64 v[238:241], v1 offset0:66 offset1:67
	v_add_f64 v[106:107], v[106:107], -v[114:115]
	v_add_f64 v[108:109], v[108:109], -v[214:215]
	;; [unrolled: 8-line block ×27, first 2 shown]
	s_waitcnt lgkmcnt(0)
	v_mul_f64 v[114:115], v[240:241], v[116:117]
	v_mul_f64 v[214:215], v[238:239], v[116:117]
	v_fma_f64 v[114:115], v[238:239], v[246:247], -v[114:115]
	v_fma_f64 v[214:215], v[240:241], v[246:247], v[214:215]
	v_add_f64 v[226:227], v[226:227], -v[114:115]
	v_add_f64 v[228:229], v[228:229], -v[214:215]
	v_mov_b32_e32 v114, v246
	v_mov_b32_e32 v115, v247
.LBB116_650:
	s_or_b32 exec_lo, exec_lo, s0
	v_lshl_add_u32 v214, v252, 4, v1
	s_barrier
	buffer_gl0_inv
	v_mov_b32_e32 v246, 31
	ds_write2_b64 v214, v[110:111], v[112:113] offset1:1
	s_waitcnt lgkmcnt(0)
	s_barrier
	buffer_gl0_inv
	ds_read2_b64 v[238:241], v1 offset0:62 offset1:63
	s_cmp_lt_i32 s8, 33
	s_cbranch_scc1 .LBB116_653
; %bb.651:
	v_add3_u32 v247, v248, 0, 0x200
	v_mov_b32_e32 v246, 31
	s_mov_b32 s0, 32
	s_inst_prefetch 0x1
	.p2align	6
.LBB116_652:                            ; =>This Inner Loop Header: Depth=1
	s_waitcnt lgkmcnt(0)
	v_cmp_gt_f64_e32 vcc_lo, 0, v[238:239]
	v_xor_b32_e32 v214, 0x80000000, v239
	ds_read2_b64 v[242:245], v247 offset1:1
	v_xor_b32_e32 v216, 0x80000000, v241
	v_add_nc_u32_e32 v247, 16, v247
	s_waitcnt lgkmcnt(0)
	v_xor_b32_e32 v218, 0x80000000, v245
	v_cndmask_b32_e32 v215, v239, v214, vcc_lo
	v_cmp_gt_f64_e32 vcc_lo, 0, v[240:241]
	v_mov_b32_e32 v214, v238
	v_cndmask_b32_e32 v217, v241, v216, vcc_lo
	v_cmp_gt_f64_e32 vcc_lo, 0, v[242:243]
	v_mov_b32_e32 v216, v240
	v_add_f64 v[214:215], v[214:215], v[216:217]
	v_xor_b32_e32 v216, 0x80000000, v243
	v_cndmask_b32_e32 v217, v243, v216, vcc_lo
	v_cmp_gt_f64_e32 vcc_lo, 0, v[244:245]
	v_mov_b32_e32 v216, v242
	v_cndmask_b32_e32 v219, v245, v218, vcc_lo
	v_mov_b32_e32 v218, v244
	v_add_f64 v[216:217], v[216:217], v[218:219]
	v_cmp_lt_f64_e32 vcc_lo, v[214:215], v[216:217]
	v_cndmask_b32_e32 v239, v239, v243, vcc_lo
	v_cndmask_b32_e32 v238, v238, v242, vcc_lo
	;; [unrolled: 1-line block ×4, first 2 shown]
	v_cndmask_b32_e64 v246, v246, s0, vcc_lo
	s_add_i32 s0, s0, 1
	s_cmp_lg_u32 s8, s0
	s_cbranch_scc1 .LBB116_652
.LBB116_653:
	s_inst_prefetch 0x2
	s_waitcnt lgkmcnt(0)
	v_cmp_eq_f64_e32 vcc_lo, 0, v[238:239]
	v_cmp_eq_f64_e64 s0, 0, v[240:241]
	s_and_b32 s0, vcc_lo, s0
	s_and_saveexec_b32 s1, s0
	s_xor_b32 s0, exec_lo, s1
; %bb.654:
	v_cmp_ne_u32_e32 vcc_lo, 0, v251
	v_cndmask_b32_e32 v251, 32, v251, vcc_lo
; %bb.655:
	s_andn2_saveexec_b32 s0, s0
	s_cbranch_execz .LBB116_661
; %bb.656:
	v_cmp_ngt_f64_e64 s1, |v[238:239]|, |v[240:241]|
	s_and_saveexec_b32 s7, s1
	s_xor_b32 s1, exec_lo, s7
	s_cbranch_execz .LBB116_658
; %bb.657:
	v_div_scale_f64 v[214:215], null, v[240:241], v[240:241], v[238:239]
	v_div_scale_f64 v[220:221], vcc_lo, v[238:239], v[240:241], v[238:239]
	v_rcp_f64_e32 v[216:217], v[214:215]
	v_fma_f64 v[218:219], -v[214:215], v[216:217], 1.0
	v_fma_f64 v[216:217], v[216:217], v[218:219], v[216:217]
	v_fma_f64 v[218:219], -v[214:215], v[216:217], 1.0
	v_fma_f64 v[216:217], v[216:217], v[218:219], v[216:217]
	v_mul_f64 v[218:219], v[220:221], v[216:217]
	v_fma_f64 v[214:215], -v[214:215], v[218:219], v[220:221]
	v_div_fmas_f64 v[214:215], v[214:215], v[216:217], v[218:219]
	v_div_fixup_f64 v[214:215], v[214:215], v[240:241], v[238:239]
	v_fma_f64 v[216:217], v[238:239], v[214:215], v[240:241]
	v_div_scale_f64 v[218:219], null, v[216:217], v[216:217], 1.0
	v_rcp_f64_e32 v[220:221], v[218:219]
	v_fma_f64 v[222:223], -v[218:219], v[220:221], 1.0
	v_fma_f64 v[220:221], v[220:221], v[222:223], v[220:221]
	v_fma_f64 v[222:223], -v[218:219], v[220:221], 1.0
	v_fma_f64 v[220:221], v[220:221], v[222:223], v[220:221]
	v_div_scale_f64 v[222:223], vcc_lo, 1.0, v[216:217], 1.0
	v_mul_f64 v[224:225], v[222:223], v[220:221]
	v_fma_f64 v[218:219], -v[218:219], v[224:225], v[222:223]
	v_div_fmas_f64 v[218:219], v[218:219], v[220:221], v[224:225]
	v_div_fixup_f64 v[240:241], v[218:219], v[216:217], 1.0
	v_mul_f64 v[238:239], v[214:215], v[240:241]
	v_xor_b32_e32 v241, 0x80000000, v241
.LBB116_658:
	s_andn2_saveexec_b32 s1, s1
	s_cbranch_execz .LBB116_660
; %bb.659:
	v_div_scale_f64 v[214:215], null, v[238:239], v[238:239], v[240:241]
	v_div_scale_f64 v[220:221], vcc_lo, v[240:241], v[238:239], v[240:241]
	v_rcp_f64_e32 v[216:217], v[214:215]
	v_fma_f64 v[218:219], -v[214:215], v[216:217], 1.0
	v_fma_f64 v[216:217], v[216:217], v[218:219], v[216:217]
	v_fma_f64 v[218:219], -v[214:215], v[216:217], 1.0
	v_fma_f64 v[216:217], v[216:217], v[218:219], v[216:217]
	v_mul_f64 v[218:219], v[220:221], v[216:217]
	v_fma_f64 v[214:215], -v[214:215], v[218:219], v[220:221]
	v_div_fmas_f64 v[214:215], v[214:215], v[216:217], v[218:219]
	v_div_fixup_f64 v[214:215], v[214:215], v[238:239], v[240:241]
	v_fma_f64 v[216:217], v[240:241], v[214:215], v[238:239]
	v_div_scale_f64 v[218:219], null, v[216:217], v[216:217], 1.0
	v_rcp_f64_e32 v[220:221], v[218:219]
	v_fma_f64 v[222:223], -v[218:219], v[220:221], 1.0
	v_fma_f64 v[220:221], v[220:221], v[222:223], v[220:221]
	v_fma_f64 v[222:223], -v[218:219], v[220:221], 1.0
	v_fma_f64 v[220:221], v[220:221], v[222:223], v[220:221]
	v_div_scale_f64 v[222:223], vcc_lo, 1.0, v[216:217], 1.0
	v_mul_f64 v[224:225], v[222:223], v[220:221]
	v_fma_f64 v[218:219], -v[218:219], v[224:225], v[222:223]
	v_div_fmas_f64 v[218:219], v[218:219], v[220:221], v[224:225]
	v_div_fixup_f64 v[238:239], v[218:219], v[216:217], 1.0
	v_mul_f64 v[240:241], v[214:215], -v[238:239]
.LBB116_660:
	s_or_b32 exec_lo, exec_lo, s1
.LBB116_661:
	s_or_b32 exec_lo, exec_lo, s0
	s_mov_b32 s0, exec_lo
	v_cmpx_ne_u32_e64 v252, v246
	s_xor_b32 s0, exec_lo, s0
	s_cbranch_execz .LBB116_667
; %bb.662:
	s_mov_b32 s1, exec_lo
	v_cmpx_eq_u32_e32 31, v252
	s_cbranch_execz .LBB116_666
; %bb.663:
	v_cmp_ne_u32_e32 vcc_lo, 31, v246
	s_xor_b32 s7, s16, -1
	s_and_b32 s9, s7, vcc_lo
	s_and_saveexec_b32 s7, s9
	s_cbranch_execz .LBB116_665
; %bb.664:
	s_clause 0x1
	buffer_load_dword v210, off, s[20:23], 0 offset:16
	buffer_load_dword v211, off, s[20:23], 0 offset:20
	v_ashrrev_i32_e32 v247, 31, v246
	v_lshlrev_b64 v[214:215], 2, v[246:247]
	s_waitcnt vmcnt(1)
	v_add_co_u32 v214, vcc_lo, v210, v214
	s_waitcnt vmcnt(0)
	v_add_co_ci_u32_e64 v215, null, v211, v215, vcc_lo
	s_clause 0x1
	global_load_dword v0, v[214:215], off
	global_load_dword v216, v[210:211], off offset:124
	s_waitcnt vmcnt(1)
	global_store_dword v[210:211], v0, off offset:124
	s_waitcnt vmcnt(0)
	global_store_dword v[214:215], v216, off
.LBB116_665:
	s_or_b32 exec_lo, exec_lo, s7
	v_mov_b32_e32 v252, v246
	v_mov_b32_e32 v0, v246
.LBB116_666:
	s_or_b32 exec_lo, exec_lo, s1
.LBB116_667:
	s_andn2_saveexec_b32 s0, s0
	s_cbranch_execz .LBB116_669
; %bb.668:
	v_mov_b32_e32 v252, 31
	ds_write2_b64 v1, v[106:107], v[108:109] offset0:64 offset1:65
	ds_write2_b64 v1, v[102:103], v[104:105] offset0:66 offset1:67
	;; [unrolled: 1-line block ×27, first 2 shown]
.LBB116_669:
	s_or_b32 exec_lo, exec_lo, s0
	s_mov_b32 s0, exec_lo
	s_waitcnt lgkmcnt(0)
	s_waitcnt_vscnt null, 0x0
	s_barrier
	buffer_gl0_inv
	v_cmpx_lt_i32_e32 31, v252
	s_cbranch_execz .LBB116_671
; %bb.670:
	v_mul_f64 v[214:215], v[240:241], v[112:113]
	v_mul_f64 v[112:113], v[238:239], v[112:113]
	v_fma_f64 v[246:247], v[238:239], v[110:111], -v[214:215]
	v_fma_f64 v[112:113], v[240:241], v[110:111], v[112:113]
	ds_read2_b64 v[238:241], v1 offset0:64 offset1:65
	s_waitcnt lgkmcnt(0)
	v_mul_f64 v[110:111], v[240:241], v[112:113]
	v_mul_f64 v[214:215], v[238:239], v[112:113]
	v_fma_f64 v[110:111], v[238:239], v[246:247], -v[110:111]
	v_fma_f64 v[214:215], v[240:241], v[246:247], v[214:215]
	ds_read2_b64 v[238:241], v1 offset0:66 offset1:67
	v_add_f64 v[106:107], v[106:107], -v[110:111]
	v_add_f64 v[108:109], v[108:109], -v[214:215]
	s_waitcnt lgkmcnt(0)
	v_mul_f64 v[110:111], v[240:241], v[112:113]
	v_mul_f64 v[214:215], v[238:239], v[112:113]
	v_fma_f64 v[110:111], v[238:239], v[246:247], -v[110:111]
	v_fma_f64 v[214:215], v[240:241], v[246:247], v[214:215]
	ds_read2_b64 v[238:241], v1 offset0:68 offset1:69
	v_add_f64 v[102:103], v[102:103], -v[110:111]
	v_add_f64 v[104:105], v[104:105], -v[214:215]
	;; [unrolled: 8-line block ×26, first 2 shown]
	s_waitcnt lgkmcnt(0)
	v_mul_f64 v[110:111], v[240:241], v[112:113]
	v_mul_f64 v[214:215], v[238:239], v[112:113]
	v_fma_f64 v[110:111], v[238:239], v[246:247], -v[110:111]
	v_fma_f64 v[214:215], v[240:241], v[246:247], v[214:215]
	v_add_f64 v[226:227], v[226:227], -v[110:111]
	v_add_f64 v[228:229], v[228:229], -v[214:215]
	v_mov_b32_e32 v110, v246
	v_mov_b32_e32 v111, v247
.LBB116_671:
	s_or_b32 exec_lo, exec_lo, s0
	v_lshl_add_u32 v214, v252, 4, v1
	s_barrier
	buffer_gl0_inv
	v_mov_b32_e32 v246, 32
	ds_write2_b64 v214, v[106:107], v[108:109] offset1:1
	s_waitcnt lgkmcnt(0)
	s_barrier
	buffer_gl0_inv
	ds_read2_b64 v[238:241], v1 offset0:64 offset1:65
	s_cmp_lt_i32 s8, 34
	s_cbranch_scc1 .LBB116_674
; %bb.672:
	v_add3_u32 v247, v248, 0, 0x210
	v_mov_b32_e32 v246, 32
	s_mov_b32 s0, 33
	s_inst_prefetch 0x1
	.p2align	6
.LBB116_673:                            ; =>This Inner Loop Header: Depth=1
	s_waitcnt lgkmcnt(0)
	v_cmp_gt_f64_e32 vcc_lo, 0, v[238:239]
	v_xor_b32_e32 v214, 0x80000000, v239
	ds_read2_b64 v[242:245], v247 offset1:1
	v_xor_b32_e32 v216, 0x80000000, v241
	v_add_nc_u32_e32 v247, 16, v247
	s_waitcnt lgkmcnt(0)
	v_xor_b32_e32 v218, 0x80000000, v245
	v_cndmask_b32_e32 v215, v239, v214, vcc_lo
	v_cmp_gt_f64_e32 vcc_lo, 0, v[240:241]
	v_mov_b32_e32 v214, v238
	v_cndmask_b32_e32 v217, v241, v216, vcc_lo
	v_cmp_gt_f64_e32 vcc_lo, 0, v[242:243]
	v_mov_b32_e32 v216, v240
	v_add_f64 v[214:215], v[214:215], v[216:217]
	v_xor_b32_e32 v216, 0x80000000, v243
	v_cndmask_b32_e32 v217, v243, v216, vcc_lo
	v_cmp_gt_f64_e32 vcc_lo, 0, v[244:245]
	v_mov_b32_e32 v216, v242
	v_cndmask_b32_e32 v219, v245, v218, vcc_lo
	v_mov_b32_e32 v218, v244
	v_add_f64 v[216:217], v[216:217], v[218:219]
	v_cmp_lt_f64_e32 vcc_lo, v[214:215], v[216:217]
	v_cndmask_b32_e32 v239, v239, v243, vcc_lo
	v_cndmask_b32_e32 v238, v238, v242, vcc_lo
	;; [unrolled: 1-line block ×4, first 2 shown]
	v_cndmask_b32_e64 v246, v246, s0, vcc_lo
	s_add_i32 s0, s0, 1
	s_cmp_lg_u32 s8, s0
	s_cbranch_scc1 .LBB116_673
.LBB116_674:
	s_inst_prefetch 0x2
	s_waitcnt lgkmcnt(0)
	v_cmp_eq_f64_e32 vcc_lo, 0, v[238:239]
	v_cmp_eq_f64_e64 s0, 0, v[240:241]
	s_and_b32 s0, vcc_lo, s0
	s_and_saveexec_b32 s1, s0
	s_xor_b32 s0, exec_lo, s1
; %bb.675:
	v_cmp_ne_u32_e32 vcc_lo, 0, v251
	v_cndmask_b32_e32 v251, 33, v251, vcc_lo
; %bb.676:
	s_andn2_saveexec_b32 s0, s0
	s_cbranch_execz .LBB116_682
; %bb.677:
	v_cmp_ngt_f64_e64 s1, |v[238:239]|, |v[240:241]|
	s_and_saveexec_b32 s7, s1
	s_xor_b32 s1, exec_lo, s7
	s_cbranch_execz .LBB116_679
; %bb.678:
	v_div_scale_f64 v[214:215], null, v[240:241], v[240:241], v[238:239]
	v_div_scale_f64 v[220:221], vcc_lo, v[238:239], v[240:241], v[238:239]
	v_rcp_f64_e32 v[216:217], v[214:215]
	v_fma_f64 v[218:219], -v[214:215], v[216:217], 1.0
	v_fma_f64 v[216:217], v[216:217], v[218:219], v[216:217]
	v_fma_f64 v[218:219], -v[214:215], v[216:217], 1.0
	v_fma_f64 v[216:217], v[216:217], v[218:219], v[216:217]
	v_mul_f64 v[218:219], v[220:221], v[216:217]
	v_fma_f64 v[214:215], -v[214:215], v[218:219], v[220:221]
	v_div_fmas_f64 v[214:215], v[214:215], v[216:217], v[218:219]
	v_div_fixup_f64 v[214:215], v[214:215], v[240:241], v[238:239]
	v_fma_f64 v[216:217], v[238:239], v[214:215], v[240:241]
	v_div_scale_f64 v[218:219], null, v[216:217], v[216:217], 1.0
	v_rcp_f64_e32 v[220:221], v[218:219]
	v_fma_f64 v[222:223], -v[218:219], v[220:221], 1.0
	v_fma_f64 v[220:221], v[220:221], v[222:223], v[220:221]
	v_fma_f64 v[222:223], -v[218:219], v[220:221], 1.0
	v_fma_f64 v[220:221], v[220:221], v[222:223], v[220:221]
	v_div_scale_f64 v[222:223], vcc_lo, 1.0, v[216:217], 1.0
	v_mul_f64 v[224:225], v[222:223], v[220:221]
	v_fma_f64 v[218:219], -v[218:219], v[224:225], v[222:223]
	v_div_fmas_f64 v[218:219], v[218:219], v[220:221], v[224:225]
	v_div_fixup_f64 v[240:241], v[218:219], v[216:217], 1.0
	v_mul_f64 v[238:239], v[214:215], v[240:241]
	v_xor_b32_e32 v241, 0x80000000, v241
.LBB116_679:
	s_andn2_saveexec_b32 s1, s1
	s_cbranch_execz .LBB116_681
; %bb.680:
	v_div_scale_f64 v[214:215], null, v[238:239], v[238:239], v[240:241]
	v_div_scale_f64 v[220:221], vcc_lo, v[240:241], v[238:239], v[240:241]
	v_rcp_f64_e32 v[216:217], v[214:215]
	v_fma_f64 v[218:219], -v[214:215], v[216:217], 1.0
	v_fma_f64 v[216:217], v[216:217], v[218:219], v[216:217]
	v_fma_f64 v[218:219], -v[214:215], v[216:217], 1.0
	v_fma_f64 v[216:217], v[216:217], v[218:219], v[216:217]
	v_mul_f64 v[218:219], v[220:221], v[216:217]
	v_fma_f64 v[214:215], -v[214:215], v[218:219], v[220:221]
	v_div_fmas_f64 v[214:215], v[214:215], v[216:217], v[218:219]
	v_div_fixup_f64 v[214:215], v[214:215], v[238:239], v[240:241]
	v_fma_f64 v[216:217], v[240:241], v[214:215], v[238:239]
	v_div_scale_f64 v[218:219], null, v[216:217], v[216:217], 1.0
	v_rcp_f64_e32 v[220:221], v[218:219]
	v_fma_f64 v[222:223], -v[218:219], v[220:221], 1.0
	v_fma_f64 v[220:221], v[220:221], v[222:223], v[220:221]
	v_fma_f64 v[222:223], -v[218:219], v[220:221], 1.0
	v_fma_f64 v[220:221], v[220:221], v[222:223], v[220:221]
	v_div_scale_f64 v[222:223], vcc_lo, 1.0, v[216:217], 1.0
	v_mul_f64 v[224:225], v[222:223], v[220:221]
	v_fma_f64 v[218:219], -v[218:219], v[224:225], v[222:223]
	v_div_fmas_f64 v[218:219], v[218:219], v[220:221], v[224:225]
	v_div_fixup_f64 v[238:239], v[218:219], v[216:217], 1.0
	v_mul_f64 v[240:241], v[214:215], -v[238:239]
.LBB116_681:
	s_or_b32 exec_lo, exec_lo, s1
.LBB116_682:
	s_or_b32 exec_lo, exec_lo, s0
	s_mov_b32 s0, exec_lo
	v_cmpx_ne_u32_e64 v252, v246
	s_xor_b32 s0, exec_lo, s0
	s_cbranch_execz .LBB116_688
; %bb.683:
	s_mov_b32 s1, exec_lo
	v_cmpx_eq_u32_e32 32, v252
	s_cbranch_execz .LBB116_687
; %bb.684:
	v_cmp_ne_u32_e32 vcc_lo, 32, v246
	s_xor_b32 s7, s16, -1
	s_and_b32 s9, s7, vcc_lo
	s_and_saveexec_b32 s7, s9
	s_cbranch_execz .LBB116_686
; %bb.685:
	s_clause 0x1
	buffer_load_dword v210, off, s[20:23], 0 offset:16
	buffer_load_dword v211, off, s[20:23], 0 offset:20
	v_ashrrev_i32_e32 v247, 31, v246
	v_lshlrev_b64 v[214:215], 2, v[246:247]
	s_waitcnt vmcnt(1)
	v_add_co_u32 v214, vcc_lo, v210, v214
	s_waitcnt vmcnt(0)
	v_add_co_ci_u32_e64 v215, null, v211, v215, vcc_lo
	s_clause 0x1
	global_load_dword v0, v[214:215], off
	global_load_dword v216, v[210:211], off offset:128
	s_waitcnt vmcnt(1)
	global_store_dword v[210:211], v0, off offset:128
	s_waitcnt vmcnt(0)
	global_store_dword v[214:215], v216, off
.LBB116_686:
	s_or_b32 exec_lo, exec_lo, s7
	v_mov_b32_e32 v252, v246
	v_mov_b32_e32 v0, v246
.LBB116_687:
	s_or_b32 exec_lo, exec_lo, s1
.LBB116_688:
	s_andn2_saveexec_b32 s0, s0
	s_cbranch_execz .LBB116_690
; %bb.689:
	v_mov_b32_e32 v252, 32
	ds_write2_b64 v1, v[102:103], v[104:105] offset0:66 offset1:67
	ds_write2_b64 v1, v[98:99], v[100:101] offset0:68 offset1:69
	;; [unrolled: 1-line block ×26, first 2 shown]
.LBB116_690:
	s_or_b32 exec_lo, exec_lo, s0
	s_mov_b32 s0, exec_lo
	s_waitcnt lgkmcnt(0)
	s_waitcnt_vscnt null, 0x0
	s_barrier
	buffer_gl0_inv
	v_cmpx_lt_i32_e32 32, v252
	s_cbranch_execz .LBB116_692
; %bb.691:
	v_mul_f64 v[214:215], v[240:241], v[108:109]
	v_mul_f64 v[108:109], v[238:239], v[108:109]
	v_fma_f64 v[246:247], v[238:239], v[106:107], -v[214:215]
	v_fma_f64 v[108:109], v[240:241], v[106:107], v[108:109]
	ds_read2_b64 v[238:241], v1 offset0:66 offset1:67
	s_waitcnt lgkmcnt(0)
	v_mul_f64 v[106:107], v[240:241], v[108:109]
	v_mul_f64 v[214:215], v[238:239], v[108:109]
	v_fma_f64 v[106:107], v[238:239], v[246:247], -v[106:107]
	v_fma_f64 v[214:215], v[240:241], v[246:247], v[214:215]
	ds_read2_b64 v[238:241], v1 offset0:68 offset1:69
	v_add_f64 v[102:103], v[102:103], -v[106:107]
	v_add_f64 v[104:105], v[104:105], -v[214:215]
	s_waitcnt lgkmcnt(0)
	v_mul_f64 v[106:107], v[240:241], v[108:109]
	v_mul_f64 v[214:215], v[238:239], v[108:109]
	v_fma_f64 v[106:107], v[238:239], v[246:247], -v[106:107]
	v_fma_f64 v[214:215], v[240:241], v[246:247], v[214:215]
	ds_read2_b64 v[238:241], v1 offset0:70 offset1:71
	v_add_f64 v[98:99], v[98:99], -v[106:107]
	v_add_f64 v[100:101], v[100:101], -v[214:215]
	;; [unrolled: 8-line block ×25, first 2 shown]
	s_waitcnt lgkmcnt(0)
	v_mul_f64 v[106:107], v[240:241], v[108:109]
	v_mul_f64 v[214:215], v[238:239], v[108:109]
	v_fma_f64 v[106:107], v[238:239], v[246:247], -v[106:107]
	v_fma_f64 v[214:215], v[240:241], v[246:247], v[214:215]
	v_add_f64 v[226:227], v[226:227], -v[106:107]
	v_add_f64 v[228:229], v[228:229], -v[214:215]
	v_mov_b32_e32 v106, v246
	v_mov_b32_e32 v107, v247
.LBB116_692:
	s_or_b32 exec_lo, exec_lo, s0
	v_lshl_add_u32 v214, v252, 4, v1
	s_barrier
	buffer_gl0_inv
	v_mov_b32_e32 v246, 33
	ds_write2_b64 v214, v[102:103], v[104:105] offset1:1
	s_waitcnt lgkmcnt(0)
	s_barrier
	buffer_gl0_inv
	ds_read2_b64 v[238:241], v1 offset0:66 offset1:67
	s_cmp_lt_i32 s8, 35
	s_cbranch_scc1 .LBB116_695
; %bb.693:
	v_add3_u32 v247, v248, 0, 0x220
	v_mov_b32_e32 v246, 33
	s_mov_b32 s0, 34
	s_inst_prefetch 0x1
	.p2align	6
.LBB116_694:                            ; =>This Inner Loop Header: Depth=1
	s_waitcnt lgkmcnt(0)
	v_cmp_gt_f64_e32 vcc_lo, 0, v[238:239]
	v_xor_b32_e32 v214, 0x80000000, v239
	ds_read2_b64 v[242:245], v247 offset1:1
	v_xor_b32_e32 v216, 0x80000000, v241
	v_add_nc_u32_e32 v247, 16, v247
	s_waitcnt lgkmcnt(0)
	v_xor_b32_e32 v218, 0x80000000, v245
	v_cndmask_b32_e32 v215, v239, v214, vcc_lo
	v_cmp_gt_f64_e32 vcc_lo, 0, v[240:241]
	v_mov_b32_e32 v214, v238
	v_cndmask_b32_e32 v217, v241, v216, vcc_lo
	v_cmp_gt_f64_e32 vcc_lo, 0, v[242:243]
	v_mov_b32_e32 v216, v240
	v_add_f64 v[214:215], v[214:215], v[216:217]
	v_xor_b32_e32 v216, 0x80000000, v243
	v_cndmask_b32_e32 v217, v243, v216, vcc_lo
	v_cmp_gt_f64_e32 vcc_lo, 0, v[244:245]
	v_mov_b32_e32 v216, v242
	v_cndmask_b32_e32 v219, v245, v218, vcc_lo
	v_mov_b32_e32 v218, v244
	v_add_f64 v[216:217], v[216:217], v[218:219]
	v_cmp_lt_f64_e32 vcc_lo, v[214:215], v[216:217]
	v_cndmask_b32_e32 v239, v239, v243, vcc_lo
	v_cndmask_b32_e32 v238, v238, v242, vcc_lo
	;; [unrolled: 1-line block ×4, first 2 shown]
	v_cndmask_b32_e64 v246, v246, s0, vcc_lo
	s_add_i32 s0, s0, 1
	s_cmp_lg_u32 s8, s0
	s_cbranch_scc1 .LBB116_694
.LBB116_695:
	s_inst_prefetch 0x2
	s_waitcnt lgkmcnt(0)
	v_cmp_eq_f64_e32 vcc_lo, 0, v[238:239]
	v_cmp_eq_f64_e64 s0, 0, v[240:241]
	s_and_b32 s0, vcc_lo, s0
	s_and_saveexec_b32 s1, s0
	s_xor_b32 s0, exec_lo, s1
; %bb.696:
	v_cmp_ne_u32_e32 vcc_lo, 0, v251
	v_cndmask_b32_e32 v251, 34, v251, vcc_lo
; %bb.697:
	s_andn2_saveexec_b32 s0, s0
	s_cbranch_execz .LBB116_703
; %bb.698:
	v_cmp_ngt_f64_e64 s1, |v[238:239]|, |v[240:241]|
	s_and_saveexec_b32 s7, s1
	s_xor_b32 s1, exec_lo, s7
	s_cbranch_execz .LBB116_700
; %bb.699:
	v_div_scale_f64 v[214:215], null, v[240:241], v[240:241], v[238:239]
	v_div_scale_f64 v[220:221], vcc_lo, v[238:239], v[240:241], v[238:239]
	v_rcp_f64_e32 v[216:217], v[214:215]
	v_fma_f64 v[218:219], -v[214:215], v[216:217], 1.0
	v_fma_f64 v[216:217], v[216:217], v[218:219], v[216:217]
	v_fma_f64 v[218:219], -v[214:215], v[216:217], 1.0
	v_fma_f64 v[216:217], v[216:217], v[218:219], v[216:217]
	v_mul_f64 v[218:219], v[220:221], v[216:217]
	v_fma_f64 v[214:215], -v[214:215], v[218:219], v[220:221]
	v_div_fmas_f64 v[214:215], v[214:215], v[216:217], v[218:219]
	v_div_fixup_f64 v[214:215], v[214:215], v[240:241], v[238:239]
	v_fma_f64 v[216:217], v[238:239], v[214:215], v[240:241]
	v_div_scale_f64 v[218:219], null, v[216:217], v[216:217], 1.0
	v_rcp_f64_e32 v[220:221], v[218:219]
	v_fma_f64 v[222:223], -v[218:219], v[220:221], 1.0
	v_fma_f64 v[220:221], v[220:221], v[222:223], v[220:221]
	v_fma_f64 v[222:223], -v[218:219], v[220:221], 1.0
	v_fma_f64 v[220:221], v[220:221], v[222:223], v[220:221]
	v_div_scale_f64 v[222:223], vcc_lo, 1.0, v[216:217], 1.0
	v_mul_f64 v[224:225], v[222:223], v[220:221]
	v_fma_f64 v[218:219], -v[218:219], v[224:225], v[222:223]
	v_div_fmas_f64 v[218:219], v[218:219], v[220:221], v[224:225]
	v_div_fixup_f64 v[240:241], v[218:219], v[216:217], 1.0
	v_mul_f64 v[238:239], v[214:215], v[240:241]
	v_xor_b32_e32 v241, 0x80000000, v241
.LBB116_700:
	s_andn2_saveexec_b32 s1, s1
	s_cbranch_execz .LBB116_702
; %bb.701:
	v_div_scale_f64 v[214:215], null, v[238:239], v[238:239], v[240:241]
	v_div_scale_f64 v[220:221], vcc_lo, v[240:241], v[238:239], v[240:241]
	v_rcp_f64_e32 v[216:217], v[214:215]
	v_fma_f64 v[218:219], -v[214:215], v[216:217], 1.0
	v_fma_f64 v[216:217], v[216:217], v[218:219], v[216:217]
	v_fma_f64 v[218:219], -v[214:215], v[216:217], 1.0
	v_fma_f64 v[216:217], v[216:217], v[218:219], v[216:217]
	v_mul_f64 v[218:219], v[220:221], v[216:217]
	v_fma_f64 v[214:215], -v[214:215], v[218:219], v[220:221]
	v_div_fmas_f64 v[214:215], v[214:215], v[216:217], v[218:219]
	v_div_fixup_f64 v[214:215], v[214:215], v[238:239], v[240:241]
	v_fma_f64 v[216:217], v[240:241], v[214:215], v[238:239]
	v_div_scale_f64 v[218:219], null, v[216:217], v[216:217], 1.0
	v_rcp_f64_e32 v[220:221], v[218:219]
	v_fma_f64 v[222:223], -v[218:219], v[220:221], 1.0
	v_fma_f64 v[220:221], v[220:221], v[222:223], v[220:221]
	v_fma_f64 v[222:223], -v[218:219], v[220:221], 1.0
	v_fma_f64 v[220:221], v[220:221], v[222:223], v[220:221]
	v_div_scale_f64 v[222:223], vcc_lo, 1.0, v[216:217], 1.0
	v_mul_f64 v[224:225], v[222:223], v[220:221]
	v_fma_f64 v[218:219], -v[218:219], v[224:225], v[222:223]
	v_div_fmas_f64 v[218:219], v[218:219], v[220:221], v[224:225]
	v_div_fixup_f64 v[238:239], v[218:219], v[216:217], 1.0
	v_mul_f64 v[240:241], v[214:215], -v[238:239]
.LBB116_702:
	s_or_b32 exec_lo, exec_lo, s1
.LBB116_703:
	s_or_b32 exec_lo, exec_lo, s0
	s_mov_b32 s0, exec_lo
	v_cmpx_ne_u32_e64 v252, v246
	s_xor_b32 s0, exec_lo, s0
	s_cbranch_execz .LBB116_709
; %bb.704:
	s_mov_b32 s1, exec_lo
	v_cmpx_eq_u32_e32 33, v252
	s_cbranch_execz .LBB116_708
; %bb.705:
	v_cmp_ne_u32_e32 vcc_lo, 33, v246
	s_xor_b32 s7, s16, -1
	s_and_b32 s9, s7, vcc_lo
	s_and_saveexec_b32 s7, s9
	s_cbranch_execz .LBB116_707
; %bb.706:
	s_clause 0x1
	buffer_load_dword v210, off, s[20:23], 0 offset:16
	buffer_load_dword v211, off, s[20:23], 0 offset:20
	v_ashrrev_i32_e32 v247, 31, v246
	v_lshlrev_b64 v[214:215], 2, v[246:247]
	s_waitcnt vmcnt(1)
	v_add_co_u32 v214, vcc_lo, v210, v214
	s_waitcnt vmcnt(0)
	v_add_co_ci_u32_e64 v215, null, v211, v215, vcc_lo
	s_clause 0x1
	global_load_dword v0, v[214:215], off
	global_load_dword v216, v[210:211], off offset:132
	s_waitcnt vmcnt(1)
	global_store_dword v[210:211], v0, off offset:132
	s_waitcnt vmcnt(0)
	global_store_dword v[214:215], v216, off
.LBB116_707:
	s_or_b32 exec_lo, exec_lo, s7
	v_mov_b32_e32 v252, v246
	v_mov_b32_e32 v0, v246
.LBB116_708:
	s_or_b32 exec_lo, exec_lo, s1
.LBB116_709:
	s_andn2_saveexec_b32 s0, s0
	s_cbranch_execz .LBB116_711
; %bb.710:
	v_mov_b32_e32 v252, 33
	ds_write2_b64 v1, v[98:99], v[100:101] offset0:68 offset1:69
	ds_write2_b64 v1, v[94:95], v[96:97] offset0:70 offset1:71
	;; [unrolled: 1-line block ×25, first 2 shown]
.LBB116_711:
	s_or_b32 exec_lo, exec_lo, s0
	s_mov_b32 s0, exec_lo
	s_waitcnt lgkmcnt(0)
	s_waitcnt_vscnt null, 0x0
	s_barrier
	buffer_gl0_inv
	v_cmpx_lt_i32_e32 33, v252
	s_cbranch_execz .LBB116_713
; %bb.712:
	v_mul_f64 v[214:215], v[240:241], v[104:105]
	v_mul_f64 v[104:105], v[238:239], v[104:105]
	v_fma_f64 v[246:247], v[238:239], v[102:103], -v[214:215]
	v_fma_f64 v[104:105], v[240:241], v[102:103], v[104:105]
	ds_read2_b64 v[238:241], v1 offset0:68 offset1:69
	s_waitcnt lgkmcnt(0)
	v_mul_f64 v[102:103], v[240:241], v[104:105]
	v_mul_f64 v[214:215], v[238:239], v[104:105]
	v_fma_f64 v[102:103], v[238:239], v[246:247], -v[102:103]
	v_fma_f64 v[214:215], v[240:241], v[246:247], v[214:215]
	ds_read2_b64 v[238:241], v1 offset0:70 offset1:71
	v_add_f64 v[98:99], v[98:99], -v[102:103]
	v_add_f64 v[100:101], v[100:101], -v[214:215]
	s_waitcnt lgkmcnt(0)
	v_mul_f64 v[102:103], v[240:241], v[104:105]
	v_mul_f64 v[214:215], v[238:239], v[104:105]
	v_fma_f64 v[102:103], v[238:239], v[246:247], -v[102:103]
	v_fma_f64 v[214:215], v[240:241], v[246:247], v[214:215]
	ds_read2_b64 v[238:241], v1 offset0:72 offset1:73
	v_add_f64 v[94:95], v[94:95], -v[102:103]
	v_add_f64 v[96:97], v[96:97], -v[214:215]
	;; [unrolled: 8-line block ×24, first 2 shown]
	s_waitcnt lgkmcnt(0)
	v_mul_f64 v[102:103], v[240:241], v[104:105]
	v_mul_f64 v[214:215], v[238:239], v[104:105]
	v_fma_f64 v[102:103], v[238:239], v[246:247], -v[102:103]
	v_fma_f64 v[214:215], v[240:241], v[246:247], v[214:215]
	v_add_f64 v[226:227], v[226:227], -v[102:103]
	v_add_f64 v[228:229], v[228:229], -v[214:215]
	v_mov_b32_e32 v102, v246
	v_mov_b32_e32 v103, v247
.LBB116_713:
	s_or_b32 exec_lo, exec_lo, s0
	v_lshl_add_u32 v214, v252, 4, v1
	s_barrier
	buffer_gl0_inv
	v_mov_b32_e32 v246, 34
	ds_write2_b64 v214, v[98:99], v[100:101] offset1:1
	s_waitcnt lgkmcnt(0)
	s_barrier
	buffer_gl0_inv
	ds_read2_b64 v[238:241], v1 offset0:68 offset1:69
	s_cmp_lt_i32 s8, 36
	s_cbranch_scc1 .LBB116_716
; %bb.714:
	v_add3_u32 v247, v248, 0, 0x230
	v_mov_b32_e32 v246, 34
	s_mov_b32 s0, 35
	s_inst_prefetch 0x1
	.p2align	6
.LBB116_715:                            ; =>This Inner Loop Header: Depth=1
	s_waitcnt lgkmcnt(0)
	v_cmp_gt_f64_e32 vcc_lo, 0, v[238:239]
	v_xor_b32_e32 v214, 0x80000000, v239
	ds_read2_b64 v[242:245], v247 offset1:1
	v_xor_b32_e32 v216, 0x80000000, v241
	v_add_nc_u32_e32 v247, 16, v247
	s_waitcnt lgkmcnt(0)
	v_xor_b32_e32 v218, 0x80000000, v245
	v_cndmask_b32_e32 v215, v239, v214, vcc_lo
	v_cmp_gt_f64_e32 vcc_lo, 0, v[240:241]
	v_mov_b32_e32 v214, v238
	v_cndmask_b32_e32 v217, v241, v216, vcc_lo
	v_cmp_gt_f64_e32 vcc_lo, 0, v[242:243]
	v_mov_b32_e32 v216, v240
	v_add_f64 v[214:215], v[214:215], v[216:217]
	v_xor_b32_e32 v216, 0x80000000, v243
	v_cndmask_b32_e32 v217, v243, v216, vcc_lo
	v_cmp_gt_f64_e32 vcc_lo, 0, v[244:245]
	v_mov_b32_e32 v216, v242
	v_cndmask_b32_e32 v219, v245, v218, vcc_lo
	v_mov_b32_e32 v218, v244
	v_add_f64 v[216:217], v[216:217], v[218:219]
	v_cmp_lt_f64_e32 vcc_lo, v[214:215], v[216:217]
	v_cndmask_b32_e32 v239, v239, v243, vcc_lo
	v_cndmask_b32_e32 v238, v238, v242, vcc_lo
	;; [unrolled: 1-line block ×4, first 2 shown]
	v_cndmask_b32_e64 v246, v246, s0, vcc_lo
	s_add_i32 s0, s0, 1
	s_cmp_lg_u32 s8, s0
	s_cbranch_scc1 .LBB116_715
.LBB116_716:
	s_inst_prefetch 0x2
	s_waitcnt lgkmcnt(0)
	v_cmp_eq_f64_e32 vcc_lo, 0, v[238:239]
	v_cmp_eq_f64_e64 s0, 0, v[240:241]
	s_and_b32 s0, vcc_lo, s0
	s_and_saveexec_b32 s1, s0
	s_xor_b32 s0, exec_lo, s1
; %bb.717:
	v_cmp_ne_u32_e32 vcc_lo, 0, v251
	v_cndmask_b32_e32 v251, 35, v251, vcc_lo
; %bb.718:
	s_andn2_saveexec_b32 s0, s0
	s_cbranch_execz .LBB116_724
; %bb.719:
	v_cmp_ngt_f64_e64 s1, |v[238:239]|, |v[240:241]|
	s_and_saveexec_b32 s7, s1
	s_xor_b32 s1, exec_lo, s7
	s_cbranch_execz .LBB116_721
; %bb.720:
	v_div_scale_f64 v[214:215], null, v[240:241], v[240:241], v[238:239]
	v_div_scale_f64 v[220:221], vcc_lo, v[238:239], v[240:241], v[238:239]
	v_rcp_f64_e32 v[216:217], v[214:215]
	v_fma_f64 v[218:219], -v[214:215], v[216:217], 1.0
	v_fma_f64 v[216:217], v[216:217], v[218:219], v[216:217]
	v_fma_f64 v[218:219], -v[214:215], v[216:217], 1.0
	v_fma_f64 v[216:217], v[216:217], v[218:219], v[216:217]
	v_mul_f64 v[218:219], v[220:221], v[216:217]
	v_fma_f64 v[214:215], -v[214:215], v[218:219], v[220:221]
	v_div_fmas_f64 v[214:215], v[214:215], v[216:217], v[218:219]
	v_div_fixup_f64 v[214:215], v[214:215], v[240:241], v[238:239]
	v_fma_f64 v[216:217], v[238:239], v[214:215], v[240:241]
	v_div_scale_f64 v[218:219], null, v[216:217], v[216:217], 1.0
	v_rcp_f64_e32 v[220:221], v[218:219]
	v_fma_f64 v[222:223], -v[218:219], v[220:221], 1.0
	v_fma_f64 v[220:221], v[220:221], v[222:223], v[220:221]
	v_fma_f64 v[222:223], -v[218:219], v[220:221], 1.0
	v_fma_f64 v[220:221], v[220:221], v[222:223], v[220:221]
	v_div_scale_f64 v[222:223], vcc_lo, 1.0, v[216:217], 1.0
	v_mul_f64 v[224:225], v[222:223], v[220:221]
	v_fma_f64 v[218:219], -v[218:219], v[224:225], v[222:223]
	v_div_fmas_f64 v[218:219], v[218:219], v[220:221], v[224:225]
	v_div_fixup_f64 v[240:241], v[218:219], v[216:217], 1.0
	v_mul_f64 v[238:239], v[214:215], v[240:241]
	v_xor_b32_e32 v241, 0x80000000, v241
.LBB116_721:
	s_andn2_saveexec_b32 s1, s1
	s_cbranch_execz .LBB116_723
; %bb.722:
	v_div_scale_f64 v[214:215], null, v[238:239], v[238:239], v[240:241]
	v_div_scale_f64 v[220:221], vcc_lo, v[240:241], v[238:239], v[240:241]
	v_rcp_f64_e32 v[216:217], v[214:215]
	v_fma_f64 v[218:219], -v[214:215], v[216:217], 1.0
	v_fma_f64 v[216:217], v[216:217], v[218:219], v[216:217]
	v_fma_f64 v[218:219], -v[214:215], v[216:217], 1.0
	v_fma_f64 v[216:217], v[216:217], v[218:219], v[216:217]
	v_mul_f64 v[218:219], v[220:221], v[216:217]
	v_fma_f64 v[214:215], -v[214:215], v[218:219], v[220:221]
	v_div_fmas_f64 v[214:215], v[214:215], v[216:217], v[218:219]
	v_div_fixup_f64 v[214:215], v[214:215], v[238:239], v[240:241]
	v_fma_f64 v[216:217], v[240:241], v[214:215], v[238:239]
	v_div_scale_f64 v[218:219], null, v[216:217], v[216:217], 1.0
	v_rcp_f64_e32 v[220:221], v[218:219]
	v_fma_f64 v[222:223], -v[218:219], v[220:221], 1.0
	v_fma_f64 v[220:221], v[220:221], v[222:223], v[220:221]
	v_fma_f64 v[222:223], -v[218:219], v[220:221], 1.0
	v_fma_f64 v[220:221], v[220:221], v[222:223], v[220:221]
	v_div_scale_f64 v[222:223], vcc_lo, 1.0, v[216:217], 1.0
	v_mul_f64 v[224:225], v[222:223], v[220:221]
	v_fma_f64 v[218:219], -v[218:219], v[224:225], v[222:223]
	v_div_fmas_f64 v[218:219], v[218:219], v[220:221], v[224:225]
	v_div_fixup_f64 v[238:239], v[218:219], v[216:217], 1.0
	v_mul_f64 v[240:241], v[214:215], -v[238:239]
.LBB116_723:
	s_or_b32 exec_lo, exec_lo, s1
.LBB116_724:
	s_or_b32 exec_lo, exec_lo, s0
	s_mov_b32 s0, exec_lo
	v_cmpx_ne_u32_e64 v252, v246
	s_xor_b32 s0, exec_lo, s0
	s_cbranch_execz .LBB116_730
; %bb.725:
	s_mov_b32 s1, exec_lo
	v_cmpx_eq_u32_e32 34, v252
	s_cbranch_execz .LBB116_729
; %bb.726:
	v_cmp_ne_u32_e32 vcc_lo, 34, v246
	s_xor_b32 s7, s16, -1
	s_and_b32 s9, s7, vcc_lo
	s_and_saveexec_b32 s7, s9
	s_cbranch_execz .LBB116_728
; %bb.727:
	s_clause 0x1
	buffer_load_dword v210, off, s[20:23], 0 offset:16
	buffer_load_dword v211, off, s[20:23], 0 offset:20
	v_ashrrev_i32_e32 v247, 31, v246
	v_lshlrev_b64 v[214:215], 2, v[246:247]
	s_waitcnt vmcnt(1)
	v_add_co_u32 v214, vcc_lo, v210, v214
	s_waitcnt vmcnt(0)
	v_add_co_ci_u32_e64 v215, null, v211, v215, vcc_lo
	s_clause 0x1
	global_load_dword v0, v[214:215], off
	global_load_dword v216, v[210:211], off offset:136
	s_waitcnt vmcnt(1)
	global_store_dword v[210:211], v0, off offset:136
	s_waitcnt vmcnt(0)
	global_store_dword v[214:215], v216, off
.LBB116_728:
	s_or_b32 exec_lo, exec_lo, s7
	v_mov_b32_e32 v252, v246
	v_mov_b32_e32 v0, v246
.LBB116_729:
	s_or_b32 exec_lo, exec_lo, s1
.LBB116_730:
	s_andn2_saveexec_b32 s0, s0
	s_cbranch_execz .LBB116_732
; %bb.731:
	v_mov_b32_e32 v252, 34
	ds_write2_b64 v1, v[94:95], v[96:97] offset0:70 offset1:71
	ds_write2_b64 v1, v[90:91], v[92:93] offset0:72 offset1:73
	;; [unrolled: 1-line block ×24, first 2 shown]
.LBB116_732:
	s_or_b32 exec_lo, exec_lo, s0
	s_mov_b32 s0, exec_lo
	s_waitcnt lgkmcnt(0)
	s_waitcnt_vscnt null, 0x0
	s_barrier
	buffer_gl0_inv
	v_cmpx_lt_i32_e32 34, v252
	s_cbranch_execz .LBB116_734
; %bb.733:
	v_mul_f64 v[214:215], v[240:241], v[100:101]
	v_mul_f64 v[100:101], v[238:239], v[100:101]
	v_fma_f64 v[246:247], v[238:239], v[98:99], -v[214:215]
	v_fma_f64 v[100:101], v[240:241], v[98:99], v[100:101]
	ds_read2_b64 v[238:241], v1 offset0:70 offset1:71
	s_waitcnt lgkmcnt(0)
	v_mul_f64 v[98:99], v[240:241], v[100:101]
	v_mul_f64 v[214:215], v[238:239], v[100:101]
	v_fma_f64 v[98:99], v[238:239], v[246:247], -v[98:99]
	v_fma_f64 v[214:215], v[240:241], v[246:247], v[214:215]
	ds_read2_b64 v[238:241], v1 offset0:72 offset1:73
	v_add_f64 v[94:95], v[94:95], -v[98:99]
	v_add_f64 v[96:97], v[96:97], -v[214:215]
	s_waitcnt lgkmcnt(0)
	v_mul_f64 v[98:99], v[240:241], v[100:101]
	v_mul_f64 v[214:215], v[238:239], v[100:101]
	v_fma_f64 v[98:99], v[238:239], v[246:247], -v[98:99]
	v_fma_f64 v[214:215], v[240:241], v[246:247], v[214:215]
	ds_read2_b64 v[238:241], v1 offset0:74 offset1:75
	v_add_f64 v[90:91], v[90:91], -v[98:99]
	v_add_f64 v[92:93], v[92:93], -v[214:215]
	;; [unrolled: 8-line block ×23, first 2 shown]
	s_waitcnt lgkmcnt(0)
	v_mul_f64 v[98:99], v[240:241], v[100:101]
	v_mul_f64 v[214:215], v[238:239], v[100:101]
	v_fma_f64 v[98:99], v[238:239], v[246:247], -v[98:99]
	v_fma_f64 v[214:215], v[240:241], v[246:247], v[214:215]
	v_add_f64 v[226:227], v[226:227], -v[98:99]
	v_add_f64 v[228:229], v[228:229], -v[214:215]
	v_mov_b32_e32 v98, v246
	v_mov_b32_e32 v99, v247
.LBB116_734:
	s_or_b32 exec_lo, exec_lo, s0
	v_lshl_add_u32 v214, v252, 4, v1
	s_barrier
	buffer_gl0_inv
	v_mov_b32_e32 v246, 35
	ds_write2_b64 v214, v[94:95], v[96:97] offset1:1
	s_waitcnt lgkmcnt(0)
	s_barrier
	buffer_gl0_inv
	ds_read2_b64 v[238:241], v1 offset0:70 offset1:71
	s_cmp_lt_i32 s8, 37
	s_cbranch_scc1 .LBB116_737
; %bb.735:
	v_add3_u32 v247, v248, 0, 0x240
	v_mov_b32_e32 v246, 35
	s_mov_b32 s0, 36
	s_inst_prefetch 0x1
	.p2align	6
.LBB116_736:                            ; =>This Inner Loop Header: Depth=1
	s_waitcnt lgkmcnt(0)
	v_cmp_gt_f64_e32 vcc_lo, 0, v[238:239]
	v_xor_b32_e32 v214, 0x80000000, v239
	ds_read2_b64 v[242:245], v247 offset1:1
	v_xor_b32_e32 v216, 0x80000000, v241
	v_add_nc_u32_e32 v247, 16, v247
	s_waitcnt lgkmcnt(0)
	v_xor_b32_e32 v218, 0x80000000, v245
	v_cndmask_b32_e32 v215, v239, v214, vcc_lo
	v_cmp_gt_f64_e32 vcc_lo, 0, v[240:241]
	v_mov_b32_e32 v214, v238
	v_cndmask_b32_e32 v217, v241, v216, vcc_lo
	v_cmp_gt_f64_e32 vcc_lo, 0, v[242:243]
	v_mov_b32_e32 v216, v240
	v_add_f64 v[214:215], v[214:215], v[216:217]
	v_xor_b32_e32 v216, 0x80000000, v243
	v_cndmask_b32_e32 v217, v243, v216, vcc_lo
	v_cmp_gt_f64_e32 vcc_lo, 0, v[244:245]
	v_mov_b32_e32 v216, v242
	v_cndmask_b32_e32 v219, v245, v218, vcc_lo
	v_mov_b32_e32 v218, v244
	v_add_f64 v[216:217], v[216:217], v[218:219]
	v_cmp_lt_f64_e32 vcc_lo, v[214:215], v[216:217]
	v_cndmask_b32_e32 v239, v239, v243, vcc_lo
	v_cndmask_b32_e32 v238, v238, v242, vcc_lo
	;; [unrolled: 1-line block ×4, first 2 shown]
	v_cndmask_b32_e64 v246, v246, s0, vcc_lo
	s_add_i32 s0, s0, 1
	s_cmp_lg_u32 s8, s0
	s_cbranch_scc1 .LBB116_736
.LBB116_737:
	s_inst_prefetch 0x2
	s_waitcnt lgkmcnt(0)
	v_cmp_eq_f64_e32 vcc_lo, 0, v[238:239]
	v_cmp_eq_f64_e64 s0, 0, v[240:241]
	s_and_b32 s0, vcc_lo, s0
	s_and_saveexec_b32 s1, s0
	s_xor_b32 s0, exec_lo, s1
; %bb.738:
	v_cmp_ne_u32_e32 vcc_lo, 0, v251
	v_cndmask_b32_e32 v251, 36, v251, vcc_lo
; %bb.739:
	s_andn2_saveexec_b32 s0, s0
	s_cbranch_execz .LBB116_745
; %bb.740:
	v_cmp_ngt_f64_e64 s1, |v[238:239]|, |v[240:241]|
	s_and_saveexec_b32 s7, s1
	s_xor_b32 s1, exec_lo, s7
	s_cbranch_execz .LBB116_742
; %bb.741:
	v_div_scale_f64 v[214:215], null, v[240:241], v[240:241], v[238:239]
	v_div_scale_f64 v[220:221], vcc_lo, v[238:239], v[240:241], v[238:239]
	v_rcp_f64_e32 v[216:217], v[214:215]
	v_fma_f64 v[218:219], -v[214:215], v[216:217], 1.0
	v_fma_f64 v[216:217], v[216:217], v[218:219], v[216:217]
	v_fma_f64 v[218:219], -v[214:215], v[216:217], 1.0
	v_fma_f64 v[216:217], v[216:217], v[218:219], v[216:217]
	v_mul_f64 v[218:219], v[220:221], v[216:217]
	v_fma_f64 v[214:215], -v[214:215], v[218:219], v[220:221]
	v_div_fmas_f64 v[214:215], v[214:215], v[216:217], v[218:219]
	v_div_fixup_f64 v[214:215], v[214:215], v[240:241], v[238:239]
	v_fma_f64 v[216:217], v[238:239], v[214:215], v[240:241]
	v_div_scale_f64 v[218:219], null, v[216:217], v[216:217], 1.0
	v_rcp_f64_e32 v[220:221], v[218:219]
	v_fma_f64 v[222:223], -v[218:219], v[220:221], 1.0
	v_fma_f64 v[220:221], v[220:221], v[222:223], v[220:221]
	v_fma_f64 v[222:223], -v[218:219], v[220:221], 1.0
	v_fma_f64 v[220:221], v[220:221], v[222:223], v[220:221]
	v_div_scale_f64 v[222:223], vcc_lo, 1.0, v[216:217], 1.0
	v_mul_f64 v[224:225], v[222:223], v[220:221]
	v_fma_f64 v[218:219], -v[218:219], v[224:225], v[222:223]
	v_div_fmas_f64 v[218:219], v[218:219], v[220:221], v[224:225]
	v_div_fixup_f64 v[240:241], v[218:219], v[216:217], 1.0
	v_mul_f64 v[238:239], v[214:215], v[240:241]
	v_xor_b32_e32 v241, 0x80000000, v241
.LBB116_742:
	s_andn2_saveexec_b32 s1, s1
	s_cbranch_execz .LBB116_744
; %bb.743:
	v_div_scale_f64 v[214:215], null, v[238:239], v[238:239], v[240:241]
	v_div_scale_f64 v[220:221], vcc_lo, v[240:241], v[238:239], v[240:241]
	v_rcp_f64_e32 v[216:217], v[214:215]
	v_fma_f64 v[218:219], -v[214:215], v[216:217], 1.0
	v_fma_f64 v[216:217], v[216:217], v[218:219], v[216:217]
	v_fma_f64 v[218:219], -v[214:215], v[216:217], 1.0
	v_fma_f64 v[216:217], v[216:217], v[218:219], v[216:217]
	v_mul_f64 v[218:219], v[220:221], v[216:217]
	v_fma_f64 v[214:215], -v[214:215], v[218:219], v[220:221]
	v_div_fmas_f64 v[214:215], v[214:215], v[216:217], v[218:219]
	v_div_fixup_f64 v[214:215], v[214:215], v[238:239], v[240:241]
	v_fma_f64 v[216:217], v[240:241], v[214:215], v[238:239]
	v_div_scale_f64 v[218:219], null, v[216:217], v[216:217], 1.0
	v_rcp_f64_e32 v[220:221], v[218:219]
	v_fma_f64 v[222:223], -v[218:219], v[220:221], 1.0
	v_fma_f64 v[220:221], v[220:221], v[222:223], v[220:221]
	v_fma_f64 v[222:223], -v[218:219], v[220:221], 1.0
	v_fma_f64 v[220:221], v[220:221], v[222:223], v[220:221]
	v_div_scale_f64 v[222:223], vcc_lo, 1.0, v[216:217], 1.0
	v_mul_f64 v[224:225], v[222:223], v[220:221]
	v_fma_f64 v[218:219], -v[218:219], v[224:225], v[222:223]
	v_div_fmas_f64 v[218:219], v[218:219], v[220:221], v[224:225]
	v_div_fixup_f64 v[238:239], v[218:219], v[216:217], 1.0
	v_mul_f64 v[240:241], v[214:215], -v[238:239]
.LBB116_744:
	s_or_b32 exec_lo, exec_lo, s1
.LBB116_745:
	s_or_b32 exec_lo, exec_lo, s0
	s_mov_b32 s0, exec_lo
	v_cmpx_ne_u32_e64 v252, v246
	s_xor_b32 s0, exec_lo, s0
	s_cbranch_execz .LBB116_751
; %bb.746:
	s_mov_b32 s1, exec_lo
	v_cmpx_eq_u32_e32 35, v252
	s_cbranch_execz .LBB116_750
; %bb.747:
	v_cmp_ne_u32_e32 vcc_lo, 35, v246
	s_xor_b32 s7, s16, -1
	s_and_b32 s9, s7, vcc_lo
	s_and_saveexec_b32 s7, s9
	s_cbranch_execz .LBB116_749
; %bb.748:
	s_clause 0x1
	buffer_load_dword v210, off, s[20:23], 0 offset:16
	buffer_load_dword v211, off, s[20:23], 0 offset:20
	v_ashrrev_i32_e32 v247, 31, v246
	v_lshlrev_b64 v[214:215], 2, v[246:247]
	s_waitcnt vmcnt(1)
	v_add_co_u32 v214, vcc_lo, v210, v214
	s_waitcnt vmcnt(0)
	v_add_co_ci_u32_e64 v215, null, v211, v215, vcc_lo
	s_clause 0x1
	global_load_dword v0, v[214:215], off
	global_load_dword v216, v[210:211], off offset:140
	s_waitcnt vmcnt(1)
	global_store_dword v[210:211], v0, off offset:140
	s_waitcnt vmcnt(0)
	global_store_dword v[214:215], v216, off
.LBB116_749:
	s_or_b32 exec_lo, exec_lo, s7
	v_mov_b32_e32 v252, v246
	v_mov_b32_e32 v0, v246
.LBB116_750:
	s_or_b32 exec_lo, exec_lo, s1
.LBB116_751:
	s_andn2_saveexec_b32 s0, s0
	s_cbranch_execz .LBB116_753
; %bb.752:
	v_mov_b32_e32 v252, 35
	ds_write2_b64 v1, v[90:91], v[92:93] offset0:72 offset1:73
	ds_write2_b64 v1, v[86:87], v[88:89] offset0:74 offset1:75
	;; [unrolled: 1-line block ×23, first 2 shown]
.LBB116_753:
	s_or_b32 exec_lo, exec_lo, s0
	s_mov_b32 s0, exec_lo
	s_waitcnt lgkmcnt(0)
	s_waitcnt_vscnt null, 0x0
	s_barrier
	buffer_gl0_inv
	v_cmpx_lt_i32_e32 35, v252
	s_cbranch_execz .LBB116_755
; %bb.754:
	v_mul_f64 v[214:215], v[240:241], v[96:97]
	v_mul_f64 v[96:97], v[238:239], v[96:97]
	v_fma_f64 v[246:247], v[238:239], v[94:95], -v[214:215]
	v_fma_f64 v[96:97], v[240:241], v[94:95], v[96:97]
	ds_read2_b64 v[238:241], v1 offset0:72 offset1:73
	s_waitcnt lgkmcnt(0)
	v_mul_f64 v[94:95], v[240:241], v[96:97]
	v_mul_f64 v[214:215], v[238:239], v[96:97]
	v_fma_f64 v[94:95], v[238:239], v[246:247], -v[94:95]
	v_fma_f64 v[214:215], v[240:241], v[246:247], v[214:215]
	ds_read2_b64 v[238:241], v1 offset0:74 offset1:75
	v_add_f64 v[90:91], v[90:91], -v[94:95]
	v_add_f64 v[92:93], v[92:93], -v[214:215]
	s_waitcnt lgkmcnt(0)
	v_mul_f64 v[94:95], v[240:241], v[96:97]
	v_mul_f64 v[214:215], v[238:239], v[96:97]
	v_fma_f64 v[94:95], v[238:239], v[246:247], -v[94:95]
	v_fma_f64 v[214:215], v[240:241], v[246:247], v[214:215]
	ds_read2_b64 v[238:241], v1 offset0:76 offset1:77
	v_add_f64 v[86:87], v[86:87], -v[94:95]
	v_add_f64 v[88:89], v[88:89], -v[214:215]
	;; [unrolled: 8-line block ×22, first 2 shown]
	s_waitcnt lgkmcnt(0)
	v_mul_f64 v[94:95], v[240:241], v[96:97]
	v_mul_f64 v[214:215], v[238:239], v[96:97]
	v_fma_f64 v[94:95], v[238:239], v[246:247], -v[94:95]
	v_fma_f64 v[214:215], v[240:241], v[246:247], v[214:215]
	v_add_f64 v[226:227], v[226:227], -v[94:95]
	v_add_f64 v[228:229], v[228:229], -v[214:215]
	v_mov_b32_e32 v94, v246
	v_mov_b32_e32 v95, v247
.LBB116_755:
	s_or_b32 exec_lo, exec_lo, s0
	v_lshl_add_u32 v214, v252, 4, v1
	s_barrier
	buffer_gl0_inv
	v_mov_b32_e32 v246, 36
	ds_write2_b64 v214, v[90:91], v[92:93] offset1:1
	s_waitcnt lgkmcnt(0)
	s_barrier
	buffer_gl0_inv
	ds_read2_b64 v[238:241], v1 offset0:72 offset1:73
	s_cmp_lt_i32 s8, 38
	s_cbranch_scc1 .LBB116_758
; %bb.756:
	v_add3_u32 v247, v248, 0, 0x250
	v_mov_b32_e32 v246, 36
	s_mov_b32 s0, 37
	s_inst_prefetch 0x1
	.p2align	6
.LBB116_757:                            ; =>This Inner Loop Header: Depth=1
	s_waitcnt lgkmcnt(0)
	v_cmp_gt_f64_e32 vcc_lo, 0, v[238:239]
	v_xor_b32_e32 v214, 0x80000000, v239
	ds_read2_b64 v[242:245], v247 offset1:1
	v_xor_b32_e32 v216, 0x80000000, v241
	v_add_nc_u32_e32 v247, 16, v247
	s_waitcnt lgkmcnt(0)
	v_xor_b32_e32 v218, 0x80000000, v245
	v_cndmask_b32_e32 v215, v239, v214, vcc_lo
	v_cmp_gt_f64_e32 vcc_lo, 0, v[240:241]
	v_mov_b32_e32 v214, v238
	v_cndmask_b32_e32 v217, v241, v216, vcc_lo
	v_cmp_gt_f64_e32 vcc_lo, 0, v[242:243]
	v_mov_b32_e32 v216, v240
	v_add_f64 v[214:215], v[214:215], v[216:217]
	v_xor_b32_e32 v216, 0x80000000, v243
	v_cndmask_b32_e32 v217, v243, v216, vcc_lo
	v_cmp_gt_f64_e32 vcc_lo, 0, v[244:245]
	v_mov_b32_e32 v216, v242
	v_cndmask_b32_e32 v219, v245, v218, vcc_lo
	v_mov_b32_e32 v218, v244
	v_add_f64 v[216:217], v[216:217], v[218:219]
	v_cmp_lt_f64_e32 vcc_lo, v[214:215], v[216:217]
	v_cndmask_b32_e32 v239, v239, v243, vcc_lo
	v_cndmask_b32_e32 v238, v238, v242, vcc_lo
	;; [unrolled: 1-line block ×4, first 2 shown]
	v_cndmask_b32_e64 v246, v246, s0, vcc_lo
	s_add_i32 s0, s0, 1
	s_cmp_lg_u32 s8, s0
	s_cbranch_scc1 .LBB116_757
.LBB116_758:
	s_inst_prefetch 0x2
	s_waitcnt lgkmcnt(0)
	v_cmp_eq_f64_e32 vcc_lo, 0, v[238:239]
	v_cmp_eq_f64_e64 s0, 0, v[240:241]
	s_and_b32 s0, vcc_lo, s0
	s_and_saveexec_b32 s1, s0
	s_xor_b32 s0, exec_lo, s1
; %bb.759:
	v_cmp_ne_u32_e32 vcc_lo, 0, v251
	v_cndmask_b32_e32 v251, 37, v251, vcc_lo
; %bb.760:
	s_andn2_saveexec_b32 s0, s0
	s_cbranch_execz .LBB116_766
; %bb.761:
	v_cmp_ngt_f64_e64 s1, |v[238:239]|, |v[240:241]|
	s_and_saveexec_b32 s7, s1
	s_xor_b32 s1, exec_lo, s7
	s_cbranch_execz .LBB116_763
; %bb.762:
	v_div_scale_f64 v[214:215], null, v[240:241], v[240:241], v[238:239]
	v_div_scale_f64 v[220:221], vcc_lo, v[238:239], v[240:241], v[238:239]
	v_rcp_f64_e32 v[216:217], v[214:215]
	v_fma_f64 v[218:219], -v[214:215], v[216:217], 1.0
	v_fma_f64 v[216:217], v[216:217], v[218:219], v[216:217]
	v_fma_f64 v[218:219], -v[214:215], v[216:217], 1.0
	v_fma_f64 v[216:217], v[216:217], v[218:219], v[216:217]
	v_mul_f64 v[218:219], v[220:221], v[216:217]
	v_fma_f64 v[214:215], -v[214:215], v[218:219], v[220:221]
	v_div_fmas_f64 v[214:215], v[214:215], v[216:217], v[218:219]
	v_div_fixup_f64 v[214:215], v[214:215], v[240:241], v[238:239]
	v_fma_f64 v[216:217], v[238:239], v[214:215], v[240:241]
	v_div_scale_f64 v[218:219], null, v[216:217], v[216:217], 1.0
	v_rcp_f64_e32 v[220:221], v[218:219]
	v_fma_f64 v[222:223], -v[218:219], v[220:221], 1.0
	v_fma_f64 v[220:221], v[220:221], v[222:223], v[220:221]
	v_fma_f64 v[222:223], -v[218:219], v[220:221], 1.0
	v_fma_f64 v[220:221], v[220:221], v[222:223], v[220:221]
	v_div_scale_f64 v[222:223], vcc_lo, 1.0, v[216:217], 1.0
	v_mul_f64 v[224:225], v[222:223], v[220:221]
	v_fma_f64 v[218:219], -v[218:219], v[224:225], v[222:223]
	v_div_fmas_f64 v[218:219], v[218:219], v[220:221], v[224:225]
	v_div_fixup_f64 v[240:241], v[218:219], v[216:217], 1.0
	v_mul_f64 v[238:239], v[214:215], v[240:241]
	v_xor_b32_e32 v241, 0x80000000, v241
.LBB116_763:
	s_andn2_saveexec_b32 s1, s1
	s_cbranch_execz .LBB116_765
; %bb.764:
	v_div_scale_f64 v[214:215], null, v[238:239], v[238:239], v[240:241]
	v_div_scale_f64 v[220:221], vcc_lo, v[240:241], v[238:239], v[240:241]
	v_rcp_f64_e32 v[216:217], v[214:215]
	v_fma_f64 v[218:219], -v[214:215], v[216:217], 1.0
	v_fma_f64 v[216:217], v[216:217], v[218:219], v[216:217]
	v_fma_f64 v[218:219], -v[214:215], v[216:217], 1.0
	v_fma_f64 v[216:217], v[216:217], v[218:219], v[216:217]
	v_mul_f64 v[218:219], v[220:221], v[216:217]
	v_fma_f64 v[214:215], -v[214:215], v[218:219], v[220:221]
	v_div_fmas_f64 v[214:215], v[214:215], v[216:217], v[218:219]
	v_div_fixup_f64 v[214:215], v[214:215], v[238:239], v[240:241]
	v_fma_f64 v[216:217], v[240:241], v[214:215], v[238:239]
	v_div_scale_f64 v[218:219], null, v[216:217], v[216:217], 1.0
	v_rcp_f64_e32 v[220:221], v[218:219]
	v_fma_f64 v[222:223], -v[218:219], v[220:221], 1.0
	v_fma_f64 v[220:221], v[220:221], v[222:223], v[220:221]
	v_fma_f64 v[222:223], -v[218:219], v[220:221], 1.0
	v_fma_f64 v[220:221], v[220:221], v[222:223], v[220:221]
	v_div_scale_f64 v[222:223], vcc_lo, 1.0, v[216:217], 1.0
	v_mul_f64 v[224:225], v[222:223], v[220:221]
	v_fma_f64 v[218:219], -v[218:219], v[224:225], v[222:223]
	v_div_fmas_f64 v[218:219], v[218:219], v[220:221], v[224:225]
	v_div_fixup_f64 v[238:239], v[218:219], v[216:217], 1.0
	v_mul_f64 v[240:241], v[214:215], -v[238:239]
.LBB116_765:
	s_or_b32 exec_lo, exec_lo, s1
.LBB116_766:
	s_or_b32 exec_lo, exec_lo, s0
	s_mov_b32 s0, exec_lo
	v_cmpx_ne_u32_e64 v252, v246
	s_xor_b32 s0, exec_lo, s0
	s_cbranch_execz .LBB116_772
; %bb.767:
	s_mov_b32 s1, exec_lo
	v_cmpx_eq_u32_e32 36, v252
	s_cbranch_execz .LBB116_771
; %bb.768:
	v_cmp_ne_u32_e32 vcc_lo, 36, v246
	s_xor_b32 s7, s16, -1
	s_and_b32 s9, s7, vcc_lo
	s_and_saveexec_b32 s7, s9
	s_cbranch_execz .LBB116_770
; %bb.769:
	s_clause 0x1
	buffer_load_dword v210, off, s[20:23], 0 offset:16
	buffer_load_dword v211, off, s[20:23], 0 offset:20
	v_ashrrev_i32_e32 v247, 31, v246
	v_lshlrev_b64 v[214:215], 2, v[246:247]
	s_waitcnt vmcnt(1)
	v_add_co_u32 v214, vcc_lo, v210, v214
	s_waitcnt vmcnt(0)
	v_add_co_ci_u32_e64 v215, null, v211, v215, vcc_lo
	s_clause 0x1
	global_load_dword v0, v[214:215], off
	global_load_dword v216, v[210:211], off offset:144
	s_waitcnt vmcnt(1)
	global_store_dword v[210:211], v0, off offset:144
	s_waitcnt vmcnt(0)
	global_store_dword v[214:215], v216, off
.LBB116_770:
	s_or_b32 exec_lo, exec_lo, s7
	v_mov_b32_e32 v252, v246
	v_mov_b32_e32 v0, v246
.LBB116_771:
	s_or_b32 exec_lo, exec_lo, s1
.LBB116_772:
	s_andn2_saveexec_b32 s0, s0
	s_cbranch_execz .LBB116_774
; %bb.773:
	v_mov_b32_e32 v252, 36
	ds_write2_b64 v1, v[86:87], v[88:89] offset0:74 offset1:75
	ds_write2_b64 v1, v[82:83], v[84:85] offset0:76 offset1:77
	;; [unrolled: 1-line block ×22, first 2 shown]
.LBB116_774:
	s_or_b32 exec_lo, exec_lo, s0
	s_mov_b32 s0, exec_lo
	s_waitcnt lgkmcnt(0)
	s_waitcnt_vscnt null, 0x0
	s_barrier
	buffer_gl0_inv
	v_cmpx_lt_i32_e32 36, v252
	s_cbranch_execz .LBB116_776
; %bb.775:
	v_mul_f64 v[214:215], v[240:241], v[92:93]
	v_mul_f64 v[92:93], v[238:239], v[92:93]
	v_fma_f64 v[246:247], v[238:239], v[90:91], -v[214:215]
	v_fma_f64 v[92:93], v[240:241], v[90:91], v[92:93]
	ds_read2_b64 v[238:241], v1 offset0:74 offset1:75
	s_waitcnt lgkmcnt(0)
	v_mul_f64 v[90:91], v[240:241], v[92:93]
	v_mul_f64 v[214:215], v[238:239], v[92:93]
	v_fma_f64 v[90:91], v[238:239], v[246:247], -v[90:91]
	v_fma_f64 v[214:215], v[240:241], v[246:247], v[214:215]
	ds_read2_b64 v[238:241], v1 offset0:76 offset1:77
	v_add_f64 v[86:87], v[86:87], -v[90:91]
	v_add_f64 v[88:89], v[88:89], -v[214:215]
	s_waitcnt lgkmcnt(0)
	v_mul_f64 v[90:91], v[240:241], v[92:93]
	v_mul_f64 v[214:215], v[238:239], v[92:93]
	v_fma_f64 v[90:91], v[238:239], v[246:247], -v[90:91]
	v_fma_f64 v[214:215], v[240:241], v[246:247], v[214:215]
	ds_read2_b64 v[238:241], v1 offset0:78 offset1:79
	v_add_f64 v[82:83], v[82:83], -v[90:91]
	v_add_f64 v[84:85], v[84:85], -v[214:215]
	;; [unrolled: 8-line block ×21, first 2 shown]
	s_waitcnt lgkmcnt(0)
	v_mul_f64 v[90:91], v[240:241], v[92:93]
	v_mul_f64 v[214:215], v[238:239], v[92:93]
	v_fma_f64 v[90:91], v[238:239], v[246:247], -v[90:91]
	v_fma_f64 v[214:215], v[240:241], v[246:247], v[214:215]
	v_add_f64 v[226:227], v[226:227], -v[90:91]
	v_add_f64 v[228:229], v[228:229], -v[214:215]
	v_mov_b32_e32 v90, v246
	v_mov_b32_e32 v91, v247
.LBB116_776:
	s_or_b32 exec_lo, exec_lo, s0
	v_lshl_add_u32 v214, v252, 4, v1
	s_barrier
	buffer_gl0_inv
	v_mov_b32_e32 v246, 37
	ds_write2_b64 v214, v[86:87], v[88:89] offset1:1
	s_waitcnt lgkmcnt(0)
	s_barrier
	buffer_gl0_inv
	ds_read2_b64 v[238:241], v1 offset0:74 offset1:75
	s_cmp_lt_i32 s8, 39
	s_cbranch_scc1 .LBB116_779
; %bb.777:
	v_add3_u32 v247, v248, 0, 0x260
	v_mov_b32_e32 v246, 37
	s_mov_b32 s0, 38
	s_inst_prefetch 0x1
	.p2align	6
.LBB116_778:                            ; =>This Inner Loop Header: Depth=1
	s_waitcnt lgkmcnt(0)
	v_cmp_gt_f64_e32 vcc_lo, 0, v[238:239]
	v_xor_b32_e32 v214, 0x80000000, v239
	ds_read2_b64 v[242:245], v247 offset1:1
	v_xor_b32_e32 v216, 0x80000000, v241
	v_add_nc_u32_e32 v247, 16, v247
	s_waitcnt lgkmcnt(0)
	v_xor_b32_e32 v218, 0x80000000, v245
	v_cndmask_b32_e32 v215, v239, v214, vcc_lo
	v_cmp_gt_f64_e32 vcc_lo, 0, v[240:241]
	v_mov_b32_e32 v214, v238
	v_cndmask_b32_e32 v217, v241, v216, vcc_lo
	v_cmp_gt_f64_e32 vcc_lo, 0, v[242:243]
	v_mov_b32_e32 v216, v240
	v_add_f64 v[214:215], v[214:215], v[216:217]
	v_xor_b32_e32 v216, 0x80000000, v243
	v_cndmask_b32_e32 v217, v243, v216, vcc_lo
	v_cmp_gt_f64_e32 vcc_lo, 0, v[244:245]
	v_mov_b32_e32 v216, v242
	v_cndmask_b32_e32 v219, v245, v218, vcc_lo
	v_mov_b32_e32 v218, v244
	v_add_f64 v[216:217], v[216:217], v[218:219]
	v_cmp_lt_f64_e32 vcc_lo, v[214:215], v[216:217]
	v_cndmask_b32_e32 v239, v239, v243, vcc_lo
	v_cndmask_b32_e32 v238, v238, v242, vcc_lo
	;; [unrolled: 1-line block ×4, first 2 shown]
	v_cndmask_b32_e64 v246, v246, s0, vcc_lo
	s_add_i32 s0, s0, 1
	s_cmp_lg_u32 s8, s0
	s_cbranch_scc1 .LBB116_778
.LBB116_779:
	s_inst_prefetch 0x2
	s_waitcnt lgkmcnt(0)
	v_cmp_eq_f64_e32 vcc_lo, 0, v[238:239]
	v_cmp_eq_f64_e64 s0, 0, v[240:241]
	s_and_b32 s0, vcc_lo, s0
	s_and_saveexec_b32 s1, s0
	s_xor_b32 s0, exec_lo, s1
; %bb.780:
	v_cmp_ne_u32_e32 vcc_lo, 0, v251
	v_cndmask_b32_e32 v251, 38, v251, vcc_lo
; %bb.781:
	s_andn2_saveexec_b32 s0, s0
	s_cbranch_execz .LBB116_787
; %bb.782:
	v_cmp_ngt_f64_e64 s1, |v[238:239]|, |v[240:241]|
	s_and_saveexec_b32 s7, s1
	s_xor_b32 s1, exec_lo, s7
	s_cbranch_execz .LBB116_784
; %bb.783:
	v_div_scale_f64 v[214:215], null, v[240:241], v[240:241], v[238:239]
	v_div_scale_f64 v[220:221], vcc_lo, v[238:239], v[240:241], v[238:239]
	v_rcp_f64_e32 v[216:217], v[214:215]
	v_fma_f64 v[218:219], -v[214:215], v[216:217], 1.0
	v_fma_f64 v[216:217], v[216:217], v[218:219], v[216:217]
	v_fma_f64 v[218:219], -v[214:215], v[216:217], 1.0
	v_fma_f64 v[216:217], v[216:217], v[218:219], v[216:217]
	v_mul_f64 v[218:219], v[220:221], v[216:217]
	v_fma_f64 v[214:215], -v[214:215], v[218:219], v[220:221]
	v_div_fmas_f64 v[214:215], v[214:215], v[216:217], v[218:219]
	v_div_fixup_f64 v[214:215], v[214:215], v[240:241], v[238:239]
	v_fma_f64 v[216:217], v[238:239], v[214:215], v[240:241]
	v_div_scale_f64 v[218:219], null, v[216:217], v[216:217], 1.0
	v_rcp_f64_e32 v[220:221], v[218:219]
	v_fma_f64 v[222:223], -v[218:219], v[220:221], 1.0
	v_fma_f64 v[220:221], v[220:221], v[222:223], v[220:221]
	v_fma_f64 v[222:223], -v[218:219], v[220:221], 1.0
	v_fma_f64 v[220:221], v[220:221], v[222:223], v[220:221]
	v_div_scale_f64 v[222:223], vcc_lo, 1.0, v[216:217], 1.0
	v_mul_f64 v[224:225], v[222:223], v[220:221]
	v_fma_f64 v[218:219], -v[218:219], v[224:225], v[222:223]
	v_div_fmas_f64 v[218:219], v[218:219], v[220:221], v[224:225]
	v_div_fixup_f64 v[240:241], v[218:219], v[216:217], 1.0
	v_mul_f64 v[238:239], v[214:215], v[240:241]
	v_xor_b32_e32 v241, 0x80000000, v241
.LBB116_784:
	s_andn2_saveexec_b32 s1, s1
	s_cbranch_execz .LBB116_786
; %bb.785:
	v_div_scale_f64 v[214:215], null, v[238:239], v[238:239], v[240:241]
	v_div_scale_f64 v[220:221], vcc_lo, v[240:241], v[238:239], v[240:241]
	v_rcp_f64_e32 v[216:217], v[214:215]
	v_fma_f64 v[218:219], -v[214:215], v[216:217], 1.0
	v_fma_f64 v[216:217], v[216:217], v[218:219], v[216:217]
	v_fma_f64 v[218:219], -v[214:215], v[216:217], 1.0
	v_fma_f64 v[216:217], v[216:217], v[218:219], v[216:217]
	v_mul_f64 v[218:219], v[220:221], v[216:217]
	v_fma_f64 v[214:215], -v[214:215], v[218:219], v[220:221]
	v_div_fmas_f64 v[214:215], v[214:215], v[216:217], v[218:219]
	v_div_fixup_f64 v[214:215], v[214:215], v[238:239], v[240:241]
	v_fma_f64 v[216:217], v[240:241], v[214:215], v[238:239]
	v_div_scale_f64 v[218:219], null, v[216:217], v[216:217], 1.0
	v_rcp_f64_e32 v[220:221], v[218:219]
	v_fma_f64 v[222:223], -v[218:219], v[220:221], 1.0
	v_fma_f64 v[220:221], v[220:221], v[222:223], v[220:221]
	v_fma_f64 v[222:223], -v[218:219], v[220:221], 1.0
	v_fma_f64 v[220:221], v[220:221], v[222:223], v[220:221]
	v_div_scale_f64 v[222:223], vcc_lo, 1.0, v[216:217], 1.0
	v_mul_f64 v[224:225], v[222:223], v[220:221]
	v_fma_f64 v[218:219], -v[218:219], v[224:225], v[222:223]
	v_div_fmas_f64 v[218:219], v[218:219], v[220:221], v[224:225]
	v_div_fixup_f64 v[238:239], v[218:219], v[216:217], 1.0
	v_mul_f64 v[240:241], v[214:215], -v[238:239]
.LBB116_786:
	s_or_b32 exec_lo, exec_lo, s1
.LBB116_787:
	s_or_b32 exec_lo, exec_lo, s0
	s_mov_b32 s0, exec_lo
	v_cmpx_ne_u32_e64 v252, v246
	s_xor_b32 s0, exec_lo, s0
	s_cbranch_execz .LBB116_793
; %bb.788:
	s_mov_b32 s1, exec_lo
	v_cmpx_eq_u32_e32 37, v252
	s_cbranch_execz .LBB116_792
; %bb.789:
	v_cmp_ne_u32_e32 vcc_lo, 37, v246
	s_xor_b32 s7, s16, -1
	s_and_b32 s9, s7, vcc_lo
	s_and_saveexec_b32 s7, s9
	s_cbranch_execz .LBB116_791
; %bb.790:
	s_clause 0x1
	buffer_load_dword v210, off, s[20:23], 0 offset:16
	buffer_load_dword v211, off, s[20:23], 0 offset:20
	v_ashrrev_i32_e32 v247, 31, v246
	v_lshlrev_b64 v[214:215], 2, v[246:247]
	s_waitcnt vmcnt(1)
	v_add_co_u32 v214, vcc_lo, v210, v214
	s_waitcnt vmcnt(0)
	v_add_co_ci_u32_e64 v215, null, v211, v215, vcc_lo
	s_clause 0x1
	global_load_dword v0, v[214:215], off
	global_load_dword v216, v[210:211], off offset:148
	s_waitcnt vmcnt(1)
	global_store_dword v[210:211], v0, off offset:148
	s_waitcnt vmcnt(0)
	global_store_dword v[214:215], v216, off
.LBB116_791:
	s_or_b32 exec_lo, exec_lo, s7
	v_mov_b32_e32 v252, v246
	v_mov_b32_e32 v0, v246
.LBB116_792:
	s_or_b32 exec_lo, exec_lo, s1
.LBB116_793:
	s_andn2_saveexec_b32 s0, s0
	s_cbranch_execz .LBB116_795
; %bb.794:
	v_mov_b32_e32 v252, 37
	ds_write2_b64 v1, v[82:83], v[84:85] offset0:76 offset1:77
	ds_write2_b64 v1, v[78:79], v[80:81] offset0:78 offset1:79
	;; [unrolled: 1-line block ×21, first 2 shown]
.LBB116_795:
	s_or_b32 exec_lo, exec_lo, s0
	s_mov_b32 s0, exec_lo
	s_waitcnt lgkmcnt(0)
	s_waitcnt_vscnt null, 0x0
	s_barrier
	buffer_gl0_inv
	v_cmpx_lt_i32_e32 37, v252
	s_cbranch_execz .LBB116_797
; %bb.796:
	v_mul_f64 v[214:215], v[240:241], v[88:89]
	v_mul_f64 v[88:89], v[238:239], v[88:89]
	v_fma_f64 v[246:247], v[238:239], v[86:87], -v[214:215]
	v_fma_f64 v[88:89], v[240:241], v[86:87], v[88:89]
	ds_read2_b64 v[238:241], v1 offset0:76 offset1:77
	s_waitcnt lgkmcnt(0)
	v_mul_f64 v[86:87], v[240:241], v[88:89]
	v_mul_f64 v[214:215], v[238:239], v[88:89]
	v_fma_f64 v[86:87], v[238:239], v[246:247], -v[86:87]
	v_fma_f64 v[214:215], v[240:241], v[246:247], v[214:215]
	ds_read2_b64 v[238:241], v1 offset0:78 offset1:79
	v_add_f64 v[82:83], v[82:83], -v[86:87]
	v_add_f64 v[84:85], v[84:85], -v[214:215]
	s_waitcnt lgkmcnt(0)
	v_mul_f64 v[86:87], v[240:241], v[88:89]
	v_mul_f64 v[214:215], v[238:239], v[88:89]
	v_fma_f64 v[86:87], v[238:239], v[246:247], -v[86:87]
	v_fma_f64 v[214:215], v[240:241], v[246:247], v[214:215]
	ds_read2_b64 v[238:241], v1 offset0:80 offset1:81
	v_add_f64 v[78:79], v[78:79], -v[86:87]
	v_add_f64 v[80:81], v[80:81], -v[214:215]
	;; [unrolled: 8-line block ×20, first 2 shown]
	s_waitcnt lgkmcnt(0)
	v_mul_f64 v[86:87], v[240:241], v[88:89]
	v_mul_f64 v[214:215], v[238:239], v[88:89]
	v_fma_f64 v[86:87], v[238:239], v[246:247], -v[86:87]
	v_fma_f64 v[214:215], v[240:241], v[246:247], v[214:215]
	v_add_f64 v[226:227], v[226:227], -v[86:87]
	v_add_f64 v[228:229], v[228:229], -v[214:215]
	v_mov_b32_e32 v86, v246
	v_mov_b32_e32 v87, v247
.LBB116_797:
	s_or_b32 exec_lo, exec_lo, s0
	v_lshl_add_u32 v214, v252, 4, v1
	s_barrier
	buffer_gl0_inv
	v_mov_b32_e32 v246, 38
	ds_write2_b64 v214, v[82:83], v[84:85] offset1:1
	s_waitcnt lgkmcnt(0)
	s_barrier
	buffer_gl0_inv
	ds_read2_b64 v[238:241], v1 offset0:76 offset1:77
	s_cmp_lt_i32 s8, 40
	s_cbranch_scc1 .LBB116_800
; %bb.798:
	v_add3_u32 v247, v248, 0, 0x270
	v_mov_b32_e32 v246, 38
	s_mov_b32 s0, 39
	s_inst_prefetch 0x1
	.p2align	6
.LBB116_799:                            ; =>This Inner Loop Header: Depth=1
	s_waitcnt lgkmcnt(0)
	v_cmp_gt_f64_e32 vcc_lo, 0, v[238:239]
	v_xor_b32_e32 v214, 0x80000000, v239
	ds_read2_b64 v[242:245], v247 offset1:1
	v_xor_b32_e32 v216, 0x80000000, v241
	v_add_nc_u32_e32 v247, 16, v247
	s_waitcnt lgkmcnt(0)
	v_xor_b32_e32 v218, 0x80000000, v245
	v_cndmask_b32_e32 v215, v239, v214, vcc_lo
	v_cmp_gt_f64_e32 vcc_lo, 0, v[240:241]
	v_mov_b32_e32 v214, v238
	v_cndmask_b32_e32 v217, v241, v216, vcc_lo
	v_cmp_gt_f64_e32 vcc_lo, 0, v[242:243]
	v_mov_b32_e32 v216, v240
	v_add_f64 v[214:215], v[214:215], v[216:217]
	v_xor_b32_e32 v216, 0x80000000, v243
	v_cndmask_b32_e32 v217, v243, v216, vcc_lo
	v_cmp_gt_f64_e32 vcc_lo, 0, v[244:245]
	v_mov_b32_e32 v216, v242
	v_cndmask_b32_e32 v219, v245, v218, vcc_lo
	v_mov_b32_e32 v218, v244
	v_add_f64 v[216:217], v[216:217], v[218:219]
	v_cmp_lt_f64_e32 vcc_lo, v[214:215], v[216:217]
	v_cndmask_b32_e32 v239, v239, v243, vcc_lo
	v_cndmask_b32_e32 v238, v238, v242, vcc_lo
	;; [unrolled: 1-line block ×4, first 2 shown]
	v_cndmask_b32_e64 v246, v246, s0, vcc_lo
	s_add_i32 s0, s0, 1
	s_cmp_lg_u32 s8, s0
	s_cbranch_scc1 .LBB116_799
.LBB116_800:
	s_inst_prefetch 0x2
	s_waitcnt lgkmcnt(0)
	v_cmp_eq_f64_e32 vcc_lo, 0, v[238:239]
	v_cmp_eq_f64_e64 s0, 0, v[240:241]
	s_and_b32 s0, vcc_lo, s0
	s_and_saveexec_b32 s1, s0
	s_xor_b32 s0, exec_lo, s1
; %bb.801:
	v_cmp_ne_u32_e32 vcc_lo, 0, v251
	v_cndmask_b32_e32 v251, 39, v251, vcc_lo
; %bb.802:
	s_andn2_saveexec_b32 s0, s0
	s_cbranch_execz .LBB116_808
; %bb.803:
	v_cmp_ngt_f64_e64 s1, |v[238:239]|, |v[240:241]|
	s_and_saveexec_b32 s7, s1
	s_xor_b32 s1, exec_lo, s7
	s_cbranch_execz .LBB116_805
; %bb.804:
	v_div_scale_f64 v[214:215], null, v[240:241], v[240:241], v[238:239]
	v_div_scale_f64 v[220:221], vcc_lo, v[238:239], v[240:241], v[238:239]
	v_rcp_f64_e32 v[216:217], v[214:215]
	v_fma_f64 v[218:219], -v[214:215], v[216:217], 1.0
	v_fma_f64 v[216:217], v[216:217], v[218:219], v[216:217]
	v_fma_f64 v[218:219], -v[214:215], v[216:217], 1.0
	v_fma_f64 v[216:217], v[216:217], v[218:219], v[216:217]
	v_mul_f64 v[218:219], v[220:221], v[216:217]
	v_fma_f64 v[214:215], -v[214:215], v[218:219], v[220:221]
	v_div_fmas_f64 v[214:215], v[214:215], v[216:217], v[218:219]
	v_div_fixup_f64 v[214:215], v[214:215], v[240:241], v[238:239]
	v_fma_f64 v[216:217], v[238:239], v[214:215], v[240:241]
	v_div_scale_f64 v[218:219], null, v[216:217], v[216:217], 1.0
	v_rcp_f64_e32 v[220:221], v[218:219]
	v_fma_f64 v[222:223], -v[218:219], v[220:221], 1.0
	v_fma_f64 v[220:221], v[220:221], v[222:223], v[220:221]
	v_fma_f64 v[222:223], -v[218:219], v[220:221], 1.0
	v_fma_f64 v[220:221], v[220:221], v[222:223], v[220:221]
	v_div_scale_f64 v[222:223], vcc_lo, 1.0, v[216:217], 1.0
	v_mul_f64 v[224:225], v[222:223], v[220:221]
	v_fma_f64 v[218:219], -v[218:219], v[224:225], v[222:223]
	v_div_fmas_f64 v[218:219], v[218:219], v[220:221], v[224:225]
	v_div_fixup_f64 v[240:241], v[218:219], v[216:217], 1.0
	v_mul_f64 v[238:239], v[214:215], v[240:241]
	v_xor_b32_e32 v241, 0x80000000, v241
.LBB116_805:
	s_andn2_saveexec_b32 s1, s1
	s_cbranch_execz .LBB116_807
; %bb.806:
	v_div_scale_f64 v[214:215], null, v[238:239], v[238:239], v[240:241]
	v_div_scale_f64 v[220:221], vcc_lo, v[240:241], v[238:239], v[240:241]
	v_rcp_f64_e32 v[216:217], v[214:215]
	v_fma_f64 v[218:219], -v[214:215], v[216:217], 1.0
	v_fma_f64 v[216:217], v[216:217], v[218:219], v[216:217]
	v_fma_f64 v[218:219], -v[214:215], v[216:217], 1.0
	v_fma_f64 v[216:217], v[216:217], v[218:219], v[216:217]
	v_mul_f64 v[218:219], v[220:221], v[216:217]
	v_fma_f64 v[214:215], -v[214:215], v[218:219], v[220:221]
	v_div_fmas_f64 v[214:215], v[214:215], v[216:217], v[218:219]
	v_div_fixup_f64 v[214:215], v[214:215], v[238:239], v[240:241]
	v_fma_f64 v[216:217], v[240:241], v[214:215], v[238:239]
	v_div_scale_f64 v[218:219], null, v[216:217], v[216:217], 1.0
	v_rcp_f64_e32 v[220:221], v[218:219]
	v_fma_f64 v[222:223], -v[218:219], v[220:221], 1.0
	v_fma_f64 v[220:221], v[220:221], v[222:223], v[220:221]
	v_fma_f64 v[222:223], -v[218:219], v[220:221], 1.0
	v_fma_f64 v[220:221], v[220:221], v[222:223], v[220:221]
	v_div_scale_f64 v[222:223], vcc_lo, 1.0, v[216:217], 1.0
	v_mul_f64 v[224:225], v[222:223], v[220:221]
	v_fma_f64 v[218:219], -v[218:219], v[224:225], v[222:223]
	v_div_fmas_f64 v[218:219], v[218:219], v[220:221], v[224:225]
	v_div_fixup_f64 v[238:239], v[218:219], v[216:217], 1.0
	v_mul_f64 v[240:241], v[214:215], -v[238:239]
.LBB116_807:
	s_or_b32 exec_lo, exec_lo, s1
.LBB116_808:
	s_or_b32 exec_lo, exec_lo, s0
	s_mov_b32 s0, exec_lo
	v_cmpx_ne_u32_e64 v252, v246
	s_xor_b32 s0, exec_lo, s0
	s_cbranch_execz .LBB116_814
; %bb.809:
	s_mov_b32 s1, exec_lo
	v_cmpx_eq_u32_e32 38, v252
	s_cbranch_execz .LBB116_813
; %bb.810:
	v_cmp_ne_u32_e32 vcc_lo, 38, v246
	s_xor_b32 s7, s16, -1
	s_and_b32 s9, s7, vcc_lo
	s_and_saveexec_b32 s7, s9
	s_cbranch_execz .LBB116_812
; %bb.811:
	s_clause 0x1
	buffer_load_dword v210, off, s[20:23], 0 offset:16
	buffer_load_dword v211, off, s[20:23], 0 offset:20
	v_ashrrev_i32_e32 v247, 31, v246
	v_lshlrev_b64 v[214:215], 2, v[246:247]
	s_waitcnt vmcnt(1)
	v_add_co_u32 v214, vcc_lo, v210, v214
	s_waitcnt vmcnt(0)
	v_add_co_ci_u32_e64 v215, null, v211, v215, vcc_lo
	s_clause 0x1
	global_load_dword v0, v[214:215], off
	global_load_dword v216, v[210:211], off offset:152
	s_waitcnt vmcnt(1)
	global_store_dword v[210:211], v0, off offset:152
	s_waitcnt vmcnt(0)
	global_store_dword v[214:215], v216, off
.LBB116_812:
	s_or_b32 exec_lo, exec_lo, s7
	v_mov_b32_e32 v252, v246
	v_mov_b32_e32 v0, v246
.LBB116_813:
	s_or_b32 exec_lo, exec_lo, s1
.LBB116_814:
	s_andn2_saveexec_b32 s0, s0
	s_cbranch_execz .LBB116_816
; %bb.815:
	v_mov_b32_e32 v252, 38
	ds_write2_b64 v1, v[78:79], v[80:81] offset0:78 offset1:79
	ds_write2_b64 v1, v[74:75], v[76:77] offset0:80 offset1:81
	;; [unrolled: 1-line block ×20, first 2 shown]
.LBB116_816:
	s_or_b32 exec_lo, exec_lo, s0
	s_mov_b32 s0, exec_lo
	s_waitcnt lgkmcnt(0)
	s_waitcnt_vscnt null, 0x0
	s_barrier
	buffer_gl0_inv
	v_cmpx_lt_i32_e32 38, v252
	s_cbranch_execz .LBB116_818
; %bb.817:
	v_mul_f64 v[214:215], v[240:241], v[84:85]
	v_mul_f64 v[84:85], v[238:239], v[84:85]
	v_fma_f64 v[246:247], v[238:239], v[82:83], -v[214:215]
	v_fma_f64 v[84:85], v[240:241], v[82:83], v[84:85]
	ds_read2_b64 v[238:241], v1 offset0:78 offset1:79
	s_waitcnt lgkmcnt(0)
	v_mul_f64 v[82:83], v[240:241], v[84:85]
	v_mul_f64 v[214:215], v[238:239], v[84:85]
	v_fma_f64 v[82:83], v[238:239], v[246:247], -v[82:83]
	v_fma_f64 v[214:215], v[240:241], v[246:247], v[214:215]
	ds_read2_b64 v[238:241], v1 offset0:80 offset1:81
	v_add_f64 v[78:79], v[78:79], -v[82:83]
	v_add_f64 v[80:81], v[80:81], -v[214:215]
	s_waitcnt lgkmcnt(0)
	v_mul_f64 v[82:83], v[240:241], v[84:85]
	v_mul_f64 v[214:215], v[238:239], v[84:85]
	v_fma_f64 v[82:83], v[238:239], v[246:247], -v[82:83]
	v_fma_f64 v[214:215], v[240:241], v[246:247], v[214:215]
	ds_read2_b64 v[238:241], v1 offset0:82 offset1:83
	v_add_f64 v[74:75], v[74:75], -v[82:83]
	v_add_f64 v[76:77], v[76:77], -v[214:215]
	;; [unrolled: 8-line block ×19, first 2 shown]
	s_waitcnt lgkmcnt(0)
	v_mul_f64 v[82:83], v[240:241], v[84:85]
	v_mul_f64 v[214:215], v[238:239], v[84:85]
	v_fma_f64 v[82:83], v[238:239], v[246:247], -v[82:83]
	v_fma_f64 v[214:215], v[240:241], v[246:247], v[214:215]
	v_add_f64 v[226:227], v[226:227], -v[82:83]
	v_add_f64 v[228:229], v[228:229], -v[214:215]
	v_mov_b32_e32 v82, v246
	v_mov_b32_e32 v83, v247
.LBB116_818:
	s_or_b32 exec_lo, exec_lo, s0
	v_lshl_add_u32 v214, v252, 4, v1
	s_barrier
	buffer_gl0_inv
	v_mov_b32_e32 v246, 39
	ds_write2_b64 v214, v[78:79], v[80:81] offset1:1
	s_waitcnt lgkmcnt(0)
	s_barrier
	buffer_gl0_inv
	ds_read2_b64 v[238:241], v1 offset0:78 offset1:79
	s_cmp_lt_i32 s8, 41
	s_cbranch_scc1 .LBB116_821
; %bb.819:
	v_add3_u32 v247, v248, 0, 0x280
	v_mov_b32_e32 v246, 39
	s_mov_b32 s0, 40
	s_inst_prefetch 0x1
	.p2align	6
.LBB116_820:                            ; =>This Inner Loop Header: Depth=1
	s_waitcnt lgkmcnt(0)
	v_cmp_gt_f64_e32 vcc_lo, 0, v[238:239]
	v_xor_b32_e32 v214, 0x80000000, v239
	ds_read2_b64 v[242:245], v247 offset1:1
	v_xor_b32_e32 v216, 0x80000000, v241
	v_add_nc_u32_e32 v247, 16, v247
	s_waitcnt lgkmcnt(0)
	v_xor_b32_e32 v218, 0x80000000, v245
	v_cndmask_b32_e32 v215, v239, v214, vcc_lo
	v_cmp_gt_f64_e32 vcc_lo, 0, v[240:241]
	v_mov_b32_e32 v214, v238
	v_cndmask_b32_e32 v217, v241, v216, vcc_lo
	v_cmp_gt_f64_e32 vcc_lo, 0, v[242:243]
	v_mov_b32_e32 v216, v240
	v_add_f64 v[214:215], v[214:215], v[216:217]
	v_xor_b32_e32 v216, 0x80000000, v243
	v_cndmask_b32_e32 v217, v243, v216, vcc_lo
	v_cmp_gt_f64_e32 vcc_lo, 0, v[244:245]
	v_mov_b32_e32 v216, v242
	v_cndmask_b32_e32 v219, v245, v218, vcc_lo
	v_mov_b32_e32 v218, v244
	v_add_f64 v[216:217], v[216:217], v[218:219]
	v_cmp_lt_f64_e32 vcc_lo, v[214:215], v[216:217]
	v_cndmask_b32_e32 v239, v239, v243, vcc_lo
	v_cndmask_b32_e32 v238, v238, v242, vcc_lo
	;; [unrolled: 1-line block ×4, first 2 shown]
	v_cndmask_b32_e64 v246, v246, s0, vcc_lo
	s_add_i32 s0, s0, 1
	s_cmp_lg_u32 s8, s0
	s_cbranch_scc1 .LBB116_820
.LBB116_821:
	s_inst_prefetch 0x2
	s_waitcnt lgkmcnt(0)
	v_cmp_eq_f64_e32 vcc_lo, 0, v[238:239]
	v_cmp_eq_f64_e64 s0, 0, v[240:241]
	s_and_b32 s0, vcc_lo, s0
	s_and_saveexec_b32 s1, s0
	s_xor_b32 s0, exec_lo, s1
; %bb.822:
	v_cmp_ne_u32_e32 vcc_lo, 0, v251
	v_cndmask_b32_e32 v251, 40, v251, vcc_lo
; %bb.823:
	s_andn2_saveexec_b32 s0, s0
	s_cbranch_execz .LBB116_829
; %bb.824:
	v_cmp_ngt_f64_e64 s1, |v[238:239]|, |v[240:241]|
	s_and_saveexec_b32 s7, s1
	s_xor_b32 s1, exec_lo, s7
	s_cbranch_execz .LBB116_826
; %bb.825:
	v_div_scale_f64 v[214:215], null, v[240:241], v[240:241], v[238:239]
	v_div_scale_f64 v[220:221], vcc_lo, v[238:239], v[240:241], v[238:239]
	v_rcp_f64_e32 v[216:217], v[214:215]
	v_fma_f64 v[218:219], -v[214:215], v[216:217], 1.0
	v_fma_f64 v[216:217], v[216:217], v[218:219], v[216:217]
	v_fma_f64 v[218:219], -v[214:215], v[216:217], 1.0
	v_fma_f64 v[216:217], v[216:217], v[218:219], v[216:217]
	v_mul_f64 v[218:219], v[220:221], v[216:217]
	v_fma_f64 v[214:215], -v[214:215], v[218:219], v[220:221]
	v_div_fmas_f64 v[214:215], v[214:215], v[216:217], v[218:219]
	v_div_fixup_f64 v[214:215], v[214:215], v[240:241], v[238:239]
	v_fma_f64 v[216:217], v[238:239], v[214:215], v[240:241]
	v_div_scale_f64 v[218:219], null, v[216:217], v[216:217], 1.0
	v_rcp_f64_e32 v[220:221], v[218:219]
	v_fma_f64 v[222:223], -v[218:219], v[220:221], 1.0
	v_fma_f64 v[220:221], v[220:221], v[222:223], v[220:221]
	v_fma_f64 v[222:223], -v[218:219], v[220:221], 1.0
	v_fma_f64 v[220:221], v[220:221], v[222:223], v[220:221]
	v_div_scale_f64 v[222:223], vcc_lo, 1.0, v[216:217], 1.0
	v_mul_f64 v[224:225], v[222:223], v[220:221]
	v_fma_f64 v[218:219], -v[218:219], v[224:225], v[222:223]
	v_div_fmas_f64 v[218:219], v[218:219], v[220:221], v[224:225]
	v_div_fixup_f64 v[240:241], v[218:219], v[216:217], 1.0
	v_mul_f64 v[238:239], v[214:215], v[240:241]
	v_xor_b32_e32 v241, 0x80000000, v241
.LBB116_826:
	s_andn2_saveexec_b32 s1, s1
	s_cbranch_execz .LBB116_828
; %bb.827:
	v_div_scale_f64 v[214:215], null, v[238:239], v[238:239], v[240:241]
	v_div_scale_f64 v[220:221], vcc_lo, v[240:241], v[238:239], v[240:241]
	v_rcp_f64_e32 v[216:217], v[214:215]
	v_fma_f64 v[218:219], -v[214:215], v[216:217], 1.0
	v_fma_f64 v[216:217], v[216:217], v[218:219], v[216:217]
	v_fma_f64 v[218:219], -v[214:215], v[216:217], 1.0
	v_fma_f64 v[216:217], v[216:217], v[218:219], v[216:217]
	v_mul_f64 v[218:219], v[220:221], v[216:217]
	v_fma_f64 v[214:215], -v[214:215], v[218:219], v[220:221]
	v_div_fmas_f64 v[214:215], v[214:215], v[216:217], v[218:219]
	v_div_fixup_f64 v[214:215], v[214:215], v[238:239], v[240:241]
	v_fma_f64 v[216:217], v[240:241], v[214:215], v[238:239]
	v_div_scale_f64 v[218:219], null, v[216:217], v[216:217], 1.0
	v_rcp_f64_e32 v[220:221], v[218:219]
	v_fma_f64 v[222:223], -v[218:219], v[220:221], 1.0
	v_fma_f64 v[220:221], v[220:221], v[222:223], v[220:221]
	v_fma_f64 v[222:223], -v[218:219], v[220:221], 1.0
	v_fma_f64 v[220:221], v[220:221], v[222:223], v[220:221]
	v_div_scale_f64 v[222:223], vcc_lo, 1.0, v[216:217], 1.0
	v_mul_f64 v[224:225], v[222:223], v[220:221]
	v_fma_f64 v[218:219], -v[218:219], v[224:225], v[222:223]
	v_div_fmas_f64 v[218:219], v[218:219], v[220:221], v[224:225]
	v_div_fixup_f64 v[238:239], v[218:219], v[216:217], 1.0
	v_mul_f64 v[240:241], v[214:215], -v[238:239]
.LBB116_828:
	s_or_b32 exec_lo, exec_lo, s1
.LBB116_829:
	s_or_b32 exec_lo, exec_lo, s0
	s_mov_b32 s0, exec_lo
	v_cmpx_ne_u32_e64 v252, v246
	s_xor_b32 s0, exec_lo, s0
	s_cbranch_execz .LBB116_835
; %bb.830:
	s_mov_b32 s1, exec_lo
	v_cmpx_eq_u32_e32 39, v252
	s_cbranch_execz .LBB116_834
; %bb.831:
	v_cmp_ne_u32_e32 vcc_lo, 39, v246
	s_xor_b32 s7, s16, -1
	s_and_b32 s9, s7, vcc_lo
	s_and_saveexec_b32 s7, s9
	s_cbranch_execz .LBB116_833
; %bb.832:
	s_clause 0x1
	buffer_load_dword v210, off, s[20:23], 0 offset:16
	buffer_load_dword v211, off, s[20:23], 0 offset:20
	v_ashrrev_i32_e32 v247, 31, v246
	v_lshlrev_b64 v[214:215], 2, v[246:247]
	s_waitcnt vmcnt(1)
	v_add_co_u32 v214, vcc_lo, v210, v214
	s_waitcnt vmcnt(0)
	v_add_co_ci_u32_e64 v215, null, v211, v215, vcc_lo
	s_clause 0x1
	global_load_dword v0, v[214:215], off
	global_load_dword v216, v[210:211], off offset:156
	s_waitcnt vmcnt(1)
	global_store_dword v[210:211], v0, off offset:156
	s_waitcnt vmcnt(0)
	global_store_dword v[214:215], v216, off
.LBB116_833:
	s_or_b32 exec_lo, exec_lo, s7
	v_mov_b32_e32 v252, v246
	v_mov_b32_e32 v0, v246
.LBB116_834:
	s_or_b32 exec_lo, exec_lo, s1
.LBB116_835:
	s_andn2_saveexec_b32 s0, s0
	s_cbranch_execz .LBB116_837
; %bb.836:
	v_mov_b32_e32 v252, 39
	ds_write2_b64 v1, v[74:75], v[76:77] offset0:80 offset1:81
	ds_write2_b64 v1, v[70:71], v[72:73] offset0:82 offset1:83
	;; [unrolled: 1-line block ×19, first 2 shown]
.LBB116_837:
	s_or_b32 exec_lo, exec_lo, s0
	s_mov_b32 s0, exec_lo
	s_waitcnt lgkmcnt(0)
	s_waitcnt_vscnt null, 0x0
	s_barrier
	buffer_gl0_inv
	v_cmpx_lt_i32_e32 39, v252
	s_cbranch_execz .LBB116_839
; %bb.838:
	v_mul_f64 v[214:215], v[240:241], v[80:81]
	v_mul_f64 v[80:81], v[238:239], v[80:81]
	v_fma_f64 v[246:247], v[238:239], v[78:79], -v[214:215]
	v_fma_f64 v[80:81], v[240:241], v[78:79], v[80:81]
	ds_read2_b64 v[238:241], v1 offset0:80 offset1:81
	s_waitcnt lgkmcnt(0)
	v_mul_f64 v[78:79], v[240:241], v[80:81]
	v_mul_f64 v[214:215], v[238:239], v[80:81]
	v_fma_f64 v[78:79], v[238:239], v[246:247], -v[78:79]
	v_fma_f64 v[214:215], v[240:241], v[246:247], v[214:215]
	ds_read2_b64 v[238:241], v1 offset0:82 offset1:83
	v_add_f64 v[74:75], v[74:75], -v[78:79]
	v_add_f64 v[76:77], v[76:77], -v[214:215]
	s_waitcnt lgkmcnt(0)
	v_mul_f64 v[78:79], v[240:241], v[80:81]
	v_mul_f64 v[214:215], v[238:239], v[80:81]
	v_fma_f64 v[78:79], v[238:239], v[246:247], -v[78:79]
	v_fma_f64 v[214:215], v[240:241], v[246:247], v[214:215]
	ds_read2_b64 v[238:241], v1 offset0:84 offset1:85
	v_add_f64 v[70:71], v[70:71], -v[78:79]
	v_add_f64 v[72:73], v[72:73], -v[214:215]
	;; [unrolled: 8-line block ×18, first 2 shown]
	s_waitcnt lgkmcnt(0)
	v_mul_f64 v[78:79], v[240:241], v[80:81]
	v_mul_f64 v[214:215], v[238:239], v[80:81]
	v_fma_f64 v[78:79], v[238:239], v[246:247], -v[78:79]
	v_fma_f64 v[214:215], v[240:241], v[246:247], v[214:215]
	v_add_f64 v[226:227], v[226:227], -v[78:79]
	v_add_f64 v[228:229], v[228:229], -v[214:215]
	v_mov_b32_e32 v78, v246
	v_mov_b32_e32 v79, v247
.LBB116_839:
	s_or_b32 exec_lo, exec_lo, s0
	v_lshl_add_u32 v214, v252, 4, v1
	s_barrier
	buffer_gl0_inv
	v_mov_b32_e32 v246, 40
	ds_write2_b64 v214, v[74:75], v[76:77] offset1:1
	s_waitcnt lgkmcnt(0)
	s_barrier
	buffer_gl0_inv
	ds_read2_b64 v[238:241], v1 offset0:80 offset1:81
	s_cmp_lt_i32 s8, 42
	s_cbranch_scc1 .LBB116_842
; %bb.840:
	v_add3_u32 v247, v248, 0, 0x290
	v_mov_b32_e32 v246, 40
	s_mov_b32 s0, 41
	s_inst_prefetch 0x1
	.p2align	6
.LBB116_841:                            ; =>This Inner Loop Header: Depth=1
	s_waitcnt lgkmcnt(0)
	v_cmp_gt_f64_e32 vcc_lo, 0, v[238:239]
	v_xor_b32_e32 v214, 0x80000000, v239
	ds_read2_b64 v[242:245], v247 offset1:1
	v_xor_b32_e32 v216, 0x80000000, v241
	v_add_nc_u32_e32 v247, 16, v247
	s_waitcnt lgkmcnt(0)
	v_xor_b32_e32 v218, 0x80000000, v245
	v_cndmask_b32_e32 v215, v239, v214, vcc_lo
	v_cmp_gt_f64_e32 vcc_lo, 0, v[240:241]
	v_mov_b32_e32 v214, v238
	v_cndmask_b32_e32 v217, v241, v216, vcc_lo
	v_cmp_gt_f64_e32 vcc_lo, 0, v[242:243]
	v_mov_b32_e32 v216, v240
	v_add_f64 v[214:215], v[214:215], v[216:217]
	v_xor_b32_e32 v216, 0x80000000, v243
	v_cndmask_b32_e32 v217, v243, v216, vcc_lo
	v_cmp_gt_f64_e32 vcc_lo, 0, v[244:245]
	v_mov_b32_e32 v216, v242
	v_cndmask_b32_e32 v219, v245, v218, vcc_lo
	v_mov_b32_e32 v218, v244
	v_add_f64 v[216:217], v[216:217], v[218:219]
	v_cmp_lt_f64_e32 vcc_lo, v[214:215], v[216:217]
	v_cndmask_b32_e32 v239, v239, v243, vcc_lo
	v_cndmask_b32_e32 v238, v238, v242, vcc_lo
	;; [unrolled: 1-line block ×4, first 2 shown]
	v_cndmask_b32_e64 v246, v246, s0, vcc_lo
	s_add_i32 s0, s0, 1
	s_cmp_lg_u32 s8, s0
	s_cbranch_scc1 .LBB116_841
.LBB116_842:
	s_inst_prefetch 0x2
	s_waitcnt lgkmcnt(0)
	v_cmp_eq_f64_e32 vcc_lo, 0, v[238:239]
	v_cmp_eq_f64_e64 s0, 0, v[240:241]
	s_and_b32 s0, vcc_lo, s0
	s_and_saveexec_b32 s1, s0
	s_xor_b32 s0, exec_lo, s1
; %bb.843:
	v_cmp_ne_u32_e32 vcc_lo, 0, v251
	v_cndmask_b32_e32 v251, 41, v251, vcc_lo
; %bb.844:
	s_andn2_saveexec_b32 s0, s0
	s_cbranch_execz .LBB116_850
; %bb.845:
	v_cmp_ngt_f64_e64 s1, |v[238:239]|, |v[240:241]|
	s_and_saveexec_b32 s7, s1
	s_xor_b32 s1, exec_lo, s7
	s_cbranch_execz .LBB116_847
; %bb.846:
	v_div_scale_f64 v[214:215], null, v[240:241], v[240:241], v[238:239]
	v_div_scale_f64 v[220:221], vcc_lo, v[238:239], v[240:241], v[238:239]
	v_rcp_f64_e32 v[216:217], v[214:215]
	v_fma_f64 v[218:219], -v[214:215], v[216:217], 1.0
	v_fma_f64 v[216:217], v[216:217], v[218:219], v[216:217]
	v_fma_f64 v[218:219], -v[214:215], v[216:217], 1.0
	v_fma_f64 v[216:217], v[216:217], v[218:219], v[216:217]
	v_mul_f64 v[218:219], v[220:221], v[216:217]
	v_fma_f64 v[214:215], -v[214:215], v[218:219], v[220:221]
	v_div_fmas_f64 v[214:215], v[214:215], v[216:217], v[218:219]
	v_div_fixup_f64 v[214:215], v[214:215], v[240:241], v[238:239]
	v_fma_f64 v[216:217], v[238:239], v[214:215], v[240:241]
	v_div_scale_f64 v[218:219], null, v[216:217], v[216:217], 1.0
	v_rcp_f64_e32 v[220:221], v[218:219]
	v_fma_f64 v[222:223], -v[218:219], v[220:221], 1.0
	v_fma_f64 v[220:221], v[220:221], v[222:223], v[220:221]
	v_fma_f64 v[222:223], -v[218:219], v[220:221], 1.0
	v_fma_f64 v[220:221], v[220:221], v[222:223], v[220:221]
	v_div_scale_f64 v[222:223], vcc_lo, 1.0, v[216:217], 1.0
	v_mul_f64 v[224:225], v[222:223], v[220:221]
	v_fma_f64 v[218:219], -v[218:219], v[224:225], v[222:223]
	v_div_fmas_f64 v[218:219], v[218:219], v[220:221], v[224:225]
	v_div_fixup_f64 v[240:241], v[218:219], v[216:217], 1.0
	v_mul_f64 v[238:239], v[214:215], v[240:241]
	v_xor_b32_e32 v241, 0x80000000, v241
.LBB116_847:
	s_andn2_saveexec_b32 s1, s1
	s_cbranch_execz .LBB116_849
; %bb.848:
	v_div_scale_f64 v[214:215], null, v[238:239], v[238:239], v[240:241]
	v_div_scale_f64 v[220:221], vcc_lo, v[240:241], v[238:239], v[240:241]
	v_rcp_f64_e32 v[216:217], v[214:215]
	v_fma_f64 v[218:219], -v[214:215], v[216:217], 1.0
	v_fma_f64 v[216:217], v[216:217], v[218:219], v[216:217]
	v_fma_f64 v[218:219], -v[214:215], v[216:217], 1.0
	v_fma_f64 v[216:217], v[216:217], v[218:219], v[216:217]
	v_mul_f64 v[218:219], v[220:221], v[216:217]
	v_fma_f64 v[214:215], -v[214:215], v[218:219], v[220:221]
	v_div_fmas_f64 v[214:215], v[214:215], v[216:217], v[218:219]
	v_div_fixup_f64 v[214:215], v[214:215], v[238:239], v[240:241]
	v_fma_f64 v[216:217], v[240:241], v[214:215], v[238:239]
	v_div_scale_f64 v[218:219], null, v[216:217], v[216:217], 1.0
	v_rcp_f64_e32 v[220:221], v[218:219]
	v_fma_f64 v[222:223], -v[218:219], v[220:221], 1.0
	v_fma_f64 v[220:221], v[220:221], v[222:223], v[220:221]
	v_fma_f64 v[222:223], -v[218:219], v[220:221], 1.0
	v_fma_f64 v[220:221], v[220:221], v[222:223], v[220:221]
	v_div_scale_f64 v[222:223], vcc_lo, 1.0, v[216:217], 1.0
	v_mul_f64 v[224:225], v[222:223], v[220:221]
	v_fma_f64 v[218:219], -v[218:219], v[224:225], v[222:223]
	v_div_fmas_f64 v[218:219], v[218:219], v[220:221], v[224:225]
	v_div_fixup_f64 v[238:239], v[218:219], v[216:217], 1.0
	v_mul_f64 v[240:241], v[214:215], -v[238:239]
.LBB116_849:
	s_or_b32 exec_lo, exec_lo, s1
.LBB116_850:
	s_or_b32 exec_lo, exec_lo, s0
	s_mov_b32 s0, exec_lo
	v_cmpx_ne_u32_e64 v252, v246
	s_xor_b32 s0, exec_lo, s0
	s_cbranch_execz .LBB116_856
; %bb.851:
	s_mov_b32 s1, exec_lo
	v_cmpx_eq_u32_e32 40, v252
	s_cbranch_execz .LBB116_855
; %bb.852:
	v_cmp_ne_u32_e32 vcc_lo, 40, v246
	s_xor_b32 s7, s16, -1
	s_and_b32 s9, s7, vcc_lo
	s_and_saveexec_b32 s7, s9
	s_cbranch_execz .LBB116_854
; %bb.853:
	s_clause 0x1
	buffer_load_dword v210, off, s[20:23], 0 offset:16
	buffer_load_dword v211, off, s[20:23], 0 offset:20
	v_ashrrev_i32_e32 v247, 31, v246
	v_lshlrev_b64 v[214:215], 2, v[246:247]
	s_waitcnt vmcnt(1)
	v_add_co_u32 v214, vcc_lo, v210, v214
	s_waitcnt vmcnt(0)
	v_add_co_ci_u32_e64 v215, null, v211, v215, vcc_lo
	s_clause 0x1
	global_load_dword v0, v[214:215], off
	global_load_dword v216, v[210:211], off offset:160
	s_waitcnt vmcnt(1)
	global_store_dword v[210:211], v0, off offset:160
	s_waitcnt vmcnt(0)
	global_store_dword v[214:215], v216, off
.LBB116_854:
	s_or_b32 exec_lo, exec_lo, s7
	v_mov_b32_e32 v252, v246
	v_mov_b32_e32 v0, v246
.LBB116_855:
	s_or_b32 exec_lo, exec_lo, s1
.LBB116_856:
	s_andn2_saveexec_b32 s0, s0
	s_cbranch_execz .LBB116_858
; %bb.857:
	v_mov_b32_e32 v252, 40
	ds_write2_b64 v1, v[70:71], v[72:73] offset0:82 offset1:83
	ds_write2_b64 v1, v[66:67], v[68:69] offset0:84 offset1:85
	;; [unrolled: 1-line block ×18, first 2 shown]
.LBB116_858:
	s_or_b32 exec_lo, exec_lo, s0
	s_mov_b32 s0, exec_lo
	s_waitcnt lgkmcnt(0)
	s_waitcnt_vscnt null, 0x0
	s_barrier
	buffer_gl0_inv
	v_cmpx_lt_i32_e32 40, v252
	s_cbranch_execz .LBB116_860
; %bb.859:
	v_mul_f64 v[214:215], v[240:241], v[76:77]
	v_mul_f64 v[76:77], v[238:239], v[76:77]
	v_fma_f64 v[246:247], v[238:239], v[74:75], -v[214:215]
	v_fma_f64 v[76:77], v[240:241], v[74:75], v[76:77]
	ds_read2_b64 v[238:241], v1 offset0:82 offset1:83
	s_waitcnt lgkmcnt(0)
	v_mul_f64 v[74:75], v[240:241], v[76:77]
	v_mul_f64 v[214:215], v[238:239], v[76:77]
	v_fma_f64 v[74:75], v[238:239], v[246:247], -v[74:75]
	v_fma_f64 v[214:215], v[240:241], v[246:247], v[214:215]
	ds_read2_b64 v[238:241], v1 offset0:84 offset1:85
	v_add_f64 v[70:71], v[70:71], -v[74:75]
	v_add_f64 v[72:73], v[72:73], -v[214:215]
	s_waitcnt lgkmcnt(0)
	v_mul_f64 v[74:75], v[240:241], v[76:77]
	v_mul_f64 v[214:215], v[238:239], v[76:77]
	v_fma_f64 v[74:75], v[238:239], v[246:247], -v[74:75]
	v_fma_f64 v[214:215], v[240:241], v[246:247], v[214:215]
	ds_read2_b64 v[238:241], v1 offset0:86 offset1:87
	v_add_f64 v[66:67], v[66:67], -v[74:75]
	v_add_f64 v[68:69], v[68:69], -v[214:215]
	;; [unrolled: 8-line block ×17, first 2 shown]
	s_waitcnt lgkmcnt(0)
	v_mul_f64 v[74:75], v[240:241], v[76:77]
	v_mul_f64 v[214:215], v[238:239], v[76:77]
	v_fma_f64 v[74:75], v[238:239], v[246:247], -v[74:75]
	v_fma_f64 v[214:215], v[240:241], v[246:247], v[214:215]
	v_add_f64 v[226:227], v[226:227], -v[74:75]
	v_add_f64 v[228:229], v[228:229], -v[214:215]
	v_mov_b32_e32 v74, v246
	v_mov_b32_e32 v75, v247
.LBB116_860:
	s_or_b32 exec_lo, exec_lo, s0
	v_lshl_add_u32 v214, v252, 4, v1
	s_barrier
	buffer_gl0_inv
	v_mov_b32_e32 v246, 41
	ds_write2_b64 v214, v[70:71], v[72:73] offset1:1
	s_waitcnt lgkmcnt(0)
	s_barrier
	buffer_gl0_inv
	ds_read2_b64 v[238:241], v1 offset0:82 offset1:83
	s_cmp_lt_i32 s8, 43
	s_cbranch_scc1 .LBB116_863
; %bb.861:
	v_add3_u32 v247, v248, 0, 0x2a0
	v_mov_b32_e32 v246, 41
	s_mov_b32 s0, 42
	s_inst_prefetch 0x1
	.p2align	6
.LBB116_862:                            ; =>This Inner Loop Header: Depth=1
	s_waitcnt lgkmcnt(0)
	v_cmp_gt_f64_e32 vcc_lo, 0, v[238:239]
	v_xor_b32_e32 v214, 0x80000000, v239
	ds_read2_b64 v[242:245], v247 offset1:1
	v_xor_b32_e32 v216, 0x80000000, v241
	v_add_nc_u32_e32 v247, 16, v247
	s_waitcnt lgkmcnt(0)
	v_xor_b32_e32 v218, 0x80000000, v245
	v_cndmask_b32_e32 v215, v239, v214, vcc_lo
	v_cmp_gt_f64_e32 vcc_lo, 0, v[240:241]
	v_mov_b32_e32 v214, v238
	v_cndmask_b32_e32 v217, v241, v216, vcc_lo
	v_cmp_gt_f64_e32 vcc_lo, 0, v[242:243]
	v_mov_b32_e32 v216, v240
	v_add_f64 v[214:215], v[214:215], v[216:217]
	v_xor_b32_e32 v216, 0x80000000, v243
	v_cndmask_b32_e32 v217, v243, v216, vcc_lo
	v_cmp_gt_f64_e32 vcc_lo, 0, v[244:245]
	v_mov_b32_e32 v216, v242
	v_cndmask_b32_e32 v219, v245, v218, vcc_lo
	v_mov_b32_e32 v218, v244
	v_add_f64 v[216:217], v[216:217], v[218:219]
	v_cmp_lt_f64_e32 vcc_lo, v[214:215], v[216:217]
	v_cndmask_b32_e32 v239, v239, v243, vcc_lo
	v_cndmask_b32_e32 v238, v238, v242, vcc_lo
	;; [unrolled: 1-line block ×4, first 2 shown]
	v_cndmask_b32_e64 v246, v246, s0, vcc_lo
	s_add_i32 s0, s0, 1
	s_cmp_lg_u32 s8, s0
	s_cbranch_scc1 .LBB116_862
.LBB116_863:
	s_inst_prefetch 0x2
	s_waitcnt lgkmcnt(0)
	v_cmp_eq_f64_e32 vcc_lo, 0, v[238:239]
	v_cmp_eq_f64_e64 s0, 0, v[240:241]
	s_and_b32 s0, vcc_lo, s0
	s_and_saveexec_b32 s1, s0
	s_xor_b32 s0, exec_lo, s1
; %bb.864:
	v_cmp_ne_u32_e32 vcc_lo, 0, v251
	v_cndmask_b32_e32 v251, 42, v251, vcc_lo
; %bb.865:
	s_andn2_saveexec_b32 s0, s0
	s_cbranch_execz .LBB116_871
; %bb.866:
	v_cmp_ngt_f64_e64 s1, |v[238:239]|, |v[240:241]|
	s_and_saveexec_b32 s7, s1
	s_xor_b32 s1, exec_lo, s7
	s_cbranch_execz .LBB116_868
; %bb.867:
	v_div_scale_f64 v[214:215], null, v[240:241], v[240:241], v[238:239]
	v_div_scale_f64 v[220:221], vcc_lo, v[238:239], v[240:241], v[238:239]
	v_rcp_f64_e32 v[216:217], v[214:215]
	v_fma_f64 v[218:219], -v[214:215], v[216:217], 1.0
	v_fma_f64 v[216:217], v[216:217], v[218:219], v[216:217]
	v_fma_f64 v[218:219], -v[214:215], v[216:217], 1.0
	v_fma_f64 v[216:217], v[216:217], v[218:219], v[216:217]
	v_mul_f64 v[218:219], v[220:221], v[216:217]
	v_fma_f64 v[214:215], -v[214:215], v[218:219], v[220:221]
	v_div_fmas_f64 v[214:215], v[214:215], v[216:217], v[218:219]
	v_div_fixup_f64 v[214:215], v[214:215], v[240:241], v[238:239]
	v_fma_f64 v[216:217], v[238:239], v[214:215], v[240:241]
	v_div_scale_f64 v[218:219], null, v[216:217], v[216:217], 1.0
	v_rcp_f64_e32 v[220:221], v[218:219]
	v_fma_f64 v[222:223], -v[218:219], v[220:221], 1.0
	v_fma_f64 v[220:221], v[220:221], v[222:223], v[220:221]
	v_fma_f64 v[222:223], -v[218:219], v[220:221], 1.0
	v_fma_f64 v[220:221], v[220:221], v[222:223], v[220:221]
	v_div_scale_f64 v[222:223], vcc_lo, 1.0, v[216:217], 1.0
	v_mul_f64 v[224:225], v[222:223], v[220:221]
	v_fma_f64 v[218:219], -v[218:219], v[224:225], v[222:223]
	v_div_fmas_f64 v[218:219], v[218:219], v[220:221], v[224:225]
	v_div_fixup_f64 v[240:241], v[218:219], v[216:217], 1.0
	v_mul_f64 v[238:239], v[214:215], v[240:241]
	v_xor_b32_e32 v241, 0x80000000, v241
.LBB116_868:
	s_andn2_saveexec_b32 s1, s1
	s_cbranch_execz .LBB116_870
; %bb.869:
	v_div_scale_f64 v[214:215], null, v[238:239], v[238:239], v[240:241]
	v_div_scale_f64 v[220:221], vcc_lo, v[240:241], v[238:239], v[240:241]
	v_rcp_f64_e32 v[216:217], v[214:215]
	v_fma_f64 v[218:219], -v[214:215], v[216:217], 1.0
	v_fma_f64 v[216:217], v[216:217], v[218:219], v[216:217]
	v_fma_f64 v[218:219], -v[214:215], v[216:217], 1.0
	v_fma_f64 v[216:217], v[216:217], v[218:219], v[216:217]
	v_mul_f64 v[218:219], v[220:221], v[216:217]
	v_fma_f64 v[214:215], -v[214:215], v[218:219], v[220:221]
	v_div_fmas_f64 v[214:215], v[214:215], v[216:217], v[218:219]
	v_div_fixup_f64 v[214:215], v[214:215], v[238:239], v[240:241]
	v_fma_f64 v[216:217], v[240:241], v[214:215], v[238:239]
	v_div_scale_f64 v[218:219], null, v[216:217], v[216:217], 1.0
	v_rcp_f64_e32 v[220:221], v[218:219]
	v_fma_f64 v[222:223], -v[218:219], v[220:221], 1.0
	v_fma_f64 v[220:221], v[220:221], v[222:223], v[220:221]
	v_fma_f64 v[222:223], -v[218:219], v[220:221], 1.0
	v_fma_f64 v[220:221], v[220:221], v[222:223], v[220:221]
	v_div_scale_f64 v[222:223], vcc_lo, 1.0, v[216:217], 1.0
	v_mul_f64 v[224:225], v[222:223], v[220:221]
	v_fma_f64 v[218:219], -v[218:219], v[224:225], v[222:223]
	v_div_fmas_f64 v[218:219], v[218:219], v[220:221], v[224:225]
	v_div_fixup_f64 v[238:239], v[218:219], v[216:217], 1.0
	v_mul_f64 v[240:241], v[214:215], -v[238:239]
.LBB116_870:
	s_or_b32 exec_lo, exec_lo, s1
.LBB116_871:
	s_or_b32 exec_lo, exec_lo, s0
	s_mov_b32 s0, exec_lo
	v_cmpx_ne_u32_e64 v252, v246
	s_xor_b32 s0, exec_lo, s0
	s_cbranch_execz .LBB116_877
; %bb.872:
	s_mov_b32 s1, exec_lo
	v_cmpx_eq_u32_e32 41, v252
	s_cbranch_execz .LBB116_876
; %bb.873:
	v_cmp_ne_u32_e32 vcc_lo, 41, v246
	s_xor_b32 s7, s16, -1
	s_and_b32 s9, s7, vcc_lo
	s_and_saveexec_b32 s7, s9
	s_cbranch_execz .LBB116_875
; %bb.874:
	s_clause 0x1
	buffer_load_dword v210, off, s[20:23], 0 offset:16
	buffer_load_dword v211, off, s[20:23], 0 offset:20
	v_ashrrev_i32_e32 v247, 31, v246
	v_lshlrev_b64 v[214:215], 2, v[246:247]
	s_waitcnt vmcnt(1)
	v_add_co_u32 v214, vcc_lo, v210, v214
	s_waitcnt vmcnt(0)
	v_add_co_ci_u32_e64 v215, null, v211, v215, vcc_lo
	s_clause 0x1
	global_load_dword v0, v[214:215], off
	global_load_dword v216, v[210:211], off offset:164
	s_waitcnt vmcnt(1)
	global_store_dword v[210:211], v0, off offset:164
	s_waitcnt vmcnt(0)
	global_store_dword v[214:215], v216, off
.LBB116_875:
	s_or_b32 exec_lo, exec_lo, s7
	v_mov_b32_e32 v252, v246
	v_mov_b32_e32 v0, v246
.LBB116_876:
	s_or_b32 exec_lo, exec_lo, s1
.LBB116_877:
	s_andn2_saveexec_b32 s0, s0
	s_cbranch_execz .LBB116_879
; %bb.878:
	v_mov_b32_e32 v252, 41
	ds_write2_b64 v1, v[66:67], v[68:69] offset0:84 offset1:85
	ds_write2_b64 v1, v[62:63], v[64:65] offset0:86 offset1:87
	;; [unrolled: 1-line block ×17, first 2 shown]
.LBB116_879:
	s_or_b32 exec_lo, exec_lo, s0
	s_mov_b32 s0, exec_lo
	s_waitcnt lgkmcnt(0)
	s_waitcnt_vscnt null, 0x0
	s_barrier
	buffer_gl0_inv
	v_cmpx_lt_i32_e32 41, v252
	s_cbranch_execz .LBB116_881
; %bb.880:
	v_mul_f64 v[214:215], v[240:241], v[72:73]
	v_mul_f64 v[72:73], v[238:239], v[72:73]
	v_fma_f64 v[246:247], v[238:239], v[70:71], -v[214:215]
	v_fma_f64 v[72:73], v[240:241], v[70:71], v[72:73]
	ds_read2_b64 v[238:241], v1 offset0:84 offset1:85
	s_waitcnt lgkmcnt(0)
	v_mul_f64 v[70:71], v[240:241], v[72:73]
	v_mul_f64 v[214:215], v[238:239], v[72:73]
	v_fma_f64 v[70:71], v[238:239], v[246:247], -v[70:71]
	v_fma_f64 v[214:215], v[240:241], v[246:247], v[214:215]
	ds_read2_b64 v[238:241], v1 offset0:86 offset1:87
	v_add_f64 v[66:67], v[66:67], -v[70:71]
	v_add_f64 v[68:69], v[68:69], -v[214:215]
	s_waitcnt lgkmcnt(0)
	v_mul_f64 v[70:71], v[240:241], v[72:73]
	v_mul_f64 v[214:215], v[238:239], v[72:73]
	v_fma_f64 v[70:71], v[238:239], v[246:247], -v[70:71]
	v_fma_f64 v[214:215], v[240:241], v[246:247], v[214:215]
	ds_read2_b64 v[238:241], v1 offset0:88 offset1:89
	v_add_f64 v[62:63], v[62:63], -v[70:71]
	v_add_f64 v[64:65], v[64:65], -v[214:215]
	;; [unrolled: 8-line block ×16, first 2 shown]
	s_waitcnt lgkmcnt(0)
	v_mul_f64 v[70:71], v[240:241], v[72:73]
	v_mul_f64 v[214:215], v[238:239], v[72:73]
	v_fma_f64 v[70:71], v[238:239], v[246:247], -v[70:71]
	v_fma_f64 v[214:215], v[240:241], v[246:247], v[214:215]
	v_add_f64 v[226:227], v[226:227], -v[70:71]
	v_add_f64 v[228:229], v[228:229], -v[214:215]
	v_mov_b32_e32 v70, v246
	v_mov_b32_e32 v71, v247
.LBB116_881:
	s_or_b32 exec_lo, exec_lo, s0
	v_lshl_add_u32 v214, v252, 4, v1
	s_barrier
	buffer_gl0_inv
	v_mov_b32_e32 v246, 42
	ds_write2_b64 v214, v[66:67], v[68:69] offset1:1
	s_waitcnt lgkmcnt(0)
	s_barrier
	buffer_gl0_inv
	ds_read2_b64 v[238:241], v1 offset0:84 offset1:85
	s_cmp_lt_i32 s8, 44
	s_cbranch_scc1 .LBB116_884
; %bb.882:
	v_add3_u32 v247, v248, 0, 0x2b0
	v_mov_b32_e32 v246, 42
	s_mov_b32 s0, 43
	s_inst_prefetch 0x1
	.p2align	6
.LBB116_883:                            ; =>This Inner Loop Header: Depth=1
	s_waitcnt lgkmcnt(0)
	v_cmp_gt_f64_e32 vcc_lo, 0, v[238:239]
	v_xor_b32_e32 v214, 0x80000000, v239
	ds_read2_b64 v[242:245], v247 offset1:1
	v_xor_b32_e32 v216, 0x80000000, v241
	v_add_nc_u32_e32 v247, 16, v247
	s_waitcnt lgkmcnt(0)
	v_xor_b32_e32 v218, 0x80000000, v245
	v_cndmask_b32_e32 v215, v239, v214, vcc_lo
	v_cmp_gt_f64_e32 vcc_lo, 0, v[240:241]
	v_mov_b32_e32 v214, v238
	v_cndmask_b32_e32 v217, v241, v216, vcc_lo
	v_cmp_gt_f64_e32 vcc_lo, 0, v[242:243]
	v_mov_b32_e32 v216, v240
	v_add_f64 v[214:215], v[214:215], v[216:217]
	v_xor_b32_e32 v216, 0x80000000, v243
	v_cndmask_b32_e32 v217, v243, v216, vcc_lo
	v_cmp_gt_f64_e32 vcc_lo, 0, v[244:245]
	v_mov_b32_e32 v216, v242
	v_cndmask_b32_e32 v219, v245, v218, vcc_lo
	v_mov_b32_e32 v218, v244
	v_add_f64 v[216:217], v[216:217], v[218:219]
	v_cmp_lt_f64_e32 vcc_lo, v[214:215], v[216:217]
	v_cndmask_b32_e32 v239, v239, v243, vcc_lo
	v_cndmask_b32_e32 v238, v238, v242, vcc_lo
	;; [unrolled: 1-line block ×4, first 2 shown]
	v_cndmask_b32_e64 v246, v246, s0, vcc_lo
	s_add_i32 s0, s0, 1
	s_cmp_lg_u32 s8, s0
	s_cbranch_scc1 .LBB116_883
.LBB116_884:
	s_inst_prefetch 0x2
	s_waitcnt lgkmcnt(0)
	v_cmp_eq_f64_e32 vcc_lo, 0, v[238:239]
	v_cmp_eq_f64_e64 s0, 0, v[240:241]
	s_and_b32 s0, vcc_lo, s0
	s_and_saveexec_b32 s1, s0
	s_xor_b32 s0, exec_lo, s1
; %bb.885:
	v_cmp_ne_u32_e32 vcc_lo, 0, v251
	v_cndmask_b32_e32 v251, 43, v251, vcc_lo
; %bb.886:
	s_andn2_saveexec_b32 s0, s0
	s_cbranch_execz .LBB116_892
; %bb.887:
	v_cmp_ngt_f64_e64 s1, |v[238:239]|, |v[240:241]|
	s_and_saveexec_b32 s7, s1
	s_xor_b32 s1, exec_lo, s7
	s_cbranch_execz .LBB116_889
; %bb.888:
	v_div_scale_f64 v[214:215], null, v[240:241], v[240:241], v[238:239]
	v_div_scale_f64 v[220:221], vcc_lo, v[238:239], v[240:241], v[238:239]
	v_rcp_f64_e32 v[216:217], v[214:215]
	v_fma_f64 v[218:219], -v[214:215], v[216:217], 1.0
	v_fma_f64 v[216:217], v[216:217], v[218:219], v[216:217]
	v_fma_f64 v[218:219], -v[214:215], v[216:217], 1.0
	v_fma_f64 v[216:217], v[216:217], v[218:219], v[216:217]
	v_mul_f64 v[218:219], v[220:221], v[216:217]
	v_fma_f64 v[214:215], -v[214:215], v[218:219], v[220:221]
	v_div_fmas_f64 v[214:215], v[214:215], v[216:217], v[218:219]
	v_div_fixup_f64 v[214:215], v[214:215], v[240:241], v[238:239]
	v_fma_f64 v[216:217], v[238:239], v[214:215], v[240:241]
	v_div_scale_f64 v[218:219], null, v[216:217], v[216:217], 1.0
	v_rcp_f64_e32 v[220:221], v[218:219]
	v_fma_f64 v[222:223], -v[218:219], v[220:221], 1.0
	v_fma_f64 v[220:221], v[220:221], v[222:223], v[220:221]
	v_fma_f64 v[222:223], -v[218:219], v[220:221], 1.0
	v_fma_f64 v[220:221], v[220:221], v[222:223], v[220:221]
	v_div_scale_f64 v[222:223], vcc_lo, 1.0, v[216:217], 1.0
	v_mul_f64 v[224:225], v[222:223], v[220:221]
	v_fma_f64 v[218:219], -v[218:219], v[224:225], v[222:223]
	v_div_fmas_f64 v[218:219], v[218:219], v[220:221], v[224:225]
	v_div_fixup_f64 v[240:241], v[218:219], v[216:217], 1.0
	v_mul_f64 v[238:239], v[214:215], v[240:241]
	v_xor_b32_e32 v241, 0x80000000, v241
.LBB116_889:
	s_andn2_saveexec_b32 s1, s1
	s_cbranch_execz .LBB116_891
; %bb.890:
	v_div_scale_f64 v[214:215], null, v[238:239], v[238:239], v[240:241]
	v_div_scale_f64 v[220:221], vcc_lo, v[240:241], v[238:239], v[240:241]
	v_rcp_f64_e32 v[216:217], v[214:215]
	v_fma_f64 v[218:219], -v[214:215], v[216:217], 1.0
	v_fma_f64 v[216:217], v[216:217], v[218:219], v[216:217]
	v_fma_f64 v[218:219], -v[214:215], v[216:217], 1.0
	v_fma_f64 v[216:217], v[216:217], v[218:219], v[216:217]
	v_mul_f64 v[218:219], v[220:221], v[216:217]
	v_fma_f64 v[214:215], -v[214:215], v[218:219], v[220:221]
	v_div_fmas_f64 v[214:215], v[214:215], v[216:217], v[218:219]
	v_div_fixup_f64 v[214:215], v[214:215], v[238:239], v[240:241]
	v_fma_f64 v[216:217], v[240:241], v[214:215], v[238:239]
	v_div_scale_f64 v[218:219], null, v[216:217], v[216:217], 1.0
	v_rcp_f64_e32 v[220:221], v[218:219]
	v_fma_f64 v[222:223], -v[218:219], v[220:221], 1.0
	v_fma_f64 v[220:221], v[220:221], v[222:223], v[220:221]
	v_fma_f64 v[222:223], -v[218:219], v[220:221], 1.0
	v_fma_f64 v[220:221], v[220:221], v[222:223], v[220:221]
	v_div_scale_f64 v[222:223], vcc_lo, 1.0, v[216:217], 1.0
	v_mul_f64 v[224:225], v[222:223], v[220:221]
	v_fma_f64 v[218:219], -v[218:219], v[224:225], v[222:223]
	v_div_fmas_f64 v[218:219], v[218:219], v[220:221], v[224:225]
	v_div_fixup_f64 v[238:239], v[218:219], v[216:217], 1.0
	v_mul_f64 v[240:241], v[214:215], -v[238:239]
.LBB116_891:
	s_or_b32 exec_lo, exec_lo, s1
.LBB116_892:
	s_or_b32 exec_lo, exec_lo, s0
	s_mov_b32 s0, exec_lo
	v_cmpx_ne_u32_e64 v252, v246
	s_xor_b32 s0, exec_lo, s0
	s_cbranch_execz .LBB116_898
; %bb.893:
	s_mov_b32 s1, exec_lo
	v_cmpx_eq_u32_e32 42, v252
	s_cbranch_execz .LBB116_897
; %bb.894:
	v_cmp_ne_u32_e32 vcc_lo, 42, v246
	s_xor_b32 s7, s16, -1
	s_and_b32 s9, s7, vcc_lo
	s_and_saveexec_b32 s7, s9
	s_cbranch_execz .LBB116_896
; %bb.895:
	s_clause 0x1
	buffer_load_dword v210, off, s[20:23], 0 offset:16
	buffer_load_dword v211, off, s[20:23], 0 offset:20
	v_ashrrev_i32_e32 v247, 31, v246
	v_lshlrev_b64 v[214:215], 2, v[246:247]
	s_waitcnt vmcnt(1)
	v_add_co_u32 v214, vcc_lo, v210, v214
	s_waitcnt vmcnt(0)
	v_add_co_ci_u32_e64 v215, null, v211, v215, vcc_lo
	s_clause 0x1
	global_load_dword v0, v[214:215], off
	global_load_dword v216, v[210:211], off offset:168
	s_waitcnt vmcnt(1)
	global_store_dword v[210:211], v0, off offset:168
	s_waitcnt vmcnt(0)
	global_store_dword v[214:215], v216, off
.LBB116_896:
	s_or_b32 exec_lo, exec_lo, s7
	v_mov_b32_e32 v252, v246
	v_mov_b32_e32 v0, v246
.LBB116_897:
	s_or_b32 exec_lo, exec_lo, s1
.LBB116_898:
	s_andn2_saveexec_b32 s0, s0
	s_cbranch_execz .LBB116_900
; %bb.899:
	v_mov_b32_e32 v252, 42
	ds_write2_b64 v1, v[62:63], v[64:65] offset0:86 offset1:87
	ds_write2_b64 v1, v[58:59], v[60:61] offset0:88 offset1:89
	;; [unrolled: 1-line block ×16, first 2 shown]
.LBB116_900:
	s_or_b32 exec_lo, exec_lo, s0
	s_mov_b32 s0, exec_lo
	s_waitcnt lgkmcnt(0)
	s_waitcnt_vscnt null, 0x0
	s_barrier
	buffer_gl0_inv
	v_cmpx_lt_i32_e32 42, v252
	s_cbranch_execz .LBB116_902
; %bb.901:
	v_mul_f64 v[214:215], v[238:239], v[68:69]
	v_mul_f64 v[68:69], v[240:241], v[68:69]
	v_fma_f64 v[246:247], v[240:241], v[66:67], v[214:215]
	v_fma_f64 v[66:67], v[238:239], v[66:67], -v[68:69]
	ds_read2_b64 v[238:241], v1 offset0:86 offset1:87
	s_waitcnt lgkmcnt(0)
	v_mul_f64 v[68:69], v[240:241], v[246:247]
	v_mul_f64 v[214:215], v[238:239], v[246:247]
	v_fma_f64 v[68:69], v[238:239], v[66:67], -v[68:69]
	v_fma_f64 v[214:215], v[240:241], v[66:67], v[214:215]
	ds_read2_b64 v[238:241], v1 offset0:88 offset1:89
	v_add_f64 v[62:63], v[62:63], -v[68:69]
	v_add_f64 v[64:65], v[64:65], -v[214:215]
	s_waitcnt lgkmcnt(0)
	v_mul_f64 v[68:69], v[240:241], v[246:247]
	v_mul_f64 v[214:215], v[238:239], v[246:247]
	v_fma_f64 v[68:69], v[238:239], v[66:67], -v[68:69]
	v_fma_f64 v[214:215], v[240:241], v[66:67], v[214:215]
	ds_read2_b64 v[238:241], v1 offset0:90 offset1:91
	v_add_f64 v[58:59], v[58:59], -v[68:69]
	v_add_f64 v[60:61], v[60:61], -v[214:215]
	;; [unrolled: 8-line block ×15, first 2 shown]
	s_waitcnt lgkmcnt(0)
	v_mul_f64 v[68:69], v[240:241], v[246:247]
	v_mul_f64 v[214:215], v[238:239], v[246:247]
	v_fma_f64 v[68:69], v[238:239], v[66:67], -v[68:69]
	v_fma_f64 v[214:215], v[240:241], v[66:67], v[214:215]
	v_add_f64 v[226:227], v[226:227], -v[68:69]
	v_add_f64 v[228:229], v[228:229], -v[214:215]
	v_mov_b32_e32 v68, v246
	v_mov_b32_e32 v69, v247
.LBB116_902:
	s_or_b32 exec_lo, exec_lo, s0
	v_lshl_add_u32 v214, v252, 4, v1
	s_barrier
	buffer_gl0_inv
	v_mov_b32_e32 v246, 43
	ds_write2_b64 v214, v[62:63], v[64:65] offset1:1
	s_waitcnt lgkmcnt(0)
	s_barrier
	buffer_gl0_inv
	ds_read2_b64 v[238:241], v1 offset0:86 offset1:87
	s_cmp_lt_i32 s8, 45
	s_cbranch_scc1 .LBB116_905
; %bb.903:
	v_add3_u32 v247, v248, 0, 0x2c0
	v_mov_b32_e32 v246, 43
	s_mov_b32 s0, 44
	s_inst_prefetch 0x1
	.p2align	6
.LBB116_904:                            ; =>This Inner Loop Header: Depth=1
	s_waitcnt lgkmcnt(0)
	v_cmp_gt_f64_e32 vcc_lo, 0, v[238:239]
	v_xor_b32_e32 v214, 0x80000000, v239
	ds_read2_b64 v[242:245], v247 offset1:1
	v_xor_b32_e32 v216, 0x80000000, v241
	v_add_nc_u32_e32 v247, 16, v247
	s_waitcnt lgkmcnt(0)
	v_xor_b32_e32 v218, 0x80000000, v245
	v_cndmask_b32_e32 v215, v239, v214, vcc_lo
	v_cmp_gt_f64_e32 vcc_lo, 0, v[240:241]
	v_mov_b32_e32 v214, v238
	v_cndmask_b32_e32 v217, v241, v216, vcc_lo
	v_cmp_gt_f64_e32 vcc_lo, 0, v[242:243]
	v_mov_b32_e32 v216, v240
	v_add_f64 v[214:215], v[214:215], v[216:217]
	v_xor_b32_e32 v216, 0x80000000, v243
	v_cndmask_b32_e32 v217, v243, v216, vcc_lo
	v_cmp_gt_f64_e32 vcc_lo, 0, v[244:245]
	v_mov_b32_e32 v216, v242
	v_cndmask_b32_e32 v219, v245, v218, vcc_lo
	v_mov_b32_e32 v218, v244
	v_add_f64 v[216:217], v[216:217], v[218:219]
	v_cmp_lt_f64_e32 vcc_lo, v[214:215], v[216:217]
	v_cndmask_b32_e32 v239, v239, v243, vcc_lo
	v_cndmask_b32_e32 v238, v238, v242, vcc_lo
	v_cndmask_b32_e32 v241, v241, v245, vcc_lo
	v_cndmask_b32_e32 v240, v240, v244, vcc_lo
	v_cndmask_b32_e64 v246, v246, s0, vcc_lo
	s_add_i32 s0, s0, 1
	s_cmp_lg_u32 s8, s0
	s_cbranch_scc1 .LBB116_904
.LBB116_905:
	s_inst_prefetch 0x2
	s_waitcnt lgkmcnt(0)
	v_cmp_eq_f64_e32 vcc_lo, 0, v[238:239]
	v_cmp_eq_f64_e64 s0, 0, v[240:241]
	s_and_b32 s0, vcc_lo, s0
	s_and_saveexec_b32 s1, s0
	s_xor_b32 s0, exec_lo, s1
; %bb.906:
	v_cmp_ne_u32_e32 vcc_lo, 0, v251
	v_cndmask_b32_e32 v251, 44, v251, vcc_lo
; %bb.907:
	s_andn2_saveexec_b32 s0, s0
	s_cbranch_execz .LBB116_913
; %bb.908:
	v_cmp_ngt_f64_e64 s1, |v[238:239]|, |v[240:241]|
	s_and_saveexec_b32 s7, s1
	s_xor_b32 s1, exec_lo, s7
	s_cbranch_execz .LBB116_910
; %bb.909:
	v_div_scale_f64 v[214:215], null, v[240:241], v[240:241], v[238:239]
	v_div_scale_f64 v[220:221], vcc_lo, v[238:239], v[240:241], v[238:239]
	v_rcp_f64_e32 v[216:217], v[214:215]
	v_fma_f64 v[218:219], -v[214:215], v[216:217], 1.0
	v_fma_f64 v[216:217], v[216:217], v[218:219], v[216:217]
	v_fma_f64 v[218:219], -v[214:215], v[216:217], 1.0
	v_fma_f64 v[216:217], v[216:217], v[218:219], v[216:217]
	v_mul_f64 v[218:219], v[220:221], v[216:217]
	v_fma_f64 v[214:215], -v[214:215], v[218:219], v[220:221]
	v_div_fmas_f64 v[214:215], v[214:215], v[216:217], v[218:219]
	v_div_fixup_f64 v[214:215], v[214:215], v[240:241], v[238:239]
	v_fma_f64 v[216:217], v[238:239], v[214:215], v[240:241]
	v_div_scale_f64 v[218:219], null, v[216:217], v[216:217], 1.0
	v_rcp_f64_e32 v[220:221], v[218:219]
	v_fma_f64 v[222:223], -v[218:219], v[220:221], 1.0
	v_fma_f64 v[220:221], v[220:221], v[222:223], v[220:221]
	v_fma_f64 v[222:223], -v[218:219], v[220:221], 1.0
	v_fma_f64 v[220:221], v[220:221], v[222:223], v[220:221]
	v_div_scale_f64 v[222:223], vcc_lo, 1.0, v[216:217], 1.0
	v_mul_f64 v[224:225], v[222:223], v[220:221]
	v_fma_f64 v[218:219], -v[218:219], v[224:225], v[222:223]
	v_div_fmas_f64 v[218:219], v[218:219], v[220:221], v[224:225]
	v_div_fixup_f64 v[240:241], v[218:219], v[216:217], 1.0
	v_mul_f64 v[238:239], v[214:215], v[240:241]
	v_xor_b32_e32 v241, 0x80000000, v241
.LBB116_910:
	s_andn2_saveexec_b32 s1, s1
	s_cbranch_execz .LBB116_912
; %bb.911:
	v_div_scale_f64 v[214:215], null, v[238:239], v[238:239], v[240:241]
	v_div_scale_f64 v[220:221], vcc_lo, v[240:241], v[238:239], v[240:241]
	v_rcp_f64_e32 v[216:217], v[214:215]
	v_fma_f64 v[218:219], -v[214:215], v[216:217], 1.0
	v_fma_f64 v[216:217], v[216:217], v[218:219], v[216:217]
	v_fma_f64 v[218:219], -v[214:215], v[216:217], 1.0
	v_fma_f64 v[216:217], v[216:217], v[218:219], v[216:217]
	v_mul_f64 v[218:219], v[220:221], v[216:217]
	v_fma_f64 v[214:215], -v[214:215], v[218:219], v[220:221]
	v_div_fmas_f64 v[214:215], v[214:215], v[216:217], v[218:219]
	v_div_fixup_f64 v[214:215], v[214:215], v[238:239], v[240:241]
	v_fma_f64 v[216:217], v[240:241], v[214:215], v[238:239]
	v_div_scale_f64 v[218:219], null, v[216:217], v[216:217], 1.0
	v_rcp_f64_e32 v[220:221], v[218:219]
	v_fma_f64 v[222:223], -v[218:219], v[220:221], 1.0
	v_fma_f64 v[220:221], v[220:221], v[222:223], v[220:221]
	v_fma_f64 v[222:223], -v[218:219], v[220:221], 1.0
	v_fma_f64 v[220:221], v[220:221], v[222:223], v[220:221]
	v_div_scale_f64 v[222:223], vcc_lo, 1.0, v[216:217], 1.0
	v_mul_f64 v[224:225], v[222:223], v[220:221]
	v_fma_f64 v[218:219], -v[218:219], v[224:225], v[222:223]
	v_div_fmas_f64 v[218:219], v[218:219], v[220:221], v[224:225]
	v_div_fixup_f64 v[238:239], v[218:219], v[216:217], 1.0
	v_mul_f64 v[240:241], v[214:215], -v[238:239]
.LBB116_912:
	s_or_b32 exec_lo, exec_lo, s1
.LBB116_913:
	s_or_b32 exec_lo, exec_lo, s0
	s_mov_b32 s0, exec_lo
	v_cmpx_ne_u32_e64 v252, v246
	s_xor_b32 s0, exec_lo, s0
	s_cbranch_execz .LBB116_919
; %bb.914:
	s_mov_b32 s1, exec_lo
	v_cmpx_eq_u32_e32 43, v252
	s_cbranch_execz .LBB116_918
; %bb.915:
	v_cmp_ne_u32_e32 vcc_lo, 43, v246
	s_xor_b32 s7, s16, -1
	s_and_b32 s9, s7, vcc_lo
	s_and_saveexec_b32 s7, s9
	s_cbranch_execz .LBB116_917
; %bb.916:
	s_clause 0x1
	buffer_load_dword v210, off, s[20:23], 0 offset:16
	buffer_load_dword v211, off, s[20:23], 0 offset:20
	v_ashrrev_i32_e32 v247, 31, v246
	v_lshlrev_b64 v[214:215], 2, v[246:247]
	s_waitcnt vmcnt(1)
	v_add_co_u32 v214, vcc_lo, v210, v214
	s_waitcnt vmcnt(0)
	v_add_co_ci_u32_e64 v215, null, v211, v215, vcc_lo
	s_clause 0x1
	global_load_dword v0, v[214:215], off
	global_load_dword v216, v[210:211], off offset:172
	s_waitcnt vmcnt(1)
	global_store_dword v[210:211], v0, off offset:172
	s_waitcnt vmcnt(0)
	global_store_dword v[214:215], v216, off
.LBB116_917:
	s_or_b32 exec_lo, exec_lo, s7
	v_mov_b32_e32 v252, v246
	v_mov_b32_e32 v0, v246
.LBB116_918:
	s_or_b32 exec_lo, exec_lo, s1
.LBB116_919:
	s_andn2_saveexec_b32 s0, s0
	s_cbranch_execz .LBB116_921
; %bb.920:
	v_mov_b32_e32 v252, 43
	ds_write2_b64 v1, v[58:59], v[60:61] offset0:88 offset1:89
	ds_write2_b64 v1, v[54:55], v[56:57] offset0:90 offset1:91
	;; [unrolled: 1-line block ×15, first 2 shown]
.LBB116_921:
	s_or_b32 exec_lo, exec_lo, s0
	s_mov_b32 s0, exec_lo
	s_waitcnt lgkmcnt(0)
	s_waitcnt_vscnt null, 0x0
	s_barrier
	buffer_gl0_inv
	v_cmpx_lt_i32_e32 43, v252
	s_cbranch_execz .LBB116_923
; %bb.922:
	v_mul_f64 v[214:215], v[238:239], v[64:65]
	v_mul_f64 v[64:65], v[240:241], v[64:65]
	v_fma_f64 v[246:247], v[240:241], v[62:63], v[214:215]
	v_fma_f64 v[62:63], v[238:239], v[62:63], -v[64:65]
	ds_read2_b64 v[238:241], v1 offset0:88 offset1:89
	s_waitcnt lgkmcnt(0)
	v_mul_f64 v[64:65], v[240:241], v[246:247]
	v_mul_f64 v[214:215], v[238:239], v[246:247]
	v_fma_f64 v[64:65], v[238:239], v[62:63], -v[64:65]
	v_fma_f64 v[214:215], v[240:241], v[62:63], v[214:215]
	ds_read2_b64 v[238:241], v1 offset0:90 offset1:91
	v_add_f64 v[58:59], v[58:59], -v[64:65]
	v_add_f64 v[60:61], v[60:61], -v[214:215]
	s_waitcnt lgkmcnt(0)
	v_mul_f64 v[64:65], v[240:241], v[246:247]
	v_mul_f64 v[214:215], v[238:239], v[246:247]
	v_fma_f64 v[64:65], v[238:239], v[62:63], -v[64:65]
	v_fma_f64 v[214:215], v[240:241], v[62:63], v[214:215]
	ds_read2_b64 v[238:241], v1 offset0:92 offset1:93
	v_add_f64 v[54:55], v[54:55], -v[64:65]
	v_add_f64 v[56:57], v[56:57], -v[214:215]
	;; [unrolled: 8-line block ×14, first 2 shown]
	s_waitcnt lgkmcnt(0)
	v_mul_f64 v[64:65], v[240:241], v[246:247]
	v_mul_f64 v[214:215], v[238:239], v[246:247]
	v_fma_f64 v[64:65], v[238:239], v[62:63], -v[64:65]
	v_fma_f64 v[214:215], v[240:241], v[62:63], v[214:215]
	v_add_f64 v[226:227], v[226:227], -v[64:65]
	v_add_f64 v[228:229], v[228:229], -v[214:215]
	v_mov_b32_e32 v64, v246
	v_mov_b32_e32 v65, v247
.LBB116_923:
	s_or_b32 exec_lo, exec_lo, s0
	v_lshl_add_u32 v214, v252, 4, v1
	s_barrier
	buffer_gl0_inv
	v_mov_b32_e32 v246, 44
	ds_write2_b64 v214, v[58:59], v[60:61] offset1:1
	s_waitcnt lgkmcnt(0)
	s_barrier
	buffer_gl0_inv
	ds_read2_b64 v[238:241], v1 offset0:88 offset1:89
	s_cmp_lt_i32 s8, 46
	s_cbranch_scc1 .LBB116_926
; %bb.924:
	v_add3_u32 v247, v248, 0, 0x2d0
	v_mov_b32_e32 v246, 44
	s_mov_b32 s0, 45
	s_inst_prefetch 0x1
	.p2align	6
.LBB116_925:                            ; =>This Inner Loop Header: Depth=1
	s_waitcnt lgkmcnt(0)
	v_cmp_gt_f64_e32 vcc_lo, 0, v[238:239]
	v_xor_b32_e32 v214, 0x80000000, v239
	ds_read2_b64 v[242:245], v247 offset1:1
	v_xor_b32_e32 v216, 0x80000000, v241
	v_add_nc_u32_e32 v247, 16, v247
	s_waitcnt lgkmcnt(0)
	v_xor_b32_e32 v218, 0x80000000, v245
	v_cndmask_b32_e32 v215, v239, v214, vcc_lo
	v_cmp_gt_f64_e32 vcc_lo, 0, v[240:241]
	v_mov_b32_e32 v214, v238
	v_cndmask_b32_e32 v217, v241, v216, vcc_lo
	v_cmp_gt_f64_e32 vcc_lo, 0, v[242:243]
	v_mov_b32_e32 v216, v240
	v_add_f64 v[214:215], v[214:215], v[216:217]
	v_xor_b32_e32 v216, 0x80000000, v243
	v_cndmask_b32_e32 v217, v243, v216, vcc_lo
	v_cmp_gt_f64_e32 vcc_lo, 0, v[244:245]
	v_mov_b32_e32 v216, v242
	v_cndmask_b32_e32 v219, v245, v218, vcc_lo
	v_mov_b32_e32 v218, v244
	v_add_f64 v[216:217], v[216:217], v[218:219]
	v_cmp_lt_f64_e32 vcc_lo, v[214:215], v[216:217]
	v_cndmask_b32_e32 v239, v239, v243, vcc_lo
	v_cndmask_b32_e32 v238, v238, v242, vcc_lo
	;; [unrolled: 1-line block ×4, first 2 shown]
	v_cndmask_b32_e64 v246, v246, s0, vcc_lo
	s_add_i32 s0, s0, 1
	s_cmp_lg_u32 s8, s0
	s_cbranch_scc1 .LBB116_925
.LBB116_926:
	s_inst_prefetch 0x2
	s_waitcnt lgkmcnt(0)
	v_cmp_eq_f64_e32 vcc_lo, 0, v[238:239]
	v_cmp_eq_f64_e64 s0, 0, v[240:241]
	s_and_b32 s0, vcc_lo, s0
	s_and_saveexec_b32 s1, s0
	s_xor_b32 s0, exec_lo, s1
; %bb.927:
	v_cmp_ne_u32_e32 vcc_lo, 0, v251
	v_cndmask_b32_e32 v251, 45, v251, vcc_lo
; %bb.928:
	s_andn2_saveexec_b32 s0, s0
	s_cbranch_execz .LBB116_934
; %bb.929:
	v_cmp_ngt_f64_e64 s1, |v[238:239]|, |v[240:241]|
	s_and_saveexec_b32 s7, s1
	s_xor_b32 s1, exec_lo, s7
	s_cbranch_execz .LBB116_931
; %bb.930:
	v_div_scale_f64 v[214:215], null, v[240:241], v[240:241], v[238:239]
	v_div_scale_f64 v[220:221], vcc_lo, v[238:239], v[240:241], v[238:239]
	v_rcp_f64_e32 v[216:217], v[214:215]
	v_fma_f64 v[218:219], -v[214:215], v[216:217], 1.0
	v_fma_f64 v[216:217], v[216:217], v[218:219], v[216:217]
	v_fma_f64 v[218:219], -v[214:215], v[216:217], 1.0
	v_fma_f64 v[216:217], v[216:217], v[218:219], v[216:217]
	v_mul_f64 v[218:219], v[220:221], v[216:217]
	v_fma_f64 v[214:215], -v[214:215], v[218:219], v[220:221]
	v_div_fmas_f64 v[214:215], v[214:215], v[216:217], v[218:219]
	v_div_fixup_f64 v[214:215], v[214:215], v[240:241], v[238:239]
	v_fma_f64 v[216:217], v[238:239], v[214:215], v[240:241]
	v_div_scale_f64 v[218:219], null, v[216:217], v[216:217], 1.0
	v_rcp_f64_e32 v[220:221], v[218:219]
	v_fma_f64 v[222:223], -v[218:219], v[220:221], 1.0
	v_fma_f64 v[220:221], v[220:221], v[222:223], v[220:221]
	v_fma_f64 v[222:223], -v[218:219], v[220:221], 1.0
	v_fma_f64 v[220:221], v[220:221], v[222:223], v[220:221]
	v_div_scale_f64 v[222:223], vcc_lo, 1.0, v[216:217], 1.0
	v_mul_f64 v[224:225], v[222:223], v[220:221]
	v_fma_f64 v[218:219], -v[218:219], v[224:225], v[222:223]
	v_div_fmas_f64 v[218:219], v[218:219], v[220:221], v[224:225]
	v_div_fixup_f64 v[240:241], v[218:219], v[216:217], 1.0
	v_mul_f64 v[238:239], v[214:215], v[240:241]
	v_xor_b32_e32 v241, 0x80000000, v241
.LBB116_931:
	s_andn2_saveexec_b32 s1, s1
	s_cbranch_execz .LBB116_933
; %bb.932:
	v_div_scale_f64 v[214:215], null, v[238:239], v[238:239], v[240:241]
	v_div_scale_f64 v[220:221], vcc_lo, v[240:241], v[238:239], v[240:241]
	v_rcp_f64_e32 v[216:217], v[214:215]
	v_fma_f64 v[218:219], -v[214:215], v[216:217], 1.0
	v_fma_f64 v[216:217], v[216:217], v[218:219], v[216:217]
	v_fma_f64 v[218:219], -v[214:215], v[216:217], 1.0
	v_fma_f64 v[216:217], v[216:217], v[218:219], v[216:217]
	v_mul_f64 v[218:219], v[220:221], v[216:217]
	v_fma_f64 v[214:215], -v[214:215], v[218:219], v[220:221]
	v_div_fmas_f64 v[214:215], v[214:215], v[216:217], v[218:219]
	v_div_fixup_f64 v[214:215], v[214:215], v[238:239], v[240:241]
	v_fma_f64 v[216:217], v[240:241], v[214:215], v[238:239]
	v_div_scale_f64 v[218:219], null, v[216:217], v[216:217], 1.0
	v_rcp_f64_e32 v[220:221], v[218:219]
	v_fma_f64 v[222:223], -v[218:219], v[220:221], 1.0
	v_fma_f64 v[220:221], v[220:221], v[222:223], v[220:221]
	v_fma_f64 v[222:223], -v[218:219], v[220:221], 1.0
	v_fma_f64 v[220:221], v[220:221], v[222:223], v[220:221]
	v_div_scale_f64 v[222:223], vcc_lo, 1.0, v[216:217], 1.0
	v_mul_f64 v[224:225], v[222:223], v[220:221]
	v_fma_f64 v[218:219], -v[218:219], v[224:225], v[222:223]
	v_div_fmas_f64 v[218:219], v[218:219], v[220:221], v[224:225]
	v_div_fixup_f64 v[238:239], v[218:219], v[216:217], 1.0
	v_mul_f64 v[240:241], v[214:215], -v[238:239]
.LBB116_933:
	s_or_b32 exec_lo, exec_lo, s1
.LBB116_934:
	s_or_b32 exec_lo, exec_lo, s0
	s_mov_b32 s0, exec_lo
	v_cmpx_ne_u32_e64 v252, v246
	s_xor_b32 s0, exec_lo, s0
	s_cbranch_execz .LBB116_940
; %bb.935:
	s_mov_b32 s1, exec_lo
	v_cmpx_eq_u32_e32 44, v252
	s_cbranch_execz .LBB116_939
; %bb.936:
	v_cmp_ne_u32_e32 vcc_lo, 44, v246
	s_xor_b32 s7, s16, -1
	s_and_b32 s9, s7, vcc_lo
	s_and_saveexec_b32 s7, s9
	s_cbranch_execz .LBB116_938
; %bb.937:
	s_clause 0x1
	buffer_load_dword v210, off, s[20:23], 0 offset:16
	buffer_load_dword v211, off, s[20:23], 0 offset:20
	v_ashrrev_i32_e32 v247, 31, v246
	v_lshlrev_b64 v[214:215], 2, v[246:247]
	s_waitcnt vmcnt(1)
	v_add_co_u32 v214, vcc_lo, v210, v214
	s_waitcnt vmcnt(0)
	v_add_co_ci_u32_e64 v215, null, v211, v215, vcc_lo
	s_clause 0x1
	global_load_dword v0, v[214:215], off
	global_load_dword v216, v[210:211], off offset:176
	s_waitcnt vmcnt(1)
	global_store_dword v[210:211], v0, off offset:176
	s_waitcnt vmcnt(0)
	global_store_dword v[214:215], v216, off
.LBB116_938:
	s_or_b32 exec_lo, exec_lo, s7
	v_mov_b32_e32 v252, v246
	v_mov_b32_e32 v0, v246
.LBB116_939:
	s_or_b32 exec_lo, exec_lo, s1
.LBB116_940:
	s_andn2_saveexec_b32 s0, s0
	s_cbranch_execz .LBB116_942
; %bb.941:
	v_mov_b32_e32 v252, 44
	ds_write2_b64 v1, v[54:55], v[56:57] offset0:90 offset1:91
	ds_write2_b64 v1, v[50:51], v[52:53] offset0:92 offset1:93
	;; [unrolled: 1-line block ×14, first 2 shown]
.LBB116_942:
	s_or_b32 exec_lo, exec_lo, s0
	s_mov_b32 s0, exec_lo
	s_waitcnt lgkmcnt(0)
	s_waitcnt_vscnt null, 0x0
	s_barrier
	buffer_gl0_inv
	v_cmpx_lt_i32_e32 44, v252
	s_cbranch_execz .LBB116_944
; %bb.943:
	v_mul_f64 v[214:215], v[238:239], v[60:61]
	v_mul_f64 v[60:61], v[240:241], v[60:61]
	v_fma_f64 v[246:247], v[240:241], v[58:59], v[214:215]
	v_fma_f64 v[58:59], v[238:239], v[58:59], -v[60:61]
	ds_read2_b64 v[238:241], v1 offset0:90 offset1:91
	s_waitcnt lgkmcnt(0)
	v_mul_f64 v[60:61], v[240:241], v[246:247]
	v_mul_f64 v[214:215], v[238:239], v[246:247]
	v_fma_f64 v[60:61], v[238:239], v[58:59], -v[60:61]
	v_fma_f64 v[214:215], v[240:241], v[58:59], v[214:215]
	ds_read2_b64 v[238:241], v1 offset0:92 offset1:93
	v_add_f64 v[54:55], v[54:55], -v[60:61]
	v_add_f64 v[56:57], v[56:57], -v[214:215]
	s_waitcnt lgkmcnt(0)
	v_mul_f64 v[60:61], v[240:241], v[246:247]
	v_mul_f64 v[214:215], v[238:239], v[246:247]
	v_fma_f64 v[60:61], v[238:239], v[58:59], -v[60:61]
	v_fma_f64 v[214:215], v[240:241], v[58:59], v[214:215]
	ds_read2_b64 v[238:241], v1 offset0:94 offset1:95
	v_add_f64 v[50:51], v[50:51], -v[60:61]
	v_add_f64 v[52:53], v[52:53], -v[214:215]
	;; [unrolled: 8-line block ×13, first 2 shown]
	s_waitcnt lgkmcnt(0)
	v_mul_f64 v[60:61], v[240:241], v[246:247]
	v_mul_f64 v[214:215], v[238:239], v[246:247]
	v_fma_f64 v[60:61], v[238:239], v[58:59], -v[60:61]
	v_fma_f64 v[214:215], v[240:241], v[58:59], v[214:215]
	v_add_f64 v[226:227], v[226:227], -v[60:61]
	v_add_f64 v[228:229], v[228:229], -v[214:215]
	v_mov_b32_e32 v60, v246
	v_mov_b32_e32 v61, v247
.LBB116_944:
	s_or_b32 exec_lo, exec_lo, s0
	v_lshl_add_u32 v214, v252, 4, v1
	s_barrier
	buffer_gl0_inv
	v_mov_b32_e32 v246, 45
	ds_write2_b64 v214, v[54:55], v[56:57] offset1:1
	s_waitcnt lgkmcnt(0)
	s_barrier
	buffer_gl0_inv
	ds_read2_b64 v[238:241], v1 offset0:90 offset1:91
	s_cmp_lt_i32 s8, 47
	s_cbranch_scc1 .LBB116_947
; %bb.945:
	v_add3_u32 v247, v248, 0, 0x2e0
	v_mov_b32_e32 v246, 45
	s_mov_b32 s0, 46
	s_inst_prefetch 0x1
	.p2align	6
.LBB116_946:                            ; =>This Inner Loop Header: Depth=1
	s_waitcnt lgkmcnt(0)
	v_cmp_gt_f64_e32 vcc_lo, 0, v[238:239]
	v_xor_b32_e32 v214, 0x80000000, v239
	ds_read2_b64 v[242:245], v247 offset1:1
	v_xor_b32_e32 v216, 0x80000000, v241
	v_add_nc_u32_e32 v247, 16, v247
	s_waitcnt lgkmcnt(0)
	v_xor_b32_e32 v218, 0x80000000, v245
	v_cndmask_b32_e32 v215, v239, v214, vcc_lo
	v_cmp_gt_f64_e32 vcc_lo, 0, v[240:241]
	v_mov_b32_e32 v214, v238
	v_cndmask_b32_e32 v217, v241, v216, vcc_lo
	v_cmp_gt_f64_e32 vcc_lo, 0, v[242:243]
	v_mov_b32_e32 v216, v240
	v_add_f64 v[214:215], v[214:215], v[216:217]
	v_xor_b32_e32 v216, 0x80000000, v243
	v_cndmask_b32_e32 v217, v243, v216, vcc_lo
	v_cmp_gt_f64_e32 vcc_lo, 0, v[244:245]
	v_mov_b32_e32 v216, v242
	v_cndmask_b32_e32 v219, v245, v218, vcc_lo
	v_mov_b32_e32 v218, v244
	v_add_f64 v[216:217], v[216:217], v[218:219]
	v_cmp_lt_f64_e32 vcc_lo, v[214:215], v[216:217]
	v_cndmask_b32_e32 v239, v239, v243, vcc_lo
	v_cndmask_b32_e32 v238, v238, v242, vcc_lo
	;; [unrolled: 1-line block ×4, first 2 shown]
	v_cndmask_b32_e64 v246, v246, s0, vcc_lo
	s_add_i32 s0, s0, 1
	s_cmp_lg_u32 s8, s0
	s_cbranch_scc1 .LBB116_946
.LBB116_947:
	s_inst_prefetch 0x2
	s_waitcnt lgkmcnt(0)
	v_cmp_eq_f64_e32 vcc_lo, 0, v[238:239]
	v_cmp_eq_f64_e64 s0, 0, v[240:241]
	s_and_b32 s0, vcc_lo, s0
	s_and_saveexec_b32 s1, s0
	s_xor_b32 s0, exec_lo, s1
; %bb.948:
	v_cmp_ne_u32_e32 vcc_lo, 0, v251
	v_cndmask_b32_e32 v251, 46, v251, vcc_lo
; %bb.949:
	s_andn2_saveexec_b32 s0, s0
	s_cbranch_execz .LBB116_955
; %bb.950:
	v_cmp_ngt_f64_e64 s1, |v[238:239]|, |v[240:241]|
	s_and_saveexec_b32 s7, s1
	s_xor_b32 s1, exec_lo, s7
	s_cbranch_execz .LBB116_952
; %bb.951:
	v_div_scale_f64 v[214:215], null, v[240:241], v[240:241], v[238:239]
	v_div_scale_f64 v[220:221], vcc_lo, v[238:239], v[240:241], v[238:239]
	v_rcp_f64_e32 v[216:217], v[214:215]
	v_fma_f64 v[218:219], -v[214:215], v[216:217], 1.0
	v_fma_f64 v[216:217], v[216:217], v[218:219], v[216:217]
	v_fma_f64 v[218:219], -v[214:215], v[216:217], 1.0
	v_fma_f64 v[216:217], v[216:217], v[218:219], v[216:217]
	v_mul_f64 v[218:219], v[220:221], v[216:217]
	v_fma_f64 v[214:215], -v[214:215], v[218:219], v[220:221]
	v_div_fmas_f64 v[214:215], v[214:215], v[216:217], v[218:219]
	v_div_fixup_f64 v[214:215], v[214:215], v[240:241], v[238:239]
	v_fma_f64 v[216:217], v[238:239], v[214:215], v[240:241]
	v_div_scale_f64 v[218:219], null, v[216:217], v[216:217], 1.0
	v_rcp_f64_e32 v[220:221], v[218:219]
	v_fma_f64 v[222:223], -v[218:219], v[220:221], 1.0
	v_fma_f64 v[220:221], v[220:221], v[222:223], v[220:221]
	v_fma_f64 v[222:223], -v[218:219], v[220:221], 1.0
	v_fma_f64 v[220:221], v[220:221], v[222:223], v[220:221]
	v_div_scale_f64 v[222:223], vcc_lo, 1.0, v[216:217], 1.0
	v_mul_f64 v[224:225], v[222:223], v[220:221]
	v_fma_f64 v[218:219], -v[218:219], v[224:225], v[222:223]
	v_div_fmas_f64 v[218:219], v[218:219], v[220:221], v[224:225]
	v_div_fixup_f64 v[240:241], v[218:219], v[216:217], 1.0
	v_mul_f64 v[238:239], v[214:215], v[240:241]
	v_xor_b32_e32 v241, 0x80000000, v241
.LBB116_952:
	s_andn2_saveexec_b32 s1, s1
	s_cbranch_execz .LBB116_954
; %bb.953:
	v_div_scale_f64 v[214:215], null, v[238:239], v[238:239], v[240:241]
	v_div_scale_f64 v[220:221], vcc_lo, v[240:241], v[238:239], v[240:241]
	v_rcp_f64_e32 v[216:217], v[214:215]
	v_fma_f64 v[218:219], -v[214:215], v[216:217], 1.0
	v_fma_f64 v[216:217], v[216:217], v[218:219], v[216:217]
	v_fma_f64 v[218:219], -v[214:215], v[216:217], 1.0
	v_fma_f64 v[216:217], v[216:217], v[218:219], v[216:217]
	v_mul_f64 v[218:219], v[220:221], v[216:217]
	v_fma_f64 v[214:215], -v[214:215], v[218:219], v[220:221]
	v_div_fmas_f64 v[214:215], v[214:215], v[216:217], v[218:219]
	v_div_fixup_f64 v[214:215], v[214:215], v[238:239], v[240:241]
	v_fma_f64 v[216:217], v[240:241], v[214:215], v[238:239]
	v_div_scale_f64 v[218:219], null, v[216:217], v[216:217], 1.0
	v_rcp_f64_e32 v[220:221], v[218:219]
	v_fma_f64 v[222:223], -v[218:219], v[220:221], 1.0
	v_fma_f64 v[220:221], v[220:221], v[222:223], v[220:221]
	v_fma_f64 v[222:223], -v[218:219], v[220:221], 1.0
	v_fma_f64 v[220:221], v[220:221], v[222:223], v[220:221]
	v_div_scale_f64 v[222:223], vcc_lo, 1.0, v[216:217], 1.0
	v_mul_f64 v[224:225], v[222:223], v[220:221]
	v_fma_f64 v[218:219], -v[218:219], v[224:225], v[222:223]
	v_div_fmas_f64 v[218:219], v[218:219], v[220:221], v[224:225]
	v_div_fixup_f64 v[238:239], v[218:219], v[216:217], 1.0
	v_mul_f64 v[240:241], v[214:215], -v[238:239]
.LBB116_954:
	s_or_b32 exec_lo, exec_lo, s1
.LBB116_955:
	s_or_b32 exec_lo, exec_lo, s0
	s_mov_b32 s0, exec_lo
	v_cmpx_ne_u32_e64 v252, v246
	s_xor_b32 s0, exec_lo, s0
	s_cbranch_execz .LBB116_961
; %bb.956:
	s_mov_b32 s1, exec_lo
	v_cmpx_eq_u32_e32 45, v252
	s_cbranch_execz .LBB116_960
; %bb.957:
	v_cmp_ne_u32_e32 vcc_lo, 45, v246
	s_xor_b32 s7, s16, -1
	s_and_b32 s9, s7, vcc_lo
	s_and_saveexec_b32 s7, s9
	s_cbranch_execz .LBB116_959
; %bb.958:
	s_clause 0x1
	buffer_load_dword v210, off, s[20:23], 0 offset:16
	buffer_load_dword v211, off, s[20:23], 0 offset:20
	v_ashrrev_i32_e32 v247, 31, v246
	v_lshlrev_b64 v[214:215], 2, v[246:247]
	s_waitcnt vmcnt(1)
	v_add_co_u32 v214, vcc_lo, v210, v214
	s_waitcnt vmcnt(0)
	v_add_co_ci_u32_e64 v215, null, v211, v215, vcc_lo
	s_clause 0x1
	global_load_dword v0, v[214:215], off
	global_load_dword v216, v[210:211], off offset:180
	s_waitcnt vmcnt(1)
	global_store_dword v[210:211], v0, off offset:180
	s_waitcnt vmcnt(0)
	global_store_dword v[214:215], v216, off
.LBB116_959:
	s_or_b32 exec_lo, exec_lo, s7
	v_mov_b32_e32 v252, v246
	v_mov_b32_e32 v0, v246
.LBB116_960:
	s_or_b32 exec_lo, exec_lo, s1
.LBB116_961:
	s_andn2_saveexec_b32 s0, s0
	s_cbranch_execz .LBB116_963
; %bb.962:
	v_mov_b32_e32 v252, 45
	ds_write2_b64 v1, v[50:51], v[52:53] offset0:92 offset1:93
	ds_write2_b64 v1, v[46:47], v[48:49] offset0:94 offset1:95
	;; [unrolled: 1-line block ×13, first 2 shown]
.LBB116_963:
	s_or_b32 exec_lo, exec_lo, s0
	s_mov_b32 s0, exec_lo
	s_waitcnt lgkmcnt(0)
	s_waitcnt_vscnt null, 0x0
	s_barrier
	buffer_gl0_inv
	v_cmpx_lt_i32_e32 45, v252
	s_cbranch_execz .LBB116_965
; %bb.964:
	v_mul_f64 v[214:215], v[238:239], v[56:57]
	v_mul_f64 v[56:57], v[240:241], v[56:57]
	v_fma_f64 v[214:215], v[240:241], v[54:55], v[214:215]
	v_fma_f64 v[54:55], v[238:239], v[54:55], -v[56:57]
	ds_read2_b64 v[238:241], v1 offset0:92 offset1:93
	s_waitcnt lgkmcnt(0)
	v_mul_f64 v[56:57], v[240:241], v[214:215]
	v_mul_f64 v[216:217], v[238:239], v[214:215]
	v_fma_f64 v[56:57], v[238:239], v[54:55], -v[56:57]
	v_fma_f64 v[216:217], v[240:241], v[54:55], v[216:217]
	ds_read2_b64 v[238:241], v1 offset0:94 offset1:95
	v_add_f64 v[50:51], v[50:51], -v[56:57]
	v_add_f64 v[52:53], v[52:53], -v[216:217]
	s_waitcnt lgkmcnt(0)
	v_mul_f64 v[56:57], v[240:241], v[214:215]
	v_mul_f64 v[216:217], v[238:239], v[214:215]
	v_fma_f64 v[56:57], v[238:239], v[54:55], -v[56:57]
	v_fma_f64 v[216:217], v[240:241], v[54:55], v[216:217]
	ds_read2_b64 v[238:241], v1 offset0:96 offset1:97
	v_add_f64 v[46:47], v[46:47], -v[56:57]
	v_add_f64 v[48:49], v[48:49], -v[216:217]
	;; [unrolled: 8-line block ×12, first 2 shown]
	s_waitcnt lgkmcnt(0)
	v_mul_f64 v[56:57], v[240:241], v[214:215]
	v_mul_f64 v[216:217], v[238:239], v[214:215]
	v_fma_f64 v[56:57], v[238:239], v[54:55], -v[56:57]
	v_fma_f64 v[216:217], v[240:241], v[54:55], v[216:217]
	v_add_f64 v[226:227], v[226:227], -v[56:57]
	v_add_f64 v[228:229], v[228:229], -v[216:217]
	v_mov_b32_e32 v56, v214
	v_mov_b32_e32 v57, v215
.LBB116_965:
	s_or_b32 exec_lo, exec_lo, s0
	v_lshl_add_u32 v214, v252, 4, v1
	s_barrier
	buffer_gl0_inv
	v_mov_b32_e32 v246, 46
	ds_write2_b64 v214, v[50:51], v[52:53] offset1:1
	s_waitcnt lgkmcnt(0)
	s_barrier
	buffer_gl0_inv
	ds_read2_b64 v[238:241], v1 offset0:92 offset1:93
	s_cmp_lt_i32 s8, 48
	s_cbranch_scc1 .LBB116_968
; %bb.966:
	v_add3_u32 v247, v248, 0, 0x2f0
	v_mov_b32_e32 v246, 46
	s_mov_b32 s0, 47
	s_inst_prefetch 0x1
	.p2align	6
.LBB116_967:                            ; =>This Inner Loop Header: Depth=1
	s_waitcnt lgkmcnt(0)
	v_cmp_gt_f64_e32 vcc_lo, 0, v[238:239]
	v_xor_b32_e32 v214, 0x80000000, v239
	ds_read2_b64 v[242:245], v247 offset1:1
	v_xor_b32_e32 v216, 0x80000000, v241
	v_add_nc_u32_e32 v247, 16, v247
	s_waitcnt lgkmcnt(0)
	v_xor_b32_e32 v218, 0x80000000, v245
	v_cndmask_b32_e32 v215, v239, v214, vcc_lo
	v_cmp_gt_f64_e32 vcc_lo, 0, v[240:241]
	v_mov_b32_e32 v214, v238
	v_cndmask_b32_e32 v217, v241, v216, vcc_lo
	v_cmp_gt_f64_e32 vcc_lo, 0, v[242:243]
	v_mov_b32_e32 v216, v240
	v_add_f64 v[214:215], v[214:215], v[216:217]
	v_xor_b32_e32 v216, 0x80000000, v243
	v_cndmask_b32_e32 v217, v243, v216, vcc_lo
	v_cmp_gt_f64_e32 vcc_lo, 0, v[244:245]
	v_mov_b32_e32 v216, v242
	v_cndmask_b32_e32 v219, v245, v218, vcc_lo
	v_mov_b32_e32 v218, v244
	v_add_f64 v[216:217], v[216:217], v[218:219]
	v_cmp_lt_f64_e32 vcc_lo, v[214:215], v[216:217]
	v_cndmask_b32_e32 v239, v239, v243, vcc_lo
	v_cndmask_b32_e32 v238, v238, v242, vcc_lo
	;; [unrolled: 1-line block ×4, first 2 shown]
	v_cndmask_b32_e64 v246, v246, s0, vcc_lo
	s_add_i32 s0, s0, 1
	s_cmp_lg_u32 s8, s0
	s_cbranch_scc1 .LBB116_967
.LBB116_968:
	s_inst_prefetch 0x2
	s_waitcnt lgkmcnt(0)
	v_cmp_eq_f64_e32 vcc_lo, 0, v[238:239]
	v_cmp_eq_f64_e64 s0, 0, v[240:241]
	s_and_b32 s0, vcc_lo, s0
	s_and_saveexec_b32 s1, s0
	s_xor_b32 s0, exec_lo, s1
; %bb.969:
	v_cmp_ne_u32_e32 vcc_lo, 0, v251
	v_cndmask_b32_e32 v251, 47, v251, vcc_lo
; %bb.970:
	s_andn2_saveexec_b32 s0, s0
	s_cbranch_execz .LBB116_976
; %bb.971:
	v_cmp_ngt_f64_e64 s1, |v[238:239]|, |v[240:241]|
	s_and_saveexec_b32 s7, s1
	s_xor_b32 s1, exec_lo, s7
	s_cbranch_execz .LBB116_973
; %bb.972:
	v_div_scale_f64 v[214:215], null, v[240:241], v[240:241], v[238:239]
	v_div_scale_f64 v[220:221], vcc_lo, v[238:239], v[240:241], v[238:239]
	v_rcp_f64_e32 v[216:217], v[214:215]
	v_fma_f64 v[218:219], -v[214:215], v[216:217], 1.0
	v_fma_f64 v[216:217], v[216:217], v[218:219], v[216:217]
	v_fma_f64 v[218:219], -v[214:215], v[216:217], 1.0
	v_fma_f64 v[216:217], v[216:217], v[218:219], v[216:217]
	v_mul_f64 v[218:219], v[220:221], v[216:217]
	v_fma_f64 v[214:215], -v[214:215], v[218:219], v[220:221]
	v_div_fmas_f64 v[214:215], v[214:215], v[216:217], v[218:219]
	v_div_fixup_f64 v[214:215], v[214:215], v[240:241], v[238:239]
	v_fma_f64 v[216:217], v[238:239], v[214:215], v[240:241]
	v_div_scale_f64 v[218:219], null, v[216:217], v[216:217], 1.0
	v_rcp_f64_e32 v[220:221], v[218:219]
	v_fma_f64 v[222:223], -v[218:219], v[220:221], 1.0
	v_fma_f64 v[220:221], v[220:221], v[222:223], v[220:221]
	v_fma_f64 v[222:223], -v[218:219], v[220:221], 1.0
	v_fma_f64 v[220:221], v[220:221], v[222:223], v[220:221]
	v_div_scale_f64 v[222:223], vcc_lo, 1.0, v[216:217], 1.0
	v_mul_f64 v[224:225], v[222:223], v[220:221]
	v_fma_f64 v[218:219], -v[218:219], v[224:225], v[222:223]
	v_div_fmas_f64 v[218:219], v[218:219], v[220:221], v[224:225]
	v_div_fixup_f64 v[240:241], v[218:219], v[216:217], 1.0
	v_mul_f64 v[238:239], v[214:215], v[240:241]
	v_xor_b32_e32 v241, 0x80000000, v241
.LBB116_973:
	s_andn2_saveexec_b32 s1, s1
	s_cbranch_execz .LBB116_975
; %bb.974:
	v_div_scale_f64 v[214:215], null, v[238:239], v[238:239], v[240:241]
	v_div_scale_f64 v[220:221], vcc_lo, v[240:241], v[238:239], v[240:241]
	v_rcp_f64_e32 v[216:217], v[214:215]
	v_fma_f64 v[218:219], -v[214:215], v[216:217], 1.0
	v_fma_f64 v[216:217], v[216:217], v[218:219], v[216:217]
	v_fma_f64 v[218:219], -v[214:215], v[216:217], 1.0
	v_fma_f64 v[216:217], v[216:217], v[218:219], v[216:217]
	v_mul_f64 v[218:219], v[220:221], v[216:217]
	v_fma_f64 v[214:215], -v[214:215], v[218:219], v[220:221]
	v_div_fmas_f64 v[214:215], v[214:215], v[216:217], v[218:219]
	v_div_fixup_f64 v[214:215], v[214:215], v[238:239], v[240:241]
	v_fma_f64 v[216:217], v[240:241], v[214:215], v[238:239]
	v_div_scale_f64 v[218:219], null, v[216:217], v[216:217], 1.0
	v_rcp_f64_e32 v[220:221], v[218:219]
	v_fma_f64 v[222:223], -v[218:219], v[220:221], 1.0
	v_fma_f64 v[220:221], v[220:221], v[222:223], v[220:221]
	v_fma_f64 v[222:223], -v[218:219], v[220:221], 1.0
	v_fma_f64 v[220:221], v[220:221], v[222:223], v[220:221]
	v_div_scale_f64 v[222:223], vcc_lo, 1.0, v[216:217], 1.0
	v_mul_f64 v[224:225], v[222:223], v[220:221]
	v_fma_f64 v[218:219], -v[218:219], v[224:225], v[222:223]
	v_div_fmas_f64 v[218:219], v[218:219], v[220:221], v[224:225]
	v_div_fixup_f64 v[238:239], v[218:219], v[216:217], 1.0
	v_mul_f64 v[240:241], v[214:215], -v[238:239]
.LBB116_975:
	s_or_b32 exec_lo, exec_lo, s1
.LBB116_976:
	s_or_b32 exec_lo, exec_lo, s0
	s_mov_b32 s0, exec_lo
	v_cmpx_ne_u32_e64 v252, v246
	s_xor_b32 s0, exec_lo, s0
	s_cbranch_execz .LBB116_982
; %bb.977:
	s_mov_b32 s1, exec_lo
	v_cmpx_eq_u32_e32 46, v252
	s_cbranch_execz .LBB116_981
; %bb.978:
	v_cmp_ne_u32_e32 vcc_lo, 46, v246
	s_xor_b32 s7, s16, -1
	s_and_b32 s9, s7, vcc_lo
	s_and_saveexec_b32 s7, s9
	s_cbranch_execz .LBB116_980
; %bb.979:
	s_clause 0x1
	buffer_load_dword v210, off, s[20:23], 0 offset:16
	buffer_load_dword v211, off, s[20:23], 0 offset:20
	v_ashrrev_i32_e32 v247, 31, v246
	v_lshlrev_b64 v[214:215], 2, v[246:247]
	s_waitcnt vmcnt(1)
	v_add_co_u32 v214, vcc_lo, v210, v214
	s_waitcnt vmcnt(0)
	v_add_co_ci_u32_e64 v215, null, v211, v215, vcc_lo
	s_clause 0x1
	global_load_dword v0, v[214:215], off
	global_load_dword v216, v[210:211], off offset:184
	s_waitcnt vmcnt(1)
	global_store_dword v[210:211], v0, off offset:184
	s_waitcnt vmcnt(0)
	global_store_dword v[214:215], v216, off
.LBB116_980:
	s_or_b32 exec_lo, exec_lo, s7
	v_mov_b32_e32 v252, v246
	v_mov_b32_e32 v0, v246
.LBB116_981:
	s_or_b32 exec_lo, exec_lo, s1
.LBB116_982:
	s_andn2_saveexec_b32 s0, s0
	s_cbranch_execz .LBB116_984
; %bb.983:
	v_mov_b32_e32 v252, 46
	ds_write2_b64 v1, v[46:47], v[48:49] offset0:94 offset1:95
	ds_write2_b64 v1, v[42:43], v[44:45] offset0:96 offset1:97
	;; [unrolled: 1-line block ×12, first 2 shown]
.LBB116_984:
	s_or_b32 exec_lo, exec_lo, s0
	s_mov_b32 s0, exec_lo
	s_waitcnt lgkmcnt(0)
	s_waitcnt_vscnt null, 0x0
	s_barrier
	buffer_gl0_inv
	v_cmpx_lt_i32_e32 46, v252
	s_cbranch_execz .LBB116_986
; %bb.985:
	v_mul_f64 v[214:215], v[238:239], v[52:53]
	v_mul_f64 v[52:53], v[240:241], v[52:53]
	v_fma_f64 v[214:215], v[240:241], v[50:51], v[214:215]
	v_fma_f64 v[50:51], v[238:239], v[50:51], -v[52:53]
	ds_read2_b64 v[238:241], v1 offset0:94 offset1:95
	s_waitcnt lgkmcnt(0)
	v_mul_f64 v[52:53], v[240:241], v[214:215]
	v_mul_f64 v[216:217], v[238:239], v[214:215]
	v_fma_f64 v[52:53], v[238:239], v[50:51], -v[52:53]
	v_fma_f64 v[216:217], v[240:241], v[50:51], v[216:217]
	ds_read2_b64 v[238:241], v1 offset0:96 offset1:97
	v_add_f64 v[46:47], v[46:47], -v[52:53]
	v_add_f64 v[48:49], v[48:49], -v[216:217]
	s_waitcnt lgkmcnt(0)
	v_mul_f64 v[52:53], v[240:241], v[214:215]
	v_mul_f64 v[216:217], v[238:239], v[214:215]
	v_fma_f64 v[52:53], v[238:239], v[50:51], -v[52:53]
	v_fma_f64 v[216:217], v[240:241], v[50:51], v[216:217]
	ds_read2_b64 v[238:241], v1 offset0:98 offset1:99
	v_add_f64 v[42:43], v[42:43], -v[52:53]
	v_add_f64 v[44:45], v[44:45], -v[216:217]
	;; [unrolled: 8-line block ×11, first 2 shown]
	s_waitcnt lgkmcnt(0)
	v_mul_f64 v[52:53], v[240:241], v[214:215]
	v_mul_f64 v[216:217], v[238:239], v[214:215]
	v_fma_f64 v[52:53], v[238:239], v[50:51], -v[52:53]
	v_fma_f64 v[216:217], v[240:241], v[50:51], v[216:217]
	v_add_f64 v[226:227], v[226:227], -v[52:53]
	v_add_f64 v[228:229], v[228:229], -v[216:217]
	v_mov_b32_e32 v52, v214
	v_mov_b32_e32 v53, v215
.LBB116_986:
	s_or_b32 exec_lo, exec_lo, s0
	v_lshl_add_u32 v214, v252, 4, v1
	s_barrier
	buffer_gl0_inv
	v_mov_b32_e32 v246, 47
	ds_write2_b64 v214, v[46:47], v[48:49] offset1:1
	s_waitcnt lgkmcnt(0)
	s_barrier
	buffer_gl0_inv
	ds_read2_b64 v[238:241], v1 offset0:94 offset1:95
	s_cmp_lt_i32 s8, 49
	s_cbranch_scc1 .LBB116_989
; %bb.987:
	v_add3_u32 v247, v248, 0, 0x300
	v_mov_b32_e32 v246, 47
	s_mov_b32 s0, 48
	s_inst_prefetch 0x1
	.p2align	6
.LBB116_988:                            ; =>This Inner Loop Header: Depth=1
	s_waitcnt lgkmcnt(0)
	v_cmp_gt_f64_e32 vcc_lo, 0, v[238:239]
	v_xor_b32_e32 v214, 0x80000000, v239
	ds_read2_b64 v[242:245], v247 offset1:1
	v_xor_b32_e32 v216, 0x80000000, v241
	v_add_nc_u32_e32 v247, 16, v247
	s_waitcnt lgkmcnt(0)
	v_xor_b32_e32 v218, 0x80000000, v245
	v_cndmask_b32_e32 v215, v239, v214, vcc_lo
	v_cmp_gt_f64_e32 vcc_lo, 0, v[240:241]
	v_mov_b32_e32 v214, v238
	v_cndmask_b32_e32 v217, v241, v216, vcc_lo
	v_cmp_gt_f64_e32 vcc_lo, 0, v[242:243]
	v_mov_b32_e32 v216, v240
	v_add_f64 v[214:215], v[214:215], v[216:217]
	v_xor_b32_e32 v216, 0x80000000, v243
	v_cndmask_b32_e32 v217, v243, v216, vcc_lo
	v_cmp_gt_f64_e32 vcc_lo, 0, v[244:245]
	v_mov_b32_e32 v216, v242
	v_cndmask_b32_e32 v219, v245, v218, vcc_lo
	v_mov_b32_e32 v218, v244
	v_add_f64 v[216:217], v[216:217], v[218:219]
	v_cmp_lt_f64_e32 vcc_lo, v[214:215], v[216:217]
	v_cndmask_b32_e32 v239, v239, v243, vcc_lo
	v_cndmask_b32_e32 v238, v238, v242, vcc_lo
	;; [unrolled: 1-line block ×4, first 2 shown]
	v_cndmask_b32_e64 v246, v246, s0, vcc_lo
	s_add_i32 s0, s0, 1
	s_cmp_lg_u32 s8, s0
	s_cbranch_scc1 .LBB116_988
.LBB116_989:
	s_inst_prefetch 0x2
	s_waitcnt lgkmcnt(0)
	v_cmp_eq_f64_e32 vcc_lo, 0, v[238:239]
	v_cmp_eq_f64_e64 s0, 0, v[240:241]
	s_and_b32 s0, vcc_lo, s0
	s_and_saveexec_b32 s1, s0
	s_xor_b32 s0, exec_lo, s1
; %bb.990:
	v_cmp_ne_u32_e32 vcc_lo, 0, v251
	v_cndmask_b32_e32 v251, 48, v251, vcc_lo
; %bb.991:
	s_andn2_saveexec_b32 s0, s0
	s_cbranch_execz .LBB116_997
; %bb.992:
	v_cmp_ngt_f64_e64 s1, |v[238:239]|, |v[240:241]|
	s_and_saveexec_b32 s7, s1
	s_xor_b32 s1, exec_lo, s7
	s_cbranch_execz .LBB116_994
; %bb.993:
	v_div_scale_f64 v[214:215], null, v[240:241], v[240:241], v[238:239]
	v_div_scale_f64 v[220:221], vcc_lo, v[238:239], v[240:241], v[238:239]
	v_rcp_f64_e32 v[216:217], v[214:215]
	v_fma_f64 v[218:219], -v[214:215], v[216:217], 1.0
	v_fma_f64 v[216:217], v[216:217], v[218:219], v[216:217]
	v_fma_f64 v[218:219], -v[214:215], v[216:217], 1.0
	v_fma_f64 v[216:217], v[216:217], v[218:219], v[216:217]
	v_mul_f64 v[218:219], v[220:221], v[216:217]
	v_fma_f64 v[214:215], -v[214:215], v[218:219], v[220:221]
	v_div_fmas_f64 v[214:215], v[214:215], v[216:217], v[218:219]
	v_div_fixup_f64 v[214:215], v[214:215], v[240:241], v[238:239]
	v_fma_f64 v[216:217], v[238:239], v[214:215], v[240:241]
	v_div_scale_f64 v[218:219], null, v[216:217], v[216:217], 1.0
	v_rcp_f64_e32 v[220:221], v[218:219]
	v_fma_f64 v[222:223], -v[218:219], v[220:221], 1.0
	v_fma_f64 v[220:221], v[220:221], v[222:223], v[220:221]
	v_fma_f64 v[222:223], -v[218:219], v[220:221], 1.0
	v_fma_f64 v[220:221], v[220:221], v[222:223], v[220:221]
	v_div_scale_f64 v[222:223], vcc_lo, 1.0, v[216:217], 1.0
	v_mul_f64 v[224:225], v[222:223], v[220:221]
	v_fma_f64 v[218:219], -v[218:219], v[224:225], v[222:223]
	v_div_fmas_f64 v[218:219], v[218:219], v[220:221], v[224:225]
	v_div_fixup_f64 v[240:241], v[218:219], v[216:217], 1.0
	v_mul_f64 v[238:239], v[214:215], v[240:241]
	v_xor_b32_e32 v241, 0x80000000, v241
.LBB116_994:
	s_andn2_saveexec_b32 s1, s1
	s_cbranch_execz .LBB116_996
; %bb.995:
	v_div_scale_f64 v[214:215], null, v[238:239], v[238:239], v[240:241]
	v_div_scale_f64 v[220:221], vcc_lo, v[240:241], v[238:239], v[240:241]
	v_rcp_f64_e32 v[216:217], v[214:215]
	v_fma_f64 v[218:219], -v[214:215], v[216:217], 1.0
	v_fma_f64 v[216:217], v[216:217], v[218:219], v[216:217]
	v_fma_f64 v[218:219], -v[214:215], v[216:217], 1.0
	v_fma_f64 v[216:217], v[216:217], v[218:219], v[216:217]
	v_mul_f64 v[218:219], v[220:221], v[216:217]
	v_fma_f64 v[214:215], -v[214:215], v[218:219], v[220:221]
	v_div_fmas_f64 v[214:215], v[214:215], v[216:217], v[218:219]
	v_div_fixup_f64 v[214:215], v[214:215], v[238:239], v[240:241]
	v_fma_f64 v[216:217], v[240:241], v[214:215], v[238:239]
	v_div_scale_f64 v[218:219], null, v[216:217], v[216:217], 1.0
	v_rcp_f64_e32 v[220:221], v[218:219]
	v_fma_f64 v[222:223], -v[218:219], v[220:221], 1.0
	v_fma_f64 v[220:221], v[220:221], v[222:223], v[220:221]
	v_fma_f64 v[222:223], -v[218:219], v[220:221], 1.0
	v_fma_f64 v[220:221], v[220:221], v[222:223], v[220:221]
	v_div_scale_f64 v[222:223], vcc_lo, 1.0, v[216:217], 1.0
	v_mul_f64 v[224:225], v[222:223], v[220:221]
	v_fma_f64 v[218:219], -v[218:219], v[224:225], v[222:223]
	v_div_fmas_f64 v[218:219], v[218:219], v[220:221], v[224:225]
	v_div_fixup_f64 v[238:239], v[218:219], v[216:217], 1.0
	v_mul_f64 v[240:241], v[214:215], -v[238:239]
.LBB116_996:
	s_or_b32 exec_lo, exec_lo, s1
.LBB116_997:
	s_or_b32 exec_lo, exec_lo, s0
	s_mov_b32 s0, exec_lo
	v_cmpx_ne_u32_e64 v252, v246
	s_xor_b32 s0, exec_lo, s0
	s_cbranch_execz .LBB116_1003
; %bb.998:
	s_mov_b32 s1, exec_lo
	v_cmpx_eq_u32_e32 47, v252
	s_cbranch_execz .LBB116_1002
; %bb.999:
	v_cmp_ne_u32_e32 vcc_lo, 47, v246
	s_xor_b32 s7, s16, -1
	s_and_b32 s9, s7, vcc_lo
	s_and_saveexec_b32 s7, s9
	s_cbranch_execz .LBB116_1001
; %bb.1000:
	s_clause 0x1
	buffer_load_dword v210, off, s[20:23], 0 offset:16
	buffer_load_dword v211, off, s[20:23], 0 offset:20
	v_ashrrev_i32_e32 v247, 31, v246
	v_lshlrev_b64 v[214:215], 2, v[246:247]
	s_waitcnt vmcnt(1)
	v_add_co_u32 v214, vcc_lo, v210, v214
	s_waitcnt vmcnt(0)
	v_add_co_ci_u32_e64 v215, null, v211, v215, vcc_lo
	s_clause 0x1
	global_load_dword v0, v[214:215], off
	global_load_dword v216, v[210:211], off offset:188
	s_waitcnt vmcnt(1)
	global_store_dword v[210:211], v0, off offset:188
	s_waitcnt vmcnt(0)
	global_store_dword v[214:215], v216, off
.LBB116_1001:
	s_or_b32 exec_lo, exec_lo, s7
	v_mov_b32_e32 v252, v246
	v_mov_b32_e32 v0, v246
.LBB116_1002:
	s_or_b32 exec_lo, exec_lo, s1
.LBB116_1003:
	s_andn2_saveexec_b32 s0, s0
	s_cbranch_execz .LBB116_1005
; %bb.1004:
	v_mov_b32_e32 v252, 47
	ds_write2_b64 v1, v[42:43], v[44:45] offset0:96 offset1:97
	ds_write2_b64 v1, v[38:39], v[40:41] offset0:98 offset1:99
	;; [unrolled: 1-line block ×11, first 2 shown]
.LBB116_1005:
	s_or_b32 exec_lo, exec_lo, s0
	s_mov_b32 s0, exec_lo
	s_waitcnt lgkmcnt(0)
	s_waitcnt_vscnt null, 0x0
	s_barrier
	buffer_gl0_inv
	v_cmpx_lt_i32_e32 47, v252
	s_cbranch_execz .LBB116_1007
; %bb.1006:
	v_mul_f64 v[214:215], v[238:239], v[48:49]
	v_mul_f64 v[48:49], v[240:241], v[48:49]
	v_fma_f64 v[214:215], v[240:241], v[46:47], v[214:215]
	v_fma_f64 v[46:47], v[238:239], v[46:47], -v[48:49]
	ds_read2_b64 v[238:241], v1 offset0:96 offset1:97
	s_waitcnt lgkmcnt(0)
	v_mul_f64 v[48:49], v[240:241], v[214:215]
	v_mul_f64 v[216:217], v[238:239], v[214:215]
	v_fma_f64 v[48:49], v[238:239], v[46:47], -v[48:49]
	v_fma_f64 v[216:217], v[240:241], v[46:47], v[216:217]
	ds_read2_b64 v[238:241], v1 offset0:98 offset1:99
	v_add_f64 v[42:43], v[42:43], -v[48:49]
	v_add_f64 v[44:45], v[44:45], -v[216:217]
	s_waitcnt lgkmcnt(0)
	v_mul_f64 v[48:49], v[240:241], v[214:215]
	v_mul_f64 v[216:217], v[238:239], v[214:215]
	v_fma_f64 v[48:49], v[238:239], v[46:47], -v[48:49]
	v_fma_f64 v[216:217], v[240:241], v[46:47], v[216:217]
	ds_read2_b64 v[238:241], v1 offset0:100 offset1:101
	v_add_f64 v[38:39], v[38:39], -v[48:49]
	v_add_f64 v[40:41], v[40:41], -v[216:217]
	;; [unrolled: 8-line block ×10, first 2 shown]
	s_waitcnt lgkmcnt(0)
	v_mul_f64 v[48:49], v[240:241], v[214:215]
	v_mul_f64 v[216:217], v[238:239], v[214:215]
	v_fma_f64 v[48:49], v[238:239], v[46:47], -v[48:49]
	v_fma_f64 v[216:217], v[240:241], v[46:47], v[216:217]
	v_add_f64 v[226:227], v[226:227], -v[48:49]
	v_add_f64 v[228:229], v[228:229], -v[216:217]
	v_mov_b32_e32 v48, v214
	v_mov_b32_e32 v49, v215
.LBB116_1007:
	s_or_b32 exec_lo, exec_lo, s0
	v_lshl_add_u32 v214, v252, 4, v1
	s_barrier
	buffer_gl0_inv
	v_mov_b32_e32 v246, 48
	ds_write2_b64 v214, v[42:43], v[44:45] offset1:1
	s_waitcnt lgkmcnt(0)
	s_barrier
	buffer_gl0_inv
	ds_read2_b64 v[238:241], v1 offset0:96 offset1:97
	s_cmp_lt_i32 s8, 50
	s_cbranch_scc1 .LBB116_1010
; %bb.1008:
	v_add3_u32 v247, v248, 0, 0x310
	v_mov_b32_e32 v246, 48
	s_mov_b32 s0, 49
	s_inst_prefetch 0x1
	.p2align	6
.LBB116_1009:                           ; =>This Inner Loop Header: Depth=1
	s_waitcnt lgkmcnt(0)
	v_cmp_gt_f64_e32 vcc_lo, 0, v[238:239]
	v_xor_b32_e32 v214, 0x80000000, v239
	ds_read2_b64 v[242:245], v247 offset1:1
	v_xor_b32_e32 v216, 0x80000000, v241
	v_add_nc_u32_e32 v247, 16, v247
	s_waitcnt lgkmcnt(0)
	v_xor_b32_e32 v218, 0x80000000, v245
	v_cndmask_b32_e32 v215, v239, v214, vcc_lo
	v_cmp_gt_f64_e32 vcc_lo, 0, v[240:241]
	v_mov_b32_e32 v214, v238
	v_cndmask_b32_e32 v217, v241, v216, vcc_lo
	v_cmp_gt_f64_e32 vcc_lo, 0, v[242:243]
	v_mov_b32_e32 v216, v240
	v_add_f64 v[214:215], v[214:215], v[216:217]
	v_xor_b32_e32 v216, 0x80000000, v243
	v_cndmask_b32_e32 v217, v243, v216, vcc_lo
	v_cmp_gt_f64_e32 vcc_lo, 0, v[244:245]
	v_mov_b32_e32 v216, v242
	v_cndmask_b32_e32 v219, v245, v218, vcc_lo
	v_mov_b32_e32 v218, v244
	v_add_f64 v[216:217], v[216:217], v[218:219]
	v_cmp_lt_f64_e32 vcc_lo, v[214:215], v[216:217]
	v_cndmask_b32_e32 v239, v239, v243, vcc_lo
	v_cndmask_b32_e32 v238, v238, v242, vcc_lo
	;; [unrolled: 1-line block ×4, first 2 shown]
	v_cndmask_b32_e64 v246, v246, s0, vcc_lo
	s_add_i32 s0, s0, 1
	s_cmp_lg_u32 s8, s0
	s_cbranch_scc1 .LBB116_1009
.LBB116_1010:
	s_inst_prefetch 0x2
	s_waitcnt lgkmcnt(0)
	v_cmp_eq_f64_e32 vcc_lo, 0, v[238:239]
	v_cmp_eq_f64_e64 s0, 0, v[240:241]
	s_and_b32 s0, vcc_lo, s0
	s_and_saveexec_b32 s1, s0
	s_xor_b32 s0, exec_lo, s1
; %bb.1011:
	v_cmp_ne_u32_e32 vcc_lo, 0, v251
	v_cndmask_b32_e32 v251, 49, v251, vcc_lo
; %bb.1012:
	s_andn2_saveexec_b32 s0, s0
	s_cbranch_execz .LBB116_1018
; %bb.1013:
	v_cmp_ngt_f64_e64 s1, |v[238:239]|, |v[240:241]|
	s_and_saveexec_b32 s7, s1
	s_xor_b32 s1, exec_lo, s7
	s_cbranch_execz .LBB116_1015
; %bb.1014:
	v_div_scale_f64 v[214:215], null, v[240:241], v[240:241], v[238:239]
	v_div_scale_f64 v[220:221], vcc_lo, v[238:239], v[240:241], v[238:239]
	v_rcp_f64_e32 v[216:217], v[214:215]
	v_fma_f64 v[218:219], -v[214:215], v[216:217], 1.0
	v_fma_f64 v[216:217], v[216:217], v[218:219], v[216:217]
	v_fma_f64 v[218:219], -v[214:215], v[216:217], 1.0
	v_fma_f64 v[216:217], v[216:217], v[218:219], v[216:217]
	v_mul_f64 v[218:219], v[220:221], v[216:217]
	v_fma_f64 v[214:215], -v[214:215], v[218:219], v[220:221]
	v_div_fmas_f64 v[214:215], v[214:215], v[216:217], v[218:219]
	v_div_fixup_f64 v[214:215], v[214:215], v[240:241], v[238:239]
	v_fma_f64 v[216:217], v[238:239], v[214:215], v[240:241]
	v_div_scale_f64 v[218:219], null, v[216:217], v[216:217], 1.0
	v_rcp_f64_e32 v[220:221], v[218:219]
	v_fma_f64 v[222:223], -v[218:219], v[220:221], 1.0
	v_fma_f64 v[220:221], v[220:221], v[222:223], v[220:221]
	v_fma_f64 v[222:223], -v[218:219], v[220:221], 1.0
	v_fma_f64 v[220:221], v[220:221], v[222:223], v[220:221]
	v_div_scale_f64 v[222:223], vcc_lo, 1.0, v[216:217], 1.0
	v_mul_f64 v[224:225], v[222:223], v[220:221]
	v_fma_f64 v[218:219], -v[218:219], v[224:225], v[222:223]
	v_div_fmas_f64 v[218:219], v[218:219], v[220:221], v[224:225]
	v_div_fixup_f64 v[240:241], v[218:219], v[216:217], 1.0
	v_mul_f64 v[238:239], v[214:215], v[240:241]
	v_xor_b32_e32 v241, 0x80000000, v241
.LBB116_1015:
	s_andn2_saveexec_b32 s1, s1
	s_cbranch_execz .LBB116_1017
; %bb.1016:
	v_div_scale_f64 v[214:215], null, v[238:239], v[238:239], v[240:241]
	v_div_scale_f64 v[220:221], vcc_lo, v[240:241], v[238:239], v[240:241]
	v_rcp_f64_e32 v[216:217], v[214:215]
	v_fma_f64 v[218:219], -v[214:215], v[216:217], 1.0
	v_fma_f64 v[216:217], v[216:217], v[218:219], v[216:217]
	v_fma_f64 v[218:219], -v[214:215], v[216:217], 1.0
	v_fma_f64 v[216:217], v[216:217], v[218:219], v[216:217]
	v_mul_f64 v[218:219], v[220:221], v[216:217]
	v_fma_f64 v[214:215], -v[214:215], v[218:219], v[220:221]
	v_div_fmas_f64 v[214:215], v[214:215], v[216:217], v[218:219]
	v_div_fixup_f64 v[214:215], v[214:215], v[238:239], v[240:241]
	v_fma_f64 v[216:217], v[240:241], v[214:215], v[238:239]
	v_div_scale_f64 v[218:219], null, v[216:217], v[216:217], 1.0
	v_rcp_f64_e32 v[220:221], v[218:219]
	v_fma_f64 v[222:223], -v[218:219], v[220:221], 1.0
	v_fma_f64 v[220:221], v[220:221], v[222:223], v[220:221]
	v_fma_f64 v[222:223], -v[218:219], v[220:221], 1.0
	v_fma_f64 v[220:221], v[220:221], v[222:223], v[220:221]
	v_div_scale_f64 v[222:223], vcc_lo, 1.0, v[216:217], 1.0
	v_mul_f64 v[224:225], v[222:223], v[220:221]
	v_fma_f64 v[218:219], -v[218:219], v[224:225], v[222:223]
	v_div_fmas_f64 v[218:219], v[218:219], v[220:221], v[224:225]
	v_div_fixup_f64 v[238:239], v[218:219], v[216:217], 1.0
	v_mul_f64 v[240:241], v[214:215], -v[238:239]
.LBB116_1017:
	s_or_b32 exec_lo, exec_lo, s1
.LBB116_1018:
	s_or_b32 exec_lo, exec_lo, s0
	s_mov_b32 s0, exec_lo
	v_cmpx_ne_u32_e64 v252, v246
	s_xor_b32 s0, exec_lo, s0
	s_cbranch_execz .LBB116_1024
; %bb.1019:
	s_mov_b32 s1, exec_lo
	v_cmpx_eq_u32_e32 48, v252
	s_cbranch_execz .LBB116_1023
; %bb.1020:
	v_cmp_ne_u32_e32 vcc_lo, 48, v246
	s_xor_b32 s7, s16, -1
	s_and_b32 s9, s7, vcc_lo
	s_and_saveexec_b32 s7, s9
	s_cbranch_execz .LBB116_1022
; %bb.1021:
	s_clause 0x1
	buffer_load_dword v210, off, s[20:23], 0 offset:16
	buffer_load_dword v211, off, s[20:23], 0 offset:20
	v_ashrrev_i32_e32 v247, 31, v246
	v_lshlrev_b64 v[214:215], 2, v[246:247]
	s_waitcnt vmcnt(1)
	v_add_co_u32 v214, vcc_lo, v210, v214
	s_waitcnt vmcnt(0)
	v_add_co_ci_u32_e64 v215, null, v211, v215, vcc_lo
	s_clause 0x1
	global_load_dword v0, v[214:215], off
	global_load_dword v216, v[210:211], off offset:192
	s_waitcnt vmcnt(1)
	global_store_dword v[210:211], v0, off offset:192
	s_waitcnt vmcnt(0)
	global_store_dword v[214:215], v216, off
.LBB116_1022:
	s_or_b32 exec_lo, exec_lo, s7
	v_mov_b32_e32 v252, v246
	v_mov_b32_e32 v0, v246
.LBB116_1023:
	s_or_b32 exec_lo, exec_lo, s1
.LBB116_1024:
	s_andn2_saveexec_b32 s0, s0
	s_cbranch_execz .LBB116_1026
; %bb.1025:
	v_mov_b32_e32 v252, 48
	ds_write2_b64 v1, v[38:39], v[40:41] offset0:98 offset1:99
	ds_write2_b64 v1, v[34:35], v[36:37] offset0:100 offset1:101
	;; [unrolled: 1-line block ×10, first 2 shown]
.LBB116_1026:
	s_or_b32 exec_lo, exec_lo, s0
	s_mov_b32 s0, exec_lo
	s_waitcnt lgkmcnt(0)
	s_waitcnt_vscnt null, 0x0
	s_barrier
	buffer_gl0_inv
	v_cmpx_lt_i32_e32 48, v252
	s_cbranch_execz .LBB116_1028
; %bb.1027:
	v_mul_f64 v[214:215], v[238:239], v[44:45]
	v_mul_f64 v[44:45], v[240:241], v[44:45]
	v_fma_f64 v[214:215], v[240:241], v[42:43], v[214:215]
	v_fma_f64 v[42:43], v[238:239], v[42:43], -v[44:45]
	ds_read2_b64 v[238:241], v1 offset0:98 offset1:99
	s_waitcnt lgkmcnt(0)
	v_mul_f64 v[44:45], v[240:241], v[214:215]
	v_mul_f64 v[216:217], v[238:239], v[214:215]
	v_fma_f64 v[44:45], v[238:239], v[42:43], -v[44:45]
	v_fma_f64 v[216:217], v[240:241], v[42:43], v[216:217]
	ds_read2_b64 v[238:241], v1 offset0:100 offset1:101
	v_add_f64 v[38:39], v[38:39], -v[44:45]
	v_add_f64 v[40:41], v[40:41], -v[216:217]
	s_waitcnt lgkmcnt(0)
	v_mul_f64 v[44:45], v[240:241], v[214:215]
	v_mul_f64 v[216:217], v[238:239], v[214:215]
	v_fma_f64 v[44:45], v[238:239], v[42:43], -v[44:45]
	v_fma_f64 v[216:217], v[240:241], v[42:43], v[216:217]
	ds_read2_b64 v[238:241], v1 offset0:102 offset1:103
	v_add_f64 v[34:35], v[34:35], -v[44:45]
	v_add_f64 v[36:37], v[36:37], -v[216:217]
	;; [unrolled: 8-line block ×9, first 2 shown]
	s_waitcnt lgkmcnt(0)
	v_mul_f64 v[44:45], v[240:241], v[214:215]
	v_mul_f64 v[216:217], v[238:239], v[214:215]
	v_fma_f64 v[44:45], v[238:239], v[42:43], -v[44:45]
	v_fma_f64 v[216:217], v[240:241], v[42:43], v[216:217]
	v_add_f64 v[226:227], v[226:227], -v[44:45]
	v_add_f64 v[228:229], v[228:229], -v[216:217]
	v_mov_b32_e32 v44, v214
	v_mov_b32_e32 v45, v215
.LBB116_1028:
	s_or_b32 exec_lo, exec_lo, s0
	v_lshl_add_u32 v214, v252, 4, v1
	s_barrier
	buffer_gl0_inv
	v_mov_b32_e32 v246, 49
	ds_write2_b64 v214, v[38:39], v[40:41] offset1:1
	s_waitcnt lgkmcnt(0)
	s_barrier
	buffer_gl0_inv
	ds_read2_b64 v[238:241], v1 offset0:98 offset1:99
	s_cmp_lt_i32 s8, 51
	s_cbranch_scc1 .LBB116_1031
; %bb.1029:
	v_add3_u32 v247, v248, 0, 0x320
	v_mov_b32_e32 v246, 49
	s_mov_b32 s0, 50
	s_inst_prefetch 0x1
	.p2align	6
.LBB116_1030:                           ; =>This Inner Loop Header: Depth=1
	s_waitcnt lgkmcnt(0)
	v_cmp_gt_f64_e32 vcc_lo, 0, v[238:239]
	v_xor_b32_e32 v214, 0x80000000, v239
	ds_read2_b64 v[242:245], v247 offset1:1
	v_xor_b32_e32 v216, 0x80000000, v241
	v_add_nc_u32_e32 v247, 16, v247
	s_waitcnt lgkmcnt(0)
	v_xor_b32_e32 v218, 0x80000000, v245
	v_cndmask_b32_e32 v215, v239, v214, vcc_lo
	v_cmp_gt_f64_e32 vcc_lo, 0, v[240:241]
	v_mov_b32_e32 v214, v238
	v_cndmask_b32_e32 v217, v241, v216, vcc_lo
	v_cmp_gt_f64_e32 vcc_lo, 0, v[242:243]
	v_mov_b32_e32 v216, v240
	v_add_f64 v[214:215], v[214:215], v[216:217]
	v_xor_b32_e32 v216, 0x80000000, v243
	v_cndmask_b32_e32 v217, v243, v216, vcc_lo
	v_cmp_gt_f64_e32 vcc_lo, 0, v[244:245]
	v_mov_b32_e32 v216, v242
	v_cndmask_b32_e32 v219, v245, v218, vcc_lo
	v_mov_b32_e32 v218, v244
	v_add_f64 v[216:217], v[216:217], v[218:219]
	v_cmp_lt_f64_e32 vcc_lo, v[214:215], v[216:217]
	v_cndmask_b32_e32 v239, v239, v243, vcc_lo
	v_cndmask_b32_e32 v238, v238, v242, vcc_lo
	;; [unrolled: 1-line block ×4, first 2 shown]
	v_cndmask_b32_e64 v246, v246, s0, vcc_lo
	s_add_i32 s0, s0, 1
	s_cmp_lg_u32 s8, s0
	s_cbranch_scc1 .LBB116_1030
.LBB116_1031:
	s_inst_prefetch 0x2
	s_waitcnt lgkmcnt(0)
	v_cmp_eq_f64_e32 vcc_lo, 0, v[238:239]
	v_cmp_eq_f64_e64 s0, 0, v[240:241]
	s_and_b32 s0, vcc_lo, s0
	s_and_saveexec_b32 s1, s0
	s_xor_b32 s0, exec_lo, s1
; %bb.1032:
	v_cmp_ne_u32_e32 vcc_lo, 0, v251
	v_cndmask_b32_e32 v251, 50, v251, vcc_lo
; %bb.1033:
	s_andn2_saveexec_b32 s0, s0
	s_cbranch_execz .LBB116_1039
; %bb.1034:
	v_cmp_ngt_f64_e64 s1, |v[238:239]|, |v[240:241]|
	s_and_saveexec_b32 s7, s1
	s_xor_b32 s1, exec_lo, s7
	s_cbranch_execz .LBB116_1036
; %bb.1035:
	v_div_scale_f64 v[214:215], null, v[240:241], v[240:241], v[238:239]
	v_div_scale_f64 v[220:221], vcc_lo, v[238:239], v[240:241], v[238:239]
	v_rcp_f64_e32 v[216:217], v[214:215]
	v_fma_f64 v[218:219], -v[214:215], v[216:217], 1.0
	v_fma_f64 v[216:217], v[216:217], v[218:219], v[216:217]
	v_fma_f64 v[218:219], -v[214:215], v[216:217], 1.0
	v_fma_f64 v[216:217], v[216:217], v[218:219], v[216:217]
	v_mul_f64 v[218:219], v[220:221], v[216:217]
	v_fma_f64 v[214:215], -v[214:215], v[218:219], v[220:221]
	v_div_fmas_f64 v[214:215], v[214:215], v[216:217], v[218:219]
	v_div_fixup_f64 v[214:215], v[214:215], v[240:241], v[238:239]
	v_fma_f64 v[216:217], v[238:239], v[214:215], v[240:241]
	v_div_scale_f64 v[218:219], null, v[216:217], v[216:217], 1.0
	v_rcp_f64_e32 v[220:221], v[218:219]
	v_fma_f64 v[222:223], -v[218:219], v[220:221], 1.0
	v_fma_f64 v[220:221], v[220:221], v[222:223], v[220:221]
	v_fma_f64 v[222:223], -v[218:219], v[220:221], 1.0
	v_fma_f64 v[220:221], v[220:221], v[222:223], v[220:221]
	v_div_scale_f64 v[222:223], vcc_lo, 1.0, v[216:217], 1.0
	v_mul_f64 v[224:225], v[222:223], v[220:221]
	v_fma_f64 v[218:219], -v[218:219], v[224:225], v[222:223]
	v_div_fmas_f64 v[218:219], v[218:219], v[220:221], v[224:225]
	v_div_fixup_f64 v[240:241], v[218:219], v[216:217], 1.0
	v_mul_f64 v[238:239], v[214:215], v[240:241]
	v_xor_b32_e32 v241, 0x80000000, v241
.LBB116_1036:
	s_andn2_saveexec_b32 s1, s1
	s_cbranch_execz .LBB116_1038
; %bb.1037:
	v_div_scale_f64 v[214:215], null, v[238:239], v[238:239], v[240:241]
	v_div_scale_f64 v[220:221], vcc_lo, v[240:241], v[238:239], v[240:241]
	v_rcp_f64_e32 v[216:217], v[214:215]
	v_fma_f64 v[218:219], -v[214:215], v[216:217], 1.0
	v_fma_f64 v[216:217], v[216:217], v[218:219], v[216:217]
	v_fma_f64 v[218:219], -v[214:215], v[216:217], 1.0
	v_fma_f64 v[216:217], v[216:217], v[218:219], v[216:217]
	v_mul_f64 v[218:219], v[220:221], v[216:217]
	v_fma_f64 v[214:215], -v[214:215], v[218:219], v[220:221]
	v_div_fmas_f64 v[214:215], v[214:215], v[216:217], v[218:219]
	v_div_fixup_f64 v[214:215], v[214:215], v[238:239], v[240:241]
	v_fma_f64 v[216:217], v[240:241], v[214:215], v[238:239]
	v_div_scale_f64 v[218:219], null, v[216:217], v[216:217], 1.0
	v_rcp_f64_e32 v[220:221], v[218:219]
	v_fma_f64 v[222:223], -v[218:219], v[220:221], 1.0
	v_fma_f64 v[220:221], v[220:221], v[222:223], v[220:221]
	v_fma_f64 v[222:223], -v[218:219], v[220:221], 1.0
	v_fma_f64 v[220:221], v[220:221], v[222:223], v[220:221]
	v_div_scale_f64 v[222:223], vcc_lo, 1.0, v[216:217], 1.0
	v_mul_f64 v[224:225], v[222:223], v[220:221]
	v_fma_f64 v[218:219], -v[218:219], v[224:225], v[222:223]
	v_div_fmas_f64 v[218:219], v[218:219], v[220:221], v[224:225]
	v_div_fixup_f64 v[238:239], v[218:219], v[216:217], 1.0
	v_mul_f64 v[240:241], v[214:215], -v[238:239]
.LBB116_1038:
	s_or_b32 exec_lo, exec_lo, s1
.LBB116_1039:
	s_or_b32 exec_lo, exec_lo, s0
	s_mov_b32 s0, exec_lo
	v_cmpx_ne_u32_e64 v252, v246
	s_xor_b32 s0, exec_lo, s0
	s_cbranch_execz .LBB116_1045
; %bb.1040:
	s_mov_b32 s1, exec_lo
	v_cmpx_eq_u32_e32 49, v252
	s_cbranch_execz .LBB116_1044
; %bb.1041:
	v_cmp_ne_u32_e32 vcc_lo, 49, v246
	s_xor_b32 s7, s16, -1
	s_and_b32 s9, s7, vcc_lo
	s_and_saveexec_b32 s7, s9
	s_cbranch_execz .LBB116_1043
; %bb.1042:
	s_clause 0x1
	buffer_load_dword v210, off, s[20:23], 0 offset:16
	buffer_load_dword v211, off, s[20:23], 0 offset:20
	v_ashrrev_i32_e32 v247, 31, v246
	v_lshlrev_b64 v[214:215], 2, v[246:247]
	s_waitcnt vmcnt(1)
	v_add_co_u32 v214, vcc_lo, v210, v214
	s_waitcnt vmcnt(0)
	v_add_co_ci_u32_e64 v215, null, v211, v215, vcc_lo
	s_clause 0x1
	global_load_dword v0, v[214:215], off
	global_load_dword v216, v[210:211], off offset:196
	s_waitcnt vmcnt(1)
	global_store_dword v[210:211], v0, off offset:196
	s_waitcnt vmcnt(0)
	global_store_dword v[214:215], v216, off
.LBB116_1043:
	s_or_b32 exec_lo, exec_lo, s7
	v_mov_b32_e32 v252, v246
	v_mov_b32_e32 v0, v246
.LBB116_1044:
	s_or_b32 exec_lo, exec_lo, s1
.LBB116_1045:
	s_andn2_saveexec_b32 s0, s0
	s_cbranch_execz .LBB116_1047
; %bb.1046:
	v_mov_b32_e32 v252, 49
	ds_write2_b64 v1, v[34:35], v[36:37] offset0:100 offset1:101
	ds_write2_b64 v1, v[30:31], v[32:33] offset0:102 offset1:103
	;; [unrolled: 1-line block ×9, first 2 shown]
.LBB116_1047:
	s_or_b32 exec_lo, exec_lo, s0
	s_mov_b32 s0, exec_lo
	s_waitcnt lgkmcnt(0)
	s_waitcnt_vscnt null, 0x0
	s_barrier
	buffer_gl0_inv
	v_cmpx_lt_i32_e32 49, v252
	s_cbranch_execz .LBB116_1049
; %bb.1048:
	v_mul_f64 v[214:215], v[238:239], v[40:41]
	v_mul_f64 v[40:41], v[240:241], v[40:41]
	v_fma_f64 v[214:215], v[240:241], v[38:39], v[214:215]
	v_fma_f64 v[38:39], v[238:239], v[38:39], -v[40:41]
	ds_read2_b64 v[238:241], v1 offset0:100 offset1:101
	s_waitcnt lgkmcnt(0)
	v_mul_f64 v[40:41], v[240:241], v[214:215]
	v_mul_f64 v[216:217], v[238:239], v[214:215]
	v_fma_f64 v[40:41], v[238:239], v[38:39], -v[40:41]
	v_fma_f64 v[216:217], v[240:241], v[38:39], v[216:217]
	ds_read2_b64 v[238:241], v1 offset0:102 offset1:103
	v_add_f64 v[34:35], v[34:35], -v[40:41]
	v_add_f64 v[36:37], v[36:37], -v[216:217]
	s_waitcnt lgkmcnt(0)
	v_mul_f64 v[40:41], v[240:241], v[214:215]
	v_mul_f64 v[216:217], v[238:239], v[214:215]
	v_fma_f64 v[40:41], v[238:239], v[38:39], -v[40:41]
	v_fma_f64 v[216:217], v[240:241], v[38:39], v[216:217]
	ds_read2_b64 v[238:241], v1 offset0:104 offset1:105
	v_add_f64 v[30:31], v[30:31], -v[40:41]
	v_add_f64 v[32:33], v[32:33], -v[216:217]
	;; [unrolled: 8-line block ×8, first 2 shown]
	s_waitcnt lgkmcnt(0)
	v_mul_f64 v[40:41], v[240:241], v[214:215]
	v_mul_f64 v[216:217], v[238:239], v[214:215]
	v_fma_f64 v[40:41], v[238:239], v[38:39], -v[40:41]
	v_fma_f64 v[216:217], v[240:241], v[38:39], v[216:217]
	v_add_f64 v[226:227], v[226:227], -v[40:41]
	v_add_f64 v[228:229], v[228:229], -v[216:217]
	v_mov_b32_e32 v40, v214
	v_mov_b32_e32 v41, v215
.LBB116_1049:
	s_or_b32 exec_lo, exec_lo, s0
	v_lshl_add_u32 v214, v252, 4, v1
	s_barrier
	buffer_gl0_inv
	v_mov_b32_e32 v246, 50
	ds_write2_b64 v214, v[34:35], v[36:37] offset1:1
	s_waitcnt lgkmcnt(0)
	s_barrier
	buffer_gl0_inv
	ds_read2_b64 v[238:241], v1 offset0:100 offset1:101
	s_cmp_lt_i32 s8, 52
	s_cbranch_scc1 .LBB116_1052
; %bb.1050:
	v_add3_u32 v247, v248, 0, 0x330
	v_mov_b32_e32 v246, 50
	s_mov_b32 s0, 51
	s_inst_prefetch 0x1
	.p2align	6
.LBB116_1051:                           ; =>This Inner Loop Header: Depth=1
	s_waitcnt lgkmcnt(0)
	v_cmp_gt_f64_e32 vcc_lo, 0, v[238:239]
	v_xor_b32_e32 v214, 0x80000000, v239
	ds_read2_b64 v[242:245], v247 offset1:1
	v_xor_b32_e32 v216, 0x80000000, v241
	v_add_nc_u32_e32 v247, 16, v247
	s_waitcnt lgkmcnt(0)
	v_xor_b32_e32 v218, 0x80000000, v245
	v_cndmask_b32_e32 v215, v239, v214, vcc_lo
	v_cmp_gt_f64_e32 vcc_lo, 0, v[240:241]
	v_mov_b32_e32 v214, v238
	v_cndmask_b32_e32 v217, v241, v216, vcc_lo
	v_cmp_gt_f64_e32 vcc_lo, 0, v[242:243]
	v_mov_b32_e32 v216, v240
	v_add_f64 v[214:215], v[214:215], v[216:217]
	v_xor_b32_e32 v216, 0x80000000, v243
	v_cndmask_b32_e32 v217, v243, v216, vcc_lo
	v_cmp_gt_f64_e32 vcc_lo, 0, v[244:245]
	v_mov_b32_e32 v216, v242
	v_cndmask_b32_e32 v219, v245, v218, vcc_lo
	v_mov_b32_e32 v218, v244
	v_add_f64 v[216:217], v[216:217], v[218:219]
	v_cmp_lt_f64_e32 vcc_lo, v[214:215], v[216:217]
	v_cndmask_b32_e32 v239, v239, v243, vcc_lo
	v_cndmask_b32_e32 v238, v238, v242, vcc_lo
	;; [unrolled: 1-line block ×4, first 2 shown]
	v_cndmask_b32_e64 v246, v246, s0, vcc_lo
	s_add_i32 s0, s0, 1
	s_cmp_lg_u32 s8, s0
	s_cbranch_scc1 .LBB116_1051
.LBB116_1052:
	s_inst_prefetch 0x2
	s_waitcnt lgkmcnt(0)
	v_cmp_eq_f64_e32 vcc_lo, 0, v[238:239]
	v_cmp_eq_f64_e64 s0, 0, v[240:241]
	s_and_b32 s0, vcc_lo, s0
	s_and_saveexec_b32 s1, s0
	s_xor_b32 s0, exec_lo, s1
; %bb.1053:
	v_cmp_ne_u32_e32 vcc_lo, 0, v251
	v_cndmask_b32_e32 v251, 51, v251, vcc_lo
; %bb.1054:
	s_andn2_saveexec_b32 s0, s0
	s_cbranch_execz .LBB116_1060
; %bb.1055:
	v_cmp_ngt_f64_e64 s1, |v[238:239]|, |v[240:241]|
	s_and_saveexec_b32 s7, s1
	s_xor_b32 s1, exec_lo, s7
	s_cbranch_execz .LBB116_1057
; %bb.1056:
	v_div_scale_f64 v[214:215], null, v[240:241], v[240:241], v[238:239]
	v_div_scale_f64 v[220:221], vcc_lo, v[238:239], v[240:241], v[238:239]
	v_rcp_f64_e32 v[216:217], v[214:215]
	v_fma_f64 v[218:219], -v[214:215], v[216:217], 1.0
	v_fma_f64 v[216:217], v[216:217], v[218:219], v[216:217]
	v_fma_f64 v[218:219], -v[214:215], v[216:217], 1.0
	v_fma_f64 v[216:217], v[216:217], v[218:219], v[216:217]
	v_mul_f64 v[218:219], v[220:221], v[216:217]
	v_fma_f64 v[214:215], -v[214:215], v[218:219], v[220:221]
	v_div_fmas_f64 v[214:215], v[214:215], v[216:217], v[218:219]
	v_div_fixup_f64 v[214:215], v[214:215], v[240:241], v[238:239]
	v_fma_f64 v[216:217], v[238:239], v[214:215], v[240:241]
	v_div_scale_f64 v[218:219], null, v[216:217], v[216:217], 1.0
	v_rcp_f64_e32 v[220:221], v[218:219]
	v_fma_f64 v[222:223], -v[218:219], v[220:221], 1.0
	v_fma_f64 v[220:221], v[220:221], v[222:223], v[220:221]
	v_fma_f64 v[222:223], -v[218:219], v[220:221], 1.0
	v_fma_f64 v[220:221], v[220:221], v[222:223], v[220:221]
	v_div_scale_f64 v[222:223], vcc_lo, 1.0, v[216:217], 1.0
	v_mul_f64 v[224:225], v[222:223], v[220:221]
	v_fma_f64 v[218:219], -v[218:219], v[224:225], v[222:223]
	v_div_fmas_f64 v[218:219], v[218:219], v[220:221], v[224:225]
	v_div_fixup_f64 v[240:241], v[218:219], v[216:217], 1.0
	v_mul_f64 v[238:239], v[214:215], v[240:241]
	v_xor_b32_e32 v241, 0x80000000, v241
.LBB116_1057:
	s_andn2_saveexec_b32 s1, s1
	s_cbranch_execz .LBB116_1059
; %bb.1058:
	v_div_scale_f64 v[214:215], null, v[238:239], v[238:239], v[240:241]
	v_div_scale_f64 v[220:221], vcc_lo, v[240:241], v[238:239], v[240:241]
	v_rcp_f64_e32 v[216:217], v[214:215]
	v_fma_f64 v[218:219], -v[214:215], v[216:217], 1.0
	v_fma_f64 v[216:217], v[216:217], v[218:219], v[216:217]
	v_fma_f64 v[218:219], -v[214:215], v[216:217], 1.0
	v_fma_f64 v[216:217], v[216:217], v[218:219], v[216:217]
	v_mul_f64 v[218:219], v[220:221], v[216:217]
	v_fma_f64 v[214:215], -v[214:215], v[218:219], v[220:221]
	v_div_fmas_f64 v[214:215], v[214:215], v[216:217], v[218:219]
	v_div_fixup_f64 v[214:215], v[214:215], v[238:239], v[240:241]
	v_fma_f64 v[216:217], v[240:241], v[214:215], v[238:239]
	v_div_scale_f64 v[218:219], null, v[216:217], v[216:217], 1.0
	v_rcp_f64_e32 v[220:221], v[218:219]
	v_fma_f64 v[222:223], -v[218:219], v[220:221], 1.0
	v_fma_f64 v[220:221], v[220:221], v[222:223], v[220:221]
	v_fma_f64 v[222:223], -v[218:219], v[220:221], 1.0
	v_fma_f64 v[220:221], v[220:221], v[222:223], v[220:221]
	v_div_scale_f64 v[222:223], vcc_lo, 1.0, v[216:217], 1.0
	v_mul_f64 v[224:225], v[222:223], v[220:221]
	v_fma_f64 v[218:219], -v[218:219], v[224:225], v[222:223]
	v_div_fmas_f64 v[218:219], v[218:219], v[220:221], v[224:225]
	v_div_fixup_f64 v[238:239], v[218:219], v[216:217], 1.0
	v_mul_f64 v[240:241], v[214:215], -v[238:239]
.LBB116_1059:
	s_or_b32 exec_lo, exec_lo, s1
.LBB116_1060:
	s_or_b32 exec_lo, exec_lo, s0
	s_mov_b32 s0, exec_lo
	v_cmpx_ne_u32_e64 v252, v246
	s_xor_b32 s0, exec_lo, s0
	s_cbranch_execz .LBB116_1066
; %bb.1061:
	s_mov_b32 s1, exec_lo
	v_cmpx_eq_u32_e32 50, v252
	s_cbranch_execz .LBB116_1065
; %bb.1062:
	v_cmp_ne_u32_e32 vcc_lo, 50, v246
	s_xor_b32 s7, s16, -1
	s_and_b32 s9, s7, vcc_lo
	s_and_saveexec_b32 s7, s9
	s_cbranch_execz .LBB116_1064
; %bb.1063:
	s_clause 0x1
	buffer_load_dword v210, off, s[20:23], 0 offset:16
	buffer_load_dword v211, off, s[20:23], 0 offset:20
	v_ashrrev_i32_e32 v247, 31, v246
	v_lshlrev_b64 v[214:215], 2, v[246:247]
	s_waitcnt vmcnt(1)
	v_add_co_u32 v214, vcc_lo, v210, v214
	s_waitcnt vmcnt(0)
	v_add_co_ci_u32_e64 v215, null, v211, v215, vcc_lo
	s_clause 0x1
	global_load_dword v0, v[214:215], off
	global_load_dword v216, v[210:211], off offset:200
	s_waitcnt vmcnt(1)
	global_store_dword v[210:211], v0, off offset:200
	s_waitcnt vmcnt(0)
	global_store_dword v[214:215], v216, off
.LBB116_1064:
	s_or_b32 exec_lo, exec_lo, s7
	v_mov_b32_e32 v252, v246
	v_mov_b32_e32 v0, v246
.LBB116_1065:
	s_or_b32 exec_lo, exec_lo, s1
.LBB116_1066:
	s_andn2_saveexec_b32 s0, s0
	s_cbranch_execz .LBB116_1068
; %bb.1067:
	v_mov_b32_e32 v252, 50
	ds_write2_b64 v1, v[30:31], v[32:33] offset0:102 offset1:103
	ds_write2_b64 v1, v[26:27], v[28:29] offset0:104 offset1:105
	;; [unrolled: 1-line block ×8, first 2 shown]
.LBB116_1068:
	s_or_b32 exec_lo, exec_lo, s0
	s_mov_b32 s0, exec_lo
	s_waitcnt lgkmcnt(0)
	s_waitcnt_vscnt null, 0x0
	s_barrier
	buffer_gl0_inv
	v_cmpx_lt_i32_e32 50, v252
	s_cbranch_execz .LBB116_1070
; %bb.1069:
	v_mul_f64 v[214:215], v[238:239], v[36:37]
	v_mul_f64 v[36:37], v[240:241], v[36:37]
	v_fma_f64 v[214:215], v[240:241], v[34:35], v[214:215]
	v_fma_f64 v[34:35], v[238:239], v[34:35], -v[36:37]
	ds_read2_b64 v[238:241], v1 offset0:102 offset1:103
	s_waitcnt lgkmcnt(0)
	v_mul_f64 v[36:37], v[240:241], v[214:215]
	v_mul_f64 v[216:217], v[238:239], v[214:215]
	v_fma_f64 v[36:37], v[238:239], v[34:35], -v[36:37]
	v_fma_f64 v[216:217], v[240:241], v[34:35], v[216:217]
	ds_read2_b64 v[238:241], v1 offset0:104 offset1:105
	v_add_f64 v[30:31], v[30:31], -v[36:37]
	v_add_f64 v[32:33], v[32:33], -v[216:217]
	s_waitcnt lgkmcnt(0)
	v_mul_f64 v[36:37], v[240:241], v[214:215]
	v_mul_f64 v[216:217], v[238:239], v[214:215]
	v_fma_f64 v[36:37], v[238:239], v[34:35], -v[36:37]
	v_fma_f64 v[216:217], v[240:241], v[34:35], v[216:217]
	ds_read2_b64 v[238:241], v1 offset0:106 offset1:107
	v_add_f64 v[26:27], v[26:27], -v[36:37]
	v_add_f64 v[28:29], v[28:29], -v[216:217]
	;; [unrolled: 8-line block ×7, first 2 shown]
	s_waitcnt lgkmcnt(0)
	v_mul_f64 v[36:37], v[240:241], v[214:215]
	v_mul_f64 v[216:217], v[238:239], v[214:215]
	v_fma_f64 v[36:37], v[238:239], v[34:35], -v[36:37]
	v_fma_f64 v[216:217], v[240:241], v[34:35], v[216:217]
	v_add_f64 v[226:227], v[226:227], -v[36:37]
	v_add_f64 v[228:229], v[228:229], -v[216:217]
	v_mov_b32_e32 v36, v214
	v_mov_b32_e32 v37, v215
.LBB116_1070:
	s_or_b32 exec_lo, exec_lo, s0
	v_lshl_add_u32 v214, v252, 4, v1
	s_barrier
	buffer_gl0_inv
	v_mov_b32_e32 v246, 51
	ds_write2_b64 v214, v[30:31], v[32:33] offset1:1
	s_waitcnt lgkmcnt(0)
	s_barrier
	buffer_gl0_inv
	ds_read2_b64 v[238:241], v1 offset0:102 offset1:103
	s_cmp_lt_i32 s8, 53
	s_cbranch_scc1 .LBB116_1073
; %bb.1071:
	v_add3_u32 v247, v248, 0, 0x340
	v_mov_b32_e32 v246, 51
	s_mov_b32 s0, 52
	s_inst_prefetch 0x1
	.p2align	6
.LBB116_1072:                           ; =>This Inner Loop Header: Depth=1
	s_waitcnt lgkmcnt(0)
	v_cmp_gt_f64_e32 vcc_lo, 0, v[238:239]
	v_xor_b32_e32 v214, 0x80000000, v239
	ds_read2_b64 v[242:245], v247 offset1:1
	v_xor_b32_e32 v216, 0x80000000, v241
	v_add_nc_u32_e32 v247, 16, v247
	s_waitcnt lgkmcnt(0)
	v_xor_b32_e32 v218, 0x80000000, v245
	v_cndmask_b32_e32 v215, v239, v214, vcc_lo
	v_cmp_gt_f64_e32 vcc_lo, 0, v[240:241]
	v_mov_b32_e32 v214, v238
	v_cndmask_b32_e32 v217, v241, v216, vcc_lo
	v_cmp_gt_f64_e32 vcc_lo, 0, v[242:243]
	v_mov_b32_e32 v216, v240
	v_add_f64 v[214:215], v[214:215], v[216:217]
	v_xor_b32_e32 v216, 0x80000000, v243
	v_cndmask_b32_e32 v217, v243, v216, vcc_lo
	v_cmp_gt_f64_e32 vcc_lo, 0, v[244:245]
	v_mov_b32_e32 v216, v242
	v_cndmask_b32_e32 v219, v245, v218, vcc_lo
	v_mov_b32_e32 v218, v244
	v_add_f64 v[216:217], v[216:217], v[218:219]
	v_cmp_lt_f64_e32 vcc_lo, v[214:215], v[216:217]
	v_cndmask_b32_e32 v239, v239, v243, vcc_lo
	v_cndmask_b32_e32 v238, v238, v242, vcc_lo
	;; [unrolled: 1-line block ×4, first 2 shown]
	v_cndmask_b32_e64 v246, v246, s0, vcc_lo
	s_add_i32 s0, s0, 1
	s_cmp_lg_u32 s8, s0
	s_cbranch_scc1 .LBB116_1072
.LBB116_1073:
	s_inst_prefetch 0x2
	s_waitcnt lgkmcnt(0)
	v_cmp_eq_f64_e32 vcc_lo, 0, v[238:239]
	v_cmp_eq_f64_e64 s0, 0, v[240:241]
	s_and_b32 s0, vcc_lo, s0
	s_and_saveexec_b32 s1, s0
	s_xor_b32 s0, exec_lo, s1
; %bb.1074:
	v_cmp_ne_u32_e32 vcc_lo, 0, v251
	v_cndmask_b32_e32 v251, 52, v251, vcc_lo
; %bb.1075:
	s_andn2_saveexec_b32 s0, s0
	s_cbranch_execz .LBB116_1081
; %bb.1076:
	v_cmp_ngt_f64_e64 s1, |v[238:239]|, |v[240:241]|
	s_and_saveexec_b32 s7, s1
	s_xor_b32 s1, exec_lo, s7
	s_cbranch_execz .LBB116_1078
; %bb.1077:
	v_div_scale_f64 v[214:215], null, v[240:241], v[240:241], v[238:239]
	v_div_scale_f64 v[220:221], vcc_lo, v[238:239], v[240:241], v[238:239]
	v_rcp_f64_e32 v[216:217], v[214:215]
	v_fma_f64 v[218:219], -v[214:215], v[216:217], 1.0
	v_fma_f64 v[216:217], v[216:217], v[218:219], v[216:217]
	v_fma_f64 v[218:219], -v[214:215], v[216:217], 1.0
	v_fma_f64 v[216:217], v[216:217], v[218:219], v[216:217]
	v_mul_f64 v[218:219], v[220:221], v[216:217]
	v_fma_f64 v[214:215], -v[214:215], v[218:219], v[220:221]
	v_div_fmas_f64 v[214:215], v[214:215], v[216:217], v[218:219]
	v_div_fixup_f64 v[214:215], v[214:215], v[240:241], v[238:239]
	v_fma_f64 v[216:217], v[238:239], v[214:215], v[240:241]
	v_div_scale_f64 v[218:219], null, v[216:217], v[216:217], 1.0
	v_rcp_f64_e32 v[220:221], v[218:219]
	v_fma_f64 v[222:223], -v[218:219], v[220:221], 1.0
	v_fma_f64 v[220:221], v[220:221], v[222:223], v[220:221]
	v_fma_f64 v[222:223], -v[218:219], v[220:221], 1.0
	v_fma_f64 v[220:221], v[220:221], v[222:223], v[220:221]
	v_div_scale_f64 v[222:223], vcc_lo, 1.0, v[216:217], 1.0
	v_mul_f64 v[224:225], v[222:223], v[220:221]
	v_fma_f64 v[218:219], -v[218:219], v[224:225], v[222:223]
	v_div_fmas_f64 v[218:219], v[218:219], v[220:221], v[224:225]
	v_div_fixup_f64 v[240:241], v[218:219], v[216:217], 1.0
	v_mul_f64 v[238:239], v[214:215], v[240:241]
	v_xor_b32_e32 v241, 0x80000000, v241
.LBB116_1078:
	s_andn2_saveexec_b32 s1, s1
	s_cbranch_execz .LBB116_1080
; %bb.1079:
	v_div_scale_f64 v[214:215], null, v[238:239], v[238:239], v[240:241]
	v_div_scale_f64 v[220:221], vcc_lo, v[240:241], v[238:239], v[240:241]
	v_rcp_f64_e32 v[216:217], v[214:215]
	v_fma_f64 v[218:219], -v[214:215], v[216:217], 1.0
	v_fma_f64 v[216:217], v[216:217], v[218:219], v[216:217]
	v_fma_f64 v[218:219], -v[214:215], v[216:217], 1.0
	v_fma_f64 v[216:217], v[216:217], v[218:219], v[216:217]
	v_mul_f64 v[218:219], v[220:221], v[216:217]
	v_fma_f64 v[214:215], -v[214:215], v[218:219], v[220:221]
	v_div_fmas_f64 v[214:215], v[214:215], v[216:217], v[218:219]
	v_div_fixup_f64 v[214:215], v[214:215], v[238:239], v[240:241]
	v_fma_f64 v[216:217], v[240:241], v[214:215], v[238:239]
	v_div_scale_f64 v[218:219], null, v[216:217], v[216:217], 1.0
	v_rcp_f64_e32 v[220:221], v[218:219]
	v_fma_f64 v[222:223], -v[218:219], v[220:221], 1.0
	v_fma_f64 v[220:221], v[220:221], v[222:223], v[220:221]
	v_fma_f64 v[222:223], -v[218:219], v[220:221], 1.0
	v_fma_f64 v[220:221], v[220:221], v[222:223], v[220:221]
	v_div_scale_f64 v[222:223], vcc_lo, 1.0, v[216:217], 1.0
	v_mul_f64 v[224:225], v[222:223], v[220:221]
	v_fma_f64 v[218:219], -v[218:219], v[224:225], v[222:223]
	v_div_fmas_f64 v[218:219], v[218:219], v[220:221], v[224:225]
	v_div_fixup_f64 v[238:239], v[218:219], v[216:217], 1.0
	v_mul_f64 v[240:241], v[214:215], -v[238:239]
.LBB116_1080:
	s_or_b32 exec_lo, exec_lo, s1
.LBB116_1081:
	s_or_b32 exec_lo, exec_lo, s0
	s_mov_b32 s0, exec_lo
	v_cmpx_ne_u32_e64 v252, v246
	s_xor_b32 s0, exec_lo, s0
	s_cbranch_execz .LBB116_1087
; %bb.1082:
	s_mov_b32 s1, exec_lo
	v_cmpx_eq_u32_e32 51, v252
	s_cbranch_execz .LBB116_1086
; %bb.1083:
	v_cmp_ne_u32_e32 vcc_lo, 51, v246
	s_xor_b32 s7, s16, -1
	s_and_b32 s9, s7, vcc_lo
	s_and_saveexec_b32 s7, s9
	s_cbranch_execz .LBB116_1085
; %bb.1084:
	s_clause 0x1
	buffer_load_dword v210, off, s[20:23], 0 offset:16
	buffer_load_dword v211, off, s[20:23], 0 offset:20
	v_ashrrev_i32_e32 v247, 31, v246
	v_lshlrev_b64 v[214:215], 2, v[246:247]
	s_waitcnt vmcnt(1)
	v_add_co_u32 v214, vcc_lo, v210, v214
	s_waitcnt vmcnt(0)
	v_add_co_ci_u32_e64 v215, null, v211, v215, vcc_lo
	s_clause 0x1
	global_load_dword v0, v[214:215], off
	global_load_dword v216, v[210:211], off offset:204
	s_waitcnt vmcnt(1)
	global_store_dword v[210:211], v0, off offset:204
	s_waitcnt vmcnt(0)
	global_store_dword v[214:215], v216, off
.LBB116_1085:
	s_or_b32 exec_lo, exec_lo, s7
	v_mov_b32_e32 v252, v246
	v_mov_b32_e32 v0, v246
.LBB116_1086:
	s_or_b32 exec_lo, exec_lo, s1
.LBB116_1087:
	s_andn2_saveexec_b32 s0, s0
	s_cbranch_execz .LBB116_1089
; %bb.1088:
	v_mov_b32_e32 v252, 51
	ds_write2_b64 v1, v[26:27], v[28:29] offset0:104 offset1:105
	ds_write2_b64 v1, v[22:23], v[24:25] offset0:106 offset1:107
	;; [unrolled: 1-line block ×7, first 2 shown]
.LBB116_1089:
	s_or_b32 exec_lo, exec_lo, s0
	s_mov_b32 s0, exec_lo
	s_waitcnt lgkmcnt(0)
	s_waitcnt_vscnt null, 0x0
	s_barrier
	buffer_gl0_inv
	v_cmpx_lt_i32_e32 51, v252
	s_cbranch_execz .LBB116_1091
; %bb.1090:
	v_mul_f64 v[214:215], v[238:239], v[32:33]
	v_mul_f64 v[32:33], v[240:241], v[32:33]
	v_fma_f64 v[214:215], v[240:241], v[30:31], v[214:215]
	v_fma_f64 v[30:31], v[238:239], v[30:31], -v[32:33]
	ds_read2_b64 v[238:241], v1 offset0:104 offset1:105
	s_waitcnt lgkmcnt(0)
	v_mul_f64 v[32:33], v[240:241], v[214:215]
	v_mul_f64 v[216:217], v[238:239], v[214:215]
	v_fma_f64 v[32:33], v[238:239], v[30:31], -v[32:33]
	v_fma_f64 v[216:217], v[240:241], v[30:31], v[216:217]
	ds_read2_b64 v[238:241], v1 offset0:106 offset1:107
	v_add_f64 v[26:27], v[26:27], -v[32:33]
	v_add_f64 v[28:29], v[28:29], -v[216:217]
	s_waitcnt lgkmcnt(0)
	v_mul_f64 v[32:33], v[240:241], v[214:215]
	v_mul_f64 v[216:217], v[238:239], v[214:215]
	v_fma_f64 v[32:33], v[238:239], v[30:31], -v[32:33]
	v_fma_f64 v[216:217], v[240:241], v[30:31], v[216:217]
	ds_read2_b64 v[238:241], v1 offset0:108 offset1:109
	v_add_f64 v[22:23], v[22:23], -v[32:33]
	v_add_f64 v[24:25], v[24:25], -v[216:217]
	;; [unrolled: 8-line block ×6, first 2 shown]
	s_waitcnt lgkmcnt(0)
	v_mul_f64 v[32:33], v[240:241], v[214:215]
	v_mul_f64 v[216:217], v[238:239], v[214:215]
	v_fma_f64 v[32:33], v[238:239], v[30:31], -v[32:33]
	v_fma_f64 v[216:217], v[240:241], v[30:31], v[216:217]
	v_add_f64 v[226:227], v[226:227], -v[32:33]
	v_add_f64 v[228:229], v[228:229], -v[216:217]
	v_mov_b32_e32 v32, v214
	v_mov_b32_e32 v33, v215
.LBB116_1091:
	s_or_b32 exec_lo, exec_lo, s0
	v_lshl_add_u32 v214, v252, 4, v1
	s_barrier
	buffer_gl0_inv
	v_mov_b32_e32 v246, 52
	ds_write2_b64 v214, v[26:27], v[28:29] offset1:1
	s_waitcnt lgkmcnt(0)
	s_barrier
	buffer_gl0_inv
	ds_read2_b64 v[238:241], v1 offset0:104 offset1:105
	s_cmp_lt_i32 s8, 54
	s_cbranch_scc1 .LBB116_1094
; %bb.1092:
	v_add3_u32 v247, v248, 0, 0x350
	v_mov_b32_e32 v246, 52
	s_mov_b32 s0, 53
	s_inst_prefetch 0x1
	.p2align	6
.LBB116_1093:                           ; =>This Inner Loop Header: Depth=1
	s_waitcnt lgkmcnt(0)
	v_cmp_gt_f64_e32 vcc_lo, 0, v[238:239]
	v_xor_b32_e32 v214, 0x80000000, v239
	ds_read2_b64 v[242:245], v247 offset1:1
	v_xor_b32_e32 v216, 0x80000000, v241
	v_add_nc_u32_e32 v247, 16, v247
	s_waitcnt lgkmcnt(0)
	v_xor_b32_e32 v218, 0x80000000, v245
	v_cndmask_b32_e32 v215, v239, v214, vcc_lo
	v_cmp_gt_f64_e32 vcc_lo, 0, v[240:241]
	v_mov_b32_e32 v214, v238
	v_cndmask_b32_e32 v217, v241, v216, vcc_lo
	v_cmp_gt_f64_e32 vcc_lo, 0, v[242:243]
	v_mov_b32_e32 v216, v240
	v_add_f64 v[214:215], v[214:215], v[216:217]
	v_xor_b32_e32 v216, 0x80000000, v243
	v_cndmask_b32_e32 v217, v243, v216, vcc_lo
	v_cmp_gt_f64_e32 vcc_lo, 0, v[244:245]
	v_mov_b32_e32 v216, v242
	v_cndmask_b32_e32 v219, v245, v218, vcc_lo
	v_mov_b32_e32 v218, v244
	v_add_f64 v[216:217], v[216:217], v[218:219]
	v_cmp_lt_f64_e32 vcc_lo, v[214:215], v[216:217]
	v_cndmask_b32_e32 v239, v239, v243, vcc_lo
	v_cndmask_b32_e32 v238, v238, v242, vcc_lo
	;; [unrolled: 1-line block ×4, first 2 shown]
	v_cndmask_b32_e64 v246, v246, s0, vcc_lo
	s_add_i32 s0, s0, 1
	s_cmp_lg_u32 s8, s0
	s_cbranch_scc1 .LBB116_1093
.LBB116_1094:
	s_inst_prefetch 0x2
	s_waitcnt lgkmcnt(0)
	v_cmp_eq_f64_e32 vcc_lo, 0, v[238:239]
	v_cmp_eq_f64_e64 s0, 0, v[240:241]
	s_and_b32 s0, vcc_lo, s0
	s_and_saveexec_b32 s1, s0
	s_xor_b32 s0, exec_lo, s1
; %bb.1095:
	v_cmp_ne_u32_e32 vcc_lo, 0, v251
	v_cndmask_b32_e32 v251, 53, v251, vcc_lo
; %bb.1096:
	s_andn2_saveexec_b32 s0, s0
	s_cbranch_execz .LBB116_1102
; %bb.1097:
	v_cmp_ngt_f64_e64 s1, |v[238:239]|, |v[240:241]|
	s_and_saveexec_b32 s7, s1
	s_xor_b32 s1, exec_lo, s7
	s_cbranch_execz .LBB116_1099
; %bb.1098:
	v_div_scale_f64 v[214:215], null, v[240:241], v[240:241], v[238:239]
	v_div_scale_f64 v[220:221], vcc_lo, v[238:239], v[240:241], v[238:239]
	v_rcp_f64_e32 v[216:217], v[214:215]
	v_fma_f64 v[218:219], -v[214:215], v[216:217], 1.0
	v_fma_f64 v[216:217], v[216:217], v[218:219], v[216:217]
	v_fma_f64 v[218:219], -v[214:215], v[216:217], 1.0
	v_fma_f64 v[216:217], v[216:217], v[218:219], v[216:217]
	v_mul_f64 v[218:219], v[220:221], v[216:217]
	v_fma_f64 v[214:215], -v[214:215], v[218:219], v[220:221]
	v_div_fmas_f64 v[214:215], v[214:215], v[216:217], v[218:219]
	v_div_fixup_f64 v[214:215], v[214:215], v[240:241], v[238:239]
	v_fma_f64 v[216:217], v[238:239], v[214:215], v[240:241]
	v_div_scale_f64 v[218:219], null, v[216:217], v[216:217], 1.0
	v_rcp_f64_e32 v[220:221], v[218:219]
	v_fma_f64 v[222:223], -v[218:219], v[220:221], 1.0
	v_fma_f64 v[220:221], v[220:221], v[222:223], v[220:221]
	v_fma_f64 v[222:223], -v[218:219], v[220:221], 1.0
	v_fma_f64 v[220:221], v[220:221], v[222:223], v[220:221]
	v_div_scale_f64 v[222:223], vcc_lo, 1.0, v[216:217], 1.0
	v_mul_f64 v[224:225], v[222:223], v[220:221]
	v_fma_f64 v[218:219], -v[218:219], v[224:225], v[222:223]
	v_div_fmas_f64 v[218:219], v[218:219], v[220:221], v[224:225]
	v_div_fixup_f64 v[240:241], v[218:219], v[216:217], 1.0
	v_mul_f64 v[238:239], v[214:215], v[240:241]
	v_xor_b32_e32 v241, 0x80000000, v241
.LBB116_1099:
	s_andn2_saveexec_b32 s1, s1
	s_cbranch_execz .LBB116_1101
; %bb.1100:
	v_div_scale_f64 v[214:215], null, v[238:239], v[238:239], v[240:241]
	v_div_scale_f64 v[220:221], vcc_lo, v[240:241], v[238:239], v[240:241]
	v_rcp_f64_e32 v[216:217], v[214:215]
	v_fma_f64 v[218:219], -v[214:215], v[216:217], 1.0
	v_fma_f64 v[216:217], v[216:217], v[218:219], v[216:217]
	v_fma_f64 v[218:219], -v[214:215], v[216:217], 1.0
	v_fma_f64 v[216:217], v[216:217], v[218:219], v[216:217]
	v_mul_f64 v[218:219], v[220:221], v[216:217]
	v_fma_f64 v[214:215], -v[214:215], v[218:219], v[220:221]
	v_div_fmas_f64 v[214:215], v[214:215], v[216:217], v[218:219]
	v_div_fixup_f64 v[214:215], v[214:215], v[238:239], v[240:241]
	v_fma_f64 v[216:217], v[240:241], v[214:215], v[238:239]
	v_div_scale_f64 v[218:219], null, v[216:217], v[216:217], 1.0
	v_rcp_f64_e32 v[220:221], v[218:219]
	v_fma_f64 v[222:223], -v[218:219], v[220:221], 1.0
	v_fma_f64 v[220:221], v[220:221], v[222:223], v[220:221]
	v_fma_f64 v[222:223], -v[218:219], v[220:221], 1.0
	v_fma_f64 v[220:221], v[220:221], v[222:223], v[220:221]
	v_div_scale_f64 v[222:223], vcc_lo, 1.0, v[216:217], 1.0
	v_mul_f64 v[224:225], v[222:223], v[220:221]
	v_fma_f64 v[218:219], -v[218:219], v[224:225], v[222:223]
	v_div_fmas_f64 v[218:219], v[218:219], v[220:221], v[224:225]
	v_div_fixup_f64 v[238:239], v[218:219], v[216:217], 1.0
	v_mul_f64 v[240:241], v[214:215], -v[238:239]
.LBB116_1101:
	s_or_b32 exec_lo, exec_lo, s1
.LBB116_1102:
	s_or_b32 exec_lo, exec_lo, s0
	s_mov_b32 s0, exec_lo
	v_cmpx_ne_u32_e64 v252, v246
	s_xor_b32 s0, exec_lo, s0
	s_cbranch_execz .LBB116_1108
; %bb.1103:
	s_mov_b32 s1, exec_lo
	v_cmpx_eq_u32_e32 52, v252
	s_cbranch_execz .LBB116_1107
; %bb.1104:
	v_cmp_ne_u32_e32 vcc_lo, 52, v246
	s_xor_b32 s7, s16, -1
	s_and_b32 s9, s7, vcc_lo
	s_and_saveexec_b32 s7, s9
	s_cbranch_execz .LBB116_1106
; %bb.1105:
	s_clause 0x1
	buffer_load_dword v210, off, s[20:23], 0 offset:16
	buffer_load_dword v211, off, s[20:23], 0 offset:20
	v_ashrrev_i32_e32 v247, 31, v246
	v_lshlrev_b64 v[214:215], 2, v[246:247]
	s_waitcnt vmcnt(1)
	v_add_co_u32 v214, vcc_lo, v210, v214
	s_waitcnt vmcnt(0)
	v_add_co_ci_u32_e64 v215, null, v211, v215, vcc_lo
	s_clause 0x1
	global_load_dword v0, v[214:215], off
	global_load_dword v216, v[210:211], off offset:208
	s_waitcnt vmcnt(1)
	global_store_dword v[210:211], v0, off offset:208
	s_waitcnt vmcnt(0)
	global_store_dword v[214:215], v216, off
.LBB116_1106:
	s_or_b32 exec_lo, exec_lo, s7
	v_mov_b32_e32 v252, v246
	v_mov_b32_e32 v0, v246
.LBB116_1107:
	s_or_b32 exec_lo, exec_lo, s1
.LBB116_1108:
	s_andn2_saveexec_b32 s0, s0
	s_cbranch_execz .LBB116_1110
; %bb.1109:
	v_mov_b32_e32 v252, 52
	ds_write2_b64 v1, v[22:23], v[24:25] offset0:106 offset1:107
	ds_write2_b64 v1, v[18:19], v[20:21] offset0:108 offset1:109
	;; [unrolled: 1-line block ×6, first 2 shown]
.LBB116_1110:
	s_or_b32 exec_lo, exec_lo, s0
	s_mov_b32 s0, exec_lo
	s_waitcnt lgkmcnt(0)
	s_waitcnt_vscnt null, 0x0
	s_barrier
	buffer_gl0_inv
	v_cmpx_lt_i32_e32 52, v252
	s_cbranch_execz .LBB116_1112
; %bb.1111:
	v_mul_f64 v[214:215], v[238:239], v[28:29]
	v_mul_f64 v[28:29], v[240:241], v[28:29]
	v_fma_f64 v[214:215], v[240:241], v[26:27], v[214:215]
	v_fma_f64 v[26:27], v[238:239], v[26:27], -v[28:29]
	ds_read2_b64 v[238:241], v1 offset0:106 offset1:107
	s_waitcnt lgkmcnt(0)
	v_mul_f64 v[28:29], v[240:241], v[214:215]
	v_mul_f64 v[216:217], v[238:239], v[214:215]
	v_fma_f64 v[28:29], v[238:239], v[26:27], -v[28:29]
	v_fma_f64 v[216:217], v[240:241], v[26:27], v[216:217]
	ds_read2_b64 v[238:241], v1 offset0:108 offset1:109
	v_add_f64 v[22:23], v[22:23], -v[28:29]
	v_add_f64 v[24:25], v[24:25], -v[216:217]
	s_waitcnt lgkmcnt(0)
	v_mul_f64 v[28:29], v[240:241], v[214:215]
	v_mul_f64 v[216:217], v[238:239], v[214:215]
	v_fma_f64 v[28:29], v[238:239], v[26:27], -v[28:29]
	v_fma_f64 v[216:217], v[240:241], v[26:27], v[216:217]
	ds_read2_b64 v[238:241], v1 offset0:110 offset1:111
	v_add_f64 v[18:19], v[18:19], -v[28:29]
	v_add_f64 v[20:21], v[20:21], -v[216:217]
	;; [unrolled: 8-line block ×5, first 2 shown]
	s_waitcnt lgkmcnt(0)
	v_mul_f64 v[28:29], v[240:241], v[214:215]
	v_mul_f64 v[216:217], v[238:239], v[214:215]
	v_fma_f64 v[28:29], v[238:239], v[26:27], -v[28:29]
	v_fma_f64 v[216:217], v[240:241], v[26:27], v[216:217]
	v_add_f64 v[226:227], v[226:227], -v[28:29]
	v_add_f64 v[228:229], v[228:229], -v[216:217]
	v_mov_b32_e32 v28, v214
	v_mov_b32_e32 v29, v215
.LBB116_1112:
	s_or_b32 exec_lo, exec_lo, s0
	v_lshl_add_u32 v214, v252, 4, v1
	s_barrier
	buffer_gl0_inv
	v_mov_b32_e32 v246, 53
	ds_write2_b64 v214, v[22:23], v[24:25] offset1:1
	s_waitcnt lgkmcnt(0)
	s_barrier
	buffer_gl0_inv
	ds_read2_b64 v[238:241], v1 offset0:106 offset1:107
	s_cmp_lt_i32 s8, 55
	s_cbranch_scc1 .LBB116_1115
; %bb.1113:
	v_add3_u32 v247, v248, 0, 0x360
	v_mov_b32_e32 v246, 53
	s_mov_b32 s0, 54
	s_inst_prefetch 0x1
	.p2align	6
.LBB116_1114:                           ; =>This Inner Loop Header: Depth=1
	s_waitcnt lgkmcnt(0)
	v_cmp_gt_f64_e32 vcc_lo, 0, v[238:239]
	v_xor_b32_e32 v214, 0x80000000, v239
	ds_read2_b64 v[242:245], v247 offset1:1
	v_xor_b32_e32 v216, 0x80000000, v241
	v_add_nc_u32_e32 v247, 16, v247
	s_waitcnt lgkmcnt(0)
	v_xor_b32_e32 v218, 0x80000000, v245
	v_cndmask_b32_e32 v215, v239, v214, vcc_lo
	v_cmp_gt_f64_e32 vcc_lo, 0, v[240:241]
	v_mov_b32_e32 v214, v238
	v_cndmask_b32_e32 v217, v241, v216, vcc_lo
	v_cmp_gt_f64_e32 vcc_lo, 0, v[242:243]
	v_mov_b32_e32 v216, v240
	v_add_f64 v[214:215], v[214:215], v[216:217]
	v_xor_b32_e32 v216, 0x80000000, v243
	v_cndmask_b32_e32 v217, v243, v216, vcc_lo
	v_cmp_gt_f64_e32 vcc_lo, 0, v[244:245]
	v_mov_b32_e32 v216, v242
	v_cndmask_b32_e32 v219, v245, v218, vcc_lo
	v_mov_b32_e32 v218, v244
	v_add_f64 v[216:217], v[216:217], v[218:219]
	v_cmp_lt_f64_e32 vcc_lo, v[214:215], v[216:217]
	v_cndmask_b32_e32 v239, v239, v243, vcc_lo
	v_cndmask_b32_e32 v238, v238, v242, vcc_lo
	;; [unrolled: 1-line block ×4, first 2 shown]
	v_cndmask_b32_e64 v246, v246, s0, vcc_lo
	s_add_i32 s0, s0, 1
	s_cmp_lg_u32 s8, s0
	s_cbranch_scc1 .LBB116_1114
.LBB116_1115:
	s_inst_prefetch 0x2
	s_waitcnt lgkmcnt(0)
	v_cmp_eq_f64_e32 vcc_lo, 0, v[238:239]
	v_cmp_eq_f64_e64 s0, 0, v[240:241]
	s_and_b32 s0, vcc_lo, s0
	s_and_saveexec_b32 s1, s0
	s_xor_b32 s0, exec_lo, s1
; %bb.1116:
	v_cmp_ne_u32_e32 vcc_lo, 0, v251
	v_cndmask_b32_e32 v251, 54, v251, vcc_lo
; %bb.1117:
	s_andn2_saveexec_b32 s0, s0
	s_cbranch_execz .LBB116_1123
; %bb.1118:
	v_cmp_ngt_f64_e64 s1, |v[238:239]|, |v[240:241]|
	s_and_saveexec_b32 s7, s1
	s_xor_b32 s1, exec_lo, s7
	s_cbranch_execz .LBB116_1120
; %bb.1119:
	v_div_scale_f64 v[214:215], null, v[240:241], v[240:241], v[238:239]
	v_div_scale_f64 v[220:221], vcc_lo, v[238:239], v[240:241], v[238:239]
	v_rcp_f64_e32 v[216:217], v[214:215]
	v_fma_f64 v[218:219], -v[214:215], v[216:217], 1.0
	v_fma_f64 v[216:217], v[216:217], v[218:219], v[216:217]
	v_fma_f64 v[218:219], -v[214:215], v[216:217], 1.0
	v_fma_f64 v[216:217], v[216:217], v[218:219], v[216:217]
	v_mul_f64 v[218:219], v[220:221], v[216:217]
	v_fma_f64 v[214:215], -v[214:215], v[218:219], v[220:221]
	v_div_fmas_f64 v[214:215], v[214:215], v[216:217], v[218:219]
	v_div_fixup_f64 v[214:215], v[214:215], v[240:241], v[238:239]
	v_fma_f64 v[216:217], v[238:239], v[214:215], v[240:241]
	v_div_scale_f64 v[218:219], null, v[216:217], v[216:217], 1.0
	v_rcp_f64_e32 v[220:221], v[218:219]
	v_fma_f64 v[222:223], -v[218:219], v[220:221], 1.0
	v_fma_f64 v[220:221], v[220:221], v[222:223], v[220:221]
	v_fma_f64 v[222:223], -v[218:219], v[220:221], 1.0
	v_fma_f64 v[220:221], v[220:221], v[222:223], v[220:221]
	v_div_scale_f64 v[222:223], vcc_lo, 1.0, v[216:217], 1.0
	v_mul_f64 v[224:225], v[222:223], v[220:221]
	v_fma_f64 v[218:219], -v[218:219], v[224:225], v[222:223]
	v_div_fmas_f64 v[218:219], v[218:219], v[220:221], v[224:225]
	v_div_fixup_f64 v[240:241], v[218:219], v[216:217], 1.0
	v_mul_f64 v[238:239], v[214:215], v[240:241]
	v_xor_b32_e32 v241, 0x80000000, v241
.LBB116_1120:
	s_andn2_saveexec_b32 s1, s1
	s_cbranch_execz .LBB116_1122
; %bb.1121:
	v_div_scale_f64 v[214:215], null, v[238:239], v[238:239], v[240:241]
	v_div_scale_f64 v[220:221], vcc_lo, v[240:241], v[238:239], v[240:241]
	v_rcp_f64_e32 v[216:217], v[214:215]
	v_fma_f64 v[218:219], -v[214:215], v[216:217], 1.0
	v_fma_f64 v[216:217], v[216:217], v[218:219], v[216:217]
	v_fma_f64 v[218:219], -v[214:215], v[216:217], 1.0
	v_fma_f64 v[216:217], v[216:217], v[218:219], v[216:217]
	v_mul_f64 v[218:219], v[220:221], v[216:217]
	v_fma_f64 v[214:215], -v[214:215], v[218:219], v[220:221]
	v_div_fmas_f64 v[214:215], v[214:215], v[216:217], v[218:219]
	v_div_fixup_f64 v[214:215], v[214:215], v[238:239], v[240:241]
	v_fma_f64 v[216:217], v[240:241], v[214:215], v[238:239]
	v_div_scale_f64 v[218:219], null, v[216:217], v[216:217], 1.0
	v_rcp_f64_e32 v[220:221], v[218:219]
	v_fma_f64 v[222:223], -v[218:219], v[220:221], 1.0
	v_fma_f64 v[220:221], v[220:221], v[222:223], v[220:221]
	v_fma_f64 v[222:223], -v[218:219], v[220:221], 1.0
	v_fma_f64 v[220:221], v[220:221], v[222:223], v[220:221]
	v_div_scale_f64 v[222:223], vcc_lo, 1.0, v[216:217], 1.0
	v_mul_f64 v[224:225], v[222:223], v[220:221]
	v_fma_f64 v[218:219], -v[218:219], v[224:225], v[222:223]
	v_div_fmas_f64 v[218:219], v[218:219], v[220:221], v[224:225]
	v_div_fixup_f64 v[238:239], v[218:219], v[216:217], 1.0
	v_mul_f64 v[240:241], v[214:215], -v[238:239]
.LBB116_1122:
	s_or_b32 exec_lo, exec_lo, s1
.LBB116_1123:
	s_or_b32 exec_lo, exec_lo, s0
	s_mov_b32 s0, exec_lo
	v_cmpx_ne_u32_e64 v252, v246
	s_xor_b32 s0, exec_lo, s0
	s_cbranch_execz .LBB116_1129
; %bb.1124:
	s_mov_b32 s1, exec_lo
	v_cmpx_eq_u32_e32 53, v252
	s_cbranch_execz .LBB116_1128
; %bb.1125:
	v_cmp_ne_u32_e32 vcc_lo, 53, v246
	s_xor_b32 s7, s16, -1
	s_and_b32 s9, s7, vcc_lo
	s_and_saveexec_b32 s7, s9
	s_cbranch_execz .LBB116_1127
; %bb.1126:
	s_clause 0x1
	buffer_load_dword v210, off, s[20:23], 0 offset:16
	buffer_load_dword v211, off, s[20:23], 0 offset:20
	v_ashrrev_i32_e32 v247, 31, v246
	v_lshlrev_b64 v[214:215], 2, v[246:247]
	s_waitcnt vmcnt(1)
	v_add_co_u32 v214, vcc_lo, v210, v214
	s_waitcnt vmcnt(0)
	v_add_co_ci_u32_e64 v215, null, v211, v215, vcc_lo
	s_clause 0x1
	global_load_dword v0, v[214:215], off
	global_load_dword v216, v[210:211], off offset:212
	s_waitcnt vmcnt(1)
	global_store_dword v[210:211], v0, off offset:212
	s_waitcnt vmcnt(0)
	global_store_dword v[214:215], v216, off
.LBB116_1127:
	s_or_b32 exec_lo, exec_lo, s7
	v_mov_b32_e32 v252, v246
	v_mov_b32_e32 v0, v246
.LBB116_1128:
	s_or_b32 exec_lo, exec_lo, s1
.LBB116_1129:
	s_andn2_saveexec_b32 s0, s0
	s_cbranch_execz .LBB116_1131
; %bb.1130:
	v_mov_b32_e32 v252, 53
	ds_write2_b64 v1, v[18:19], v[20:21] offset0:108 offset1:109
	ds_write2_b64 v1, v[14:15], v[16:17] offset0:110 offset1:111
	;; [unrolled: 1-line block ×5, first 2 shown]
.LBB116_1131:
	s_or_b32 exec_lo, exec_lo, s0
	s_mov_b32 s0, exec_lo
	s_waitcnt lgkmcnt(0)
	s_waitcnt_vscnt null, 0x0
	s_barrier
	buffer_gl0_inv
	v_cmpx_lt_i32_e32 53, v252
	s_cbranch_execz .LBB116_1133
; %bb.1132:
	v_mul_f64 v[214:215], v[238:239], v[24:25]
	v_mul_f64 v[24:25], v[240:241], v[24:25]
	v_fma_f64 v[214:215], v[240:241], v[22:23], v[214:215]
	v_fma_f64 v[22:23], v[238:239], v[22:23], -v[24:25]
	ds_read2_b64 v[238:241], v1 offset0:108 offset1:109
	s_waitcnt lgkmcnt(0)
	v_mul_f64 v[24:25], v[240:241], v[214:215]
	v_mul_f64 v[216:217], v[238:239], v[214:215]
	v_fma_f64 v[24:25], v[238:239], v[22:23], -v[24:25]
	v_fma_f64 v[216:217], v[240:241], v[22:23], v[216:217]
	ds_read2_b64 v[238:241], v1 offset0:110 offset1:111
	v_add_f64 v[18:19], v[18:19], -v[24:25]
	v_add_f64 v[20:21], v[20:21], -v[216:217]
	s_waitcnt lgkmcnt(0)
	v_mul_f64 v[24:25], v[240:241], v[214:215]
	v_mul_f64 v[216:217], v[238:239], v[214:215]
	v_fma_f64 v[24:25], v[238:239], v[22:23], -v[24:25]
	v_fma_f64 v[216:217], v[240:241], v[22:23], v[216:217]
	ds_read2_b64 v[238:241], v1 offset0:112 offset1:113
	v_add_f64 v[14:15], v[14:15], -v[24:25]
	v_add_f64 v[16:17], v[16:17], -v[216:217]
	;; [unrolled: 8-line block ×4, first 2 shown]
	s_waitcnt lgkmcnt(0)
	v_mul_f64 v[24:25], v[240:241], v[214:215]
	v_mul_f64 v[216:217], v[238:239], v[214:215]
	v_fma_f64 v[24:25], v[238:239], v[22:23], -v[24:25]
	v_fma_f64 v[216:217], v[240:241], v[22:23], v[216:217]
	v_add_f64 v[226:227], v[226:227], -v[24:25]
	v_add_f64 v[228:229], v[228:229], -v[216:217]
	v_mov_b32_e32 v24, v214
	v_mov_b32_e32 v25, v215
.LBB116_1133:
	s_or_b32 exec_lo, exec_lo, s0
	v_lshl_add_u32 v214, v252, 4, v1
	s_barrier
	buffer_gl0_inv
	v_mov_b32_e32 v246, 54
	ds_write2_b64 v214, v[18:19], v[20:21] offset1:1
	s_waitcnt lgkmcnt(0)
	s_barrier
	buffer_gl0_inv
	ds_read2_b64 v[238:241], v1 offset0:108 offset1:109
	s_cmp_lt_i32 s8, 56
	s_cbranch_scc1 .LBB116_1136
; %bb.1134:
	v_add3_u32 v247, v248, 0, 0x370
	v_mov_b32_e32 v246, 54
	s_mov_b32 s0, 55
	s_inst_prefetch 0x1
	.p2align	6
.LBB116_1135:                           ; =>This Inner Loop Header: Depth=1
	s_waitcnt lgkmcnt(0)
	v_cmp_gt_f64_e32 vcc_lo, 0, v[238:239]
	v_xor_b32_e32 v214, 0x80000000, v239
	ds_read2_b64 v[242:245], v247 offset1:1
	v_xor_b32_e32 v216, 0x80000000, v241
	v_add_nc_u32_e32 v247, 16, v247
	s_waitcnt lgkmcnt(0)
	v_xor_b32_e32 v218, 0x80000000, v245
	v_cndmask_b32_e32 v215, v239, v214, vcc_lo
	v_cmp_gt_f64_e32 vcc_lo, 0, v[240:241]
	v_mov_b32_e32 v214, v238
	v_cndmask_b32_e32 v217, v241, v216, vcc_lo
	v_cmp_gt_f64_e32 vcc_lo, 0, v[242:243]
	v_mov_b32_e32 v216, v240
	v_add_f64 v[214:215], v[214:215], v[216:217]
	v_xor_b32_e32 v216, 0x80000000, v243
	v_cndmask_b32_e32 v217, v243, v216, vcc_lo
	v_cmp_gt_f64_e32 vcc_lo, 0, v[244:245]
	v_mov_b32_e32 v216, v242
	v_cndmask_b32_e32 v219, v245, v218, vcc_lo
	v_mov_b32_e32 v218, v244
	v_add_f64 v[216:217], v[216:217], v[218:219]
	v_cmp_lt_f64_e32 vcc_lo, v[214:215], v[216:217]
	v_cndmask_b32_e32 v239, v239, v243, vcc_lo
	v_cndmask_b32_e32 v238, v238, v242, vcc_lo
	;; [unrolled: 1-line block ×4, first 2 shown]
	v_cndmask_b32_e64 v246, v246, s0, vcc_lo
	s_add_i32 s0, s0, 1
	s_cmp_lg_u32 s8, s0
	s_cbranch_scc1 .LBB116_1135
.LBB116_1136:
	s_inst_prefetch 0x2
	s_waitcnt lgkmcnt(0)
	v_cmp_eq_f64_e32 vcc_lo, 0, v[238:239]
	v_cmp_eq_f64_e64 s0, 0, v[240:241]
	s_and_b32 s0, vcc_lo, s0
	s_and_saveexec_b32 s1, s0
	s_xor_b32 s0, exec_lo, s1
; %bb.1137:
	v_cmp_ne_u32_e32 vcc_lo, 0, v251
	v_cndmask_b32_e32 v251, 55, v251, vcc_lo
; %bb.1138:
	s_andn2_saveexec_b32 s0, s0
	s_cbranch_execz .LBB116_1144
; %bb.1139:
	v_cmp_ngt_f64_e64 s1, |v[238:239]|, |v[240:241]|
	s_and_saveexec_b32 s7, s1
	s_xor_b32 s1, exec_lo, s7
	s_cbranch_execz .LBB116_1141
; %bb.1140:
	v_div_scale_f64 v[214:215], null, v[240:241], v[240:241], v[238:239]
	v_div_scale_f64 v[220:221], vcc_lo, v[238:239], v[240:241], v[238:239]
	v_rcp_f64_e32 v[216:217], v[214:215]
	v_fma_f64 v[218:219], -v[214:215], v[216:217], 1.0
	v_fma_f64 v[216:217], v[216:217], v[218:219], v[216:217]
	v_fma_f64 v[218:219], -v[214:215], v[216:217], 1.0
	v_fma_f64 v[216:217], v[216:217], v[218:219], v[216:217]
	v_mul_f64 v[218:219], v[220:221], v[216:217]
	v_fma_f64 v[214:215], -v[214:215], v[218:219], v[220:221]
	v_div_fmas_f64 v[214:215], v[214:215], v[216:217], v[218:219]
	v_div_fixup_f64 v[214:215], v[214:215], v[240:241], v[238:239]
	v_fma_f64 v[216:217], v[238:239], v[214:215], v[240:241]
	v_div_scale_f64 v[218:219], null, v[216:217], v[216:217], 1.0
	v_rcp_f64_e32 v[220:221], v[218:219]
	v_fma_f64 v[222:223], -v[218:219], v[220:221], 1.0
	v_fma_f64 v[220:221], v[220:221], v[222:223], v[220:221]
	v_fma_f64 v[222:223], -v[218:219], v[220:221], 1.0
	v_fma_f64 v[220:221], v[220:221], v[222:223], v[220:221]
	v_div_scale_f64 v[222:223], vcc_lo, 1.0, v[216:217], 1.0
	v_mul_f64 v[224:225], v[222:223], v[220:221]
	v_fma_f64 v[218:219], -v[218:219], v[224:225], v[222:223]
	v_div_fmas_f64 v[218:219], v[218:219], v[220:221], v[224:225]
	v_div_fixup_f64 v[240:241], v[218:219], v[216:217], 1.0
	v_mul_f64 v[238:239], v[214:215], v[240:241]
	v_xor_b32_e32 v241, 0x80000000, v241
.LBB116_1141:
	s_andn2_saveexec_b32 s1, s1
	s_cbranch_execz .LBB116_1143
; %bb.1142:
	v_div_scale_f64 v[214:215], null, v[238:239], v[238:239], v[240:241]
	v_div_scale_f64 v[220:221], vcc_lo, v[240:241], v[238:239], v[240:241]
	v_rcp_f64_e32 v[216:217], v[214:215]
	v_fma_f64 v[218:219], -v[214:215], v[216:217], 1.0
	v_fma_f64 v[216:217], v[216:217], v[218:219], v[216:217]
	v_fma_f64 v[218:219], -v[214:215], v[216:217], 1.0
	v_fma_f64 v[216:217], v[216:217], v[218:219], v[216:217]
	v_mul_f64 v[218:219], v[220:221], v[216:217]
	v_fma_f64 v[214:215], -v[214:215], v[218:219], v[220:221]
	v_div_fmas_f64 v[214:215], v[214:215], v[216:217], v[218:219]
	v_div_fixup_f64 v[214:215], v[214:215], v[238:239], v[240:241]
	v_fma_f64 v[216:217], v[240:241], v[214:215], v[238:239]
	v_div_scale_f64 v[218:219], null, v[216:217], v[216:217], 1.0
	v_rcp_f64_e32 v[220:221], v[218:219]
	v_fma_f64 v[222:223], -v[218:219], v[220:221], 1.0
	v_fma_f64 v[220:221], v[220:221], v[222:223], v[220:221]
	v_fma_f64 v[222:223], -v[218:219], v[220:221], 1.0
	v_fma_f64 v[220:221], v[220:221], v[222:223], v[220:221]
	v_div_scale_f64 v[222:223], vcc_lo, 1.0, v[216:217], 1.0
	v_mul_f64 v[224:225], v[222:223], v[220:221]
	v_fma_f64 v[218:219], -v[218:219], v[224:225], v[222:223]
	v_div_fmas_f64 v[218:219], v[218:219], v[220:221], v[224:225]
	v_div_fixup_f64 v[238:239], v[218:219], v[216:217], 1.0
	v_mul_f64 v[240:241], v[214:215], -v[238:239]
.LBB116_1143:
	s_or_b32 exec_lo, exec_lo, s1
.LBB116_1144:
	s_or_b32 exec_lo, exec_lo, s0
	s_mov_b32 s0, exec_lo
	v_cmpx_ne_u32_e64 v252, v246
	s_xor_b32 s0, exec_lo, s0
	s_cbranch_execz .LBB116_1150
; %bb.1145:
	s_mov_b32 s1, exec_lo
	v_cmpx_eq_u32_e32 54, v252
	s_cbranch_execz .LBB116_1149
; %bb.1146:
	v_cmp_ne_u32_e32 vcc_lo, 54, v246
	s_xor_b32 s7, s16, -1
	s_and_b32 s9, s7, vcc_lo
	s_and_saveexec_b32 s7, s9
	s_cbranch_execz .LBB116_1148
; %bb.1147:
	s_clause 0x1
	buffer_load_dword v210, off, s[20:23], 0 offset:16
	buffer_load_dword v211, off, s[20:23], 0 offset:20
	v_ashrrev_i32_e32 v247, 31, v246
	v_lshlrev_b64 v[214:215], 2, v[246:247]
	s_waitcnt vmcnt(1)
	v_add_co_u32 v214, vcc_lo, v210, v214
	s_waitcnt vmcnt(0)
	v_add_co_ci_u32_e64 v215, null, v211, v215, vcc_lo
	s_clause 0x1
	global_load_dword v0, v[214:215], off
	global_load_dword v216, v[210:211], off offset:216
	s_waitcnt vmcnt(1)
	global_store_dword v[210:211], v0, off offset:216
	s_waitcnt vmcnt(0)
	global_store_dword v[214:215], v216, off
.LBB116_1148:
	s_or_b32 exec_lo, exec_lo, s7
	v_mov_b32_e32 v252, v246
	v_mov_b32_e32 v0, v246
.LBB116_1149:
	s_or_b32 exec_lo, exec_lo, s1
.LBB116_1150:
	s_andn2_saveexec_b32 s0, s0
	s_cbranch_execz .LBB116_1152
; %bb.1151:
	v_mov_b32_e32 v252, 54
	ds_write2_b64 v1, v[14:15], v[16:17] offset0:110 offset1:111
	ds_write2_b64 v1, v[232:233], v[234:235] offset0:112 offset1:113
	ds_write2_b64 v1, v[6:7], v[8:9] offset0:114 offset1:115
	ds_write2_b64 v1, v[226:227], v[228:229] offset0:116 offset1:117
.LBB116_1152:
	s_or_b32 exec_lo, exec_lo, s0
	s_mov_b32 s0, exec_lo
	s_waitcnt lgkmcnt(0)
	s_waitcnt_vscnt null, 0x0
	s_barrier
	buffer_gl0_inv
	v_cmpx_lt_i32_e32 54, v252
	s_cbranch_execz .LBB116_1154
; %bb.1153:
	v_mul_f64 v[214:215], v[238:239], v[20:21]
	v_mul_f64 v[20:21], v[240:241], v[20:21]
	v_fma_f64 v[214:215], v[240:241], v[18:19], v[214:215]
	v_fma_f64 v[18:19], v[238:239], v[18:19], -v[20:21]
	ds_read2_b64 v[238:241], v1 offset0:110 offset1:111
	s_waitcnt lgkmcnt(0)
	v_mul_f64 v[20:21], v[240:241], v[214:215]
	v_mul_f64 v[216:217], v[238:239], v[214:215]
	v_fma_f64 v[20:21], v[238:239], v[18:19], -v[20:21]
	v_fma_f64 v[216:217], v[240:241], v[18:19], v[216:217]
	ds_read2_b64 v[238:241], v1 offset0:112 offset1:113
	v_add_f64 v[14:15], v[14:15], -v[20:21]
	v_add_f64 v[16:17], v[16:17], -v[216:217]
	s_waitcnt lgkmcnt(0)
	v_mul_f64 v[20:21], v[240:241], v[214:215]
	v_mul_f64 v[216:217], v[238:239], v[214:215]
	v_fma_f64 v[20:21], v[238:239], v[18:19], -v[20:21]
	v_fma_f64 v[216:217], v[240:241], v[18:19], v[216:217]
	ds_read2_b64 v[238:241], v1 offset0:114 offset1:115
	v_add_f64 v[232:233], v[232:233], -v[20:21]
	v_add_f64 v[234:235], v[234:235], -v[216:217]
	;; [unrolled: 8-line block ×3, first 2 shown]
	s_waitcnt lgkmcnt(0)
	v_mul_f64 v[20:21], v[240:241], v[214:215]
	v_mul_f64 v[216:217], v[238:239], v[214:215]
	v_fma_f64 v[20:21], v[238:239], v[18:19], -v[20:21]
	v_fma_f64 v[216:217], v[240:241], v[18:19], v[216:217]
	v_add_f64 v[226:227], v[226:227], -v[20:21]
	v_add_f64 v[228:229], v[228:229], -v[216:217]
	v_mov_b32_e32 v20, v214
	v_mov_b32_e32 v21, v215
.LBB116_1154:
	s_or_b32 exec_lo, exec_lo, s0
	v_lshl_add_u32 v214, v252, 4, v1
	s_barrier
	buffer_gl0_inv
	v_mov_b32_e32 v246, 55
	ds_write2_b64 v214, v[14:15], v[16:17] offset1:1
	s_waitcnt lgkmcnt(0)
	s_barrier
	buffer_gl0_inv
	ds_read2_b64 v[238:241], v1 offset0:110 offset1:111
	s_cmp_lt_i32 s8, 57
	s_cbranch_scc1 .LBB116_1157
; %bb.1155:
	v_add3_u32 v247, v248, 0, 0x380
	v_mov_b32_e32 v246, 55
	s_mov_b32 s0, 56
	s_inst_prefetch 0x1
	.p2align	6
.LBB116_1156:                           ; =>This Inner Loop Header: Depth=1
	s_waitcnt lgkmcnt(0)
	v_cmp_gt_f64_e32 vcc_lo, 0, v[238:239]
	v_xor_b32_e32 v214, 0x80000000, v239
	ds_read2_b64 v[242:245], v247 offset1:1
	v_xor_b32_e32 v216, 0x80000000, v241
	v_add_nc_u32_e32 v247, 16, v247
	s_waitcnt lgkmcnt(0)
	v_xor_b32_e32 v218, 0x80000000, v245
	v_cndmask_b32_e32 v215, v239, v214, vcc_lo
	v_cmp_gt_f64_e32 vcc_lo, 0, v[240:241]
	v_mov_b32_e32 v214, v238
	v_cndmask_b32_e32 v217, v241, v216, vcc_lo
	v_cmp_gt_f64_e32 vcc_lo, 0, v[242:243]
	v_mov_b32_e32 v216, v240
	v_add_f64 v[214:215], v[214:215], v[216:217]
	v_xor_b32_e32 v216, 0x80000000, v243
	v_cndmask_b32_e32 v217, v243, v216, vcc_lo
	v_cmp_gt_f64_e32 vcc_lo, 0, v[244:245]
	v_mov_b32_e32 v216, v242
	v_cndmask_b32_e32 v219, v245, v218, vcc_lo
	v_mov_b32_e32 v218, v244
	v_add_f64 v[216:217], v[216:217], v[218:219]
	v_cmp_lt_f64_e32 vcc_lo, v[214:215], v[216:217]
	v_cndmask_b32_e32 v239, v239, v243, vcc_lo
	v_cndmask_b32_e32 v238, v238, v242, vcc_lo
	;; [unrolled: 1-line block ×4, first 2 shown]
	v_cndmask_b32_e64 v246, v246, s0, vcc_lo
	s_add_i32 s0, s0, 1
	s_cmp_lg_u32 s8, s0
	s_cbranch_scc1 .LBB116_1156
.LBB116_1157:
	s_inst_prefetch 0x2
	s_waitcnt lgkmcnt(0)
	v_cmp_eq_f64_e32 vcc_lo, 0, v[238:239]
	v_cmp_eq_f64_e64 s0, 0, v[240:241]
	s_and_b32 s0, vcc_lo, s0
	s_and_saveexec_b32 s1, s0
	s_xor_b32 s0, exec_lo, s1
; %bb.1158:
	v_cmp_ne_u32_e32 vcc_lo, 0, v251
	v_cndmask_b32_e32 v251, 56, v251, vcc_lo
; %bb.1159:
	s_andn2_saveexec_b32 s0, s0
	s_cbranch_execz .LBB116_1165
; %bb.1160:
	v_cmp_ngt_f64_e64 s1, |v[238:239]|, |v[240:241]|
	s_and_saveexec_b32 s7, s1
	s_xor_b32 s1, exec_lo, s7
	s_cbranch_execz .LBB116_1162
; %bb.1161:
	v_div_scale_f64 v[214:215], null, v[240:241], v[240:241], v[238:239]
	v_div_scale_f64 v[220:221], vcc_lo, v[238:239], v[240:241], v[238:239]
	v_rcp_f64_e32 v[216:217], v[214:215]
	v_fma_f64 v[218:219], -v[214:215], v[216:217], 1.0
	v_fma_f64 v[216:217], v[216:217], v[218:219], v[216:217]
	v_fma_f64 v[218:219], -v[214:215], v[216:217], 1.0
	v_fma_f64 v[216:217], v[216:217], v[218:219], v[216:217]
	v_mul_f64 v[218:219], v[220:221], v[216:217]
	v_fma_f64 v[214:215], -v[214:215], v[218:219], v[220:221]
	v_div_fmas_f64 v[214:215], v[214:215], v[216:217], v[218:219]
	v_div_fixup_f64 v[214:215], v[214:215], v[240:241], v[238:239]
	v_fma_f64 v[216:217], v[238:239], v[214:215], v[240:241]
	v_div_scale_f64 v[218:219], null, v[216:217], v[216:217], 1.0
	v_rcp_f64_e32 v[220:221], v[218:219]
	v_fma_f64 v[222:223], -v[218:219], v[220:221], 1.0
	v_fma_f64 v[220:221], v[220:221], v[222:223], v[220:221]
	v_fma_f64 v[222:223], -v[218:219], v[220:221], 1.0
	v_fma_f64 v[220:221], v[220:221], v[222:223], v[220:221]
	v_div_scale_f64 v[222:223], vcc_lo, 1.0, v[216:217], 1.0
	v_mul_f64 v[224:225], v[222:223], v[220:221]
	v_fma_f64 v[218:219], -v[218:219], v[224:225], v[222:223]
	v_div_fmas_f64 v[218:219], v[218:219], v[220:221], v[224:225]
	v_div_fixup_f64 v[240:241], v[218:219], v[216:217], 1.0
	v_mul_f64 v[238:239], v[214:215], v[240:241]
	v_xor_b32_e32 v241, 0x80000000, v241
.LBB116_1162:
	s_andn2_saveexec_b32 s1, s1
	s_cbranch_execz .LBB116_1164
; %bb.1163:
	v_div_scale_f64 v[214:215], null, v[238:239], v[238:239], v[240:241]
	v_div_scale_f64 v[220:221], vcc_lo, v[240:241], v[238:239], v[240:241]
	v_rcp_f64_e32 v[216:217], v[214:215]
	v_fma_f64 v[218:219], -v[214:215], v[216:217], 1.0
	v_fma_f64 v[216:217], v[216:217], v[218:219], v[216:217]
	v_fma_f64 v[218:219], -v[214:215], v[216:217], 1.0
	v_fma_f64 v[216:217], v[216:217], v[218:219], v[216:217]
	v_mul_f64 v[218:219], v[220:221], v[216:217]
	v_fma_f64 v[214:215], -v[214:215], v[218:219], v[220:221]
	v_div_fmas_f64 v[214:215], v[214:215], v[216:217], v[218:219]
	v_div_fixup_f64 v[214:215], v[214:215], v[238:239], v[240:241]
	v_fma_f64 v[216:217], v[240:241], v[214:215], v[238:239]
	v_div_scale_f64 v[218:219], null, v[216:217], v[216:217], 1.0
	v_rcp_f64_e32 v[220:221], v[218:219]
	v_fma_f64 v[222:223], -v[218:219], v[220:221], 1.0
	v_fma_f64 v[220:221], v[220:221], v[222:223], v[220:221]
	v_fma_f64 v[222:223], -v[218:219], v[220:221], 1.0
	v_fma_f64 v[220:221], v[220:221], v[222:223], v[220:221]
	v_div_scale_f64 v[222:223], vcc_lo, 1.0, v[216:217], 1.0
	v_mul_f64 v[224:225], v[222:223], v[220:221]
	v_fma_f64 v[218:219], -v[218:219], v[224:225], v[222:223]
	v_div_fmas_f64 v[218:219], v[218:219], v[220:221], v[224:225]
	v_div_fixup_f64 v[238:239], v[218:219], v[216:217], 1.0
	v_mul_f64 v[240:241], v[214:215], -v[238:239]
.LBB116_1164:
	s_or_b32 exec_lo, exec_lo, s1
.LBB116_1165:
	s_or_b32 exec_lo, exec_lo, s0
	s_mov_b32 s0, exec_lo
	v_cmpx_ne_u32_e64 v252, v246
	s_xor_b32 s0, exec_lo, s0
	s_cbranch_execz .LBB116_1171
; %bb.1166:
	s_mov_b32 s1, exec_lo
	v_cmpx_eq_u32_e32 55, v252
	s_cbranch_execz .LBB116_1170
; %bb.1167:
	v_cmp_ne_u32_e32 vcc_lo, 55, v246
	s_xor_b32 s7, s16, -1
	s_and_b32 s9, s7, vcc_lo
	s_and_saveexec_b32 s7, s9
	s_cbranch_execz .LBB116_1169
; %bb.1168:
	s_clause 0x1
	buffer_load_dword v210, off, s[20:23], 0 offset:16
	buffer_load_dword v211, off, s[20:23], 0 offset:20
	v_ashrrev_i32_e32 v247, 31, v246
	v_lshlrev_b64 v[214:215], 2, v[246:247]
	s_waitcnt vmcnt(1)
	v_add_co_u32 v214, vcc_lo, v210, v214
	s_waitcnt vmcnt(0)
	v_add_co_ci_u32_e64 v215, null, v211, v215, vcc_lo
	s_clause 0x1
	global_load_dword v0, v[214:215], off
	global_load_dword v216, v[210:211], off offset:220
	s_waitcnt vmcnt(1)
	global_store_dword v[210:211], v0, off offset:220
	s_waitcnt vmcnt(0)
	global_store_dword v[214:215], v216, off
.LBB116_1169:
	s_or_b32 exec_lo, exec_lo, s7
	v_mov_b32_e32 v252, v246
	v_mov_b32_e32 v0, v246
.LBB116_1170:
	s_or_b32 exec_lo, exec_lo, s1
.LBB116_1171:
	s_andn2_saveexec_b32 s0, s0
	s_cbranch_execz .LBB116_1173
; %bb.1172:
	v_mov_b32_e32 v252, 55
	ds_write2_b64 v1, v[232:233], v[234:235] offset0:112 offset1:113
	ds_write2_b64 v1, v[6:7], v[8:9] offset0:114 offset1:115
	;; [unrolled: 1-line block ×3, first 2 shown]
.LBB116_1173:
	s_or_b32 exec_lo, exec_lo, s0
	s_mov_b32 s0, exec_lo
	s_waitcnt lgkmcnt(0)
	s_waitcnt_vscnt null, 0x0
	s_barrier
	buffer_gl0_inv
	v_cmpx_lt_i32_e32 55, v252
	s_cbranch_execz .LBB116_1175
; %bb.1174:
	v_mul_f64 v[214:215], v[238:239], v[16:17]
	v_mul_f64 v[16:17], v[240:241], v[16:17]
	v_fma_f64 v[214:215], v[240:241], v[14:15], v[214:215]
	v_fma_f64 v[14:15], v[238:239], v[14:15], -v[16:17]
	ds_read2_b64 v[238:241], v1 offset0:112 offset1:113
	s_waitcnt lgkmcnt(0)
	v_mul_f64 v[16:17], v[240:241], v[214:215]
	v_mul_f64 v[216:217], v[238:239], v[214:215]
	v_fma_f64 v[16:17], v[238:239], v[14:15], -v[16:17]
	v_fma_f64 v[216:217], v[240:241], v[14:15], v[216:217]
	ds_read2_b64 v[238:241], v1 offset0:114 offset1:115
	v_add_f64 v[232:233], v[232:233], -v[16:17]
	v_add_f64 v[234:235], v[234:235], -v[216:217]
	s_waitcnt lgkmcnt(0)
	v_mul_f64 v[16:17], v[240:241], v[214:215]
	v_mul_f64 v[216:217], v[238:239], v[214:215]
	v_fma_f64 v[16:17], v[238:239], v[14:15], -v[16:17]
	v_fma_f64 v[216:217], v[240:241], v[14:15], v[216:217]
	ds_read2_b64 v[238:241], v1 offset0:116 offset1:117
	v_add_f64 v[6:7], v[6:7], -v[16:17]
	v_add_f64 v[8:9], v[8:9], -v[216:217]
	s_waitcnt lgkmcnt(0)
	v_mul_f64 v[16:17], v[240:241], v[214:215]
	v_mul_f64 v[216:217], v[238:239], v[214:215]
	v_fma_f64 v[16:17], v[238:239], v[14:15], -v[16:17]
	v_fma_f64 v[216:217], v[240:241], v[14:15], v[216:217]
	v_add_f64 v[226:227], v[226:227], -v[16:17]
	v_add_f64 v[228:229], v[228:229], -v[216:217]
	v_mov_b32_e32 v16, v214
	v_mov_b32_e32 v17, v215
.LBB116_1175:
	s_or_b32 exec_lo, exec_lo, s0
	v_lshl_add_u32 v214, v252, 4, v1
	s_barrier
	buffer_gl0_inv
	v_mov_b32_e32 v246, 56
	ds_write2_b64 v214, v[232:233], v[234:235] offset1:1
	s_waitcnt lgkmcnt(0)
	s_barrier
	buffer_gl0_inv
	ds_read2_b64 v[238:241], v1 offset0:112 offset1:113
	s_cmp_lt_i32 s8, 58
	s_cbranch_scc1 .LBB116_1178
; %bb.1176:
	v_add3_u32 v247, v248, 0, 0x390
	v_mov_b32_e32 v246, 56
	s_mov_b32 s0, 57
	s_inst_prefetch 0x1
	.p2align	6
.LBB116_1177:                           ; =>This Inner Loop Header: Depth=1
	s_waitcnt lgkmcnt(0)
	v_cmp_gt_f64_e32 vcc_lo, 0, v[238:239]
	v_xor_b32_e32 v214, 0x80000000, v239
	ds_read2_b64 v[242:245], v247 offset1:1
	v_xor_b32_e32 v216, 0x80000000, v241
	v_add_nc_u32_e32 v247, 16, v247
	s_waitcnt lgkmcnt(0)
	v_xor_b32_e32 v218, 0x80000000, v245
	v_cndmask_b32_e32 v215, v239, v214, vcc_lo
	v_cmp_gt_f64_e32 vcc_lo, 0, v[240:241]
	v_mov_b32_e32 v214, v238
	v_cndmask_b32_e32 v217, v241, v216, vcc_lo
	v_cmp_gt_f64_e32 vcc_lo, 0, v[242:243]
	v_mov_b32_e32 v216, v240
	v_add_f64 v[214:215], v[214:215], v[216:217]
	v_xor_b32_e32 v216, 0x80000000, v243
	v_cndmask_b32_e32 v217, v243, v216, vcc_lo
	v_cmp_gt_f64_e32 vcc_lo, 0, v[244:245]
	v_mov_b32_e32 v216, v242
	v_cndmask_b32_e32 v219, v245, v218, vcc_lo
	v_mov_b32_e32 v218, v244
	v_add_f64 v[216:217], v[216:217], v[218:219]
	v_cmp_lt_f64_e32 vcc_lo, v[214:215], v[216:217]
	v_cndmask_b32_e32 v239, v239, v243, vcc_lo
	v_cndmask_b32_e32 v238, v238, v242, vcc_lo
	v_cndmask_b32_e32 v241, v241, v245, vcc_lo
	v_cndmask_b32_e32 v240, v240, v244, vcc_lo
	v_cndmask_b32_e64 v246, v246, s0, vcc_lo
	s_add_i32 s0, s0, 1
	s_cmp_lg_u32 s8, s0
	s_cbranch_scc1 .LBB116_1177
.LBB116_1178:
	s_inst_prefetch 0x2
	s_waitcnt lgkmcnt(0)
	v_cmp_eq_f64_e32 vcc_lo, 0, v[238:239]
	v_cmp_eq_f64_e64 s0, 0, v[240:241]
	s_and_b32 s0, vcc_lo, s0
	s_and_saveexec_b32 s1, s0
	s_xor_b32 s0, exec_lo, s1
; %bb.1179:
	v_cmp_ne_u32_e32 vcc_lo, 0, v251
	v_cndmask_b32_e32 v251, 57, v251, vcc_lo
; %bb.1180:
	s_andn2_saveexec_b32 s0, s0
	s_cbranch_execz .LBB116_1186
; %bb.1181:
	v_cmp_ngt_f64_e64 s1, |v[238:239]|, |v[240:241]|
	s_and_saveexec_b32 s7, s1
	s_xor_b32 s1, exec_lo, s7
	s_cbranch_execz .LBB116_1183
; %bb.1182:
	v_div_scale_f64 v[214:215], null, v[240:241], v[240:241], v[238:239]
	v_div_scale_f64 v[220:221], vcc_lo, v[238:239], v[240:241], v[238:239]
	v_rcp_f64_e32 v[216:217], v[214:215]
	v_fma_f64 v[218:219], -v[214:215], v[216:217], 1.0
	v_fma_f64 v[216:217], v[216:217], v[218:219], v[216:217]
	v_fma_f64 v[218:219], -v[214:215], v[216:217], 1.0
	v_fma_f64 v[216:217], v[216:217], v[218:219], v[216:217]
	v_mul_f64 v[218:219], v[220:221], v[216:217]
	v_fma_f64 v[214:215], -v[214:215], v[218:219], v[220:221]
	v_div_fmas_f64 v[214:215], v[214:215], v[216:217], v[218:219]
	v_div_fixup_f64 v[214:215], v[214:215], v[240:241], v[238:239]
	v_fma_f64 v[216:217], v[238:239], v[214:215], v[240:241]
	v_div_scale_f64 v[218:219], null, v[216:217], v[216:217], 1.0
	v_rcp_f64_e32 v[220:221], v[218:219]
	v_fma_f64 v[222:223], -v[218:219], v[220:221], 1.0
	v_fma_f64 v[220:221], v[220:221], v[222:223], v[220:221]
	v_fma_f64 v[222:223], -v[218:219], v[220:221], 1.0
	v_fma_f64 v[220:221], v[220:221], v[222:223], v[220:221]
	v_div_scale_f64 v[222:223], vcc_lo, 1.0, v[216:217], 1.0
	v_mul_f64 v[224:225], v[222:223], v[220:221]
	v_fma_f64 v[218:219], -v[218:219], v[224:225], v[222:223]
	v_div_fmas_f64 v[218:219], v[218:219], v[220:221], v[224:225]
	v_div_fixup_f64 v[240:241], v[218:219], v[216:217], 1.0
	v_mul_f64 v[238:239], v[214:215], v[240:241]
	v_xor_b32_e32 v241, 0x80000000, v241
.LBB116_1183:
	s_andn2_saveexec_b32 s1, s1
	s_cbranch_execz .LBB116_1185
; %bb.1184:
	v_div_scale_f64 v[214:215], null, v[238:239], v[238:239], v[240:241]
	v_div_scale_f64 v[220:221], vcc_lo, v[240:241], v[238:239], v[240:241]
	v_rcp_f64_e32 v[216:217], v[214:215]
	v_fma_f64 v[218:219], -v[214:215], v[216:217], 1.0
	v_fma_f64 v[216:217], v[216:217], v[218:219], v[216:217]
	v_fma_f64 v[218:219], -v[214:215], v[216:217], 1.0
	v_fma_f64 v[216:217], v[216:217], v[218:219], v[216:217]
	v_mul_f64 v[218:219], v[220:221], v[216:217]
	v_fma_f64 v[214:215], -v[214:215], v[218:219], v[220:221]
	v_div_fmas_f64 v[214:215], v[214:215], v[216:217], v[218:219]
	v_div_fixup_f64 v[214:215], v[214:215], v[238:239], v[240:241]
	v_fma_f64 v[216:217], v[240:241], v[214:215], v[238:239]
	v_div_scale_f64 v[218:219], null, v[216:217], v[216:217], 1.0
	v_rcp_f64_e32 v[220:221], v[218:219]
	v_fma_f64 v[222:223], -v[218:219], v[220:221], 1.0
	v_fma_f64 v[220:221], v[220:221], v[222:223], v[220:221]
	v_fma_f64 v[222:223], -v[218:219], v[220:221], 1.0
	v_fma_f64 v[220:221], v[220:221], v[222:223], v[220:221]
	v_div_scale_f64 v[222:223], vcc_lo, 1.0, v[216:217], 1.0
	v_mul_f64 v[224:225], v[222:223], v[220:221]
	v_fma_f64 v[218:219], -v[218:219], v[224:225], v[222:223]
	v_div_fmas_f64 v[218:219], v[218:219], v[220:221], v[224:225]
	v_div_fixup_f64 v[238:239], v[218:219], v[216:217], 1.0
	v_mul_f64 v[240:241], v[214:215], -v[238:239]
.LBB116_1185:
	s_or_b32 exec_lo, exec_lo, s1
.LBB116_1186:
	s_or_b32 exec_lo, exec_lo, s0
	s_mov_b32 s0, exec_lo
	v_cmpx_ne_u32_e64 v252, v246
	s_xor_b32 s0, exec_lo, s0
	s_cbranch_execz .LBB116_1192
; %bb.1187:
	s_mov_b32 s1, exec_lo
	v_cmpx_eq_u32_e32 56, v252
	s_cbranch_execz .LBB116_1191
; %bb.1188:
	v_cmp_ne_u32_e32 vcc_lo, 56, v246
	s_xor_b32 s7, s16, -1
	s_and_b32 s9, s7, vcc_lo
	s_and_saveexec_b32 s7, s9
	s_cbranch_execz .LBB116_1190
; %bb.1189:
	s_clause 0x1
	buffer_load_dword v210, off, s[20:23], 0 offset:16
	buffer_load_dword v211, off, s[20:23], 0 offset:20
	v_ashrrev_i32_e32 v247, 31, v246
	v_lshlrev_b64 v[214:215], 2, v[246:247]
	s_waitcnt vmcnt(1)
	v_add_co_u32 v214, vcc_lo, v210, v214
	s_waitcnt vmcnt(0)
	v_add_co_ci_u32_e64 v215, null, v211, v215, vcc_lo
	s_clause 0x1
	global_load_dword v0, v[214:215], off
	global_load_dword v216, v[210:211], off offset:224
	s_waitcnt vmcnt(1)
	global_store_dword v[210:211], v0, off offset:224
	s_waitcnt vmcnt(0)
	global_store_dword v[214:215], v216, off
.LBB116_1190:
	s_or_b32 exec_lo, exec_lo, s7
	v_mov_b32_e32 v252, v246
	v_mov_b32_e32 v0, v246
.LBB116_1191:
	s_or_b32 exec_lo, exec_lo, s1
.LBB116_1192:
	s_andn2_saveexec_b32 s0, s0
	s_cbranch_execz .LBB116_1194
; %bb.1193:
	v_mov_b32_e32 v252, 56
	ds_write2_b64 v1, v[6:7], v[8:9] offset0:114 offset1:115
	ds_write2_b64 v1, v[226:227], v[228:229] offset0:116 offset1:117
.LBB116_1194:
	s_or_b32 exec_lo, exec_lo, s0
	s_mov_b32 s0, exec_lo
	s_waitcnt lgkmcnt(0)
	s_waitcnt_vscnt null, 0x0
	s_barrier
	buffer_gl0_inv
	v_cmpx_lt_i32_e32 56, v252
	s_cbranch_execz .LBB116_1196
; %bb.1195:
	v_mul_f64 v[214:215], v[238:239], v[234:235]
	v_mov_b32_e32 v213, v5
	v_mov_b32_e32 v212, v4
	;; [unrolled: 1-line block ×8, first 2 shown]
	v_mul_f64 v[12:13], v[240:241], v[234:235]
	v_fma_f64 v[214:215], v[240:241], v[232:233], v[214:215]
	v_fma_f64 v[232:233], v[238:239], v[232:233], -v[12:13]
	ds_read2_b64 v[238:241], v1 offset0:114 offset1:115
	v_mov_b32_e32 v235, v215
	v_mov_b32_e32 v234, v214
	s_waitcnt lgkmcnt(0)
	v_mul_f64 v[12:13], v[240:241], v[214:215]
	v_mul_f64 v[216:217], v[238:239], v[214:215]
	v_fma_f64 v[12:13], v[238:239], v[232:233], -v[12:13]
	v_fma_f64 v[216:217], v[240:241], v[232:233], v[216:217]
	ds_read2_b64 v[238:241], v1 offset0:116 offset1:117
	v_add_f64 v[6:7], v[6:7], -v[12:13]
	v_add_f64 v[8:9], v[8:9], -v[216:217]
	s_waitcnt lgkmcnt(0)
	v_mul_f64 v[12:13], v[240:241], v[214:215]
	v_mul_f64 v[216:217], v[238:239], v[214:215]
	v_fma_f64 v[12:13], v[238:239], v[232:233], -v[12:13]
	v_fma_f64 v[216:217], v[240:241], v[232:233], v[216:217]
	v_add_f64 v[226:227], v[226:227], -v[12:13]
	v_add_f64 v[228:229], v[228:229], -v[216:217]
	v_mov_b32_e32 v13, v5
	v_mov_b32_e32 v12, v4
	;; [unrolled: 1-line block ×8, first 2 shown]
.LBB116_1196:
	s_or_b32 exec_lo, exec_lo, s0
	v_lshl_add_u32 v214, v252, 4, v1
	s_barrier
	buffer_gl0_inv
	v_mov_b32_e32 v246, 57
	ds_write2_b64 v214, v[6:7], v[8:9] offset1:1
	s_waitcnt lgkmcnt(0)
	s_barrier
	buffer_gl0_inv
	ds_read2_b64 v[238:241], v1 offset0:114 offset1:115
	s_cmp_lt_i32 s8, 59
	s_cbranch_scc1 .LBB116_1199
; %bb.1197:
	v_add3_u32 v247, v248, 0, 0x3a0
	v_mov_b32_e32 v246, 57
	s_mov_b32 s0, 58
	s_inst_prefetch 0x1
	.p2align	6
.LBB116_1198:                           ; =>This Inner Loop Header: Depth=1
	s_waitcnt lgkmcnt(0)
	v_cmp_gt_f64_e32 vcc_lo, 0, v[238:239]
	v_xor_b32_e32 v214, 0x80000000, v239
	ds_read2_b64 v[242:245], v247 offset1:1
	v_xor_b32_e32 v216, 0x80000000, v241
	v_add_nc_u32_e32 v247, 16, v247
	s_waitcnt lgkmcnt(0)
	v_xor_b32_e32 v218, 0x80000000, v245
	v_cndmask_b32_e32 v215, v239, v214, vcc_lo
	v_cmp_gt_f64_e32 vcc_lo, 0, v[240:241]
	v_mov_b32_e32 v214, v238
	v_cndmask_b32_e32 v217, v241, v216, vcc_lo
	v_cmp_gt_f64_e32 vcc_lo, 0, v[242:243]
	v_mov_b32_e32 v216, v240
	v_add_f64 v[214:215], v[214:215], v[216:217]
	v_xor_b32_e32 v216, 0x80000000, v243
	v_cndmask_b32_e32 v217, v243, v216, vcc_lo
	v_cmp_gt_f64_e32 vcc_lo, 0, v[244:245]
	v_mov_b32_e32 v216, v242
	v_cndmask_b32_e32 v219, v245, v218, vcc_lo
	v_mov_b32_e32 v218, v244
	v_add_f64 v[216:217], v[216:217], v[218:219]
	v_cmp_lt_f64_e32 vcc_lo, v[214:215], v[216:217]
	v_cndmask_b32_e32 v239, v239, v243, vcc_lo
	v_cndmask_b32_e32 v238, v238, v242, vcc_lo
	;; [unrolled: 1-line block ×4, first 2 shown]
	v_cndmask_b32_e64 v246, v246, s0, vcc_lo
	s_add_i32 s0, s0, 1
	s_cmp_lg_u32 s8, s0
	s_cbranch_scc1 .LBB116_1198
.LBB116_1199:
	s_inst_prefetch 0x2
	s_waitcnt lgkmcnt(0)
	v_cmp_eq_f64_e32 vcc_lo, 0, v[238:239]
	v_cmp_eq_f64_e64 s0, 0, v[240:241]
	s_and_b32 s0, vcc_lo, s0
	s_and_saveexec_b32 s1, s0
	s_xor_b32 s0, exec_lo, s1
; %bb.1200:
	v_cmp_ne_u32_e32 vcc_lo, 0, v251
	v_cndmask_b32_e32 v251, 58, v251, vcc_lo
; %bb.1201:
	s_andn2_saveexec_b32 s0, s0
	s_cbranch_execz .LBB116_1207
; %bb.1202:
	v_cmp_ngt_f64_e64 s1, |v[238:239]|, |v[240:241]|
	s_and_saveexec_b32 s7, s1
	s_xor_b32 s1, exec_lo, s7
	s_cbranch_execz .LBB116_1204
; %bb.1203:
	v_div_scale_f64 v[214:215], null, v[240:241], v[240:241], v[238:239]
	v_div_scale_f64 v[220:221], vcc_lo, v[238:239], v[240:241], v[238:239]
	v_rcp_f64_e32 v[216:217], v[214:215]
	v_fma_f64 v[218:219], -v[214:215], v[216:217], 1.0
	v_fma_f64 v[216:217], v[216:217], v[218:219], v[216:217]
	v_fma_f64 v[218:219], -v[214:215], v[216:217], 1.0
	v_fma_f64 v[216:217], v[216:217], v[218:219], v[216:217]
	v_mul_f64 v[218:219], v[220:221], v[216:217]
	v_fma_f64 v[214:215], -v[214:215], v[218:219], v[220:221]
	v_div_fmas_f64 v[214:215], v[214:215], v[216:217], v[218:219]
	v_div_fixup_f64 v[214:215], v[214:215], v[240:241], v[238:239]
	v_fma_f64 v[216:217], v[238:239], v[214:215], v[240:241]
	v_div_scale_f64 v[218:219], null, v[216:217], v[216:217], 1.0
	v_rcp_f64_e32 v[220:221], v[218:219]
	v_fma_f64 v[222:223], -v[218:219], v[220:221], 1.0
	v_fma_f64 v[220:221], v[220:221], v[222:223], v[220:221]
	v_fma_f64 v[222:223], -v[218:219], v[220:221], 1.0
	v_fma_f64 v[220:221], v[220:221], v[222:223], v[220:221]
	v_div_scale_f64 v[222:223], vcc_lo, 1.0, v[216:217], 1.0
	v_mul_f64 v[224:225], v[222:223], v[220:221]
	v_fma_f64 v[218:219], -v[218:219], v[224:225], v[222:223]
	v_div_fmas_f64 v[218:219], v[218:219], v[220:221], v[224:225]
	v_div_fixup_f64 v[240:241], v[218:219], v[216:217], 1.0
	v_mul_f64 v[238:239], v[214:215], v[240:241]
	v_xor_b32_e32 v241, 0x80000000, v241
.LBB116_1204:
	s_andn2_saveexec_b32 s1, s1
	s_cbranch_execz .LBB116_1206
; %bb.1205:
	v_div_scale_f64 v[214:215], null, v[238:239], v[238:239], v[240:241]
	v_div_scale_f64 v[220:221], vcc_lo, v[240:241], v[238:239], v[240:241]
	v_rcp_f64_e32 v[216:217], v[214:215]
	v_fma_f64 v[218:219], -v[214:215], v[216:217], 1.0
	v_fma_f64 v[216:217], v[216:217], v[218:219], v[216:217]
	v_fma_f64 v[218:219], -v[214:215], v[216:217], 1.0
	v_fma_f64 v[216:217], v[216:217], v[218:219], v[216:217]
	v_mul_f64 v[218:219], v[220:221], v[216:217]
	v_fma_f64 v[214:215], -v[214:215], v[218:219], v[220:221]
	v_div_fmas_f64 v[214:215], v[214:215], v[216:217], v[218:219]
	v_div_fixup_f64 v[214:215], v[214:215], v[238:239], v[240:241]
	v_fma_f64 v[216:217], v[240:241], v[214:215], v[238:239]
	v_div_scale_f64 v[218:219], null, v[216:217], v[216:217], 1.0
	v_rcp_f64_e32 v[220:221], v[218:219]
	v_fma_f64 v[222:223], -v[218:219], v[220:221], 1.0
	v_fma_f64 v[220:221], v[220:221], v[222:223], v[220:221]
	v_fma_f64 v[222:223], -v[218:219], v[220:221], 1.0
	v_fma_f64 v[220:221], v[220:221], v[222:223], v[220:221]
	v_div_scale_f64 v[222:223], vcc_lo, 1.0, v[216:217], 1.0
	v_mul_f64 v[224:225], v[222:223], v[220:221]
	v_fma_f64 v[218:219], -v[218:219], v[224:225], v[222:223]
	v_div_fmas_f64 v[218:219], v[218:219], v[220:221], v[224:225]
	v_div_fixup_f64 v[238:239], v[218:219], v[216:217], 1.0
	v_mul_f64 v[240:241], v[214:215], -v[238:239]
.LBB116_1206:
	s_or_b32 exec_lo, exec_lo, s1
.LBB116_1207:
	s_or_b32 exec_lo, exec_lo, s0
	s_mov_b32 s0, exec_lo
	v_cmpx_ne_u32_e64 v252, v246
	s_xor_b32 s0, exec_lo, s0
	s_cbranch_execz .LBB116_1213
; %bb.1208:
	s_mov_b32 s1, exec_lo
	v_cmpx_eq_u32_e32 57, v252
	s_cbranch_execz .LBB116_1212
; %bb.1209:
	v_cmp_ne_u32_e32 vcc_lo, 57, v246
	s_xor_b32 s7, s16, -1
	s_and_b32 s9, s7, vcc_lo
	s_and_saveexec_b32 s7, s9
	s_cbranch_execz .LBB116_1211
; %bb.1210:
	s_clause 0x1
	buffer_load_dword v210, off, s[20:23], 0 offset:16
	buffer_load_dword v211, off, s[20:23], 0 offset:20
	v_ashrrev_i32_e32 v247, 31, v246
	v_lshlrev_b64 v[214:215], 2, v[246:247]
	s_waitcnt vmcnt(1)
	v_add_co_u32 v214, vcc_lo, v210, v214
	s_waitcnt vmcnt(0)
	v_add_co_ci_u32_e64 v215, null, v211, v215, vcc_lo
	s_clause 0x1
	global_load_dword v0, v[214:215], off
	global_load_dword v216, v[210:211], off offset:228
	s_waitcnt vmcnt(1)
	global_store_dword v[210:211], v0, off offset:228
	s_waitcnt vmcnt(0)
	global_store_dword v[214:215], v216, off
.LBB116_1211:
	s_or_b32 exec_lo, exec_lo, s7
	v_mov_b32_e32 v252, v246
	v_mov_b32_e32 v0, v246
.LBB116_1212:
	s_or_b32 exec_lo, exec_lo, s1
.LBB116_1213:
	s_andn2_saveexec_b32 s0, s0
; %bb.1214:
	v_mov_b32_e32 v252, 57
	ds_write2_b64 v1, v[226:227], v[228:229] offset0:116 offset1:117
; %bb.1215:
	s_or_b32 exec_lo, exec_lo, s0
	s_mov_b32 s0, exec_lo
	s_waitcnt lgkmcnt(0)
	s_waitcnt_vscnt null, 0x0
	s_barrier
	buffer_gl0_inv
	v_cmpx_lt_i32_e32 57, v252
	s_cbranch_execz .LBB116_1217
; %bb.1216:
	v_mul_f64 v[214:215], v[238:239], v[8:9]
	v_mul_f64 v[8:9], v[240:241], v[8:9]
	v_fma_f64 v[214:215], v[240:241], v[6:7], v[214:215]
	v_fma_f64 v[6:7], v[238:239], v[6:7], -v[8:9]
	ds_read2_b64 v[238:241], v1 offset0:116 offset1:117
	s_waitcnt lgkmcnt(0)
	v_mul_f64 v[8:9], v[240:241], v[214:215]
	v_mul_f64 v[216:217], v[238:239], v[214:215]
	v_fma_f64 v[8:9], v[238:239], v[6:7], -v[8:9]
	v_fma_f64 v[216:217], v[240:241], v[6:7], v[216:217]
	v_add_f64 v[226:227], v[226:227], -v[8:9]
	v_add_f64 v[228:229], v[228:229], -v[216:217]
	v_mov_b32_e32 v8, v214
	v_mov_b32_e32 v9, v215
.LBB116_1217:
	s_or_b32 exec_lo, exec_lo, s0
	v_lshl_add_u32 v214, v252, 4, v1
	s_barrier
	buffer_gl0_inv
	v_mov_b32_e32 v246, 58
	ds_write2_b64 v214, v[226:227], v[228:229] offset1:1
	s_waitcnt lgkmcnt(0)
	s_barrier
	buffer_gl0_inv
	ds_read2_b64 v[238:241], v1 offset0:116 offset1:117
	s_cmp_lt_i32 s8, 60
	s_cbranch_scc1 .LBB116_1220
; %bb.1218:
	v_add3_u32 v1, v248, 0, 0x3b0
	v_mov_b32_e32 v246, 58
	s_mov_b32 s0, 59
	s_inst_prefetch 0x1
	.p2align	6
.LBB116_1219:                           ; =>This Inner Loop Header: Depth=1
	s_waitcnt lgkmcnt(0)
	v_cmp_gt_f64_e32 vcc_lo, 0, v[238:239]
	v_xor_b32_e32 v214, 0x80000000, v239
	ds_read2_b64 v[242:245], v1 offset1:1
	v_xor_b32_e32 v216, 0x80000000, v241
	v_add_nc_u32_e32 v1, 16, v1
	s_waitcnt lgkmcnt(0)
	v_xor_b32_e32 v218, 0x80000000, v245
	v_cndmask_b32_e32 v215, v239, v214, vcc_lo
	v_cmp_gt_f64_e32 vcc_lo, 0, v[240:241]
	v_mov_b32_e32 v214, v238
	v_cndmask_b32_e32 v217, v241, v216, vcc_lo
	v_cmp_gt_f64_e32 vcc_lo, 0, v[242:243]
	v_mov_b32_e32 v216, v240
	v_add_f64 v[214:215], v[214:215], v[216:217]
	v_xor_b32_e32 v216, 0x80000000, v243
	v_cndmask_b32_e32 v217, v243, v216, vcc_lo
	v_cmp_gt_f64_e32 vcc_lo, 0, v[244:245]
	v_mov_b32_e32 v216, v242
	v_cndmask_b32_e32 v219, v245, v218, vcc_lo
	v_mov_b32_e32 v218, v244
	v_add_f64 v[216:217], v[216:217], v[218:219]
	v_cmp_lt_f64_e32 vcc_lo, v[214:215], v[216:217]
	v_cndmask_b32_e32 v239, v239, v243, vcc_lo
	v_cndmask_b32_e32 v238, v238, v242, vcc_lo
	;; [unrolled: 1-line block ×4, first 2 shown]
	v_cndmask_b32_e64 v246, v246, s0, vcc_lo
	s_add_i32 s0, s0, 1
	s_cmp_lg_u32 s8, s0
	s_cbranch_scc1 .LBB116_1219
.LBB116_1220:
	s_inst_prefetch 0x2
	s_waitcnt lgkmcnt(0)
	v_cmp_eq_f64_e32 vcc_lo, 0, v[238:239]
	v_cmp_eq_f64_e64 s0, 0, v[240:241]
	s_and_b32 s0, vcc_lo, s0
	s_and_saveexec_b32 s1, s0
	s_xor_b32 s0, exec_lo, s1
; %bb.1221:
	v_cmp_ne_u32_e32 vcc_lo, 0, v251
	v_cndmask_b32_e32 v251, 59, v251, vcc_lo
; %bb.1222:
	s_andn2_saveexec_b32 s0, s0
	s_cbranch_execz .LBB116_1228
; %bb.1223:
	v_cmp_ngt_f64_e64 s1, |v[238:239]|, |v[240:241]|
	s_and_saveexec_b32 s7, s1
	s_xor_b32 s1, exec_lo, s7
	s_cbranch_execz .LBB116_1225
; %bb.1224:
	v_div_scale_f64 v[214:215], null, v[240:241], v[240:241], v[238:239]
	v_div_scale_f64 v[220:221], vcc_lo, v[238:239], v[240:241], v[238:239]
	v_rcp_f64_e32 v[216:217], v[214:215]
	v_fma_f64 v[218:219], -v[214:215], v[216:217], 1.0
	v_fma_f64 v[216:217], v[216:217], v[218:219], v[216:217]
	v_fma_f64 v[218:219], -v[214:215], v[216:217], 1.0
	v_fma_f64 v[216:217], v[216:217], v[218:219], v[216:217]
	v_mul_f64 v[218:219], v[220:221], v[216:217]
	v_fma_f64 v[214:215], -v[214:215], v[218:219], v[220:221]
	v_div_fmas_f64 v[214:215], v[214:215], v[216:217], v[218:219]
	v_div_fixup_f64 v[214:215], v[214:215], v[240:241], v[238:239]
	v_fma_f64 v[216:217], v[238:239], v[214:215], v[240:241]
	v_div_scale_f64 v[218:219], null, v[216:217], v[216:217], 1.0
	v_rcp_f64_e32 v[220:221], v[218:219]
	v_fma_f64 v[222:223], -v[218:219], v[220:221], 1.0
	v_fma_f64 v[220:221], v[220:221], v[222:223], v[220:221]
	v_fma_f64 v[222:223], -v[218:219], v[220:221], 1.0
	v_fma_f64 v[220:221], v[220:221], v[222:223], v[220:221]
	v_div_scale_f64 v[222:223], vcc_lo, 1.0, v[216:217], 1.0
	v_mul_f64 v[224:225], v[222:223], v[220:221]
	v_fma_f64 v[218:219], -v[218:219], v[224:225], v[222:223]
	v_div_fmas_f64 v[218:219], v[218:219], v[220:221], v[224:225]
	v_div_fixup_f64 v[240:241], v[218:219], v[216:217], 1.0
	v_mul_f64 v[238:239], v[214:215], v[240:241]
	v_xor_b32_e32 v241, 0x80000000, v241
.LBB116_1225:
	s_andn2_saveexec_b32 s1, s1
	s_cbranch_execz .LBB116_1227
; %bb.1226:
	v_div_scale_f64 v[214:215], null, v[238:239], v[238:239], v[240:241]
	v_div_scale_f64 v[220:221], vcc_lo, v[240:241], v[238:239], v[240:241]
	v_rcp_f64_e32 v[216:217], v[214:215]
	v_fma_f64 v[218:219], -v[214:215], v[216:217], 1.0
	v_fma_f64 v[216:217], v[216:217], v[218:219], v[216:217]
	v_fma_f64 v[218:219], -v[214:215], v[216:217], 1.0
	v_fma_f64 v[216:217], v[216:217], v[218:219], v[216:217]
	v_mul_f64 v[218:219], v[220:221], v[216:217]
	v_fma_f64 v[214:215], -v[214:215], v[218:219], v[220:221]
	v_div_fmas_f64 v[214:215], v[214:215], v[216:217], v[218:219]
	v_div_fixup_f64 v[214:215], v[214:215], v[238:239], v[240:241]
	v_fma_f64 v[216:217], v[240:241], v[214:215], v[238:239]
	v_div_scale_f64 v[218:219], null, v[216:217], v[216:217], 1.0
	v_rcp_f64_e32 v[220:221], v[218:219]
	v_fma_f64 v[222:223], -v[218:219], v[220:221], 1.0
	v_fma_f64 v[220:221], v[220:221], v[222:223], v[220:221]
	v_fma_f64 v[222:223], -v[218:219], v[220:221], 1.0
	v_fma_f64 v[220:221], v[220:221], v[222:223], v[220:221]
	v_div_scale_f64 v[222:223], vcc_lo, 1.0, v[216:217], 1.0
	v_mul_f64 v[224:225], v[222:223], v[220:221]
	v_fma_f64 v[218:219], -v[218:219], v[224:225], v[222:223]
	v_div_fmas_f64 v[218:219], v[218:219], v[220:221], v[224:225]
	v_div_fixup_f64 v[238:239], v[218:219], v[216:217], 1.0
	v_mul_f64 v[240:241], v[214:215], -v[238:239]
.LBB116_1227:
	s_or_b32 exec_lo, exec_lo, s1
.LBB116_1228:
	s_or_b32 exec_lo, exec_lo, s0
	v_mov_b32_e32 v247, 58
	s_mov_b32 s0, exec_lo
	v_cmpx_ne_u32_e64 v252, v246
	s_cbranch_execz .LBB116_1234
; %bb.1229:
	s_mov_b32 s1, exec_lo
	v_cmpx_eq_u32_e32 58, v252
	s_cbranch_execz .LBB116_1233
; %bb.1230:
	v_cmp_ne_u32_e32 vcc_lo, 58, v246
	s_xor_b32 s7, s16, -1
	s_and_b32 s8, s7, vcc_lo
	s_and_saveexec_b32 s7, s8
	s_cbranch_execz .LBB116_1232
; %bb.1231:
	s_clause 0x1
	buffer_load_dword v210, off, s[20:23], 0 offset:16
	buffer_load_dword v211, off, s[20:23], 0 offset:20
	v_ashrrev_i32_e32 v247, 31, v246
	v_lshlrev_b64 v[0:1], 2, v[246:247]
	s_waitcnt vmcnt(1)
	v_add_co_u32 v0, vcc_lo, v210, v0
	s_waitcnt vmcnt(0)
	v_add_co_ci_u32_e64 v1, null, v211, v1, vcc_lo
	s_clause 0x1
	global_load_dword v214, v[0:1], off
	global_load_dword v215, v[210:211], off offset:232
	s_waitcnt vmcnt(1)
	global_store_dword v[210:211], v214, off offset:232
	s_waitcnt vmcnt(0)
	global_store_dword v[0:1], v215, off
.LBB116_1232:
	s_or_b32 exec_lo, exec_lo, s7
	v_mov_b32_e32 v252, v246
	v_mov_b32_e32 v0, v246
.LBB116_1233:
	s_or_b32 exec_lo, exec_lo, s1
	v_mov_b32_e32 v247, v252
.LBB116_1234:
	s_or_b32 exec_lo, exec_lo, s0
	s_mov_b32 s0, exec_lo
	s_waitcnt_vscnt null, 0x0
	s_barrier
	buffer_gl0_inv
	v_cmpx_lt_i32_e32 58, v247
	s_cbranch_execz .LBB116_1236
; %bb.1235:
	v_mul_f64 v[214:215], v[240:241], v[228:229]
	v_mov_b32_e32 v213, v5
	v_mov_b32_e32 v212, v4
	;; [unrolled: 1-line block ×4, first 2 shown]
	v_mul_f64 v[4:5], v[238:239], v[228:229]
	v_fma_f64 v[214:215], v[238:239], v[226:227], -v[214:215]
	v_fma_f64 v[228:229], v[240:241], v[226:227], v[4:5]
	v_mov_b32_e32 v2, v210
	v_mov_b32_e32 v3, v211
	v_mov_b32_e32 v4, v212
	v_mov_b32_e32 v5, v213
	v_mov_b32_e32 v227, v215
	v_mov_b32_e32 v226, v214
.LBB116_1236:
	s_or_b32 exec_lo, exec_lo, s0
	v_ashrrev_i32_e32 v248, 31, v247
	s_mov_b32 s0, exec_lo
	s_barrier
	buffer_gl0_inv
	v_cmpx_gt_i32_e32 59, v247
	s_cbranch_execz .LBB116_1238
; %bb.1237:
	v_mul_lo_u32 v1, s15, v249
	v_mul_lo_u32 v216, s14, v250
	v_mad_u64_u32 v[214:215], null, s14, v249, 0
	s_lshl_b64 s[8:9], s[12:13], 2
	v_add3_u32 v0, v0, s17, 1
	v_add3_u32 v215, v215, v216, v1
	v_lshlrev_b64 v[214:215], 2, v[214:215]
	v_add_co_u32 v1, vcc_lo, s10, v214
	v_add_co_ci_u32_e64 v216, null, s11, v215, vcc_lo
	v_lshlrev_b64 v[214:215], 2, v[247:248]
	v_add_co_u32 v1, vcc_lo, v1, s8
	v_add_co_ci_u32_e64 v216, null, s9, v216, vcc_lo
	v_add_co_u32 v214, vcc_lo, v1, v214
	v_add_co_ci_u32_e64 v215, null, v216, v215, vcc_lo
	global_store_dword v[214:215], v0, off
.LBB116_1238:
	s_or_b32 exec_lo, exec_lo, s0
	s_mov_b32 s1, exec_lo
	v_cmpx_eq_u32_e32 0, v247
	s_cbranch_execz .LBB116_1241
; %bb.1239:
	v_lshlrev_b64 v[0:1], 2, v[249:250]
	v_cmp_ne_u32_e64 s0, 0, v251
	v_add_co_u32 v0, vcc_lo, s4, v0
	v_add_co_ci_u32_e64 v1, null, s5, v1, vcc_lo
	global_load_dword v214, v[0:1], off
	s_waitcnt vmcnt(0)
	v_cmp_eq_u32_e32 vcc_lo, 0, v214
	s_and_b32 s0, vcc_lo, s0
	s_and_b32 exec_lo, exec_lo, s0
	s_cbranch_execz .LBB116_1241
; %bb.1240:
	v_add_nc_u32_e32 v214, s17, v251
	global_store_dword v[0:1], v214, off
.LBB116_1241:
	s_or_b32 exec_lo, exec_lo, s1
	s_clause 0x4
	buffer_load_dword v222, off, s[20:23], 0 offset:88
	buffer_load_dword v210, off, s[20:23], 0 offset:72
	;; [unrolled: 1-line block ×5, first 2 shown]
	v_lshlrev_b64 v[214:215], 4, v[247:248]
	v_add3_u32 v0, s6, s6, v247
	v_ashrrev_i32_e32 v1, 31, v0
	v_add_co_u32 v214, vcc_lo, v255, v214
	v_add_nc_u32_e32 v216, s6, v0
	v_lshlrev_b64 v[0:1], 4, v[0:1]
	v_ashrrev_i32_e32 v217, 31, v216
	s_waitcnt vmcnt(4)
	v_add_co_ci_u32_e64 v215, null, v222, v215, vcc_lo
	v_add_co_u32 v218, vcc_lo, v214, s2
	s_waitcnt vmcnt(0)
	global_store_dwordx4 v[214:215], v[210:213], off
	s_clause 0x3
	buffer_load_dword v210, off, s[20:23], 0 offset:56
	buffer_load_dword v211, off, s[20:23], 0 offset:60
	;; [unrolled: 1-line block ×4, first 2 shown]
	v_add_co_ci_u32_e64 v219, null, s3, v215, vcc_lo
	v_add_co_u32 v0, vcc_lo, v255, v0
	v_add_co_ci_u32_e64 v1, null, v222, v1, vcc_lo
	v_lshlrev_b64 v[214:215], 4, v[216:217]
	v_add_nc_u32_e32 v216, s6, v216
	v_ashrrev_i32_e32 v217, 31, v216
	v_add_co_u32 v214, vcc_lo, v255, v214
	v_add_co_ci_u32_e64 v215, null, v222, v215, vcc_lo
	s_waitcnt vmcnt(0)
	global_store_dwordx4 v[218:219], v[210:213], off
	s_clause 0x3
	buffer_load_dword v210, off, s[20:23], 0 offset:40
	buffer_load_dword v211, off, s[20:23], 0 offset:44
	;; [unrolled: 1-line block ×4, first 2 shown]
	v_add_nc_u32_e32 v218, s6, v216
	v_lshlrev_b64 v[216:217], 4, v[216:217]
	v_ashrrev_i32_e32 v219, 31, v218
	v_add_nc_u32_e32 v220, s6, v218
	v_ashrrev_i32_e32 v221, 31, v220
	s_waitcnt vmcnt(0)
	global_store_dwordx4 v[0:1], v[210:213], off
	s_clause 0x3
	buffer_load_dword v210, off, s[20:23], 0 offset:24
	buffer_load_dword v211, off, s[20:23], 0 offset:28
	;; [unrolled: 1-line block ×4, first 2 shown]
	v_lshlrev_b64 v[0:1], 4, v[218:219]
	v_add_nc_u32_e32 v218, s6, v220
	v_ashrrev_i32_e32 v219, 31, v218
	s_waitcnt vmcnt(0)
	global_store_dwordx4 v[214:215], v[210:213], off
	v_add_co_u32 v214, vcc_lo, v255, v216
	v_add_co_ci_u32_e64 v215, null, v222, v217, vcc_lo
	v_add_co_u32 v0, vcc_lo, v255, v0
	v_add_co_ci_u32_e64 v1, null, v222, v1, vcc_lo
	global_store_dwordx4 v[214:215], v[2:5], off
	v_lshlrev_b64 v[216:217], 4, v[220:221]
	v_add_nc_u32_e32 v220, s6, v218
	global_store_dwordx4 v[0:1], v[10:13], off
	s_clause 0x3
	buffer_load_dword v0, off, s[20:23], 0
	buffer_load_dword v1, off, s[20:23], 0 offset:4
	buffer_load_dword v2, off, s[20:23], 0 offset:8
	;; [unrolled: 1-line block ×3, first 2 shown]
	v_lshlrev_b64 v[214:215], 4, v[218:219]
	v_add_co_u32 v216, vcc_lo, v255, v216
	v_add_nc_u32_e32 v210, s6, v220
	v_add_co_ci_u32_e64 v217, null, v222, v217, vcc_lo
	v_ashrrev_i32_e32 v221, 31, v220
	v_add_co_u32 v212, vcc_lo, v255, v214
	v_add_nc_u32_e32 v214, s6, v210
	v_ashrrev_i32_e32 v211, 31, v210
	v_add_co_ci_u32_e64 v213, null, v222, v215, vcc_lo
	v_ashrrev_i32_e32 v215, 31, v214
	v_lshlrev_b64 v[210:211], 4, v[210:211]
	s_waitcnt vmcnt(0)
	global_store_dwordx4 v[216:217], v[0:3], off
	v_lshlrev_b64 v[0:1], 4, v[220:221]
	v_add_nc_u32_e32 v216, s6, v214
	v_add_co_u32 v0, vcc_lo, v255, v0
	v_add_co_ci_u32_e64 v1, null, v222, v1, vcc_lo
	v_ashrrev_i32_e32 v217, 31, v216
	global_store_dwordx4 v[212:213], v[206:209], off
	global_store_dwordx4 v[0:1], v[202:205], off
	v_lshlrev_b64 v[0:1], 4, v[214:215]
	v_add_co_u32 v202, vcc_lo, v255, v210
	v_lshlrev_b64 v[204:205], 4, v[216:217]
	v_add_nc_u32_e32 v206, s6, v216
	v_add_co_ci_u32_e64 v203, null, v222, v211, vcc_lo
	v_add_co_u32 v0, vcc_lo, v255, v0
	v_add_co_ci_u32_e64 v1, null, v222, v1, vcc_lo
	v_add_co_u32 v204, vcc_lo, v255, v204
	v_add_nc_u32_e32 v208, s6, v206
	v_add_co_ci_u32_e64 v205, null, v222, v205, vcc_lo
	v_ashrrev_i32_e32 v207, 31, v206
	global_store_dwordx4 v[202:203], v[198:201], off
	global_store_dwordx4 v[0:1], v[194:197], off
	global_store_dwordx4 v[204:205], v[190:193], off
	v_add_nc_u32_e32 v190, s6, v208
	v_ashrrev_i32_e32 v209, 31, v208
	v_lshlrev_b64 v[198:199], 4, v[206:207]
	v_add_nc_u32_e32 v194, s6, v190
	v_lshlrev_b64 v[0:1], 4, v[208:209]
	v_ashrrev_i32_e32 v191, 31, v190
	v_add_co_u32 v192, vcc_lo, v255, v198
	v_add_nc_u32_e32 v196, s6, v194
	v_add_co_ci_u32_e64 v193, null, v222, v199, vcc_lo
	v_add_co_u32 v0, vcc_lo, v255, v0
	v_ashrrev_i32_e32 v195, 31, v194
	v_add_co_ci_u32_e64 v1, null, v222, v1, vcc_lo
	v_ashrrev_i32_e32 v197, 31, v196
	v_lshlrev_b64 v[190:191], 4, v[190:191]
	global_store_dwordx4 v[192:193], v[186:189], off
	global_store_dwordx4 v[0:1], v[182:185], off
	v_lshlrev_b64 v[0:1], 4, v[194:195]
	v_add_nc_u32_e32 v186, s6, v196
	v_lshlrev_b64 v[184:185], 4, v[196:197]
	v_add_co_u32 v182, vcc_lo, v255, v190
	v_add_co_ci_u32_e64 v183, null, v222, v191, vcc_lo
	v_add_co_u32 v0, vcc_lo, v255, v0
	v_add_co_ci_u32_e64 v1, null, v222, v1, vcc_lo
	v_add_co_u32 v184, vcc_lo, v255, v184
	v_add_nc_u32_e32 v188, s6, v186
	v_add_co_ci_u32_e64 v185, null, v222, v185, vcc_lo
	v_ashrrev_i32_e32 v187, 31, v186
	global_store_dwordx4 v[182:183], v[178:181], off
	global_store_dwordx4 v[0:1], v[174:177], off
	global_store_dwordx4 v[184:185], v[170:173], off
	v_add_nc_u32_e32 v170, s6, v188
	v_ashrrev_i32_e32 v189, 31, v188
	v_lshlrev_b64 v[178:179], 4, v[186:187]
	v_add_nc_u32_e32 v174, s6, v170
	v_lshlrev_b64 v[0:1], 4, v[188:189]
	v_ashrrev_i32_e32 v171, 31, v170
	v_add_co_u32 v172, vcc_lo, v255, v178
	v_add_nc_u32_e32 v176, s6, v174
	v_add_co_ci_u32_e64 v173, null, v222, v179, vcc_lo
	v_add_co_u32 v0, vcc_lo, v255, v0
	v_ashrrev_i32_e32 v175, 31, v174
	v_add_co_ci_u32_e64 v1, null, v222, v1, vcc_lo
	v_ashrrev_i32_e32 v177, 31, v176
	v_lshlrev_b64 v[170:171], 4, v[170:171]
	global_store_dwordx4 v[172:173], v[166:169], off
	global_store_dwordx4 v[0:1], v[162:165], off
	v_lshlrev_b64 v[0:1], 4, v[174:175]
	v_add_nc_u32_e32 v166, s6, v176
	v_lshlrev_b64 v[164:165], 4, v[176:177]
	v_add_co_u32 v162, vcc_lo, v255, v170
	;; [unrolled: 30-line block ×8, first 2 shown]
	v_add_co_ci_u32_e64 v43, null, v222, v51, vcc_lo
	v_add_co_u32 v0, vcc_lo, v255, v0
	v_add_nc_u32_e32 v48, s6, v46
	v_add_co_ci_u32_e64 v1, null, v222, v1, vcc_lo
	v_add_co_u32 v44, vcc_lo, v255, v44
	v_ashrrev_i32_e32 v47, 31, v46
	v_add_co_ci_u32_e64 v45, null, v222, v45, vcc_lo
	v_ashrrev_i32_e32 v49, 31, v48
	global_store_dwordx4 v[42:43], v[38:41], off
	v_lshlrev_b64 v[38:39], 4, v[46:47]
	global_store_dwordx4 v[0:1], v[34:37], off
	global_store_dwordx4 v[44:45], v[30:33], off
	v_add_nc_u32_e32 v30, s6, v48
	v_lshlrev_b64 v[0:1], 4, v[48:49]
	v_add_co_u32 v32, vcc_lo, v255, v38
	v_add_nc_u32_e32 v34, s6, v30
	v_add_co_ci_u32_e64 v33, null, v222, v39, vcc_lo
	v_add_co_u32 v0, vcc_lo, v255, v0
	v_add_co_ci_u32_e64 v1, null, v222, v1, vcc_lo
	v_add_nc_u32_e32 v36, s6, v34
	v_ashrrev_i32_e32 v31, 31, v30
	global_store_dwordx4 v[32:33], v[26:29], off
	global_store_dwordx4 v[0:1], v[22:25], off
	v_ashrrev_i32_e32 v35, 31, v34
	v_add_nc_u32_e32 v22, s6, v36
	v_lshlrev_b64 v[26:27], 4, v[30:31]
	v_ashrrev_i32_e32 v37, 31, v36
	v_lshlrev_b64 v[0:1], 4, v[34:35]
	v_add_nc_u32_e32 v28, s6, v22
	v_ashrrev_i32_e32 v23, 31, v22
	v_add_co_u32 v24, vcc_lo, v255, v26
	v_add_co_ci_u32_e64 v25, null, v222, v27, vcc_lo
	v_ashrrev_i32_e32 v29, 31, v28
	v_lshlrev_b64 v[26:27], 4, v[36:37]
	v_lshlrev_b64 v[22:23], 4, v[22:23]
	v_add_co_u32 v0, vcc_lo, v255, v0
	v_lshlrev_b64 v[28:29], 4, v[28:29]
	v_add_co_ci_u32_e64 v1, null, v222, v1, vcc_lo
	v_add_co_u32 v26, vcc_lo, v255, v26
	v_add_co_ci_u32_e64 v27, null, v222, v27, vcc_lo
	v_add_co_u32 v22, vcc_lo, v255, v22
	;; [unrolled: 2-line block ×3, first 2 shown]
	v_add_co_ci_u32_e64 v29, null, v222, v29, vcc_lo
	global_store_dwordx4 v[24:25], v[18:21], off
	global_store_dwordx4 v[0:1], v[14:17], off
	;; [unrolled: 1-line block ×5, first 2 shown]
.LBB116_1242:
	s_endpgm
	.section	.rodata,"a",@progbits
	.p2align	6, 0x0
	.amdhsa_kernel _ZN9rocsolver6v33100L18getf2_small_kernelILi59E19rocblas_complex_numIdEiiPS3_EEvT1_T3_lS5_lPS5_llPT2_S5_S5_S7_l
		.amdhsa_group_segment_fixed_size 0
		.amdhsa_private_segment_fixed_size 112
		.amdhsa_kernarg_size 352
		.amdhsa_user_sgpr_count 6
		.amdhsa_user_sgpr_private_segment_buffer 1
		.amdhsa_user_sgpr_dispatch_ptr 0
		.amdhsa_user_sgpr_queue_ptr 0
		.amdhsa_user_sgpr_kernarg_segment_ptr 1
		.amdhsa_user_sgpr_dispatch_id 0
		.amdhsa_user_sgpr_flat_scratch_init 0
		.amdhsa_user_sgpr_private_segment_size 0
		.amdhsa_wavefront_size32 1
		.amdhsa_uses_dynamic_stack 0
		.amdhsa_system_sgpr_private_segment_wavefront_offset 1
		.amdhsa_system_sgpr_workgroup_id_x 1
		.amdhsa_system_sgpr_workgroup_id_y 1
		.amdhsa_system_sgpr_workgroup_id_z 0
		.amdhsa_system_sgpr_workgroup_info 0
		.amdhsa_system_vgpr_workitem_id 1
		.amdhsa_next_free_vgpr 256
		.amdhsa_next_free_sgpr 24
		.amdhsa_reserve_vcc 1
		.amdhsa_reserve_flat_scratch 0
		.amdhsa_float_round_mode_32 0
		.amdhsa_float_round_mode_16_64 0
		.amdhsa_float_denorm_mode_32 3
		.amdhsa_float_denorm_mode_16_64 3
		.amdhsa_dx10_clamp 1
		.amdhsa_ieee_mode 1
		.amdhsa_fp16_overflow 0
		.amdhsa_workgroup_processor_mode 1
		.amdhsa_memory_ordered 1
		.amdhsa_forward_progress 1
		.amdhsa_shared_vgpr_count 0
		.amdhsa_exception_fp_ieee_invalid_op 0
		.amdhsa_exception_fp_denorm_src 0
		.amdhsa_exception_fp_ieee_div_zero 0
		.amdhsa_exception_fp_ieee_overflow 0
		.amdhsa_exception_fp_ieee_underflow 0
		.amdhsa_exception_fp_ieee_inexact 0
		.amdhsa_exception_int_div_zero 0
	.end_amdhsa_kernel
	.section	.text._ZN9rocsolver6v33100L18getf2_small_kernelILi59E19rocblas_complex_numIdEiiPS3_EEvT1_T3_lS5_lPS5_llPT2_S5_S5_S7_l,"axG",@progbits,_ZN9rocsolver6v33100L18getf2_small_kernelILi59E19rocblas_complex_numIdEiiPS3_EEvT1_T3_lS5_lPS5_llPT2_S5_S5_S7_l,comdat
.Lfunc_end116:
	.size	_ZN9rocsolver6v33100L18getf2_small_kernelILi59E19rocblas_complex_numIdEiiPS3_EEvT1_T3_lS5_lPS5_llPT2_S5_S5_S7_l, .Lfunc_end116-_ZN9rocsolver6v33100L18getf2_small_kernelILi59E19rocblas_complex_numIdEiiPS3_EEvT1_T3_lS5_lPS5_llPT2_S5_S5_S7_l
                                        ; -- End function
	.set _ZN9rocsolver6v33100L18getf2_small_kernelILi59E19rocblas_complex_numIdEiiPS3_EEvT1_T3_lS5_lPS5_llPT2_S5_S5_S7_l.num_vgpr, 256
	.set _ZN9rocsolver6v33100L18getf2_small_kernelILi59E19rocblas_complex_numIdEiiPS3_EEvT1_T3_lS5_lPS5_llPT2_S5_S5_S7_l.num_agpr, 0
	.set _ZN9rocsolver6v33100L18getf2_small_kernelILi59E19rocblas_complex_numIdEiiPS3_EEvT1_T3_lS5_lPS5_llPT2_S5_S5_S7_l.numbered_sgpr, 24
	.set _ZN9rocsolver6v33100L18getf2_small_kernelILi59E19rocblas_complex_numIdEiiPS3_EEvT1_T3_lS5_lPS5_llPT2_S5_S5_S7_l.num_named_barrier, 0
	.set _ZN9rocsolver6v33100L18getf2_small_kernelILi59E19rocblas_complex_numIdEiiPS3_EEvT1_T3_lS5_lPS5_llPT2_S5_S5_S7_l.private_seg_size, 112
	.set _ZN9rocsolver6v33100L18getf2_small_kernelILi59E19rocblas_complex_numIdEiiPS3_EEvT1_T3_lS5_lPS5_llPT2_S5_S5_S7_l.uses_vcc, 1
	.set _ZN9rocsolver6v33100L18getf2_small_kernelILi59E19rocblas_complex_numIdEiiPS3_EEvT1_T3_lS5_lPS5_llPT2_S5_S5_S7_l.uses_flat_scratch, 0
	.set _ZN9rocsolver6v33100L18getf2_small_kernelILi59E19rocblas_complex_numIdEiiPS3_EEvT1_T3_lS5_lPS5_llPT2_S5_S5_S7_l.has_dyn_sized_stack, 0
	.set _ZN9rocsolver6v33100L18getf2_small_kernelILi59E19rocblas_complex_numIdEiiPS3_EEvT1_T3_lS5_lPS5_llPT2_S5_S5_S7_l.has_recursion, 0
	.set _ZN9rocsolver6v33100L18getf2_small_kernelILi59E19rocblas_complex_numIdEiiPS3_EEvT1_T3_lS5_lPS5_llPT2_S5_S5_S7_l.has_indirect_call, 0
	.section	.AMDGPU.csdata,"",@progbits
; Kernel info:
; codeLenInByte = 182824
; TotalNumSgprs: 26
; NumVgprs: 256
; ScratchSize: 112
; MemoryBound: 0
; FloatMode: 240
; IeeeMode: 1
; LDSByteSize: 0 bytes/workgroup (compile time only)
; SGPRBlocks: 0
; VGPRBlocks: 31
; NumSGPRsForWavesPerEU: 26
; NumVGPRsForWavesPerEU: 256
; Occupancy: 4
; WaveLimiterHint : 0
; COMPUTE_PGM_RSRC2:SCRATCH_EN: 1
; COMPUTE_PGM_RSRC2:USER_SGPR: 6
; COMPUTE_PGM_RSRC2:TRAP_HANDLER: 0
; COMPUTE_PGM_RSRC2:TGID_X_EN: 1
; COMPUTE_PGM_RSRC2:TGID_Y_EN: 1
; COMPUTE_PGM_RSRC2:TGID_Z_EN: 0
; COMPUTE_PGM_RSRC2:TIDIG_COMP_CNT: 1
	.section	.text._ZN9rocsolver6v33100L23getf2_npvt_small_kernelILi59E19rocblas_complex_numIdEiiPS3_EEvT1_T3_lS5_lPT2_S5_S5_,"axG",@progbits,_ZN9rocsolver6v33100L23getf2_npvt_small_kernelILi59E19rocblas_complex_numIdEiiPS3_EEvT1_T3_lS5_lPT2_S5_S5_,comdat
	.globl	_ZN9rocsolver6v33100L23getf2_npvt_small_kernelILi59E19rocblas_complex_numIdEiiPS3_EEvT1_T3_lS5_lPT2_S5_S5_ ; -- Begin function _ZN9rocsolver6v33100L23getf2_npvt_small_kernelILi59E19rocblas_complex_numIdEiiPS3_EEvT1_T3_lS5_lPT2_S5_S5_
	.p2align	8
	.type	_ZN9rocsolver6v33100L23getf2_npvt_small_kernelILi59E19rocblas_complex_numIdEiiPS3_EEvT1_T3_lS5_lPT2_S5_S5_,@function
_ZN9rocsolver6v33100L23getf2_npvt_small_kernelILi59E19rocblas_complex_numIdEiiPS3_EEvT1_T3_lS5_lPT2_S5_S5_: ; @_ZN9rocsolver6v33100L23getf2_npvt_small_kernelILi59E19rocblas_complex_numIdEiiPS3_EEvT1_T3_lS5_lPT2_S5_S5_
; %bb.0:
	s_mov_b64 s[18:19], s[2:3]
	s_mov_b64 s[16:17], s[0:1]
	s_clause 0x1
	s_load_dword s0, s[4:5], 0x44
	s_load_dwordx2 s[12:13], s[4:5], 0x30
	s_add_u32 s16, s16, s8
	s_addc_u32 s17, s17, 0
	s_waitcnt lgkmcnt(0)
	s_lshr_b32 s14, s0, 16
	s_mov_b32 s0, exec_lo
	v_mad_u64_u32 v[199:200], null, s7, s14, v[1:2]
	v_cmpx_gt_i32_e64 s12, v199
	s_cbranch_execnz .LBB117_1
; %bb.537:
	s_getpc_b64 s[20:21]
.Lpost_getpc19:
	s_add_u32 s20, s20, (.LBB117_536-.Lpost_getpc19)&4294967295
	s_addc_u32 s21, s21, (.LBB117_536-.Lpost_getpc19)>>32
	s_setpc_b64 s[20:21]
.LBB117_1:
	s_clause 0x2
	s_load_dwordx4 s[8:11], s[4:5], 0x20
	s_load_dword s6, s[4:5], 0x18
	s_load_dwordx4 s[0:3], s[4:5], 0x8
	v_ashrrev_i32_e32 v200, 31, v199
	v_mad_u32_u24 v253, 0x3b0, v1, 0
	v_lshlrev_b32_e32 v1, 4, v1
	s_mulk_i32 s14, 0x3b0
	v_add3_u32 v255, 0, s14, v1
	s_waitcnt lgkmcnt(0)
	v_mul_lo_u32 v5, s9, v199
	v_mul_lo_u32 v7, s8, v200
	v_mad_u64_u32 v[2:3], null, s8, v199, 0
	v_add3_u32 v4, s6, s6, v0
	s_lshl_b64 s[2:3], s[2:3], 4
	s_ashr_i32 s7, s6, 31
	v_add_nc_u32_e32 v6, s6, v4
	v_add3_u32 v3, v3, v7, v5
	v_ashrrev_i32_e32 v5, 31, v4
	v_add_nc_u32_e32 v8, s6, v6
	v_lshlrev_b64 v[2:3], 4, v[2:3]
	v_ashrrev_i32_e32 v7, 31, v6
	v_lshlrev_b64 v[4:5], 4, v[4:5]
	v_add_nc_u32_e32 v10, s6, v8
	v_ashrrev_i32_e32 v9, 31, v8
	v_add_co_u32 v2, vcc_lo, s0, v2
	v_add_co_ci_u32_e64 v3, null, s1, v3, vcc_lo
	v_add_nc_u32_e32 v12, s6, v10
	v_add_co_u32 v2, vcc_lo, v2, s2
	v_lshlrev_b64 v[6:7], 4, v[6:7]
	v_ashrrev_i32_e32 v11, 31, v10
	v_add_co_ci_u32_e64 v3, null, s3, v3, vcc_lo
	v_add_nc_u32_e32 v14, s6, v12
	v_lshlrev_b64 v[8:9], 4, v[8:9]
	v_ashrrev_i32_e32 v13, 31, v12
	v_add_co_u32 v80, vcc_lo, v2, v4
	v_lshlrev_b64 v[10:11], 4, v[10:11]
	v_add_co_ci_u32_e64 v81, null, v3, v5, vcc_lo
	v_add_co_u32 v16, vcc_lo, v2, v6
	v_add_nc_u32_e32 v6, s6, v14
	v_lshlrev_b64 v[4:5], 4, v[12:13]
	v_ashrrev_i32_e32 v15, 31, v14
	v_add_co_ci_u32_e64 v17, null, v3, v7, vcc_lo
	v_add_co_u32 v207, vcc_lo, v2, v8
	v_add_co_ci_u32_e64 v208, null, v3, v9, vcc_lo
	v_add_co_u32 v82, vcc_lo, v2, v10
	v_ashrrev_i32_e32 v7, 31, v6
	v_add_nc_u32_e32 v10, s6, v6
	v_lshlrev_b64 v[8:9], 4, v[14:15]
	v_add_co_ci_u32_e64 v83, null, v3, v11, vcc_lo
	v_add_co_u32 v12, vcc_lo, v2, v4
	v_add_co_ci_u32_e64 v13, null, v3, v5, vcc_lo
	v_lshlrev_b64 v[4:5], 4, v[6:7]
	v_ashrrev_i32_e32 v11, 31, v10
	v_add_nc_u32_e32 v6, s6, v10
	v_add_co_u32 v197, vcc_lo, v2, v8
	v_add_co_ci_u32_e64 v198, null, v3, v9, vcc_lo
	v_lshlrev_b64 v[8:9], 4, v[10:11]
	v_ashrrev_i32_e32 v7, 31, v6
	v_add_nc_u32_e32 v10, s6, v6
	;; [unrolled: 5-line block ×48, first 2 shown]
	v_add_co_u32 v233, vcc_lo, v2, v4
	v_add_co_ci_u32_e64 v234, null, v3, v5, vcc_lo
	v_lshlrev_b64 v[4:5], 4, v[6:7]
	v_add_nc_u32_e32 v6, s6, v10
	v_ashrrev_i32_e32 v11, 31, v10
	v_add_co_u32 v237, vcc_lo, v2, v8
	v_add_co_ci_u32_e64 v238, null, v3, v9, vcc_lo
	v_ashrrev_i32_e32 v7, 31, v6
	v_lshlrev_b64 v[8:9], 4, v[10:11]
	v_add_co_u32 v10, vcc_lo, v2, v4
	v_add_co_ci_u32_e64 v11, null, v3, v5, vcc_lo
	v_lshlrev_b64 v[4:5], 4, v[6:7]
	v_lshlrev_b32_e32 v6, 4, v0
	v_add_co_u32 v7, vcc_lo, v2, v8
	v_add_co_ci_u32_e64 v8, null, v3, v9, vcc_lo
	v_add_co_u32 v235, vcc_lo, v2, v4
	v_add_co_ci_u32_e64 v236, null, v3, v5, vcc_lo
	;; [unrolled: 2-line block ×3, first 2 shown]
	s_lshl_b64 s[0:1], s[6:7], 4
	v_add_co_u32 v201, vcc_lo, v203, s0
	global_load_dwordx4 v[1:4], v[203:204], off
	v_add_co_ci_u32_e64 v202, null, s1, v204, vcc_lo
	v_cmp_ne_u32_e64 s1, 0, v0
	v_cmp_eq_u32_e64 s0, 0, v0
	s_waitcnt vmcnt(0)
	buffer_store_dword v1, off, s[16:19], 0 offset:96 ; 4-byte Folded Spill
	buffer_store_dword v2, off, s[16:19], 0 offset:100 ; 4-byte Folded Spill
	buffer_store_dword v3, off, s[16:19], 0 offset:104 ; 4-byte Folded Spill
	buffer_store_dword v4, off, s[16:19], 0 offset:108 ; 4-byte Folded Spill
	global_load_dwordx4 v[1:4], v[201:202], off
	s_waitcnt vmcnt(0)
	buffer_store_dword v1, off, s[16:19], 0 offset:80 ; 4-byte Folded Spill
	buffer_store_dword v2, off, s[16:19], 0 offset:84 ; 4-byte Folded Spill
	buffer_store_dword v3, off, s[16:19], 0 offset:88 ; 4-byte Folded Spill
	buffer_store_dword v4, off, s[16:19], 0 offset:92 ; 4-byte Folded Spill
	buffer_store_dword v80, off, s[16:19], 0 offset:544 ; 4-byte Folded Spill
	buffer_store_dword v81, off, s[16:19], 0 offset:548 ; 4-byte Folded Spill
	global_load_dwordx4 v[1:4], v[80:81], off
	s_waitcnt vmcnt(0)
	buffer_store_dword v1, off, s[16:19], 0 offset:64 ; 4-byte Folded Spill
	buffer_store_dword v2, off, s[16:19], 0 offset:68 ; 4-byte Folded Spill
	;; [unrolled: 8-line block ×3, first 2 shown]
	buffer_store_dword v3, off, s[16:19], 0 offset:56 ; 4-byte Folded Spill
	buffer_store_dword v4, off, s[16:19], 0 offset:60 ; 4-byte Folded Spill
	global_load_dwordx4 v[1:4], v[207:208], off
	s_waitcnt vmcnt(0)
	buffer_store_dword v1, off, s[16:19], 0 offset:32 ; 4-byte Folded Spill
	buffer_store_dword v2, off, s[16:19], 0 offset:36 ; 4-byte Folded Spill
	;; [unrolled: 1-line block ×6, first 2 shown]
	global_load_dwordx4 v[1:4], v[82:83], off
	s_waitcnt vmcnt(0)
	buffer_store_dword v1, off, s[16:19], 0 offset:16 ; 4-byte Folded Spill
	buffer_store_dword v2, off, s[16:19], 0 offset:20 ; 4-byte Folded Spill
	;; [unrolled: 1-line block ×6, first 2 shown]
	global_load_dwordx4 v[1:4], v[12:13], off
	s_waitcnt vmcnt(0)
	buffer_store_dword v1, off, s[16:19], 0 ; 4-byte Folded Spill
	buffer_store_dword v2, off, s[16:19], 0 offset:4 ; 4-byte Folded Spill
	buffer_store_dword v3, off, s[16:19], 0 offset:8 ; 4-byte Folded Spill
	;; [unrolled: 1-line block ×3, first 2 shown]
	global_load_dwordx4 v[249:252], v[197:198], off
	buffer_store_dword v14, off, s[16:19], 0 offset:128 ; 4-byte Folded Spill
	buffer_store_dword v15, off, s[16:19], 0 offset:132 ; 4-byte Folded Spill
	global_load_dwordx4 v[245:248], v[14:15], off
	buffer_store_dword v18, off, s[16:19], 0 offset:136 ; 4-byte Folded Spill
	buffer_store_dword v19, off, s[16:19], 0 offset:140 ; 4-byte Folded Spill
	global_load_dwordx4 v[241:244], v[18:19], off
	buffer_store_dword v20, off, s[16:19], 0 offset:144 ; 4-byte Folded Spill
	buffer_store_dword v21, off, s[16:19], 0 offset:148 ; 4-byte Folded Spill
	global_load_dwordx4 v[1:4], v[20:21], off
	buffer_store_dword v22, off, s[16:19], 0 offset:152 ; 4-byte Folded Spill
	buffer_store_dword v23, off, s[16:19], 0 offset:156 ; 4-byte Folded Spill
	global_load_dwordx4 v[189:192], v[22:23], off
	buffer_store_dword v24, off, s[16:19], 0 offset:160 ; 4-byte Folded Spill
	buffer_store_dword v25, off, s[16:19], 0 offset:164 ; 4-byte Folded Spill
	global_load_dwordx4 v[185:188], v[24:25], off
	buffer_store_dword v26, off, s[16:19], 0 offset:168 ; 4-byte Folded Spill
	buffer_store_dword v27, off, s[16:19], 0 offset:172 ; 4-byte Folded Spill
	global_load_dwordx4 v[181:184], v[26:27], off
	buffer_store_dword v28, off, s[16:19], 0 offset:176 ; 4-byte Folded Spill
	buffer_store_dword v29, off, s[16:19], 0 offset:180 ; 4-byte Folded Spill
	global_load_dwordx4 v[177:180], v[28:29], off
	buffer_store_dword v30, off, s[16:19], 0 offset:184 ; 4-byte Folded Spill
	buffer_store_dword v31, off, s[16:19], 0 offset:188 ; 4-byte Folded Spill
	global_load_dwordx4 v[173:176], v[30:31], off
	buffer_store_dword v32, off, s[16:19], 0 offset:192 ; 4-byte Folded Spill
	buffer_store_dword v33, off, s[16:19], 0 offset:196 ; 4-byte Folded Spill
	global_load_dwordx4 v[169:172], v[32:33], off
	buffer_store_dword v34, off, s[16:19], 0 offset:200 ; 4-byte Folded Spill
	buffer_store_dword v35, off, s[16:19], 0 offset:204 ; 4-byte Folded Spill
	global_load_dwordx4 v[165:168], v[34:35], off
	buffer_store_dword v36, off, s[16:19], 0 offset:208 ; 4-byte Folded Spill
	buffer_store_dword v37, off, s[16:19], 0 offset:212 ; 4-byte Folded Spill
	global_load_dwordx4 v[161:164], v[36:37], off
	buffer_store_dword v38, off, s[16:19], 0 offset:216 ; 4-byte Folded Spill
	buffer_store_dword v39, off, s[16:19], 0 offset:220 ; 4-byte Folded Spill
	global_load_dwordx4 v[157:160], v[38:39], off
	buffer_store_dword v40, off, s[16:19], 0 offset:224 ; 4-byte Folded Spill
	buffer_store_dword v41, off, s[16:19], 0 offset:228 ; 4-byte Folded Spill
	global_load_dwordx4 v[153:156], v[40:41], off
	buffer_store_dword v42, off, s[16:19], 0 offset:232 ; 4-byte Folded Spill
	buffer_store_dword v43, off, s[16:19], 0 offset:236 ; 4-byte Folded Spill
	global_load_dwordx4 v[149:152], v[42:43], off
	buffer_store_dword v44, off, s[16:19], 0 offset:240 ; 4-byte Folded Spill
	buffer_store_dword v45, off, s[16:19], 0 offset:244 ; 4-byte Folded Spill
	global_load_dwordx4 v[145:148], v[44:45], off
	buffer_store_dword v46, off, s[16:19], 0 offset:248 ; 4-byte Folded Spill
	buffer_store_dword v47, off, s[16:19], 0 offset:252 ; 4-byte Folded Spill
	global_load_dwordx4 v[141:144], v[46:47], off
	buffer_store_dword v78, off, s[16:19], 0 offset:528 ; 4-byte Folded Spill
	buffer_store_dword v79, off, s[16:19], 0 offset:532 ; 4-byte Folded Spill
	global_load_dwordx4 v[137:140], v[78:79], off
	buffer_store_dword v48, off, s[16:19], 0 offset:256 ; 4-byte Folded Spill
	buffer_store_dword v49, off, s[16:19], 0 offset:260 ; 4-byte Folded Spill
	global_load_dwordx4 v[133:136], v[48:49], off
	buffer_store_dword v50, off, s[16:19], 0 offset:264 ; 4-byte Folded Spill
	buffer_store_dword v51, off, s[16:19], 0 offset:268 ; 4-byte Folded Spill
	global_load_dwordx4 v[129:132], v[50:51], off
	buffer_store_dword v52, off, s[16:19], 0 offset:272 ; 4-byte Folded Spill
	buffer_store_dword v53, off, s[16:19], 0 offset:276 ; 4-byte Folded Spill
	global_load_dwordx4 v[125:128], v[52:53], off
	buffer_store_dword v54, off, s[16:19], 0 offset:280 ; 4-byte Folded Spill
	buffer_store_dword v55, off, s[16:19], 0 offset:284 ; 4-byte Folded Spill
	global_load_dwordx4 v[121:124], v[54:55], off
	buffer_store_dword v56, off, s[16:19], 0 offset:288 ; 4-byte Folded Spill
	buffer_store_dword v57, off, s[16:19], 0 offset:292 ; 4-byte Folded Spill
	global_load_dwordx4 v[117:120], v[56:57], off
	buffer_store_dword v58, off, s[16:19], 0 offset:296 ; 4-byte Folded Spill
	buffer_store_dword v59, off, s[16:19], 0 offset:300 ; 4-byte Folded Spill
	global_load_dwordx4 v[113:116], v[58:59], off
	buffer_store_dword v60, off, s[16:19], 0 offset:304 ; 4-byte Folded Spill
	buffer_store_dword v61, off, s[16:19], 0 offset:308 ; 4-byte Folded Spill
	global_load_dwordx4 v[109:112], v[60:61], off
	buffer_store_dword v62, off, s[16:19], 0 offset:312 ; 4-byte Folded Spill
	buffer_store_dword v63, off, s[16:19], 0 offset:316 ; 4-byte Folded Spill
	global_load_dwordx4 v[105:108], v[62:63], off
	buffer_store_dword v64, off, s[16:19], 0 offset:320 ; 4-byte Folded Spill
	buffer_store_dword v65, off, s[16:19], 0 offset:324 ; 4-byte Folded Spill
	global_load_dwordx4 v[101:104], v[64:65], off
	buffer_store_dword v66, off, s[16:19], 0 offset:328 ; 4-byte Folded Spill
	buffer_store_dword v67, off, s[16:19], 0 offset:332 ; 4-byte Folded Spill
	global_load_dwordx4 v[97:100], v[66:67], off
	buffer_store_dword v68, off, s[16:19], 0 offset:336 ; 4-byte Folded Spill
	buffer_store_dword v69, off, s[16:19], 0 offset:340 ; 4-byte Folded Spill
	global_load_dwordx4 v[93:96], v[68:69], off
	buffer_store_dword v70, off, s[16:19], 0 offset:344 ; 4-byte Folded Spill
	buffer_store_dword v71, off, s[16:19], 0 offset:348 ; 4-byte Folded Spill
	global_load_dwordx4 v[89:92], v[70:71], off
	buffer_store_dword v72, off, s[16:19], 0 offset:352 ; 4-byte Folded Spill
	buffer_store_dword v73, off, s[16:19], 0 offset:356 ; 4-byte Folded Spill
	global_load_dwordx4 v[85:88], v[72:73], off
	buffer_store_dword v74, off, s[16:19], 0 offset:360 ; 4-byte Folded Spill
	buffer_store_dword v75, off, s[16:19], 0 offset:364 ; 4-byte Folded Spill
	global_load_dwordx4 v[81:84], v[74:75], off
	buffer_store_dword v76, off, s[16:19], 0 offset:368 ; 4-byte Folded Spill
	buffer_store_dword v77, off, s[16:19], 0 offset:372 ; 4-byte Folded Spill
	global_load_dwordx4 v[77:80], v[76:77], off
	buffer_store_dword v193, off, s[16:19], 0 offset:376 ; 4-byte Folded Spill
	buffer_store_dword v194, off, s[16:19], 0 offset:380 ; 4-byte Folded Spill
	global_load_dwordx4 v[73:76], v[193:194], off
	buffer_store_dword v205, off, s[16:19], 0 offset:384 ; 4-byte Folded Spill
	buffer_store_dword v206, off, s[16:19], 0 offset:388 ; 4-byte Folded Spill
	global_load_dwordx4 v[69:72], v[205:206], off
	buffer_store_dword v209, off, s[16:19], 0 offset:392 ; 4-byte Folded Spill
	buffer_store_dword v210, off, s[16:19], 0 offset:396 ; 4-byte Folded Spill
	global_load_dwordx4 v[65:68], v[209:210], off
	buffer_store_dword v211, off, s[16:19], 0 offset:400 ; 4-byte Folded Spill
	buffer_store_dword v212, off, s[16:19], 0 offset:404 ; 4-byte Folded Spill
	global_load_dwordx4 v[61:64], v[211:212], off
	buffer_store_dword v213, off, s[16:19], 0 offset:408 ; 4-byte Folded Spill
	buffer_store_dword v214, off, s[16:19], 0 offset:412 ; 4-byte Folded Spill
	s_waitcnt vmcnt(33)
	v_mov_b32_e32 v212, v4
	v_mov_b32_e32 v211, v3
	;; [unrolled: 1-line block ×4, first 2 shown]
	global_load_dwordx4 v[57:60], v[213:214], off
	buffer_store_dword v215, off, s[16:19], 0 offset:416 ; 4-byte Folded Spill
	buffer_store_dword v216, off, s[16:19], 0 offset:420 ; 4-byte Folded Spill
	global_load_dwordx4 v[53:56], v[215:216], off
	buffer_store_dword v217, off, s[16:19], 0 offset:424 ; 4-byte Folded Spill
	buffer_store_dword v218, off, s[16:19], 0 offset:428 ; 4-byte Folded Spill
	;; [unrolled: 3-line block ×14, first 2 shown]
	global_load_dwordx4 v[1:4], v[235:236], off
	s_and_saveexec_b32 s3, s0
	s_cbranch_execz .LBB117_8
; %bb.2:
	s_clause 0x3
	buffer_load_dword v193, off, s[16:19], 0 offset:96
	buffer_load_dword v194, off, s[16:19], 0 offset:100
	;; [unrolled: 1-line block ×4, first 2 shown]
	s_waitcnt vmcnt(0)
	ds_write2_b64 v255, v[193:194], v[195:196] offset1:1
	s_clause 0x3
	buffer_load_dword v193, off, s[16:19], 0 offset:80
	buffer_load_dword v194, off, s[16:19], 0 offset:84
	buffer_load_dword v195, off, s[16:19], 0 offset:88
	buffer_load_dword v196, off, s[16:19], 0 offset:92
	s_waitcnt vmcnt(0)
	ds_write2_b64 v253, v[193:194], v[195:196] offset0:2 offset1:3
	s_clause 0x3
	buffer_load_dword v193, off, s[16:19], 0 offset:64
	buffer_load_dword v194, off, s[16:19], 0 offset:68
	buffer_load_dword v195, off, s[16:19], 0 offset:72
	buffer_load_dword v196, off, s[16:19], 0 offset:76
	s_waitcnt vmcnt(0)
	ds_write2_b64 v253, v[193:194], v[195:196] offset0:4 offset1:5
	;; [unrolled: 7-line block ×5, first 2 shown]
	s_clause 0x3
	buffer_load_dword v193, off, s[16:19], 0
	buffer_load_dword v194, off, s[16:19], 0 offset:4
	buffer_load_dword v195, off, s[16:19], 0 offset:8
	;; [unrolled: 1-line block ×3, first 2 shown]
	s_waitcnt vmcnt(0)
	ds_write2_b64 v253, v[193:194], v[195:196] offset0:12 offset1:13
	ds_write2_b64 v253, v[249:250], v[251:252] offset0:14 offset1:15
	;; [unrolled: 1-line block ×53, first 2 shown]
	ds_read2_b64 v[213:216], v255 offset1:1
	s_waitcnt lgkmcnt(0)
	v_cmp_neq_f64_e32 vcc_lo, 0, v[213:214]
	v_cmp_neq_f64_e64 s2, 0, v[215:216]
	s_or_b32 s2, vcc_lo, s2
	s_and_b32 exec_lo, exec_lo, s2
	s_cbranch_execz .LBB117_8
; %bb.3:
	v_cmp_ngt_f64_e64 s2, |v[213:214]|, |v[215:216]|
                                        ; implicit-def: $vgpr217_vgpr218
	s_and_saveexec_b32 s4, s2
	s_xor_b32 s2, exec_lo, s4
                                        ; implicit-def: $vgpr219_vgpr220
	s_cbranch_execz .LBB117_5
; %bb.4:
	v_div_scale_f64 v[217:218], null, v[215:216], v[215:216], v[213:214]
	v_div_scale_f64 v[223:224], vcc_lo, v[213:214], v[215:216], v[213:214]
	v_rcp_f64_e32 v[219:220], v[217:218]
	v_fma_f64 v[221:222], -v[217:218], v[219:220], 1.0
	v_fma_f64 v[219:220], v[219:220], v[221:222], v[219:220]
	v_fma_f64 v[221:222], -v[217:218], v[219:220], 1.0
	v_fma_f64 v[219:220], v[219:220], v[221:222], v[219:220]
	v_mul_f64 v[221:222], v[223:224], v[219:220]
	v_fma_f64 v[217:218], -v[217:218], v[221:222], v[223:224]
	v_div_fmas_f64 v[217:218], v[217:218], v[219:220], v[221:222]
	v_div_fixup_f64 v[217:218], v[217:218], v[215:216], v[213:214]
	v_fma_f64 v[213:214], v[213:214], v[217:218], v[215:216]
	v_div_scale_f64 v[215:216], null, v[213:214], v[213:214], 1.0
	v_rcp_f64_e32 v[219:220], v[215:216]
	v_fma_f64 v[221:222], -v[215:216], v[219:220], 1.0
	v_fma_f64 v[219:220], v[219:220], v[221:222], v[219:220]
	v_fma_f64 v[221:222], -v[215:216], v[219:220], 1.0
	v_fma_f64 v[219:220], v[219:220], v[221:222], v[219:220]
	v_div_scale_f64 v[221:222], vcc_lo, 1.0, v[213:214], 1.0
	v_mul_f64 v[223:224], v[221:222], v[219:220]
	v_fma_f64 v[215:216], -v[215:216], v[223:224], v[221:222]
	v_div_fmas_f64 v[215:216], v[215:216], v[219:220], v[223:224]
	v_div_fixup_f64 v[219:220], v[215:216], v[213:214], 1.0
                                        ; implicit-def: $vgpr213_vgpr214
	v_mul_f64 v[217:218], v[217:218], v[219:220]
	v_xor_b32_e32 v220, 0x80000000, v220
.LBB117_5:
	s_andn2_saveexec_b32 s2, s2
	s_cbranch_execz .LBB117_7
; %bb.6:
	v_div_scale_f64 v[217:218], null, v[213:214], v[213:214], v[215:216]
	v_div_scale_f64 v[223:224], vcc_lo, v[215:216], v[213:214], v[215:216]
	v_rcp_f64_e32 v[219:220], v[217:218]
	v_fma_f64 v[221:222], -v[217:218], v[219:220], 1.0
	v_fma_f64 v[219:220], v[219:220], v[221:222], v[219:220]
	v_fma_f64 v[221:222], -v[217:218], v[219:220], 1.0
	v_fma_f64 v[219:220], v[219:220], v[221:222], v[219:220]
	v_mul_f64 v[221:222], v[223:224], v[219:220]
	v_fma_f64 v[217:218], -v[217:218], v[221:222], v[223:224]
	v_div_fmas_f64 v[217:218], v[217:218], v[219:220], v[221:222]
	v_div_fixup_f64 v[219:220], v[217:218], v[213:214], v[215:216]
	v_fma_f64 v[213:214], v[215:216], v[219:220], v[213:214]
	v_div_scale_f64 v[215:216], null, v[213:214], v[213:214], 1.0
	v_rcp_f64_e32 v[217:218], v[215:216]
	v_fma_f64 v[221:222], -v[215:216], v[217:218], 1.0
	v_fma_f64 v[217:218], v[217:218], v[221:222], v[217:218]
	v_fma_f64 v[221:222], -v[215:216], v[217:218], 1.0
	v_fma_f64 v[217:218], v[217:218], v[221:222], v[217:218]
	v_div_scale_f64 v[221:222], vcc_lo, 1.0, v[213:214], 1.0
	v_mul_f64 v[223:224], v[221:222], v[217:218]
	v_fma_f64 v[215:216], -v[215:216], v[223:224], v[221:222]
	v_div_fmas_f64 v[215:216], v[215:216], v[217:218], v[223:224]
	v_div_fixup_f64 v[217:218], v[215:216], v[213:214], 1.0
	v_mul_f64 v[219:220], v[219:220], -v[217:218]
.LBB117_7:
	s_or_b32 exec_lo, exec_lo, s2
	ds_write2_b64 v255, v[217:218], v[219:220] offset1:1
.LBB117_8:
	s_or_b32 exec_lo, exec_lo, s3
	s_waitcnt vmcnt(0) lgkmcnt(0)
	s_waitcnt_vscnt null, 0x0
	s_barrier
	buffer_gl0_inv
	ds_read2_b64 v[193:196], v255 offset1:1
	s_waitcnt lgkmcnt(0)
	buffer_store_dword v193, off, s[16:19], 0 offset:552 ; 4-byte Folded Spill
	buffer_store_dword v194, off, s[16:19], 0 offset:556 ; 4-byte Folded Spill
	;; [unrolled: 1-line block ×4, first 2 shown]
	s_and_saveexec_b32 s2, s1
	s_cbranch_execz .LBB117_10
; %bb.9:
	s_clause 0x7
	buffer_load_dword v219, off, s[16:19], 0 offset:96
	buffer_load_dword v220, off, s[16:19], 0 offset:100
	;; [unrolled: 1-line block ×8, first 2 shown]
	s_waitcnt vmcnt(2)
	v_mul_f64 v[215:216], v[193:194], v[221:222]
	s_waitcnt vmcnt(0)
	v_mul_f64 v[213:214], v[195:196], v[221:222]
	v_fma_f64 v[221:222], v[195:196], v[219:220], v[215:216]
	ds_read2_b64 v[215:218], v253 offset0:2 offset1:3
	v_fma_f64 v[213:214], v[193:194], v[219:220], -v[213:214]
	s_clause 0x3
	buffer_load_dword v193, off, s[16:19], 0 offset:80
	buffer_load_dword v194, off, s[16:19], 0 offset:84
	buffer_load_dword v195, off, s[16:19], 0 offset:88
	buffer_load_dword v196, off, s[16:19], 0 offset:92
	s_waitcnt lgkmcnt(0)
	v_mul_f64 v[219:220], v[217:218], v[221:222]
	v_fma_f64 v[219:220], v[215:216], v[213:214], -v[219:220]
	v_mul_f64 v[215:216], v[215:216], v[221:222]
	v_fma_f64 v[215:216], v[217:218], v[213:214], v[215:216]
	s_waitcnt vmcnt(2)
	v_add_f64 v[193:194], v[193:194], -v[219:220]
	s_waitcnt vmcnt(0)
	v_add_f64 v[195:196], v[195:196], -v[215:216]
	buffer_store_dword v193, off, s[16:19], 0 offset:80 ; 4-byte Folded Spill
	buffer_store_dword v194, off, s[16:19], 0 offset:84 ; 4-byte Folded Spill
	buffer_store_dword v195, off, s[16:19], 0 offset:88 ; 4-byte Folded Spill
	buffer_store_dword v196, off, s[16:19], 0 offset:92 ; 4-byte Folded Spill
	ds_read2_b64 v[215:218], v253 offset0:4 offset1:5
	s_clause 0x3
	buffer_load_dword v193, off, s[16:19], 0 offset:64
	buffer_load_dword v194, off, s[16:19], 0 offset:68
	buffer_load_dword v195, off, s[16:19], 0 offset:72
	buffer_load_dword v196, off, s[16:19], 0 offset:76
	s_waitcnt lgkmcnt(0)
	v_mul_f64 v[219:220], v[217:218], v[221:222]
	v_fma_f64 v[219:220], v[215:216], v[213:214], -v[219:220]
	v_mul_f64 v[215:216], v[215:216], v[221:222]
	v_fma_f64 v[215:216], v[217:218], v[213:214], v[215:216]
	s_waitcnt vmcnt(2)
	v_add_f64 v[193:194], v[193:194], -v[219:220]
	s_waitcnt vmcnt(0)
	v_add_f64 v[195:196], v[195:196], -v[215:216]
	buffer_store_dword v193, off, s[16:19], 0 offset:64 ; 4-byte Folded Spill
	buffer_store_dword v194, off, s[16:19], 0 offset:68 ; 4-byte Folded Spill
	buffer_store_dword v195, off, s[16:19], 0 offset:72 ; 4-byte Folded Spill
	buffer_store_dword v196, off, s[16:19], 0 offset:76 ; 4-byte Folded Spill
	ds_read2_b64 v[215:218], v253 offset0:6 offset1:7
	s_clause 0x3
	buffer_load_dword v193, off, s[16:19], 0 offset:48
	buffer_load_dword v194, off, s[16:19], 0 offset:52
	buffer_load_dword v195, off, s[16:19], 0 offset:56
	buffer_load_dword v196, off, s[16:19], 0 offset:60
	s_waitcnt lgkmcnt(0)
	v_mul_f64 v[219:220], v[217:218], v[221:222]
	v_fma_f64 v[219:220], v[215:216], v[213:214], -v[219:220]
	v_mul_f64 v[215:216], v[215:216], v[221:222]
	v_fma_f64 v[215:216], v[217:218], v[213:214], v[215:216]
	s_waitcnt vmcnt(2)
	v_add_f64 v[193:194], v[193:194], -v[219:220]
	s_waitcnt vmcnt(0)
	v_add_f64 v[195:196], v[195:196], -v[215:216]
	buffer_store_dword v193, off, s[16:19], 0 offset:48 ; 4-byte Folded Spill
	buffer_store_dword v194, off, s[16:19], 0 offset:52 ; 4-byte Folded Spill
	buffer_store_dword v195, off, s[16:19], 0 offset:56 ; 4-byte Folded Spill
	buffer_store_dword v196, off, s[16:19], 0 offset:60 ; 4-byte Folded Spill
	ds_read2_b64 v[215:218], v253 offset0:8 offset1:9
	s_clause 0x3
	buffer_load_dword v193, off, s[16:19], 0 offset:32
	buffer_load_dword v194, off, s[16:19], 0 offset:36
	buffer_load_dword v195, off, s[16:19], 0 offset:40
	buffer_load_dword v196, off, s[16:19], 0 offset:44
	s_waitcnt lgkmcnt(0)
	v_mul_f64 v[219:220], v[217:218], v[221:222]
	v_fma_f64 v[219:220], v[215:216], v[213:214], -v[219:220]
	v_mul_f64 v[215:216], v[215:216], v[221:222]
	v_fma_f64 v[215:216], v[217:218], v[213:214], v[215:216]
	s_waitcnt vmcnt(2)
	v_add_f64 v[193:194], v[193:194], -v[219:220]
	s_waitcnt vmcnt(0)
	v_add_f64 v[195:196], v[195:196], -v[215:216]
	buffer_store_dword v193, off, s[16:19], 0 offset:32 ; 4-byte Folded Spill
	buffer_store_dword v194, off, s[16:19], 0 offset:36 ; 4-byte Folded Spill
	buffer_store_dword v195, off, s[16:19], 0 offset:40 ; 4-byte Folded Spill
	buffer_store_dword v196, off, s[16:19], 0 offset:44 ; 4-byte Folded Spill
	ds_read2_b64 v[215:218], v253 offset0:10 offset1:11
	s_clause 0x3
	buffer_load_dword v193, off, s[16:19], 0 offset:16
	buffer_load_dword v194, off, s[16:19], 0 offset:20
	buffer_load_dword v195, off, s[16:19], 0 offset:24
	buffer_load_dword v196, off, s[16:19], 0 offset:28
	s_waitcnt lgkmcnt(0)
	v_mul_f64 v[219:220], v[217:218], v[221:222]
	v_fma_f64 v[219:220], v[215:216], v[213:214], -v[219:220]
	v_mul_f64 v[215:216], v[215:216], v[221:222]
	v_fma_f64 v[215:216], v[217:218], v[213:214], v[215:216]
	s_waitcnt vmcnt(2)
	v_add_f64 v[193:194], v[193:194], -v[219:220]
	s_waitcnt vmcnt(0)
	v_add_f64 v[195:196], v[195:196], -v[215:216]
	buffer_store_dword v193, off, s[16:19], 0 offset:16 ; 4-byte Folded Spill
	buffer_store_dword v194, off, s[16:19], 0 offset:20 ; 4-byte Folded Spill
	buffer_store_dword v195, off, s[16:19], 0 offset:24 ; 4-byte Folded Spill
	buffer_store_dword v196, off, s[16:19], 0 offset:28 ; 4-byte Folded Spill
	ds_read2_b64 v[215:218], v253 offset0:12 offset1:13
	s_clause 0x3
	buffer_load_dword v193, off, s[16:19], 0
	buffer_load_dword v194, off, s[16:19], 0 offset:4
	buffer_load_dword v195, off, s[16:19], 0 offset:8
	;; [unrolled: 1-line block ×3, first 2 shown]
	s_waitcnt lgkmcnt(0)
	v_mul_f64 v[219:220], v[217:218], v[221:222]
	v_fma_f64 v[219:220], v[215:216], v[213:214], -v[219:220]
	v_mul_f64 v[215:216], v[215:216], v[221:222]
	v_fma_f64 v[215:216], v[217:218], v[213:214], v[215:216]
	s_waitcnt vmcnt(2)
	v_add_f64 v[193:194], v[193:194], -v[219:220]
	s_waitcnt vmcnt(0)
	v_add_f64 v[195:196], v[195:196], -v[215:216]
	buffer_store_dword v193, off, s[16:19], 0 ; 4-byte Folded Spill
	buffer_store_dword v194, off, s[16:19], 0 offset:4 ; 4-byte Folded Spill
	buffer_store_dword v195, off, s[16:19], 0 offset:8 ; 4-byte Folded Spill
	;; [unrolled: 1-line block ×3, first 2 shown]
	ds_read2_b64 v[215:218], v253 offset0:14 offset1:15
	s_waitcnt lgkmcnt(0)
	v_mul_f64 v[219:220], v[217:218], v[221:222]
	v_fma_f64 v[219:220], v[215:216], v[213:214], -v[219:220]
	v_mul_f64 v[215:216], v[215:216], v[221:222]
	v_add_f64 v[249:250], v[249:250], -v[219:220]
	v_fma_f64 v[215:216], v[217:218], v[213:214], v[215:216]
	v_add_f64 v[251:252], v[251:252], -v[215:216]
	ds_read2_b64 v[215:218], v253 offset0:16 offset1:17
	s_waitcnt lgkmcnt(0)
	v_mul_f64 v[219:220], v[217:218], v[221:222]
	v_fma_f64 v[219:220], v[215:216], v[213:214], -v[219:220]
	v_mul_f64 v[215:216], v[215:216], v[221:222]
	v_add_f64 v[245:246], v[245:246], -v[219:220]
	v_fma_f64 v[215:216], v[217:218], v[213:214], v[215:216]
	v_add_f64 v[247:248], v[247:248], -v[215:216]
	;; [unrolled: 8-line block ×51, first 2 shown]
	ds_read2_b64 v[215:218], v253 offset0:116 offset1:117
	s_waitcnt lgkmcnt(0)
	v_mul_f64 v[219:220], v[217:218], v[221:222]
	v_fma_f64 v[219:220], v[215:216], v[213:214], -v[219:220]
	v_mul_f64 v[215:216], v[215:216], v[221:222]
	v_add_f64 v[1:2], v[1:2], -v[219:220]
	v_fma_f64 v[215:216], v[217:218], v[213:214], v[215:216]
	v_mov_b32_e32 v220, v214
	v_mov_b32_e32 v219, v213
	buffer_store_dword v219, off, s[16:19], 0 offset:96 ; 4-byte Folded Spill
	buffer_store_dword v220, off, s[16:19], 0 offset:100 ; 4-byte Folded Spill
	;; [unrolled: 1-line block ×4, first 2 shown]
	v_add_f64 v[3:4], v[3:4], -v[215:216]
.LBB117_10:
	s_or_b32 exec_lo, exec_lo, s2
	s_mov_b32 s2, exec_lo
	s_waitcnt_vscnt null, 0x0
	s_barrier
	buffer_gl0_inv
	v_cmpx_eq_u32_e32 1, v0
	s_cbranch_execz .LBB117_17
; %bb.11:
	s_clause 0x3
	buffer_load_dword v193, off, s[16:19], 0 offset:80
	buffer_load_dword v194, off, s[16:19], 0 offset:84
	;; [unrolled: 1-line block ×4, first 2 shown]
	s_waitcnt vmcnt(0)
	ds_write2_b64 v255, v[193:194], v[195:196] offset1:1
	s_clause 0x3
	buffer_load_dword v193, off, s[16:19], 0 offset:64
	buffer_load_dword v194, off, s[16:19], 0 offset:68
	buffer_load_dword v195, off, s[16:19], 0 offset:72
	buffer_load_dword v196, off, s[16:19], 0 offset:76
	s_waitcnt vmcnt(0)
	ds_write2_b64 v253, v[193:194], v[195:196] offset0:4 offset1:5
	s_clause 0x3
	buffer_load_dword v193, off, s[16:19], 0 offset:48
	buffer_load_dword v194, off, s[16:19], 0 offset:52
	buffer_load_dword v195, off, s[16:19], 0 offset:56
	buffer_load_dword v196, off, s[16:19], 0 offset:60
	s_waitcnt vmcnt(0)
	ds_write2_b64 v253, v[193:194], v[195:196] offset0:6 offset1:7
	;; [unrolled: 7-line block ×4, first 2 shown]
	s_clause 0x3
	buffer_load_dword v193, off, s[16:19], 0
	buffer_load_dword v194, off, s[16:19], 0 offset:4
	buffer_load_dword v195, off, s[16:19], 0 offset:8
	;; [unrolled: 1-line block ×3, first 2 shown]
	s_waitcnt vmcnt(0)
	ds_write2_b64 v253, v[193:194], v[195:196] offset0:12 offset1:13
	ds_write2_b64 v253, v[249:250], v[251:252] offset0:14 offset1:15
	;; [unrolled: 1-line block ×53, first 2 shown]
	ds_read2_b64 v[213:216], v255 offset1:1
	s_waitcnt lgkmcnt(0)
	v_cmp_neq_f64_e32 vcc_lo, 0, v[213:214]
	v_cmp_neq_f64_e64 s1, 0, v[215:216]
	s_or_b32 s1, vcc_lo, s1
	s_and_b32 exec_lo, exec_lo, s1
	s_cbranch_execz .LBB117_17
; %bb.12:
	v_cmp_ngt_f64_e64 s1, |v[213:214]|, |v[215:216]|
                                        ; implicit-def: $vgpr217_vgpr218
	s_and_saveexec_b32 s3, s1
	s_xor_b32 s1, exec_lo, s3
                                        ; implicit-def: $vgpr219_vgpr220
	s_cbranch_execz .LBB117_14
; %bb.13:
	v_div_scale_f64 v[217:218], null, v[215:216], v[215:216], v[213:214]
	v_div_scale_f64 v[223:224], vcc_lo, v[213:214], v[215:216], v[213:214]
	v_rcp_f64_e32 v[219:220], v[217:218]
	v_fma_f64 v[221:222], -v[217:218], v[219:220], 1.0
	v_fma_f64 v[219:220], v[219:220], v[221:222], v[219:220]
	v_fma_f64 v[221:222], -v[217:218], v[219:220], 1.0
	v_fma_f64 v[219:220], v[219:220], v[221:222], v[219:220]
	v_mul_f64 v[221:222], v[223:224], v[219:220]
	v_fma_f64 v[217:218], -v[217:218], v[221:222], v[223:224]
	v_div_fmas_f64 v[217:218], v[217:218], v[219:220], v[221:222]
	v_div_fixup_f64 v[217:218], v[217:218], v[215:216], v[213:214]
	v_fma_f64 v[213:214], v[213:214], v[217:218], v[215:216]
	v_div_scale_f64 v[215:216], null, v[213:214], v[213:214], 1.0
	v_rcp_f64_e32 v[219:220], v[215:216]
	v_fma_f64 v[221:222], -v[215:216], v[219:220], 1.0
	v_fma_f64 v[219:220], v[219:220], v[221:222], v[219:220]
	v_fma_f64 v[221:222], -v[215:216], v[219:220], 1.0
	v_fma_f64 v[219:220], v[219:220], v[221:222], v[219:220]
	v_div_scale_f64 v[221:222], vcc_lo, 1.0, v[213:214], 1.0
	v_mul_f64 v[223:224], v[221:222], v[219:220]
	v_fma_f64 v[215:216], -v[215:216], v[223:224], v[221:222]
	v_div_fmas_f64 v[215:216], v[215:216], v[219:220], v[223:224]
	v_div_fixup_f64 v[219:220], v[215:216], v[213:214], 1.0
                                        ; implicit-def: $vgpr213_vgpr214
	v_mul_f64 v[217:218], v[217:218], v[219:220]
	v_xor_b32_e32 v220, 0x80000000, v220
.LBB117_14:
	s_andn2_saveexec_b32 s1, s1
	s_cbranch_execz .LBB117_16
; %bb.15:
	v_div_scale_f64 v[217:218], null, v[213:214], v[213:214], v[215:216]
	v_div_scale_f64 v[223:224], vcc_lo, v[215:216], v[213:214], v[215:216]
	v_rcp_f64_e32 v[219:220], v[217:218]
	v_fma_f64 v[221:222], -v[217:218], v[219:220], 1.0
	v_fma_f64 v[219:220], v[219:220], v[221:222], v[219:220]
	v_fma_f64 v[221:222], -v[217:218], v[219:220], 1.0
	v_fma_f64 v[219:220], v[219:220], v[221:222], v[219:220]
	v_mul_f64 v[221:222], v[223:224], v[219:220]
	v_fma_f64 v[217:218], -v[217:218], v[221:222], v[223:224]
	v_div_fmas_f64 v[217:218], v[217:218], v[219:220], v[221:222]
	v_div_fixup_f64 v[219:220], v[217:218], v[213:214], v[215:216]
	v_fma_f64 v[213:214], v[215:216], v[219:220], v[213:214]
	v_div_scale_f64 v[215:216], null, v[213:214], v[213:214], 1.0
	v_rcp_f64_e32 v[217:218], v[215:216]
	v_fma_f64 v[221:222], -v[215:216], v[217:218], 1.0
	v_fma_f64 v[217:218], v[217:218], v[221:222], v[217:218]
	v_fma_f64 v[221:222], -v[215:216], v[217:218], 1.0
	v_fma_f64 v[217:218], v[217:218], v[221:222], v[217:218]
	v_div_scale_f64 v[221:222], vcc_lo, 1.0, v[213:214], 1.0
	v_mul_f64 v[223:224], v[221:222], v[217:218]
	v_fma_f64 v[215:216], -v[215:216], v[223:224], v[221:222]
	v_div_fmas_f64 v[215:216], v[215:216], v[217:218], v[223:224]
	v_div_fixup_f64 v[217:218], v[215:216], v[213:214], 1.0
	v_mul_f64 v[219:220], v[219:220], -v[217:218]
.LBB117_16:
	s_or_b32 exec_lo, exec_lo, s1
	ds_write2_b64 v255, v[217:218], v[219:220] offset1:1
.LBB117_17:
	s_or_b32 exec_lo, exec_lo, s2
	s_waitcnt lgkmcnt(0)
	s_barrier
	buffer_gl0_inv
	ds_read2_b64 v[193:196], v255 offset1:1
	s_mov_b32 s1, exec_lo
	s_waitcnt lgkmcnt(0)
	buffer_store_dword v193, off, s[16:19], 0 offset:568 ; 4-byte Folded Spill
	buffer_store_dword v194, off, s[16:19], 0 offset:572 ; 4-byte Folded Spill
	;; [unrolled: 1-line block ×4, first 2 shown]
	v_cmpx_lt_u32_e32 1, v0
	s_cbranch_execz .LBB117_19
; %bb.18:
	s_clause 0x7
	buffer_load_dword v219, off, s[16:19], 0 offset:80
	buffer_load_dword v220, off, s[16:19], 0 offset:84
	;; [unrolled: 1-line block ×8, first 2 shown]
	s_waitcnt vmcnt(2)
	v_mul_f64 v[215:216], v[193:194], v[221:222]
	s_waitcnt vmcnt(0)
	v_mul_f64 v[213:214], v[195:196], v[221:222]
	v_fma_f64 v[221:222], v[195:196], v[219:220], v[215:216]
	ds_read2_b64 v[215:218], v253 offset0:4 offset1:5
	v_fma_f64 v[213:214], v[193:194], v[219:220], -v[213:214]
	s_clause 0x3
	buffer_load_dword v193, off, s[16:19], 0 offset:64
	buffer_load_dword v194, off, s[16:19], 0 offset:68
	buffer_load_dword v195, off, s[16:19], 0 offset:72
	buffer_load_dword v196, off, s[16:19], 0 offset:76
	s_waitcnt lgkmcnt(0)
	v_mul_f64 v[219:220], v[217:218], v[221:222]
	v_fma_f64 v[219:220], v[215:216], v[213:214], -v[219:220]
	v_mul_f64 v[215:216], v[215:216], v[221:222]
	v_fma_f64 v[215:216], v[217:218], v[213:214], v[215:216]
	s_waitcnt vmcnt(2)
	v_add_f64 v[193:194], v[193:194], -v[219:220]
	s_waitcnt vmcnt(0)
	v_add_f64 v[195:196], v[195:196], -v[215:216]
	buffer_store_dword v193, off, s[16:19], 0 offset:64 ; 4-byte Folded Spill
	buffer_store_dword v194, off, s[16:19], 0 offset:68 ; 4-byte Folded Spill
	buffer_store_dword v195, off, s[16:19], 0 offset:72 ; 4-byte Folded Spill
	buffer_store_dword v196, off, s[16:19], 0 offset:76 ; 4-byte Folded Spill
	ds_read2_b64 v[215:218], v253 offset0:6 offset1:7
	s_clause 0x3
	buffer_load_dword v193, off, s[16:19], 0 offset:48
	buffer_load_dword v194, off, s[16:19], 0 offset:52
	buffer_load_dword v195, off, s[16:19], 0 offset:56
	buffer_load_dword v196, off, s[16:19], 0 offset:60
	s_waitcnt lgkmcnt(0)
	v_mul_f64 v[219:220], v[217:218], v[221:222]
	v_fma_f64 v[219:220], v[215:216], v[213:214], -v[219:220]
	v_mul_f64 v[215:216], v[215:216], v[221:222]
	v_fma_f64 v[215:216], v[217:218], v[213:214], v[215:216]
	s_waitcnt vmcnt(2)
	v_add_f64 v[193:194], v[193:194], -v[219:220]
	s_waitcnt vmcnt(0)
	v_add_f64 v[195:196], v[195:196], -v[215:216]
	buffer_store_dword v193, off, s[16:19], 0 offset:48 ; 4-byte Folded Spill
	buffer_store_dword v194, off, s[16:19], 0 offset:52 ; 4-byte Folded Spill
	buffer_store_dword v195, off, s[16:19], 0 offset:56 ; 4-byte Folded Spill
	buffer_store_dword v196, off, s[16:19], 0 offset:60 ; 4-byte Folded Spill
	ds_read2_b64 v[215:218], v253 offset0:8 offset1:9
	;; [unrolled: 19-line block ×4, first 2 shown]
	s_clause 0x3
	buffer_load_dword v193, off, s[16:19], 0
	buffer_load_dword v194, off, s[16:19], 0 offset:4
	buffer_load_dword v195, off, s[16:19], 0 offset:8
	;; [unrolled: 1-line block ×3, first 2 shown]
	s_waitcnt lgkmcnt(0)
	v_mul_f64 v[219:220], v[217:218], v[221:222]
	v_fma_f64 v[219:220], v[215:216], v[213:214], -v[219:220]
	v_mul_f64 v[215:216], v[215:216], v[221:222]
	v_fma_f64 v[215:216], v[217:218], v[213:214], v[215:216]
	s_waitcnt vmcnt(2)
	v_add_f64 v[193:194], v[193:194], -v[219:220]
	s_waitcnt vmcnt(0)
	v_add_f64 v[195:196], v[195:196], -v[215:216]
	buffer_store_dword v193, off, s[16:19], 0 ; 4-byte Folded Spill
	buffer_store_dword v194, off, s[16:19], 0 offset:4 ; 4-byte Folded Spill
	buffer_store_dword v195, off, s[16:19], 0 offset:8 ; 4-byte Folded Spill
	;; [unrolled: 1-line block ×3, first 2 shown]
	ds_read2_b64 v[215:218], v253 offset0:14 offset1:15
	s_waitcnt lgkmcnt(0)
	v_mul_f64 v[219:220], v[217:218], v[221:222]
	v_fma_f64 v[219:220], v[215:216], v[213:214], -v[219:220]
	v_mul_f64 v[215:216], v[215:216], v[221:222]
	v_add_f64 v[249:250], v[249:250], -v[219:220]
	v_fma_f64 v[215:216], v[217:218], v[213:214], v[215:216]
	v_add_f64 v[251:252], v[251:252], -v[215:216]
	ds_read2_b64 v[215:218], v253 offset0:16 offset1:17
	s_waitcnt lgkmcnt(0)
	v_mul_f64 v[219:220], v[217:218], v[221:222]
	v_fma_f64 v[219:220], v[215:216], v[213:214], -v[219:220]
	v_mul_f64 v[215:216], v[215:216], v[221:222]
	v_add_f64 v[245:246], v[245:246], -v[219:220]
	v_fma_f64 v[215:216], v[217:218], v[213:214], v[215:216]
	v_add_f64 v[247:248], v[247:248], -v[215:216]
	ds_read2_b64 v[215:218], v253 offset0:18 offset1:19
	s_waitcnt lgkmcnt(0)
	v_mul_f64 v[219:220], v[217:218], v[221:222]
	v_fma_f64 v[219:220], v[215:216], v[213:214], -v[219:220]
	v_mul_f64 v[215:216], v[215:216], v[221:222]
	v_add_f64 v[241:242], v[241:242], -v[219:220]
	v_fma_f64 v[215:216], v[217:218], v[213:214], v[215:216]
	v_add_f64 v[243:244], v[243:244], -v[215:216]
	ds_read2_b64 v[215:218], v253 offset0:20 offset1:21
	s_waitcnt lgkmcnt(0)
	v_mul_f64 v[219:220], v[217:218], v[221:222]
	v_fma_f64 v[219:220], v[215:216], v[213:214], -v[219:220]
	v_mul_f64 v[215:216], v[215:216], v[221:222]
	v_add_f64 v[209:210], v[209:210], -v[219:220]
	v_fma_f64 v[215:216], v[217:218], v[213:214], v[215:216]
	v_add_f64 v[211:212], v[211:212], -v[215:216]
	ds_read2_b64 v[215:218], v253 offset0:22 offset1:23
	s_waitcnt lgkmcnt(0)
	v_mul_f64 v[219:220], v[217:218], v[221:222]
	v_fma_f64 v[219:220], v[215:216], v[213:214], -v[219:220]
	v_mul_f64 v[215:216], v[215:216], v[221:222]
	v_add_f64 v[189:190], v[189:190], -v[219:220]
	v_fma_f64 v[215:216], v[217:218], v[213:214], v[215:216]
	v_add_f64 v[191:192], v[191:192], -v[215:216]
	ds_read2_b64 v[215:218], v253 offset0:24 offset1:25
	s_waitcnt lgkmcnt(0)
	v_mul_f64 v[219:220], v[217:218], v[221:222]
	v_fma_f64 v[219:220], v[215:216], v[213:214], -v[219:220]
	v_mul_f64 v[215:216], v[215:216], v[221:222]
	v_add_f64 v[185:186], v[185:186], -v[219:220]
	v_fma_f64 v[215:216], v[217:218], v[213:214], v[215:216]
	v_add_f64 v[187:188], v[187:188], -v[215:216]
	ds_read2_b64 v[215:218], v253 offset0:26 offset1:27
	s_waitcnt lgkmcnt(0)
	v_mul_f64 v[219:220], v[217:218], v[221:222]
	v_fma_f64 v[219:220], v[215:216], v[213:214], -v[219:220]
	v_mul_f64 v[215:216], v[215:216], v[221:222]
	v_add_f64 v[181:182], v[181:182], -v[219:220]
	v_fma_f64 v[215:216], v[217:218], v[213:214], v[215:216]
	v_add_f64 v[183:184], v[183:184], -v[215:216]
	ds_read2_b64 v[215:218], v253 offset0:28 offset1:29
	s_waitcnt lgkmcnt(0)
	v_mul_f64 v[219:220], v[217:218], v[221:222]
	v_fma_f64 v[219:220], v[215:216], v[213:214], -v[219:220]
	v_mul_f64 v[215:216], v[215:216], v[221:222]
	v_add_f64 v[177:178], v[177:178], -v[219:220]
	v_fma_f64 v[215:216], v[217:218], v[213:214], v[215:216]
	v_add_f64 v[179:180], v[179:180], -v[215:216]
	ds_read2_b64 v[215:218], v253 offset0:30 offset1:31
	s_waitcnt lgkmcnt(0)
	v_mul_f64 v[219:220], v[217:218], v[221:222]
	v_fma_f64 v[219:220], v[215:216], v[213:214], -v[219:220]
	v_mul_f64 v[215:216], v[215:216], v[221:222]
	v_add_f64 v[173:174], v[173:174], -v[219:220]
	v_fma_f64 v[215:216], v[217:218], v[213:214], v[215:216]
	v_add_f64 v[175:176], v[175:176], -v[215:216]
	ds_read2_b64 v[215:218], v253 offset0:32 offset1:33
	s_waitcnt lgkmcnt(0)
	v_mul_f64 v[219:220], v[217:218], v[221:222]
	v_fma_f64 v[219:220], v[215:216], v[213:214], -v[219:220]
	v_mul_f64 v[215:216], v[215:216], v[221:222]
	v_add_f64 v[169:170], v[169:170], -v[219:220]
	v_fma_f64 v[215:216], v[217:218], v[213:214], v[215:216]
	v_add_f64 v[171:172], v[171:172], -v[215:216]
	ds_read2_b64 v[215:218], v253 offset0:34 offset1:35
	s_waitcnt lgkmcnt(0)
	v_mul_f64 v[219:220], v[217:218], v[221:222]
	v_fma_f64 v[219:220], v[215:216], v[213:214], -v[219:220]
	v_mul_f64 v[215:216], v[215:216], v[221:222]
	v_add_f64 v[165:166], v[165:166], -v[219:220]
	v_fma_f64 v[215:216], v[217:218], v[213:214], v[215:216]
	v_add_f64 v[167:168], v[167:168], -v[215:216]
	ds_read2_b64 v[215:218], v253 offset0:36 offset1:37
	s_waitcnt lgkmcnt(0)
	v_mul_f64 v[219:220], v[217:218], v[221:222]
	v_fma_f64 v[219:220], v[215:216], v[213:214], -v[219:220]
	v_mul_f64 v[215:216], v[215:216], v[221:222]
	v_add_f64 v[161:162], v[161:162], -v[219:220]
	v_fma_f64 v[215:216], v[217:218], v[213:214], v[215:216]
	v_add_f64 v[163:164], v[163:164], -v[215:216]
	ds_read2_b64 v[215:218], v253 offset0:38 offset1:39
	s_waitcnt lgkmcnt(0)
	v_mul_f64 v[219:220], v[217:218], v[221:222]
	v_fma_f64 v[219:220], v[215:216], v[213:214], -v[219:220]
	v_mul_f64 v[215:216], v[215:216], v[221:222]
	v_add_f64 v[157:158], v[157:158], -v[219:220]
	v_fma_f64 v[215:216], v[217:218], v[213:214], v[215:216]
	v_add_f64 v[159:160], v[159:160], -v[215:216]
	ds_read2_b64 v[215:218], v253 offset0:40 offset1:41
	s_waitcnt lgkmcnt(0)
	v_mul_f64 v[219:220], v[217:218], v[221:222]
	v_fma_f64 v[219:220], v[215:216], v[213:214], -v[219:220]
	v_mul_f64 v[215:216], v[215:216], v[221:222]
	v_add_f64 v[153:154], v[153:154], -v[219:220]
	v_fma_f64 v[215:216], v[217:218], v[213:214], v[215:216]
	v_add_f64 v[155:156], v[155:156], -v[215:216]
	ds_read2_b64 v[215:218], v253 offset0:42 offset1:43
	s_waitcnt lgkmcnt(0)
	v_mul_f64 v[219:220], v[217:218], v[221:222]
	v_fma_f64 v[219:220], v[215:216], v[213:214], -v[219:220]
	v_mul_f64 v[215:216], v[215:216], v[221:222]
	v_add_f64 v[149:150], v[149:150], -v[219:220]
	v_fma_f64 v[215:216], v[217:218], v[213:214], v[215:216]
	v_add_f64 v[151:152], v[151:152], -v[215:216]
	ds_read2_b64 v[215:218], v253 offset0:44 offset1:45
	s_waitcnt lgkmcnt(0)
	v_mul_f64 v[219:220], v[217:218], v[221:222]
	v_fma_f64 v[219:220], v[215:216], v[213:214], -v[219:220]
	v_mul_f64 v[215:216], v[215:216], v[221:222]
	v_add_f64 v[145:146], v[145:146], -v[219:220]
	v_fma_f64 v[215:216], v[217:218], v[213:214], v[215:216]
	v_add_f64 v[147:148], v[147:148], -v[215:216]
	ds_read2_b64 v[215:218], v253 offset0:46 offset1:47
	s_waitcnt lgkmcnt(0)
	v_mul_f64 v[219:220], v[217:218], v[221:222]
	v_fma_f64 v[219:220], v[215:216], v[213:214], -v[219:220]
	v_mul_f64 v[215:216], v[215:216], v[221:222]
	v_add_f64 v[141:142], v[141:142], -v[219:220]
	v_fma_f64 v[215:216], v[217:218], v[213:214], v[215:216]
	v_add_f64 v[143:144], v[143:144], -v[215:216]
	ds_read2_b64 v[215:218], v253 offset0:48 offset1:49
	s_waitcnt lgkmcnt(0)
	v_mul_f64 v[219:220], v[217:218], v[221:222]
	v_fma_f64 v[219:220], v[215:216], v[213:214], -v[219:220]
	v_mul_f64 v[215:216], v[215:216], v[221:222]
	v_add_f64 v[137:138], v[137:138], -v[219:220]
	v_fma_f64 v[215:216], v[217:218], v[213:214], v[215:216]
	v_add_f64 v[139:140], v[139:140], -v[215:216]
	ds_read2_b64 v[215:218], v253 offset0:50 offset1:51
	s_waitcnt lgkmcnt(0)
	v_mul_f64 v[219:220], v[217:218], v[221:222]
	v_fma_f64 v[219:220], v[215:216], v[213:214], -v[219:220]
	v_mul_f64 v[215:216], v[215:216], v[221:222]
	v_add_f64 v[133:134], v[133:134], -v[219:220]
	v_fma_f64 v[215:216], v[217:218], v[213:214], v[215:216]
	v_add_f64 v[135:136], v[135:136], -v[215:216]
	ds_read2_b64 v[215:218], v253 offset0:52 offset1:53
	s_waitcnt lgkmcnt(0)
	v_mul_f64 v[219:220], v[217:218], v[221:222]
	v_fma_f64 v[219:220], v[215:216], v[213:214], -v[219:220]
	v_mul_f64 v[215:216], v[215:216], v[221:222]
	v_add_f64 v[129:130], v[129:130], -v[219:220]
	v_fma_f64 v[215:216], v[217:218], v[213:214], v[215:216]
	v_add_f64 v[131:132], v[131:132], -v[215:216]
	ds_read2_b64 v[215:218], v253 offset0:54 offset1:55
	s_waitcnt lgkmcnt(0)
	v_mul_f64 v[219:220], v[217:218], v[221:222]
	v_fma_f64 v[219:220], v[215:216], v[213:214], -v[219:220]
	v_mul_f64 v[215:216], v[215:216], v[221:222]
	v_add_f64 v[125:126], v[125:126], -v[219:220]
	v_fma_f64 v[215:216], v[217:218], v[213:214], v[215:216]
	v_add_f64 v[127:128], v[127:128], -v[215:216]
	ds_read2_b64 v[215:218], v253 offset0:56 offset1:57
	s_waitcnt lgkmcnt(0)
	v_mul_f64 v[219:220], v[217:218], v[221:222]
	v_fma_f64 v[219:220], v[215:216], v[213:214], -v[219:220]
	v_mul_f64 v[215:216], v[215:216], v[221:222]
	v_add_f64 v[121:122], v[121:122], -v[219:220]
	v_fma_f64 v[215:216], v[217:218], v[213:214], v[215:216]
	v_add_f64 v[123:124], v[123:124], -v[215:216]
	ds_read2_b64 v[215:218], v253 offset0:58 offset1:59
	s_waitcnt lgkmcnt(0)
	v_mul_f64 v[219:220], v[217:218], v[221:222]
	v_fma_f64 v[219:220], v[215:216], v[213:214], -v[219:220]
	v_mul_f64 v[215:216], v[215:216], v[221:222]
	v_add_f64 v[117:118], v[117:118], -v[219:220]
	v_fma_f64 v[215:216], v[217:218], v[213:214], v[215:216]
	v_add_f64 v[119:120], v[119:120], -v[215:216]
	ds_read2_b64 v[215:218], v253 offset0:60 offset1:61
	s_waitcnt lgkmcnt(0)
	v_mul_f64 v[219:220], v[217:218], v[221:222]
	v_fma_f64 v[219:220], v[215:216], v[213:214], -v[219:220]
	v_mul_f64 v[215:216], v[215:216], v[221:222]
	v_add_f64 v[113:114], v[113:114], -v[219:220]
	v_fma_f64 v[215:216], v[217:218], v[213:214], v[215:216]
	v_add_f64 v[115:116], v[115:116], -v[215:216]
	ds_read2_b64 v[215:218], v253 offset0:62 offset1:63
	s_waitcnt lgkmcnt(0)
	v_mul_f64 v[219:220], v[217:218], v[221:222]
	v_fma_f64 v[219:220], v[215:216], v[213:214], -v[219:220]
	v_mul_f64 v[215:216], v[215:216], v[221:222]
	v_add_f64 v[109:110], v[109:110], -v[219:220]
	v_fma_f64 v[215:216], v[217:218], v[213:214], v[215:216]
	v_add_f64 v[111:112], v[111:112], -v[215:216]
	ds_read2_b64 v[215:218], v253 offset0:64 offset1:65
	s_waitcnt lgkmcnt(0)
	v_mul_f64 v[219:220], v[217:218], v[221:222]
	v_fma_f64 v[219:220], v[215:216], v[213:214], -v[219:220]
	v_mul_f64 v[215:216], v[215:216], v[221:222]
	v_add_f64 v[105:106], v[105:106], -v[219:220]
	v_fma_f64 v[215:216], v[217:218], v[213:214], v[215:216]
	v_add_f64 v[107:108], v[107:108], -v[215:216]
	ds_read2_b64 v[215:218], v253 offset0:66 offset1:67
	s_waitcnt lgkmcnt(0)
	v_mul_f64 v[219:220], v[217:218], v[221:222]
	v_fma_f64 v[219:220], v[215:216], v[213:214], -v[219:220]
	v_mul_f64 v[215:216], v[215:216], v[221:222]
	v_add_f64 v[101:102], v[101:102], -v[219:220]
	v_fma_f64 v[215:216], v[217:218], v[213:214], v[215:216]
	v_add_f64 v[103:104], v[103:104], -v[215:216]
	ds_read2_b64 v[215:218], v253 offset0:68 offset1:69
	s_waitcnt lgkmcnt(0)
	v_mul_f64 v[219:220], v[217:218], v[221:222]
	v_fma_f64 v[219:220], v[215:216], v[213:214], -v[219:220]
	v_mul_f64 v[215:216], v[215:216], v[221:222]
	v_add_f64 v[97:98], v[97:98], -v[219:220]
	v_fma_f64 v[215:216], v[217:218], v[213:214], v[215:216]
	v_add_f64 v[99:100], v[99:100], -v[215:216]
	ds_read2_b64 v[215:218], v253 offset0:70 offset1:71
	s_waitcnt lgkmcnt(0)
	v_mul_f64 v[219:220], v[217:218], v[221:222]
	v_fma_f64 v[219:220], v[215:216], v[213:214], -v[219:220]
	v_mul_f64 v[215:216], v[215:216], v[221:222]
	v_add_f64 v[93:94], v[93:94], -v[219:220]
	v_fma_f64 v[215:216], v[217:218], v[213:214], v[215:216]
	v_add_f64 v[95:96], v[95:96], -v[215:216]
	ds_read2_b64 v[215:218], v253 offset0:72 offset1:73
	s_waitcnt lgkmcnt(0)
	v_mul_f64 v[219:220], v[217:218], v[221:222]
	v_fma_f64 v[219:220], v[215:216], v[213:214], -v[219:220]
	v_mul_f64 v[215:216], v[215:216], v[221:222]
	v_add_f64 v[89:90], v[89:90], -v[219:220]
	v_fma_f64 v[215:216], v[217:218], v[213:214], v[215:216]
	v_add_f64 v[91:92], v[91:92], -v[215:216]
	ds_read2_b64 v[215:218], v253 offset0:74 offset1:75
	s_waitcnt lgkmcnt(0)
	v_mul_f64 v[219:220], v[217:218], v[221:222]
	v_fma_f64 v[219:220], v[215:216], v[213:214], -v[219:220]
	v_mul_f64 v[215:216], v[215:216], v[221:222]
	v_add_f64 v[85:86], v[85:86], -v[219:220]
	v_fma_f64 v[215:216], v[217:218], v[213:214], v[215:216]
	v_add_f64 v[87:88], v[87:88], -v[215:216]
	ds_read2_b64 v[215:218], v253 offset0:76 offset1:77
	s_waitcnt lgkmcnt(0)
	v_mul_f64 v[219:220], v[217:218], v[221:222]
	v_fma_f64 v[219:220], v[215:216], v[213:214], -v[219:220]
	v_mul_f64 v[215:216], v[215:216], v[221:222]
	v_add_f64 v[81:82], v[81:82], -v[219:220]
	v_fma_f64 v[215:216], v[217:218], v[213:214], v[215:216]
	v_add_f64 v[83:84], v[83:84], -v[215:216]
	ds_read2_b64 v[215:218], v253 offset0:78 offset1:79
	s_waitcnt lgkmcnt(0)
	v_mul_f64 v[219:220], v[217:218], v[221:222]
	v_fma_f64 v[219:220], v[215:216], v[213:214], -v[219:220]
	v_mul_f64 v[215:216], v[215:216], v[221:222]
	v_add_f64 v[77:78], v[77:78], -v[219:220]
	v_fma_f64 v[215:216], v[217:218], v[213:214], v[215:216]
	v_add_f64 v[79:80], v[79:80], -v[215:216]
	ds_read2_b64 v[215:218], v253 offset0:80 offset1:81
	s_waitcnt lgkmcnt(0)
	v_mul_f64 v[219:220], v[217:218], v[221:222]
	v_fma_f64 v[219:220], v[215:216], v[213:214], -v[219:220]
	v_mul_f64 v[215:216], v[215:216], v[221:222]
	v_add_f64 v[73:74], v[73:74], -v[219:220]
	v_fma_f64 v[215:216], v[217:218], v[213:214], v[215:216]
	v_add_f64 v[75:76], v[75:76], -v[215:216]
	ds_read2_b64 v[215:218], v253 offset0:82 offset1:83
	s_waitcnt lgkmcnt(0)
	v_mul_f64 v[219:220], v[217:218], v[221:222]
	v_fma_f64 v[219:220], v[215:216], v[213:214], -v[219:220]
	v_mul_f64 v[215:216], v[215:216], v[221:222]
	v_add_f64 v[69:70], v[69:70], -v[219:220]
	v_fma_f64 v[215:216], v[217:218], v[213:214], v[215:216]
	v_add_f64 v[71:72], v[71:72], -v[215:216]
	ds_read2_b64 v[215:218], v253 offset0:84 offset1:85
	s_waitcnt lgkmcnt(0)
	v_mul_f64 v[219:220], v[217:218], v[221:222]
	v_fma_f64 v[219:220], v[215:216], v[213:214], -v[219:220]
	v_mul_f64 v[215:216], v[215:216], v[221:222]
	v_add_f64 v[65:66], v[65:66], -v[219:220]
	v_fma_f64 v[215:216], v[217:218], v[213:214], v[215:216]
	v_add_f64 v[67:68], v[67:68], -v[215:216]
	ds_read2_b64 v[215:218], v253 offset0:86 offset1:87
	s_waitcnt lgkmcnt(0)
	v_mul_f64 v[219:220], v[217:218], v[221:222]
	v_fma_f64 v[219:220], v[215:216], v[213:214], -v[219:220]
	v_mul_f64 v[215:216], v[215:216], v[221:222]
	v_add_f64 v[61:62], v[61:62], -v[219:220]
	v_fma_f64 v[215:216], v[217:218], v[213:214], v[215:216]
	v_add_f64 v[63:64], v[63:64], -v[215:216]
	ds_read2_b64 v[215:218], v253 offset0:88 offset1:89
	s_waitcnt lgkmcnt(0)
	v_mul_f64 v[219:220], v[217:218], v[221:222]
	v_fma_f64 v[219:220], v[215:216], v[213:214], -v[219:220]
	v_mul_f64 v[215:216], v[215:216], v[221:222]
	v_add_f64 v[57:58], v[57:58], -v[219:220]
	v_fma_f64 v[215:216], v[217:218], v[213:214], v[215:216]
	v_add_f64 v[59:60], v[59:60], -v[215:216]
	ds_read2_b64 v[215:218], v253 offset0:90 offset1:91
	s_waitcnt lgkmcnt(0)
	v_mul_f64 v[219:220], v[217:218], v[221:222]
	v_fma_f64 v[219:220], v[215:216], v[213:214], -v[219:220]
	v_mul_f64 v[215:216], v[215:216], v[221:222]
	v_add_f64 v[53:54], v[53:54], -v[219:220]
	v_fma_f64 v[215:216], v[217:218], v[213:214], v[215:216]
	v_add_f64 v[55:56], v[55:56], -v[215:216]
	ds_read2_b64 v[215:218], v253 offset0:92 offset1:93
	s_waitcnt lgkmcnt(0)
	v_mul_f64 v[219:220], v[217:218], v[221:222]
	v_fma_f64 v[219:220], v[215:216], v[213:214], -v[219:220]
	v_mul_f64 v[215:216], v[215:216], v[221:222]
	v_add_f64 v[49:50], v[49:50], -v[219:220]
	v_fma_f64 v[215:216], v[217:218], v[213:214], v[215:216]
	v_add_f64 v[51:52], v[51:52], -v[215:216]
	ds_read2_b64 v[215:218], v253 offset0:94 offset1:95
	s_waitcnt lgkmcnt(0)
	v_mul_f64 v[219:220], v[217:218], v[221:222]
	v_fma_f64 v[219:220], v[215:216], v[213:214], -v[219:220]
	v_mul_f64 v[215:216], v[215:216], v[221:222]
	v_add_f64 v[45:46], v[45:46], -v[219:220]
	v_fma_f64 v[215:216], v[217:218], v[213:214], v[215:216]
	v_add_f64 v[47:48], v[47:48], -v[215:216]
	ds_read2_b64 v[215:218], v253 offset0:96 offset1:97
	s_waitcnt lgkmcnt(0)
	v_mul_f64 v[219:220], v[217:218], v[221:222]
	v_fma_f64 v[219:220], v[215:216], v[213:214], -v[219:220]
	v_mul_f64 v[215:216], v[215:216], v[221:222]
	v_add_f64 v[41:42], v[41:42], -v[219:220]
	v_fma_f64 v[215:216], v[217:218], v[213:214], v[215:216]
	v_add_f64 v[43:44], v[43:44], -v[215:216]
	ds_read2_b64 v[215:218], v253 offset0:98 offset1:99
	s_waitcnt lgkmcnt(0)
	v_mul_f64 v[219:220], v[217:218], v[221:222]
	v_fma_f64 v[219:220], v[215:216], v[213:214], -v[219:220]
	v_mul_f64 v[215:216], v[215:216], v[221:222]
	v_add_f64 v[37:38], v[37:38], -v[219:220]
	v_fma_f64 v[215:216], v[217:218], v[213:214], v[215:216]
	v_add_f64 v[39:40], v[39:40], -v[215:216]
	ds_read2_b64 v[215:218], v253 offset0:100 offset1:101
	s_waitcnt lgkmcnt(0)
	v_mul_f64 v[219:220], v[217:218], v[221:222]
	v_fma_f64 v[219:220], v[215:216], v[213:214], -v[219:220]
	v_mul_f64 v[215:216], v[215:216], v[221:222]
	v_add_f64 v[33:34], v[33:34], -v[219:220]
	v_fma_f64 v[215:216], v[217:218], v[213:214], v[215:216]
	v_add_f64 v[35:36], v[35:36], -v[215:216]
	ds_read2_b64 v[215:218], v253 offset0:102 offset1:103
	s_waitcnt lgkmcnt(0)
	v_mul_f64 v[219:220], v[217:218], v[221:222]
	v_fma_f64 v[219:220], v[215:216], v[213:214], -v[219:220]
	v_mul_f64 v[215:216], v[215:216], v[221:222]
	v_add_f64 v[29:30], v[29:30], -v[219:220]
	v_fma_f64 v[215:216], v[217:218], v[213:214], v[215:216]
	v_add_f64 v[31:32], v[31:32], -v[215:216]
	ds_read2_b64 v[215:218], v253 offset0:104 offset1:105
	s_waitcnt lgkmcnt(0)
	v_mul_f64 v[219:220], v[217:218], v[221:222]
	v_fma_f64 v[219:220], v[215:216], v[213:214], -v[219:220]
	v_mul_f64 v[215:216], v[215:216], v[221:222]
	v_add_f64 v[25:26], v[25:26], -v[219:220]
	v_fma_f64 v[215:216], v[217:218], v[213:214], v[215:216]
	v_add_f64 v[27:28], v[27:28], -v[215:216]
	ds_read2_b64 v[215:218], v253 offset0:106 offset1:107
	s_waitcnt lgkmcnt(0)
	v_mul_f64 v[219:220], v[217:218], v[221:222]
	v_fma_f64 v[219:220], v[215:216], v[213:214], -v[219:220]
	v_mul_f64 v[215:216], v[215:216], v[221:222]
	v_add_f64 v[21:22], v[21:22], -v[219:220]
	v_fma_f64 v[215:216], v[217:218], v[213:214], v[215:216]
	v_add_f64 v[23:24], v[23:24], -v[215:216]
	ds_read2_b64 v[215:218], v253 offset0:108 offset1:109
	s_waitcnt lgkmcnt(0)
	v_mul_f64 v[219:220], v[217:218], v[221:222]
	v_fma_f64 v[219:220], v[215:216], v[213:214], -v[219:220]
	v_mul_f64 v[215:216], v[215:216], v[221:222]
	v_add_f64 v[17:18], v[17:18], -v[219:220]
	v_fma_f64 v[215:216], v[217:218], v[213:214], v[215:216]
	v_add_f64 v[19:20], v[19:20], -v[215:216]
	ds_read2_b64 v[215:218], v253 offset0:110 offset1:111
	s_waitcnt lgkmcnt(0)
	v_mul_f64 v[219:220], v[217:218], v[221:222]
	v_fma_f64 v[219:220], v[215:216], v[213:214], -v[219:220]
	v_mul_f64 v[215:216], v[215:216], v[221:222]
	v_add_f64 v[13:14], v[13:14], -v[219:220]
	v_fma_f64 v[215:216], v[217:218], v[213:214], v[215:216]
	v_add_f64 v[15:16], v[15:16], -v[215:216]
	ds_read2_b64 v[215:218], v253 offset0:112 offset1:113
	s_waitcnt lgkmcnt(0)
	v_mul_f64 v[219:220], v[217:218], v[221:222]
	v_fma_f64 v[219:220], v[215:216], v[213:214], -v[219:220]
	v_mul_f64 v[215:216], v[215:216], v[221:222]
	v_add_f64 v[9:10], v[9:10], -v[219:220]
	v_fma_f64 v[215:216], v[217:218], v[213:214], v[215:216]
	v_add_f64 v[11:12], v[11:12], -v[215:216]
	ds_read2_b64 v[215:218], v253 offset0:114 offset1:115
	s_waitcnt lgkmcnt(0)
	v_mul_f64 v[219:220], v[217:218], v[221:222]
	v_fma_f64 v[219:220], v[215:216], v[213:214], -v[219:220]
	v_mul_f64 v[215:216], v[215:216], v[221:222]
	v_add_f64 v[5:6], v[5:6], -v[219:220]
	v_fma_f64 v[215:216], v[217:218], v[213:214], v[215:216]
	v_add_f64 v[7:8], v[7:8], -v[215:216]
	ds_read2_b64 v[215:218], v253 offset0:116 offset1:117
	s_waitcnt lgkmcnt(0)
	v_mul_f64 v[219:220], v[217:218], v[221:222]
	v_fma_f64 v[219:220], v[215:216], v[213:214], -v[219:220]
	v_mul_f64 v[215:216], v[215:216], v[221:222]
	v_add_f64 v[1:2], v[1:2], -v[219:220]
	v_fma_f64 v[215:216], v[217:218], v[213:214], v[215:216]
	v_mov_b32_e32 v220, v214
	v_mov_b32_e32 v219, v213
	buffer_store_dword v219, off, s[16:19], 0 offset:80 ; 4-byte Folded Spill
	buffer_store_dword v220, off, s[16:19], 0 offset:84 ; 4-byte Folded Spill
	;; [unrolled: 1-line block ×4, first 2 shown]
	v_add_f64 v[3:4], v[3:4], -v[215:216]
.LBB117_19:
	s_or_b32 exec_lo, exec_lo, s1
	s_mov_b32 s2, exec_lo
	s_waitcnt_vscnt null, 0x0
	s_barrier
	buffer_gl0_inv
	v_cmpx_eq_u32_e32 2, v0
	s_cbranch_execz .LBB117_26
; %bb.20:
	s_clause 0x3
	buffer_load_dword v193, off, s[16:19], 0 offset:64
	buffer_load_dword v194, off, s[16:19], 0 offset:68
	;; [unrolled: 1-line block ×4, first 2 shown]
	s_waitcnt vmcnt(0)
	ds_write2_b64 v255, v[193:194], v[195:196] offset1:1
	s_clause 0x3
	buffer_load_dword v193, off, s[16:19], 0 offset:48
	buffer_load_dword v194, off, s[16:19], 0 offset:52
	buffer_load_dword v195, off, s[16:19], 0 offset:56
	buffer_load_dword v196, off, s[16:19], 0 offset:60
	s_waitcnt vmcnt(0)
	ds_write2_b64 v253, v[193:194], v[195:196] offset0:6 offset1:7
	s_clause 0x3
	buffer_load_dword v193, off, s[16:19], 0 offset:32
	buffer_load_dword v194, off, s[16:19], 0 offset:36
	buffer_load_dword v195, off, s[16:19], 0 offset:40
	buffer_load_dword v196, off, s[16:19], 0 offset:44
	s_waitcnt vmcnt(0)
	ds_write2_b64 v253, v[193:194], v[195:196] offset0:8 offset1:9
	;; [unrolled: 7-line block ×3, first 2 shown]
	s_clause 0x3
	buffer_load_dword v193, off, s[16:19], 0
	buffer_load_dword v194, off, s[16:19], 0 offset:4
	buffer_load_dword v195, off, s[16:19], 0 offset:8
	;; [unrolled: 1-line block ×3, first 2 shown]
	s_waitcnt vmcnt(0)
	ds_write2_b64 v253, v[193:194], v[195:196] offset0:12 offset1:13
	ds_write2_b64 v253, v[249:250], v[251:252] offset0:14 offset1:15
	ds_write2_b64 v253, v[245:246], v[247:248] offset0:16 offset1:17
	ds_write2_b64 v253, v[241:242], v[243:244] offset0:18 offset1:19
	ds_write2_b64 v253, v[209:210], v[211:212] offset0:20 offset1:21
	ds_write2_b64 v253, v[189:190], v[191:192] offset0:22 offset1:23
	ds_write2_b64 v253, v[185:186], v[187:188] offset0:24 offset1:25
	ds_write2_b64 v253, v[181:182], v[183:184] offset0:26 offset1:27
	ds_write2_b64 v253, v[177:178], v[179:180] offset0:28 offset1:29
	ds_write2_b64 v253, v[173:174], v[175:176] offset0:30 offset1:31
	ds_write2_b64 v253, v[169:170], v[171:172] offset0:32 offset1:33
	ds_write2_b64 v253, v[165:166], v[167:168] offset0:34 offset1:35
	ds_write2_b64 v253, v[161:162], v[163:164] offset0:36 offset1:37
	ds_write2_b64 v253, v[157:158], v[159:160] offset0:38 offset1:39
	ds_write2_b64 v253, v[153:154], v[155:156] offset0:40 offset1:41
	ds_write2_b64 v253, v[149:150], v[151:152] offset0:42 offset1:43
	ds_write2_b64 v253, v[145:146], v[147:148] offset0:44 offset1:45
	ds_write2_b64 v253, v[141:142], v[143:144] offset0:46 offset1:47
	ds_write2_b64 v253, v[137:138], v[139:140] offset0:48 offset1:49
	ds_write2_b64 v253, v[133:134], v[135:136] offset0:50 offset1:51
	ds_write2_b64 v253, v[129:130], v[131:132] offset0:52 offset1:53
	ds_write2_b64 v253, v[125:126], v[127:128] offset0:54 offset1:55
	ds_write2_b64 v253, v[121:122], v[123:124] offset0:56 offset1:57
	ds_write2_b64 v253, v[117:118], v[119:120] offset0:58 offset1:59
	ds_write2_b64 v253, v[113:114], v[115:116] offset0:60 offset1:61
	ds_write2_b64 v253, v[109:110], v[111:112] offset0:62 offset1:63
	ds_write2_b64 v253, v[105:106], v[107:108] offset0:64 offset1:65
	ds_write2_b64 v253, v[101:102], v[103:104] offset0:66 offset1:67
	ds_write2_b64 v253, v[97:98], v[99:100] offset0:68 offset1:69
	ds_write2_b64 v253, v[93:94], v[95:96] offset0:70 offset1:71
	ds_write2_b64 v253, v[89:90], v[91:92] offset0:72 offset1:73
	ds_write2_b64 v253, v[85:86], v[87:88] offset0:74 offset1:75
	ds_write2_b64 v253, v[81:82], v[83:84] offset0:76 offset1:77
	ds_write2_b64 v253, v[77:78], v[79:80] offset0:78 offset1:79
	ds_write2_b64 v253, v[73:74], v[75:76] offset0:80 offset1:81
	ds_write2_b64 v253, v[69:70], v[71:72] offset0:82 offset1:83
	ds_write2_b64 v253, v[65:66], v[67:68] offset0:84 offset1:85
	ds_write2_b64 v253, v[61:62], v[63:64] offset0:86 offset1:87
	ds_write2_b64 v253, v[57:58], v[59:60] offset0:88 offset1:89
	ds_write2_b64 v253, v[53:54], v[55:56] offset0:90 offset1:91
	ds_write2_b64 v253, v[49:50], v[51:52] offset0:92 offset1:93
	ds_write2_b64 v253, v[45:46], v[47:48] offset0:94 offset1:95
	ds_write2_b64 v253, v[41:42], v[43:44] offset0:96 offset1:97
	ds_write2_b64 v253, v[37:38], v[39:40] offset0:98 offset1:99
	ds_write2_b64 v253, v[33:34], v[35:36] offset0:100 offset1:101
	ds_write2_b64 v253, v[29:30], v[31:32] offset0:102 offset1:103
	ds_write2_b64 v253, v[25:26], v[27:28] offset0:104 offset1:105
	ds_write2_b64 v253, v[21:22], v[23:24] offset0:106 offset1:107
	ds_write2_b64 v253, v[17:18], v[19:20] offset0:108 offset1:109
	ds_write2_b64 v253, v[13:14], v[15:16] offset0:110 offset1:111
	ds_write2_b64 v253, v[9:10], v[11:12] offset0:112 offset1:113
	ds_write2_b64 v253, v[5:6], v[7:8] offset0:114 offset1:115
	ds_write2_b64 v253, v[1:2], v[3:4] offset0:116 offset1:117
	ds_read2_b64 v[213:216], v255 offset1:1
	s_waitcnt lgkmcnt(0)
	v_cmp_neq_f64_e32 vcc_lo, 0, v[213:214]
	v_cmp_neq_f64_e64 s1, 0, v[215:216]
	s_or_b32 s1, vcc_lo, s1
	s_and_b32 exec_lo, exec_lo, s1
	s_cbranch_execz .LBB117_26
; %bb.21:
	v_cmp_ngt_f64_e64 s1, |v[213:214]|, |v[215:216]|
                                        ; implicit-def: $vgpr217_vgpr218
	s_and_saveexec_b32 s3, s1
	s_xor_b32 s1, exec_lo, s3
                                        ; implicit-def: $vgpr219_vgpr220
	s_cbranch_execz .LBB117_23
; %bb.22:
	v_div_scale_f64 v[217:218], null, v[215:216], v[215:216], v[213:214]
	v_div_scale_f64 v[223:224], vcc_lo, v[213:214], v[215:216], v[213:214]
	v_rcp_f64_e32 v[219:220], v[217:218]
	v_fma_f64 v[221:222], -v[217:218], v[219:220], 1.0
	v_fma_f64 v[219:220], v[219:220], v[221:222], v[219:220]
	v_fma_f64 v[221:222], -v[217:218], v[219:220], 1.0
	v_fma_f64 v[219:220], v[219:220], v[221:222], v[219:220]
	v_mul_f64 v[221:222], v[223:224], v[219:220]
	v_fma_f64 v[217:218], -v[217:218], v[221:222], v[223:224]
	v_div_fmas_f64 v[217:218], v[217:218], v[219:220], v[221:222]
	v_div_fixup_f64 v[217:218], v[217:218], v[215:216], v[213:214]
	v_fma_f64 v[213:214], v[213:214], v[217:218], v[215:216]
	v_div_scale_f64 v[215:216], null, v[213:214], v[213:214], 1.0
	v_rcp_f64_e32 v[219:220], v[215:216]
	v_fma_f64 v[221:222], -v[215:216], v[219:220], 1.0
	v_fma_f64 v[219:220], v[219:220], v[221:222], v[219:220]
	v_fma_f64 v[221:222], -v[215:216], v[219:220], 1.0
	v_fma_f64 v[219:220], v[219:220], v[221:222], v[219:220]
	v_div_scale_f64 v[221:222], vcc_lo, 1.0, v[213:214], 1.0
	v_mul_f64 v[223:224], v[221:222], v[219:220]
	v_fma_f64 v[215:216], -v[215:216], v[223:224], v[221:222]
	v_div_fmas_f64 v[215:216], v[215:216], v[219:220], v[223:224]
	v_div_fixup_f64 v[219:220], v[215:216], v[213:214], 1.0
                                        ; implicit-def: $vgpr213_vgpr214
	v_mul_f64 v[217:218], v[217:218], v[219:220]
	v_xor_b32_e32 v220, 0x80000000, v220
.LBB117_23:
	s_andn2_saveexec_b32 s1, s1
	s_cbranch_execz .LBB117_25
; %bb.24:
	v_div_scale_f64 v[217:218], null, v[213:214], v[213:214], v[215:216]
	v_div_scale_f64 v[223:224], vcc_lo, v[215:216], v[213:214], v[215:216]
	v_rcp_f64_e32 v[219:220], v[217:218]
	v_fma_f64 v[221:222], -v[217:218], v[219:220], 1.0
	v_fma_f64 v[219:220], v[219:220], v[221:222], v[219:220]
	v_fma_f64 v[221:222], -v[217:218], v[219:220], 1.0
	v_fma_f64 v[219:220], v[219:220], v[221:222], v[219:220]
	v_mul_f64 v[221:222], v[223:224], v[219:220]
	v_fma_f64 v[217:218], -v[217:218], v[221:222], v[223:224]
	v_div_fmas_f64 v[217:218], v[217:218], v[219:220], v[221:222]
	v_div_fixup_f64 v[219:220], v[217:218], v[213:214], v[215:216]
	v_fma_f64 v[213:214], v[215:216], v[219:220], v[213:214]
	v_div_scale_f64 v[215:216], null, v[213:214], v[213:214], 1.0
	v_rcp_f64_e32 v[217:218], v[215:216]
	v_fma_f64 v[221:222], -v[215:216], v[217:218], 1.0
	v_fma_f64 v[217:218], v[217:218], v[221:222], v[217:218]
	v_fma_f64 v[221:222], -v[215:216], v[217:218], 1.0
	v_fma_f64 v[217:218], v[217:218], v[221:222], v[217:218]
	v_div_scale_f64 v[221:222], vcc_lo, 1.0, v[213:214], 1.0
	v_mul_f64 v[223:224], v[221:222], v[217:218]
	v_fma_f64 v[215:216], -v[215:216], v[223:224], v[221:222]
	v_div_fmas_f64 v[215:216], v[215:216], v[217:218], v[223:224]
	v_div_fixup_f64 v[217:218], v[215:216], v[213:214], 1.0
	v_mul_f64 v[219:220], v[219:220], -v[217:218]
.LBB117_25:
	s_or_b32 exec_lo, exec_lo, s1
	ds_write2_b64 v255, v[217:218], v[219:220] offset1:1
.LBB117_26:
	s_or_b32 exec_lo, exec_lo, s2
	s_waitcnt lgkmcnt(0)
	s_barrier
	buffer_gl0_inv
	ds_read2_b64 v[193:196], v255 offset1:1
	s_mov_b32 s1, exec_lo
	s_waitcnt lgkmcnt(0)
	buffer_store_dword v193, off, s[16:19], 0 offset:584 ; 4-byte Folded Spill
	buffer_store_dword v194, off, s[16:19], 0 offset:588 ; 4-byte Folded Spill
	;; [unrolled: 1-line block ×4, first 2 shown]
	v_cmpx_lt_u32_e32 2, v0
	s_cbranch_execz .LBB117_28
; %bb.27:
	s_clause 0x7
	buffer_load_dword v219, off, s[16:19], 0 offset:64
	buffer_load_dword v220, off, s[16:19], 0 offset:68
	;; [unrolled: 1-line block ×8, first 2 shown]
	s_waitcnt vmcnt(2)
	v_mul_f64 v[215:216], v[193:194], v[221:222]
	s_waitcnt vmcnt(0)
	v_mul_f64 v[213:214], v[195:196], v[221:222]
	v_fma_f64 v[221:222], v[195:196], v[219:220], v[215:216]
	ds_read2_b64 v[215:218], v253 offset0:6 offset1:7
	v_fma_f64 v[213:214], v[193:194], v[219:220], -v[213:214]
	s_clause 0x3
	buffer_load_dword v193, off, s[16:19], 0 offset:48
	buffer_load_dword v194, off, s[16:19], 0 offset:52
	buffer_load_dword v195, off, s[16:19], 0 offset:56
	buffer_load_dword v196, off, s[16:19], 0 offset:60
	s_waitcnt lgkmcnt(0)
	v_mul_f64 v[219:220], v[217:218], v[221:222]
	v_fma_f64 v[219:220], v[215:216], v[213:214], -v[219:220]
	v_mul_f64 v[215:216], v[215:216], v[221:222]
	v_fma_f64 v[215:216], v[217:218], v[213:214], v[215:216]
	s_waitcnt vmcnt(2)
	v_add_f64 v[193:194], v[193:194], -v[219:220]
	s_waitcnt vmcnt(0)
	v_add_f64 v[195:196], v[195:196], -v[215:216]
	buffer_store_dword v193, off, s[16:19], 0 offset:48 ; 4-byte Folded Spill
	buffer_store_dword v194, off, s[16:19], 0 offset:52 ; 4-byte Folded Spill
	buffer_store_dword v195, off, s[16:19], 0 offset:56 ; 4-byte Folded Spill
	buffer_store_dword v196, off, s[16:19], 0 offset:60 ; 4-byte Folded Spill
	ds_read2_b64 v[215:218], v253 offset0:8 offset1:9
	s_clause 0x3
	buffer_load_dword v193, off, s[16:19], 0 offset:32
	buffer_load_dword v194, off, s[16:19], 0 offset:36
	buffer_load_dword v195, off, s[16:19], 0 offset:40
	buffer_load_dword v196, off, s[16:19], 0 offset:44
	s_waitcnt lgkmcnt(0)
	v_mul_f64 v[219:220], v[217:218], v[221:222]
	v_fma_f64 v[219:220], v[215:216], v[213:214], -v[219:220]
	v_mul_f64 v[215:216], v[215:216], v[221:222]
	v_fma_f64 v[215:216], v[217:218], v[213:214], v[215:216]
	s_waitcnt vmcnt(2)
	v_add_f64 v[193:194], v[193:194], -v[219:220]
	s_waitcnt vmcnt(0)
	v_add_f64 v[195:196], v[195:196], -v[215:216]
	buffer_store_dword v193, off, s[16:19], 0 offset:32 ; 4-byte Folded Spill
	buffer_store_dword v194, off, s[16:19], 0 offset:36 ; 4-byte Folded Spill
	buffer_store_dword v195, off, s[16:19], 0 offset:40 ; 4-byte Folded Spill
	buffer_store_dword v196, off, s[16:19], 0 offset:44 ; 4-byte Folded Spill
	ds_read2_b64 v[215:218], v253 offset0:10 offset1:11
	;; [unrolled: 19-line block ×3, first 2 shown]
	s_clause 0x3
	buffer_load_dword v193, off, s[16:19], 0
	buffer_load_dword v194, off, s[16:19], 0 offset:4
	buffer_load_dword v195, off, s[16:19], 0 offset:8
	;; [unrolled: 1-line block ×3, first 2 shown]
	s_waitcnt lgkmcnt(0)
	v_mul_f64 v[219:220], v[217:218], v[221:222]
	v_fma_f64 v[219:220], v[215:216], v[213:214], -v[219:220]
	v_mul_f64 v[215:216], v[215:216], v[221:222]
	v_fma_f64 v[215:216], v[217:218], v[213:214], v[215:216]
	s_waitcnt vmcnt(2)
	v_add_f64 v[193:194], v[193:194], -v[219:220]
	s_waitcnt vmcnt(0)
	v_add_f64 v[195:196], v[195:196], -v[215:216]
	buffer_store_dword v193, off, s[16:19], 0 ; 4-byte Folded Spill
	buffer_store_dword v194, off, s[16:19], 0 offset:4 ; 4-byte Folded Spill
	buffer_store_dword v195, off, s[16:19], 0 offset:8 ; 4-byte Folded Spill
	buffer_store_dword v196, off, s[16:19], 0 offset:12 ; 4-byte Folded Spill
	ds_read2_b64 v[215:218], v253 offset0:14 offset1:15
	s_waitcnt lgkmcnt(0)
	v_mul_f64 v[219:220], v[217:218], v[221:222]
	v_fma_f64 v[219:220], v[215:216], v[213:214], -v[219:220]
	v_mul_f64 v[215:216], v[215:216], v[221:222]
	v_add_f64 v[249:250], v[249:250], -v[219:220]
	v_fma_f64 v[215:216], v[217:218], v[213:214], v[215:216]
	v_add_f64 v[251:252], v[251:252], -v[215:216]
	ds_read2_b64 v[215:218], v253 offset0:16 offset1:17
	s_waitcnt lgkmcnt(0)
	v_mul_f64 v[219:220], v[217:218], v[221:222]
	v_fma_f64 v[219:220], v[215:216], v[213:214], -v[219:220]
	v_mul_f64 v[215:216], v[215:216], v[221:222]
	v_add_f64 v[245:246], v[245:246], -v[219:220]
	v_fma_f64 v[215:216], v[217:218], v[213:214], v[215:216]
	v_add_f64 v[247:248], v[247:248], -v[215:216]
	;; [unrolled: 8-line block ×51, first 2 shown]
	ds_read2_b64 v[215:218], v253 offset0:116 offset1:117
	s_waitcnt lgkmcnt(0)
	v_mul_f64 v[219:220], v[217:218], v[221:222]
	v_fma_f64 v[219:220], v[215:216], v[213:214], -v[219:220]
	v_mul_f64 v[215:216], v[215:216], v[221:222]
	v_add_f64 v[1:2], v[1:2], -v[219:220]
	v_fma_f64 v[215:216], v[217:218], v[213:214], v[215:216]
	v_mov_b32_e32 v220, v214
	v_mov_b32_e32 v219, v213
	buffer_store_dword v219, off, s[16:19], 0 offset:64 ; 4-byte Folded Spill
	buffer_store_dword v220, off, s[16:19], 0 offset:68 ; 4-byte Folded Spill
	;; [unrolled: 1-line block ×4, first 2 shown]
	v_add_f64 v[3:4], v[3:4], -v[215:216]
.LBB117_28:
	s_or_b32 exec_lo, exec_lo, s1
	s_mov_b32 s2, exec_lo
	s_waitcnt_vscnt null, 0x0
	s_barrier
	buffer_gl0_inv
	v_cmpx_eq_u32_e32 3, v0
	s_cbranch_execz .LBB117_35
; %bb.29:
	s_clause 0x3
	buffer_load_dword v193, off, s[16:19], 0 offset:48
	buffer_load_dword v194, off, s[16:19], 0 offset:52
	;; [unrolled: 1-line block ×4, first 2 shown]
	s_waitcnt vmcnt(0)
	ds_write2_b64 v255, v[193:194], v[195:196] offset1:1
	s_clause 0x3
	buffer_load_dword v193, off, s[16:19], 0 offset:32
	buffer_load_dword v194, off, s[16:19], 0 offset:36
	;; [unrolled: 1-line block ×4, first 2 shown]
	s_waitcnt vmcnt(0)
	ds_write2_b64 v253, v[193:194], v[195:196] offset0:8 offset1:9
	s_clause 0x3
	buffer_load_dword v193, off, s[16:19], 0 offset:16
	buffer_load_dword v194, off, s[16:19], 0 offset:20
	;; [unrolled: 1-line block ×4, first 2 shown]
	s_waitcnt vmcnt(0)
	ds_write2_b64 v253, v[193:194], v[195:196] offset0:10 offset1:11
	s_clause 0x3
	buffer_load_dword v193, off, s[16:19], 0
	buffer_load_dword v194, off, s[16:19], 0 offset:4
	buffer_load_dword v195, off, s[16:19], 0 offset:8
	;; [unrolled: 1-line block ×3, first 2 shown]
	s_waitcnt vmcnt(0)
	ds_write2_b64 v253, v[193:194], v[195:196] offset0:12 offset1:13
	ds_write2_b64 v253, v[249:250], v[251:252] offset0:14 offset1:15
	;; [unrolled: 1-line block ×53, first 2 shown]
	ds_read2_b64 v[213:216], v255 offset1:1
	s_waitcnt lgkmcnt(0)
	v_cmp_neq_f64_e32 vcc_lo, 0, v[213:214]
	v_cmp_neq_f64_e64 s1, 0, v[215:216]
	s_or_b32 s1, vcc_lo, s1
	s_and_b32 exec_lo, exec_lo, s1
	s_cbranch_execz .LBB117_35
; %bb.30:
	v_cmp_ngt_f64_e64 s1, |v[213:214]|, |v[215:216]|
                                        ; implicit-def: $vgpr217_vgpr218
	s_and_saveexec_b32 s3, s1
	s_xor_b32 s1, exec_lo, s3
                                        ; implicit-def: $vgpr219_vgpr220
	s_cbranch_execz .LBB117_32
; %bb.31:
	v_div_scale_f64 v[217:218], null, v[215:216], v[215:216], v[213:214]
	v_div_scale_f64 v[223:224], vcc_lo, v[213:214], v[215:216], v[213:214]
	v_rcp_f64_e32 v[219:220], v[217:218]
	v_fma_f64 v[221:222], -v[217:218], v[219:220], 1.0
	v_fma_f64 v[219:220], v[219:220], v[221:222], v[219:220]
	v_fma_f64 v[221:222], -v[217:218], v[219:220], 1.0
	v_fma_f64 v[219:220], v[219:220], v[221:222], v[219:220]
	v_mul_f64 v[221:222], v[223:224], v[219:220]
	v_fma_f64 v[217:218], -v[217:218], v[221:222], v[223:224]
	v_div_fmas_f64 v[217:218], v[217:218], v[219:220], v[221:222]
	v_div_fixup_f64 v[217:218], v[217:218], v[215:216], v[213:214]
	v_fma_f64 v[213:214], v[213:214], v[217:218], v[215:216]
	v_div_scale_f64 v[215:216], null, v[213:214], v[213:214], 1.0
	v_rcp_f64_e32 v[219:220], v[215:216]
	v_fma_f64 v[221:222], -v[215:216], v[219:220], 1.0
	v_fma_f64 v[219:220], v[219:220], v[221:222], v[219:220]
	v_fma_f64 v[221:222], -v[215:216], v[219:220], 1.0
	v_fma_f64 v[219:220], v[219:220], v[221:222], v[219:220]
	v_div_scale_f64 v[221:222], vcc_lo, 1.0, v[213:214], 1.0
	v_mul_f64 v[223:224], v[221:222], v[219:220]
	v_fma_f64 v[215:216], -v[215:216], v[223:224], v[221:222]
	v_div_fmas_f64 v[215:216], v[215:216], v[219:220], v[223:224]
	v_div_fixup_f64 v[219:220], v[215:216], v[213:214], 1.0
                                        ; implicit-def: $vgpr213_vgpr214
	v_mul_f64 v[217:218], v[217:218], v[219:220]
	v_xor_b32_e32 v220, 0x80000000, v220
.LBB117_32:
	s_andn2_saveexec_b32 s1, s1
	s_cbranch_execz .LBB117_34
; %bb.33:
	v_div_scale_f64 v[217:218], null, v[213:214], v[213:214], v[215:216]
	v_div_scale_f64 v[223:224], vcc_lo, v[215:216], v[213:214], v[215:216]
	v_rcp_f64_e32 v[219:220], v[217:218]
	v_fma_f64 v[221:222], -v[217:218], v[219:220], 1.0
	v_fma_f64 v[219:220], v[219:220], v[221:222], v[219:220]
	v_fma_f64 v[221:222], -v[217:218], v[219:220], 1.0
	v_fma_f64 v[219:220], v[219:220], v[221:222], v[219:220]
	v_mul_f64 v[221:222], v[223:224], v[219:220]
	v_fma_f64 v[217:218], -v[217:218], v[221:222], v[223:224]
	v_div_fmas_f64 v[217:218], v[217:218], v[219:220], v[221:222]
	v_div_fixup_f64 v[219:220], v[217:218], v[213:214], v[215:216]
	v_fma_f64 v[213:214], v[215:216], v[219:220], v[213:214]
	v_div_scale_f64 v[215:216], null, v[213:214], v[213:214], 1.0
	v_rcp_f64_e32 v[217:218], v[215:216]
	v_fma_f64 v[221:222], -v[215:216], v[217:218], 1.0
	v_fma_f64 v[217:218], v[217:218], v[221:222], v[217:218]
	v_fma_f64 v[221:222], -v[215:216], v[217:218], 1.0
	v_fma_f64 v[217:218], v[217:218], v[221:222], v[217:218]
	v_div_scale_f64 v[221:222], vcc_lo, 1.0, v[213:214], 1.0
	v_mul_f64 v[223:224], v[221:222], v[217:218]
	v_fma_f64 v[215:216], -v[215:216], v[223:224], v[221:222]
	v_div_fmas_f64 v[215:216], v[215:216], v[217:218], v[223:224]
	v_div_fixup_f64 v[217:218], v[215:216], v[213:214], 1.0
	v_mul_f64 v[219:220], v[219:220], -v[217:218]
.LBB117_34:
	s_or_b32 exec_lo, exec_lo, s1
	ds_write2_b64 v255, v[217:218], v[219:220] offset1:1
.LBB117_35:
	s_or_b32 exec_lo, exec_lo, s2
	s_waitcnt lgkmcnt(0)
	s_barrier
	buffer_gl0_inv
	ds_read2_b64 v[193:196], v255 offset1:1
	s_mov_b32 s1, exec_lo
	s_waitcnt lgkmcnt(0)
	buffer_store_dword v193, off, s[16:19], 0 offset:600 ; 4-byte Folded Spill
	buffer_store_dword v194, off, s[16:19], 0 offset:604 ; 4-byte Folded Spill
	;; [unrolled: 1-line block ×4, first 2 shown]
	v_cmpx_lt_u32_e32 3, v0
	s_cbranch_execz .LBB117_37
; %bb.36:
	s_clause 0x7
	buffer_load_dword v219, off, s[16:19], 0 offset:48
	buffer_load_dword v220, off, s[16:19], 0 offset:52
	;; [unrolled: 1-line block ×8, first 2 shown]
	s_waitcnt vmcnt(2)
	v_mul_f64 v[215:216], v[193:194], v[221:222]
	s_waitcnt vmcnt(0)
	v_mul_f64 v[213:214], v[195:196], v[221:222]
	v_fma_f64 v[221:222], v[195:196], v[219:220], v[215:216]
	ds_read2_b64 v[215:218], v253 offset0:8 offset1:9
	v_fma_f64 v[213:214], v[193:194], v[219:220], -v[213:214]
	s_clause 0x3
	buffer_load_dword v193, off, s[16:19], 0 offset:32
	buffer_load_dword v194, off, s[16:19], 0 offset:36
	buffer_load_dword v195, off, s[16:19], 0 offset:40
	buffer_load_dword v196, off, s[16:19], 0 offset:44
	s_waitcnt lgkmcnt(0)
	v_mul_f64 v[219:220], v[217:218], v[221:222]
	v_fma_f64 v[219:220], v[215:216], v[213:214], -v[219:220]
	v_mul_f64 v[215:216], v[215:216], v[221:222]
	v_fma_f64 v[215:216], v[217:218], v[213:214], v[215:216]
	s_waitcnt vmcnt(2)
	v_add_f64 v[193:194], v[193:194], -v[219:220]
	s_waitcnt vmcnt(0)
	v_add_f64 v[195:196], v[195:196], -v[215:216]
	buffer_store_dword v193, off, s[16:19], 0 offset:32 ; 4-byte Folded Spill
	buffer_store_dword v194, off, s[16:19], 0 offset:36 ; 4-byte Folded Spill
	;; [unrolled: 1-line block ×4, first 2 shown]
	ds_read2_b64 v[215:218], v253 offset0:10 offset1:11
	s_clause 0x3
	buffer_load_dword v193, off, s[16:19], 0 offset:16
	buffer_load_dword v194, off, s[16:19], 0 offset:20
	buffer_load_dword v195, off, s[16:19], 0 offset:24
	buffer_load_dword v196, off, s[16:19], 0 offset:28
	s_waitcnt lgkmcnt(0)
	v_mul_f64 v[219:220], v[217:218], v[221:222]
	v_fma_f64 v[219:220], v[215:216], v[213:214], -v[219:220]
	v_mul_f64 v[215:216], v[215:216], v[221:222]
	v_fma_f64 v[215:216], v[217:218], v[213:214], v[215:216]
	s_waitcnt vmcnt(2)
	v_add_f64 v[193:194], v[193:194], -v[219:220]
	s_waitcnt vmcnt(0)
	v_add_f64 v[195:196], v[195:196], -v[215:216]
	buffer_store_dword v193, off, s[16:19], 0 offset:16 ; 4-byte Folded Spill
	buffer_store_dword v194, off, s[16:19], 0 offset:20 ; 4-byte Folded Spill
	;; [unrolled: 1-line block ×4, first 2 shown]
	ds_read2_b64 v[215:218], v253 offset0:12 offset1:13
	s_clause 0x3
	buffer_load_dword v193, off, s[16:19], 0
	buffer_load_dword v194, off, s[16:19], 0 offset:4
	buffer_load_dword v195, off, s[16:19], 0 offset:8
	;; [unrolled: 1-line block ×3, first 2 shown]
	s_waitcnt lgkmcnt(0)
	v_mul_f64 v[219:220], v[217:218], v[221:222]
	v_fma_f64 v[219:220], v[215:216], v[213:214], -v[219:220]
	v_mul_f64 v[215:216], v[215:216], v[221:222]
	v_fma_f64 v[215:216], v[217:218], v[213:214], v[215:216]
	s_waitcnt vmcnt(2)
	v_add_f64 v[193:194], v[193:194], -v[219:220]
	s_waitcnt vmcnt(0)
	v_add_f64 v[195:196], v[195:196], -v[215:216]
	buffer_store_dword v193, off, s[16:19], 0 ; 4-byte Folded Spill
	buffer_store_dword v194, off, s[16:19], 0 offset:4 ; 4-byte Folded Spill
	buffer_store_dword v195, off, s[16:19], 0 offset:8 ; 4-byte Folded Spill
	;; [unrolled: 1-line block ×3, first 2 shown]
	ds_read2_b64 v[215:218], v253 offset0:14 offset1:15
	s_waitcnt lgkmcnt(0)
	v_mul_f64 v[219:220], v[217:218], v[221:222]
	v_fma_f64 v[219:220], v[215:216], v[213:214], -v[219:220]
	v_mul_f64 v[215:216], v[215:216], v[221:222]
	v_add_f64 v[249:250], v[249:250], -v[219:220]
	v_fma_f64 v[215:216], v[217:218], v[213:214], v[215:216]
	v_add_f64 v[251:252], v[251:252], -v[215:216]
	ds_read2_b64 v[215:218], v253 offset0:16 offset1:17
	s_waitcnt lgkmcnt(0)
	v_mul_f64 v[219:220], v[217:218], v[221:222]
	v_fma_f64 v[219:220], v[215:216], v[213:214], -v[219:220]
	v_mul_f64 v[215:216], v[215:216], v[221:222]
	v_add_f64 v[245:246], v[245:246], -v[219:220]
	v_fma_f64 v[215:216], v[217:218], v[213:214], v[215:216]
	v_add_f64 v[247:248], v[247:248], -v[215:216]
	;; [unrolled: 8-line block ×51, first 2 shown]
	ds_read2_b64 v[215:218], v253 offset0:116 offset1:117
	s_waitcnt lgkmcnt(0)
	v_mul_f64 v[219:220], v[217:218], v[221:222]
	v_fma_f64 v[219:220], v[215:216], v[213:214], -v[219:220]
	v_mul_f64 v[215:216], v[215:216], v[221:222]
	v_add_f64 v[1:2], v[1:2], -v[219:220]
	v_fma_f64 v[215:216], v[217:218], v[213:214], v[215:216]
	v_mov_b32_e32 v220, v214
	v_mov_b32_e32 v219, v213
	buffer_store_dword v219, off, s[16:19], 0 offset:48 ; 4-byte Folded Spill
	buffer_store_dword v220, off, s[16:19], 0 offset:52 ; 4-byte Folded Spill
	buffer_store_dword v221, off, s[16:19], 0 offset:56 ; 4-byte Folded Spill
	buffer_store_dword v222, off, s[16:19], 0 offset:60 ; 4-byte Folded Spill
	v_add_f64 v[3:4], v[3:4], -v[215:216]
.LBB117_37:
	s_or_b32 exec_lo, exec_lo, s1
	s_mov_b32 s2, exec_lo
	s_waitcnt_vscnt null, 0x0
	s_barrier
	buffer_gl0_inv
	v_cmpx_eq_u32_e32 4, v0
	s_cbranch_execz .LBB117_44
; %bb.38:
	s_clause 0x3
	buffer_load_dword v193, off, s[16:19], 0 offset:32
	buffer_load_dword v194, off, s[16:19], 0 offset:36
	;; [unrolled: 1-line block ×4, first 2 shown]
	s_waitcnt vmcnt(0)
	ds_write2_b64 v255, v[193:194], v[195:196] offset1:1
	s_clause 0x3
	buffer_load_dword v193, off, s[16:19], 0 offset:16
	buffer_load_dword v194, off, s[16:19], 0 offset:20
	;; [unrolled: 1-line block ×4, first 2 shown]
	s_waitcnt vmcnt(0)
	ds_write2_b64 v253, v[193:194], v[195:196] offset0:10 offset1:11
	s_clause 0x3
	buffer_load_dword v193, off, s[16:19], 0
	buffer_load_dword v194, off, s[16:19], 0 offset:4
	buffer_load_dword v195, off, s[16:19], 0 offset:8
	;; [unrolled: 1-line block ×3, first 2 shown]
	s_waitcnt vmcnt(0)
	ds_write2_b64 v253, v[193:194], v[195:196] offset0:12 offset1:13
	ds_write2_b64 v253, v[249:250], v[251:252] offset0:14 offset1:15
	;; [unrolled: 1-line block ×53, first 2 shown]
	ds_read2_b64 v[213:216], v255 offset1:1
	s_waitcnt lgkmcnt(0)
	v_cmp_neq_f64_e32 vcc_lo, 0, v[213:214]
	v_cmp_neq_f64_e64 s1, 0, v[215:216]
	s_or_b32 s1, vcc_lo, s1
	s_and_b32 exec_lo, exec_lo, s1
	s_cbranch_execz .LBB117_44
; %bb.39:
	v_cmp_ngt_f64_e64 s1, |v[213:214]|, |v[215:216]|
                                        ; implicit-def: $vgpr217_vgpr218
	s_and_saveexec_b32 s3, s1
	s_xor_b32 s1, exec_lo, s3
                                        ; implicit-def: $vgpr219_vgpr220
	s_cbranch_execz .LBB117_41
; %bb.40:
	v_div_scale_f64 v[217:218], null, v[215:216], v[215:216], v[213:214]
	v_div_scale_f64 v[223:224], vcc_lo, v[213:214], v[215:216], v[213:214]
	v_rcp_f64_e32 v[219:220], v[217:218]
	v_fma_f64 v[221:222], -v[217:218], v[219:220], 1.0
	v_fma_f64 v[219:220], v[219:220], v[221:222], v[219:220]
	v_fma_f64 v[221:222], -v[217:218], v[219:220], 1.0
	v_fma_f64 v[219:220], v[219:220], v[221:222], v[219:220]
	v_mul_f64 v[221:222], v[223:224], v[219:220]
	v_fma_f64 v[217:218], -v[217:218], v[221:222], v[223:224]
	v_div_fmas_f64 v[217:218], v[217:218], v[219:220], v[221:222]
	v_div_fixup_f64 v[217:218], v[217:218], v[215:216], v[213:214]
	v_fma_f64 v[213:214], v[213:214], v[217:218], v[215:216]
	v_div_scale_f64 v[215:216], null, v[213:214], v[213:214], 1.0
	v_rcp_f64_e32 v[219:220], v[215:216]
	v_fma_f64 v[221:222], -v[215:216], v[219:220], 1.0
	v_fma_f64 v[219:220], v[219:220], v[221:222], v[219:220]
	v_fma_f64 v[221:222], -v[215:216], v[219:220], 1.0
	v_fma_f64 v[219:220], v[219:220], v[221:222], v[219:220]
	v_div_scale_f64 v[221:222], vcc_lo, 1.0, v[213:214], 1.0
	v_mul_f64 v[223:224], v[221:222], v[219:220]
	v_fma_f64 v[215:216], -v[215:216], v[223:224], v[221:222]
	v_div_fmas_f64 v[215:216], v[215:216], v[219:220], v[223:224]
	v_div_fixup_f64 v[219:220], v[215:216], v[213:214], 1.0
                                        ; implicit-def: $vgpr213_vgpr214
	v_mul_f64 v[217:218], v[217:218], v[219:220]
	v_xor_b32_e32 v220, 0x80000000, v220
.LBB117_41:
	s_andn2_saveexec_b32 s1, s1
	s_cbranch_execz .LBB117_43
; %bb.42:
	v_div_scale_f64 v[217:218], null, v[213:214], v[213:214], v[215:216]
	v_div_scale_f64 v[223:224], vcc_lo, v[215:216], v[213:214], v[215:216]
	v_rcp_f64_e32 v[219:220], v[217:218]
	v_fma_f64 v[221:222], -v[217:218], v[219:220], 1.0
	v_fma_f64 v[219:220], v[219:220], v[221:222], v[219:220]
	v_fma_f64 v[221:222], -v[217:218], v[219:220], 1.0
	v_fma_f64 v[219:220], v[219:220], v[221:222], v[219:220]
	v_mul_f64 v[221:222], v[223:224], v[219:220]
	v_fma_f64 v[217:218], -v[217:218], v[221:222], v[223:224]
	v_div_fmas_f64 v[217:218], v[217:218], v[219:220], v[221:222]
	v_div_fixup_f64 v[219:220], v[217:218], v[213:214], v[215:216]
	v_fma_f64 v[213:214], v[215:216], v[219:220], v[213:214]
	v_div_scale_f64 v[215:216], null, v[213:214], v[213:214], 1.0
	v_rcp_f64_e32 v[217:218], v[215:216]
	v_fma_f64 v[221:222], -v[215:216], v[217:218], 1.0
	v_fma_f64 v[217:218], v[217:218], v[221:222], v[217:218]
	v_fma_f64 v[221:222], -v[215:216], v[217:218], 1.0
	v_fma_f64 v[217:218], v[217:218], v[221:222], v[217:218]
	v_div_scale_f64 v[221:222], vcc_lo, 1.0, v[213:214], 1.0
	v_mul_f64 v[223:224], v[221:222], v[217:218]
	v_fma_f64 v[215:216], -v[215:216], v[223:224], v[221:222]
	v_div_fmas_f64 v[215:216], v[215:216], v[217:218], v[223:224]
	v_div_fixup_f64 v[217:218], v[215:216], v[213:214], 1.0
	v_mul_f64 v[219:220], v[219:220], -v[217:218]
.LBB117_43:
	s_or_b32 exec_lo, exec_lo, s1
	ds_write2_b64 v255, v[217:218], v[219:220] offset1:1
.LBB117_44:
	s_or_b32 exec_lo, exec_lo, s2
	s_waitcnt lgkmcnt(0)
	s_barrier
	buffer_gl0_inv
	ds_read2_b64 v[193:196], v255 offset1:1
	s_mov_b32 s1, exec_lo
	s_waitcnt lgkmcnt(0)
	buffer_store_dword v193, off, s[16:19], 0 offset:616 ; 4-byte Folded Spill
	buffer_store_dword v194, off, s[16:19], 0 offset:620 ; 4-byte Folded Spill
	;; [unrolled: 1-line block ×4, first 2 shown]
	v_cmpx_lt_u32_e32 4, v0
	s_cbranch_execz .LBB117_46
; %bb.45:
	s_clause 0x7
	buffer_load_dword v219, off, s[16:19], 0 offset:32
	buffer_load_dword v220, off, s[16:19], 0 offset:36
	;; [unrolled: 1-line block ×8, first 2 shown]
	s_waitcnt vmcnt(2)
	v_mul_f64 v[215:216], v[193:194], v[221:222]
	s_waitcnt vmcnt(0)
	v_mul_f64 v[213:214], v[195:196], v[221:222]
	v_fma_f64 v[221:222], v[195:196], v[219:220], v[215:216]
	ds_read2_b64 v[215:218], v253 offset0:10 offset1:11
	v_fma_f64 v[213:214], v[193:194], v[219:220], -v[213:214]
	s_clause 0x3
	buffer_load_dword v193, off, s[16:19], 0 offset:16
	buffer_load_dword v194, off, s[16:19], 0 offset:20
	;; [unrolled: 1-line block ×4, first 2 shown]
	s_waitcnt lgkmcnt(0)
	v_mul_f64 v[219:220], v[217:218], v[221:222]
	v_fma_f64 v[219:220], v[215:216], v[213:214], -v[219:220]
	v_mul_f64 v[215:216], v[215:216], v[221:222]
	v_fma_f64 v[215:216], v[217:218], v[213:214], v[215:216]
	s_waitcnt vmcnt(2)
	v_add_f64 v[193:194], v[193:194], -v[219:220]
	s_waitcnt vmcnt(0)
	v_add_f64 v[195:196], v[195:196], -v[215:216]
	buffer_store_dword v193, off, s[16:19], 0 offset:16 ; 4-byte Folded Spill
	buffer_store_dword v194, off, s[16:19], 0 offset:20 ; 4-byte Folded Spill
	;; [unrolled: 1-line block ×4, first 2 shown]
	ds_read2_b64 v[215:218], v253 offset0:12 offset1:13
	s_clause 0x3
	buffer_load_dword v193, off, s[16:19], 0
	buffer_load_dword v194, off, s[16:19], 0 offset:4
	buffer_load_dword v195, off, s[16:19], 0 offset:8
	;; [unrolled: 1-line block ×3, first 2 shown]
	s_waitcnt lgkmcnt(0)
	v_mul_f64 v[219:220], v[217:218], v[221:222]
	v_fma_f64 v[219:220], v[215:216], v[213:214], -v[219:220]
	v_mul_f64 v[215:216], v[215:216], v[221:222]
	v_fma_f64 v[215:216], v[217:218], v[213:214], v[215:216]
	s_waitcnt vmcnt(2)
	v_add_f64 v[193:194], v[193:194], -v[219:220]
	s_waitcnt vmcnt(0)
	v_add_f64 v[195:196], v[195:196], -v[215:216]
	buffer_store_dword v193, off, s[16:19], 0 ; 4-byte Folded Spill
	buffer_store_dword v194, off, s[16:19], 0 offset:4 ; 4-byte Folded Spill
	buffer_store_dword v195, off, s[16:19], 0 offset:8 ; 4-byte Folded Spill
	buffer_store_dword v196, off, s[16:19], 0 offset:12 ; 4-byte Folded Spill
	ds_read2_b64 v[215:218], v253 offset0:14 offset1:15
	s_waitcnt lgkmcnt(0)
	v_mul_f64 v[219:220], v[217:218], v[221:222]
	v_fma_f64 v[219:220], v[215:216], v[213:214], -v[219:220]
	v_mul_f64 v[215:216], v[215:216], v[221:222]
	v_add_f64 v[249:250], v[249:250], -v[219:220]
	v_fma_f64 v[215:216], v[217:218], v[213:214], v[215:216]
	v_add_f64 v[251:252], v[251:252], -v[215:216]
	ds_read2_b64 v[215:218], v253 offset0:16 offset1:17
	s_waitcnt lgkmcnt(0)
	v_mul_f64 v[219:220], v[217:218], v[221:222]
	v_fma_f64 v[219:220], v[215:216], v[213:214], -v[219:220]
	v_mul_f64 v[215:216], v[215:216], v[221:222]
	v_add_f64 v[245:246], v[245:246], -v[219:220]
	v_fma_f64 v[215:216], v[217:218], v[213:214], v[215:216]
	v_add_f64 v[247:248], v[247:248], -v[215:216]
	;; [unrolled: 8-line block ×51, first 2 shown]
	ds_read2_b64 v[215:218], v253 offset0:116 offset1:117
	s_waitcnt lgkmcnt(0)
	v_mul_f64 v[219:220], v[217:218], v[221:222]
	v_fma_f64 v[219:220], v[215:216], v[213:214], -v[219:220]
	v_mul_f64 v[215:216], v[215:216], v[221:222]
	v_add_f64 v[1:2], v[1:2], -v[219:220]
	v_fma_f64 v[215:216], v[217:218], v[213:214], v[215:216]
	v_mov_b32_e32 v220, v214
	v_mov_b32_e32 v219, v213
	buffer_store_dword v219, off, s[16:19], 0 offset:32 ; 4-byte Folded Spill
	buffer_store_dword v220, off, s[16:19], 0 offset:36 ; 4-byte Folded Spill
	;; [unrolled: 1-line block ×4, first 2 shown]
	v_add_f64 v[3:4], v[3:4], -v[215:216]
.LBB117_46:
	s_or_b32 exec_lo, exec_lo, s1
	s_mov_b32 s2, exec_lo
	s_waitcnt_vscnt null, 0x0
	s_barrier
	buffer_gl0_inv
	v_cmpx_eq_u32_e32 5, v0
	s_cbranch_execz .LBB117_53
; %bb.47:
	s_clause 0x3
	buffer_load_dword v193, off, s[16:19], 0 offset:16
	buffer_load_dword v194, off, s[16:19], 0 offset:20
	;; [unrolled: 1-line block ×4, first 2 shown]
	s_waitcnt vmcnt(0)
	ds_write2_b64 v255, v[193:194], v[195:196] offset1:1
	s_clause 0x3
	buffer_load_dword v193, off, s[16:19], 0
	buffer_load_dword v194, off, s[16:19], 0 offset:4
	buffer_load_dword v195, off, s[16:19], 0 offset:8
	;; [unrolled: 1-line block ×3, first 2 shown]
	s_waitcnt vmcnt(0)
	ds_write2_b64 v253, v[193:194], v[195:196] offset0:12 offset1:13
	ds_write2_b64 v253, v[249:250], v[251:252] offset0:14 offset1:15
	ds_write2_b64 v253, v[245:246], v[247:248] offset0:16 offset1:17
	ds_write2_b64 v253, v[241:242], v[243:244] offset0:18 offset1:19
	ds_write2_b64 v253, v[209:210], v[211:212] offset0:20 offset1:21
	ds_write2_b64 v253, v[189:190], v[191:192] offset0:22 offset1:23
	ds_write2_b64 v253, v[185:186], v[187:188] offset0:24 offset1:25
	ds_write2_b64 v253, v[181:182], v[183:184] offset0:26 offset1:27
	ds_write2_b64 v253, v[177:178], v[179:180] offset0:28 offset1:29
	ds_write2_b64 v253, v[173:174], v[175:176] offset0:30 offset1:31
	ds_write2_b64 v253, v[169:170], v[171:172] offset0:32 offset1:33
	ds_write2_b64 v253, v[165:166], v[167:168] offset0:34 offset1:35
	ds_write2_b64 v253, v[161:162], v[163:164] offset0:36 offset1:37
	ds_write2_b64 v253, v[157:158], v[159:160] offset0:38 offset1:39
	ds_write2_b64 v253, v[153:154], v[155:156] offset0:40 offset1:41
	ds_write2_b64 v253, v[149:150], v[151:152] offset0:42 offset1:43
	ds_write2_b64 v253, v[145:146], v[147:148] offset0:44 offset1:45
	ds_write2_b64 v253, v[141:142], v[143:144] offset0:46 offset1:47
	ds_write2_b64 v253, v[137:138], v[139:140] offset0:48 offset1:49
	ds_write2_b64 v253, v[133:134], v[135:136] offset0:50 offset1:51
	ds_write2_b64 v253, v[129:130], v[131:132] offset0:52 offset1:53
	ds_write2_b64 v253, v[125:126], v[127:128] offset0:54 offset1:55
	ds_write2_b64 v253, v[121:122], v[123:124] offset0:56 offset1:57
	ds_write2_b64 v253, v[117:118], v[119:120] offset0:58 offset1:59
	ds_write2_b64 v253, v[113:114], v[115:116] offset0:60 offset1:61
	ds_write2_b64 v253, v[109:110], v[111:112] offset0:62 offset1:63
	ds_write2_b64 v253, v[105:106], v[107:108] offset0:64 offset1:65
	ds_write2_b64 v253, v[101:102], v[103:104] offset0:66 offset1:67
	ds_write2_b64 v253, v[97:98], v[99:100] offset0:68 offset1:69
	ds_write2_b64 v253, v[93:94], v[95:96] offset0:70 offset1:71
	ds_write2_b64 v253, v[89:90], v[91:92] offset0:72 offset1:73
	ds_write2_b64 v253, v[85:86], v[87:88] offset0:74 offset1:75
	ds_write2_b64 v253, v[81:82], v[83:84] offset0:76 offset1:77
	ds_write2_b64 v253, v[77:78], v[79:80] offset0:78 offset1:79
	ds_write2_b64 v253, v[73:74], v[75:76] offset0:80 offset1:81
	ds_write2_b64 v253, v[69:70], v[71:72] offset0:82 offset1:83
	ds_write2_b64 v253, v[65:66], v[67:68] offset0:84 offset1:85
	ds_write2_b64 v253, v[61:62], v[63:64] offset0:86 offset1:87
	ds_write2_b64 v253, v[57:58], v[59:60] offset0:88 offset1:89
	ds_write2_b64 v253, v[53:54], v[55:56] offset0:90 offset1:91
	ds_write2_b64 v253, v[49:50], v[51:52] offset0:92 offset1:93
	ds_write2_b64 v253, v[45:46], v[47:48] offset0:94 offset1:95
	ds_write2_b64 v253, v[41:42], v[43:44] offset0:96 offset1:97
	ds_write2_b64 v253, v[37:38], v[39:40] offset0:98 offset1:99
	ds_write2_b64 v253, v[33:34], v[35:36] offset0:100 offset1:101
	ds_write2_b64 v253, v[29:30], v[31:32] offset0:102 offset1:103
	ds_write2_b64 v253, v[25:26], v[27:28] offset0:104 offset1:105
	ds_write2_b64 v253, v[21:22], v[23:24] offset0:106 offset1:107
	ds_write2_b64 v253, v[17:18], v[19:20] offset0:108 offset1:109
	ds_write2_b64 v253, v[13:14], v[15:16] offset0:110 offset1:111
	ds_write2_b64 v253, v[9:10], v[11:12] offset0:112 offset1:113
	ds_write2_b64 v253, v[5:6], v[7:8] offset0:114 offset1:115
	ds_write2_b64 v253, v[1:2], v[3:4] offset0:116 offset1:117
	ds_read2_b64 v[213:216], v255 offset1:1
	s_waitcnt lgkmcnt(0)
	v_cmp_neq_f64_e32 vcc_lo, 0, v[213:214]
	v_cmp_neq_f64_e64 s1, 0, v[215:216]
	s_or_b32 s1, vcc_lo, s1
	s_and_b32 exec_lo, exec_lo, s1
	s_cbranch_execz .LBB117_53
; %bb.48:
	v_cmp_ngt_f64_e64 s1, |v[213:214]|, |v[215:216]|
                                        ; implicit-def: $vgpr217_vgpr218
	s_and_saveexec_b32 s3, s1
	s_xor_b32 s1, exec_lo, s3
                                        ; implicit-def: $vgpr219_vgpr220
	s_cbranch_execz .LBB117_50
; %bb.49:
	v_div_scale_f64 v[217:218], null, v[215:216], v[215:216], v[213:214]
	v_div_scale_f64 v[223:224], vcc_lo, v[213:214], v[215:216], v[213:214]
	v_rcp_f64_e32 v[219:220], v[217:218]
	v_fma_f64 v[221:222], -v[217:218], v[219:220], 1.0
	v_fma_f64 v[219:220], v[219:220], v[221:222], v[219:220]
	v_fma_f64 v[221:222], -v[217:218], v[219:220], 1.0
	v_fma_f64 v[219:220], v[219:220], v[221:222], v[219:220]
	v_mul_f64 v[221:222], v[223:224], v[219:220]
	v_fma_f64 v[217:218], -v[217:218], v[221:222], v[223:224]
	v_div_fmas_f64 v[217:218], v[217:218], v[219:220], v[221:222]
	v_div_fixup_f64 v[217:218], v[217:218], v[215:216], v[213:214]
	v_fma_f64 v[213:214], v[213:214], v[217:218], v[215:216]
	v_div_scale_f64 v[215:216], null, v[213:214], v[213:214], 1.0
	v_rcp_f64_e32 v[219:220], v[215:216]
	v_fma_f64 v[221:222], -v[215:216], v[219:220], 1.0
	v_fma_f64 v[219:220], v[219:220], v[221:222], v[219:220]
	v_fma_f64 v[221:222], -v[215:216], v[219:220], 1.0
	v_fma_f64 v[219:220], v[219:220], v[221:222], v[219:220]
	v_div_scale_f64 v[221:222], vcc_lo, 1.0, v[213:214], 1.0
	v_mul_f64 v[223:224], v[221:222], v[219:220]
	v_fma_f64 v[215:216], -v[215:216], v[223:224], v[221:222]
	v_div_fmas_f64 v[215:216], v[215:216], v[219:220], v[223:224]
	v_div_fixup_f64 v[219:220], v[215:216], v[213:214], 1.0
                                        ; implicit-def: $vgpr213_vgpr214
	v_mul_f64 v[217:218], v[217:218], v[219:220]
	v_xor_b32_e32 v220, 0x80000000, v220
.LBB117_50:
	s_andn2_saveexec_b32 s1, s1
	s_cbranch_execz .LBB117_52
; %bb.51:
	v_div_scale_f64 v[217:218], null, v[213:214], v[213:214], v[215:216]
	v_div_scale_f64 v[223:224], vcc_lo, v[215:216], v[213:214], v[215:216]
	v_rcp_f64_e32 v[219:220], v[217:218]
	v_fma_f64 v[221:222], -v[217:218], v[219:220], 1.0
	v_fma_f64 v[219:220], v[219:220], v[221:222], v[219:220]
	v_fma_f64 v[221:222], -v[217:218], v[219:220], 1.0
	v_fma_f64 v[219:220], v[219:220], v[221:222], v[219:220]
	v_mul_f64 v[221:222], v[223:224], v[219:220]
	v_fma_f64 v[217:218], -v[217:218], v[221:222], v[223:224]
	v_div_fmas_f64 v[217:218], v[217:218], v[219:220], v[221:222]
	v_div_fixup_f64 v[219:220], v[217:218], v[213:214], v[215:216]
	v_fma_f64 v[213:214], v[215:216], v[219:220], v[213:214]
	v_div_scale_f64 v[215:216], null, v[213:214], v[213:214], 1.0
	v_rcp_f64_e32 v[217:218], v[215:216]
	v_fma_f64 v[221:222], -v[215:216], v[217:218], 1.0
	v_fma_f64 v[217:218], v[217:218], v[221:222], v[217:218]
	v_fma_f64 v[221:222], -v[215:216], v[217:218], 1.0
	v_fma_f64 v[217:218], v[217:218], v[221:222], v[217:218]
	v_div_scale_f64 v[221:222], vcc_lo, 1.0, v[213:214], 1.0
	v_mul_f64 v[223:224], v[221:222], v[217:218]
	v_fma_f64 v[215:216], -v[215:216], v[223:224], v[221:222]
	v_div_fmas_f64 v[215:216], v[215:216], v[217:218], v[223:224]
	v_div_fixup_f64 v[217:218], v[215:216], v[213:214], 1.0
	v_mul_f64 v[219:220], v[219:220], -v[217:218]
.LBB117_52:
	s_or_b32 exec_lo, exec_lo, s1
	ds_write2_b64 v255, v[217:218], v[219:220] offset1:1
.LBB117_53:
	s_or_b32 exec_lo, exec_lo, s2
	s_waitcnt lgkmcnt(0)
	s_barrier
	buffer_gl0_inv
	ds_read2_b64 v[193:196], v255 offset1:1
	s_mov_b32 s1, exec_lo
	s_waitcnt lgkmcnt(0)
	buffer_store_dword v193, off, s[16:19], 0 offset:632 ; 4-byte Folded Spill
	buffer_store_dword v194, off, s[16:19], 0 offset:636 ; 4-byte Folded Spill
	;; [unrolled: 1-line block ×4, first 2 shown]
	v_cmpx_lt_u32_e32 5, v0
	s_cbranch_execz .LBB117_55
; %bb.54:
	s_clause 0x7
	buffer_load_dword v219, off, s[16:19], 0 offset:16
	buffer_load_dword v220, off, s[16:19], 0 offset:20
	;; [unrolled: 1-line block ×8, first 2 shown]
	s_waitcnt vmcnt(2)
	v_mul_f64 v[215:216], v[193:194], v[221:222]
	s_waitcnt vmcnt(0)
	v_mul_f64 v[213:214], v[195:196], v[221:222]
	v_fma_f64 v[221:222], v[195:196], v[219:220], v[215:216]
	ds_read2_b64 v[215:218], v253 offset0:12 offset1:13
	v_fma_f64 v[213:214], v[193:194], v[219:220], -v[213:214]
	s_clause 0x3
	buffer_load_dword v193, off, s[16:19], 0
	buffer_load_dword v194, off, s[16:19], 0 offset:4
	buffer_load_dword v195, off, s[16:19], 0 offset:8
	;; [unrolled: 1-line block ×3, first 2 shown]
	s_waitcnt lgkmcnt(0)
	v_mul_f64 v[219:220], v[217:218], v[221:222]
	v_fma_f64 v[219:220], v[215:216], v[213:214], -v[219:220]
	v_mul_f64 v[215:216], v[215:216], v[221:222]
	v_fma_f64 v[215:216], v[217:218], v[213:214], v[215:216]
	s_waitcnt vmcnt(2)
	v_add_f64 v[193:194], v[193:194], -v[219:220]
	s_waitcnt vmcnt(0)
	v_add_f64 v[195:196], v[195:196], -v[215:216]
	buffer_store_dword v193, off, s[16:19], 0 ; 4-byte Folded Spill
	buffer_store_dword v194, off, s[16:19], 0 offset:4 ; 4-byte Folded Spill
	buffer_store_dword v195, off, s[16:19], 0 offset:8 ; 4-byte Folded Spill
	;; [unrolled: 1-line block ×3, first 2 shown]
	ds_read2_b64 v[215:218], v253 offset0:14 offset1:15
	s_waitcnt lgkmcnt(0)
	v_mul_f64 v[219:220], v[217:218], v[221:222]
	v_fma_f64 v[219:220], v[215:216], v[213:214], -v[219:220]
	v_mul_f64 v[215:216], v[215:216], v[221:222]
	v_add_f64 v[249:250], v[249:250], -v[219:220]
	v_fma_f64 v[215:216], v[217:218], v[213:214], v[215:216]
	v_add_f64 v[251:252], v[251:252], -v[215:216]
	ds_read2_b64 v[215:218], v253 offset0:16 offset1:17
	s_waitcnt lgkmcnt(0)
	v_mul_f64 v[219:220], v[217:218], v[221:222]
	v_fma_f64 v[219:220], v[215:216], v[213:214], -v[219:220]
	v_mul_f64 v[215:216], v[215:216], v[221:222]
	v_add_f64 v[245:246], v[245:246], -v[219:220]
	v_fma_f64 v[215:216], v[217:218], v[213:214], v[215:216]
	v_add_f64 v[247:248], v[247:248], -v[215:216]
	;; [unrolled: 8-line block ×51, first 2 shown]
	ds_read2_b64 v[215:218], v253 offset0:116 offset1:117
	s_waitcnt lgkmcnt(0)
	v_mul_f64 v[219:220], v[217:218], v[221:222]
	v_fma_f64 v[219:220], v[215:216], v[213:214], -v[219:220]
	v_mul_f64 v[215:216], v[215:216], v[221:222]
	v_add_f64 v[1:2], v[1:2], -v[219:220]
	v_fma_f64 v[215:216], v[217:218], v[213:214], v[215:216]
	v_mov_b32_e32 v220, v214
	v_mov_b32_e32 v219, v213
	buffer_store_dword v219, off, s[16:19], 0 offset:16 ; 4-byte Folded Spill
	buffer_store_dword v220, off, s[16:19], 0 offset:20 ; 4-byte Folded Spill
	;; [unrolled: 1-line block ×4, first 2 shown]
	v_add_f64 v[3:4], v[3:4], -v[215:216]
.LBB117_55:
	s_or_b32 exec_lo, exec_lo, s1
	s_mov_b32 s2, exec_lo
	s_waitcnt_vscnt null, 0x0
	s_barrier
	buffer_gl0_inv
	v_cmpx_eq_u32_e32 6, v0
	s_cbranch_execz .LBB117_62
; %bb.56:
	s_clause 0x3
	buffer_load_dword v193, off, s[16:19], 0
	buffer_load_dword v194, off, s[16:19], 0 offset:4
	buffer_load_dword v195, off, s[16:19], 0 offset:8
	;; [unrolled: 1-line block ×3, first 2 shown]
	s_waitcnt vmcnt(0)
	ds_write2_b64 v255, v[193:194], v[195:196] offset1:1
	ds_write2_b64 v253, v[249:250], v[251:252] offset0:14 offset1:15
	ds_write2_b64 v253, v[245:246], v[247:248] offset0:16 offset1:17
	ds_write2_b64 v253, v[241:242], v[243:244] offset0:18 offset1:19
	ds_write2_b64 v253, v[209:210], v[211:212] offset0:20 offset1:21
	ds_write2_b64 v253, v[189:190], v[191:192] offset0:22 offset1:23
	ds_write2_b64 v253, v[185:186], v[187:188] offset0:24 offset1:25
	ds_write2_b64 v253, v[181:182], v[183:184] offset0:26 offset1:27
	ds_write2_b64 v253, v[177:178], v[179:180] offset0:28 offset1:29
	ds_write2_b64 v253, v[173:174], v[175:176] offset0:30 offset1:31
	ds_write2_b64 v253, v[169:170], v[171:172] offset0:32 offset1:33
	ds_write2_b64 v253, v[165:166], v[167:168] offset0:34 offset1:35
	ds_write2_b64 v253, v[161:162], v[163:164] offset0:36 offset1:37
	ds_write2_b64 v253, v[157:158], v[159:160] offset0:38 offset1:39
	ds_write2_b64 v253, v[153:154], v[155:156] offset0:40 offset1:41
	ds_write2_b64 v253, v[149:150], v[151:152] offset0:42 offset1:43
	ds_write2_b64 v253, v[145:146], v[147:148] offset0:44 offset1:45
	ds_write2_b64 v253, v[141:142], v[143:144] offset0:46 offset1:47
	ds_write2_b64 v253, v[137:138], v[139:140] offset0:48 offset1:49
	ds_write2_b64 v253, v[133:134], v[135:136] offset0:50 offset1:51
	ds_write2_b64 v253, v[129:130], v[131:132] offset0:52 offset1:53
	ds_write2_b64 v253, v[125:126], v[127:128] offset0:54 offset1:55
	ds_write2_b64 v253, v[121:122], v[123:124] offset0:56 offset1:57
	ds_write2_b64 v253, v[117:118], v[119:120] offset0:58 offset1:59
	ds_write2_b64 v253, v[113:114], v[115:116] offset0:60 offset1:61
	ds_write2_b64 v253, v[109:110], v[111:112] offset0:62 offset1:63
	ds_write2_b64 v253, v[105:106], v[107:108] offset0:64 offset1:65
	ds_write2_b64 v253, v[101:102], v[103:104] offset0:66 offset1:67
	ds_write2_b64 v253, v[97:98], v[99:100] offset0:68 offset1:69
	ds_write2_b64 v253, v[93:94], v[95:96] offset0:70 offset1:71
	ds_write2_b64 v253, v[89:90], v[91:92] offset0:72 offset1:73
	ds_write2_b64 v253, v[85:86], v[87:88] offset0:74 offset1:75
	ds_write2_b64 v253, v[81:82], v[83:84] offset0:76 offset1:77
	ds_write2_b64 v253, v[77:78], v[79:80] offset0:78 offset1:79
	ds_write2_b64 v253, v[73:74], v[75:76] offset0:80 offset1:81
	ds_write2_b64 v253, v[69:70], v[71:72] offset0:82 offset1:83
	ds_write2_b64 v253, v[65:66], v[67:68] offset0:84 offset1:85
	ds_write2_b64 v253, v[61:62], v[63:64] offset0:86 offset1:87
	ds_write2_b64 v253, v[57:58], v[59:60] offset0:88 offset1:89
	ds_write2_b64 v253, v[53:54], v[55:56] offset0:90 offset1:91
	ds_write2_b64 v253, v[49:50], v[51:52] offset0:92 offset1:93
	ds_write2_b64 v253, v[45:46], v[47:48] offset0:94 offset1:95
	ds_write2_b64 v253, v[41:42], v[43:44] offset0:96 offset1:97
	ds_write2_b64 v253, v[37:38], v[39:40] offset0:98 offset1:99
	ds_write2_b64 v253, v[33:34], v[35:36] offset0:100 offset1:101
	ds_write2_b64 v253, v[29:30], v[31:32] offset0:102 offset1:103
	ds_write2_b64 v253, v[25:26], v[27:28] offset0:104 offset1:105
	ds_write2_b64 v253, v[21:22], v[23:24] offset0:106 offset1:107
	ds_write2_b64 v253, v[17:18], v[19:20] offset0:108 offset1:109
	ds_write2_b64 v253, v[13:14], v[15:16] offset0:110 offset1:111
	ds_write2_b64 v253, v[9:10], v[11:12] offset0:112 offset1:113
	ds_write2_b64 v253, v[5:6], v[7:8] offset0:114 offset1:115
	ds_write2_b64 v253, v[1:2], v[3:4] offset0:116 offset1:117
	ds_read2_b64 v[213:216], v255 offset1:1
	s_waitcnt lgkmcnt(0)
	v_cmp_neq_f64_e32 vcc_lo, 0, v[213:214]
	v_cmp_neq_f64_e64 s1, 0, v[215:216]
	s_or_b32 s1, vcc_lo, s1
	s_and_b32 exec_lo, exec_lo, s1
	s_cbranch_execz .LBB117_62
; %bb.57:
	v_cmp_ngt_f64_e64 s1, |v[213:214]|, |v[215:216]|
                                        ; implicit-def: $vgpr217_vgpr218
	s_and_saveexec_b32 s3, s1
	s_xor_b32 s1, exec_lo, s3
                                        ; implicit-def: $vgpr219_vgpr220
	s_cbranch_execz .LBB117_59
; %bb.58:
	v_div_scale_f64 v[217:218], null, v[215:216], v[215:216], v[213:214]
	v_div_scale_f64 v[223:224], vcc_lo, v[213:214], v[215:216], v[213:214]
	v_rcp_f64_e32 v[219:220], v[217:218]
	v_fma_f64 v[221:222], -v[217:218], v[219:220], 1.0
	v_fma_f64 v[219:220], v[219:220], v[221:222], v[219:220]
	v_fma_f64 v[221:222], -v[217:218], v[219:220], 1.0
	v_fma_f64 v[219:220], v[219:220], v[221:222], v[219:220]
	v_mul_f64 v[221:222], v[223:224], v[219:220]
	v_fma_f64 v[217:218], -v[217:218], v[221:222], v[223:224]
	v_div_fmas_f64 v[217:218], v[217:218], v[219:220], v[221:222]
	v_div_fixup_f64 v[217:218], v[217:218], v[215:216], v[213:214]
	v_fma_f64 v[213:214], v[213:214], v[217:218], v[215:216]
	v_div_scale_f64 v[215:216], null, v[213:214], v[213:214], 1.0
	v_rcp_f64_e32 v[219:220], v[215:216]
	v_fma_f64 v[221:222], -v[215:216], v[219:220], 1.0
	v_fma_f64 v[219:220], v[219:220], v[221:222], v[219:220]
	v_fma_f64 v[221:222], -v[215:216], v[219:220], 1.0
	v_fma_f64 v[219:220], v[219:220], v[221:222], v[219:220]
	v_div_scale_f64 v[221:222], vcc_lo, 1.0, v[213:214], 1.0
	v_mul_f64 v[223:224], v[221:222], v[219:220]
	v_fma_f64 v[215:216], -v[215:216], v[223:224], v[221:222]
	v_div_fmas_f64 v[215:216], v[215:216], v[219:220], v[223:224]
	v_div_fixup_f64 v[219:220], v[215:216], v[213:214], 1.0
                                        ; implicit-def: $vgpr213_vgpr214
	v_mul_f64 v[217:218], v[217:218], v[219:220]
	v_xor_b32_e32 v220, 0x80000000, v220
.LBB117_59:
	s_andn2_saveexec_b32 s1, s1
	s_cbranch_execz .LBB117_61
; %bb.60:
	v_div_scale_f64 v[217:218], null, v[213:214], v[213:214], v[215:216]
	v_div_scale_f64 v[223:224], vcc_lo, v[215:216], v[213:214], v[215:216]
	v_rcp_f64_e32 v[219:220], v[217:218]
	v_fma_f64 v[221:222], -v[217:218], v[219:220], 1.0
	v_fma_f64 v[219:220], v[219:220], v[221:222], v[219:220]
	v_fma_f64 v[221:222], -v[217:218], v[219:220], 1.0
	v_fma_f64 v[219:220], v[219:220], v[221:222], v[219:220]
	v_mul_f64 v[221:222], v[223:224], v[219:220]
	v_fma_f64 v[217:218], -v[217:218], v[221:222], v[223:224]
	v_div_fmas_f64 v[217:218], v[217:218], v[219:220], v[221:222]
	v_div_fixup_f64 v[219:220], v[217:218], v[213:214], v[215:216]
	v_fma_f64 v[213:214], v[215:216], v[219:220], v[213:214]
	v_div_scale_f64 v[215:216], null, v[213:214], v[213:214], 1.0
	v_rcp_f64_e32 v[217:218], v[215:216]
	v_fma_f64 v[221:222], -v[215:216], v[217:218], 1.0
	v_fma_f64 v[217:218], v[217:218], v[221:222], v[217:218]
	v_fma_f64 v[221:222], -v[215:216], v[217:218], 1.0
	v_fma_f64 v[217:218], v[217:218], v[221:222], v[217:218]
	v_div_scale_f64 v[221:222], vcc_lo, 1.0, v[213:214], 1.0
	v_mul_f64 v[223:224], v[221:222], v[217:218]
	v_fma_f64 v[215:216], -v[215:216], v[223:224], v[221:222]
	v_div_fmas_f64 v[215:216], v[215:216], v[217:218], v[223:224]
	v_div_fixup_f64 v[217:218], v[215:216], v[213:214], 1.0
	v_mul_f64 v[219:220], v[219:220], -v[217:218]
.LBB117_61:
	s_or_b32 exec_lo, exec_lo, s1
	ds_write2_b64 v255, v[217:218], v[219:220] offset1:1
.LBB117_62:
	s_or_b32 exec_lo, exec_lo, s2
	s_waitcnt lgkmcnt(0)
	s_barrier
	buffer_gl0_inv
	ds_read2_b64 v[193:196], v255 offset1:1
	s_mov_b32 s1, exec_lo
	s_waitcnt lgkmcnt(0)
	buffer_store_dword v193, off, s[16:19], 0 offset:648 ; 4-byte Folded Spill
	buffer_store_dword v194, off, s[16:19], 0 offset:652 ; 4-byte Folded Spill
	;; [unrolled: 1-line block ×4, first 2 shown]
	v_cmpx_lt_u32_e32 6, v0
	s_cbranch_execz .LBB117_64
; %bb.63:
	s_clause 0x7
	buffer_load_dword v193, off, s[16:19], 0
	buffer_load_dword v194, off, s[16:19], 0 offset:4
	buffer_load_dword v195, off, s[16:19], 0 offset:8
	;; [unrolled: 1-line block ×7, first 2 shown]
	v_mov_b32_e32 v222, v212
	v_mov_b32_e32 v221, v211
	;; [unrolled: 1-line block ×4, first 2 shown]
	s_waitcnt vmcnt(2)
	v_mul_f64 v[211:212], v[215:216], v[195:196]
	s_waitcnt vmcnt(0)
	v_mul_f64 v[213:214], v[217:218], v[195:196]
	v_fma_f64 v[195:196], v[217:218], v[193:194], v[211:212]
	v_fma_f64 v[213:214], v[215:216], v[193:194], -v[213:214]
	ds_read2_b64 v[215:218], v253 offset0:14 offset1:15
	s_waitcnt lgkmcnt(0)
	v_mul_f64 v[209:210], v[217:218], v[195:196]
	v_mov_b32_e32 v193, v213
	v_mov_b32_e32 v194, v214
	v_fma_f64 v[209:210], v[215:216], v[213:214], -v[209:210]
	v_mul_f64 v[215:216], v[215:216], v[195:196]
	v_add_f64 v[249:250], v[249:250], -v[209:210]
	v_fma_f64 v[215:216], v[217:218], v[213:214], v[215:216]
	v_add_f64 v[251:252], v[251:252], -v[215:216]
	ds_read2_b64 v[215:218], v253 offset0:16 offset1:17
	s_waitcnt lgkmcnt(0)
	v_mul_f64 v[209:210], v[217:218], v[195:196]
	v_fma_f64 v[209:210], v[215:216], v[213:214], -v[209:210]
	v_mul_f64 v[215:216], v[215:216], v[195:196]
	v_add_f64 v[245:246], v[245:246], -v[209:210]
	v_fma_f64 v[215:216], v[217:218], v[213:214], v[215:216]
	v_add_f64 v[247:248], v[247:248], -v[215:216]
	ds_read2_b64 v[215:218], v253 offset0:18 offset1:19
	s_waitcnt lgkmcnt(0)
	v_mul_f64 v[209:210], v[217:218], v[195:196]
	;; [unrolled: 8-line block ×51, first 2 shown]
	v_fma_f64 v[209:210], v[215:216], v[213:214], -v[209:210]
	v_mul_f64 v[215:216], v[215:216], v[195:196]
	buffer_store_dword v193, off, s[16:19], 0 ; 4-byte Folded Spill
	buffer_store_dword v194, off, s[16:19], 0 offset:4 ; 4-byte Folded Spill
	buffer_store_dword v195, off, s[16:19], 0 offset:8 ; 4-byte Folded Spill
	;; [unrolled: 1-line block ×3, first 2 shown]
	v_add_f64 v[1:2], v[1:2], -v[209:210]
	v_fma_f64 v[215:216], v[217:218], v[213:214], v[215:216]
	v_mov_b32_e32 v209, v219
	v_mov_b32_e32 v210, v220
	;; [unrolled: 1-line block ×4, first 2 shown]
	v_add_f64 v[3:4], v[3:4], -v[215:216]
.LBB117_64:
	s_or_b32 exec_lo, exec_lo, s1
	s_mov_b32 s2, exec_lo
	s_waitcnt_vscnt null, 0x0
	s_barrier
	buffer_gl0_inv
	v_cmpx_eq_u32_e32 7, v0
	s_cbranch_execz .LBB117_71
; %bb.65:
	ds_write2_b64 v255, v[249:250], v[251:252] offset1:1
	ds_write2_b64 v253, v[245:246], v[247:248] offset0:16 offset1:17
	ds_write2_b64 v253, v[241:242], v[243:244] offset0:18 offset1:19
	;; [unrolled: 1-line block ×51, first 2 shown]
	ds_read2_b64 v[213:216], v255 offset1:1
	s_waitcnt lgkmcnt(0)
	v_cmp_neq_f64_e32 vcc_lo, 0, v[213:214]
	v_cmp_neq_f64_e64 s1, 0, v[215:216]
	s_or_b32 s1, vcc_lo, s1
	s_and_b32 exec_lo, exec_lo, s1
	s_cbranch_execz .LBB117_71
; %bb.66:
	v_cmp_ngt_f64_e64 s1, |v[213:214]|, |v[215:216]|
                                        ; implicit-def: $vgpr217_vgpr218
	s_and_saveexec_b32 s3, s1
	s_xor_b32 s1, exec_lo, s3
                                        ; implicit-def: $vgpr219_vgpr220
	s_cbranch_execz .LBB117_68
; %bb.67:
	v_div_scale_f64 v[217:218], null, v[215:216], v[215:216], v[213:214]
	v_div_scale_f64 v[223:224], vcc_lo, v[213:214], v[215:216], v[213:214]
	v_rcp_f64_e32 v[219:220], v[217:218]
	v_fma_f64 v[221:222], -v[217:218], v[219:220], 1.0
	v_fma_f64 v[219:220], v[219:220], v[221:222], v[219:220]
	v_fma_f64 v[221:222], -v[217:218], v[219:220], 1.0
	v_fma_f64 v[219:220], v[219:220], v[221:222], v[219:220]
	v_mul_f64 v[221:222], v[223:224], v[219:220]
	v_fma_f64 v[217:218], -v[217:218], v[221:222], v[223:224]
	v_div_fmas_f64 v[217:218], v[217:218], v[219:220], v[221:222]
	v_div_fixup_f64 v[217:218], v[217:218], v[215:216], v[213:214]
	v_fma_f64 v[213:214], v[213:214], v[217:218], v[215:216]
	v_div_scale_f64 v[215:216], null, v[213:214], v[213:214], 1.0
	v_rcp_f64_e32 v[219:220], v[215:216]
	v_fma_f64 v[221:222], -v[215:216], v[219:220], 1.0
	v_fma_f64 v[219:220], v[219:220], v[221:222], v[219:220]
	v_fma_f64 v[221:222], -v[215:216], v[219:220], 1.0
	v_fma_f64 v[219:220], v[219:220], v[221:222], v[219:220]
	v_div_scale_f64 v[221:222], vcc_lo, 1.0, v[213:214], 1.0
	v_mul_f64 v[223:224], v[221:222], v[219:220]
	v_fma_f64 v[215:216], -v[215:216], v[223:224], v[221:222]
	v_div_fmas_f64 v[215:216], v[215:216], v[219:220], v[223:224]
	v_div_fixup_f64 v[219:220], v[215:216], v[213:214], 1.0
                                        ; implicit-def: $vgpr213_vgpr214
	v_mul_f64 v[217:218], v[217:218], v[219:220]
	v_xor_b32_e32 v220, 0x80000000, v220
.LBB117_68:
	s_andn2_saveexec_b32 s1, s1
	s_cbranch_execz .LBB117_70
; %bb.69:
	v_div_scale_f64 v[217:218], null, v[213:214], v[213:214], v[215:216]
	v_div_scale_f64 v[223:224], vcc_lo, v[215:216], v[213:214], v[215:216]
	v_rcp_f64_e32 v[219:220], v[217:218]
	v_fma_f64 v[221:222], -v[217:218], v[219:220], 1.0
	v_fma_f64 v[219:220], v[219:220], v[221:222], v[219:220]
	v_fma_f64 v[221:222], -v[217:218], v[219:220], 1.0
	v_fma_f64 v[219:220], v[219:220], v[221:222], v[219:220]
	v_mul_f64 v[221:222], v[223:224], v[219:220]
	v_fma_f64 v[217:218], -v[217:218], v[221:222], v[223:224]
	v_div_fmas_f64 v[217:218], v[217:218], v[219:220], v[221:222]
	v_div_fixup_f64 v[219:220], v[217:218], v[213:214], v[215:216]
	v_fma_f64 v[213:214], v[215:216], v[219:220], v[213:214]
	v_div_scale_f64 v[215:216], null, v[213:214], v[213:214], 1.0
	v_rcp_f64_e32 v[217:218], v[215:216]
	v_fma_f64 v[221:222], -v[215:216], v[217:218], 1.0
	v_fma_f64 v[217:218], v[217:218], v[221:222], v[217:218]
	v_fma_f64 v[221:222], -v[215:216], v[217:218], 1.0
	v_fma_f64 v[217:218], v[217:218], v[221:222], v[217:218]
	v_div_scale_f64 v[221:222], vcc_lo, 1.0, v[213:214], 1.0
	v_mul_f64 v[223:224], v[221:222], v[217:218]
	v_fma_f64 v[215:216], -v[215:216], v[223:224], v[221:222]
	v_div_fmas_f64 v[215:216], v[215:216], v[217:218], v[223:224]
	v_div_fixup_f64 v[217:218], v[215:216], v[213:214], 1.0
	v_mul_f64 v[219:220], v[219:220], -v[217:218]
.LBB117_70:
	s_or_b32 exec_lo, exec_lo, s1
	ds_write2_b64 v255, v[217:218], v[219:220] offset1:1
.LBB117_71:
	s_or_b32 exec_lo, exec_lo, s2
	s_waitcnt lgkmcnt(0)
	s_barrier
	buffer_gl0_inv
	ds_read2_b64 v[193:196], v255 offset1:1
	s_mov_b32 s1, exec_lo
	s_waitcnt lgkmcnt(0)
	buffer_store_dword v193, off, s[16:19], 0 offset:664 ; 4-byte Folded Spill
	buffer_store_dword v194, off, s[16:19], 0 offset:668 ; 4-byte Folded Spill
	buffer_store_dword v195, off, s[16:19], 0 offset:672 ; 4-byte Folded Spill
	buffer_store_dword v196, off, s[16:19], 0 offset:676 ; 4-byte Folded Spill
	v_cmpx_lt_u32_e32 7, v0
	s_cbranch_execz .LBB117_73
; %bb.72:
	s_clause 0x3
	buffer_load_dword v193, off, s[16:19], 0 offset:664
	buffer_load_dword v194, off, s[16:19], 0 offset:668
	;; [unrolled: 1-line block ×4, first 2 shown]
	v_mov_b32_e32 v205, v207
	v_mov_b32_e32 v206, v208
	ds_read2_b64 v[215:218], v253 offset0:16 offset1:17
	s_waitcnt vmcnt(2)
	v_mul_f64 v[207:208], v[193:194], v[251:252]
	s_waitcnt vmcnt(0)
	v_mul_f64 v[213:214], v[195:196], v[251:252]
	v_fma_f64 v[251:252], v[195:196], v[249:250], v[207:208]
	v_mov_b32_e32 v208, v206
	v_fma_f64 v[213:214], v[193:194], v[249:250], -v[213:214]
	v_mov_b32_e32 v207, v205
	s_waitcnt lgkmcnt(0)
	v_mul_f64 v[205:206], v[217:218], v[251:252]
	v_mov_b32_e32 v250, v214
	v_mov_b32_e32 v249, v213
	v_fma_f64 v[205:206], v[215:216], v[213:214], -v[205:206]
	v_mul_f64 v[215:216], v[215:216], v[251:252]
	v_add_f64 v[245:246], v[245:246], -v[205:206]
	v_fma_f64 v[215:216], v[217:218], v[213:214], v[215:216]
	v_add_f64 v[247:248], v[247:248], -v[215:216]
	ds_read2_b64 v[215:218], v253 offset0:18 offset1:19
	s_waitcnt lgkmcnt(0)
	v_mul_f64 v[205:206], v[217:218], v[251:252]
	v_fma_f64 v[205:206], v[215:216], v[213:214], -v[205:206]
	v_mul_f64 v[215:216], v[215:216], v[251:252]
	v_add_f64 v[241:242], v[241:242], -v[205:206]
	v_fma_f64 v[215:216], v[217:218], v[213:214], v[215:216]
	v_add_f64 v[243:244], v[243:244], -v[215:216]
	ds_read2_b64 v[215:218], v253 offset0:20 offset1:21
	s_waitcnt lgkmcnt(0)
	v_mul_f64 v[205:206], v[217:218], v[251:252]
	;; [unrolled: 8-line block ×50, first 2 shown]
	v_fma_f64 v[205:206], v[215:216], v[213:214], -v[205:206]
	v_mul_f64 v[215:216], v[215:216], v[251:252]
	v_add_f64 v[1:2], v[1:2], -v[205:206]
	v_fma_f64 v[215:216], v[217:218], v[213:214], v[215:216]
	v_add_f64 v[3:4], v[3:4], -v[215:216]
.LBB117_73:
	s_or_b32 exec_lo, exec_lo, s1
	s_mov_b32 s2, exec_lo
	s_waitcnt_vscnt null, 0x0
	s_barrier
	buffer_gl0_inv
	v_cmpx_eq_u32_e32 8, v0
	s_cbranch_execz .LBB117_80
; %bb.74:
	ds_write2_b64 v255, v[245:246], v[247:248] offset1:1
	ds_write2_b64 v253, v[241:242], v[243:244] offset0:18 offset1:19
	ds_write2_b64 v253, v[209:210], v[211:212] offset0:20 offset1:21
	ds_write2_b64 v253, v[189:190], v[191:192] offset0:22 offset1:23
	ds_write2_b64 v253, v[185:186], v[187:188] offset0:24 offset1:25
	ds_write2_b64 v253, v[181:182], v[183:184] offset0:26 offset1:27
	ds_write2_b64 v253, v[177:178], v[179:180] offset0:28 offset1:29
	ds_write2_b64 v253, v[173:174], v[175:176] offset0:30 offset1:31
	ds_write2_b64 v253, v[169:170], v[171:172] offset0:32 offset1:33
	ds_write2_b64 v253, v[165:166], v[167:168] offset0:34 offset1:35
	ds_write2_b64 v253, v[161:162], v[163:164] offset0:36 offset1:37
	ds_write2_b64 v253, v[157:158], v[159:160] offset0:38 offset1:39
	ds_write2_b64 v253, v[153:154], v[155:156] offset0:40 offset1:41
	ds_write2_b64 v253, v[149:150], v[151:152] offset0:42 offset1:43
	ds_write2_b64 v253, v[145:146], v[147:148] offset0:44 offset1:45
	ds_write2_b64 v253, v[141:142], v[143:144] offset0:46 offset1:47
	ds_write2_b64 v253, v[137:138], v[139:140] offset0:48 offset1:49
	ds_write2_b64 v253, v[133:134], v[135:136] offset0:50 offset1:51
	ds_write2_b64 v253, v[129:130], v[131:132] offset0:52 offset1:53
	ds_write2_b64 v253, v[125:126], v[127:128] offset0:54 offset1:55
	ds_write2_b64 v253, v[121:122], v[123:124] offset0:56 offset1:57
	ds_write2_b64 v253, v[117:118], v[119:120] offset0:58 offset1:59
	ds_write2_b64 v253, v[113:114], v[115:116] offset0:60 offset1:61
	ds_write2_b64 v253, v[109:110], v[111:112] offset0:62 offset1:63
	ds_write2_b64 v253, v[105:106], v[107:108] offset0:64 offset1:65
	ds_write2_b64 v253, v[101:102], v[103:104] offset0:66 offset1:67
	ds_write2_b64 v253, v[97:98], v[99:100] offset0:68 offset1:69
	ds_write2_b64 v253, v[93:94], v[95:96] offset0:70 offset1:71
	ds_write2_b64 v253, v[89:90], v[91:92] offset0:72 offset1:73
	ds_write2_b64 v253, v[85:86], v[87:88] offset0:74 offset1:75
	ds_write2_b64 v253, v[81:82], v[83:84] offset0:76 offset1:77
	ds_write2_b64 v253, v[77:78], v[79:80] offset0:78 offset1:79
	ds_write2_b64 v253, v[73:74], v[75:76] offset0:80 offset1:81
	ds_write2_b64 v253, v[69:70], v[71:72] offset0:82 offset1:83
	ds_write2_b64 v253, v[65:66], v[67:68] offset0:84 offset1:85
	ds_write2_b64 v253, v[61:62], v[63:64] offset0:86 offset1:87
	ds_write2_b64 v253, v[57:58], v[59:60] offset0:88 offset1:89
	ds_write2_b64 v253, v[53:54], v[55:56] offset0:90 offset1:91
	ds_write2_b64 v253, v[49:50], v[51:52] offset0:92 offset1:93
	ds_write2_b64 v253, v[45:46], v[47:48] offset0:94 offset1:95
	ds_write2_b64 v253, v[41:42], v[43:44] offset0:96 offset1:97
	ds_write2_b64 v253, v[37:38], v[39:40] offset0:98 offset1:99
	ds_write2_b64 v253, v[33:34], v[35:36] offset0:100 offset1:101
	ds_write2_b64 v253, v[29:30], v[31:32] offset0:102 offset1:103
	ds_write2_b64 v253, v[25:26], v[27:28] offset0:104 offset1:105
	ds_write2_b64 v253, v[21:22], v[23:24] offset0:106 offset1:107
	ds_write2_b64 v253, v[17:18], v[19:20] offset0:108 offset1:109
	ds_write2_b64 v253, v[13:14], v[15:16] offset0:110 offset1:111
	ds_write2_b64 v253, v[9:10], v[11:12] offset0:112 offset1:113
	ds_write2_b64 v253, v[5:6], v[7:8] offset0:114 offset1:115
	ds_write2_b64 v253, v[1:2], v[3:4] offset0:116 offset1:117
	ds_read2_b64 v[213:216], v255 offset1:1
	s_waitcnt lgkmcnt(0)
	v_cmp_neq_f64_e32 vcc_lo, 0, v[213:214]
	v_cmp_neq_f64_e64 s1, 0, v[215:216]
	s_or_b32 s1, vcc_lo, s1
	s_and_b32 exec_lo, exec_lo, s1
	s_cbranch_execz .LBB117_80
; %bb.75:
	v_cmp_ngt_f64_e64 s1, |v[213:214]|, |v[215:216]|
                                        ; implicit-def: $vgpr217_vgpr218
	s_and_saveexec_b32 s3, s1
	s_xor_b32 s1, exec_lo, s3
                                        ; implicit-def: $vgpr219_vgpr220
	s_cbranch_execz .LBB117_77
; %bb.76:
	v_div_scale_f64 v[217:218], null, v[215:216], v[215:216], v[213:214]
	v_div_scale_f64 v[223:224], vcc_lo, v[213:214], v[215:216], v[213:214]
	v_rcp_f64_e32 v[219:220], v[217:218]
	v_fma_f64 v[221:222], -v[217:218], v[219:220], 1.0
	v_fma_f64 v[219:220], v[219:220], v[221:222], v[219:220]
	v_fma_f64 v[221:222], -v[217:218], v[219:220], 1.0
	v_fma_f64 v[219:220], v[219:220], v[221:222], v[219:220]
	v_mul_f64 v[221:222], v[223:224], v[219:220]
	v_fma_f64 v[217:218], -v[217:218], v[221:222], v[223:224]
	v_div_fmas_f64 v[217:218], v[217:218], v[219:220], v[221:222]
	v_div_fixup_f64 v[217:218], v[217:218], v[215:216], v[213:214]
	v_fma_f64 v[213:214], v[213:214], v[217:218], v[215:216]
	v_div_scale_f64 v[215:216], null, v[213:214], v[213:214], 1.0
	v_rcp_f64_e32 v[219:220], v[215:216]
	v_fma_f64 v[221:222], -v[215:216], v[219:220], 1.0
	v_fma_f64 v[219:220], v[219:220], v[221:222], v[219:220]
	v_fma_f64 v[221:222], -v[215:216], v[219:220], 1.0
	v_fma_f64 v[219:220], v[219:220], v[221:222], v[219:220]
	v_div_scale_f64 v[221:222], vcc_lo, 1.0, v[213:214], 1.0
	v_mul_f64 v[223:224], v[221:222], v[219:220]
	v_fma_f64 v[215:216], -v[215:216], v[223:224], v[221:222]
	v_div_fmas_f64 v[215:216], v[215:216], v[219:220], v[223:224]
	v_div_fixup_f64 v[219:220], v[215:216], v[213:214], 1.0
                                        ; implicit-def: $vgpr213_vgpr214
	v_mul_f64 v[217:218], v[217:218], v[219:220]
	v_xor_b32_e32 v220, 0x80000000, v220
.LBB117_77:
	s_andn2_saveexec_b32 s1, s1
	s_cbranch_execz .LBB117_79
; %bb.78:
	v_div_scale_f64 v[217:218], null, v[213:214], v[213:214], v[215:216]
	v_div_scale_f64 v[223:224], vcc_lo, v[215:216], v[213:214], v[215:216]
	v_rcp_f64_e32 v[219:220], v[217:218]
	v_fma_f64 v[221:222], -v[217:218], v[219:220], 1.0
	v_fma_f64 v[219:220], v[219:220], v[221:222], v[219:220]
	v_fma_f64 v[221:222], -v[217:218], v[219:220], 1.0
	v_fma_f64 v[219:220], v[219:220], v[221:222], v[219:220]
	v_mul_f64 v[221:222], v[223:224], v[219:220]
	v_fma_f64 v[217:218], -v[217:218], v[221:222], v[223:224]
	v_div_fmas_f64 v[217:218], v[217:218], v[219:220], v[221:222]
	v_div_fixup_f64 v[219:220], v[217:218], v[213:214], v[215:216]
	v_fma_f64 v[213:214], v[215:216], v[219:220], v[213:214]
	v_div_scale_f64 v[215:216], null, v[213:214], v[213:214], 1.0
	v_rcp_f64_e32 v[217:218], v[215:216]
	v_fma_f64 v[221:222], -v[215:216], v[217:218], 1.0
	v_fma_f64 v[217:218], v[217:218], v[221:222], v[217:218]
	v_fma_f64 v[221:222], -v[215:216], v[217:218], 1.0
	v_fma_f64 v[217:218], v[217:218], v[221:222], v[217:218]
	v_div_scale_f64 v[221:222], vcc_lo, 1.0, v[213:214], 1.0
	v_mul_f64 v[223:224], v[221:222], v[217:218]
	v_fma_f64 v[215:216], -v[215:216], v[223:224], v[221:222]
	v_div_fmas_f64 v[215:216], v[215:216], v[217:218], v[223:224]
	v_div_fixup_f64 v[217:218], v[215:216], v[213:214], 1.0
	v_mul_f64 v[219:220], v[219:220], -v[217:218]
.LBB117_79:
	s_or_b32 exec_lo, exec_lo, s1
	ds_write2_b64 v255, v[217:218], v[219:220] offset1:1
.LBB117_80:
	s_or_b32 exec_lo, exec_lo, s2
	s_waitcnt lgkmcnt(0)
	s_barrier
	buffer_gl0_inv
	ds_read2_b64 v[193:196], v255 offset1:1
	s_mov_b32 s1, exec_lo
	s_waitcnt lgkmcnt(0)
	buffer_store_dword v193, off, s[16:19], 0 offset:680 ; 4-byte Folded Spill
	buffer_store_dword v194, off, s[16:19], 0 offset:684 ; 4-byte Folded Spill
	;; [unrolled: 1-line block ×4, first 2 shown]
	v_cmpx_lt_u32_e32 8, v0
	s_cbranch_execz .LBB117_82
; %bb.81:
	s_clause 0x3
	buffer_load_dword v215, off, s[16:19], 0 offset:680
	buffer_load_dword v216, off, s[16:19], 0 offset:684
	;; [unrolled: 1-line block ×4, first 2 shown]
	v_mov_b32_e32 v193, v203
	v_mov_b32_e32 v194, v204
	s_waitcnt vmcnt(2)
	v_mul_f64 v[203:204], v[215:216], v[247:248]
	s_waitcnt vmcnt(0)
	v_mul_f64 v[213:214], v[217:218], v[247:248]
	v_fma_f64 v[247:248], v[217:218], v[245:246], v[203:204]
	v_mov_b32_e32 v204, v194
	v_fma_f64 v[213:214], v[215:216], v[245:246], -v[213:214]
	ds_read2_b64 v[215:218], v253 offset0:18 offset1:19
	v_mov_b32_e32 v203, v193
	v_mov_b32_e32 v193, v201
	;; [unrolled: 1-line block ×3, first 2 shown]
	s_waitcnt lgkmcnt(0)
	v_mul_f64 v[201:202], v[217:218], v[247:248]
	v_mov_b32_e32 v246, v214
	v_mov_b32_e32 v245, v213
	v_fma_f64 v[201:202], v[215:216], v[213:214], -v[201:202]
	v_mul_f64 v[215:216], v[215:216], v[247:248]
	v_add_f64 v[241:242], v[241:242], -v[201:202]
	v_fma_f64 v[215:216], v[217:218], v[213:214], v[215:216]
	v_add_f64 v[243:244], v[243:244], -v[215:216]
	ds_read2_b64 v[215:218], v253 offset0:20 offset1:21
	s_waitcnt lgkmcnt(0)
	v_mul_f64 v[201:202], v[217:218], v[247:248]
	v_fma_f64 v[201:202], v[215:216], v[213:214], -v[201:202]
	v_mul_f64 v[215:216], v[215:216], v[247:248]
	v_add_f64 v[209:210], v[209:210], -v[201:202]
	v_fma_f64 v[215:216], v[217:218], v[213:214], v[215:216]
	v_add_f64 v[211:212], v[211:212], -v[215:216]
	ds_read2_b64 v[215:218], v253 offset0:22 offset1:23
	s_waitcnt lgkmcnt(0)
	v_mul_f64 v[201:202], v[217:218], v[247:248]
	;; [unrolled: 8-line block ×49, first 2 shown]
	v_fma_f64 v[201:202], v[215:216], v[213:214], -v[201:202]
	v_mul_f64 v[215:216], v[215:216], v[247:248]
	v_add_f64 v[1:2], v[1:2], -v[201:202]
	v_fma_f64 v[215:216], v[217:218], v[213:214], v[215:216]
	v_mov_b32_e32 v202, v194
	v_mov_b32_e32 v201, v193
	v_add_f64 v[3:4], v[3:4], -v[215:216]
.LBB117_82:
	s_or_b32 exec_lo, exec_lo, s1
	s_mov_b32 s2, exec_lo
	s_waitcnt_vscnt null, 0x0
	s_barrier
	buffer_gl0_inv
	v_cmpx_eq_u32_e32 9, v0
	s_cbranch_execz .LBB117_89
; %bb.83:
	ds_write2_b64 v255, v[241:242], v[243:244] offset1:1
	ds_write2_b64 v253, v[209:210], v[211:212] offset0:20 offset1:21
	ds_write2_b64 v253, v[189:190], v[191:192] offset0:22 offset1:23
	;; [unrolled: 1-line block ×49, first 2 shown]
	ds_read2_b64 v[213:216], v255 offset1:1
	s_waitcnt lgkmcnt(0)
	v_cmp_neq_f64_e32 vcc_lo, 0, v[213:214]
	v_cmp_neq_f64_e64 s1, 0, v[215:216]
	s_or_b32 s1, vcc_lo, s1
	s_and_b32 exec_lo, exec_lo, s1
	s_cbranch_execz .LBB117_89
; %bb.84:
	v_cmp_ngt_f64_e64 s1, |v[213:214]|, |v[215:216]|
                                        ; implicit-def: $vgpr217_vgpr218
	s_and_saveexec_b32 s3, s1
	s_xor_b32 s1, exec_lo, s3
                                        ; implicit-def: $vgpr219_vgpr220
	s_cbranch_execz .LBB117_86
; %bb.85:
	v_div_scale_f64 v[217:218], null, v[215:216], v[215:216], v[213:214]
	v_div_scale_f64 v[223:224], vcc_lo, v[213:214], v[215:216], v[213:214]
	v_rcp_f64_e32 v[219:220], v[217:218]
	v_fma_f64 v[221:222], -v[217:218], v[219:220], 1.0
	v_fma_f64 v[219:220], v[219:220], v[221:222], v[219:220]
	v_fma_f64 v[221:222], -v[217:218], v[219:220], 1.0
	v_fma_f64 v[219:220], v[219:220], v[221:222], v[219:220]
	v_mul_f64 v[221:222], v[223:224], v[219:220]
	v_fma_f64 v[217:218], -v[217:218], v[221:222], v[223:224]
	v_div_fmas_f64 v[217:218], v[217:218], v[219:220], v[221:222]
	v_div_fixup_f64 v[217:218], v[217:218], v[215:216], v[213:214]
	v_fma_f64 v[213:214], v[213:214], v[217:218], v[215:216]
	v_div_scale_f64 v[215:216], null, v[213:214], v[213:214], 1.0
	v_rcp_f64_e32 v[219:220], v[215:216]
	v_fma_f64 v[221:222], -v[215:216], v[219:220], 1.0
	v_fma_f64 v[219:220], v[219:220], v[221:222], v[219:220]
	v_fma_f64 v[221:222], -v[215:216], v[219:220], 1.0
	v_fma_f64 v[219:220], v[219:220], v[221:222], v[219:220]
	v_div_scale_f64 v[221:222], vcc_lo, 1.0, v[213:214], 1.0
	v_mul_f64 v[223:224], v[221:222], v[219:220]
	v_fma_f64 v[215:216], -v[215:216], v[223:224], v[221:222]
	v_div_fmas_f64 v[215:216], v[215:216], v[219:220], v[223:224]
	v_div_fixup_f64 v[219:220], v[215:216], v[213:214], 1.0
                                        ; implicit-def: $vgpr213_vgpr214
	v_mul_f64 v[217:218], v[217:218], v[219:220]
	v_xor_b32_e32 v220, 0x80000000, v220
.LBB117_86:
	s_andn2_saveexec_b32 s1, s1
	s_cbranch_execz .LBB117_88
; %bb.87:
	v_div_scale_f64 v[217:218], null, v[213:214], v[213:214], v[215:216]
	v_div_scale_f64 v[223:224], vcc_lo, v[215:216], v[213:214], v[215:216]
	v_rcp_f64_e32 v[219:220], v[217:218]
	v_fma_f64 v[221:222], -v[217:218], v[219:220], 1.0
	v_fma_f64 v[219:220], v[219:220], v[221:222], v[219:220]
	v_fma_f64 v[221:222], -v[217:218], v[219:220], 1.0
	v_fma_f64 v[219:220], v[219:220], v[221:222], v[219:220]
	v_mul_f64 v[221:222], v[223:224], v[219:220]
	v_fma_f64 v[217:218], -v[217:218], v[221:222], v[223:224]
	v_div_fmas_f64 v[217:218], v[217:218], v[219:220], v[221:222]
	v_div_fixup_f64 v[219:220], v[217:218], v[213:214], v[215:216]
	v_fma_f64 v[213:214], v[215:216], v[219:220], v[213:214]
	v_div_scale_f64 v[215:216], null, v[213:214], v[213:214], 1.0
	v_rcp_f64_e32 v[217:218], v[215:216]
	v_fma_f64 v[221:222], -v[215:216], v[217:218], 1.0
	v_fma_f64 v[217:218], v[217:218], v[221:222], v[217:218]
	v_fma_f64 v[221:222], -v[215:216], v[217:218], 1.0
	v_fma_f64 v[217:218], v[217:218], v[221:222], v[217:218]
	v_div_scale_f64 v[221:222], vcc_lo, 1.0, v[213:214], 1.0
	v_mul_f64 v[223:224], v[221:222], v[217:218]
	v_fma_f64 v[215:216], -v[215:216], v[223:224], v[221:222]
	v_div_fmas_f64 v[215:216], v[215:216], v[217:218], v[223:224]
	v_div_fixup_f64 v[217:218], v[215:216], v[213:214], 1.0
	v_mul_f64 v[219:220], v[219:220], -v[217:218]
.LBB117_88:
	s_or_b32 exec_lo, exec_lo, s1
	ds_write2_b64 v255, v[217:218], v[219:220] offset1:1
.LBB117_89:
	s_or_b32 exec_lo, exec_lo, s2
	s_waitcnt lgkmcnt(0)
	s_barrier
	buffer_gl0_inv
	ds_read2_b64 v[193:196], v255 offset1:1
	s_mov_b32 s1, exec_lo
	s_waitcnt lgkmcnt(0)
	buffer_store_dword v193, off, s[16:19], 0 offset:696 ; 4-byte Folded Spill
	buffer_store_dword v194, off, s[16:19], 0 offset:700 ; 4-byte Folded Spill
	;; [unrolled: 1-line block ×4, first 2 shown]
	v_cmpx_lt_u32_e32 9, v0
	s_cbranch_execz .LBB117_91
; %bb.90:
	s_clause 0x3
	buffer_load_dword v193, off, s[16:19], 0 offset:696
	buffer_load_dword v194, off, s[16:19], 0 offset:700
	;; [unrolled: 1-line block ×4, first 2 shown]
	v_mov_b32_e32 v206, v198
	v_mov_b32_e32 v205, v197
	;; [unrolled: 1-line block ×4, first 2 shown]
	ds_read2_b64 v[215:218], v253 offset0:20 offset1:21
	s_waitcnt vmcnt(2)
	v_mul_f64 v[199:200], v[193:194], v[243:244]
	s_waitcnt vmcnt(0)
	v_mul_f64 v[213:214], v[195:196], v[243:244]
	v_fma_f64 v[243:244], v[195:196], v[241:242], v[199:200]
	v_mov_b32_e32 v200, v198
	v_fma_f64 v[213:214], v[193:194], v[241:242], -v[213:214]
	v_mov_b32_e32 v199, v197
	s_waitcnt lgkmcnt(0)
	v_mul_f64 v[197:198], v[217:218], v[243:244]
	v_mov_b32_e32 v242, v214
	v_mov_b32_e32 v241, v213
	v_fma_f64 v[197:198], v[215:216], v[213:214], -v[197:198]
	v_mul_f64 v[215:216], v[215:216], v[243:244]
	v_add_f64 v[209:210], v[209:210], -v[197:198]
	v_fma_f64 v[215:216], v[217:218], v[213:214], v[215:216]
	v_add_f64 v[211:212], v[211:212], -v[215:216]
	ds_read2_b64 v[215:218], v253 offset0:22 offset1:23
	s_waitcnt lgkmcnt(0)
	v_mul_f64 v[197:198], v[217:218], v[243:244]
	v_fma_f64 v[197:198], v[215:216], v[213:214], -v[197:198]
	v_mul_f64 v[215:216], v[215:216], v[243:244]
	v_add_f64 v[189:190], v[189:190], -v[197:198]
	v_fma_f64 v[215:216], v[217:218], v[213:214], v[215:216]
	v_add_f64 v[191:192], v[191:192], -v[215:216]
	ds_read2_b64 v[215:218], v253 offset0:24 offset1:25
	s_waitcnt lgkmcnt(0)
	v_mul_f64 v[197:198], v[217:218], v[243:244]
	;; [unrolled: 8-line block ×48, first 2 shown]
	v_fma_f64 v[197:198], v[215:216], v[213:214], -v[197:198]
	v_mul_f64 v[215:216], v[215:216], v[243:244]
	v_add_f64 v[1:2], v[1:2], -v[197:198]
	v_fma_f64 v[215:216], v[217:218], v[213:214], v[215:216]
	v_mov_b32_e32 v197, v205
	v_mov_b32_e32 v198, v206
	v_add_f64 v[3:4], v[3:4], -v[215:216]
.LBB117_91:
	s_or_b32 exec_lo, exec_lo, s1
	s_mov_b32 s2, exec_lo
	s_waitcnt_vscnt null, 0x0
	s_barrier
	buffer_gl0_inv
	v_cmpx_eq_u32_e32 10, v0
	s_cbranch_execz .LBB117_98
; %bb.92:
	ds_write2_b64 v255, v[209:210], v[211:212] offset1:1
	ds_write2_b64 v253, v[189:190], v[191:192] offset0:22 offset1:23
	ds_write2_b64 v253, v[185:186], v[187:188] offset0:24 offset1:25
	;; [unrolled: 1-line block ×48, first 2 shown]
	ds_read2_b64 v[213:216], v255 offset1:1
	s_waitcnt lgkmcnt(0)
	v_cmp_neq_f64_e32 vcc_lo, 0, v[213:214]
	v_cmp_neq_f64_e64 s1, 0, v[215:216]
	s_or_b32 s1, vcc_lo, s1
	s_and_b32 exec_lo, exec_lo, s1
	s_cbranch_execz .LBB117_98
; %bb.93:
	v_cmp_ngt_f64_e64 s1, |v[213:214]|, |v[215:216]|
                                        ; implicit-def: $vgpr217_vgpr218
	s_and_saveexec_b32 s3, s1
	s_xor_b32 s1, exec_lo, s3
                                        ; implicit-def: $vgpr219_vgpr220
	s_cbranch_execz .LBB117_95
; %bb.94:
	v_div_scale_f64 v[217:218], null, v[215:216], v[215:216], v[213:214]
	v_div_scale_f64 v[223:224], vcc_lo, v[213:214], v[215:216], v[213:214]
	v_rcp_f64_e32 v[219:220], v[217:218]
	v_fma_f64 v[221:222], -v[217:218], v[219:220], 1.0
	v_fma_f64 v[219:220], v[219:220], v[221:222], v[219:220]
	v_fma_f64 v[221:222], -v[217:218], v[219:220], 1.0
	v_fma_f64 v[219:220], v[219:220], v[221:222], v[219:220]
	v_mul_f64 v[221:222], v[223:224], v[219:220]
	v_fma_f64 v[217:218], -v[217:218], v[221:222], v[223:224]
	v_div_fmas_f64 v[217:218], v[217:218], v[219:220], v[221:222]
	v_div_fixup_f64 v[217:218], v[217:218], v[215:216], v[213:214]
	v_fma_f64 v[213:214], v[213:214], v[217:218], v[215:216]
	v_div_scale_f64 v[215:216], null, v[213:214], v[213:214], 1.0
	v_rcp_f64_e32 v[219:220], v[215:216]
	v_fma_f64 v[221:222], -v[215:216], v[219:220], 1.0
	v_fma_f64 v[219:220], v[219:220], v[221:222], v[219:220]
	v_fma_f64 v[221:222], -v[215:216], v[219:220], 1.0
	v_fma_f64 v[219:220], v[219:220], v[221:222], v[219:220]
	v_div_scale_f64 v[221:222], vcc_lo, 1.0, v[213:214], 1.0
	v_mul_f64 v[223:224], v[221:222], v[219:220]
	v_fma_f64 v[215:216], -v[215:216], v[223:224], v[221:222]
	v_div_fmas_f64 v[215:216], v[215:216], v[219:220], v[223:224]
	v_div_fixup_f64 v[219:220], v[215:216], v[213:214], 1.0
                                        ; implicit-def: $vgpr213_vgpr214
	v_mul_f64 v[217:218], v[217:218], v[219:220]
	v_xor_b32_e32 v220, 0x80000000, v220
.LBB117_95:
	s_andn2_saveexec_b32 s1, s1
	s_cbranch_execz .LBB117_97
; %bb.96:
	v_div_scale_f64 v[217:218], null, v[213:214], v[213:214], v[215:216]
	v_div_scale_f64 v[223:224], vcc_lo, v[215:216], v[213:214], v[215:216]
	v_rcp_f64_e32 v[219:220], v[217:218]
	v_fma_f64 v[221:222], -v[217:218], v[219:220], 1.0
	v_fma_f64 v[219:220], v[219:220], v[221:222], v[219:220]
	v_fma_f64 v[221:222], -v[217:218], v[219:220], 1.0
	v_fma_f64 v[219:220], v[219:220], v[221:222], v[219:220]
	v_mul_f64 v[221:222], v[223:224], v[219:220]
	v_fma_f64 v[217:218], -v[217:218], v[221:222], v[223:224]
	v_div_fmas_f64 v[217:218], v[217:218], v[219:220], v[221:222]
	v_div_fixup_f64 v[219:220], v[217:218], v[213:214], v[215:216]
	v_fma_f64 v[213:214], v[215:216], v[219:220], v[213:214]
	v_div_scale_f64 v[215:216], null, v[213:214], v[213:214], 1.0
	v_rcp_f64_e32 v[217:218], v[215:216]
	v_fma_f64 v[221:222], -v[215:216], v[217:218], 1.0
	v_fma_f64 v[217:218], v[217:218], v[221:222], v[217:218]
	v_fma_f64 v[221:222], -v[215:216], v[217:218], 1.0
	v_fma_f64 v[217:218], v[217:218], v[221:222], v[217:218]
	v_div_scale_f64 v[221:222], vcc_lo, 1.0, v[213:214], 1.0
	v_mul_f64 v[223:224], v[221:222], v[217:218]
	v_fma_f64 v[215:216], -v[215:216], v[223:224], v[221:222]
	v_div_fmas_f64 v[215:216], v[215:216], v[217:218], v[223:224]
	v_div_fixup_f64 v[217:218], v[215:216], v[213:214], 1.0
	v_mul_f64 v[219:220], v[219:220], -v[217:218]
.LBB117_97:
	s_or_b32 exec_lo, exec_lo, s1
	ds_write2_b64 v255, v[217:218], v[219:220] offset1:1
.LBB117_98:
	s_or_b32 exec_lo, exec_lo, s2
	s_waitcnt lgkmcnt(0)
	s_barrier
	buffer_gl0_inv
	ds_read2_b64 v[193:196], v255 offset1:1
	s_mov_b32 s1, exec_lo
	s_waitcnt lgkmcnt(0)
	buffer_store_dword v193, off, s[16:19], 0 offset:712 ; 4-byte Folded Spill
	buffer_store_dword v194, off, s[16:19], 0 offset:716 ; 4-byte Folded Spill
	;; [unrolled: 1-line block ×4, first 2 shown]
	v_cmpx_lt_u32_e32 10, v0
	s_cbranch_execz .LBB117_100
; %bb.99:
	s_clause 0x3
	buffer_load_dword v215, off, s[16:19], 0 offset:712
	buffer_load_dword v216, off, s[16:19], 0 offset:716
	;; [unrolled: 1-line block ×4, first 2 shown]
	s_waitcnt vmcnt(2)
	v_mul_f64 v[195:196], v[215:216], v[211:212]
	s_waitcnt vmcnt(0)
	v_mul_f64 v[213:214], v[217:218], v[211:212]
	v_fma_f64 v[211:212], v[217:218], v[209:210], v[195:196]
	v_fma_f64 v[213:214], v[215:216], v[209:210], -v[213:214]
	ds_read2_b64 v[215:218], v253 offset0:22 offset1:23
	s_waitcnt lgkmcnt(0)
	v_mul_f64 v[193:194], v[217:218], v[211:212]
	v_mov_b32_e32 v209, v213
	v_mov_b32_e32 v210, v214
	v_fma_f64 v[193:194], v[215:216], v[213:214], -v[193:194]
	v_mul_f64 v[215:216], v[215:216], v[211:212]
	v_add_f64 v[189:190], v[189:190], -v[193:194]
	v_fma_f64 v[215:216], v[217:218], v[213:214], v[215:216]
	v_add_f64 v[191:192], v[191:192], -v[215:216]
	ds_read2_b64 v[215:218], v253 offset0:24 offset1:25
	s_waitcnt lgkmcnt(0)
	v_mul_f64 v[193:194], v[217:218], v[211:212]
	v_fma_f64 v[193:194], v[215:216], v[213:214], -v[193:194]
	v_mul_f64 v[215:216], v[215:216], v[211:212]
	v_add_f64 v[185:186], v[185:186], -v[193:194]
	v_fma_f64 v[215:216], v[217:218], v[213:214], v[215:216]
	v_add_f64 v[187:188], v[187:188], -v[215:216]
	ds_read2_b64 v[215:218], v253 offset0:26 offset1:27
	s_waitcnt lgkmcnt(0)
	v_mul_f64 v[193:194], v[217:218], v[211:212]
	v_fma_f64 v[193:194], v[215:216], v[213:214], -v[193:194]
	v_mul_f64 v[215:216], v[215:216], v[211:212]
	v_add_f64 v[181:182], v[181:182], -v[193:194]
	v_fma_f64 v[215:216], v[217:218], v[213:214], v[215:216]
	v_add_f64 v[183:184], v[183:184], -v[215:216]
	ds_read2_b64 v[215:218], v253 offset0:28 offset1:29
	s_waitcnt lgkmcnt(0)
	v_mul_f64 v[193:194], v[217:218], v[211:212]
	v_fma_f64 v[193:194], v[215:216], v[213:214], -v[193:194]
	v_mul_f64 v[215:216], v[215:216], v[211:212]
	v_add_f64 v[177:178], v[177:178], -v[193:194]
	v_fma_f64 v[215:216], v[217:218], v[213:214], v[215:216]
	v_add_f64 v[179:180], v[179:180], -v[215:216]
	ds_read2_b64 v[215:218], v253 offset0:30 offset1:31
	s_waitcnt lgkmcnt(0)
	v_mul_f64 v[193:194], v[217:218], v[211:212]
	v_fma_f64 v[193:194], v[215:216], v[213:214], -v[193:194]
	v_mul_f64 v[215:216], v[215:216], v[211:212]
	v_add_f64 v[173:174], v[173:174], -v[193:194]
	v_fma_f64 v[215:216], v[217:218], v[213:214], v[215:216]
	v_add_f64 v[175:176], v[175:176], -v[215:216]
	ds_read2_b64 v[215:218], v253 offset0:32 offset1:33
	s_waitcnt lgkmcnt(0)
	v_mul_f64 v[193:194], v[217:218], v[211:212]
	v_fma_f64 v[193:194], v[215:216], v[213:214], -v[193:194]
	v_mul_f64 v[215:216], v[215:216], v[211:212]
	v_add_f64 v[169:170], v[169:170], -v[193:194]
	v_fma_f64 v[215:216], v[217:218], v[213:214], v[215:216]
	v_add_f64 v[171:172], v[171:172], -v[215:216]
	ds_read2_b64 v[215:218], v253 offset0:34 offset1:35
	s_waitcnt lgkmcnt(0)
	v_mul_f64 v[193:194], v[217:218], v[211:212]
	v_fma_f64 v[193:194], v[215:216], v[213:214], -v[193:194]
	v_mul_f64 v[215:216], v[215:216], v[211:212]
	v_add_f64 v[165:166], v[165:166], -v[193:194]
	v_fma_f64 v[215:216], v[217:218], v[213:214], v[215:216]
	v_add_f64 v[167:168], v[167:168], -v[215:216]
	ds_read2_b64 v[215:218], v253 offset0:36 offset1:37
	s_waitcnt lgkmcnt(0)
	v_mul_f64 v[193:194], v[217:218], v[211:212]
	v_fma_f64 v[193:194], v[215:216], v[213:214], -v[193:194]
	v_mul_f64 v[215:216], v[215:216], v[211:212]
	v_add_f64 v[161:162], v[161:162], -v[193:194]
	v_fma_f64 v[215:216], v[217:218], v[213:214], v[215:216]
	v_add_f64 v[163:164], v[163:164], -v[215:216]
	ds_read2_b64 v[215:218], v253 offset0:38 offset1:39
	s_waitcnt lgkmcnt(0)
	v_mul_f64 v[193:194], v[217:218], v[211:212]
	v_fma_f64 v[193:194], v[215:216], v[213:214], -v[193:194]
	v_mul_f64 v[215:216], v[215:216], v[211:212]
	v_add_f64 v[157:158], v[157:158], -v[193:194]
	v_fma_f64 v[215:216], v[217:218], v[213:214], v[215:216]
	v_add_f64 v[159:160], v[159:160], -v[215:216]
	ds_read2_b64 v[215:218], v253 offset0:40 offset1:41
	s_waitcnt lgkmcnt(0)
	v_mul_f64 v[193:194], v[217:218], v[211:212]
	v_fma_f64 v[193:194], v[215:216], v[213:214], -v[193:194]
	v_mul_f64 v[215:216], v[215:216], v[211:212]
	v_add_f64 v[153:154], v[153:154], -v[193:194]
	v_fma_f64 v[215:216], v[217:218], v[213:214], v[215:216]
	v_add_f64 v[155:156], v[155:156], -v[215:216]
	ds_read2_b64 v[215:218], v253 offset0:42 offset1:43
	s_waitcnt lgkmcnt(0)
	v_mul_f64 v[193:194], v[217:218], v[211:212]
	v_fma_f64 v[193:194], v[215:216], v[213:214], -v[193:194]
	v_mul_f64 v[215:216], v[215:216], v[211:212]
	v_add_f64 v[149:150], v[149:150], -v[193:194]
	v_fma_f64 v[215:216], v[217:218], v[213:214], v[215:216]
	v_add_f64 v[151:152], v[151:152], -v[215:216]
	ds_read2_b64 v[215:218], v253 offset0:44 offset1:45
	s_waitcnt lgkmcnt(0)
	v_mul_f64 v[193:194], v[217:218], v[211:212]
	v_fma_f64 v[193:194], v[215:216], v[213:214], -v[193:194]
	v_mul_f64 v[215:216], v[215:216], v[211:212]
	v_add_f64 v[145:146], v[145:146], -v[193:194]
	v_fma_f64 v[215:216], v[217:218], v[213:214], v[215:216]
	v_add_f64 v[147:148], v[147:148], -v[215:216]
	ds_read2_b64 v[215:218], v253 offset0:46 offset1:47
	s_waitcnt lgkmcnt(0)
	v_mul_f64 v[193:194], v[217:218], v[211:212]
	v_fma_f64 v[193:194], v[215:216], v[213:214], -v[193:194]
	v_mul_f64 v[215:216], v[215:216], v[211:212]
	v_add_f64 v[141:142], v[141:142], -v[193:194]
	v_fma_f64 v[215:216], v[217:218], v[213:214], v[215:216]
	v_add_f64 v[143:144], v[143:144], -v[215:216]
	ds_read2_b64 v[215:218], v253 offset0:48 offset1:49
	s_waitcnt lgkmcnt(0)
	v_mul_f64 v[193:194], v[217:218], v[211:212]
	v_fma_f64 v[193:194], v[215:216], v[213:214], -v[193:194]
	v_mul_f64 v[215:216], v[215:216], v[211:212]
	v_add_f64 v[137:138], v[137:138], -v[193:194]
	v_fma_f64 v[215:216], v[217:218], v[213:214], v[215:216]
	v_add_f64 v[139:140], v[139:140], -v[215:216]
	ds_read2_b64 v[215:218], v253 offset0:50 offset1:51
	s_waitcnt lgkmcnt(0)
	v_mul_f64 v[193:194], v[217:218], v[211:212]
	v_fma_f64 v[193:194], v[215:216], v[213:214], -v[193:194]
	v_mul_f64 v[215:216], v[215:216], v[211:212]
	v_add_f64 v[133:134], v[133:134], -v[193:194]
	v_fma_f64 v[215:216], v[217:218], v[213:214], v[215:216]
	v_add_f64 v[135:136], v[135:136], -v[215:216]
	ds_read2_b64 v[215:218], v253 offset0:52 offset1:53
	s_waitcnt lgkmcnt(0)
	v_mul_f64 v[193:194], v[217:218], v[211:212]
	v_fma_f64 v[193:194], v[215:216], v[213:214], -v[193:194]
	v_mul_f64 v[215:216], v[215:216], v[211:212]
	v_add_f64 v[129:130], v[129:130], -v[193:194]
	v_fma_f64 v[215:216], v[217:218], v[213:214], v[215:216]
	v_add_f64 v[131:132], v[131:132], -v[215:216]
	ds_read2_b64 v[215:218], v253 offset0:54 offset1:55
	s_waitcnt lgkmcnt(0)
	v_mul_f64 v[193:194], v[217:218], v[211:212]
	v_fma_f64 v[193:194], v[215:216], v[213:214], -v[193:194]
	v_mul_f64 v[215:216], v[215:216], v[211:212]
	v_add_f64 v[125:126], v[125:126], -v[193:194]
	v_fma_f64 v[215:216], v[217:218], v[213:214], v[215:216]
	v_add_f64 v[127:128], v[127:128], -v[215:216]
	ds_read2_b64 v[215:218], v253 offset0:56 offset1:57
	s_waitcnt lgkmcnt(0)
	v_mul_f64 v[193:194], v[217:218], v[211:212]
	v_fma_f64 v[193:194], v[215:216], v[213:214], -v[193:194]
	v_mul_f64 v[215:216], v[215:216], v[211:212]
	v_add_f64 v[121:122], v[121:122], -v[193:194]
	v_fma_f64 v[215:216], v[217:218], v[213:214], v[215:216]
	v_add_f64 v[123:124], v[123:124], -v[215:216]
	ds_read2_b64 v[215:218], v253 offset0:58 offset1:59
	s_waitcnt lgkmcnt(0)
	v_mul_f64 v[193:194], v[217:218], v[211:212]
	v_fma_f64 v[193:194], v[215:216], v[213:214], -v[193:194]
	v_mul_f64 v[215:216], v[215:216], v[211:212]
	v_add_f64 v[117:118], v[117:118], -v[193:194]
	v_fma_f64 v[215:216], v[217:218], v[213:214], v[215:216]
	v_add_f64 v[119:120], v[119:120], -v[215:216]
	ds_read2_b64 v[215:218], v253 offset0:60 offset1:61
	s_waitcnt lgkmcnt(0)
	v_mul_f64 v[193:194], v[217:218], v[211:212]
	v_fma_f64 v[193:194], v[215:216], v[213:214], -v[193:194]
	v_mul_f64 v[215:216], v[215:216], v[211:212]
	v_add_f64 v[113:114], v[113:114], -v[193:194]
	v_fma_f64 v[215:216], v[217:218], v[213:214], v[215:216]
	v_add_f64 v[115:116], v[115:116], -v[215:216]
	ds_read2_b64 v[215:218], v253 offset0:62 offset1:63
	s_waitcnt lgkmcnt(0)
	v_mul_f64 v[193:194], v[217:218], v[211:212]
	v_fma_f64 v[193:194], v[215:216], v[213:214], -v[193:194]
	v_mul_f64 v[215:216], v[215:216], v[211:212]
	v_add_f64 v[109:110], v[109:110], -v[193:194]
	v_fma_f64 v[215:216], v[217:218], v[213:214], v[215:216]
	v_add_f64 v[111:112], v[111:112], -v[215:216]
	ds_read2_b64 v[215:218], v253 offset0:64 offset1:65
	s_waitcnt lgkmcnt(0)
	v_mul_f64 v[193:194], v[217:218], v[211:212]
	v_fma_f64 v[193:194], v[215:216], v[213:214], -v[193:194]
	v_mul_f64 v[215:216], v[215:216], v[211:212]
	v_add_f64 v[105:106], v[105:106], -v[193:194]
	v_fma_f64 v[215:216], v[217:218], v[213:214], v[215:216]
	v_add_f64 v[107:108], v[107:108], -v[215:216]
	ds_read2_b64 v[215:218], v253 offset0:66 offset1:67
	s_waitcnt lgkmcnt(0)
	v_mul_f64 v[193:194], v[217:218], v[211:212]
	v_fma_f64 v[193:194], v[215:216], v[213:214], -v[193:194]
	v_mul_f64 v[215:216], v[215:216], v[211:212]
	v_add_f64 v[101:102], v[101:102], -v[193:194]
	v_fma_f64 v[215:216], v[217:218], v[213:214], v[215:216]
	v_add_f64 v[103:104], v[103:104], -v[215:216]
	ds_read2_b64 v[215:218], v253 offset0:68 offset1:69
	s_waitcnt lgkmcnt(0)
	v_mul_f64 v[193:194], v[217:218], v[211:212]
	v_fma_f64 v[193:194], v[215:216], v[213:214], -v[193:194]
	v_mul_f64 v[215:216], v[215:216], v[211:212]
	v_add_f64 v[97:98], v[97:98], -v[193:194]
	v_fma_f64 v[215:216], v[217:218], v[213:214], v[215:216]
	v_add_f64 v[99:100], v[99:100], -v[215:216]
	ds_read2_b64 v[215:218], v253 offset0:70 offset1:71
	s_waitcnt lgkmcnt(0)
	v_mul_f64 v[193:194], v[217:218], v[211:212]
	v_fma_f64 v[193:194], v[215:216], v[213:214], -v[193:194]
	v_mul_f64 v[215:216], v[215:216], v[211:212]
	v_add_f64 v[93:94], v[93:94], -v[193:194]
	v_fma_f64 v[215:216], v[217:218], v[213:214], v[215:216]
	v_add_f64 v[95:96], v[95:96], -v[215:216]
	ds_read2_b64 v[215:218], v253 offset0:72 offset1:73
	s_waitcnt lgkmcnt(0)
	v_mul_f64 v[193:194], v[217:218], v[211:212]
	v_fma_f64 v[193:194], v[215:216], v[213:214], -v[193:194]
	v_mul_f64 v[215:216], v[215:216], v[211:212]
	v_add_f64 v[89:90], v[89:90], -v[193:194]
	v_fma_f64 v[215:216], v[217:218], v[213:214], v[215:216]
	v_add_f64 v[91:92], v[91:92], -v[215:216]
	ds_read2_b64 v[215:218], v253 offset0:74 offset1:75
	s_waitcnt lgkmcnt(0)
	v_mul_f64 v[193:194], v[217:218], v[211:212]
	v_fma_f64 v[193:194], v[215:216], v[213:214], -v[193:194]
	v_mul_f64 v[215:216], v[215:216], v[211:212]
	v_add_f64 v[85:86], v[85:86], -v[193:194]
	v_fma_f64 v[215:216], v[217:218], v[213:214], v[215:216]
	v_add_f64 v[87:88], v[87:88], -v[215:216]
	ds_read2_b64 v[215:218], v253 offset0:76 offset1:77
	s_waitcnt lgkmcnt(0)
	v_mul_f64 v[193:194], v[217:218], v[211:212]
	v_fma_f64 v[193:194], v[215:216], v[213:214], -v[193:194]
	v_mul_f64 v[215:216], v[215:216], v[211:212]
	v_add_f64 v[81:82], v[81:82], -v[193:194]
	v_fma_f64 v[215:216], v[217:218], v[213:214], v[215:216]
	v_add_f64 v[83:84], v[83:84], -v[215:216]
	ds_read2_b64 v[215:218], v253 offset0:78 offset1:79
	s_waitcnt lgkmcnt(0)
	v_mul_f64 v[193:194], v[217:218], v[211:212]
	v_fma_f64 v[193:194], v[215:216], v[213:214], -v[193:194]
	v_mul_f64 v[215:216], v[215:216], v[211:212]
	v_add_f64 v[77:78], v[77:78], -v[193:194]
	v_fma_f64 v[215:216], v[217:218], v[213:214], v[215:216]
	v_add_f64 v[79:80], v[79:80], -v[215:216]
	ds_read2_b64 v[215:218], v253 offset0:80 offset1:81
	s_waitcnt lgkmcnt(0)
	v_mul_f64 v[193:194], v[217:218], v[211:212]
	v_fma_f64 v[193:194], v[215:216], v[213:214], -v[193:194]
	v_mul_f64 v[215:216], v[215:216], v[211:212]
	v_add_f64 v[73:74], v[73:74], -v[193:194]
	v_fma_f64 v[215:216], v[217:218], v[213:214], v[215:216]
	v_add_f64 v[75:76], v[75:76], -v[215:216]
	ds_read2_b64 v[215:218], v253 offset0:82 offset1:83
	s_waitcnt lgkmcnt(0)
	v_mul_f64 v[193:194], v[217:218], v[211:212]
	v_fma_f64 v[193:194], v[215:216], v[213:214], -v[193:194]
	v_mul_f64 v[215:216], v[215:216], v[211:212]
	v_add_f64 v[69:70], v[69:70], -v[193:194]
	v_fma_f64 v[215:216], v[217:218], v[213:214], v[215:216]
	v_add_f64 v[71:72], v[71:72], -v[215:216]
	ds_read2_b64 v[215:218], v253 offset0:84 offset1:85
	s_waitcnt lgkmcnt(0)
	v_mul_f64 v[193:194], v[217:218], v[211:212]
	v_fma_f64 v[193:194], v[215:216], v[213:214], -v[193:194]
	v_mul_f64 v[215:216], v[215:216], v[211:212]
	v_add_f64 v[65:66], v[65:66], -v[193:194]
	v_fma_f64 v[215:216], v[217:218], v[213:214], v[215:216]
	v_add_f64 v[67:68], v[67:68], -v[215:216]
	ds_read2_b64 v[215:218], v253 offset0:86 offset1:87
	s_waitcnt lgkmcnt(0)
	v_mul_f64 v[193:194], v[217:218], v[211:212]
	v_fma_f64 v[193:194], v[215:216], v[213:214], -v[193:194]
	v_mul_f64 v[215:216], v[215:216], v[211:212]
	v_add_f64 v[61:62], v[61:62], -v[193:194]
	v_fma_f64 v[215:216], v[217:218], v[213:214], v[215:216]
	v_add_f64 v[63:64], v[63:64], -v[215:216]
	ds_read2_b64 v[215:218], v253 offset0:88 offset1:89
	s_waitcnt lgkmcnt(0)
	v_mul_f64 v[193:194], v[217:218], v[211:212]
	v_fma_f64 v[193:194], v[215:216], v[213:214], -v[193:194]
	v_mul_f64 v[215:216], v[215:216], v[211:212]
	v_add_f64 v[57:58], v[57:58], -v[193:194]
	v_fma_f64 v[215:216], v[217:218], v[213:214], v[215:216]
	v_add_f64 v[59:60], v[59:60], -v[215:216]
	ds_read2_b64 v[215:218], v253 offset0:90 offset1:91
	s_waitcnt lgkmcnt(0)
	v_mul_f64 v[193:194], v[217:218], v[211:212]
	v_fma_f64 v[193:194], v[215:216], v[213:214], -v[193:194]
	v_mul_f64 v[215:216], v[215:216], v[211:212]
	v_add_f64 v[53:54], v[53:54], -v[193:194]
	v_fma_f64 v[215:216], v[217:218], v[213:214], v[215:216]
	v_add_f64 v[55:56], v[55:56], -v[215:216]
	ds_read2_b64 v[215:218], v253 offset0:92 offset1:93
	s_waitcnt lgkmcnt(0)
	v_mul_f64 v[193:194], v[217:218], v[211:212]
	v_fma_f64 v[193:194], v[215:216], v[213:214], -v[193:194]
	v_mul_f64 v[215:216], v[215:216], v[211:212]
	v_add_f64 v[49:50], v[49:50], -v[193:194]
	v_fma_f64 v[215:216], v[217:218], v[213:214], v[215:216]
	v_add_f64 v[51:52], v[51:52], -v[215:216]
	ds_read2_b64 v[215:218], v253 offset0:94 offset1:95
	s_waitcnt lgkmcnt(0)
	v_mul_f64 v[193:194], v[217:218], v[211:212]
	v_fma_f64 v[193:194], v[215:216], v[213:214], -v[193:194]
	v_mul_f64 v[215:216], v[215:216], v[211:212]
	v_add_f64 v[45:46], v[45:46], -v[193:194]
	v_fma_f64 v[215:216], v[217:218], v[213:214], v[215:216]
	v_add_f64 v[47:48], v[47:48], -v[215:216]
	ds_read2_b64 v[215:218], v253 offset0:96 offset1:97
	s_waitcnt lgkmcnt(0)
	v_mul_f64 v[193:194], v[217:218], v[211:212]
	v_fma_f64 v[193:194], v[215:216], v[213:214], -v[193:194]
	v_mul_f64 v[215:216], v[215:216], v[211:212]
	v_add_f64 v[41:42], v[41:42], -v[193:194]
	v_fma_f64 v[215:216], v[217:218], v[213:214], v[215:216]
	v_add_f64 v[43:44], v[43:44], -v[215:216]
	ds_read2_b64 v[215:218], v253 offset0:98 offset1:99
	s_waitcnt lgkmcnt(0)
	v_mul_f64 v[193:194], v[217:218], v[211:212]
	v_fma_f64 v[193:194], v[215:216], v[213:214], -v[193:194]
	v_mul_f64 v[215:216], v[215:216], v[211:212]
	v_add_f64 v[37:38], v[37:38], -v[193:194]
	v_fma_f64 v[215:216], v[217:218], v[213:214], v[215:216]
	v_add_f64 v[39:40], v[39:40], -v[215:216]
	ds_read2_b64 v[215:218], v253 offset0:100 offset1:101
	s_waitcnt lgkmcnt(0)
	v_mul_f64 v[193:194], v[217:218], v[211:212]
	v_fma_f64 v[193:194], v[215:216], v[213:214], -v[193:194]
	v_mul_f64 v[215:216], v[215:216], v[211:212]
	v_add_f64 v[33:34], v[33:34], -v[193:194]
	v_fma_f64 v[215:216], v[217:218], v[213:214], v[215:216]
	v_add_f64 v[35:36], v[35:36], -v[215:216]
	ds_read2_b64 v[215:218], v253 offset0:102 offset1:103
	s_waitcnt lgkmcnt(0)
	v_mul_f64 v[193:194], v[217:218], v[211:212]
	v_fma_f64 v[193:194], v[215:216], v[213:214], -v[193:194]
	v_mul_f64 v[215:216], v[215:216], v[211:212]
	v_add_f64 v[29:30], v[29:30], -v[193:194]
	v_fma_f64 v[215:216], v[217:218], v[213:214], v[215:216]
	v_add_f64 v[31:32], v[31:32], -v[215:216]
	ds_read2_b64 v[215:218], v253 offset0:104 offset1:105
	s_waitcnt lgkmcnt(0)
	v_mul_f64 v[193:194], v[217:218], v[211:212]
	v_fma_f64 v[193:194], v[215:216], v[213:214], -v[193:194]
	v_mul_f64 v[215:216], v[215:216], v[211:212]
	v_add_f64 v[25:26], v[25:26], -v[193:194]
	v_fma_f64 v[215:216], v[217:218], v[213:214], v[215:216]
	v_add_f64 v[27:28], v[27:28], -v[215:216]
	ds_read2_b64 v[215:218], v253 offset0:106 offset1:107
	s_waitcnt lgkmcnt(0)
	v_mul_f64 v[193:194], v[217:218], v[211:212]
	v_fma_f64 v[193:194], v[215:216], v[213:214], -v[193:194]
	v_mul_f64 v[215:216], v[215:216], v[211:212]
	v_add_f64 v[21:22], v[21:22], -v[193:194]
	v_fma_f64 v[215:216], v[217:218], v[213:214], v[215:216]
	v_add_f64 v[23:24], v[23:24], -v[215:216]
	ds_read2_b64 v[215:218], v253 offset0:108 offset1:109
	s_waitcnt lgkmcnt(0)
	v_mul_f64 v[193:194], v[217:218], v[211:212]
	v_fma_f64 v[193:194], v[215:216], v[213:214], -v[193:194]
	v_mul_f64 v[215:216], v[215:216], v[211:212]
	v_add_f64 v[17:18], v[17:18], -v[193:194]
	v_fma_f64 v[215:216], v[217:218], v[213:214], v[215:216]
	v_add_f64 v[19:20], v[19:20], -v[215:216]
	ds_read2_b64 v[215:218], v253 offset0:110 offset1:111
	s_waitcnt lgkmcnt(0)
	v_mul_f64 v[193:194], v[217:218], v[211:212]
	v_fma_f64 v[193:194], v[215:216], v[213:214], -v[193:194]
	v_mul_f64 v[215:216], v[215:216], v[211:212]
	v_add_f64 v[13:14], v[13:14], -v[193:194]
	v_fma_f64 v[215:216], v[217:218], v[213:214], v[215:216]
	v_add_f64 v[15:16], v[15:16], -v[215:216]
	ds_read2_b64 v[215:218], v253 offset0:112 offset1:113
	s_waitcnt lgkmcnt(0)
	v_mul_f64 v[193:194], v[217:218], v[211:212]
	v_fma_f64 v[193:194], v[215:216], v[213:214], -v[193:194]
	v_mul_f64 v[215:216], v[215:216], v[211:212]
	v_add_f64 v[9:10], v[9:10], -v[193:194]
	v_fma_f64 v[215:216], v[217:218], v[213:214], v[215:216]
	v_add_f64 v[11:12], v[11:12], -v[215:216]
	ds_read2_b64 v[215:218], v253 offset0:114 offset1:115
	s_waitcnt lgkmcnt(0)
	v_mul_f64 v[193:194], v[217:218], v[211:212]
	v_fma_f64 v[193:194], v[215:216], v[213:214], -v[193:194]
	v_mul_f64 v[215:216], v[215:216], v[211:212]
	v_add_f64 v[5:6], v[5:6], -v[193:194]
	v_fma_f64 v[215:216], v[217:218], v[213:214], v[215:216]
	v_add_f64 v[7:8], v[7:8], -v[215:216]
	ds_read2_b64 v[215:218], v253 offset0:116 offset1:117
	s_waitcnt lgkmcnt(0)
	v_mul_f64 v[193:194], v[217:218], v[211:212]
	v_fma_f64 v[193:194], v[215:216], v[213:214], -v[193:194]
	v_mul_f64 v[215:216], v[215:216], v[211:212]
	v_add_f64 v[1:2], v[1:2], -v[193:194]
	v_fma_f64 v[215:216], v[217:218], v[213:214], v[215:216]
	v_add_f64 v[3:4], v[3:4], -v[215:216]
.LBB117_100:
	s_or_b32 exec_lo, exec_lo, s1
	s_mov_b32 s2, exec_lo
	s_waitcnt_vscnt null, 0x0
	s_barrier
	buffer_gl0_inv
	v_cmpx_eq_u32_e32 11, v0
	s_cbranch_execz .LBB117_107
; %bb.101:
	ds_write2_b64 v255, v[189:190], v[191:192] offset1:1
	ds_write2_b64 v253, v[185:186], v[187:188] offset0:24 offset1:25
	ds_write2_b64 v253, v[181:182], v[183:184] offset0:26 offset1:27
	;; [unrolled: 1-line block ×47, first 2 shown]
	ds_read2_b64 v[213:216], v255 offset1:1
	s_waitcnt lgkmcnt(0)
	v_cmp_neq_f64_e32 vcc_lo, 0, v[213:214]
	v_cmp_neq_f64_e64 s1, 0, v[215:216]
	s_or_b32 s1, vcc_lo, s1
	s_and_b32 exec_lo, exec_lo, s1
	s_cbranch_execz .LBB117_107
; %bb.102:
	v_cmp_ngt_f64_e64 s1, |v[213:214]|, |v[215:216]|
                                        ; implicit-def: $vgpr217_vgpr218
	s_and_saveexec_b32 s3, s1
	s_xor_b32 s1, exec_lo, s3
                                        ; implicit-def: $vgpr219_vgpr220
	s_cbranch_execz .LBB117_104
; %bb.103:
	v_div_scale_f64 v[217:218], null, v[215:216], v[215:216], v[213:214]
	v_div_scale_f64 v[223:224], vcc_lo, v[213:214], v[215:216], v[213:214]
	v_rcp_f64_e32 v[219:220], v[217:218]
	v_fma_f64 v[221:222], -v[217:218], v[219:220], 1.0
	v_fma_f64 v[219:220], v[219:220], v[221:222], v[219:220]
	v_fma_f64 v[221:222], -v[217:218], v[219:220], 1.0
	v_fma_f64 v[219:220], v[219:220], v[221:222], v[219:220]
	v_mul_f64 v[221:222], v[223:224], v[219:220]
	v_fma_f64 v[217:218], -v[217:218], v[221:222], v[223:224]
	v_div_fmas_f64 v[217:218], v[217:218], v[219:220], v[221:222]
	v_div_fixup_f64 v[217:218], v[217:218], v[215:216], v[213:214]
	v_fma_f64 v[213:214], v[213:214], v[217:218], v[215:216]
	v_div_scale_f64 v[215:216], null, v[213:214], v[213:214], 1.0
	v_rcp_f64_e32 v[219:220], v[215:216]
	v_fma_f64 v[221:222], -v[215:216], v[219:220], 1.0
	v_fma_f64 v[219:220], v[219:220], v[221:222], v[219:220]
	v_fma_f64 v[221:222], -v[215:216], v[219:220], 1.0
	v_fma_f64 v[219:220], v[219:220], v[221:222], v[219:220]
	v_div_scale_f64 v[221:222], vcc_lo, 1.0, v[213:214], 1.0
	v_mul_f64 v[223:224], v[221:222], v[219:220]
	v_fma_f64 v[215:216], -v[215:216], v[223:224], v[221:222]
	v_div_fmas_f64 v[215:216], v[215:216], v[219:220], v[223:224]
	v_div_fixup_f64 v[219:220], v[215:216], v[213:214], 1.0
                                        ; implicit-def: $vgpr213_vgpr214
	v_mul_f64 v[217:218], v[217:218], v[219:220]
	v_xor_b32_e32 v220, 0x80000000, v220
.LBB117_104:
	s_andn2_saveexec_b32 s1, s1
	s_cbranch_execz .LBB117_106
; %bb.105:
	v_div_scale_f64 v[217:218], null, v[213:214], v[213:214], v[215:216]
	v_div_scale_f64 v[223:224], vcc_lo, v[215:216], v[213:214], v[215:216]
	v_rcp_f64_e32 v[219:220], v[217:218]
	v_fma_f64 v[221:222], -v[217:218], v[219:220], 1.0
	v_fma_f64 v[219:220], v[219:220], v[221:222], v[219:220]
	v_fma_f64 v[221:222], -v[217:218], v[219:220], 1.0
	v_fma_f64 v[219:220], v[219:220], v[221:222], v[219:220]
	v_mul_f64 v[221:222], v[223:224], v[219:220]
	v_fma_f64 v[217:218], -v[217:218], v[221:222], v[223:224]
	v_div_fmas_f64 v[217:218], v[217:218], v[219:220], v[221:222]
	v_div_fixup_f64 v[219:220], v[217:218], v[213:214], v[215:216]
	v_fma_f64 v[213:214], v[215:216], v[219:220], v[213:214]
	v_div_scale_f64 v[215:216], null, v[213:214], v[213:214], 1.0
	v_rcp_f64_e32 v[217:218], v[215:216]
	v_fma_f64 v[221:222], -v[215:216], v[217:218], 1.0
	v_fma_f64 v[217:218], v[217:218], v[221:222], v[217:218]
	v_fma_f64 v[221:222], -v[215:216], v[217:218], 1.0
	v_fma_f64 v[217:218], v[217:218], v[221:222], v[217:218]
	v_div_scale_f64 v[221:222], vcc_lo, 1.0, v[213:214], 1.0
	v_mul_f64 v[223:224], v[221:222], v[217:218]
	v_fma_f64 v[215:216], -v[215:216], v[223:224], v[221:222]
	v_div_fmas_f64 v[215:216], v[215:216], v[217:218], v[223:224]
	v_div_fixup_f64 v[217:218], v[215:216], v[213:214], 1.0
	v_mul_f64 v[219:220], v[219:220], -v[217:218]
.LBB117_106:
	s_or_b32 exec_lo, exec_lo, s1
	ds_write2_b64 v255, v[217:218], v[219:220] offset1:1
.LBB117_107:
	s_or_b32 exec_lo, exec_lo, s2
	s_waitcnt lgkmcnt(0)
	s_barrier
	buffer_gl0_inv
	ds_read2_b64 v[193:196], v255 offset1:1
	s_mov_b32 s1, exec_lo
	s_waitcnt lgkmcnt(0)
	buffer_store_dword v193, off, s[16:19], 0 offset:728 ; 4-byte Folded Spill
	buffer_store_dword v194, off, s[16:19], 0 offset:732 ; 4-byte Folded Spill
	;; [unrolled: 1-line block ×4, first 2 shown]
	v_cmpx_lt_u32_e32 11, v0
	s_cbranch_execz .LBB117_109
; %bb.108:
	s_clause 0x3
	buffer_load_dword v193, off, s[16:19], 0 offset:728
	buffer_load_dword v194, off, s[16:19], 0 offset:732
	;; [unrolled: 1-line block ×4, first 2 shown]
	ds_read2_b64 v[215:218], v253 offset0:24 offset1:25
	s_waitcnt vmcnt(0)
	v_mul_f64 v[213:214], v[195:196], v[191:192]
	v_mul_f64 v[191:192], v[193:194], v[191:192]
	v_fma_f64 v[213:214], v[193:194], v[189:190], -v[213:214]
	v_fma_f64 v[191:192], v[195:196], v[189:190], v[191:192]
	s_waitcnt lgkmcnt(0)
	v_mul_f64 v[189:190], v[217:218], v[191:192]
	v_fma_f64 v[189:190], v[215:216], v[213:214], -v[189:190]
	v_mul_f64 v[215:216], v[215:216], v[191:192]
	v_add_f64 v[185:186], v[185:186], -v[189:190]
	v_fma_f64 v[215:216], v[217:218], v[213:214], v[215:216]
	v_add_f64 v[187:188], v[187:188], -v[215:216]
	ds_read2_b64 v[215:218], v253 offset0:26 offset1:27
	s_waitcnt lgkmcnt(0)
	v_mul_f64 v[189:190], v[217:218], v[191:192]
	v_fma_f64 v[189:190], v[215:216], v[213:214], -v[189:190]
	v_mul_f64 v[215:216], v[215:216], v[191:192]
	v_add_f64 v[181:182], v[181:182], -v[189:190]
	v_fma_f64 v[215:216], v[217:218], v[213:214], v[215:216]
	v_add_f64 v[183:184], v[183:184], -v[215:216]
	ds_read2_b64 v[215:218], v253 offset0:28 offset1:29
	;; [unrolled: 8-line block ×46, first 2 shown]
	s_waitcnt lgkmcnt(0)
	v_mul_f64 v[189:190], v[217:218], v[191:192]
	v_fma_f64 v[189:190], v[215:216], v[213:214], -v[189:190]
	v_mul_f64 v[215:216], v[215:216], v[191:192]
	v_add_f64 v[1:2], v[1:2], -v[189:190]
	v_fma_f64 v[215:216], v[217:218], v[213:214], v[215:216]
	v_mov_b32_e32 v189, v213
	v_mov_b32_e32 v190, v214
	v_add_f64 v[3:4], v[3:4], -v[215:216]
.LBB117_109:
	s_or_b32 exec_lo, exec_lo, s1
	s_mov_b32 s2, exec_lo
	s_waitcnt_vscnt null, 0x0
	s_barrier
	buffer_gl0_inv
	v_cmpx_eq_u32_e32 12, v0
	s_cbranch_execz .LBB117_116
; %bb.110:
	ds_write2_b64 v255, v[185:186], v[187:188] offset1:1
	ds_write2_b64 v253, v[181:182], v[183:184] offset0:26 offset1:27
	ds_write2_b64 v253, v[177:178], v[179:180] offset0:28 offset1:29
	;; [unrolled: 1-line block ×46, first 2 shown]
	ds_read2_b64 v[213:216], v255 offset1:1
	s_waitcnt lgkmcnt(0)
	v_cmp_neq_f64_e32 vcc_lo, 0, v[213:214]
	v_cmp_neq_f64_e64 s1, 0, v[215:216]
	s_or_b32 s1, vcc_lo, s1
	s_and_b32 exec_lo, exec_lo, s1
	s_cbranch_execz .LBB117_116
; %bb.111:
	v_cmp_ngt_f64_e64 s1, |v[213:214]|, |v[215:216]|
                                        ; implicit-def: $vgpr217_vgpr218
	s_and_saveexec_b32 s3, s1
	s_xor_b32 s1, exec_lo, s3
                                        ; implicit-def: $vgpr219_vgpr220
	s_cbranch_execz .LBB117_113
; %bb.112:
	v_div_scale_f64 v[217:218], null, v[215:216], v[215:216], v[213:214]
	v_div_scale_f64 v[223:224], vcc_lo, v[213:214], v[215:216], v[213:214]
	v_rcp_f64_e32 v[219:220], v[217:218]
	v_fma_f64 v[221:222], -v[217:218], v[219:220], 1.0
	v_fma_f64 v[219:220], v[219:220], v[221:222], v[219:220]
	v_fma_f64 v[221:222], -v[217:218], v[219:220], 1.0
	v_fma_f64 v[219:220], v[219:220], v[221:222], v[219:220]
	v_mul_f64 v[221:222], v[223:224], v[219:220]
	v_fma_f64 v[217:218], -v[217:218], v[221:222], v[223:224]
	v_div_fmas_f64 v[217:218], v[217:218], v[219:220], v[221:222]
	v_div_fixup_f64 v[217:218], v[217:218], v[215:216], v[213:214]
	v_fma_f64 v[213:214], v[213:214], v[217:218], v[215:216]
	v_div_scale_f64 v[215:216], null, v[213:214], v[213:214], 1.0
	v_rcp_f64_e32 v[219:220], v[215:216]
	v_fma_f64 v[221:222], -v[215:216], v[219:220], 1.0
	v_fma_f64 v[219:220], v[219:220], v[221:222], v[219:220]
	v_fma_f64 v[221:222], -v[215:216], v[219:220], 1.0
	v_fma_f64 v[219:220], v[219:220], v[221:222], v[219:220]
	v_div_scale_f64 v[221:222], vcc_lo, 1.0, v[213:214], 1.0
	v_mul_f64 v[223:224], v[221:222], v[219:220]
	v_fma_f64 v[215:216], -v[215:216], v[223:224], v[221:222]
	v_div_fmas_f64 v[215:216], v[215:216], v[219:220], v[223:224]
	v_div_fixup_f64 v[219:220], v[215:216], v[213:214], 1.0
                                        ; implicit-def: $vgpr213_vgpr214
	v_mul_f64 v[217:218], v[217:218], v[219:220]
	v_xor_b32_e32 v220, 0x80000000, v220
.LBB117_113:
	s_andn2_saveexec_b32 s1, s1
	s_cbranch_execz .LBB117_115
; %bb.114:
	v_div_scale_f64 v[217:218], null, v[213:214], v[213:214], v[215:216]
	v_div_scale_f64 v[223:224], vcc_lo, v[215:216], v[213:214], v[215:216]
	v_rcp_f64_e32 v[219:220], v[217:218]
	v_fma_f64 v[221:222], -v[217:218], v[219:220], 1.0
	v_fma_f64 v[219:220], v[219:220], v[221:222], v[219:220]
	v_fma_f64 v[221:222], -v[217:218], v[219:220], 1.0
	v_fma_f64 v[219:220], v[219:220], v[221:222], v[219:220]
	v_mul_f64 v[221:222], v[223:224], v[219:220]
	v_fma_f64 v[217:218], -v[217:218], v[221:222], v[223:224]
	v_div_fmas_f64 v[217:218], v[217:218], v[219:220], v[221:222]
	v_div_fixup_f64 v[219:220], v[217:218], v[213:214], v[215:216]
	v_fma_f64 v[213:214], v[215:216], v[219:220], v[213:214]
	v_div_scale_f64 v[215:216], null, v[213:214], v[213:214], 1.0
	v_rcp_f64_e32 v[217:218], v[215:216]
	v_fma_f64 v[221:222], -v[215:216], v[217:218], 1.0
	v_fma_f64 v[217:218], v[217:218], v[221:222], v[217:218]
	v_fma_f64 v[221:222], -v[215:216], v[217:218], 1.0
	v_fma_f64 v[217:218], v[217:218], v[221:222], v[217:218]
	v_div_scale_f64 v[221:222], vcc_lo, 1.0, v[213:214], 1.0
	v_mul_f64 v[223:224], v[221:222], v[217:218]
	v_fma_f64 v[215:216], -v[215:216], v[223:224], v[221:222]
	v_div_fmas_f64 v[215:216], v[215:216], v[217:218], v[223:224]
	v_div_fixup_f64 v[217:218], v[215:216], v[213:214], 1.0
	v_mul_f64 v[219:220], v[219:220], -v[217:218]
.LBB117_115:
	s_or_b32 exec_lo, exec_lo, s1
	ds_write2_b64 v255, v[217:218], v[219:220] offset1:1
.LBB117_116:
	s_or_b32 exec_lo, exec_lo, s2
	s_waitcnt lgkmcnt(0)
	s_barrier
	buffer_gl0_inv
	ds_read2_b64 v[193:196], v255 offset1:1
	s_mov_b32 s1, exec_lo
	s_waitcnt lgkmcnt(0)
	buffer_store_dword v193, off, s[16:19], 0 offset:744 ; 4-byte Folded Spill
	buffer_store_dword v194, off, s[16:19], 0 offset:748 ; 4-byte Folded Spill
	;; [unrolled: 1-line block ×4, first 2 shown]
	v_cmpx_lt_u32_e32 12, v0
	s_cbranch_execz .LBB117_118
; %bb.117:
	s_clause 0x3
	buffer_load_dword v193, off, s[16:19], 0 offset:744
	buffer_load_dword v194, off, s[16:19], 0 offset:748
	;; [unrolled: 1-line block ×4, first 2 shown]
	ds_read2_b64 v[215:218], v253 offset0:26 offset1:27
	s_waitcnt vmcnt(0)
	v_mul_f64 v[213:214], v[195:196], v[187:188]
	v_mul_f64 v[187:188], v[193:194], v[187:188]
	v_fma_f64 v[213:214], v[193:194], v[185:186], -v[213:214]
	v_fma_f64 v[187:188], v[195:196], v[185:186], v[187:188]
	s_waitcnt lgkmcnt(0)
	v_mul_f64 v[185:186], v[217:218], v[187:188]
	v_fma_f64 v[185:186], v[215:216], v[213:214], -v[185:186]
	v_mul_f64 v[215:216], v[215:216], v[187:188]
	v_add_f64 v[181:182], v[181:182], -v[185:186]
	v_fma_f64 v[215:216], v[217:218], v[213:214], v[215:216]
	v_add_f64 v[183:184], v[183:184], -v[215:216]
	ds_read2_b64 v[215:218], v253 offset0:28 offset1:29
	s_waitcnt lgkmcnt(0)
	v_mul_f64 v[185:186], v[217:218], v[187:188]
	v_fma_f64 v[185:186], v[215:216], v[213:214], -v[185:186]
	v_mul_f64 v[215:216], v[215:216], v[187:188]
	v_add_f64 v[177:178], v[177:178], -v[185:186]
	v_fma_f64 v[215:216], v[217:218], v[213:214], v[215:216]
	v_add_f64 v[179:180], v[179:180], -v[215:216]
	ds_read2_b64 v[215:218], v253 offset0:30 offset1:31
	;; [unrolled: 8-line block ×45, first 2 shown]
	s_waitcnt lgkmcnt(0)
	v_mul_f64 v[185:186], v[217:218], v[187:188]
	v_fma_f64 v[185:186], v[215:216], v[213:214], -v[185:186]
	v_mul_f64 v[215:216], v[215:216], v[187:188]
	v_add_f64 v[1:2], v[1:2], -v[185:186]
	v_fma_f64 v[215:216], v[217:218], v[213:214], v[215:216]
	v_mov_b32_e32 v185, v213
	v_mov_b32_e32 v186, v214
	v_add_f64 v[3:4], v[3:4], -v[215:216]
.LBB117_118:
	s_or_b32 exec_lo, exec_lo, s1
	s_mov_b32 s2, exec_lo
	s_waitcnt_vscnt null, 0x0
	s_barrier
	buffer_gl0_inv
	v_cmpx_eq_u32_e32 13, v0
	s_cbranch_execz .LBB117_125
; %bb.119:
	ds_write2_b64 v255, v[181:182], v[183:184] offset1:1
	ds_write2_b64 v253, v[177:178], v[179:180] offset0:28 offset1:29
	ds_write2_b64 v253, v[173:174], v[175:176] offset0:30 offset1:31
	;; [unrolled: 1-line block ×45, first 2 shown]
	ds_read2_b64 v[213:216], v255 offset1:1
	s_waitcnt lgkmcnt(0)
	v_cmp_neq_f64_e32 vcc_lo, 0, v[213:214]
	v_cmp_neq_f64_e64 s1, 0, v[215:216]
	s_or_b32 s1, vcc_lo, s1
	s_and_b32 exec_lo, exec_lo, s1
	s_cbranch_execz .LBB117_125
; %bb.120:
	v_cmp_ngt_f64_e64 s1, |v[213:214]|, |v[215:216]|
                                        ; implicit-def: $vgpr217_vgpr218
	s_and_saveexec_b32 s3, s1
	s_xor_b32 s1, exec_lo, s3
                                        ; implicit-def: $vgpr219_vgpr220
	s_cbranch_execz .LBB117_122
; %bb.121:
	v_div_scale_f64 v[217:218], null, v[215:216], v[215:216], v[213:214]
	v_div_scale_f64 v[223:224], vcc_lo, v[213:214], v[215:216], v[213:214]
	v_rcp_f64_e32 v[219:220], v[217:218]
	v_fma_f64 v[221:222], -v[217:218], v[219:220], 1.0
	v_fma_f64 v[219:220], v[219:220], v[221:222], v[219:220]
	v_fma_f64 v[221:222], -v[217:218], v[219:220], 1.0
	v_fma_f64 v[219:220], v[219:220], v[221:222], v[219:220]
	v_mul_f64 v[221:222], v[223:224], v[219:220]
	v_fma_f64 v[217:218], -v[217:218], v[221:222], v[223:224]
	v_div_fmas_f64 v[217:218], v[217:218], v[219:220], v[221:222]
	v_div_fixup_f64 v[217:218], v[217:218], v[215:216], v[213:214]
	v_fma_f64 v[213:214], v[213:214], v[217:218], v[215:216]
	v_div_scale_f64 v[215:216], null, v[213:214], v[213:214], 1.0
	v_rcp_f64_e32 v[219:220], v[215:216]
	v_fma_f64 v[221:222], -v[215:216], v[219:220], 1.0
	v_fma_f64 v[219:220], v[219:220], v[221:222], v[219:220]
	v_fma_f64 v[221:222], -v[215:216], v[219:220], 1.0
	v_fma_f64 v[219:220], v[219:220], v[221:222], v[219:220]
	v_div_scale_f64 v[221:222], vcc_lo, 1.0, v[213:214], 1.0
	v_mul_f64 v[223:224], v[221:222], v[219:220]
	v_fma_f64 v[215:216], -v[215:216], v[223:224], v[221:222]
	v_div_fmas_f64 v[215:216], v[215:216], v[219:220], v[223:224]
	v_div_fixup_f64 v[219:220], v[215:216], v[213:214], 1.0
                                        ; implicit-def: $vgpr213_vgpr214
	v_mul_f64 v[217:218], v[217:218], v[219:220]
	v_xor_b32_e32 v220, 0x80000000, v220
.LBB117_122:
	s_andn2_saveexec_b32 s1, s1
	s_cbranch_execz .LBB117_124
; %bb.123:
	v_div_scale_f64 v[217:218], null, v[213:214], v[213:214], v[215:216]
	v_div_scale_f64 v[223:224], vcc_lo, v[215:216], v[213:214], v[215:216]
	v_rcp_f64_e32 v[219:220], v[217:218]
	v_fma_f64 v[221:222], -v[217:218], v[219:220], 1.0
	v_fma_f64 v[219:220], v[219:220], v[221:222], v[219:220]
	v_fma_f64 v[221:222], -v[217:218], v[219:220], 1.0
	v_fma_f64 v[219:220], v[219:220], v[221:222], v[219:220]
	v_mul_f64 v[221:222], v[223:224], v[219:220]
	v_fma_f64 v[217:218], -v[217:218], v[221:222], v[223:224]
	v_div_fmas_f64 v[217:218], v[217:218], v[219:220], v[221:222]
	v_div_fixup_f64 v[219:220], v[217:218], v[213:214], v[215:216]
	v_fma_f64 v[213:214], v[215:216], v[219:220], v[213:214]
	v_div_scale_f64 v[215:216], null, v[213:214], v[213:214], 1.0
	v_rcp_f64_e32 v[217:218], v[215:216]
	v_fma_f64 v[221:222], -v[215:216], v[217:218], 1.0
	v_fma_f64 v[217:218], v[217:218], v[221:222], v[217:218]
	v_fma_f64 v[221:222], -v[215:216], v[217:218], 1.0
	v_fma_f64 v[217:218], v[217:218], v[221:222], v[217:218]
	v_div_scale_f64 v[221:222], vcc_lo, 1.0, v[213:214], 1.0
	v_mul_f64 v[223:224], v[221:222], v[217:218]
	v_fma_f64 v[215:216], -v[215:216], v[223:224], v[221:222]
	v_div_fmas_f64 v[215:216], v[215:216], v[217:218], v[223:224]
	v_div_fixup_f64 v[217:218], v[215:216], v[213:214], 1.0
	v_mul_f64 v[219:220], v[219:220], -v[217:218]
.LBB117_124:
	s_or_b32 exec_lo, exec_lo, s1
	ds_write2_b64 v255, v[217:218], v[219:220] offset1:1
.LBB117_125:
	s_or_b32 exec_lo, exec_lo, s2
	s_waitcnt lgkmcnt(0)
	s_barrier
	buffer_gl0_inv
	ds_read2_b64 v[193:196], v255 offset1:1
	s_mov_b32 s1, exec_lo
	s_waitcnt lgkmcnt(0)
	buffer_store_dword v193, off, s[16:19], 0 offset:760 ; 4-byte Folded Spill
	buffer_store_dword v194, off, s[16:19], 0 offset:764 ; 4-byte Folded Spill
	;; [unrolled: 1-line block ×4, first 2 shown]
	v_cmpx_lt_u32_e32 13, v0
	s_cbranch_execz .LBB117_127
; %bb.126:
	s_clause 0x3
	buffer_load_dword v193, off, s[16:19], 0 offset:760
	buffer_load_dword v194, off, s[16:19], 0 offset:764
	;; [unrolled: 1-line block ×4, first 2 shown]
	ds_read2_b64 v[215:218], v253 offset0:28 offset1:29
	s_waitcnt vmcnt(0)
	v_mul_f64 v[213:214], v[195:196], v[183:184]
	v_mul_f64 v[183:184], v[193:194], v[183:184]
	v_fma_f64 v[213:214], v[193:194], v[181:182], -v[213:214]
	v_fma_f64 v[183:184], v[195:196], v[181:182], v[183:184]
	s_waitcnt lgkmcnt(0)
	v_mul_f64 v[181:182], v[217:218], v[183:184]
	v_fma_f64 v[181:182], v[215:216], v[213:214], -v[181:182]
	v_mul_f64 v[215:216], v[215:216], v[183:184]
	v_add_f64 v[177:178], v[177:178], -v[181:182]
	v_fma_f64 v[215:216], v[217:218], v[213:214], v[215:216]
	v_add_f64 v[179:180], v[179:180], -v[215:216]
	ds_read2_b64 v[215:218], v253 offset0:30 offset1:31
	s_waitcnt lgkmcnt(0)
	v_mul_f64 v[181:182], v[217:218], v[183:184]
	v_fma_f64 v[181:182], v[215:216], v[213:214], -v[181:182]
	v_mul_f64 v[215:216], v[215:216], v[183:184]
	v_add_f64 v[173:174], v[173:174], -v[181:182]
	v_fma_f64 v[215:216], v[217:218], v[213:214], v[215:216]
	v_add_f64 v[175:176], v[175:176], -v[215:216]
	ds_read2_b64 v[215:218], v253 offset0:32 offset1:33
	;; [unrolled: 8-line block ×44, first 2 shown]
	s_waitcnt lgkmcnt(0)
	v_mul_f64 v[181:182], v[217:218], v[183:184]
	v_fma_f64 v[181:182], v[215:216], v[213:214], -v[181:182]
	v_mul_f64 v[215:216], v[215:216], v[183:184]
	v_add_f64 v[1:2], v[1:2], -v[181:182]
	v_fma_f64 v[215:216], v[217:218], v[213:214], v[215:216]
	v_mov_b32_e32 v181, v213
	v_mov_b32_e32 v182, v214
	v_add_f64 v[3:4], v[3:4], -v[215:216]
.LBB117_127:
	s_or_b32 exec_lo, exec_lo, s1
	s_mov_b32 s2, exec_lo
	s_waitcnt_vscnt null, 0x0
	s_barrier
	buffer_gl0_inv
	v_cmpx_eq_u32_e32 14, v0
	s_cbranch_execz .LBB117_134
; %bb.128:
	ds_write2_b64 v255, v[177:178], v[179:180] offset1:1
	ds_write2_b64 v253, v[173:174], v[175:176] offset0:30 offset1:31
	ds_write2_b64 v253, v[169:170], v[171:172] offset0:32 offset1:33
	;; [unrolled: 1-line block ×44, first 2 shown]
	ds_read2_b64 v[213:216], v255 offset1:1
	s_waitcnt lgkmcnt(0)
	v_cmp_neq_f64_e32 vcc_lo, 0, v[213:214]
	v_cmp_neq_f64_e64 s1, 0, v[215:216]
	s_or_b32 s1, vcc_lo, s1
	s_and_b32 exec_lo, exec_lo, s1
	s_cbranch_execz .LBB117_134
; %bb.129:
	v_cmp_ngt_f64_e64 s1, |v[213:214]|, |v[215:216]|
                                        ; implicit-def: $vgpr217_vgpr218
	s_and_saveexec_b32 s3, s1
	s_xor_b32 s1, exec_lo, s3
                                        ; implicit-def: $vgpr219_vgpr220
	s_cbranch_execz .LBB117_131
; %bb.130:
	v_div_scale_f64 v[217:218], null, v[215:216], v[215:216], v[213:214]
	v_div_scale_f64 v[223:224], vcc_lo, v[213:214], v[215:216], v[213:214]
	v_rcp_f64_e32 v[219:220], v[217:218]
	v_fma_f64 v[221:222], -v[217:218], v[219:220], 1.0
	v_fma_f64 v[219:220], v[219:220], v[221:222], v[219:220]
	v_fma_f64 v[221:222], -v[217:218], v[219:220], 1.0
	v_fma_f64 v[219:220], v[219:220], v[221:222], v[219:220]
	v_mul_f64 v[221:222], v[223:224], v[219:220]
	v_fma_f64 v[217:218], -v[217:218], v[221:222], v[223:224]
	v_div_fmas_f64 v[217:218], v[217:218], v[219:220], v[221:222]
	v_div_fixup_f64 v[217:218], v[217:218], v[215:216], v[213:214]
	v_fma_f64 v[213:214], v[213:214], v[217:218], v[215:216]
	v_div_scale_f64 v[215:216], null, v[213:214], v[213:214], 1.0
	v_rcp_f64_e32 v[219:220], v[215:216]
	v_fma_f64 v[221:222], -v[215:216], v[219:220], 1.0
	v_fma_f64 v[219:220], v[219:220], v[221:222], v[219:220]
	v_fma_f64 v[221:222], -v[215:216], v[219:220], 1.0
	v_fma_f64 v[219:220], v[219:220], v[221:222], v[219:220]
	v_div_scale_f64 v[221:222], vcc_lo, 1.0, v[213:214], 1.0
	v_mul_f64 v[223:224], v[221:222], v[219:220]
	v_fma_f64 v[215:216], -v[215:216], v[223:224], v[221:222]
	v_div_fmas_f64 v[215:216], v[215:216], v[219:220], v[223:224]
	v_div_fixup_f64 v[219:220], v[215:216], v[213:214], 1.0
                                        ; implicit-def: $vgpr213_vgpr214
	v_mul_f64 v[217:218], v[217:218], v[219:220]
	v_xor_b32_e32 v220, 0x80000000, v220
.LBB117_131:
	s_andn2_saveexec_b32 s1, s1
	s_cbranch_execz .LBB117_133
; %bb.132:
	v_div_scale_f64 v[217:218], null, v[213:214], v[213:214], v[215:216]
	v_div_scale_f64 v[223:224], vcc_lo, v[215:216], v[213:214], v[215:216]
	v_rcp_f64_e32 v[219:220], v[217:218]
	v_fma_f64 v[221:222], -v[217:218], v[219:220], 1.0
	v_fma_f64 v[219:220], v[219:220], v[221:222], v[219:220]
	v_fma_f64 v[221:222], -v[217:218], v[219:220], 1.0
	v_fma_f64 v[219:220], v[219:220], v[221:222], v[219:220]
	v_mul_f64 v[221:222], v[223:224], v[219:220]
	v_fma_f64 v[217:218], -v[217:218], v[221:222], v[223:224]
	v_div_fmas_f64 v[217:218], v[217:218], v[219:220], v[221:222]
	v_div_fixup_f64 v[219:220], v[217:218], v[213:214], v[215:216]
	v_fma_f64 v[213:214], v[215:216], v[219:220], v[213:214]
	v_div_scale_f64 v[215:216], null, v[213:214], v[213:214], 1.0
	v_rcp_f64_e32 v[217:218], v[215:216]
	v_fma_f64 v[221:222], -v[215:216], v[217:218], 1.0
	v_fma_f64 v[217:218], v[217:218], v[221:222], v[217:218]
	v_fma_f64 v[221:222], -v[215:216], v[217:218], 1.0
	v_fma_f64 v[217:218], v[217:218], v[221:222], v[217:218]
	v_div_scale_f64 v[221:222], vcc_lo, 1.0, v[213:214], 1.0
	v_mul_f64 v[223:224], v[221:222], v[217:218]
	v_fma_f64 v[215:216], -v[215:216], v[223:224], v[221:222]
	v_div_fmas_f64 v[215:216], v[215:216], v[217:218], v[223:224]
	v_div_fixup_f64 v[217:218], v[215:216], v[213:214], 1.0
	v_mul_f64 v[219:220], v[219:220], -v[217:218]
.LBB117_133:
	s_or_b32 exec_lo, exec_lo, s1
	ds_write2_b64 v255, v[217:218], v[219:220] offset1:1
.LBB117_134:
	s_or_b32 exec_lo, exec_lo, s2
	s_waitcnt lgkmcnt(0)
	s_barrier
	buffer_gl0_inv
	ds_read2_b64 v[193:196], v255 offset1:1
	s_mov_b32 s1, exec_lo
	s_waitcnt lgkmcnt(0)
	buffer_store_dword v193, off, s[16:19], 0 offset:776 ; 4-byte Folded Spill
	buffer_store_dword v194, off, s[16:19], 0 offset:780 ; 4-byte Folded Spill
	;; [unrolled: 1-line block ×4, first 2 shown]
	v_cmpx_lt_u32_e32 14, v0
	s_cbranch_execz .LBB117_136
; %bb.135:
	s_clause 0x3
	buffer_load_dword v193, off, s[16:19], 0 offset:776
	buffer_load_dword v194, off, s[16:19], 0 offset:780
	;; [unrolled: 1-line block ×4, first 2 shown]
	ds_read2_b64 v[215:218], v253 offset0:30 offset1:31
	s_waitcnt vmcnt(0)
	v_mul_f64 v[213:214], v[195:196], v[179:180]
	v_mul_f64 v[179:180], v[193:194], v[179:180]
	v_fma_f64 v[213:214], v[193:194], v[177:178], -v[213:214]
	v_fma_f64 v[179:180], v[195:196], v[177:178], v[179:180]
	s_waitcnt lgkmcnt(0)
	v_mul_f64 v[177:178], v[217:218], v[179:180]
	v_fma_f64 v[177:178], v[215:216], v[213:214], -v[177:178]
	v_mul_f64 v[215:216], v[215:216], v[179:180]
	v_add_f64 v[173:174], v[173:174], -v[177:178]
	v_fma_f64 v[215:216], v[217:218], v[213:214], v[215:216]
	v_add_f64 v[175:176], v[175:176], -v[215:216]
	ds_read2_b64 v[215:218], v253 offset0:32 offset1:33
	s_waitcnt lgkmcnt(0)
	v_mul_f64 v[177:178], v[217:218], v[179:180]
	v_fma_f64 v[177:178], v[215:216], v[213:214], -v[177:178]
	v_mul_f64 v[215:216], v[215:216], v[179:180]
	v_add_f64 v[169:170], v[169:170], -v[177:178]
	v_fma_f64 v[215:216], v[217:218], v[213:214], v[215:216]
	v_add_f64 v[171:172], v[171:172], -v[215:216]
	ds_read2_b64 v[215:218], v253 offset0:34 offset1:35
	;; [unrolled: 8-line block ×43, first 2 shown]
	s_waitcnt lgkmcnt(0)
	v_mul_f64 v[177:178], v[217:218], v[179:180]
	v_fma_f64 v[177:178], v[215:216], v[213:214], -v[177:178]
	v_mul_f64 v[215:216], v[215:216], v[179:180]
	v_add_f64 v[1:2], v[1:2], -v[177:178]
	v_fma_f64 v[215:216], v[217:218], v[213:214], v[215:216]
	v_mov_b32_e32 v177, v213
	v_mov_b32_e32 v178, v214
	v_add_f64 v[3:4], v[3:4], -v[215:216]
.LBB117_136:
	s_or_b32 exec_lo, exec_lo, s1
	s_mov_b32 s2, exec_lo
	s_waitcnt_vscnt null, 0x0
	s_barrier
	buffer_gl0_inv
	v_cmpx_eq_u32_e32 15, v0
	s_cbranch_execz .LBB117_143
; %bb.137:
	ds_write2_b64 v255, v[173:174], v[175:176] offset1:1
	ds_write2_b64 v253, v[169:170], v[171:172] offset0:32 offset1:33
	ds_write2_b64 v253, v[165:166], v[167:168] offset0:34 offset1:35
	ds_write2_b64 v253, v[161:162], v[163:164] offset0:36 offset1:37
	ds_write2_b64 v253, v[157:158], v[159:160] offset0:38 offset1:39
	ds_write2_b64 v253, v[153:154], v[155:156] offset0:40 offset1:41
	ds_write2_b64 v253, v[149:150], v[151:152] offset0:42 offset1:43
	ds_write2_b64 v253, v[145:146], v[147:148] offset0:44 offset1:45
	ds_write2_b64 v253, v[141:142], v[143:144] offset0:46 offset1:47
	ds_write2_b64 v253, v[137:138], v[139:140] offset0:48 offset1:49
	ds_write2_b64 v253, v[133:134], v[135:136] offset0:50 offset1:51
	ds_write2_b64 v253, v[129:130], v[131:132] offset0:52 offset1:53
	ds_write2_b64 v253, v[125:126], v[127:128] offset0:54 offset1:55
	ds_write2_b64 v253, v[121:122], v[123:124] offset0:56 offset1:57
	ds_write2_b64 v253, v[117:118], v[119:120] offset0:58 offset1:59
	ds_write2_b64 v253, v[113:114], v[115:116] offset0:60 offset1:61
	ds_write2_b64 v253, v[109:110], v[111:112] offset0:62 offset1:63
	ds_write2_b64 v253, v[105:106], v[107:108] offset0:64 offset1:65
	ds_write2_b64 v253, v[101:102], v[103:104] offset0:66 offset1:67
	ds_write2_b64 v253, v[97:98], v[99:100] offset0:68 offset1:69
	ds_write2_b64 v253, v[93:94], v[95:96] offset0:70 offset1:71
	ds_write2_b64 v253, v[89:90], v[91:92] offset0:72 offset1:73
	ds_write2_b64 v253, v[85:86], v[87:88] offset0:74 offset1:75
	ds_write2_b64 v253, v[81:82], v[83:84] offset0:76 offset1:77
	ds_write2_b64 v253, v[77:78], v[79:80] offset0:78 offset1:79
	ds_write2_b64 v253, v[73:74], v[75:76] offset0:80 offset1:81
	ds_write2_b64 v253, v[69:70], v[71:72] offset0:82 offset1:83
	ds_write2_b64 v253, v[65:66], v[67:68] offset0:84 offset1:85
	ds_write2_b64 v253, v[61:62], v[63:64] offset0:86 offset1:87
	ds_write2_b64 v253, v[57:58], v[59:60] offset0:88 offset1:89
	ds_write2_b64 v253, v[53:54], v[55:56] offset0:90 offset1:91
	ds_write2_b64 v253, v[49:50], v[51:52] offset0:92 offset1:93
	ds_write2_b64 v253, v[45:46], v[47:48] offset0:94 offset1:95
	ds_write2_b64 v253, v[41:42], v[43:44] offset0:96 offset1:97
	ds_write2_b64 v253, v[37:38], v[39:40] offset0:98 offset1:99
	ds_write2_b64 v253, v[33:34], v[35:36] offset0:100 offset1:101
	ds_write2_b64 v253, v[29:30], v[31:32] offset0:102 offset1:103
	ds_write2_b64 v253, v[25:26], v[27:28] offset0:104 offset1:105
	ds_write2_b64 v253, v[21:22], v[23:24] offset0:106 offset1:107
	ds_write2_b64 v253, v[17:18], v[19:20] offset0:108 offset1:109
	ds_write2_b64 v253, v[13:14], v[15:16] offset0:110 offset1:111
	ds_write2_b64 v253, v[9:10], v[11:12] offset0:112 offset1:113
	ds_write2_b64 v253, v[5:6], v[7:8] offset0:114 offset1:115
	ds_write2_b64 v253, v[1:2], v[3:4] offset0:116 offset1:117
	ds_read2_b64 v[213:216], v255 offset1:1
	s_waitcnt lgkmcnt(0)
	v_cmp_neq_f64_e32 vcc_lo, 0, v[213:214]
	v_cmp_neq_f64_e64 s1, 0, v[215:216]
	s_or_b32 s1, vcc_lo, s1
	s_and_b32 exec_lo, exec_lo, s1
	s_cbranch_execz .LBB117_143
; %bb.138:
	v_cmp_ngt_f64_e64 s1, |v[213:214]|, |v[215:216]|
                                        ; implicit-def: $vgpr217_vgpr218
	s_and_saveexec_b32 s3, s1
	s_xor_b32 s1, exec_lo, s3
                                        ; implicit-def: $vgpr219_vgpr220
	s_cbranch_execz .LBB117_140
; %bb.139:
	v_div_scale_f64 v[217:218], null, v[215:216], v[215:216], v[213:214]
	v_div_scale_f64 v[223:224], vcc_lo, v[213:214], v[215:216], v[213:214]
	v_rcp_f64_e32 v[219:220], v[217:218]
	v_fma_f64 v[221:222], -v[217:218], v[219:220], 1.0
	v_fma_f64 v[219:220], v[219:220], v[221:222], v[219:220]
	v_fma_f64 v[221:222], -v[217:218], v[219:220], 1.0
	v_fma_f64 v[219:220], v[219:220], v[221:222], v[219:220]
	v_mul_f64 v[221:222], v[223:224], v[219:220]
	v_fma_f64 v[217:218], -v[217:218], v[221:222], v[223:224]
	v_div_fmas_f64 v[217:218], v[217:218], v[219:220], v[221:222]
	v_div_fixup_f64 v[217:218], v[217:218], v[215:216], v[213:214]
	v_fma_f64 v[213:214], v[213:214], v[217:218], v[215:216]
	v_div_scale_f64 v[215:216], null, v[213:214], v[213:214], 1.0
	v_rcp_f64_e32 v[219:220], v[215:216]
	v_fma_f64 v[221:222], -v[215:216], v[219:220], 1.0
	v_fma_f64 v[219:220], v[219:220], v[221:222], v[219:220]
	v_fma_f64 v[221:222], -v[215:216], v[219:220], 1.0
	v_fma_f64 v[219:220], v[219:220], v[221:222], v[219:220]
	v_div_scale_f64 v[221:222], vcc_lo, 1.0, v[213:214], 1.0
	v_mul_f64 v[223:224], v[221:222], v[219:220]
	v_fma_f64 v[215:216], -v[215:216], v[223:224], v[221:222]
	v_div_fmas_f64 v[215:216], v[215:216], v[219:220], v[223:224]
	v_div_fixup_f64 v[219:220], v[215:216], v[213:214], 1.0
                                        ; implicit-def: $vgpr213_vgpr214
	v_mul_f64 v[217:218], v[217:218], v[219:220]
	v_xor_b32_e32 v220, 0x80000000, v220
.LBB117_140:
	s_andn2_saveexec_b32 s1, s1
	s_cbranch_execz .LBB117_142
; %bb.141:
	v_div_scale_f64 v[217:218], null, v[213:214], v[213:214], v[215:216]
	v_div_scale_f64 v[223:224], vcc_lo, v[215:216], v[213:214], v[215:216]
	v_rcp_f64_e32 v[219:220], v[217:218]
	v_fma_f64 v[221:222], -v[217:218], v[219:220], 1.0
	v_fma_f64 v[219:220], v[219:220], v[221:222], v[219:220]
	v_fma_f64 v[221:222], -v[217:218], v[219:220], 1.0
	v_fma_f64 v[219:220], v[219:220], v[221:222], v[219:220]
	v_mul_f64 v[221:222], v[223:224], v[219:220]
	v_fma_f64 v[217:218], -v[217:218], v[221:222], v[223:224]
	v_div_fmas_f64 v[217:218], v[217:218], v[219:220], v[221:222]
	v_div_fixup_f64 v[219:220], v[217:218], v[213:214], v[215:216]
	v_fma_f64 v[213:214], v[215:216], v[219:220], v[213:214]
	v_div_scale_f64 v[215:216], null, v[213:214], v[213:214], 1.0
	v_rcp_f64_e32 v[217:218], v[215:216]
	v_fma_f64 v[221:222], -v[215:216], v[217:218], 1.0
	v_fma_f64 v[217:218], v[217:218], v[221:222], v[217:218]
	v_fma_f64 v[221:222], -v[215:216], v[217:218], 1.0
	v_fma_f64 v[217:218], v[217:218], v[221:222], v[217:218]
	v_div_scale_f64 v[221:222], vcc_lo, 1.0, v[213:214], 1.0
	v_mul_f64 v[223:224], v[221:222], v[217:218]
	v_fma_f64 v[215:216], -v[215:216], v[223:224], v[221:222]
	v_div_fmas_f64 v[215:216], v[215:216], v[217:218], v[223:224]
	v_div_fixup_f64 v[217:218], v[215:216], v[213:214], 1.0
	v_mul_f64 v[219:220], v[219:220], -v[217:218]
.LBB117_142:
	s_or_b32 exec_lo, exec_lo, s1
	ds_write2_b64 v255, v[217:218], v[219:220] offset1:1
.LBB117_143:
	s_or_b32 exec_lo, exec_lo, s2
	s_waitcnt lgkmcnt(0)
	s_barrier
	buffer_gl0_inv
	ds_read2_b64 v[193:196], v255 offset1:1
	s_mov_b32 s1, exec_lo
	s_waitcnt lgkmcnt(0)
	buffer_store_dword v193, off, s[16:19], 0 offset:792 ; 4-byte Folded Spill
	buffer_store_dword v194, off, s[16:19], 0 offset:796 ; 4-byte Folded Spill
	;; [unrolled: 1-line block ×4, first 2 shown]
	v_cmpx_lt_u32_e32 15, v0
	s_cbranch_execz .LBB117_145
; %bb.144:
	s_clause 0x3
	buffer_load_dword v193, off, s[16:19], 0 offset:792
	buffer_load_dword v194, off, s[16:19], 0 offset:796
	;; [unrolled: 1-line block ×4, first 2 shown]
	ds_read2_b64 v[215:218], v253 offset0:32 offset1:33
	s_waitcnt vmcnt(0)
	v_mul_f64 v[213:214], v[195:196], v[175:176]
	v_mul_f64 v[175:176], v[193:194], v[175:176]
	v_fma_f64 v[213:214], v[193:194], v[173:174], -v[213:214]
	v_fma_f64 v[175:176], v[195:196], v[173:174], v[175:176]
	s_waitcnt lgkmcnt(0)
	v_mul_f64 v[173:174], v[217:218], v[175:176]
	v_fma_f64 v[173:174], v[215:216], v[213:214], -v[173:174]
	v_mul_f64 v[215:216], v[215:216], v[175:176]
	v_add_f64 v[169:170], v[169:170], -v[173:174]
	v_fma_f64 v[215:216], v[217:218], v[213:214], v[215:216]
	v_add_f64 v[171:172], v[171:172], -v[215:216]
	ds_read2_b64 v[215:218], v253 offset0:34 offset1:35
	s_waitcnt lgkmcnt(0)
	v_mul_f64 v[173:174], v[217:218], v[175:176]
	v_fma_f64 v[173:174], v[215:216], v[213:214], -v[173:174]
	v_mul_f64 v[215:216], v[215:216], v[175:176]
	v_add_f64 v[165:166], v[165:166], -v[173:174]
	v_fma_f64 v[215:216], v[217:218], v[213:214], v[215:216]
	v_add_f64 v[167:168], v[167:168], -v[215:216]
	ds_read2_b64 v[215:218], v253 offset0:36 offset1:37
	;; [unrolled: 8-line block ×42, first 2 shown]
	s_waitcnt lgkmcnt(0)
	v_mul_f64 v[173:174], v[217:218], v[175:176]
	v_fma_f64 v[173:174], v[215:216], v[213:214], -v[173:174]
	v_mul_f64 v[215:216], v[215:216], v[175:176]
	v_add_f64 v[1:2], v[1:2], -v[173:174]
	v_fma_f64 v[215:216], v[217:218], v[213:214], v[215:216]
	v_mov_b32_e32 v173, v213
	v_mov_b32_e32 v174, v214
	v_add_f64 v[3:4], v[3:4], -v[215:216]
.LBB117_145:
	s_or_b32 exec_lo, exec_lo, s1
	s_mov_b32 s2, exec_lo
	s_waitcnt_vscnt null, 0x0
	s_barrier
	buffer_gl0_inv
	v_cmpx_eq_u32_e32 16, v0
	s_cbranch_execz .LBB117_152
; %bb.146:
	ds_write2_b64 v255, v[169:170], v[171:172] offset1:1
	ds_write2_b64 v253, v[165:166], v[167:168] offset0:34 offset1:35
	ds_write2_b64 v253, v[161:162], v[163:164] offset0:36 offset1:37
	;; [unrolled: 1-line block ×42, first 2 shown]
	ds_read2_b64 v[213:216], v255 offset1:1
	s_waitcnt lgkmcnt(0)
	v_cmp_neq_f64_e32 vcc_lo, 0, v[213:214]
	v_cmp_neq_f64_e64 s1, 0, v[215:216]
	s_or_b32 s1, vcc_lo, s1
	s_and_b32 exec_lo, exec_lo, s1
	s_cbranch_execz .LBB117_152
; %bb.147:
	v_cmp_ngt_f64_e64 s1, |v[213:214]|, |v[215:216]|
                                        ; implicit-def: $vgpr217_vgpr218
	s_and_saveexec_b32 s3, s1
	s_xor_b32 s1, exec_lo, s3
                                        ; implicit-def: $vgpr219_vgpr220
	s_cbranch_execz .LBB117_149
; %bb.148:
	v_div_scale_f64 v[217:218], null, v[215:216], v[215:216], v[213:214]
	v_div_scale_f64 v[223:224], vcc_lo, v[213:214], v[215:216], v[213:214]
	v_rcp_f64_e32 v[219:220], v[217:218]
	v_fma_f64 v[221:222], -v[217:218], v[219:220], 1.0
	v_fma_f64 v[219:220], v[219:220], v[221:222], v[219:220]
	v_fma_f64 v[221:222], -v[217:218], v[219:220], 1.0
	v_fma_f64 v[219:220], v[219:220], v[221:222], v[219:220]
	v_mul_f64 v[221:222], v[223:224], v[219:220]
	v_fma_f64 v[217:218], -v[217:218], v[221:222], v[223:224]
	v_div_fmas_f64 v[217:218], v[217:218], v[219:220], v[221:222]
	v_div_fixup_f64 v[217:218], v[217:218], v[215:216], v[213:214]
	v_fma_f64 v[213:214], v[213:214], v[217:218], v[215:216]
	v_div_scale_f64 v[215:216], null, v[213:214], v[213:214], 1.0
	v_rcp_f64_e32 v[219:220], v[215:216]
	v_fma_f64 v[221:222], -v[215:216], v[219:220], 1.0
	v_fma_f64 v[219:220], v[219:220], v[221:222], v[219:220]
	v_fma_f64 v[221:222], -v[215:216], v[219:220], 1.0
	v_fma_f64 v[219:220], v[219:220], v[221:222], v[219:220]
	v_div_scale_f64 v[221:222], vcc_lo, 1.0, v[213:214], 1.0
	v_mul_f64 v[223:224], v[221:222], v[219:220]
	v_fma_f64 v[215:216], -v[215:216], v[223:224], v[221:222]
	v_div_fmas_f64 v[215:216], v[215:216], v[219:220], v[223:224]
	v_div_fixup_f64 v[219:220], v[215:216], v[213:214], 1.0
                                        ; implicit-def: $vgpr213_vgpr214
	v_mul_f64 v[217:218], v[217:218], v[219:220]
	v_xor_b32_e32 v220, 0x80000000, v220
.LBB117_149:
	s_andn2_saveexec_b32 s1, s1
	s_cbranch_execz .LBB117_151
; %bb.150:
	v_div_scale_f64 v[217:218], null, v[213:214], v[213:214], v[215:216]
	v_div_scale_f64 v[223:224], vcc_lo, v[215:216], v[213:214], v[215:216]
	v_rcp_f64_e32 v[219:220], v[217:218]
	v_fma_f64 v[221:222], -v[217:218], v[219:220], 1.0
	v_fma_f64 v[219:220], v[219:220], v[221:222], v[219:220]
	v_fma_f64 v[221:222], -v[217:218], v[219:220], 1.0
	v_fma_f64 v[219:220], v[219:220], v[221:222], v[219:220]
	v_mul_f64 v[221:222], v[223:224], v[219:220]
	v_fma_f64 v[217:218], -v[217:218], v[221:222], v[223:224]
	v_div_fmas_f64 v[217:218], v[217:218], v[219:220], v[221:222]
	v_div_fixup_f64 v[219:220], v[217:218], v[213:214], v[215:216]
	v_fma_f64 v[213:214], v[215:216], v[219:220], v[213:214]
	v_div_scale_f64 v[215:216], null, v[213:214], v[213:214], 1.0
	v_rcp_f64_e32 v[217:218], v[215:216]
	v_fma_f64 v[221:222], -v[215:216], v[217:218], 1.0
	v_fma_f64 v[217:218], v[217:218], v[221:222], v[217:218]
	v_fma_f64 v[221:222], -v[215:216], v[217:218], 1.0
	v_fma_f64 v[217:218], v[217:218], v[221:222], v[217:218]
	v_div_scale_f64 v[221:222], vcc_lo, 1.0, v[213:214], 1.0
	v_mul_f64 v[223:224], v[221:222], v[217:218]
	v_fma_f64 v[215:216], -v[215:216], v[223:224], v[221:222]
	v_div_fmas_f64 v[215:216], v[215:216], v[217:218], v[223:224]
	v_div_fixup_f64 v[217:218], v[215:216], v[213:214], 1.0
	v_mul_f64 v[219:220], v[219:220], -v[217:218]
.LBB117_151:
	s_or_b32 exec_lo, exec_lo, s1
	ds_write2_b64 v255, v[217:218], v[219:220] offset1:1
.LBB117_152:
	s_or_b32 exec_lo, exec_lo, s2
	s_waitcnt lgkmcnt(0)
	s_barrier
	buffer_gl0_inv
	ds_read2_b64 v[193:196], v255 offset1:1
	s_mov_b32 s1, exec_lo
	s_waitcnt lgkmcnt(0)
	buffer_store_dword v193, off, s[16:19], 0 offset:808 ; 4-byte Folded Spill
	buffer_store_dword v194, off, s[16:19], 0 offset:812 ; 4-byte Folded Spill
	;; [unrolled: 1-line block ×4, first 2 shown]
	v_cmpx_lt_u32_e32 16, v0
	s_cbranch_execz .LBB117_154
; %bb.153:
	s_clause 0x3
	buffer_load_dword v193, off, s[16:19], 0 offset:808
	buffer_load_dword v194, off, s[16:19], 0 offset:812
	;; [unrolled: 1-line block ×4, first 2 shown]
	ds_read2_b64 v[215:218], v253 offset0:34 offset1:35
	s_waitcnt vmcnt(0)
	v_mul_f64 v[213:214], v[195:196], v[171:172]
	v_mul_f64 v[171:172], v[193:194], v[171:172]
	v_fma_f64 v[213:214], v[193:194], v[169:170], -v[213:214]
	v_fma_f64 v[171:172], v[195:196], v[169:170], v[171:172]
	s_waitcnt lgkmcnt(0)
	v_mul_f64 v[169:170], v[217:218], v[171:172]
	v_fma_f64 v[169:170], v[215:216], v[213:214], -v[169:170]
	v_mul_f64 v[215:216], v[215:216], v[171:172]
	v_add_f64 v[165:166], v[165:166], -v[169:170]
	v_fma_f64 v[215:216], v[217:218], v[213:214], v[215:216]
	v_add_f64 v[167:168], v[167:168], -v[215:216]
	ds_read2_b64 v[215:218], v253 offset0:36 offset1:37
	s_waitcnt lgkmcnt(0)
	v_mul_f64 v[169:170], v[217:218], v[171:172]
	v_fma_f64 v[169:170], v[215:216], v[213:214], -v[169:170]
	v_mul_f64 v[215:216], v[215:216], v[171:172]
	v_add_f64 v[161:162], v[161:162], -v[169:170]
	v_fma_f64 v[215:216], v[217:218], v[213:214], v[215:216]
	v_add_f64 v[163:164], v[163:164], -v[215:216]
	ds_read2_b64 v[215:218], v253 offset0:38 offset1:39
	;; [unrolled: 8-line block ×41, first 2 shown]
	s_waitcnt lgkmcnt(0)
	v_mul_f64 v[169:170], v[217:218], v[171:172]
	v_fma_f64 v[169:170], v[215:216], v[213:214], -v[169:170]
	v_mul_f64 v[215:216], v[215:216], v[171:172]
	v_add_f64 v[1:2], v[1:2], -v[169:170]
	v_fma_f64 v[215:216], v[217:218], v[213:214], v[215:216]
	v_mov_b32_e32 v169, v213
	v_mov_b32_e32 v170, v214
	v_add_f64 v[3:4], v[3:4], -v[215:216]
.LBB117_154:
	s_or_b32 exec_lo, exec_lo, s1
	s_mov_b32 s2, exec_lo
	s_waitcnt_vscnt null, 0x0
	s_barrier
	buffer_gl0_inv
	v_cmpx_eq_u32_e32 17, v0
	s_cbranch_execz .LBB117_161
; %bb.155:
	ds_write2_b64 v255, v[165:166], v[167:168] offset1:1
	ds_write2_b64 v253, v[161:162], v[163:164] offset0:36 offset1:37
	ds_write2_b64 v253, v[157:158], v[159:160] offset0:38 offset1:39
	ds_write2_b64 v253, v[153:154], v[155:156] offset0:40 offset1:41
	ds_write2_b64 v253, v[149:150], v[151:152] offset0:42 offset1:43
	ds_write2_b64 v253, v[145:146], v[147:148] offset0:44 offset1:45
	ds_write2_b64 v253, v[141:142], v[143:144] offset0:46 offset1:47
	ds_write2_b64 v253, v[137:138], v[139:140] offset0:48 offset1:49
	ds_write2_b64 v253, v[133:134], v[135:136] offset0:50 offset1:51
	ds_write2_b64 v253, v[129:130], v[131:132] offset0:52 offset1:53
	ds_write2_b64 v253, v[125:126], v[127:128] offset0:54 offset1:55
	ds_write2_b64 v253, v[121:122], v[123:124] offset0:56 offset1:57
	ds_write2_b64 v253, v[117:118], v[119:120] offset0:58 offset1:59
	ds_write2_b64 v253, v[113:114], v[115:116] offset0:60 offset1:61
	ds_write2_b64 v253, v[109:110], v[111:112] offset0:62 offset1:63
	ds_write2_b64 v253, v[105:106], v[107:108] offset0:64 offset1:65
	ds_write2_b64 v253, v[101:102], v[103:104] offset0:66 offset1:67
	ds_write2_b64 v253, v[97:98], v[99:100] offset0:68 offset1:69
	ds_write2_b64 v253, v[93:94], v[95:96] offset0:70 offset1:71
	ds_write2_b64 v253, v[89:90], v[91:92] offset0:72 offset1:73
	ds_write2_b64 v253, v[85:86], v[87:88] offset0:74 offset1:75
	ds_write2_b64 v253, v[81:82], v[83:84] offset0:76 offset1:77
	ds_write2_b64 v253, v[77:78], v[79:80] offset0:78 offset1:79
	ds_write2_b64 v253, v[73:74], v[75:76] offset0:80 offset1:81
	ds_write2_b64 v253, v[69:70], v[71:72] offset0:82 offset1:83
	ds_write2_b64 v253, v[65:66], v[67:68] offset0:84 offset1:85
	ds_write2_b64 v253, v[61:62], v[63:64] offset0:86 offset1:87
	ds_write2_b64 v253, v[57:58], v[59:60] offset0:88 offset1:89
	ds_write2_b64 v253, v[53:54], v[55:56] offset0:90 offset1:91
	ds_write2_b64 v253, v[49:50], v[51:52] offset0:92 offset1:93
	ds_write2_b64 v253, v[45:46], v[47:48] offset0:94 offset1:95
	ds_write2_b64 v253, v[41:42], v[43:44] offset0:96 offset1:97
	ds_write2_b64 v253, v[37:38], v[39:40] offset0:98 offset1:99
	ds_write2_b64 v253, v[33:34], v[35:36] offset0:100 offset1:101
	ds_write2_b64 v253, v[29:30], v[31:32] offset0:102 offset1:103
	ds_write2_b64 v253, v[25:26], v[27:28] offset0:104 offset1:105
	ds_write2_b64 v253, v[21:22], v[23:24] offset0:106 offset1:107
	ds_write2_b64 v253, v[17:18], v[19:20] offset0:108 offset1:109
	ds_write2_b64 v253, v[13:14], v[15:16] offset0:110 offset1:111
	ds_write2_b64 v253, v[9:10], v[11:12] offset0:112 offset1:113
	ds_write2_b64 v253, v[5:6], v[7:8] offset0:114 offset1:115
	ds_write2_b64 v253, v[1:2], v[3:4] offset0:116 offset1:117
	ds_read2_b64 v[213:216], v255 offset1:1
	s_waitcnt lgkmcnt(0)
	v_cmp_neq_f64_e32 vcc_lo, 0, v[213:214]
	v_cmp_neq_f64_e64 s1, 0, v[215:216]
	s_or_b32 s1, vcc_lo, s1
	s_and_b32 exec_lo, exec_lo, s1
	s_cbranch_execz .LBB117_161
; %bb.156:
	v_cmp_ngt_f64_e64 s1, |v[213:214]|, |v[215:216]|
                                        ; implicit-def: $vgpr217_vgpr218
	s_and_saveexec_b32 s3, s1
	s_xor_b32 s1, exec_lo, s3
                                        ; implicit-def: $vgpr219_vgpr220
	s_cbranch_execz .LBB117_158
; %bb.157:
	v_div_scale_f64 v[217:218], null, v[215:216], v[215:216], v[213:214]
	v_div_scale_f64 v[223:224], vcc_lo, v[213:214], v[215:216], v[213:214]
	v_rcp_f64_e32 v[219:220], v[217:218]
	v_fma_f64 v[221:222], -v[217:218], v[219:220], 1.0
	v_fma_f64 v[219:220], v[219:220], v[221:222], v[219:220]
	v_fma_f64 v[221:222], -v[217:218], v[219:220], 1.0
	v_fma_f64 v[219:220], v[219:220], v[221:222], v[219:220]
	v_mul_f64 v[221:222], v[223:224], v[219:220]
	v_fma_f64 v[217:218], -v[217:218], v[221:222], v[223:224]
	v_div_fmas_f64 v[217:218], v[217:218], v[219:220], v[221:222]
	v_div_fixup_f64 v[217:218], v[217:218], v[215:216], v[213:214]
	v_fma_f64 v[213:214], v[213:214], v[217:218], v[215:216]
	v_div_scale_f64 v[215:216], null, v[213:214], v[213:214], 1.0
	v_rcp_f64_e32 v[219:220], v[215:216]
	v_fma_f64 v[221:222], -v[215:216], v[219:220], 1.0
	v_fma_f64 v[219:220], v[219:220], v[221:222], v[219:220]
	v_fma_f64 v[221:222], -v[215:216], v[219:220], 1.0
	v_fma_f64 v[219:220], v[219:220], v[221:222], v[219:220]
	v_div_scale_f64 v[221:222], vcc_lo, 1.0, v[213:214], 1.0
	v_mul_f64 v[223:224], v[221:222], v[219:220]
	v_fma_f64 v[215:216], -v[215:216], v[223:224], v[221:222]
	v_div_fmas_f64 v[215:216], v[215:216], v[219:220], v[223:224]
	v_div_fixup_f64 v[219:220], v[215:216], v[213:214], 1.0
                                        ; implicit-def: $vgpr213_vgpr214
	v_mul_f64 v[217:218], v[217:218], v[219:220]
	v_xor_b32_e32 v220, 0x80000000, v220
.LBB117_158:
	s_andn2_saveexec_b32 s1, s1
	s_cbranch_execz .LBB117_160
; %bb.159:
	v_div_scale_f64 v[217:218], null, v[213:214], v[213:214], v[215:216]
	v_div_scale_f64 v[223:224], vcc_lo, v[215:216], v[213:214], v[215:216]
	v_rcp_f64_e32 v[219:220], v[217:218]
	v_fma_f64 v[221:222], -v[217:218], v[219:220], 1.0
	v_fma_f64 v[219:220], v[219:220], v[221:222], v[219:220]
	v_fma_f64 v[221:222], -v[217:218], v[219:220], 1.0
	v_fma_f64 v[219:220], v[219:220], v[221:222], v[219:220]
	v_mul_f64 v[221:222], v[223:224], v[219:220]
	v_fma_f64 v[217:218], -v[217:218], v[221:222], v[223:224]
	v_div_fmas_f64 v[217:218], v[217:218], v[219:220], v[221:222]
	v_div_fixup_f64 v[219:220], v[217:218], v[213:214], v[215:216]
	v_fma_f64 v[213:214], v[215:216], v[219:220], v[213:214]
	v_div_scale_f64 v[215:216], null, v[213:214], v[213:214], 1.0
	v_rcp_f64_e32 v[217:218], v[215:216]
	v_fma_f64 v[221:222], -v[215:216], v[217:218], 1.0
	v_fma_f64 v[217:218], v[217:218], v[221:222], v[217:218]
	v_fma_f64 v[221:222], -v[215:216], v[217:218], 1.0
	v_fma_f64 v[217:218], v[217:218], v[221:222], v[217:218]
	v_div_scale_f64 v[221:222], vcc_lo, 1.0, v[213:214], 1.0
	v_mul_f64 v[223:224], v[221:222], v[217:218]
	v_fma_f64 v[215:216], -v[215:216], v[223:224], v[221:222]
	v_div_fmas_f64 v[215:216], v[215:216], v[217:218], v[223:224]
	v_div_fixup_f64 v[217:218], v[215:216], v[213:214], 1.0
	v_mul_f64 v[219:220], v[219:220], -v[217:218]
.LBB117_160:
	s_or_b32 exec_lo, exec_lo, s1
	ds_write2_b64 v255, v[217:218], v[219:220] offset1:1
.LBB117_161:
	s_or_b32 exec_lo, exec_lo, s2
	s_waitcnt lgkmcnt(0)
	s_barrier
	buffer_gl0_inv
	ds_read2_b64 v[193:196], v255 offset1:1
	s_mov_b32 s1, exec_lo
	s_waitcnt lgkmcnt(0)
	buffer_store_dword v193, off, s[16:19], 0 offset:824 ; 4-byte Folded Spill
	buffer_store_dword v194, off, s[16:19], 0 offset:828 ; 4-byte Folded Spill
	;; [unrolled: 1-line block ×4, first 2 shown]
	v_cmpx_lt_u32_e32 17, v0
	s_cbranch_execz .LBB117_163
; %bb.162:
	s_clause 0x3
	buffer_load_dword v193, off, s[16:19], 0 offset:824
	buffer_load_dword v194, off, s[16:19], 0 offset:828
	;; [unrolled: 1-line block ×4, first 2 shown]
	ds_read2_b64 v[215:218], v253 offset0:36 offset1:37
	s_waitcnt vmcnt(0)
	v_mul_f64 v[213:214], v[195:196], v[167:168]
	v_mul_f64 v[167:168], v[193:194], v[167:168]
	v_fma_f64 v[213:214], v[193:194], v[165:166], -v[213:214]
	v_fma_f64 v[167:168], v[195:196], v[165:166], v[167:168]
	s_waitcnt lgkmcnt(0)
	v_mul_f64 v[165:166], v[217:218], v[167:168]
	v_fma_f64 v[165:166], v[215:216], v[213:214], -v[165:166]
	v_mul_f64 v[215:216], v[215:216], v[167:168]
	v_add_f64 v[161:162], v[161:162], -v[165:166]
	v_fma_f64 v[215:216], v[217:218], v[213:214], v[215:216]
	v_add_f64 v[163:164], v[163:164], -v[215:216]
	ds_read2_b64 v[215:218], v253 offset0:38 offset1:39
	s_waitcnt lgkmcnt(0)
	v_mul_f64 v[165:166], v[217:218], v[167:168]
	v_fma_f64 v[165:166], v[215:216], v[213:214], -v[165:166]
	v_mul_f64 v[215:216], v[215:216], v[167:168]
	v_add_f64 v[157:158], v[157:158], -v[165:166]
	v_fma_f64 v[215:216], v[217:218], v[213:214], v[215:216]
	v_add_f64 v[159:160], v[159:160], -v[215:216]
	ds_read2_b64 v[215:218], v253 offset0:40 offset1:41
	;; [unrolled: 8-line block ×40, first 2 shown]
	s_waitcnt lgkmcnt(0)
	v_mul_f64 v[165:166], v[217:218], v[167:168]
	v_fma_f64 v[165:166], v[215:216], v[213:214], -v[165:166]
	v_mul_f64 v[215:216], v[215:216], v[167:168]
	v_add_f64 v[1:2], v[1:2], -v[165:166]
	v_fma_f64 v[215:216], v[217:218], v[213:214], v[215:216]
	v_mov_b32_e32 v165, v213
	v_mov_b32_e32 v166, v214
	v_add_f64 v[3:4], v[3:4], -v[215:216]
.LBB117_163:
	s_or_b32 exec_lo, exec_lo, s1
	s_mov_b32 s2, exec_lo
	s_waitcnt_vscnt null, 0x0
	s_barrier
	buffer_gl0_inv
	v_cmpx_eq_u32_e32 18, v0
	s_cbranch_execz .LBB117_170
; %bb.164:
	ds_write2_b64 v255, v[161:162], v[163:164] offset1:1
	ds_write2_b64 v253, v[157:158], v[159:160] offset0:38 offset1:39
	ds_write2_b64 v253, v[153:154], v[155:156] offset0:40 offset1:41
	;; [unrolled: 1-line block ×40, first 2 shown]
	ds_read2_b64 v[213:216], v255 offset1:1
	s_waitcnt lgkmcnt(0)
	v_cmp_neq_f64_e32 vcc_lo, 0, v[213:214]
	v_cmp_neq_f64_e64 s1, 0, v[215:216]
	s_or_b32 s1, vcc_lo, s1
	s_and_b32 exec_lo, exec_lo, s1
	s_cbranch_execz .LBB117_170
; %bb.165:
	v_cmp_ngt_f64_e64 s1, |v[213:214]|, |v[215:216]|
                                        ; implicit-def: $vgpr217_vgpr218
	s_and_saveexec_b32 s3, s1
	s_xor_b32 s1, exec_lo, s3
                                        ; implicit-def: $vgpr219_vgpr220
	s_cbranch_execz .LBB117_167
; %bb.166:
	v_div_scale_f64 v[217:218], null, v[215:216], v[215:216], v[213:214]
	v_div_scale_f64 v[223:224], vcc_lo, v[213:214], v[215:216], v[213:214]
	v_rcp_f64_e32 v[219:220], v[217:218]
	v_fma_f64 v[221:222], -v[217:218], v[219:220], 1.0
	v_fma_f64 v[219:220], v[219:220], v[221:222], v[219:220]
	v_fma_f64 v[221:222], -v[217:218], v[219:220], 1.0
	v_fma_f64 v[219:220], v[219:220], v[221:222], v[219:220]
	v_mul_f64 v[221:222], v[223:224], v[219:220]
	v_fma_f64 v[217:218], -v[217:218], v[221:222], v[223:224]
	v_div_fmas_f64 v[217:218], v[217:218], v[219:220], v[221:222]
	v_div_fixup_f64 v[217:218], v[217:218], v[215:216], v[213:214]
	v_fma_f64 v[213:214], v[213:214], v[217:218], v[215:216]
	v_div_scale_f64 v[215:216], null, v[213:214], v[213:214], 1.0
	v_rcp_f64_e32 v[219:220], v[215:216]
	v_fma_f64 v[221:222], -v[215:216], v[219:220], 1.0
	v_fma_f64 v[219:220], v[219:220], v[221:222], v[219:220]
	v_fma_f64 v[221:222], -v[215:216], v[219:220], 1.0
	v_fma_f64 v[219:220], v[219:220], v[221:222], v[219:220]
	v_div_scale_f64 v[221:222], vcc_lo, 1.0, v[213:214], 1.0
	v_mul_f64 v[223:224], v[221:222], v[219:220]
	v_fma_f64 v[215:216], -v[215:216], v[223:224], v[221:222]
	v_div_fmas_f64 v[215:216], v[215:216], v[219:220], v[223:224]
	v_div_fixup_f64 v[219:220], v[215:216], v[213:214], 1.0
                                        ; implicit-def: $vgpr213_vgpr214
	v_mul_f64 v[217:218], v[217:218], v[219:220]
	v_xor_b32_e32 v220, 0x80000000, v220
.LBB117_167:
	s_andn2_saveexec_b32 s1, s1
	s_cbranch_execz .LBB117_169
; %bb.168:
	v_div_scale_f64 v[217:218], null, v[213:214], v[213:214], v[215:216]
	v_div_scale_f64 v[223:224], vcc_lo, v[215:216], v[213:214], v[215:216]
	v_rcp_f64_e32 v[219:220], v[217:218]
	v_fma_f64 v[221:222], -v[217:218], v[219:220], 1.0
	v_fma_f64 v[219:220], v[219:220], v[221:222], v[219:220]
	v_fma_f64 v[221:222], -v[217:218], v[219:220], 1.0
	v_fma_f64 v[219:220], v[219:220], v[221:222], v[219:220]
	v_mul_f64 v[221:222], v[223:224], v[219:220]
	v_fma_f64 v[217:218], -v[217:218], v[221:222], v[223:224]
	v_div_fmas_f64 v[217:218], v[217:218], v[219:220], v[221:222]
	v_div_fixup_f64 v[219:220], v[217:218], v[213:214], v[215:216]
	v_fma_f64 v[213:214], v[215:216], v[219:220], v[213:214]
	v_div_scale_f64 v[215:216], null, v[213:214], v[213:214], 1.0
	v_rcp_f64_e32 v[217:218], v[215:216]
	v_fma_f64 v[221:222], -v[215:216], v[217:218], 1.0
	v_fma_f64 v[217:218], v[217:218], v[221:222], v[217:218]
	v_fma_f64 v[221:222], -v[215:216], v[217:218], 1.0
	v_fma_f64 v[217:218], v[217:218], v[221:222], v[217:218]
	v_div_scale_f64 v[221:222], vcc_lo, 1.0, v[213:214], 1.0
	v_mul_f64 v[223:224], v[221:222], v[217:218]
	v_fma_f64 v[215:216], -v[215:216], v[223:224], v[221:222]
	v_div_fmas_f64 v[215:216], v[215:216], v[217:218], v[223:224]
	v_div_fixup_f64 v[217:218], v[215:216], v[213:214], 1.0
	v_mul_f64 v[219:220], v[219:220], -v[217:218]
.LBB117_169:
	s_or_b32 exec_lo, exec_lo, s1
	ds_write2_b64 v255, v[217:218], v[219:220] offset1:1
.LBB117_170:
	s_or_b32 exec_lo, exec_lo, s2
	s_waitcnt lgkmcnt(0)
	s_barrier
	buffer_gl0_inv
	ds_read2_b64 v[193:196], v255 offset1:1
	s_mov_b32 s1, exec_lo
	s_waitcnt lgkmcnt(0)
	buffer_store_dword v193, off, s[16:19], 0 offset:840 ; 4-byte Folded Spill
	buffer_store_dword v194, off, s[16:19], 0 offset:844 ; 4-byte Folded Spill
	;; [unrolled: 1-line block ×4, first 2 shown]
	v_cmpx_lt_u32_e32 18, v0
	s_cbranch_execz .LBB117_172
; %bb.171:
	s_clause 0x3
	buffer_load_dword v193, off, s[16:19], 0 offset:840
	buffer_load_dword v194, off, s[16:19], 0 offset:844
	;; [unrolled: 1-line block ×4, first 2 shown]
	ds_read2_b64 v[215:218], v253 offset0:38 offset1:39
	s_waitcnt vmcnt(0)
	v_mul_f64 v[213:214], v[195:196], v[163:164]
	v_mul_f64 v[163:164], v[193:194], v[163:164]
	v_fma_f64 v[213:214], v[193:194], v[161:162], -v[213:214]
	v_fma_f64 v[163:164], v[195:196], v[161:162], v[163:164]
	s_waitcnt lgkmcnt(0)
	v_mul_f64 v[161:162], v[217:218], v[163:164]
	v_fma_f64 v[161:162], v[215:216], v[213:214], -v[161:162]
	v_mul_f64 v[215:216], v[215:216], v[163:164]
	v_add_f64 v[157:158], v[157:158], -v[161:162]
	v_fma_f64 v[215:216], v[217:218], v[213:214], v[215:216]
	v_add_f64 v[159:160], v[159:160], -v[215:216]
	ds_read2_b64 v[215:218], v253 offset0:40 offset1:41
	s_waitcnt lgkmcnt(0)
	v_mul_f64 v[161:162], v[217:218], v[163:164]
	v_fma_f64 v[161:162], v[215:216], v[213:214], -v[161:162]
	v_mul_f64 v[215:216], v[215:216], v[163:164]
	v_add_f64 v[153:154], v[153:154], -v[161:162]
	v_fma_f64 v[215:216], v[217:218], v[213:214], v[215:216]
	v_add_f64 v[155:156], v[155:156], -v[215:216]
	ds_read2_b64 v[215:218], v253 offset0:42 offset1:43
	;; [unrolled: 8-line block ×39, first 2 shown]
	s_waitcnt lgkmcnt(0)
	v_mul_f64 v[161:162], v[217:218], v[163:164]
	v_fma_f64 v[161:162], v[215:216], v[213:214], -v[161:162]
	v_mul_f64 v[215:216], v[215:216], v[163:164]
	v_add_f64 v[1:2], v[1:2], -v[161:162]
	v_fma_f64 v[215:216], v[217:218], v[213:214], v[215:216]
	v_mov_b32_e32 v161, v213
	v_mov_b32_e32 v162, v214
	v_add_f64 v[3:4], v[3:4], -v[215:216]
.LBB117_172:
	s_or_b32 exec_lo, exec_lo, s1
	s_mov_b32 s2, exec_lo
	s_waitcnt_vscnt null, 0x0
	s_barrier
	buffer_gl0_inv
	v_cmpx_eq_u32_e32 19, v0
	s_cbranch_execz .LBB117_179
; %bb.173:
	ds_write2_b64 v255, v[157:158], v[159:160] offset1:1
	ds_write2_b64 v253, v[153:154], v[155:156] offset0:40 offset1:41
	ds_write2_b64 v253, v[149:150], v[151:152] offset0:42 offset1:43
	;; [unrolled: 1-line block ×39, first 2 shown]
	ds_read2_b64 v[213:216], v255 offset1:1
	s_waitcnt lgkmcnt(0)
	v_cmp_neq_f64_e32 vcc_lo, 0, v[213:214]
	v_cmp_neq_f64_e64 s1, 0, v[215:216]
	s_or_b32 s1, vcc_lo, s1
	s_and_b32 exec_lo, exec_lo, s1
	s_cbranch_execz .LBB117_179
; %bb.174:
	v_cmp_ngt_f64_e64 s1, |v[213:214]|, |v[215:216]|
                                        ; implicit-def: $vgpr217_vgpr218
	s_and_saveexec_b32 s3, s1
	s_xor_b32 s1, exec_lo, s3
                                        ; implicit-def: $vgpr219_vgpr220
	s_cbranch_execz .LBB117_176
; %bb.175:
	v_div_scale_f64 v[217:218], null, v[215:216], v[215:216], v[213:214]
	v_div_scale_f64 v[223:224], vcc_lo, v[213:214], v[215:216], v[213:214]
	v_rcp_f64_e32 v[219:220], v[217:218]
	v_fma_f64 v[221:222], -v[217:218], v[219:220], 1.0
	v_fma_f64 v[219:220], v[219:220], v[221:222], v[219:220]
	v_fma_f64 v[221:222], -v[217:218], v[219:220], 1.0
	v_fma_f64 v[219:220], v[219:220], v[221:222], v[219:220]
	v_mul_f64 v[221:222], v[223:224], v[219:220]
	v_fma_f64 v[217:218], -v[217:218], v[221:222], v[223:224]
	v_div_fmas_f64 v[217:218], v[217:218], v[219:220], v[221:222]
	v_div_fixup_f64 v[217:218], v[217:218], v[215:216], v[213:214]
	v_fma_f64 v[213:214], v[213:214], v[217:218], v[215:216]
	v_div_scale_f64 v[215:216], null, v[213:214], v[213:214], 1.0
	v_rcp_f64_e32 v[219:220], v[215:216]
	v_fma_f64 v[221:222], -v[215:216], v[219:220], 1.0
	v_fma_f64 v[219:220], v[219:220], v[221:222], v[219:220]
	v_fma_f64 v[221:222], -v[215:216], v[219:220], 1.0
	v_fma_f64 v[219:220], v[219:220], v[221:222], v[219:220]
	v_div_scale_f64 v[221:222], vcc_lo, 1.0, v[213:214], 1.0
	v_mul_f64 v[223:224], v[221:222], v[219:220]
	v_fma_f64 v[215:216], -v[215:216], v[223:224], v[221:222]
	v_div_fmas_f64 v[215:216], v[215:216], v[219:220], v[223:224]
	v_div_fixup_f64 v[219:220], v[215:216], v[213:214], 1.0
                                        ; implicit-def: $vgpr213_vgpr214
	v_mul_f64 v[217:218], v[217:218], v[219:220]
	v_xor_b32_e32 v220, 0x80000000, v220
.LBB117_176:
	s_andn2_saveexec_b32 s1, s1
	s_cbranch_execz .LBB117_178
; %bb.177:
	v_div_scale_f64 v[217:218], null, v[213:214], v[213:214], v[215:216]
	v_div_scale_f64 v[223:224], vcc_lo, v[215:216], v[213:214], v[215:216]
	v_rcp_f64_e32 v[219:220], v[217:218]
	v_fma_f64 v[221:222], -v[217:218], v[219:220], 1.0
	v_fma_f64 v[219:220], v[219:220], v[221:222], v[219:220]
	v_fma_f64 v[221:222], -v[217:218], v[219:220], 1.0
	v_fma_f64 v[219:220], v[219:220], v[221:222], v[219:220]
	v_mul_f64 v[221:222], v[223:224], v[219:220]
	v_fma_f64 v[217:218], -v[217:218], v[221:222], v[223:224]
	v_div_fmas_f64 v[217:218], v[217:218], v[219:220], v[221:222]
	v_div_fixup_f64 v[219:220], v[217:218], v[213:214], v[215:216]
	v_fma_f64 v[213:214], v[215:216], v[219:220], v[213:214]
	v_div_scale_f64 v[215:216], null, v[213:214], v[213:214], 1.0
	v_rcp_f64_e32 v[217:218], v[215:216]
	v_fma_f64 v[221:222], -v[215:216], v[217:218], 1.0
	v_fma_f64 v[217:218], v[217:218], v[221:222], v[217:218]
	v_fma_f64 v[221:222], -v[215:216], v[217:218], 1.0
	v_fma_f64 v[217:218], v[217:218], v[221:222], v[217:218]
	v_div_scale_f64 v[221:222], vcc_lo, 1.0, v[213:214], 1.0
	v_mul_f64 v[223:224], v[221:222], v[217:218]
	v_fma_f64 v[215:216], -v[215:216], v[223:224], v[221:222]
	v_div_fmas_f64 v[215:216], v[215:216], v[217:218], v[223:224]
	v_div_fixup_f64 v[217:218], v[215:216], v[213:214], 1.0
	v_mul_f64 v[219:220], v[219:220], -v[217:218]
.LBB117_178:
	s_or_b32 exec_lo, exec_lo, s1
	ds_write2_b64 v255, v[217:218], v[219:220] offset1:1
.LBB117_179:
	s_or_b32 exec_lo, exec_lo, s2
	s_waitcnt lgkmcnt(0)
	s_barrier
	buffer_gl0_inv
	ds_read2_b64 v[193:196], v255 offset1:1
	s_mov_b32 s1, exec_lo
	s_waitcnt lgkmcnt(0)
	buffer_store_dword v193, off, s[16:19], 0 offset:856 ; 4-byte Folded Spill
	buffer_store_dword v194, off, s[16:19], 0 offset:860 ; 4-byte Folded Spill
	;; [unrolled: 1-line block ×4, first 2 shown]
	v_cmpx_lt_u32_e32 19, v0
	s_cbranch_execz .LBB117_181
; %bb.180:
	s_clause 0x3
	buffer_load_dword v193, off, s[16:19], 0 offset:856
	buffer_load_dword v194, off, s[16:19], 0 offset:860
	;; [unrolled: 1-line block ×4, first 2 shown]
	ds_read2_b64 v[215:218], v253 offset0:40 offset1:41
	s_waitcnt vmcnt(0)
	v_mul_f64 v[213:214], v[195:196], v[159:160]
	v_mul_f64 v[159:160], v[193:194], v[159:160]
	v_fma_f64 v[213:214], v[193:194], v[157:158], -v[213:214]
	v_fma_f64 v[159:160], v[195:196], v[157:158], v[159:160]
	s_waitcnt lgkmcnt(0)
	v_mul_f64 v[157:158], v[217:218], v[159:160]
	v_fma_f64 v[157:158], v[215:216], v[213:214], -v[157:158]
	v_mul_f64 v[215:216], v[215:216], v[159:160]
	v_add_f64 v[153:154], v[153:154], -v[157:158]
	v_fma_f64 v[215:216], v[217:218], v[213:214], v[215:216]
	v_add_f64 v[155:156], v[155:156], -v[215:216]
	ds_read2_b64 v[215:218], v253 offset0:42 offset1:43
	s_waitcnt lgkmcnt(0)
	v_mul_f64 v[157:158], v[217:218], v[159:160]
	v_fma_f64 v[157:158], v[215:216], v[213:214], -v[157:158]
	v_mul_f64 v[215:216], v[215:216], v[159:160]
	v_add_f64 v[149:150], v[149:150], -v[157:158]
	v_fma_f64 v[215:216], v[217:218], v[213:214], v[215:216]
	v_add_f64 v[151:152], v[151:152], -v[215:216]
	ds_read2_b64 v[215:218], v253 offset0:44 offset1:45
	;; [unrolled: 8-line block ×38, first 2 shown]
	s_waitcnt lgkmcnt(0)
	v_mul_f64 v[157:158], v[217:218], v[159:160]
	v_fma_f64 v[157:158], v[215:216], v[213:214], -v[157:158]
	v_mul_f64 v[215:216], v[215:216], v[159:160]
	v_add_f64 v[1:2], v[1:2], -v[157:158]
	v_fma_f64 v[215:216], v[217:218], v[213:214], v[215:216]
	v_mov_b32_e32 v157, v213
	v_mov_b32_e32 v158, v214
	v_add_f64 v[3:4], v[3:4], -v[215:216]
.LBB117_181:
	s_or_b32 exec_lo, exec_lo, s1
	s_mov_b32 s2, exec_lo
	s_waitcnt_vscnt null, 0x0
	s_barrier
	buffer_gl0_inv
	v_cmpx_eq_u32_e32 20, v0
	s_cbranch_execz .LBB117_188
; %bb.182:
	ds_write2_b64 v255, v[153:154], v[155:156] offset1:1
	ds_write2_b64 v253, v[149:150], v[151:152] offset0:42 offset1:43
	ds_write2_b64 v253, v[145:146], v[147:148] offset0:44 offset1:45
	;; [unrolled: 1-line block ×38, first 2 shown]
	ds_read2_b64 v[213:216], v255 offset1:1
	s_waitcnt lgkmcnt(0)
	v_cmp_neq_f64_e32 vcc_lo, 0, v[213:214]
	v_cmp_neq_f64_e64 s1, 0, v[215:216]
	s_or_b32 s1, vcc_lo, s1
	s_and_b32 exec_lo, exec_lo, s1
	s_cbranch_execz .LBB117_188
; %bb.183:
	v_cmp_ngt_f64_e64 s1, |v[213:214]|, |v[215:216]|
                                        ; implicit-def: $vgpr217_vgpr218
	s_and_saveexec_b32 s3, s1
	s_xor_b32 s1, exec_lo, s3
                                        ; implicit-def: $vgpr219_vgpr220
	s_cbranch_execz .LBB117_185
; %bb.184:
	v_div_scale_f64 v[217:218], null, v[215:216], v[215:216], v[213:214]
	v_div_scale_f64 v[223:224], vcc_lo, v[213:214], v[215:216], v[213:214]
	v_rcp_f64_e32 v[219:220], v[217:218]
	v_fma_f64 v[221:222], -v[217:218], v[219:220], 1.0
	v_fma_f64 v[219:220], v[219:220], v[221:222], v[219:220]
	v_fma_f64 v[221:222], -v[217:218], v[219:220], 1.0
	v_fma_f64 v[219:220], v[219:220], v[221:222], v[219:220]
	v_mul_f64 v[221:222], v[223:224], v[219:220]
	v_fma_f64 v[217:218], -v[217:218], v[221:222], v[223:224]
	v_div_fmas_f64 v[217:218], v[217:218], v[219:220], v[221:222]
	v_div_fixup_f64 v[217:218], v[217:218], v[215:216], v[213:214]
	v_fma_f64 v[213:214], v[213:214], v[217:218], v[215:216]
	v_div_scale_f64 v[215:216], null, v[213:214], v[213:214], 1.0
	v_rcp_f64_e32 v[219:220], v[215:216]
	v_fma_f64 v[221:222], -v[215:216], v[219:220], 1.0
	v_fma_f64 v[219:220], v[219:220], v[221:222], v[219:220]
	v_fma_f64 v[221:222], -v[215:216], v[219:220], 1.0
	v_fma_f64 v[219:220], v[219:220], v[221:222], v[219:220]
	v_div_scale_f64 v[221:222], vcc_lo, 1.0, v[213:214], 1.0
	v_mul_f64 v[223:224], v[221:222], v[219:220]
	v_fma_f64 v[215:216], -v[215:216], v[223:224], v[221:222]
	v_div_fmas_f64 v[215:216], v[215:216], v[219:220], v[223:224]
	v_div_fixup_f64 v[219:220], v[215:216], v[213:214], 1.0
                                        ; implicit-def: $vgpr213_vgpr214
	v_mul_f64 v[217:218], v[217:218], v[219:220]
	v_xor_b32_e32 v220, 0x80000000, v220
.LBB117_185:
	s_andn2_saveexec_b32 s1, s1
	s_cbranch_execz .LBB117_187
; %bb.186:
	v_div_scale_f64 v[217:218], null, v[213:214], v[213:214], v[215:216]
	v_div_scale_f64 v[223:224], vcc_lo, v[215:216], v[213:214], v[215:216]
	v_rcp_f64_e32 v[219:220], v[217:218]
	v_fma_f64 v[221:222], -v[217:218], v[219:220], 1.0
	v_fma_f64 v[219:220], v[219:220], v[221:222], v[219:220]
	v_fma_f64 v[221:222], -v[217:218], v[219:220], 1.0
	v_fma_f64 v[219:220], v[219:220], v[221:222], v[219:220]
	v_mul_f64 v[221:222], v[223:224], v[219:220]
	v_fma_f64 v[217:218], -v[217:218], v[221:222], v[223:224]
	v_div_fmas_f64 v[217:218], v[217:218], v[219:220], v[221:222]
	v_div_fixup_f64 v[219:220], v[217:218], v[213:214], v[215:216]
	v_fma_f64 v[213:214], v[215:216], v[219:220], v[213:214]
	v_div_scale_f64 v[215:216], null, v[213:214], v[213:214], 1.0
	v_rcp_f64_e32 v[217:218], v[215:216]
	v_fma_f64 v[221:222], -v[215:216], v[217:218], 1.0
	v_fma_f64 v[217:218], v[217:218], v[221:222], v[217:218]
	v_fma_f64 v[221:222], -v[215:216], v[217:218], 1.0
	v_fma_f64 v[217:218], v[217:218], v[221:222], v[217:218]
	v_div_scale_f64 v[221:222], vcc_lo, 1.0, v[213:214], 1.0
	v_mul_f64 v[223:224], v[221:222], v[217:218]
	v_fma_f64 v[215:216], -v[215:216], v[223:224], v[221:222]
	v_div_fmas_f64 v[215:216], v[215:216], v[217:218], v[223:224]
	v_div_fixup_f64 v[217:218], v[215:216], v[213:214], 1.0
	v_mul_f64 v[219:220], v[219:220], -v[217:218]
.LBB117_187:
	s_or_b32 exec_lo, exec_lo, s1
	ds_write2_b64 v255, v[217:218], v[219:220] offset1:1
.LBB117_188:
	s_or_b32 exec_lo, exec_lo, s2
	s_waitcnt lgkmcnt(0)
	s_barrier
	buffer_gl0_inv
	ds_read2_b64 v[193:196], v255 offset1:1
	s_mov_b32 s1, exec_lo
	s_waitcnt lgkmcnt(0)
	buffer_store_dword v193, off, s[16:19], 0 offset:872 ; 4-byte Folded Spill
	buffer_store_dword v194, off, s[16:19], 0 offset:876 ; 4-byte Folded Spill
	;; [unrolled: 1-line block ×4, first 2 shown]
	v_cmpx_lt_u32_e32 20, v0
	s_cbranch_execz .LBB117_190
; %bb.189:
	s_clause 0x3
	buffer_load_dword v193, off, s[16:19], 0 offset:872
	buffer_load_dword v194, off, s[16:19], 0 offset:876
	;; [unrolled: 1-line block ×4, first 2 shown]
	ds_read2_b64 v[215:218], v253 offset0:42 offset1:43
	s_waitcnt vmcnt(0)
	v_mul_f64 v[213:214], v[195:196], v[155:156]
	v_mul_f64 v[155:156], v[193:194], v[155:156]
	v_fma_f64 v[213:214], v[193:194], v[153:154], -v[213:214]
	v_fma_f64 v[155:156], v[195:196], v[153:154], v[155:156]
	s_waitcnt lgkmcnt(0)
	v_mul_f64 v[153:154], v[217:218], v[155:156]
	v_fma_f64 v[153:154], v[215:216], v[213:214], -v[153:154]
	v_mul_f64 v[215:216], v[215:216], v[155:156]
	v_add_f64 v[149:150], v[149:150], -v[153:154]
	v_fma_f64 v[215:216], v[217:218], v[213:214], v[215:216]
	v_add_f64 v[151:152], v[151:152], -v[215:216]
	ds_read2_b64 v[215:218], v253 offset0:44 offset1:45
	s_waitcnt lgkmcnt(0)
	v_mul_f64 v[153:154], v[217:218], v[155:156]
	v_fma_f64 v[153:154], v[215:216], v[213:214], -v[153:154]
	v_mul_f64 v[215:216], v[215:216], v[155:156]
	v_add_f64 v[145:146], v[145:146], -v[153:154]
	v_fma_f64 v[215:216], v[217:218], v[213:214], v[215:216]
	v_add_f64 v[147:148], v[147:148], -v[215:216]
	ds_read2_b64 v[215:218], v253 offset0:46 offset1:47
	;; [unrolled: 8-line block ×37, first 2 shown]
	s_waitcnt lgkmcnt(0)
	v_mul_f64 v[153:154], v[217:218], v[155:156]
	v_fma_f64 v[153:154], v[215:216], v[213:214], -v[153:154]
	v_mul_f64 v[215:216], v[215:216], v[155:156]
	v_add_f64 v[1:2], v[1:2], -v[153:154]
	v_fma_f64 v[215:216], v[217:218], v[213:214], v[215:216]
	v_mov_b32_e32 v153, v213
	v_mov_b32_e32 v154, v214
	v_add_f64 v[3:4], v[3:4], -v[215:216]
.LBB117_190:
	s_or_b32 exec_lo, exec_lo, s1
	s_mov_b32 s2, exec_lo
	s_waitcnt_vscnt null, 0x0
	s_barrier
	buffer_gl0_inv
	v_cmpx_eq_u32_e32 21, v0
	s_cbranch_execz .LBB117_197
; %bb.191:
	ds_write2_b64 v255, v[149:150], v[151:152] offset1:1
	ds_write2_b64 v253, v[145:146], v[147:148] offset0:44 offset1:45
	ds_write2_b64 v253, v[141:142], v[143:144] offset0:46 offset1:47
	;; [unrolled: 1-line block ×37, first 2 shown]
	ds_read2_b64 v[213:216], v255 offset1:1
	s_waitcnt lgkmcnt(0)
	v_cmp_neq_f64_e32 vcc_lo, 0, v[213:214]
	v_cmp_neq_f64_e64 s1, 0, v[215:216]
	s_or_b32 s1, vcc_lo, s1
	s_and_b32 exec_lo, exec_lo, s1
	s_cbranch_execz .LBB117_197
; %bb.192:
	v_cmp_ngt_f64_e64 s1, |v[213:214]|, |v[215:216]|
                                        ; implicit-def: $vgpr217_vgpr218
	s_and_saveexec_b32 s3, s1
	s_xor_b32 s1, exec_lo, s3
                                        ; implicit-def: $vgpr219_vgpr220
	s_cbranch_execz .LBB117_194
; %bb.193:
	v_div_scale_f64 v[217:218], null, v[215:216], v[215:216], v[213:214]
	v_div_scale_f64 v[223:224], vcc_lo, v[213:214], v[215:216], v[213:214]
	v_rcp_f64_e32 v[219:220], v[217:218]
	v_fma_f64 v[221:222], -v[217:218], v[219:220], 1.0
	v_fma_f64 v[219:220], v[219:220], v[221:222], v[219:220]
	v_fma_f64 v[221:222], -v[217:218], v[219:220], 1.0
	v_fma_f64 v[219:220], v[219:220], v[221:222], v[219:220]
	v_mul_f64 v[221:222], v[223:224], v[219:220]
	v_fma_f64 v[217:218], -v[217:218], v[221:222], v[223:224]
	v_div_fmas_f64 v[217:218], v[217:218], v[219:220], v[221:222]
	v_div_fixup_f64 v[217:218], v[217:218], v[215:216], v[213:214]
	v_fma_f64 v[213:214], v[213:214], v[217:218], v[215:216]
	v_div_scale_f64 v[215:216], null, v[213:214], v[213:214], 1.0
	v_rcp_f64_e32 v[219:220], v[215:216]
	v_fma_f64 v[221:222], -v[215:216], v[219:220], 1.0
	v_fma_f64 v[219:220], v[219:220], v[221:222], v[219:220]
	v_fma_f64 v[221:222], -v[215:216], v[219:220], 1.0
	v_fma_f64 v[219:220], v[219:220], v[221:222], v[219:220]
	v_div_scale_f64 v[221:222], vcc_lo, 1.0, v[213:214], 1.0
	v_mul_f64 v[223:224], v[221:222], v[219:220]
	v_fma_f64 v[215:216], -v[215:216], v[223:224], v[221:222]
	v_div_fmas_f64 v[215:216], v[215:216], v[219:220], v[223:224]
	v_div_fixup_f64 v[219:220], v[215:216], v[213:214], 1.0
                                        ; implicit-def: $vgpr213_vgpr214
	v_mul_f64 v[217:218], v[217:218], v[219:220]
	v_xor_b32_e32 v220, 0x80000000, v220
.LBB117_194:
	s_andn2_saveexec_b32 s1, s1
	s_cbranch_execz .LBB117_196
; %bb.195:
	v_div_scale_f64 v[217:218], null, v[213:214], v[213:214], v[215:216]
	v_div_scale_f64 v[223:224], vcc_lo, v[215:216], v[213:214], v[215:216]
	v_rcp_f64_e32 v[219:220], v[217:218]
	v_fma_f64 v[221:222], -v[217:218], v[219:220], 1.0
	v_fma_f64 v[219:220], v[219:220], v[221:222], v[219:220]
	v_fma_f64 v[221:222], -v[217:218], v[219:220], 1.0
	v_fma_f64 v[219:220], v[219:220], v[221:222], v[219:220]
	v_mul_f64 v[221:222], v[223:224], v[219:220]
	v_fma_f64 v[217:218], -v[217:218], v[221:222], v[223:224]
	v_div_fmas_f64 v[217:218], v[217:218], v[219:220], v[221:222]
	v_div_fixup_f64 v[219:220], v[217:218], v[213:214], v[215:216]
	v_fma_f64 v[213:214], v[215:216], v[219:220], v[213:214]
	v_div_scale_f64 v[215:216], null, v[213:214], v[213:214], 1.0
	v_rcp_f64_e32 v[217:218], v[215:216]
	v_fma_f64 v[221:222], -v[215:216], v[217:218], 1.0
	v_fma_f64 v[217:218], v[217:218], v[221:222], v[217:218]
	v_fma_f64 v[221:222], -v[215:216], v[217:218], 1.0
	v_fma_f64 v[217:218], v[217:218], v[221:222], v[217:218]
	v_div_scale_f64 v[221:222], vcc_lo, 1.0, v[213:214], 1.0
	v_mul_f64 v[223:224], v[221:222], v[217:218]
	v_fma_f64 v[215:216], -v[215:216], v[223:224], v[221:222]
	v_div_fmas_f64 v[215:216], v[215:216], v[217:218], v[223:224]
	v_div_fixup_f64 v[217:218], v[215:216], v[213:214], 1.0
	v_mul_f64 v[219:220], v[219:220], -v[217:218]
.LBB117_196:
	s_or_b32 exec_lo, exec_lo, s1
	ds_write2_b64 v255, v[217:218], v[219:220] offset1:1
.LBB117_197:
	s_or_b32 exec_lo, exec_lo, s2
	s_waitcnt lgkmcnt(0)
	s_barrier
	buffer_gl0_inv
	ds_read2_b64 v[193:196], v255 offset1:1
	s_mov_b32 s1, exec_lo
	s_waitcnt lgkmcnt(0)
	buffer_store_dword v193, off, s[16:19], 0 offset:888 ; 4-byte Folded Spill
	buffer_store_dword v194, off, s[16:19], 0 offset:892 ; 4-byte Folded Spill
	;; [unrolled: 1-line block ×4, first 2 shown]
	v_cmpx_lt_u32_e32 21, v0
	s_cbranch_execz .LBB117_199
; %bb.198:
	s_clause 0x3
	buffer_load_dword v193, off, s[16:19], 0 offset:888
	buffer_load_dword v194, off, s[16:19], 0 offset:892
	;; [unrolled: 1-line block ×4, first 2 shown]
	ds_read2_b64 v[215:218], v253 offset0:44 offset1:45
	s_waitcnt vmcnt(0)
	v_mul_f64 v[213:214], v[195:196], v[151:152]
	v_mul_f64 v[151:152], v[193:194], v[151:152]
	v_fma_f64 v[213:214], v[193:194], v[149:150], -v[213:214]
	v_fma_f64 v[151:152], v[195:196], v[149:150], v[151:152]
	s_waitcnt lgkmcnt(0)
	v_mul_f64 v[149:150], v[217:218], v[151:152]
	v_fma_f64 v[149:150], v[215:216], v[213:214], -v[149:150]
	v_mul_f64 v[215:216], v[215:216], v[151:152]
	v_add_f64 v[145:146], v[145:146], -v[149:150]
	v_fma_f64 v[215:216], v[217:218], v[213:214], v[215:216]
	v_add_f64 v[147:148], v[147:148], -v[215:216]
	ds_read2_b64 v[215:218], v253 offset0:46 offset1:47
	s_waitcnt lgkmcnt(0)
	v_mul_f64 v[149:150], v[217:218], v[151:152]
	v_fma_f64 v[149:150], v[215:216], v[213:214], -v[149:150]
	v_mul_f64 v[215:216], v[215:216], v[151:152]
	v_add_f64 v[141:142], v[141:142], -v[149:150]
	v_fma_f64 v[215:216], v[217:218], v[213:214], v[215:216]
	v_add_f64 v[143:144], v[143:144], -v[215:216]
	ds_read2_b64 v[215:218], v253 offset0:48 offset1:49
	;; [unrolled: 8-line block ×36, first 2 shown]
	s_waitcnt lgkmcnt(0)
	v_mul_f64 v[149:150], v[217:218], v[151:152]
	v_fma_f64 v[149:150], v[215:216], v[213:214], -v[149:150]
	v_mul_f64 v[215:216], v[215:216], v[151:152]
	v_add_f64 v[1:2], v[1:2], -v[149:150]
	v_fma_f64 v[215:216], v[217:218], v[213:214], v[215:216]
	v_mov_b32_e32 v149, v213
	v_mov_b32_e32 v150, v214
	v_add_f64 v[3:4], v[3:4], -v[215:216]
.LBB117_199:
	s_or_b32 exec_lo, exec_lo, s1
	s_mov_b32 s2, exec_lo
	s_waitcnt_vscnt null, 0x0
	s_barrier
	buffer_gl0_inv
	v_cmpx_eq_u32_e32 22, v0
	s_cbranch_execz .LBB117_206
; %bb.200:
	ds_write2_b64 v255, v[145:146], v[147:148] offset1:1
	ds_write2_b64 v253, v[141:142], v[143:144] offset0:46 offset1:47
	ds_write2_b64 v253, v[137:138], v[139:140] offset0:48 offset1:49
	;; [unrolled: 1-line block ×36, first 2 shown]
	ds_read2_b64 v[213:216], v255 offset1:1
	s_waitcnt lgkmcnt(0)
	v_cmp_neq_f64_e32 vcc_lo, 0, v[213:214]
	v_cmp_neq_f64_e64 s1, 0, v[215:216]
	s_or_b32 s1, vcc_lo, s1
	s_and_b32 exec_lo, exec_lo, s1
	s_cbranch_execz .LBB117_206
; %bb.201:
	v_cmp_ngt_f64_e64 s1, |v[213:214]|, |v[215:216]|
                                        ; implicit-def: $vgpr217_vgpr218
	s_and_saveexec_b32 s3, s1
	s_xor_b32 s1, exec_lo, s3
                                        ; implicit-def: $vgpr219_vgpr220
	s_cbranch_execz .LBB117_203
; %bb.202:
	v_div_scale_f64 v[217:218], null, v[215:216], v[215:216], v[213:214]
	v_div_scale_f64 v[223:224], vcc_lo, v[213:214], v[215:216], v[213:214]
	v_rcp_f64_e32 v[219:220], v[217:218]
	v_fma_f64 v[221:222], -v[217:218], v[219:220], 1.0
	v_fma_f64 v[219:220], v[219:220], v[221:222], v[219:220]
	v_fma_f64 v[221:222], -v[217:218], v[219:220], 1.0
	v_fma_f64 v[219:220], v[219:220], v[221:222], v[219:220]
	v_mul_f64 v[221:222], v[223:224], v[219:220]
	v_fma_f64 v[217:218], -v[217:218], v[221:222], v[223:224]
	v_div_fmas_f64 v[217:218], v[217:218], v[219:220], v[221:222]
	v_div_fixup_f64 v[217:218], v[217:218], v[215:216], v[213:214]
	v_fma_f64 v[213:214], v[213:214], v[217:218], v[215:216]
	v_div_scale_f64 v[215:216], null, v[213:214], v[213:214], 1.0
	v_rcp_f64_e32 v[219:220], v[215:216]
	v_fma_f64 v[221:222], -v[215:216], v[219:220], 1.0
	v_fma_f64 v[219:220], v[219:220], v[221:222], v[219:220]
	v_fma_f64 v[221:222], -v[215:216], v[219:220], 1.0
	v_fma_f64 v[219:220], v[219:220], v[221:222], v[219:220]
	v_div_scale_f64 v[221:222], vcc_lo, 1.0, v[213:214], 1.0
	v_mul_f64 v[223:224], v[221:222], v[219:220]
	v_fma_f64 v[215:216], -v[215:216], v[223:224], v[221:222]
	v_div_fmas_f64 v[215:216], v[215:216], v[219:220], v[223:224]
	v_div_fixup_f64 v[219:220], v[215:216], v[213:214], 1.0
                                        ; implicit-def: $vgpr213_vgpr214
	v_mul_f64 v[217:218], v[217:218], v[219:220]
	v_xor_b32_e32 v220, 0x80000000, v220
.LBB117_203:
	s_andn2_saveexec_b32 s1, s1
	s_cbranch_execz .LBB117_205
; %bb.204:
	v_div_scale_f64 v[217:218], null, v[213:214], v[213:214], v[215:216]
	v_div_scale_f64 v[223:224], vcc_lo, v[215:216], v[213:214], v[215:216]
	v_rcp_f64_e32 v[219:220], v[217:218]
	v_fma_f64 v[221:222], -v[217:218], v[219:220], 1.0
	v_fma_f64 v[219:220], v[219:220], v[221:222], v[219:220]
	v_fma_f64 v[221:222], -v[217:218], v[219:220], 1.0
	v_fma_f64 v[219:220], v[219:220], v[221:222], v[219:220]
	v_mul_f64 v[221:222], v[223:224], v[219:220]
	v_fma_f64 v[217:218], -v[217:218], v[221:222], v[223:224]
	v_div_fmas_f64 v[217:218], v[217:218], v[219:220], v[221:222]
	v_div_fixup_f64 v[219:220], v[217:218], v[213:214], v[215:216]
	v_fma_f64 v[213:214], v[215:216], v[219:220], v[213:214]
	v_div_scale_f64 v[215:216], null, v[213:214], v[213:214], 1.0
	v_rcp_f64_e32 v[217:218], v[215:216]
	v_fma_f64 v[221:222], -v[215:216], v[217:218], 1.0
	v_fma_f64 v[217:218], v[217:218], v[221:222], v[217:218]
	v_fma_f64 v[221:222], -v[215:216], v[217:218], 1.0
	v_fma_f64 v[217:218], v[217:218], v[221:222], v[217:218]
	v_div_scale_f64 v[221:222], vcc_lo, 1.0, v[213:214], 1.0
	v_mul_f64 v[223:224], v[221:222], v[217:218]
	v_fma_f64 v[215:216], -v[215:216], v[223:224], v[221:222]
	v_div_fmas_f64 v[215:216], v[215:216], v[217:218], v[223:224]
	v_div_fixup_f64 v[217:218], v[215:216], v[213:214], 1.0
	v_mul_f64 v[219:220], v[219:220], -v[217:218]
.LBB117_205:
	s_or_b32 exec_lo, exec_lo, s1
	ds_write2_b64 v255, v[217:218], v[219:220] offset1:1
.LBB117_206:
	s_or_b32 exec_lo, exec_lo, s2
	s_waitcnt lgkmcnt(0)
	s_barrier
	buffer_gl0_inv
	ds_read2_b64 v[193:196], v255 offset1:1
	s_mov_b32 s1, exec_lo
	s_waitcnt lgkmcnt(0)
	buffer_store_dword v193, off, s[16:19], 0 offset:904 ; 4-byte Folded Spill
	buffer_store_dword v194, off, s[16:19], 0 offset:908 ; 4-byte Folded Spill
	;; [unrolled: 1-line block ×4, first 2 shown]
	v_cmpx_lt_u32_e32 22, v0
	s_cbranch_execz .LBB117_208
; %bb.207:
	s_clause 0x3
	buffer_load_dword v193, off, s[16:19], 0 offset:904
	buffer_load_dword v194, off, s[16:19], 0 offset:908
	;; [unrolled: 1-line block ×4, first 2 shown]
	ds_read2_b64 v[215:218], v253 offset0:46 offset1:47
	s_waitcnt vmcnt(0)
	v_mul_f64 v[213:214], v[195:196], v[147:148]
	v_mul_f64 v[147:148], v[193:194], v[147:148]
	v_fma_f64 v[213:214], v[193:194], v[145:146], -v[213:214]
	v_fma_f64 v[147:148], v[195:196], v[145:146], v[147:148]
	s_waitcnt lgkmcnt(0)
	v_mul_f64 v[145:146], v[217:218], v[147:148]
	v_fma_f64 v[145:146], v[215:216], v[213:214], -v[145:146]
	v_mul_f64 v[215:216], v[215:216], v[147:148]
	v_add_f64 v[141:142], v[141:142], -v[145:146]
	v_fma_f64 v[215:216], v[217:218], v[213:214], v[215:216]
	v_add_f64 v[143:144], v[143:144], -v[215:216]
	ds_read2_b64 v[215:218], v253 offset0:48 offset1:49
	s_waitcnt lgkmcnt(0)
	v_mul_f64 v[145:146], v[217:218], v[147:148]
	v_fma_f64 v[145:146], v[215:216], v[213:214], -v[145:146]
	v_mul_f64 v[215:216], v[215:216], v[147:148]
	v_add_f64 v[137:138], v[137:138], -v[145:146]
	v_fma_f64 v[215:216], v[217:218], v[213:214], v[215:216]
	v_add_f64 v[139:140], v[139:140], -v[215:216]
	ds_read2_b64 v[215:218], v253 offset0:50 offset1:51
	;; [unrolled: 8-line block ×35, first 2 shown]
	s_waitcnt lgkmcnt(0)
	v_mul_f64 v[145:146], v[217:218], v[147:148]
	v_fma_f64 v[145:146], v[215:216], v[213:214], -v[145:146]
	v_mul_f64 v[215:216], v[215:216], v[147:148]
	v_add_f64 v[1:2], v[1:2], -v[145:146]
	v_fma_f64 v[215:216], v[217:218], v[213:214], v[215:216]
	v_mov_b32_e32 v145, v213
	v_mov_b32_e32 v146, v214
	v_add_f64 v[3:4], v[3:4], -v[215:216]
.LBB117_208:
	s_or_b32 exec_lo, exec_lo, s1
	s_mov_b32 s2, exec_lo
	s_waitcnt_vscnt null, 0x0
	s_barrier
	buffer_gl0_inv
	v_cmpx_eq_u32_e32 23, v0
	s_cbranch_execz .LBB117_215
; %bb.209:
	ds_write2_b64 v255, v[141:142], v[143:144] offset1:1
	ds_write2_b64 v253, v[137:138], v[139:140] offset0:48 offset1:49
	ds_write2_b64 v253, v[133:134], v[135:136] offset0:50 offset1:51
	ds_write2_b64 v253, v[129:130], v[131:132] offset0:52 offset1:53
	ds_write2_b64 v253, v[125:126], v[127:128] offset0:54 offset1:55
	ds_write2_b64 v253, v[121:122], v[123:124] offset0:56 offset1:57
	ds_write2_b64 v253, v[117:118], v[119:120] offset0:58 offset1:59
	ds_write2_b64 v253, v[113:114], v[115:116] offset0:60 offset1:61
	ds_write2_b64 v253, v[109:110], v[111:112] offset0:62 offset1:63
	ds_write2_b64 v253, v[105:106], v[107:108] offset0:64 offset1:65
	ds_write2_b64 v253, v[101:102], v[103:104] offset0:66 offset1:67
	ds_write2_b64 v253, v[97:98], v[99:100] offset0:68 offset1:69
	ds_write2_b64 v253, v[93:94], v[95:96] offset0:70 offset1:71
	ds_write2_b64 v253, v[89:90], v[91:92] offset0:72 offset1:73
	ds_write2_b64 v253, v[85:86], v[87:88] offset0:74 offset1:75
	ds_write2_b64 v253, v[81:82], v[83:84] offset0:76 offset1:77
	ds_write2_b64 v253, v[77:78], v[79:80] offset0:78 offset1:79
	ds_write2_b64 v253, v[73:74], v[75:76] offset0:80 offset1:81
	ds_write2_b64 v253, v[69:70], v[71:72] offset0:82 offset1:83
	ds_write2_b64 v253, v[65:66], v[67:68] offset0:84 offset1:85
	ds_write2_b64 v253, v[61:62], v[63:64] offset0:86 offset1:87
	ds_write2_b64 v253, v[57:58], v[59:60] offset0:88 offset1:89
	ds_write2_b64 v253, v[53:54], v[55:56] offset0:90 offset1:91
	ds_write2_b64 v253, v[49:50], v[51:52] offset0:92 offset1:93
	ds_write2_b64 v253, v[45:46], v[47:48] offset0:94 offset1:95
	ds_write2_b64 v253, v[41:42], v[43:44] offset0:96 offset1:97
	ds_write2_b64 v253, v[37:38], v[39:40] offset0:98 offset1:99
	ds_write2_b64 v253, v[33:34], v[35:36] offset0:100 offset1:101
	ds_write2_b64 v253, v[29:30], v[31:32] offset0:102 offset1:103
	ds_write2_b64 v253, v[25:26], v[27:28] offset0:104 offset1:105
	ds_write2_b64 v253, v[21:22], v[23:24] offset0:106 offset1:107
	ds_write2_b64 v253, v[17:18], v[19:20] offset0:108 offset1:109
	ds_write2_b64 v253, v[13:14], v[15:16] offset0:110 offset1:111
	ds_write2_b64 v253, v[9:10], v[11:12] offset0:112 offset1:113
	ds_write2_b64 v253, v[5:6], v[7:8] offset0:114 offset1:115
	ds_write2_b64 v253, v[1:2], v[3:4] offset0:116 offset1:117
	ds_read2_b64 v[213:216], v255 offset1:1
	s_waitcnt lgkmcnt(0)
	v_cmp_neq_f64_e32 vcc_lo, 0, v[213:214]
	v_cmp_neq_f64_e64 s1, 0, v[215:216]
	s_or_b32 s1, vcc_lo, s1
	s_and_b32 exec_lo, exec_lo, s1
	s_cbranch_execz .LBB117_215
; %bb.210:
	v_cmp_ngt_f64_e64 s1, |v[213:214]|, |v[215:216]|
                                        ; implicit-def: $vgpr217_vgpr218
	s_and_saveexec_b32 s3, s1
	s_xor_b32 s1, exec_lo, s3
                                        ; implicit-def: $vgpr219_vgpr220
	s_cbranch_execz .LBB117_212
; %bb.211:
	v_div_scale_f64 v[217:218], null, v[215:216], v[215:216], v[213:214]
	v_div_scale_f64 v[223:224], vcc_lo, v[213:214], v[215:216], v[213:214]
	v_rcp_f64_e32 v[219:220], v[217:218]
	v_fma_f64 v[221:222], -v[217:218], v[219:220], 1.0
	v_fma_f64 v[219:220], v[219:220], v[221:222], v[219:220]
	v_fma_f64 v[221:222], -v[217:218], v[219:220], 1.0
	v_fma_f64 v[219:220], v[219:220], v[221:222], v[219:220]
	v_mul_f64 v[221:222], v[223:224], v[219:220]
	v_fma_f64 v[217:218], -v[217:218], v[221:222], v[223:224]
	v_div_fmas_f64 v[217:218], v[217:218], v[219:220], v[221:222]
	v_div_fixup_f64 v[217:218], v[217:218], v[215:216], v[213:214]
	v_fma_f64 v[213:214], v[213:214], v[217:218], v[215:216]
	v_div_scale_f64 v[215:216], null, v[213:214], v[213:214], 1.0
	v_rcp_f64_e32 v[219:220], v[215:216]
	v_fma_f64 v[221:222], -v[215:216], v[219:220], 1.0
	v_fma_f64 v[219:220], v[219:220], v[221:222], v[219:220]
	v_fma_f64 v[221:222], -v[215:216], v[219:220], 1.0
	v_fma_f64 v[219:220], v[219:220], v[221:222], v[219:220]
	v_div_scale_f64 v[221:222], vcc_lo, 1.0, v[213:214], 1.0
	v_mul_f64 v[223:224], v[221:222], v[219:220]
	v_fma_f64 v[215:216], -v[215:216], v[223:224], v[221:222]
	v_div_fmas_f64 v[215:216], v[215:216], v[219:220], v[223:224]
	v_div_fixup_f64 v[219:220], v[215:216], v[213:214], 1.0
                                        ; implicit-def: $vgpr213_vgpr214
	v_mul_f64 v[217:218], v[217:218], v[219:220]
	v_xor_b32_e32 v220, 0x80000000, v220
.LBB117_212:
	s_andn2_saveexec_b32 s1, s1
	s_cbranch_execz .LBB117_214
; %bb.213:
	v_div_scale_f64 v[217:218], null, v[213:214], v[213:214], v[215:216]
	v_div_scale_f64 v[223:224], vcc_lo, v[215:216], v[213:214], v[215:216]
	v_rcp_f64_e32 v[219:220], v[217:218]
	v_fma_f64 v[221:222], -v[217:218], v[219:220], 1.0
	v_fma_f64 v[219:220], v[219:220], v[221:222], v[219:220]
	v_fma_f64 v[221:222], -v[217:218], v[219:220], 1.0
	v_fma_f64 v[219:220], v[219:220], v[221:222], v[219:220]
	v_mul_f64 v[221:222], v[223:224], v[219:220]
	v_fma_f64 v[217:218], -v[217:218], v[221:222], v[223:224]
	v_div_fmas_f64 v[217:218], v[217:218], v[219:220], v[221:222]
	v_div_fixup_f64 v[219:220], v[217:218], v[213:214], v[215:216]
	v_fma_f64 v[213:214], v[215:216], v[219:220], v[213:214]
	v_div_scale_f64 v[215:216], null, v[213:214], v[213:214], 1.0
	v_rcp_f64_e32 v[217:218], v[215:216]
	v_fma_f64 v[221:222], -v[215:216], v[217:218], 1.0
	v_fma_f64 v[217:218], v[217:218], v[221:222], v[217:218]
	v_fma_f64 v[221:222], -v[215:216], v[217:218], 1.0
	v_fma_f64 v[217:218], v[217:218], v[221:222], v[217:218]
	v_div_scale_f64 v[221:222], vcc_lo, 1.0, v[213:214], 1.0
	v_mul_f64 v[223:224], v[221:222], v[217:218]
	v_fma_f64 v[215:216], -v[215:216], v[223:224], v[221:222]
	v_div_fmas_f64 v[215:216], v[215:216], v[217:218], v[223:224]
	v_div_fixup_f64 v[217:218], v[215:216], v[213:214], 1.0
	v_mul_f64 v[219:220], v[219:220], -v[217:218]
.LBB117_214:
	s_or_b32 exec_lo, exec_lo, s1
	ds_write2_b64 v255, v[217:218], v[219:220] offset1:1
.LBB117_215:
	s_or_b32 exec_lo, exec_lo, s2
	s_waitcnt lgkmcnt(0)
	s_barrier
	buffer_gl0_inv
	ds_read2_b64 v[193:196], v255 offset1:1
	s_mov_b32 s1, exec_lo
	s_waitcnt lgkmcnt(0)
	buffer_store_dword v193, off, s[16:19], 0 offset:920 ; 4-byte Folded Spill
	buffer_store_dword v194, off, s[16:19], 0 offset:924 ; 4-byte Folded Spill
	;; [unrolled: 1-line block ×4, first 2 shown]
	v_cmpx_lt_u32_e32 23, v0
	s_cbranch_execz .LBB117_217
; %bb.216:
	s_clause 0x3
	buffer_load_dword v193, off, s[16:19], 0 offset:920
	buffer_load_dword v194, off, s[16:19], 0 offset:924
	;; [unrolled: 1-line block ×4, first 2 shown]
	ds_read2_b64 v[215:218], v253 offset0:48 offset1:49
	s_waitcnt vmcnt(0)
	v_mul_f64 v[213:214], v[195:196], v[143:144]
	v_mul_f64 v[143:144], v[193:194], v[143:144]
	v_fma_f64 v[213:214], v[193:194], v[141:142], -v[213:214]
	v_fma_f64 v[143:144], v[195:196], v[141:142], v[143:144]
	s_waitcnt lgkmcnt(0)
	v_mul_f64 v[141:142], v[217:218], v[143:144]
	v_fma_f64 v[141:142], v[215:216], v[213:214], -v[141:142]
	v_mul_f64 v[215:216], v[215:216], v[143:144]
	v_add_f64 v[137:138], v[137:138], -v[141:142]
	v_fma_f64 v[215:216], v[217:218], v[213:214], v[215:216]
	v_add_f64 v[139:140], v[139:140], -v[215:216]
	ds_read2_b64 v[215:218], v253 offset0:50 offset1:51
	s_waitcnt lgkmcnt(0)
	v_mul_f64 v[141:142], v[217:218], v[143:144]
	v_fma_f64 v[141:142], v[215:216], v[213:214], -v[141:142]
	v_mul_f64 v[215:216], v[215:216], v[143:144]
	v_add_f64 v[133:134], v[133:134], -v[141:142]
	v_fma_f64 v[215:216], v[217:218], v[213:214], v[215:216]
	v_add_f64 v[135:136], v[135:136], -v[215:216]
	ds_read2_b64 v[215:218], v253 offset0:52 offset1:53
	s_waitcnt lgkmcnt(0)
	v_mul_f64 v[141:142], v[217:218], v[143:144]
	v_fma_f64 v[141:142], v[215:216], v[213:214], -v[141:142]
	v_mul_f64 v[215:216], v[215:216], v[143:144]
	v_add_f64 v[129:130], v[129:130], -v[141:142]
	v_fma_f64 v[215:216], v[217:218], v[213:214], v[215:216]
	v_add_f64 v[131:132], v[131:132], -v[215:216]
	ds_read2_b64 v[215:218], v253 offset0:54 offset1:55
	s_waitcnt lgkmcnt(0)
	v_mul_f64 v[141:142], v[217:218], v[143:144]
	v_fma_f64 v[141:142], v[215:216], v[213:214], -v[141:142]
	v_mul_f64 v[215:216], v[215:216], v[143:144]
	v_add_f64 v[125:126], v[125:126], -v[141:142]
	v_fma_f64 v[215:216], v[217:218], v[213:214], v[215:216]
	v_add_f64 v[127:128], v[127:128], -v[215:216]
	ds_read2_b64 v[215:218], v253 offset0:56 offset1:57
	s_waitcnt lgkmcnt(0)
	v_mul_f64 v[141:142], v[217:218], v[143:144]
	v_fma_f64 v[141:142], v[215:216], v[213:214], -v[141:142]
	v_mul_f64 v[215:216], v[215:216], v[143:144]
	v_add_f64 v[121:122], v[121:122], -v[141:142]
	v_fma_f64 v[215:216], v[217:218], v[213:214], v[215:216]
	v_add_f64 v[123:124], v[123:124], -v[215:216]
	ds_read2_b64 v[215:218], v253 offset0:58 offset1:59
	s_waitcnt lgkmcnt(0)
	v_mul_f64 v[141:142], v[217:218], v[143:144]
	v_fma_f64 v[141:142], v[215:216], v[213:214], -v[141:142]
	v_mul_f64 v[215:216], v[215:216], v[143:144]
	v_add_f64 v[117:118], v[117:118], -v[141:142]
	v_fma_f64 v[215:216], v[217:218], v[213:214], v[215:216]
	v_add_f64 v[119:120], v[119:120], -v[215:216]
	ds_read2_b64 v[215:218], v253 offset0:60 offset1:61
	s_waitcnt lgkmcnt(0)
	v_mul_f64 v[141:142], v[217:218], v[143:144]
	v_fma_f64 v[141:142], v[215:216], v[213:214], -v[141:142]
	v_mul_f64 v[215:216], v[215:216], v[143:144]
	v_add_f64 v[113:114], v[113:114], -v[141:142]
	v_fma_f64 v[215:216], v[217:218], v[213:214], v[215:216]
	v_add_f64 v[115:116], v[115:116], -v[215:216]
	ds_read2_b64 v[215:218], v253 offset0:62 offset1:63
	s_waitcnt lgkmcnt(0)
	v_mul_f64 v[141:142], v[217:218], v[143:144]
	v_fma_f64 v[141:142], v[215:216], v[213:214], -v[141:142]
	v_mul_f64 v[215:216], v[215:216], v[143:144]
	v_add_f64 v[109:110], v[109:110], -v[141:142]
	v_fma_f64 v[215:216], v[217:218], v[213:214], v[215:216]
	v_add_f64 v[111:112], v[111:112], -v[215:216]
	ds_read2_b64 v[215:218], v253 offset0:64 offset1:65
	s_waitcnt lgkmcnt(0)
	v_mul_f64 v[141:142], v[217:218], v[143:144]
	v_fma_f64 v[141:142], v[215:216], v[213:214], -v[141:142]
	v_mul_f64 v[215:216], v[215:216], v[143:144]
	v_add_f64 v[105:106], v[105:106], -v[141:142]
	v_fma_f64 v[215:216], v[217:218], v[213:214], v[215:216]
	v_add_f64 v[107:108], v[107:108], -v[215:216]
	ds_read2_b64 v[215:218], v253 offset0:66 offset1:67
	s_waitcnt lgkmcnt(0)
	v_mul_f64 v[141:142], v[217:218], v[143:144]
	v_fma_f64 v[141:142], v[215:216], v[213:214], -v[141:142]
	v_mul_f64 v[215:216], v[215:216], v[143:144]
	v_add_f64 v[101:102], v[101:102], -v[141:142]
	v_fma_f64 v[215:216], v[217:218], v[213:214], v[215:216]
	v_add_f64 v[103:104], v[103:104], -v[215:216]
	ds_read2_b64 v[215:218], v253 offset0:68 offset1:69
	s_waitcnt lgkmcnt(0)
	v_mul_f64 v[141:142], v[217:218], v[143:144]
	v_fma_f64 v[141:142], v[215:216], v[213:214], -v[141:142]
	v_mul_f64 v[215:216], v[215:216], v[143:144]
	v_add_f64 v[97:98], v[97:98], -v[141:142]
	v_fma_f64 v[215:216], v[217:218], v[213:214], v[215:216]
	v_add_f64 v[99:100], v[99:100], -v[215:216]
	ds_read2_b64 v[215:218], v253 offset0:70 offset1:71
	s_waitcnt lgkmcnt(0)
	v_mul_f64 v[141:142], v[217:218], v[143:144]
	v_fma_f64 v[141:142], v[215:216], v[213:214], -v[141:142]
	v_mul_f64 v[215:216], v[215:216], v[143:144]
	v_add_f64 v[93:94], v[93:94], -v[141:142]
	v_fma_f64 v[215:216], v[217:218], v[213:214], v[215:216]
	v_add_f64 v[95:96], v[95:96], -v[215:216]
	ds_read2_b64 v[215:218], v253 offset0:72 offset1:73
	s_waitcnt lgkmcnt(0)
	v_mul_f64 v[141:142], v[217:218], v[143:144]
	v_fma_f64 v[141:142], v[215:216], v[213:214], -v[141:142]
	v_mul_f64 v[215:216], v[215:216], v[143:144]
	v_add_f64 v[89:90], v[89:90], -v[141:142]
	v_fma_f64 v[215:216], v[217:218], v[213:214], v[215:216]
	v_add_f64 v[91:92], v[91:92], -v[215:216]
	ds_read2_b64 v[215:218], v253 offset0:74 offset1:75
	s_waitcnt lgkmcnt(0)
	v_mul_f64 v[141:142], v[217:218], v[143:144]
	v_fma_f64 v[141:142], v[215:216], v[213:214], -v[141:142]
	v_mul_f64 v[215:216], v[215:216], v[143:144]
	v_add_f64 v[85:86], v[85:86], -v[141:142]
	v_fma_f64 v[215:216], v[217:218], v[213:214], v[215:216]
	v_add_f64 v[87:88], v[87:88], -v[215:216]
	ds_read2_b64 v[215:218], v253 offset0:76 offset1:77
	s_waitcnt lgkmcnt(0)
	v_mul_f64 v[141:142], v[217:218], v[143:144]
	v_fma_f64 v[141:142], v[215:216], v[213:214], -v[141:142]
	v_mul_f64 v[215:216], v[215:216], v[143:144]
	v_add_f64 v[81:82], v[81:82], -v[141:142]
	v_fma_f64 v[215:216], v[217:218], v[213:214], v[215:216]
	v_add_f64 v[83:84], v[83:84], -v[215:216]
	ds_read2_b64 v[215:218], v253 offset0:78 offset1:79
	s_waitcnt lgkmcnt(0)
	v_mul_f64 v[141:142], v[217:218], v[143:144]
	v_fma_f64 v[141:142], v[215:216], v[213:214], -v[141:142]
	v_mul_f64 v[215:216], v[215:216], v[143:144]
	v_add_f64 v[77:78], v[77:78], -v[141:142]
	v_fma_f64 v[215:216], v[217:218], v[213:214], v[215:216]
	v_add_f64 v[79:80], v[79:80], -v[215:216]
	ds_read2_b64 v[215:218], v253 offset0:80 offset1:81
	s_waitcnt lgkmcnt(0)
	v_mul_f64 v[141:142], v[217:218], v[143:144]
	v_fma_f64 v[141:142], v[215:216], v[213:214], -v[141:142]
	v_mul_f64 v[215:216], v[215:216], v[143:144]
	v_add_f64 v[73:74], v[73:74], -v[141:142]
	v_fma_f64 v[215:216], v[217:218], v[213:214], v[215:216]
	v_add_f64 v[75:76], v[75:76], -v[215:216]
	ds_read2_b64 v[215:218], v253 offset0:82 offset1:83
	s_waitcnt lgkmcnt(0)
	v_mul_f64 v[141:142], v[217:218], v[143:144]
	v_fma_f64 v[141:142], v[215:216], v[213:214], -v[141:142]
	v_mul_f64 v[215:216], v[215:216], v[143:144]
	v_add_f64 v[69:70], v[69:70], -v[141:142]
	v_fma_f64 v[215:216], v[217:218], v[213:214], v[215:216]
	v_add_f64 v[71:72], v[71:72], -v[215:216]
	ds_read2_b64 v[215:218], v253 offset0:84 offset1:85
	s_waitcnt lgkmcnt(0)
	v_mul_f64 v[141:142], v[217:218], v[143:144]
	v_fma_f64 v[141:142], v[215:216], v[213:214], -v[141:142]
	v_mul_f64 v[215:216], v[215:216], v[143:144]
	v_add_f64 v[65:66], v[65:66], -v[141:142]
	v_fma_f64 v[215:216], v[217:218], v[213:214], v[215:216]
	v_add_f64 v[67:68], v[67:68], -v[215:216]
	ds_read2_b64 v[215:218], v253 offset0:86 offset1:87
	s_waitcnt lgkmcnt(0)
	v_mul_f64 v[141:142], v[217:218], v[143:144]
	v_fma_f64 v[141:142], v[215:216], v[213:214], -v[141:142]
	v_mul_f64 v[215:216], v[215:216], v[143:144]
	v_add_f64 v[61:62], v[61:62], -v[141:142]
	v_fma_f64 v[215:216], v[217:218], v[213:214], v[215:216]
	v_add_f64 v[63:64], v[63:64], -v[215:216]
	ds_read2_b64 v[215:218], v253 offset0:88 offset1:89
	s_waitcnt lgkmcnt(0)
	v_mul_f64 v[141:142], v[217:218], v[143:144]
	v_fma_f64 v[141:142], v[215:216], v[213:214], -v[141:142]
	v_mul_f64 v[215:216], v[215:216], v[143:144]
	v_add_f64 v[57:58], v[57:58], -v[141:142]
	v_fma_f64 v[215:216], v[217:218], v[213:214], v[215:216]
	v_add_f64 v[59:60], v[59:60], -v[215:216]
	ds_read2_b64 v[215:218], v253 offset0:90 offset1:91
	s_waitcnt lgkmcnt(0)
	v_mul_f64 v[141:142], v[217:218], v[143:144]
	v_fma_f64 v[141:142], v[215:216], v[213:214], -v[141:142]
	v_mul_f64 v[215:216], v[215:216], v[143:144]
	v_add_f64 v[53:54], v[53:54], -v[141:142]
	v_fma_f64 v[215:216], v[217:218], v[213:214], v[215:216]
	v_add_f64 v[55:56], v[55:56], -v[215:216]
	ds_read2_b64 v[215:218], v253 offset0:92 offset1:93
	s_waitcnt lgkmcnt(0)
	v_mul_f64 v[141:142], v[217:218], v[143:144]
	v_fma_f64 v[141:142], v[215:216], v[213:214], -v[141:142]
	v_mul_f64 v[215:216], v[215:216], v[143:144]
	v_add_f64 v[49:50], v[49:50], -v[141:142]
	v_fma_f64 v[215:216], v[217:218], v[213:214], v[215:216]
	v_add_f64 v[51:52], v[51:52], -v[215:216]
	ds_read2_b64 v[215:218], v253 offset0:94 offset1:95
	s_waitcnt lgkmcnt(0)
	v_mul_f64 v[141:142], v[217:218], v[143:144]
	v_fma_f64 v[141:142], v[215:216], v[213:214], -v[141:142]
	v_mul_f64 v[215:216], v[215:216], v[143:144]
	v_add_f64 v[45:46], v[45:46], -v[141:142]
	v_fma_f64 v[215:216], v[217:218], v[213:214], v[215:216]
	v_add_f64 v[47:48], v[47:48], -v[215:216]
	ds_read2_b64 v[215:218], v253 offset0:96 offset1:97
	s_waitcnt lgkmcnt(0)
	v_mul_f64 v[141:142], v[217:218], v[143:144]
	v_fma_f64 v[141:142], v[215:216], v[213:214], -v[141:142]
	v_mul_f64 v[215:216], v[215:216], v[143:144]
	v_add_f64 v[41:42], v[41:42], -v[141:142]
	v_fma_f64 v[215:216], v[217:218], v[213:214], v[215:216]
	v_add_f64 v[43:44], v[43:44], -v[215:216]
	ds_read2_b64 v[215:218], v253 offset0:98 offset1:99
	s_waitcnt lgkmcnt(0)
	v_mul_f64 v[141:142], v[217:218], v[143:144]
	v_fma_f64 v[141:142], v[215:216], v[213:214], -v[141:142]
	v_mul_f64 v[215:216], v[215:216], v[143:144]
	v_add_f64 v[37:38], v[37:38], -v[141:142]
	v_fma_f64 v[215:216], v[217:218], v[213:214], v[215:216]
	v_add_f64 v[39:40], v[39:40], -v[215:216]
	ds_read2_b64 v[215:218], v253 offset0:100 offset1:101
	s_waitcnt lgkmcnt(0)
	v_mul_f64 v[141:142], v[217:218], v[143:144]
	v_fma_f64 v[141:142], v[215:216], v[213:214], -v[141:142]
	v_mul_f64 v[215:216], v[215:216], v[143:144]
	v_add_f64 v[33:34], v[33:34], -v[141:142]
	v_fma_f64 v[215:216], v[217:218], v[213:214], v[215:216]
	v_add_f64 v[35:36], v[35:36], -v[215:216]
	ds_read2_b64 v[215:218], v253 offset0:102 offset1:103
	s_waitcnt lgkmcnt(0)
	v_mul_f64 v[141:142], v[217:218], v[143:144]
	v_fma_f64 v[141:142], v[215:216], v[213:214], -v[141:142]
	v_mul_f64 v[215:216], v[215:216], v[143:144]
	v_add_f64 v[29:30], v[29:30], -v[141:142]
	v_fma_f64 v[215:216], v[217:218], v[213:214], v[215:216]
	v_add_f64 v[31:32], v[31:32], -v[215:216]
	ds_read2_b64 v[215:218], v253 offset0:104 offset1:105
	s_waitcnt lgkmcnt(0)
	v_mul_f64 v[141:142], v[217:218], v[143:144]
	v_fma_f64 v[141:142], v[215:216], v[213:214], -v[141:142]
	v_mul_f64 v[215:216], v[215:216], v[143:144]
	v_add_f64 v[25:26], v[25:26], -v[141:142]
	v_fma_f64 v[215:216], v[217:218], v[213:214], v[215:216]
	v_add_f64 v[27:28], v[27:28], -v[215:216]
	ds_read2_b64 v[215:218], v253 offset0:106 offset1:107
	s_waitcnt lgkmcnt(0)
	v_mul_f64 v[141:142], v[217:218], v[143:144]
	v_fma_f64 v[141:142], v[215:216], v[213:214], -v[141:142]
	v_mul_f64 v[215:216], v[215:216], v[143:144]
	v_add_f64 v[21:22], v[21:22], -v[141:142]
	v_fma_f64 v[215:216], v[217:218], v[213:214], v[215:216]
	v_add_f64 v[23:24], v[23:24], -v[215:216]
	ds_read2_b64 v[215:218], v253 offset0:108 offset1:109
	s_waitcnt lgkmcnt(0)
	v_mul_f64 v[141:142], v[217:218], v[143:144]
	v_fma_f64 v[141:142], v[215:216], v[213:214], -v[141:142]
	v_mul_f64 v[215:216], v[215:216], v[143:144]
	v_add_f64 v[17:18], v[17:18], -v[141:142]
	v_fma_f64 v[215:216], v[217:218], v[213:214], v[215:216]
	v_add_f64 v[19:20], v[19:20], -v[215:216]
	ds_read2_b64 v[215:218], v253 offset0:110 offset1:111
	s_waitcnt lgkmcnt(0)
	v_mul_f64 v[141:142], v[217:218], v[143:144]
	v_fma_f64 v[141:142], v[215:216], v[213:214], -v[141:142]
	v_mul_f64 v[215:216], v[215:216], v[143:144]
	v_add_f64 v[13:14], v[13:14], -v[141:142]
	v_fma_f64 v[215:216], v[217:218], v[213:214], v[215:216]
	v_add_f64 v[15:16], v[15:16], -v[215:216]
	ds_read2_b64 v[215:218], v253 offset0:112 offset1:113
	s_waitcnt lgkmcnt(0)
	v_mul_f64 v[141:142], v[217:218], v[143:144]
	v_fma_f64 v[141:142], v[215:216], v[213:214], -v[141:142]
	v_mul_f64 v[215:216], v[215:216], v[143:144]
	v_add_f64 v[9:10], v[9:10], -v[141:142]
	v_fma_f64 v[215:216], v[217:218], v[213:214], v[215:216]
	v_add_f64 v[11:12], v[11:12], -v[215:216]
	ds_read2_b64 v[215:218], v253 offset0:114 offset1:115
	s_waitcnt lgkmcnt(0)
	v_mul_f64 v[141:142], v[217:218], v[143:144]
	v_fma_f64 v[141:142], v[215:216], v[213:214], -v[141:142]
	v_mul_f64 v[215:216], v[215:216], v[143:144]
	v_add_f64 v[5:6], v[5:6], -v[141:142]
	v_fma_f64 v[215:216], v[217:218], v[213:214], v[215:216]
	v_add_f64 v[7:8], v[7:8], -v[215:216]
	ds_read2_b64 v[215:218], v253 offset0:116 offset1:117
	s_waitcnt lgkmcnt(0)
	v_mul_f64 v[141:142], v[217:218], v[143:144]
	v_fma_f64 v[141:142], v[215:216], v[213:214], -v[141:142]
	v_mul_f64 v[215:216], v[215:216], v[143:144]
	v_add_f64 v[1:2], v[1:2], -v[141:142]
	v_fma_f64 v[215:216], v[217:218], v[213:214], v[215:216]
	v_mov_b32_e32 v141, v213
	v_mov_b32_e32 v142, v214
	v_add_f64 v[3:4], v[3:4], -v[215:216]
.LBB117_217:
	s_or_b32 exec_lo, exec_lo, s1
	s_mov_b32 s2, exec_lo
	s_waitcnt_vscnt null, 0x0
	s_barrier
	buffer_gl0_inv
	v_cmpx_eq_u32_e32 24, v0
	s_cbranch_execz .LBB117_224
; %bb.218:
	ds_write2_b64 v255, v[137:138], v[139:140] offset1:1
	ds_write2_b64 v253, v[133:134], v[135:136] offset0:50 offset1:51
	ds_write2_b64 v253, v[129:130], v[131:132] offset0:52 offset1:53
	;; [unrolled: 1-line block ×34, first 2 shown]
	ds_read2_b64 v[213:216], v255 offset1:1
	s_waitcnt lgkmcnt(0)
	v_cmp_neq_f64_e32 vcc_lo, 0, v[213:214]
	v_cmp_neq_f64_e64 s1, 0, v[215:216]
	s_or_b32 s1, vcc_lo, s1
	s_and_b32 exec_lo, exec_lo, s1
	s_cbranch_execz .LBB117_224
; %bb.219:
	v_cmp_ngt_f64_e64 s1, |v[213:214]|, |v[215:216]|
                                        ; implicit-def: $vgpr217_vgpr218
	s_and_saveexec_b32 s3, s1
	s_xor_b32 s1, exec_lo, s3
                                        ; implicit-def: $vgpr219_vgpr220
	s_cbranch_execz .LBB117_221
; %bb.220:
	v_div_scale_f64 v[217:218], null, v[215:216], v[215:216], v[213:214]
	v_div_scale_f64 v[223:224], vcc_lo, v[213:214], v[215:216], v[213:214]
	v_rcp_f64_e32 v[219:220], v[217:218]
	v_fma_f64 v[221:222], -v[217:218], v[219:220], 1.0
	v_fma_f64 v[219:220], v[219:220], v[221:222], v[219:220]
	v_fma_f64 v[221:222], -v[217:218], v[219:220], 1.0
	v_fma_f64 v[219:220], v[219:220], v[221:222], v[219:220]
	v_mul_f64 v[221:222], v[223:224], v[219:220]
	v_fma_f64 v[217:218], -v[217:218], v[221:222], v[223:224]
	v_div_fmas_f64 v[217:218], v[217:218], v[219:220], v[221:222]
	v_div_fixup_f64 v[217:218], v[217:218], v[215:216], v[213:214]
	v_fma_f64 v[213:214], v[213:214], v[217:218], v[215:216]
	v_div_scale_f64 v[215:216], null, v[213:214], v[213:214], 1.0
	v_rcp_f64_e32 v[219:220], v[215:216]
	v_fma_f64 v[221:222], -v[215:216], v[219:220], 1.0
	v_fma_f64 v[219:220], v[219:220], v[221:222], v[219:220]
	v_fma_f64 v[221:222], -v[215:216], v[219:220], 1.0
	v_fma_f64 v[219:220], v[219:220], v[221:222], v[219:220]
	v_div_scale_f64 v[221:222], vcc_lo, 1.0, v[213:214], 1.0
	v_mul_f64 v[223:224], v[221:222], v[219:220]
	v_fma_f64 v[215:216], -v[215:216], v[223:224], v[221:222]
	v_div_fmas_f64 v[215:216], v[215:216], v[219:220], v[223:224]
	v_div_fixup_f64 v[219:220], v[215:216], v[213:214], 1.0
                                        ; implicit-def: $vgpr213_vgpr214
	v_mul_f64 v[217:218], v[217:218], v[219:220]
	v_xor_b32_e32 v220, 0x80000000, v220
.LBB117_221:
	s_andn2_saveexec_b32 s1, s1
	s_cbranch_execz .LBB117_223
; %bb.222:
	v_div_scale_f64 v[217:218], null, v[213:214], v[213:214], v[215:216]
	v_div_scale_f64 v[223:224], vcc_lo, v[215:216], v[213:214], v[215:216]
	v_rcp_f64_e32 v[219:220], v[217:218]
	v_fma_f64 v[221:222], -v[217:218], v[219:220], 1.0
	v_fma_f64 v[219:220], v[219:220], v[221:222], v[219:220]
	v_fma_f64 v[221:222], -v[217:218], v[219:220], 1.0
	v_fma_f64 v[219:220], v[219:220], v[221:222], v[219:220]
	v_mul_f64 v[221:222], v[223:224], v[219:220]
	v_fma_f64 v[217:218], -v[217:218], v[221:222], v[223:224]
	v_div_fmas_f64 v[217:218], v[217:218], v[219:220], v[221:222]
	v_div_fixup_f64 v[219:220], v[217:218], v[213:214], v[215:216]
	v_fma_f64 v[213:214], v[215:216], v[219:220], v[213:214]
	v_div_scale_f64 v[215:216], null, v[213:214], v[213:214], 1.0
	v_rcp_f64_e32 v[217:218], v[215:216]
	v_fma_f64 v[221:222], -v[215:216], v[217:218], 1.0
	v_fma_f64 v[217:218], v[217:218], v[221:222], v[217:218]
	v_fma_f64 v[221:222], -v[215:216], v[217:218], 1.0
	v_fma_f64 v[217:218], v[217:218], v[221:222], v[217:218]
	v_div_scale_f64 v[221:222], vcc_lo, 1.0, v[213:214], 1.0
	v_mul_f64 v[223:224], v[221:222], v[217:218]
	v_fma_f64 v[215:216], -v[215:216], v[223:224], v[221:222]
	v_div_fmas_f64 v[215:216], v[215:216], v[217:218], v[223:224]
	v_div_fixup_f64 v[217:218], v[215:216], v[213:214], 1.0
	v_mul_f64 v[219:220], v[219:220], -v[217:218]
.LBB117_223:
	s_or_b32 exec_lo, exec_lo, s1
	ds_write2_b64 v255, v[217:218], v[219:220] offset1:1
.LBB117_224:
	s_or_b32 exec_lo, exec_lo, s2
	s_waitcnt lgkmcnt(0)
	s_barrier
	buffer_gl0_inv
	ds_read2_b64 v[193:196], v255 offset1:1
	s_mov_b32 s1, exec_lo
	s_waitcnt lgkmcnt(0)
	buffer_store_dword v193, off, s[16:19], 0 offset:936 ; 4-byte Folded Spill
	buffer_store_dword v194, off, s[16:19], 0 offset:940 ; 4-byte Folded Spill
	;; [unrolled: 1-line block ×4, first 2 shown]
	v_cmpx_lt_u32_e32 24, v0
	s_cbranch_execz .LBB117_226
; %bb.225:
	s_clause 0x3
	buffer_load_dword v193, off, s[16:19], 0 offset:936
	buffer_load_dword v194, off, s[16:19], 0 offset:940
	;; [unrolled: 1-line block ×4, first 2 shown]
	ds_read2_b64 v[215:218], v253 offset0:50 offset1:51
	s_waitcnt vmcnt(0)
	v_mul_f64 v[213:214], v[195:196], v[139:140]
	v_mul_f64 v[139:140], v[193:194], v[139:140]
	v_fma_f64 v[213:214], v[193:194], v[137:138], -v[213:214]
	v_fma_f64 v[139:140], v[195:196], v[137:138], v[139:140]
	s_waitcnt lgkmcnt(0)
	v_mul_f64 v[137:138], v[217:218], v[139:140]
	v_fma_f64 v[137:138], v[215:216], v[213:214], -v[137:138]
	v_mul_f64 v[215:216], v[215:216], v[139:140]
	v_add_f64 v[133:134], v[133:134], -v[137:138]
	v_fma_f64 v[215:216], v[217:218], v[213:214], v[215:216]
	v_add_f64 v[135:136], v[135:136], -v[215:216]
	ds_read2_b64 v[215:218], v253 offset0:52 offset1:53
	s_waitcnt lgkmcnt(0)
	v_mul_f64 v[137:138], v[217:218], v[139:140]
	v_fma_f64 v[137:138], v[215:216], v[213:214], -v[137:138]
	v_mul_f64 v[215:216], v[215:216], v[139:140]
	v_add_f64 v[129:130], v[129:130], -v[137:138]
	v_fma_f64 v[215:216], v[217:218], v[213:214], v[215:216]
	v_add_f64 v[131:132], v[131:132], -v[215:216]
	ds_read2_b64 v[215:218], v253 offset0:54 offset1:55
	;; [unrolled: 8-line block ×33, first 2 shown]
	s_waitcnt lgkmcnt(0)
	v_mul_f64 v[137:138], v[217:218], v[139:140]
	v_fma_f64 v[137:138], v[215:216], v[213:214], -v[137:138]
	v_mul_f64 v[215:216], v[215:216], v[139:140]
	v_add_f64 v[1:2], v[1:2], -v[137:138]
	v_fma_f64 v[215:216], v[217:218], v[213:214], v[215:216]
	v_mov_b32_e32 v137, v213
	v_mov_b32_e32 v138, v214
	v_add_f64 v[3:4], v[3:4], -v[215:216]
.LBB117_226:
	s_or_b32 exec_lo, exec_lo, s1
	s_mov_b32 s2, exec_lo
	s_waitcnt_vscnt null, 0x0
	s_barrier
	buffer_gl0_inv
	v_cmpx_eq_u32_e32 25, v0
	s_cbranch_execz .LBB117_233
; %bb.227:
	ds_write2_b64 v255, v[133:134], v[135:136] offset1:1
	ds_write2_b64 v253, v[129:130], v[131:132] offset0:52 offset1:53
	ds_write2_b64 v253, v[125:126], v[127:128] offset0:54 offset1:55
	;; [unrolled: 1-line block ×33, first 2 shown]
	ds_read2_b64 v[213:216], v255 offset1:1
	s_waitcnt lgkmcnt(0)
	v_cmp_neq_f64_e32 vcc_lo, 0, v[213:214]
	v_cmp_neq_f64_e64 s1, 0, v[215:216]
	s_or_b32 s1, vcc_lo, s1
	s_and_b32 exec_lo, exec_lo, s1
	s_cbranch_execz .LBB117_233
; %bb.228:
	v_cmp_ngt_f64_e64 s1, |v[213:214]|, |v[215:216]|
                                        ; implicit-def: $vgpr217_vgpr218
	s_and_saveexec_b32 s3, s1
	s_xor_b32 s1, exec_lo, s3
                                        ; implicit-def: $vgpr219_vgpr220
	s_cbranch_execz .LBB117_230
; %bb.229:
	v_div_scale_f64 v[217:218], null, v[215:216], v[215:216], v[213:214]
	v_div_scale_f64 v[223:224], vcc_lo, v[213:214], v[215:216], v[213:214]
	v_rcp_f64_e32 v[219:220], v[217:218]
	v_fma_f64 v[221:222], -v[217:218], v[219:220], 1.0
	v_fma_f64 v[219:220], v[219:220], v[221:222], v[219:220]
	v_fma_f64 v[221:222], -v[217:218], v[219:220], 1.0
	v_fma_f64 v[219:220], v[219:220], v[221:222], v[219:220]
	v_mul_f64 v[221:222], v[223:224], v[219:220]
	v_fma_f64 v[217:218], -v[217:218], v[221:222], v[223:224]
	v_div_fmas_f64 v[217:218], v[217:218], v[219:220], v[221:222]
	v_div_fixup_f64 v[217:218], v[217:218], v[215:216], v[213:214]
	v_fma_f64 v[213:214], v[213:214], v[217:218], v[215:216]
	v_div_scale_f64 v[215:216], null, v[213:214], v[213:214], 1.0
	v_rcp_f64_e32 v[219:220], v[215:216]
	v_fma_f64 v[221:222], -v[215:216], v[219:220], 1.0
	v_fma_f64 v[219:220], v[219:220], v[221:222], v[219:220]
	v_fma_f64 v[221:222], -v[215:216], v[219:220], 1.0
	v_fma_f64 v[219:220], v[219:220], v[221:222], v[219:220]
	v_div_scale_f64 v[221:222], vcc_lo, 1.0, v[213:214], 1.0
	v_mul_f64 v[223:224], v[221:222], v[219:220]
	v_fma_f64 v[215:216], -v[215:216], v[223:224], v[221:222]
	v_div_fmas_f64 v[215:216], v[215:216], v[219:220], v[223:224]
	v_div_fixup_f64 v[219:220], v[215:216], v[213:214], 1.0
                                        ; implicit-def: $vgpr213_vgpr214
	v_mul_f64 v[217:218], v[217:218], v[219:220]
	v_xor_b32_e32 v220, 0x80000000, v220
.LBB117_230:
	s_andn2_saveexec_b32 s1, s1
	s_cbranch_execz .LBB117_232
; %bb.231:
	v_div_scale_f64 v[217:218], null, v[213:214], v[213:214], v[215:216]
	v_div_scale_f64 v[223:224], vcc_lo, v[215:216], v[213:214], v[215:216]
	v_rcp_f64_e32 v[219:220], v[217:218]
	v_fma_f64 v[221:222], -v[217:218], v[219:220], 1.0
	v_fma_f64 v[219:220], v[219:220], v[221:222], v[219:220]
	v_fma_f64 v[221:222], -v[217:218], v[219:220], 1.0
	v_fma_f64 v[219:220], v[219:220], v[221:222], v[219:220]
	v_mul_f64 v[221:222], v[223:224], v[219:220]
	v_fma_f64 v[217:218], -v[217:218], v[221:222], v[223:224]
	v_div_fmas_f64 v[217:218], v[217:218], v[219:220], v[221:222]
	v_div_fixup_f64 v[219:220], v[217:218], v[213:214], v[215:216]
	v_fma_f64 v[213:214], v[215:216], v[219:220], v[213:214]
	v_div_scale_f64 v[215:216], null, v[213:214], v[213:214], 1.0
	v_rcp_f64_e32 v[217:218], v[215:216]
	v_fma_f64 v[221:222], -v[215:216], v[217:218], 1.0
	v_fma_f64 v[217:218], v[217:218], v[221:222], v[217:218]
	v_fma_f64 v[221:222], -v[215:216], v[217:218], 1.0
	v_fma_f64 v[217:218], v[217:218], v[221:222], v[217:218]
	v_div_scale_f64 v[221:222], vcc_lo, 1.0, v[213:214], 1.0
	v_mul_f64 v[223:224], v[221:222], v[217:218]
	v_fma_f64 v[215:216], -v[215:216], v[223:224], v[221:222]
	v_div_fmas_f64 v[215:216], v[215:216], v[217:218], v[223:224]
	v_div_fixup_f64 v[217:218], v[215:216], v[213:214], 1.0
	v_mul_f64 v[219:220], v[219:220], -v[217:218]
.LBB117_232:
	s_or_b32 exec_lo, exec_lo, s1
	ds_write2_b64 v255, v[217:218], v[219:220] offset1:1
.LBB117_233:
	s_or_b32 exec_lo, exec_lo, s2
	s_waitcnt lgkmcnt(0)
	s_barrier
	buffer_gl0_inv
	ds_read2_b64 v[193:196], v255 offset1:1
	s_mov_b32 s1, exec_lo
	s_waitcnt lgkmcnt(0)
	buffer_store_dword v193, off, s[16:19], 0 offset:952 ; 4-byte Folded Spill
	buffer_store_dword v194, off, s[16:19], 0 offset:956 ; 4-byte Folded Spill
	;; [unrolled: 1-line block ×4, first 2 shown]
	v_cmpx_lt_u32_e32 25, v0
	s_cbranch_execz .LBB117_235
; %bb.234:
	s_clause 0x3
	buffer_load_dword v193, off, s[16:19], 0 offset:952
	buffer_load_dword v194, off, s[16:19], 0 offset:956
	;; [unrolled: 1-line block ×4, first 2 shown]
	ds_read2_b64 v[215:218], v253 offset0:52 offset1:53
	s_waitcnt vmcnt(0)
	v_mul_f64 v[213:214], v[195:196], v[135:136]
	v_mul_f64 v[135:136], v[193:194], v[135:136]
	v_fma_f64 v[213:214], v[193:194], v[133:134], -v[213:214]
	v_fma_f64 v[135:136], v[195:196], v[133:134], v[135:136]
	s_waitcnt lgkmcnt(0)
	v_mul_f64 v[133:134], v[217:218], v[135:136]
	v_fma_f64 v[133:134], v[215:216], v[213:214], -v[133:134]
	v_mul_f64 v[215:216], v[215:216], v[135:136]
	v_add_f64 v[129:130], v[129:130], -v[133:134]
	v_fma_f64 v[215:216], v[217:218], v[213:214], v[215:216]
	v_add_f64 v[131:132], v[131:132], -v[215:216]
	ds_read2_b64 v[215:218], v253 offset0:54 offset1:55
	s_waitcnt lgkmcnt(0)
	v_mul_f64 v[133:134], v[217:218], v[135:136]
	v_fma_f64 v[133:134], v[215:216], v[213:214], -v[133:134]
	v_mul_f64 v[215:216], v[215:216], v[135:136]
	v_add_f64 v[125:126], v[125:126], -v[133:134]
	v_fma_f64 v[215:216], v[217:218], v[213:214], v[215:216]
	v_add_f64 v[127:128], v[127:128], -v[215:216]
	ds_read2_b64 v[215:218], v253 offset0:56 offset1:57
	;; [unrolled: 8-line block ×32, first 2 shown]
	s_waitcnt lgkmcnt(0)
	v_mul_f64 v[133:134], v[217:218], v[135:136]
	v_fma_f64 v[133:134], v[215:216], v[213:214], -v[133:134]
	v_mul_f64 v[215:216], v[215:216], v[135:136]
	v_add_f64 v[1:2], v[1:2], -v[133:134]
	v_fma_f64 v[215:216], v[217:218], v[213:214], v[215:216]
	v_mov_b32_e32 v133, v213
	v_mov_b32_e32 v134, v214
	v_add_f64 v[3:4], v[3:4], -v[215:216]
.LBB117_235:
	s_or_b32 exec_lo, exec_lo, s1
	s_mov_b32 s2, exec_lo
	s_waitcnt_vscnt null, 0x0
	s_barrier
	buffer_gl0_inv
	v_cmpx_eq_u32_e32 26, v0
	s_cbranch_execz .LBB117_242
; %bb.236:
	ds_write2_b64 v255, v[129:130], v[131:132] offset1:1
	ds_write2_b64 v253, v[125:126], v[127:128] offset0:54 offset1:55
	ds_write2_b64 v253, v[121:122], v[123:124] offset0:56 offset1:57
	;; [unrolled: 1-line block ×32, first 2 shown]
	ds_read2_b64 v[213:216], v255 offset1:1
	s_waitcnt lgkmcnt(0)
	v_cmp_neq_f64_e32 vcc_lo, 0, v[213:214]
	v_cmp_neq_f64_e64 s1, 0, v[215:216]
	s_or_b32 s1, vcc_lo, s1
	s_and_b32 exec_lo, exec_lo, s1
	s_cbranch_execz .LBB117_242
; %bb.237:
	v_cmp_ngt_f64_e64 s1, |v[213:214]|, |v[215:216]|
                                        ; implicit-def: $vgpr217_vgpr218
	s_and_saveexec_b32 s3, s1
	s_xor_b32 s1, exec_lo, s3
                                        ; implicit-def: $vgpr219_vgpr220
	s_cbranch_execz .LBB117_239
; %bb.238:
	v_div_scale_f64 v[217:218], null, v[215:216], v[215:216], v[213:214]
	v_div_scale_f64 v[223:224], vcc_lo, v[213:214], v[215:216], v[213:214]
	v_rcp_f64_e32 v[219:220], v[217:218]
	v_fma_f64 v[221:222], -v[217:218], v[219:220], 1.0
	v_fma_f64 v[219:220], v[219:220], v[221:222], v[219:220]
	v_fma_f64 v[221:222], -v[217:218], v[219:220], 1.0
	v_fma_f64 v[219:220], v[219:220], v[221:222], v[219:220]
	v_mul_f64 v[221:222], v[223:224], v[219:220]
	v_fma_f64 v[217:218], -v[217:218], v[221:222], v[223:224]
	v_div_fmas_f64 v[217:218], v[217:218], v[219:220], v[221:222]
	v_div_fixup_f64 v[217:218], v[217:218], v[215:216], v[213:214]
	v_fma_f64 v[213:214], v[213:214], v[217:218], v[215:216]
	v_div_scale_f64 v[215:216], null, v[213:214], v[213:214], 1.0
	v_rcp_f64_e32 v[219:220], v[215:216]
	v_fma_f64 v[221:222], -v[215:216], v[219:220], 1.0
	v_fma_f64 v[219:220], v[219:220], v[221:222], v[219:220]
	v_fma_f64 v[221:222], -v[215:216], v[219:220], 1.0
	v_fma_f64 v[219:220], v[219:220], v[221:222], v[219:220]
	v_div_scale_f64 v[221:222], vcc_lo, 1.0, v[213:214], 1.0
	v_mul_f64 v[223:224], v[221:222], v[219:220]
	v_fma_f64 v[215:216], -v[215:216], v[223:224], v[221:222]
	v_div_fmas_f64 v[215:216], v[215:216], v[219:220], v[223:224]
	v_div_fixup_f64 v[219:220], v[215:216], v[213:214], 1.0
                                        ; implicit-def: $vgpr213_vgpr214
	v_mul_f64 v[217:218], v[217:218], v[219:220]
	v_xor_b32_e32 v220, 0x80000000, v220
.LBB117_239:
	s_andn2_saveexec_b32 s1, s1
	s_cbranch_execz .LBB117_241
; %bb.240:
	v_div_scale_f64 v[217:218], null, v[213:214], v[213:214], v[215:216]
	v_div_scale_f64 v[223:224], vcc_lo, v[215:216], v[213:214], v[215:216]
	v_rcp_f64_e32 v[219:220], v[217:218]
	v_fma_f64 v[221:222], -v[217:218], v[219:220], 1.0
	v_fma_f64 v[219:220], v[219:220], v[221:222], v[219:220]
	v_fma_f64 v[221:222], -v[217:218], v[219:220], 1.0
	v_fma_f64 v[219:220], v[219:220], v[221:222], v[219:220]
	v_mul_f64 v[221:222], v[223:224], v[219:220]
	v_fma_f64 v[217:218], -v[217:218], v[221:222], v[223:224]
	v_div_fmas_f64 v[217:218], v[217:218], v[219:220], v[221:222]
	v_div_fixup_f64 v[219:220], v[217:218], v[213:214], v[215:216]
	v_fma_f64 v[213:214], v[215:216], v[219:220], v[213:214]
	v_div_scale_f64 v[215:216], null, v[213:214], v[213:214], 1.0
	v_rcp_f64_e32 v[217:218], v[215:216]
	v_fma_f64 v[221:222], -v[215:216], v[217:218], 1.0
	v_fma_f64 v[217:218], v[217:218], v[221:222], v[217:218]
	v_fma_f64 v[221:222], -v[215:216], v[217:218], 1.0
	v_fma_f64 v[217:218], v[217:218], v[221:222], v[217:218]
	v_div_scale_f64 v[221:222], vcc_lo, 1.0, v[213:214], 1.0
	v_mul_f64 v[223:224], v[221:222], v[217:218]
	v_fma_f64 v[215:216], -v[215:216], v[223:224], v[221:222]
	v_div_fmas_f64 v[215:216], v[215:216], v[217:218], v[223:224]
	v_div_fixup_f64 v[217:218], v[215:216], v[213:214], 1.0
	v_mul_f64 v[219:220], v[219:220], -v[217:218]
.LBB117_241:
	s_or_b32 exec_lo, exec_lo, s1
	ds_write2_b64 v255, v[217:218], v[219:220] offset1:1
.LBB117_242:
	s_or_b32 exec_lo, exec_lo, s2
	s_waitcnt lgkmcnt(0)
	s_barrier
	buffer_gl0_inv
	ds_read2_b64 v[193:196], v255 offset1:1
	s_mov_b32 s1, exec_lo
	s_waitcnt lgkmcnt(0)
	buffer_store_dword v193, off, s[16:19], 0 offset:968 ; 4-byte Folded Spill
	buffer_store_dword v194, off, s[16:19], 0 offset:972 ; 4-byte Folded Spill
	;; [unrolled: 1-line block ×4, first 2 shown]
	v_cmpx_lt_u32_e32 26, v0
	s_cbranch_execz .LBB117_244
; %bb.243:
	s_clause 0x3
	buffer_load_dword v193, off, s[16:19], 0 offset:968
	buffer_load_dword v194, off, s[16:19], 0 offset:972
	;; [unrolled: 1-line block ×4, first 2 shown]
	ds_read2_b64 v[215:218], v253 offset0:54 offset1:55
	s_waitcnt vmcnt(0)
	v_mul_f64 v[213:214], v[195:196], v[131:132]
	v_mul_f64 v[131:132], v[193:194], v[131:132]
	v_fma_f64 v[213:214], v[193:194], v[129:130], -v[213:214]
	v_fma_f64 v[131:132], v[195:196], v[129:130], v[131:132]
	s_waitcnt lgkmcnt(0)
	v_mul_f64 v[129:130], v[217:218], v[131:132]
	v_fma_f64 v[129:130], v[215:216], v[213:214], -v[129:130]
	v_mul_f64 v[215:216], v[215:216], v[131:132]
	v_add_f64 v[125:126], v[125:126], -v[129:130]
	v_fma_f64 v[215:216], v[217:218], v[213:214], v[215:216]
	v_add_f64 v[127:128], v[127:128], -v[215:216]
	ds_read2_b64 v[215:218], v253 offset0:56 offset1:57
	s_waitcnt lgkmcnt(0)
	v_mul_f64 v[129:130], v[217:218], v[131:132]
	v_fma_f64 v[129:130], v[215:216], v[213:214], -v[129:130]
	v_mul_f64 v[215:216], v[215:216], v[131:132]
	v_add_f64 v[121:122], v[121:122], -v[129:130]
	v_fma_f64 v[215:216], v[217:218], v[213:214], v[215:216]
	v_add_f64 v[123:124], v[123:124], -v[215:216]
	ds_read2_b64 v[215:218], v253 offset0:58 offset1:59
	;; [unrolled: 8-line block ×31, first 2 shown]
	s_waitcnt lgkmcnt(0)
	v_mul_f64 v[129:130], v[217:218], v[131:132]
	v_fma_f64 v[129:130], v[215:216], v[213:214], -v[129:130]
	v_mul_f64 v[215:216], v[215:216], v[131:132]
	v_add_f64 v[1:2], v[1:2], -v[129:130]
	v_fma_f64 v[215:216], v[217:218], v[213:214], v[215:216]
	v_mov_b32_e32 v129, v213
	v_mov_b32_e32 v130, v214
	v_add_f64 v[3:4], v[3:4], -v[215:216]
.LBB117_244:
	s_or_b32 exec_lo, exec_lo, s1
	s_mov_b32 s2, exec_lo
	s_waitcnt_vscnt null, 0x0
	s_barrier
	buffer_gl0_inv
	v_cmpx_eq_u32_e32 27, v0
	s_cbranch_execz .LBB117_251
; %bb.245:
	ds_write2_b64 v255, v[125:126], v[127:128] offset1:1
	ds_write2_b64 v253, v[121:122], v[123:124] offset0:56 offset1:57
	ds_write2_b64 v253, v[117:118], v[119:120] offset0:58 offset1:59
	;; [unrolled: 1-line block ×31, first 2 shown]
	ds_read2_b64 v[213:216], v255 offset1:1
	s_waitcnt lgkmcnt(0)
	v_cmp_neq_f64_e32 vcc_lo, 0, v[213:214]
	v_cmp_neq_f64_e64 s1, 0, v[215:216]
	s_or_b32 s1, vcc_lo, s1
	s_and_b32 exec_lo, exec_lo, s1
	s_cbranch_execz .LBB117_251
; %bb.246:
	v_cmp_ngt_f64_e64 s1, |v[213:214]|, |v[215:216]|
                                        ; implicit-def: $vgpr217_vgpr218
	s_and_saveexec_b32 s3, s1
	s_xor_b32 s1, exec_lo, s3
                                        ; implicit-def: $vgpr219_vgpr220
	s_cbranch_execz .LBB117_248
; %bb.247:
	v_div_scale_f64 v[217:218], null, v[215:216], v[215:216], v[213:214]
	v_div_scale_f64 v[223:224], vcc_lo, v[213:214], v[215:216], v[213:214]
	v_rcp_f64_e32 v[219:220], v[217:218]
	v_fma_f64 v[221:222], -v[217:218], v[219:220], 1.0
	v_fma_f64 v[219:220], v[219:220], v[221:222], v[219:220]
	v_fma_f64 v[221:222], -v[217:218], v[219:220], 1.0
	v_fma_f64 v[219:220], v[219:220], v[221:222], v[219:220]
	v_mul_f64 v[221:222], v[223:224], v[219:220]
	v_fma_f64 v[217:218], -v[217:218], v[221:222], v[223:224]
	v_div_fmas_f64 v[217:218], v[217:218], v[219:220], v[221:222]
	v_div_fixup_f64 v[217:218], v[217:218], v[215:216], v[213:214]
	v_fma_f64 v[213:214], v[213:214], v[217:218], v[215:216]
	v_div_scale_f64 v[215:216], null, v[213:214], v[213:214], 1.0
	v_rcp_f64_e32 v[219:220], v[215:216]
	v_fma_f64 v[221:222], -v[215:216], v[219:220], 1.0
	v_fma_f64 v[219:220], v[219:220], v[221:222], v[219:220]
	v_fma_f64 v[221:222], -v[215:216], v[219:220], 1.0
	v_fma_f64 v[219:220], v[219:220], v[221:222], v[219:220]
	v_div_scale_f64 v[221:222], vcc_lo, 1.0, v[213:214], 1.0
	v_mul_f64 v[223:224], v[221:222], v[219:220]
	v_fma_f64 v[215:216], -v[215:216], v[223:224], v[221:222]
	v_div_fmas_f64 v[215:216], v[215:216], v[219:220], v[223:224]
	v_div_fixup_f64 v[219:220], v[215:216], v[213:214], 1.0
                                        ; implicit-def: $vgpr213_vgpr214
	v_mul_f64 v[217:218], v[217:218], v[219:220]
	v_xor_b32_e32 v220, 0x80000000, v220
.LBB117_248:
	s_andn2_saveexec_b32 s1, s1
	s_cbranch_execz .LBB117_250
; %bb.249:
	v_div_scale_f64 v[217:218], null, v[213:214], v[213:214], v[215:216]
	v_div_scale_f64 v[223:224], vcc_lo, v[215:216], v[213:214], v[215:216]
	v_rcp_f64_e32 v[219:220], v[217:218]
	v_fma_f64 v[221:222], -v[217:218], v[219:220], 1.0
	v_fma_f64 v[219:220], v[219:220], v[221:222], v[219:220]
	v_fma_f64 v[221:222], -v[217:218], v[219:220], 1.0
	v_fma_f64 v[219:220], v[219:220], v[221:222], v[219:220]
	v_mul_f64 v[221:222], v[223:224], v[219:220]
	v_fma_f64 v[217:218], -v[217:218], v[221:222], v[223:224]
	v_div_fmas_f64 v[217:218], v[217:218], v[219:220], v[221:222]
	v_div_fixup_f64 v[219:220], v[217:218], v[213:214], v[215:216]
	v_fma_f64 v[213:214], v[215:216], v[219:220], v[213:214]
	v_div_scale_f64 v[215:216], null, v[213:214], v[213:214], 1.0
	v_rcp_f64_e32 v[217:218], v[215:216]
	v_fma_f64 v[221:222], -v[215:216], v[217:218], 1.0
	v_fma_f64 v[217:218], v[217:218], v[221:222], v[217:218]
	v_fma_f64 v[221:222], -v[215:216], v[217:218], 1.0
	v_fma_f64 v[217:218], v[217:218], v[221:222], v[217:218]
	v_div_scale_f64 v[221:222], vcc_lo, 1.0, v[213:214], 1.0
	v_mul_f64 v[223:224], v[221:222], v[217:218]
	v_fma_f64 v[215:216], -v[215:216], v[223:224], v[221:222]
	v_div_fmas_f64 v[215:216], v[215:216], v[217:218], v[223:224]
	v_div_fixup_f64 v[217:218], v[215:216], v[213:214], 1.0
	v_mul_f64 v[219:220], v[219:220], -v[217:218]
.LBB117_250:
	s_or_b32 exec_lo, exec_lo, s1
	ds_write2_b64 v255, v[217:218], v[219:220] offset1:1
.LBB117_251:
	s_or_b32 exec_lo, exec_lo, s2
	s_waitcnt lgkmcnt(0)
	s_barrier
	buffer_gl0_inv
	ds_read2_b64 v[193:196], v255 offset1:1
	s_mov_b32 s1, exec_lo
	s_waitcnt lgkmcnt(0)
	buffer_store_dword v193, off, s[16:19], 0 offset:984 ; 4-byte Folded Spill
	buffer_store_dword v194, off, s[16:19], 0 offset:988 ; 4-byte Folded Spill
	;; [unrolled: 1-line block ×4, first 2 shown]
	v_cmpx_lt_u32_e32 27, v0
	s_cbranch_execz .LBB117_253
; %bb.252:
	s_clause 0x3
	buffer_load_dword v193, off, s[16:19], 0 offset:984
	buffer_load_dword v194, off, s[16:19], 0 offset:988
	;; [unrolled: 1-line block ×4, first 2 shown]
	ds_read2_b64 v[215:218], v253 offset0:56 offset1:57
	s_waitcnt vmcnt(0)
	v_mul_f64 v[213:214], v[195:196], v[127:128]
	v_mul_f64 v[127:128], v[193:194], v[127:128]
	v_fma_f64 v[213:214], v[193:194], v[125:126], -v[213:214]
	v_fma_f64 v[127:128], v[195:196], v[125:126], v[127:128]
	s_waitcnt lgkmcnt(0)
	v_mul_f64 v[125:126], v[217:218], v[127:128]
	v_fma_f64 v[125:126], v[215:216], v[213:214], -v[125:126]
	v_mul_f64 v[215:216], v[215:216], v[127:128]
	v_add_f64 v[121:122], v[121:122], -v[125:126]
	v_fma_f64 v[215:216], v[217:218], v[213:214], v[215:216]
	v_add_f64 v[123:124], v[123:124], -v[215:216]
	ds_read2_b64 v[215:218], v253 offset0:58 offset1:59
	s_waitcnt lgkmcnt(0)
	v_mul_f64 v[125:126], v[217:218], v[127:128]
	v_fma_f64 v[125:126], v[215:216], v[213:214], -v[125:126]
	v_mul_f64 v[215:216], v[215:216], v[127:128]
	v_add_f64 v[117:118], v[117:118], -v[125:126]
	v_fma_f64 v[215:216], v[217:218], v[213:214], v[215:216]
	v_add_f64 v[119:120], v[119:120], -v[215:216]
	ds_read2_b64 v[215:218], v253 offset0:60 offset1:61
	s_waitcnt lgkmcnt(0)
	v_mul_f64 v[125:126], v[217:218], v[127:128]
	v_fma_f64 v[125:126], v[215:216], v[213:214], -v[125:126]
	v_mul_f64 v[215:216], v[215:216], v[127:128]
	v_add_f64 v[113:114], v[113:114], -v[125:126]
	v_fma_f64 v[215:216], v[217:218], v[213:214], v[215:216]
	v_add_f64 v[115:116], v[115:116], -v[215:216]
	ds_read2_b64 v[215:218], v253 offset0:62 offset1:63
	s_waitcnt lgkmcnt(0)
	v_mul_f64 v[125:126], v[217:218], v[127:128]
	v_fma_f64 v[125:126], v[215:216], v[213:214], -v[125:126]
	v_mul_f64 v[215:216], v[215:216], v[127:128]
	v_add_f64 v[109:110], v[109:110], -v[125:126]
	v_fma_f64 v[215:216], v[217:218], v[213:214], v[215:216]
	v_add_f64 v[111:112], v[111:112], -v[215:216]
	ds_read2_b64 v[215:218], v253 offset0:64 offset1:65
	s_waitcnt lgkmcnt(0)
	v_mul_f64 v[125:126], v[217:218], v[127:128]
	v_fma_f64 v[125:126], v[215:216], v[213:214], -v[125:126]
	v_mul_f64 v[215:216], v[215:216], v[127:128]
	v_add_f64 v[105:106], v[105:106], -v[125:126]
	v_fma_f64 v[215:216], v[217:218], v[213:214], v[215:216]
	v_add_f64 v[107:108], v[107:108], -v[215:216]
	ds_read2_b64 v[215:218], v253 offset0:66 offset1:67
	s_waitcnt lgkmcnt(0)
	v_mul_f64 v[125:126], v[217:218], v[127:128]
	v_fma_f64 v[125:126], v[215:216], v[213:214], -v[125:126]
	v_mul_f64 v[215:216], v[215:216], v[127:128]
	v_add_f64 v[101:102], v[101:102], -v[125:126]
	v_fma_f64 v[215:216], v[217:218], v[213:214], v[215:216]
	v_add_f64 v[103:104], v[103:104], -v[215:216]
	ds_read2_b64 v[215:218], v253 offset0:68 offset1:69
	s_waitcnt lgkmcnt(0)
	v_mul_f64 v[125:126], v[217:218], v[127:128]
	v_fma_f64 v[125:126], v[215:216], v[213:214], -v[125:126]
	v_mul_f64 v[215:216], v[215:216], v[127:128]
	v_add_f64 v[97:98], v[97:98], -v[125:126]
	v_fma_f64 v[215:216], v[217:218], v[213:214], v[215:216]
	v_add_f64 v[99:100], v[99:100], -v[215:216]
	ds_read2_b64 v[215:218], v253 offset0:70 offset1:71
	s_waitcnt lgkmcnt(0)
	v_mul_f64 v[125:126], v[217:218], v[127:128]
	v_fma_f64 v[125:126], v[215:216], v[213:214], -v[125:126]
	v_mul_f64 v[215:216], v[215:216], v[127:128]
	v_add_f64 v[93:94], v[93:94], -v[125:126]
	v_fma_f64 v[215:216], v[217:218], v[213:214], v[215:216]
	v_add_f64 v[95:96], v[95:96], -v[215:216]
	ds_read2_b64 v[215:218], v253 offset0:72 offset1:73
	s_waitcnt lgkmcnt(0)
	v_mul_f64 v[125:126], v[217:218], v[127:128]
	v_fma_f64 v[125:126], v[215:216], v[213:214], -v[125:126]
	v_mul_f64 v[215:216], v[215:216], v[127:128]
	v_add_f64 v[89:90], v[89:90], -v[125:126]
	v_fma_f64 v[215:216], v[217:218], v[213:214], v[215:216]
	v_add_f64 v[91:92], v[91:92], -v[215:216]
	ds_read2_b64 v[215:218], v253 offset0:74 offset1:75
	s_waitcnt lgkmcnt(0)
	v_mul_f64 v[125:126], v[217:218], v[127:128]
	v_fma_f64 v[125:126], v[215:216], v[213:214], -v[125:126]
	v_mul_f64 v[215:216], v[215:216], v[127:128]
	v_add_f64 v[85:86], v[85:86], -v[125:126]
	v_fma_f64 v[215:216], v[217:218], v[213:214], v[215:216]
	v_add_f64 v[87:88], v[87:88], -v[215:216]
	ds_read2_b64 v[215:218], v253 offset0:76 offset1:77
	s_waitcnt lgkmcnt(0)
	v_mul_f64 v[125:126], v[217:218], v[127:128]
	v_fma_f64 v[125:126], v[215:216], v[213:214], -v[125:126]
	v_mul_f64 v[215:216], v[215:216], v[127:128]
	v_add_f64 v[81:82], v[81:82], -v[125:126]
	v_fma_f64 v[215:216], v[217:218], v[213:214], v[215:216]
	v_add_f64 v[83:84], v[83:84], -v[215:216]
	ds_read2_b64 v[215:218], v253 offset0:78 offset1:79
	s_waitcnt lgkmcnt(0)
	v_mul_f64 v[125:126], v[217:218], v[127:128]
	v_fma_f64 v[125:126], v[215:216], v[213:214], -v[125:126]
	v_mul_f64 v[215:216], v[215:216], v[127:128]
	v_add_f64 v[77:78], v[77:78], -v[125:126]
	v_fma_f64 v[215:216], v[217:218], v[213:214], v[215:216]
	v_add_f64 v[79:80], v[79:80], -v[215:216]
	ds_read2_b64 v[215:218], v253 offset0:80 offset1:81
	s_waitcnt lgkmcnt(0)
	v_mul_f64 v[125:126], v[217:218], v[127:128]
	v_fma_f64 v[125:126], v[215:216], v[213:214], -v[125:126]
	v_mul_f64 v[215:216], v[215:216], v[127:128]
	v_add_f64 v[73:74], v[73:74], -v[125:126]
	v_fma_f64 v[215:216], v[217:218], v[213:214], v[215:216]
	v_add_f64 v[75:76], v[75:76], -v[215:216]
	ds_read2_b64 v[215:218], v253 offset0:82 offset1:83
	s_waitcnt lgkmcnt(0)
	v_mul_f64 v[125:126], v[217:218], v[127:128]
	v_fma_f64 v[125:126], v[215:216], v[213:214], -v[125:126]
	v_mul_f64 v[215:216], v[215:216], v[127:128]
	v_add_f64 v[69:70], v[69:70], -v[125:126]
	v_fma_f64 v[215:216], v[217:218], v[213:214], v[215:216]
	v_add_f64 v[71:72], v[71:72], -v[215:216]
	ds_read2_b64 v[215:218], v253 offset0:84 offset1:85
	s_waitcnt lgkmcnt(0)
	v_mul_f64 v[125:126], v[217:218], v[127:128]
	v_fma_f64 v[125:126], v[215:216], v[213:214], -v[125:126]
	v_mul_f64 v[215:216], v[215:216], v[127:128]
	v_add_f64 v[65:66], v[65:66], -v[125:126]
	v_fma_f64 v[215:216], v[217:218], v[213:214], v[215:216]
	v_add_f64 v[67:68], v[67:68], -v[215:216]
	ds_read2_b64 v[215:218], v253 offset0:86 offset1:87
	s_waitcnt lgkmcnt(0)
	v_mul_f64 v[125:126], v[217:218], v[127:128]
	v_fma_f64 v[125:126], v[215:216], v[213:214], -v[125:126]
	v_mul_f64 v[215:216], v[215:216], v[127:128]
	v_add_f64 v[61:62], v[61:62], -v[125:126]
	v_fma_f64 v[215:216], v[217:218], v[213:214], v[215:216]
	v_add_f64 v[63:64], v[63:64], -v[215:216]
	ds_read2_b64 v[215:218], v253 offset0:88 offset1:89
	s_waitcnt lgkmcnt(0)
	v_mul_f64 v[125:126], v[217:218], v[127:128]
	v_fma_f64 v[125:126], v[215:216], v[213:214], -v[125:126]
	v_mul_f64 v[215:216], v[215:216], v[127:128]
	v_add_f64 v[57:58], v[57:58], -v[125:126]
	v_fma_f64 v[215:216], v[217:218], v[213:214], v[215:216]
	v_add_f64 v[59:60], v[59:60], -v[215:216]
	ds_read2_b64 v[215:218], v253 offset0:90 offset1:91
	s_waitcnt lgkmcnt(0)
	v_mul_f64 v[125:126], v[217:218], v[127:128]
	v_fma_f64 v[125:126], v[215:216], v[213:214], -v[125:126]
	v_mul_f64 v[215:216], v[215:216], v[127:128]
	v_add_f64 v[53:54], v[53:54], -v[125:126]
	v_fma_f64 v[215:216], v[217:218], v[213:214], v[215:216]
	v_add_f64 v[55:56], v[55:56], -v[215:216]
	ds_read2_b64 v[215:218], v253 offset0:92 offset1:93
	s_waitcnt lgkmcnt(0)
	v_mul_f64 v[125:126], v[217:218], v[127:128]
	v_fma_f64 v[125:126], v[215:216], v[213:214], -v[125:126]
	v_mul_f64 v[215:216], v[215:216], v[127:128]
	v_add_f64 v[49:50], v[49:50], -v[125:126]
	v_fma_f64 v[215:216], v[217:218], v[213:214], v[215:216]
	v_add_f64 v[51:52], v[51:52], -v[215:216]
	ds_read2_b64 v[215:218], v253 offset0:94 offset1:95
	s_waitcnt lgkmcnt(0)
	v_mul_f64 v[125:126], v[217:218], v[127:128]
	v_fma_f64 v[125:126], v[215:216], v[213:214], -v[125:126]
	v_mul_f64 v[215:216], v[215:216], v[127:128]
	v_add_f64 v[45:46], v[45:46], -v[125:126]
	v_fma_f64 v[215:216], v[217:218], v[213:214], v[215:216]
	v_add_f64 v[47:48], v[47:48], -v[215:216]
	ds_read2_b64 v[215:218], v253 offset0:96 offset1:97
	s_waitcnt lgkmcnt(0)
	v_mul_f64 v[125:126], v[217:218], v[127:128]
	v_fma_f64 v[125:126], v[215:216], v[213:214], -v[125:126]
	v_mul_f64 v[215:216], v[215:216], v[127:128]
	v_add_f64 v[41:42], v[41:42], -v[125:126]
	v_fma_f64 v[215:216], v[217:218], v[213:214], v[215:216]
	v_add_f64 v[43:44], v[43:44], -v[215:216]
	ds_read2_b64 v[215:218], v253 offset0:98 offset1:99
	s_waitcnt lgkmcnt(0)
	v_mul_f64 v[125:126], v[217:218], v[127:128]
	v_fma_f64 v[125:126], v[215:216], v[213:214], -v[125:126]
	v_mul_f64 v[215:216], v[215:216], v[127:128]
	v_add_f64 v[37:38], v[37:38], -v[125:126]
	v_fma_f64 v[215:216], v[217:218], v[213:214], v[215:216]
	v_add_f64 v[39:40], v[39:40], -v[215:216]
	ds_read2_b64 v[215:218], v253 offset0:100 offset1:101
	s_waitcnt lgkmcnt(0)
	v_mul_f64 v[125:126], v[217:218], v[127:128]
	v_fma_f64 v[125:126], v[215:216], v[213:214], -v[125:126]
	v_mul_f64 v[215:216], v[215:216], v[127:128]
	v_add_f64 v[33:34], v[33:34], -v[125:126]
	v_fma_f64 v[215:216], v[217:218], v[213:214], v[215:216]
	v_add_f64 v[35:36], v[35:36], -v[215:216]
	ds_read2_b64 v[215:218], v253 offset0:102 offset1:103
	s_waitcnt lgkmcnt(0)
	v_mul_f64 v[125:126], v[217:218], v[127:128]
	v_fma_f64 v[125:126], v[215:216], v[213:214], -v[125:126]
	v_mul_f64 v[215:216], v[215:216], v[127:128]
	v_add_f64 v[29:30], v[29:30], -v[125:126]
	v_fma_f64 v[215:216], v[217:218], v[213:214], v[215:216]
	v_add_f64 v[31:32], v[31:32], -v[215:216]
	ds_read2_b64 v[215:218], v253 offset0:104 offset1:105
	s_waitcnt lgkmcnt(0)
	v_mul_f64 v[125:126], v[217:218], v[127:128]
	v_fma_f64 v[125:126], v[215:216], v[213:214], -v[125:126]
	v_mul_f64 v[215:216], v[215:216], v[127:128]
	v_add_f64 v[25:26], v[25:26], -v[125:126]
	v_fma_f64 v[215:216], v[217:218], v[213:214], v[215:216]
	v_add_f64 v[27:28], v[27:28], -v[215:216]
	ds_read2_b64 v[215:218], v253 offset0:106 offset1:107
	s_waitcnt lgkmcnt(0)
	v_mul_f64 v[125:126], v[217:218], v[127:128]
	v_fma_f64 v[125:126], v[215:216], v[213:214], -v[125:126]
	v_mul_f64 v[215:216], v[215:216], v[127:128]
	v_add_f64 v[21:22], v[21:22], -v[125:126]
	v_fma_f64 v[215:216], v[217:218], v[213:214], v[215:216]
	v_add_f64 v[23:24], v[23:24], -v[215:216]
	ds_read2_b64 v[215:218], v253 offset0:108 offset1:109
	s_waitcnt lgkmcnt(0)
	v_mul_f64 v[125:126], v[217:218], v[127:128]
	v_fma_f64 v[125:126], v[215:216], v[213:214], -v[125:126]
	v_mul_f64 v[215:216], v[215:216], v[127:128]
	v_add_f64 v[17:18], v[17:18], -v[125:126]
	v_fma_f64 v[215:216], v[217:218], v[213:214], v[215:216]
	v_add_f64 v[19:20], v[19:20], -v[215:216]
	ds_read2_b64 v[215:218], v253 offset0:110 offset1:111
	s_waitcnt lgkmcnt(0)
	v_mul_f64 v[125:126], v[217:218], v[127:128]
	v_fma_f64 v[125:126], v[215:216], v[213:214], -v[125:126]
	v_mul_f64 v[215:216], v[215:216], v[127:128]
	v_add_f64 v[13:14], v[13:14], -v[125:126]
	v_fma_f64 v[215:216], v[217:218], v[213:214], v[215:216]
	v_add_f64 v[15:16], v[15:16], -v[215:216]
	ds_read2_b64 v[215:218], v253 offset0:112 offset1:113
	s_waitcnt lgkmcnt(0)
	v_mul_f64 v[125:126], v[217:218], v[127:128]
	v_fma_f64 v[125:126], v[215:216], v[213:214], -v[125:126]
	v_mul_f64 v[215:216], v[215:216], v[127:128]
	v_add_f64 v[9:10], v[9:10], -v[125:126]
	v_fma_f64 v[215:216], v[217:218], v[213:214], v[215:216]
	v_add_f64 v[11:12], v[11:12], -v[215:216]
	ds_read2_b64 v[215:218], v253 offset0:114 offset1:115
	s_waitcnt lgkmcnt(0)
	v_mul_f64 v[125:126], v[217:218], v[127:128]
	v_fma_f64 v[125:126], v[215:216], v[213:214], -v[125:126]
	v_mul_f64 v[215:216], v[215:216], v[127:128]
	v_add_f64 v[5:6], v[5:6], -v[125:126]
	v_fma_f64 v[215:216], v[217:218], v[213:214], v[215:216]
	v_add_f64 v[7:8], v[7:8], -v[215:216]
	ds_read2_b64 v[215:218], v253 offset0:116 offset1:117
	s_waitcnt lgkmcnt(0)
	v_mul_f64 v[125:126], v[217:218], v[127:128]
	v_fma_f64 v[125:126], v[215:216], v[213:214], -v[125:126]
	v_mul_f64 v[215:216], v[215:216], v[127:128]
	v_add_f64 v[1:2], v[1:2], -v[125:126]
	v_fma_f64 v[215:216], v[217:218], v[213:214], v[215:216]
	v_mov_b32_e32 v125, v213
	v_mov_b32_e32 v126, v214
	v_add_f64 v[3:4], v[3:4], -v[215:216]
.LBB117_253:
	s_or_b32 exec_lo, exec_lo, s1
	s_mov_b32 s2, exec_lo
	s_waitcnt_vscnt null, 0x0
	s_barrier
	buffer_gl0_inv
	v_cmpx_eq_u32_e32 28, v0
	s_cbranch_execz .LBB117_260
; %bb.254:
	ds_write2_b64 v255, v[121:122], v[123:124] offset1:1
	ds_write2_b64 v253, v[117:118], v[119:120] offset0:58 offset1:59
	ds_write2_b64 v253, v[113:114], v[115:116] offset0:60 offset1:61
	;; [unrolled: 1-line block ×30, first 2 shown]
	ds_read2_b64 v[213:216], v255 offset1:1
	s_waitcnt lgkmcnt(0)
	v_cmp_neq_f64_e32 vcc_lo, 0, v[213:214]
	v_cmp_neq_f64_e64 s1, 0, v[215:216]
	s_or_b32 s1, vcc_lo, s1
	s_and_b32 exec_lo, exec_lo, s1
	s_cbranch_execz .LBB117_260
; %bb.255:
	v_cmp_ngt_f64_e64 s1, |v[213:214]|, |v[215:216]|
                                        ; implicit-def: $vgpr217_vgpr218
	s_and_saveexec_b32 s3, s1
	s_xor_b32 s1, exec_lo, s3
                                        ; implicit-def: $vgpr219_vgpr220
	s_cbranch_execz .LBB117_257
; %bb.256:
	v_div_scale_f64 v[217:218], null, v[215:216], v[215:216], v[213:214]
	v_div_scale_f64 v[223:224], vcc_lo, v[213:214], v[215:216], v[213:214]
	v_rcp_f64_e32 v[219:220], v[217:218]
	v_fma_f64 v[221:222], -v[217:218], v[219:220], 1.0
	v_fma_f64 v[219:220], v[219:220], v[221:222], v[219:220]
	v_fma_f64 v[221:222], -v[217:218], v[219:220], 1.0
	v_fma_f64 v[219:220], v[219:220], v[221:222], v[219:220]
	v_mul_f64 v[221:222], v[223:224], v[219:220]
	v_fma_f64 v[217:218], -v[217:218], v[221:222], v[223:224]
	v_div_fmas_f64 v[217:218], v[217:218], v[219:220], v[221:222]
	v_div_fixup_f64 v[217:218], v[217:218], v[215:216], v[213:214]
	v_fma_f64 v[213:214], v[213:214], v[217:218], v[215:216]
	v_div_scale_f64 v[215:216], null, v[213:214], v[213:214], 1.0
	v_rcp_f64_e32 v[219:220], v[215:216]
	v_fma_f64 v[221:222], -v[215:216], v[219:220], 1.0
	v_fma_f64 v[219:220], v[219:220], v[221:222], v[219:220]
	v_fma_f64 v[221:222], -v[215:216], v[219:220], 1.0
	v_fma_f64 v[219:220], v[219:220], v[221:222], v[219:220]
	v_div_scale_f64 v[221:222], vcc_lo, 1.0, v[213:214], 1.0
	v_mul_f64 v[223:224], v[221:222], v[219:220]
	v_fma_f64 v[215:216], -v[215:216], v[223:224], v[221:222]
	v_div_fmas_f64 v[215:216], v[215:216], v[219:220], v[223:224]
	v_div_fixup_f64 v[219:220], v[215:216], v[213:214], 1.0
                                        ; implicit-def: $vgpr213_vgpr214
	v_mul_f64 v[217:218], v[217:218], v[219:220]
	v_xor_b32_e32 v220, 0x80000000, v220
.LBB117_257:
	s_andn2_saveexec_b32 s1, s1
	s_cbranch_execz .LBB117_259
; %bb.258:
	v_div_scale_f64 v[217:218], null, v[213:214], v[213:214], v[215:216]
	v_div_scale_f64 v[223:224], vcc_lo, v[215:216], v[213:214], v[215:216]
	v_rcp_f64_e32 v[219:220], v[217:218]
	v_fma_f64 v[221:222], -v[217:218], v[219:220], 1.0
	v_fma_f64 v[219:220], v[219:220], v[221:222], v[219:220]
	v_fma_f64 v[221:222], -v[217:218], v[219:220], 1.0
	v_fma_f64 v[219:220], v[219:220], v[221:222], v[219:220]
	v_mul_f64 v[221:222], v[223:224], v[219:220]
	v_fma_f64 v[217:218], -v[217:218], v[221:222], v[223:224]
	v_div_fmas_f64 v[217:218], v[217:218], v[219:220], v[221:222]
	v_div_fixup_f64 v[219:220], v[217:218], v[213:214], v[215:216]
	v_fma_f64 v[213:214], v[215:216], v[219:220], v[213:214]
	v_div_scale_f64 v[215:216], null, v[213:214], v[213:214], 1.0
	v_rcp_f64_e32 v[217:218], v[215:216]
	v_fma_f64 v[221:222], -v[215:216], v[217:218], 1.0
	v_fma_f64 v[217:218], v[217:218], v[221:222], v[217:218]
	v_fma_f64 v[221:222], -v[215:216], v[217:218], 1.0
	v_fma_f64 v[217:218], v[217:218], v[221:222], v[217:218]
	v_div_scale_f64 v[221:222], vcc_lo, 1.0, v[213:214], 1.0
	v_mul_f64 v[223:224], v[221:222], v[217:218]
	v_fma_f64 v[215:216], -v[215:216], v[223:224], v[221:222]
	v_div_fmas_f64 v[215:216], v[215:216], v[217:218], v[223:224]
	v_div_fixup_f64 v[217:218], v[215:216], v[213:214], 1.0
	v_mul_f64 v[219:220], v[219:220], -v[217:218]
.LBB117_259:
	s_or_b32 exec_lo, exec_lo, s1
	ds_write2_b64 v255, v[217:218], v[219:220] offset1:1
.LBB117_260:
	s_or_b32 exec_lo, exec_lo, s2
	s_waitcnt lgkmcnt(0)
	s_barrier
	buffer_gl0_inv
	ds_read2_b64 v[193:196], v255 offset1:1
	s_mov_b32 s1, exec_lo
	s_waitcnt lgkmcnt(0)
	buffer_store_dword v193, off, s[16:19], 0 offset:1000 ; 4-byte Folded Spill
	buffer_store_dword v194, off, s[16:19], 0 offset:1004 ; 4-byte Folded Spill
	buffer_store_dword v195, off, s[16:19], 0 offset:1008 ; 4-byte Folded Spill
	buffer_store_dword v196, off, s[16:19], 0 offset:1012 ; 4-byte Folded Spill
	v_cmpx_lt_u32_e32 28, v0
	s_cbranch_execz .LBB117_262
; %bb.261:
	s_clause 0x3
	buffer_load_dword v193, off, s[16:19], 0 offset:1000
	buffer_load_dword v194, off, s[16:19], 0 offset:1004
	buffer_load_dword v195, off, s[16:19], 0 offset:1008
	buffer_load_dword v196, off, s[16:19], 0 offset:1012
	ds_read2_b64 v[215:218], v253 offset0:58 offset1:59
	s_waitcnt vmcnt(0)
	v_mul_f64 v[213:214], v[195:196], v[123:124]
	v_mul_f64 v[123:124], v[193:194], v[123:124]
	v_fma_f64 v[213:214], v[193:194], v[121:122], -v[213:214]
	v_fma_f64 v[123:124], v[195:196], v[121:122], v[123:124]
	s_waitcnt lgkmcnt(0)
	v_mul_f64 v[121:122], v[217:218], v[123:124]
	v_fma_f64 v[121:122], v[215:216], v[213:214], -v[121:122]
	v_mul_f64 v[215:216], v[215:216], v[123:124]
	v_add_f64 v[117:118], v[117:118], -v[121:122]
	v_fma_f64 v[215:216], v[217:218], v[213:214], v[215:216]
	v_add_f64 v[119:120], v[119:120], -v[215:216]
	ds_read2_b64 v[215:218], v253 offset0:60 offset1:61
	s_waitcnt lgkmcnt(0)
	v_mul_f64 v[121:122], v[217:218], v[123:124]
	v_fma_f64 v[121:122], v[215:216], v[213:214], -v[121:122]
	v_mul_f64 v[215:216], v[215:216], v[123:124]
	v_add_f64 v[113:114], v[113:114], -v[121:122]
	v_fma_f64 v[215:216], v[217:218], v[213:214], v[215:216]
	v_add_f64 v[115:116], v[115:116], -v[215:216]
	ds_read2_b64 v[215:218], v253 offset0:62 offset1:63
	;; [unrolled: 8-line block ×29, first 2 shown]
	s_waitcnt lgkmcnt(0)
	v_mul_f64 v[121:122], v[217:218], v[123:124]
	v_fma_f64 v[121:122], v[215:216], v[213:214], -v[121:122]
	v_mul_f64 v[215:216], v[215:216], v[123:124]
	v_add_f64 v[1:2], v[1:2], -v[121:122]
	v_fma_f64 v[215:216], v[217:218], v[213:214], v[215:216]
	v_mov_b32_e32 v121, v213
	v_mov_b32_e32 v122, v214
	v_add_f64 v[3:4], v[3:4], -v[215:216]
.LBB117_262:
	s_or_b32 exec_lo, exec_lo, s1
	s_mov_b32 s2, exec_lo
	s_waitcnt_vscnt null, 0x0
	s_barrier
	buffer_gl0_inv
	v_cmpx_eq_u32_e32 29, v0
	s_cbranch_execz .LBB117_269
; %bb.263:
	ds_write2_b64 v255, v[117:118], v[119:120] offset1:1
	ds_write2_b64 v253, v[113:114], v[115:116] offset0:60 offset1:61
	ds_write2_b64 v253, v[109:110], v[111:112] offset0:62 offset1:63
	;; [unrolled: 1-line block ×29, first 2 shown]
	ds_read2_b64 v[213:216], v255 offset1:1
	s_waitcnt lgkmcnt(0)
	v_cmp_neq_f64_e32 vcc_lo, 0, v[213:214]
	v_cmp_neq_f64_e64 s1, 0, v[215:216]
	s_or_b32 s1, vcc_lo, s1
	s_and_b32 exec_lo, exec_lo, s1
	s_cbranch_execz .LBB117_269
; %bb.264:
	v_cmp_ngt_f64_e64 s1, |v[213:214]|, |v[215:216]|
                                        ; implicit-def: $vgpr217_vgpr218
	s_and_saveexec_b32 s3, s1
	s_xor_b32 s1, exec_lo, s3
                                        ; implicit-def: $vgpr219_vgpr220
	s_cbranch_execz .LBB117_266
; %bb.265:
	v_div_scale_f64 v[217:218], null, v[215:216], v[215:216], v[213:214]
	v_div_scale_f64 v[223:224], vcc_lo, v[213:214], v[215:216], v[213:214]
	v_rcp_f64_e32 v[219:220], v[217:218]
	v_fma_f64 v[221:222], -v[217:218], v[219:220], 1.0
	v_fma_f64 v[219:220], v[219:220], v[221:222], v[219:220]
	v_fma_f64 v[221:222], -v[217:218], v[219:220], 1.0
	v_fma_f64 v[219:220], v[219:220], v[221:222], v[219:220]
	v_mul_f64 v[221:222], v[223:224], v[219:220]
	v_fma_f64 v[217:218], -v[217:218], v[221:222], v[223:224]
	v_div_fmas_f64 v[217:218], v[217:218], v[219:220], v[221:222]
	v_div_fixup_f64 v[217:218], v[217:218], v[215:216], v[213:214]
	v_fma_f64 v[213:214], v[213:214], v[217:218], v[215:216]
	v_div_scale_f64 v[215:216], null, v[213:214], v[213:214], 1.0
	v_rcp_f64_e32 v[219:220], v[215:216]
	v_fma_f64 v[221:222], -v[215:216], v[219:220], 1.0
	v_fma_f64 v[219:220], v[219:220], v[221:222], v[219:220]
	v_fma_f64 v[221:222], -v[215:216], v[219:220], 1.0
	v_fma_f64 v[219:220], v[219:220], v[221:222], v[219:220]
	v_div_scale_f64 v[221:222], vcc_lo, 1.0, v[213:214], 1.0
	v_mul_f64 v[223:224], v[221:222], v[219:220]
	v_fma_f64 v[215:216], -v[215:216], v[223:224], v[221:222]
	v_div_fmas_f64 v[215:216], v[215:216], v[219:220], v[223:224]
	v_div_fixup_f64 v[219:220], v[215:216], v[213:214], 1.0
                                        ; implicit-def: $vgpr213_vgpr214
	v_mul_f64 v[217:218], v[217:218], v[219:220]
	v_xor_b32_e32 v220, 0x80000000, v220
.LBB117_266:
	s_andn2_saveexec_b32 s1, s1
	s_cbranch_execz .LBB117_268
; %bb.267:
	v_div_scale_f64 v[217:218], null, v[213:214], v[213:214], v[215:216]
	v_div_scale_f64 v[223:224], vcc_lo, v[215:216], v[213:214], v[215:216]
	v_rcp_f64_e32 v[219:220], v[217:218]
	v_fma_f64 v[221:222], -v[217:218], v[219:220], 1.0
	v_fma_f64 v[219:220], v[219:220], v[221:222], v[219:220]
	v_fma_f64 v[221:222], -v[217:218], v[219:220], 1.0
	v_fma_f64 v[219:220], v[219:220], v[221:222], v[219:220]
	v_mul_f64 v[221:222], v[223:224], v[219:220]
	v_fma_f64 v[217:218], -v[217:218], v[221:222], v[223:224]
	v_div_fmas_f64 v[217:218], v[217:218], v[219:220], v[221:222]
	v_div_fixup_f64 v[219:220], v[217:218], v[213:214], v[215:216]
	v_fma_f64 v[213:214], v[215:216], v[219:220], v[213:214]
	v_div_scale_f64 v[215:216], null, v[213:214], v[213:214], 1.0
	v_rcp_f64_e32 v[217:218], v[215:216]
	v_fma_f64 v[221:222], -v[215:216], v[217:218], 1.0
	v_fma_f64 v[217:218], v[217:218], v[221:222], v[217:218]
	v_fma_f64 v[221:222], -v[215:216], v[217:218], 1.0
	v_fma_f64 v[217:218], v[217:218], v[221:222], v[217:218]
	v_div_scale_f64 v[221:222], vcc_lo, 1.0, v[213:214], 1.0
	v_mul_f64 v[223:224], v[221:222], v[217:218]
	v_fma_f64 v[215:216], -v[215:216], v[223:224], v[221:222]
	v_div_fmas_f64 v[215:216], v[215:216], v[217:218], v[223:224]
	v_div_fixup_f64 v[217:218], v[215:216], v[213:214], 1.0
	v_mul_f64 v[219:220], v[219:220], -v[217:218]
.LBB117_268:
	s_or_b32 exec_lo, exec_lo, s1
	ds_write2_b64 v255, v[217:218], v[219:220] offset1:1
.LBB117_269:
	s_or_b32 exec_lo, exec_lo, s2
	s_waitcnt lgkmcnt(0)
	s_barrier
	buffer_gl0_inv
	ds_read2_b64 v[193:196], v255 offset1:1
	s_mov_b32 s1, exec_lo
	s_waitcnt lgkmcnt(0)
	buffer_store_dword v193, off, s[16:19], 0 offset:1016 ; 4-byte Folded Spill
	buffer_store_dword v194, off, s[16:19], 0 offset:1020 ; 4-byte Folded Spill
	;; [unrolled: 1-line block ×4, first 2 shown]
	v_cmpx_lt_u32_e32 29, v0
	s_cbranch_execz .LBB117_271
; %bb.270:
	s_clause 0x3
	buffer_load_dword v193, off, s[16:19], 0 offset:1016
	buffer_load_dword v194, off, s[16:19], 0 offset:1020
	;; [unrolled: 1-line block ×4, first 2 shown]
	ds_read2_b64 v[215:218], v253 offset0:60 offset1:61
	s_waitcnt vmcnt(0)
	v_mul_f64 v[213:214], v[195:196], v[119:120]
	v_mul_f64 v[119:120], v[193:194], v[119:120]
	v_fma_f64 v[213:214], v[193:194], v[117:118], -v[213:214]
	v_fma_f64 v[119:120], v[195:196], v[117:118], v[119:120]
	s_waitcnt lgkmcnt(0)
	v_mul_f64 v[117:118], v[217:218], v[119:120]
	v_fma_f64 v[117:118], v[215:216], v[213:214], -v[117:118]
	v_mul_f64 v[215:216], v[215:216], v[119:120]
	v_add_f64 v[113:114], v[113:114], -v[117:118]
	v_fma_f64 v[215:216], v[217:218], v[213:214], v[215:216]
	v_add_f64 v[115:116], v[115:116], -v[215:216]
	ds_read2_b64 v[215:218], v253 offset0:62 offset1:63
	s_waitcnt lgkmcnt(0)
	v_mul_f64 v[117:118], v[217:218], v[119:120]
	v_fma_f64 v[117:118], v[215:216], v[213:214], -v[117:118]
	v_mul_f64 v[215:216], v[215:216], v[119:120]
	v_add_f64 v[109:110], v[109:110], -v[117:118]
	v_fma_f64 v[215:216], v[217:218], v[213:214], v[215:216]
	v_add_f64 v[111:112], v[111:112], -v[215:216]
	ds_read2_b64 v[215:218], v253 offset0:64 offset1:65
	;; [unrolled: 8-line block ×28, first 2 shown]
	s_waitcnt lgkmcnt(0)
	v_mul_f64 v[117:118], v[217:218], v[119:120]
	v_fma_f64 v[117:118], v[215:216], v[213:214], -v[117:118]
	v_mul_f64 v[215:216], v[215:216], v[119:120]
	v_add_f64 v[1:2], v[1:2], -v[117:118]
	v_fma_f64 v[215:216], v[217:218], v[213:214], v[215:216]
	v_mov_b32_e32 v117, v213
	v_mov_b32_e32 v118, v214
	v_add_f64 v[3:4], v[3:4], -v[215:216]
.LBB117_271:
	s_or_b32 exec_lo, exec_lo, s1
	s_mov_b32 s2, exec_lo
	s_waitcnt_vscnt null, 0x0
	s_barrier
	buffer_gl0_inv
	v_cmpx_eq_u32_e32 30, v0
	s_cbranch_execz .LBB117_278
; %bb.272:
	ds_write2_b64 v255, v[113:114], v[115:116] offset1:1
	ds_write2_b64 v253, v[109:110], v[111:112] offset0:62 offset1:63
	ds_write2_b64 v253, v[105:106], v[107:108] offset0:64 offset1:65
	;; [unrolled: 1-line block ×28, first 2 shown]
	ds_read2_b64 v[213:216], v255 offset1:1
	s_waitcnt lgkmcnt(0)
	v_cmp_neq_f64_e32 vcc_lo, 0, v[213:214]
	v_cmp_neq_f64_e64 s1, 0, v[215:216]
	s_or_b32 s1, vcc_lo, s1
	s_and_b32 exec_lo, exec_lo, s1
	s_cbranch_execz .LBB117_278
; %bb.273:
	v_cmp_ngt_f64_e64 s1, |v[213:214]|, |v[215:216]|
                                        ; implicit-def: $vgpr217_vgpr218
	s_and_saveexec_b32 s3, s1
	s_xor_b32 s1, exec_lo, s3
                                        ; implicit-def: $vgpr219_vgpr220
	s_cbranch_execz .LBB117_275
; %bb.274:
	v_div_scale_f64 v[217:218], null, v[215:216], v[215:216], v[213:214]
	v_div_scale_f64 v[223:224], vcc_lo, v[213:214], v[215:216], v[213:214]
	v_rcp_f64_e32 v[219:220], v[217:218]
	v_fma_f64 v[221:222], -v[217:218], v[219:220], 1.0
	v_fma_f64 v[219:220], v[219:220], v[221:222], v[219:220]
	v_fma_f64 v[221:222], -v[217:218], v[219:220], 1.0
	v_fma_f64 v[219:220], v[219:220], v[221:222], v[219:220]
	v_mul_f64 v[221:222], v[223:224], v[219:220]
	v_fma_f64 v[217:218], -v[217:218], v[221:222], v[223:224]
	v_div_fmas_f64 v[217:218], v[217:218], v[219:220], v[221:222]
	v_div_fixup_f64 v[217:218], v[217:218], v[215:216], v[213:214]
	v_fma_f64 v[213:214], v[213:214], v[217:218], v[215:216]
	v_div_scale_f64 v[215:216], null, v[213:214], v[213:214], 1.0
	v_rcp_f64_e32 v[219:220], v[215:216]
	v_fma_f64 v[221:222], -v[215:216], v[219:220], 1.0
	v_fma_f64 v[219:220], v[219:220], v[221:222], v[219:220]
	v_fma_f64 v[221:222], -v[215:216], v[219:220], 1.0
	v_fma_f64 v[219:220], v[219:220], v[221:222], v[219:220]
	v_div_scale_f64 v[221:222], vcc_lo, 1.0, v[213:214], 1.0
	v_mul_f64 v[223:224], v[221:222], v[219:220]
	v_fma_f64 v[215:216], -v[215:216], v[223:224], v[221:222]
	v_div_fmas_f64 v[215:216], v[215:216], v[219:220], v[223:224]
	v_div_fixup_f64 v[219:220], v[215:216], v[213:214], 1.0
                                        ; implicit-def: $vgpr213_vgpr214
	v_mul_f64 v[217:218], v[217:218], v[219:220]
	v_xor_b32_e32 v220, 0x80000000, v220
.LBB117_275:
	s_andn2_saveexec_b32 s1, s1
	s_cbranch_execz .LBB117_277
; %bb.276:
	v_div_scale_f64 v[217:218], null, v[213:214], v[213:214], v[215:216]
	v_div_scale_f64 v[223:224], vcc_lo, v[215:216], v[213:214], v[215:216]
	v_rcp_f64_e32 v[219:220], v[217:218]
	v_fma_f64 v[221:222], -v[217:218], v[219:220], 1.0
	v_fma_f64 v[219:220], v[219:220], v[221:222], v[219:220]
	v_fma_f64 v[221:222], -v[217:218], v[219:220], 1.0
	v_fma_f64 v[219:220], v[219:220], v[221:222], v[219:220]
	v_mul_f64 v[221:222], v[223:224], v[219:220]
	v_fma_f64 v[217:218], -v[217:218], v[221:222], v[223:224]
	v_div_fmas_f64 v[217:218], v[217:218], v[219:220], v[221:222]
	v_div_fixup_f64 v[219:220], v[217:218], v[213:214], v[215:216]
	v_fma_f64 v[213:214], v[215:216], v[219:220], v[213:214]
	v_div_scale_f64 v[215:216], null, v[213:214], v[213:214], 1.0
	v_rcp_f64_e32 v[217:218], v[215:216]
	v_fma_f64 v[221:222], -v[215:216], v[217:218], 1.0
	v_fma_f64 v[217:218], v[217:218], v[221:222], v[217:218]
	v_fma_f64 v[221:222], -v[215:216], v[217:218], 1.0
	v_fma_f64 v[217:218], v[217:218], v[221:222], v[217:218]
	v_div_scale_f64 v[221:222], vcc_lo, 1.0, v[213:214], 1.0
	v_mul_f64 v[223:224], v[221:222], v[217:218]
	v_fma_f64 v[215:216], -v[215:216], v[223:224], v[221:222]
	v_div_fmas_f64 v[215:216], v[215:216], v[217:218], v[223:224]
	v_div_fixup_f64 v[217:218], v[215:216], v[213:214], 1.0
	v_mul_f64 v[219:220], v[219:220], -v[217:218]
.LBB117_277:
	s_or_b32 exec_lo, exec_lo, s1
	ds_write2_b64 v255, v[217:218], v[219:220] offset1:1
.LBB117_278:
	s_or_b32 exec_lo, exec_lo, s2
	s_waitcnt lgkmcnt(0)
	s_barrier
	buffer_gl0_inv
	ds_read2_b64 v[193:196], v255 offset1:1
	s_mov_b32 s1, exec_lo
	s_waitcnt lgkmcnt(0)
	buffer_store_dword v193, off, s[16:19], 0 offset:1032 ; 4-byte Folded Spill
	buffer_store_dword v194, off, s[16:19], 0 offset:1036 ; 4-byte Folded Spill
	;; [unrolled: 1-line block ×4, first 2 shown]
	v_cmpx_lt_u32_e32 30, v0
	s_cbranch_execz .LBB117_280
; %bb.279:
	s_clause 0x3
	buffer_load_dword v193, off, s[16:19], 0 offset:1032
	buffer_load_dword v194, off, s[16:19], 0 offset:1036
	;; [unrolled: 1-line block ×4, first 2 shown]
	ds_read2_b64 v[215:218], v253 offset0:62 offset1:63
	s_waitcnt vmcnt(0)
	v_mul_f64 v[213:214], v[195:196], v[115:116]
	v_mul_f64 v[115:116], v[193:194], v[115:116]
	v_fma_f64 v[213:214], v[193:194], v[113:114], -v[213:214]
	v_fma_f64 v[115:116], v[195:196], v[113:114], v[115:116]
	s_waitcnt lgkmcnt(0)
	v_mul_f64 v[113:114], v[217:218], v[115:116]
	v_fma_f64 v[113:114], v[215:216], v[213:214], -v[113:114]
	v_mul_f64 v[215:216], v[215:216], v[115:116]
	v_add_f64 v[109:110], v[109:110], -v[113:114]
	v_fma_f64 v[215:216], v[217:218], v[213:214], v[215:216]
	v_add_f64 v[111:112], v[111:112], -v[215:216]
	ds_read2_b64 v[215:218], v253 offset0:64 offset1:65
	s_waitcnt lgkmcnt(0)
	v_mul_f64 v[113:114], v[217:218], v[115:116]
	v_fma_f64 v[113:114], v[215:216], v[213:214], -v[113:114]
	v_mul_f64 v[215:216], v[215:216], v[115:116]
	v_add_f64 v[105:106], v[105:106], -v[113:114]
	v_fma_f64 v[215:216], v[217:218], v[213:214], v[215:216]
	v_add_f64 v[107:108], v[107:108], -v[215:216]
	ds_read2_b64 v[215:218], v253 offset0:66 offset1:67
	;; [unrolled: 8-line block ×27, first 2 shown]
	s_waitcnt lgkmcnt(0)
	v_mul_f64 v[113:114], v[217:218], v[115:116]
	v_fma_f64 v[113:114], v[215:216], v[213:214], -v[113:114]
	v_mul_f64 v[215:216], v[215:216], v[115:116]
	v_add_f64 v[1:2], v[1:2], -v[113:114]
	v_fma_f64 v[215:216], v[217:218], v[213:214], v[215:216]
	v_mov_b32_e32 v113, v213
	v_mov_b32_e32 v114, v214
	v_add_f64 v[3:4], v[3:4], -v[215:216]
.LBB117_280:
	s_or_b32 exec_lo, exec_lo, s1
	s_mov_b32 s2, exec_lo
	s_waitcnt_vscnt null, 0x0
	s_barrier
	buffer_gl0_inv
	v_cmpx_eq_u32_e32 31, v0
	s_cbranch_execz .LBB117_287
; %bb.281:
	ds_write2_b64 v255, v[109:110], v[111:112] offset1:1
	ds_write2_b64 v253, v[105:106], v[107:108] offset0:64 offset1:65
	ds_write2_b64 v253, v[101:102], v[103:104] offset0:66 offset1:67
	;; [unrolled: 1-line block ×27, first 2 shown]
	ds_read2_b64 v[213:216], v255 offset1:1
	s_waitcnt lgkmcnt(0)
	v_cmp_neq_f64_e32 vcc_lo, 0, v[213:214]
	v_cmp_neq_f64_e64 s1, 0, v[215:216]
	s_or_b32 s1, vcc_lo, s1
	s_and_b32 exec_lo, exec_lo, s1
	s_cbranch_execz .LBB117_287
; %bb.282:
	v_cmp_ngt_f64_e64 s1, |v[213:214]|, |v[215:216]|
                                        ; implicit-def: $vgpr217_vgpr218
	s_and_saveexec_b32 s3, s1
	s_xor_b32 s1, exec_lo, s3
                                        ; implicit-def: $vgpr219_vgpr220
	s_cbranch_execz .LBB117_284
; %bb.283:
	v_div_scale_f64 v[217:218], null, v[215:216], v[215:216], v[213:214]
	v_div_scale_f64 v[223:224], vcc_lo, v[213:214], v[215:216], v[213:214]
	v_rcp_f64_e32 v[219:220], v[217:218]
	v_fma_f64 v[221:222], -v[217:218], v[219:220], 1.0
	v_fma_f64 v[219:220], v[219:220], v[221:222], v[219:220]
	v_fma_f64 v[221:222], -v[217:218], v[219:220], 1.0
	v_fma_f64 v[219:220], v[219:220], v[221:222], v[219:220]
	v_mul_f64 v[221:222], v[223:224], v[219:220]
	v_fma_f64 v[217:218], -v[217:218], v[221:222], v[223:224]
	v_div_fmas_f64 v[217:218], v[217:218], v[219:220], v[221:222]
	v_div_fixup_f64 v[217:218], v[217:218], v[215:216], v[213:214]
	v_fma_f64 v[213:214], v[213:214], v[217:218], v[215:216]
	v_div_scale_f64 v[215:216], null, v[213:214], v[213:214], 1.0
	v_rcp_f64_e32 v[219:220], v[215:216]
	v_fma_f64 v[221:222], -v[215:216], v[219:220], 1.0
	v_fma_f64 v[219:220], v[219:220], v[221:222], v[219:220]
	v_fma_f64 v[221:222], -v[215:216], v[219:220], 1.0
	v_fma_f64 v[219:220], v[219:220], v[221:222], v[219:220]
	v_div_scale_f64 v[221:222], vcc_lo, 1.0, v[213:214], 1.0
	v_mul_f64 v[223:224], v[221:222], v[219:220]
	v_fma_f64 v[215:216], -v[215:216], v[223:224], v[221:222]
	v_div_fmas_f64 v[215:216], v[215:216], v[219:220], v[223:224]
	v_div_fixup_f64 v[219:220], v[215:216], v[213:214], 1.0
                                        ; implicit-def: $vgpr213_vgpr214
	v_mul_f64 v[217:218], v[217:218], v[219:220]
	v_xor_b32_e32 v220, 0x80000000, v220
.LBB117_284:
	s_andn2_saveexec_b32 s1, s1
	s_cbranch_execz .LBB117_286
; %bb.285:
	v_div_scale_f64 v[217:218], null, v[213:214], v[213:214], v[215:216]
	v_div_scale_f64 v[223:224], vcc_lo, v[215:216], v[213:214], v[215:216]
	v_rcp_f64_e32 v[219:220], v[217:218]
	v_fma_f64 v[221:222], -v[217:218], v[219:220], 1.0
	v_fma_f64 v[219:220], v[219:220], v[221:222], v[219:220]
	v_fma_f64 v[221:222], -v[217:218], v[219:220], 1.0
	v_fma_f64 v[219:220], v[219:220], v[221:222], v[219:220]
	v_mul_f64 v[221:222], v[223:224], v[219:220]
	v_fma_f64 v[217:218], -v[217:218], v[221:222], v[223:224]
	v_div_fmas_f64 v[217:218], v[217:218], v[219:220], v[221:222]
	v_div_fixup_f64 v[219:220], v[217:218], v[213:214], v[215:216]
	v_fma_f64 v[213:214], v[215:216], v[219:220], v[213:214]
	v_div_scale_f64 v[215:216], null, v[213:214], v[213:214], 1.0
	v_rcp_f64_e32 v[217:218], v[215:216]
	v_fma_f64 v[221:222], -v[215:216], v[217:218], 1.0
	v_fma_f64 v[217:218], v[217:218], v[221:222], v[217:218]
	v_fma_f64 v[221:222], -v[215:216], v[217:218], 1.0
	v_fma_f64 v[217:218], v[217:218], v[221:222], v[217:218]
	v_div_scale_f64 v[221:222], vcc_lo, 1.0, v[213:214], 1.0
	v_mul_f64 v[223:224], v[221:222], v[217:218]
	v_fma_f64 v[215:216], -v[215:216], v[223:224], v[221:222]
	v_div_fmas_f64 v[215:216], v[215:216], v[217:218], v[223:224]
	v_div_fixup_f64 v[217:218], v[215:216], v[213:214], 1.0
	v_mul_f64 v[219:220], v[219:220], -v[217:218]
.LBB117_286:
	s_or_b32 exec_lo, exec_lo, s1
	ds_write2_b64 v255, v[217:218], v[219:220] offset1:1
.LBB117_287:
	s_or_b32 exec_lo, exec_lo, s2
	s_waitcnt lgkmcnt(0)
	s_barrier
	buffer_gl0_inv
	ds_read2_b64 v[193:196], v255 offset1:1
	s_mov_b32 s1, exec_lo
	s_waitcnt lgkmcnt(0)
	buffer_store_dword v193, off, s[16:19], 0 offset:1048 ; 4-byte Folded Spill
	buffer_store_dword v194, off, s[16:19], 0 offset:1052 ; 4-byte Folded Spill
	;; [unrolled: 1-line block ×4, first 2 shown]
	v_cmpx_lt_u32_e32 31, v0
	s_cbranch_execz .LBB117_289
; %bb.288:
	s_clause 0x3
	buffer_load_dword v193, off, s[16:19], 0 offset:1048
	buffer_load_dword v194, off, s[16:19], 0 offset:1052
	;; [unrolled: 1-line block ×4, first 2 shown]
	ds_read2_b64 v[215:218], v253 offset0:64 offset1:65
	s_waitcnt vmcnt(0)
	v_mul_f64 v[213:214], v[195:196], v[111:112]
	v_mul_f64 v[111:112], v[193:194], v[111:112]
	v_fma_f64 v[213:214], v[193:194], v[109:110], -v[213:214]
	v_fma_f64 v[111:112], v[195:196], v[109:110], v[111:112]
	s_waitcnt lgkmcnt(0)
	v_mul_f64 v[109:110], v[217:218], v[111:112]
	v_fma_f64 v[109:110], v[215:216], v[213:214], -v[109:110]
	v_mul_f64 v[215:216], v[215:216], v[111:112]
	v_add_f64 v[105:106], v[105:106], -v[109:110]
	v_fma_f64 v[215:216], v[217:218], v[213:214], v[215:216]
	v_add_f64 v[107:108], v[107:108], -v[215:216]
	ds_read2_b64 v[215:218], v253 offset0:66 offset1:67
	s_waitcnt lgkmcnt(0)
	v_mul_f64 v[109:110], v[217:218], v[111:112]
	v_fma_f64 v[109:110], v[215:216], v[213:214], -v[109:110]
	v_mul_f64 v[215:216], v[215:216], v[111:112]
	v_add_f64 v[101:102], v[101:102], -v[109:110]
	v_fma_f64 v[215:216], v[217:218], v[213:214], v[215:216]
	v_add_f64 v[103:104], v[103:104], -v[215:216]
	ds_read2_b64 v[215:218], v253 offset0:68 offset1:69
	;; [unrolled: 8-line block ×26, first 2 shown]
	s_waitcnt lgkmcnt(0)
	v_mul_f64 v[109:110], v[217:218], v[111:112]
	v_fma_f64 v[109:110], v[215:216], v[213:214], -v[109:110]
	v_mul_f64 v[215:216], v[215:216], v[111:112]
	v_add_f64 v[1:2], v[1:2], -v[109:110]
	v_fma_f64 v[215:216], v[217:218], v[213:214], v[215:216]
	v_mov_b32_e32 v109, v213
	v_mov_b32_e32 v110, v214
	v_add_f64 v[3:4], v[3:4], -v[215:216]
.LBB117_289:
	s_or_b32 exec_lo, exec_lo, s1
	s_mov_b32 s2, exec_lo
	s_waitcnt_vscnt null, 0x0
	s_barrier
	buffer_gl0_inv
	v_cmpx_eq_u32_e32 32, v0
	s_cbranch_execz .LBB117_296
; %bb.290:
	ds_write2_b64 v255, v[105:106], v[107:108] offset1:1
	ds_write2_b64 v253, v[101:102], v[103:104] offset0:66 offset1:67
	ds_write2_b64 v253, v[97:98], v[99:100] offset0:68 offset1:69
	;; [unrolled: 1-line block ×26, first 2 shown]
	ds_read2_b64 v[213:216], v255 offset1:1
	s_waitcnt lgkmcnt(0)
	v_cmp_neq_f64_e32 vcc_lo, 0, v[213:214]
	v_cmp_neq_f64_e64 s1, 0, v[215:216]
	s_or_b32 s1, vcc_lo, s1
	s_and_b32 exec_lo, exec_lo, s1
	s_cbranch_execz .LBB117_296
; %bb.291:
	v_cmp_ngt_f64_e64 s1, |v[213:214]|, |v[215:216]|
                                        ; implicit-def: $vgpr217_vgpr218
	s_and_saveexec_b32 s3, s1
	s_xor_b32 s1, exec_lo, s3
                                        ; implicit-def: $vgpr219_vgpr220
	s_cbranch_execz .LBB117_293
; %bb.292:
	v_div_scale_f64 v[217:218], null, v[215:216], v[215:216], v[213:214]
	v_div_scale_f64 v[223:224], vcc_lo, v[213:214], v[215:216], v[213:214]
	v_rcp_f64_e32 v[219:220], v[217:218]
	v_fma_f64 v[221:222], -v[217:218], v[219:220], 1.0
	v_fma_f64 v[219:220], v[219:220], v[221:222], v[219:220]
	v_fma_f64 v[221:222], -v[217:218], v[219:220], 1.0
	v_fma_f64 v[219:220], v[219:220], v[221:222], v[219:220]
	v_mul_f64 v[221:222], v[223:224], v[219:220]
	v_fma_f64 v[217:218], -v[217:218], v[221:222], v[223:224]
	v_div_fmas_f64 v[217:218], v[217:218], v[219:220], v[221:222]
	v_div_fixup_f64 v[217:218], v[217:218], v[215:216], v[213:214]
	v_fma_f64 v[213:214], v[213:214], v[217:218], v[215:216]
	v_div_scale_f64 v[215:216], null, v[213:214], v[213:214], 1.0
	v_rcp_f64_e32 v[219:220], v[215:216]
	v_fma_f64 v[221:222], -v[215:216], v[219:220], 1.0
	v_fma_f64 v[219:220], v[219:220], v[221:222], v[219:220]
	v_fma_f64 v[221:222], -v[215:216], v[219:220], 1.0
	v_fma_f64 v[219:220], v[219:220], v[221:222], v[219:220]
	v_div_scale_f64 v[221:222], vcc_lo, 1.0, v[213:214], 1.0
	v_mul_f64 v[223:224], v[221:222], v[219:220]
	v_fma_f64 v[215:216], -v[215:216], v[223:224], v[221:222]
	v_div_fmas_f64 v[215:216], v[215:216], v[219:220], v[223:224]
	v_div_fixup_f64 v[219:220], v[215:216], v[213:214], 1.0
                                        ; implicit-def: $vgpr213_vgpr214
	v_mul_f64 v[217:218], v[217:218], v[219:220]
	v_xor_b32_e32 v220, 0x80000000, v220
.LBB117_293:
	s_andn2_saveexec_b32 s1, s1
	s_cbranch_execz .LBB117_295
; %bb.294:
	v_div_scale_f64 v[217:218], null, v[213:214], v[213:214], v[215:216]
	v_div_scale_f64 v[223:224], vcc_lo, v[215:216], v[213:214], v[215:216]
	v_rcp_f64_e32 v[219:220], v[217:218]
	v_fma_f64 v[221:222], -v[217:218], v[219:220], 1.0
	v_fma_f64 v[219:220], v[219:220], v[221:222], v[219:220]
	v_fma_f64 v[221:222], -v[217:218], v[219:220], 1.0
	v_fma_f64 v[219:220], v[219:220], v[221:222], v[219:220]
	v_mul_f64 v[221:222], v[223:224], v[219:220]
	v_fma_f64 v[217:218], -v[217:218], v[221:222], v[223:224]
	v_div_fmas_f64 v[217:218], v[217:218], v[219:220], v[221:222]
	v_div_fixup_f64 v[219:220], v[217:218], v[213:214], v[215:216]
	v_fma_f64 v[213:214], v[215:216], v[219:220], v[213:214]
	v_div_scale_f64 v[215:216], null, v[213:214], v[213:214], 1.0
	v_rcp_f64_e32 v[217:218], v[215:216]
	v_fma_f64 v[221:222], -v[215:216], v[217:218], 1.0
	v_fma_f64 v[217:218], v[217:218], v[221:222], v[217:218]
	v_fma_f64 v[221:222], -v[215:216], v[217:218], 1.0
	v_fma_f64 v[217:218], v[217:218], v[221:222], v[217:218]
	v_div_scale_f64 v[221:222], vcc_lo, 1.0, v[213:214], 1.0
	v_mul_f64 v[223:224], v[221:222], v[217:218]
	v_fma_f64 v[215:216], -v[215:216], v[223:224], v[221:222]
	v_div_fmas_f64 v[215:216], v[215:216], v[217:218], v[223:224]
	v_div_fixup_f64 v[217:218], v[215:216], v[213:214], 1.0
	v_mul_f64 v[219:220], v[219:220], -v[217:218]
.LBB117_295:
	s_or_b32 exec_lo, exec_lo, s1
	ds_write2_b64 v255, v[217:218], v[219:220] offset1:1
.LBB117_296:
	s_or_b32 exec_lo, exec_lo, s2
	s_waitcnt lgkmcnt(0)
	s_barrier
	buffer_gl0_inv
	ds_read2_b64 v[193:196], v255 offset1:1
	s_mov_b32 s1, exec_lo
	s_waitcnt lgkmcnt(0)
	buffer_store_dword v193, off, s[16:19], 0 offset:1064 ; 4-byte Folded Spill
	buffer_store_dword v194, off, s[16:19], 0 offset:1068 ; 4-byte Folded Spill
	;; [unrolled: 1-line block ×4, first 2 shown]
	v_cmpx_lt_u32_e32 32, v0
	s_cbranch_execz .LBB117_298
; %bb.297:
	s_clause 0x3
	buffer_load_dword v193, off, s[16:19], 0 offset:1064
	buffer_load_dword v194, off, s[16:19], 0 offset:1068
	;; [unrolled: 1-line block ×4, first 2 shown]
	ds_read2_b64 v[215:218], v253 offset0:66 offset1:67
	s_waitcnt vmcnt(0)
	v_mul_f64 v[213:214], v[195:196], v[107:108]
	v_mul_f64 v[107:108], v[193:194], v[107:108]
	v_fma_f64 v[213:214], v[193:194], v[105:106], -v[213:214]
	v_fma_f64 v[107:108], v[195:196], v[105:106], v[107:108]
	s_waitcnt lgkmcnt(0)
	v_mul_f64 v[105:106], v[217:218], v[107:108]
	v_fma_f64 v[105:106], v[215:216], v[213:214], -v[105:106]
	v_mul_f64 v[215:216], v[215:216], v[107:108]
	v_add_f64 v[101:102], v[101:102], -v[105:106]
	v_fma_f64 v[215:216], v[217:218], v[213:214], v[215:216]
	v_add_f64 v[103:104], v[103:104], -v[215:216]
	ds_read2_b64 v[215:218], v253 offset0:68 offset1:69
	s_waitcnt lgkmcnt(0)
	v_mul_f64 v[105:106], v[217:218], v[107:108]
	v_fma_f64 v[105:106], v[215:216], v[213:214], -v[105:106]
	v_mul_f64 v[215:216], v[215:216], v[107:108]
	v_add_f64 v[97:98], v[97:98], -v[105:106]
	v_fma_f64 v[215:216], v[217:218], v[213:214], v[215:216]
	v_add_f64 v[99:100], v[99:100], -v[215:216]
	ds_read2_b64 v[215:218], v253 offset0:70 offset1:71
	;; [unrolled: 8-line block ×25, first 2 shown]
	s_waitcnt lgkmcnt(0)
	v_mul_f64 v[105:106], v[217:218], v[107:108]
	v_fma_f64 v[105:106], v[215:216], v[213:214], -v[105:106]
	v_mul_f64 v[215:216], v[215:216], v[107:108]
	v_add_f64 v[1:2], v[1:2], -v[105:106]
	v_fma_f64 v[215:216], v[217:218], v[213:214], v[215:216]
	v_mov_b32_e32 v105, v213
	v_mov_b32_e32 v106, v214
	v_add_f64 v[3:4], v[3:4], -v[215:216]
.LBB117_298:
	s_or_b32 exec_lo, exec_lo, s1
	s_mov_b32 s2, exec_lo
	s_waitcnt_vscnt null, 0x0
	s_barrier
	buffer_gl0_inv
	v_cmpx_eq_u32_e32 33, v0
	s_cbranch_execz .LBB117_305
; %bb.299:
	ds_write2_b64 v255, v[101:102], v[103:104] offset1:1
	ds_write2_b64 v253, v[97:98], v[99:100] offset0:68 offset1:69
	ds_write2_b64 v253, v[93:94], v[95:96] offset0:70 offset1:71
	;; [unrolled: 1-line block ×25, first 2 shown]
	ds_read2_b64 v[213:216], v255 offset1:1
	s_waitcnt lgkmcnt(0)
	v_cmp_neq_f64_e32 vcc_lo, 0, v[213:214]
	v_cmp_neq_f64_e64 s1, 0, v[215:216]
	s_or_b32 s1, vcc_lo, s1
	s_and_b32 exec_lo, exec_lo, s1
	s_cbranch_execz .LBB117_305
; %bb.300:
	v_cmp_ngt_f64_e64 s1, |v[213:214]|, |v[215:216]|
                                        ; implicit-def: $vgpr217_vgpr218
	s_and_saveexec_b32 s3, s1
	s_xor_b32 s1, exec_lo, s3
                                        ; implicit-def: $vgpr219_vgpr220
	s_cbranch_execz .LBB117_302
; %bb.301:
	v_div_scale_f64 v[217:218], null, v[215:216], v[215:216], v[213:214]
	v_div_scale_f64 v[223:224], vcc_lo, v[213:214], v[215:216], v[213:214]
	v_rcp_f64_e32 v[219:220], v[217:218]
	v_fma_f64 v[221:222], -v[217:218], v[219:220], 1.0
	v_fma_f64 v[219:220], v[219:220], v[221:222], v[219:220]
	v_fma_f64 v[221:222], -v[217:218], v[219:220], 1.0
	v_fma_f64 v[219:220], v[219:220], v[221:222], v[219:220]
	v_mul_f64 v[221:222], v[223:224], v[219:220]
	v_fma_f64 v[217:218], -v[217:218], v[221:222], v[223:224]
	v_div_fmas_f64 v[217:218], v[217:218], v[219:220], v[221:222]
	v_div_fixup_f64 v[217:218], v[217:218], v[215:216], v[213:214]
	v_fma_f64 v[213:214], v[213:214], v[217:218], v[215:216]
	v_div_scale_f64 v[215:216], null, v[213:214], v[213:214], 1.0
	v_rcp_f64_e32 v[219:220], v[215:216]
	v_fma_f64 v[221:222], -v[215:216], v[219:220], 1.0
	v_fma_f64 v[219:220], v[219:220], v[221:222], v[219:220]
	v_fma_f64 v[221:222], -v[215:216], v[219:220], 1.0
	v_fma_f64 v[219:220], v[219:220], v[221:222], v[219:220]
	v_div_scale_f64 v[221:222], vcc_lo, 1.0, v[213:214], 1.0
	v_mul_f64 v[223:224], v[221:222], v[219:220]
	v_fma_f64 v[215:216], -v[215:216], v[223:224], v[221:222]
	v_div_fmas_f64 v[215:216], v[215:216], v[219:220], v[223:224]
	v_div_fixup_f64 v[219:220], v[215:216], v[213:214], 1.0
                                        ; implicit-def: $vgpr213_vgpr214
	v_mul_f64 v[217:218], v[217:218], v[219:220]
	v_xor_b32_e32 v220, 0x80000000, v220
.LBB117_302:
	s_andn2_saveexec_b32 s1, s1
	s_cbranch_execz .LBB117_304
; %bb.303:
	v_div_scale_f64 v[217:218], null, v[213:214], v[213:214], v[215:216]
	v_div_scale_f64 v[223:224], vcc_lo, v[215:216], v[213:214], v[215:216]
	v_rcp_f64_e32 v[219:220], v[217:218]
	v_fma_f64 v[221:222], -v[217:218], v[219:220], 1.0
	v_fma_f64 v[219:220], v[219:220], v[221:222], v[219:220]
	v_fma_f64 v[221:222], -v[217:218], v[219:220], 1.0
	v_fma_f64 v[219:220], v[219:220], v[221:222], v[219:220]
	v_mul_f64 v[221:222], v[223:224], v[219:220]
	v_fma_f64 v[217:218], -v[217:218], v[221:222], v[223:224]
	v_div_fmas_f64 v[217:218], v[217:218], v[219:220], v[221:222]
	v_div_fixup_f64 v[219:220], v[217:218], v[213:214], v[215:216]
	v_fma_f64 v[213:214], v[215:216], v[219:220], v[213:214]
	v_div_scale_f64 v[215:216], null, v[213:214], v[213:214], 1.0
	v_rcp_f64_e32 v[217:218], v[215:216]
	v_fma_f64 v[221:222], -v[215:216], v[217:218], 1.0
	v_fma_f64 v[217:218], v[217:218], v[221:222], v[217:218]
	v_fma_f64 v[221:222], -v[215:216], v[217:218], 1.0
	v_fma_f64 v[217:218], v[217:218], v[221:222], v[217:218]
	v_div_scale_f64 v[221:222], vcc_lo, 1.0, v[213:214], 1.0
	v_mul_f64 v[223:224], v[221:222], v[217:218]
	v_fma_f64 v[215:216], -v[215:216], v[223:224], v[221:222]
	v_div_fmas_f64 v[215:216], v[215:216], v[217:218], v[223:224]
	v_div_fixup_f64 v[217:218], v[215:216], v[213:214], 1.0
	v_mul_f64 v[219:220], v[219:220], -v[217:218]
.LBB117_304:
	s_or_b32 exec_lo, exec_lo, s1
	ds_write2_b64 v255, v[217:218], v[219:220] offset1:1
.LBB117_305:
	s_or_b32 exec_lo, exec_lo, s2
	s_waitcnt lgkmcnt(0)
	s_barrier
	buffer_gl0_inv
	ds_read2_b64 v[193:196], v255 offset1:1
	s_mov_b32 s1, exec_lo
	s_waitcnt lgkmcnt(0)
	buffer_store_dword v193, off, s[16:19], 0 offset:1080 ; 4-byte Folded Spill
	buffer_store_dword v194, off, s[16:19], 0 offset:1084 ; 4-byte Folded Spill
	;; [unrolled: 1-line block ×4, first 2 shown]
	v_cmpx_lt_u32_e32 33, v0
	s_cbranch_execz .LBB117_307
; %bb.306:
	s_clause 0x3
	buffer_load_dword v193, off, s[16:19], 0 offset:1080
	buffer_load_dword v194, off, s[16:19], 0 offset:1084
	;; [unrolled: 1-line block ×4, first 2 shown]
	ds_read2_b64 v[215:218], v253 offset0:68 offset1:69
	s_waitcnt vmcnt(0)
	v_mul_f64 v[213:214], v[195:196], v[103:104]
	v_mul_f64 v[103:104], v[193:194], v[103:104]
	v_fma_f64 v[213:214], v[193:194], v[101:102], -v[213:214]
	v_fma_f64 v[103:104], v[195:196], v[101:102], v[103:104]
	s_waitcnt lgkmcnt(0)
	v_mul_f64 v[101:102], v[217:218], v[103:104]
	v_fma_f64 v[101:102], v[215:216], v[213:214], -v[101:102]
	v_mul_f64 v[215:216], v[215:216], v[103:104]
	v_add_f64 v[97:98], v[97:98], -v[101:102]
	v_fma_f64 v[215:216], v[217:218], v[213:214], v[215:216]
	v_add_f64 v[99:100], v[99:100], -v[215:216]
	ds_read2_b64 v[215:218], v253 offset0:70 offset1:71
	s_waitcnt lgkmcnt(0)
	v_mul_f64 v[101:102], v[217:218], v[103:104]
	v_fma_f64 v[101:102], v[215:216], v[213:214], -v[101:102]
	v_mul_f64 v[215:216], v[215:216], v[103:104]
	v_add_f64 v[93:94], v[93:94], -v[101:102]
	v_fma_f64 v[215:216], v[217:218], v[213:214], v[215:216]
	v_add_f64 v[95:96], v[95:96], -v[215:216]
	ds_read2_b64 v[215:218], v253 offset0:72 offset1:73
	;; [unrolled: 8-line block ×24, first 2 shown]
	s_waitcnt lgkmcnt(0)
	v_mul_f64 v[101:102], v[217:218], v[103:104]
	v_fma_f64 v[101:102], v[215:216], v[213:214], -v[101:102]
	v_mul_f64 v[215:216], v[215:216], v[103:104]
	v_add_f64 v[1:2], v[1:2], -v[101:102]
	v_fma_f64 v[215:216], v[217:218], v[213:214], v[215:216]
	v_mov_b32_e32 v101, v213
	v_mov_b32_e32 v102, v214
	v_add_f64 v[3:4], v[3:4], -v[215:216]
.LBB117_307:
	s_or_b32 exec_lo, exec_lo, s1
	s_mov_b32 s2, exec_lo
	s_waitcnt_vscnt null, 0x0
	s_barrier
	buffer_gl0_inv
	v_cmpx_eq_u32_e32 34, v0
	s_cbranch_execz .LBB117_314
; %bb.308:
	ds_write2_b64 v255, v[97:98], v[99:100] offset1:1
	ds_write2_b64 v253, v[93:94], v[95:96] offset0:70 offset1:71
	ds_write2_b64 v253, v[89:90], v[91:92] offset0:72 offset1:73
	;; [unrolled: 1-line block ×24, first 2 shown]
	ds_read2_b64 v[213:216], v255 offset1:1
	s_waitcnt lgkmcnt(0)
	v_cmp_neq_f64_e32 vcc_lo, 0, v[213:214]
	v_cmp_neq_f64_e64 s1, 0, v[215:216]
	s_or_b32 s1, vcc_lo, s1
	s_and_b32 exec_lo, exec_lo, s1
	s_cbranch_execz .LBB117_314
; %bb.309:
	v_cmp_ngt_f64_e64 s1, |v[213:214]|, |v[215:216]|
                                        ; implicit-def: $vgpr217_vgpr218
	s_and_saveexec_b32 s3, s1
	s_xor_b32 s1, exec_lo, s3
                                        ; implicit-def: $vgpr219_vgpr220
	s_cbranch_execz .LBB117_311
; %bb.310:
	v_div_scale_f64 v[217:218], null, v[215:216], v[215:216], v[213:214]
	v_div_scale_f64 v[223:224], vcc_lo, v[213:214], v[215:216], v[213:214]
	v_rcp_f64_e32 v[219:220], v[217:218]
	v_fma_f64 v[221:222], -v[217:218], v[219:220], 1.0
	v_fma_f64 v[219:220], v[219:220], v[221:222], v[219:220]
	v_fma_f64 v[221:222], -v[217:218], v[219:220], 1.0
	v_fma_f64 v[219:220], v[219:220], v[221:222], v[219:220]
	v_mul_f64 v[221:222], v[223:224], v[219:220]
	v_fma_f64 v[217:218], -v[217:218], v[221:222], v[223:224]
	v_div_fmas_f64 v[217:218], v[217:218], v[219:220], v[221:222]
	v_div_fixup_f64 v[217:218], v[217:218], v[215:216], v[213:214]
	v_fma_f64 v[213:214], v[213:214], v[217:218], v[215:216]
	v_div_scale_f64 v[215:216], null, v[213:214], v[213:214], 1.0
	v_rcp_f64_e32 v[219:220], v[215:216]
	v_fma_f64 v[221:222], -v[215:216], v[219:220], 1.0
	v_fma_f64 v[219:220], v[219:220], v[221:222], v[219:220]
	v_fma_f64 v[221:222], -v[215:216], v[219:220], 1.0
	v_fma_f64 v[219:220], v[219:220], v[221:222], v[219:220]
	v_div_scale_f64 v[221:222], vcc_lo, 1.0, v[213:214], 1.0
	v_mul_f64 v[223:224], v[221:222], v[219:220]
	v_fma_f64 v[215:216], -v[215:216], v[223:224], v[221:222]
	v_div_fmas_f64 v[215:216], v[215:216], v[219:220], v[223:224]
	v_div_fixup_f64 v[219:220], v[215:216], v[213:214], 1.0
                                        ; implicit-def: $vgpr213_vgpr214
	v_mul_f64 v[217:218], v[217:218], v[219:220]
	v_xor_b32_e32 v220, 0x80000000, v220
.LBB117_311:
	s_andn2_saveexec_b32 s1, s1
	s_cbranch_execz .LBB117_313
; %bb.312:
	v_div_scale_f64 v[217:218], null, v[213:214], v[213:214], v[215:216]
	v_div_scale_f64 v[223:224], vcc_lo, v[215:216], v[213:214], v[215:216]
	v_rcp_f64_e32 v[219:220], v[217:218]
	v_fma_f64 v[221:222], -v[217:218], v[219:220], 1.0
	v_fma_f64 v[219:220], v[219:220], v[221:222], v[219:220]
	v_fma_f64 v[221:222], -v[217:218], v[219:220], 1.0
	v_fma_f64 v[219:220], v[219:220], v[221:222], v[219:220]
	v_mul_f64 v[221:222], v[223:224], v[219:220]
	v_fma_f64 v[217:218], -v[217:218], v[221:222], v[223:224]
	v_div_fmas_f64 v[217:218], v[217:218], v[219:220], v[221:222]
	v_div_fixup_f64 v[219:220], v[217:218], v[213:214], v[215:216]
	v_fma_f64 v[213:214], v[215:216], v[219:220], v[213:214]
	v_div_scale_f64 v[215:216], null, v[213:214], v[213:214], 1.0
	v_rcp_f64_e32 v[217:218], v[215:216]
	v_fma_f64 v[221:222], -v[215:216], v[217:218], 1.0
	v_fma_f64 v[217:218], v[217:218], v[221:222], v[217:218]
	v_fma_f64 v[221:222], -v[215:216], v[217:218], 1.0
	v_fma_f64 v[217:218], v[217:218], v[221:222], v[217:218]
	v_div_scale_f64 v[221:222], vcc_lo, 1.0, v[213:214], 1.0
	v_mul_f64 v[223:224], v[221:222], v[217:218]
	v_fma_f64 v[215:216], -v[215:216], v[223:224], v[221:222]
	v_div_fmas_f64 v[215:216], v[215:216], v[217:218], v[223:224]
	v_div_fixup_f64 v[217:218], v[215:216], v[213:214], 1.0
	v_mul_f64 v[219:220], v[219:220], -v[217:218]
.LBB117_313:
	s_or_b32 exec_lo, exec_lo, s1
	ds_write2_b64 v255, v[217:218], v[219:220] offset1:1
.LBB117_314:
	s_or_b32 exec_lo, exec_lo, s2
	s_waitcnt lgkmcnt(0)
	s_barrier
	buffer_gl0_inv
	ds_read2_b64 v[193:196], v255 offset1:1
	s_mov_b32 s1, exec_lo
	s_waitcnt lgkmcnt(0)
	buffer_store_dword v193, off, s[16:19], 0 offset:1096 ; 4-byte Folded Spill
	buffer_store_dword v194, off, s[16:19], 0 offset:1100 ; 4-byte Folded Spill
	;; [unrolled: 1-line block ×4, first 2 shown]
	v_cmpx_lt_u32_e32 34, v0
	s_cbranch_execz .LBB117_316
; %bb.315:
	s_clause 0x3
	buffer_load_dword v193, off, s[16:19], 0 offset:1096
	buffer_load_dword v194, off, s[16:19], 0 offset:1100
	;; [unrolled: 1-line block ×4, first 2 shown]
	ds_read2_b64 v[215:218], v253 offset0:70 offset1:71
	s_waitcnt vmcnt(0)
	v_mul_f64 v[213:214], v[195:196], v[99:100]
	v_mul_f64 v[99:100], v[193:194], v[99:100]
	v_fma_f64 v[213:214], v[193:194], v[97:98], -v[213:214]
	v_fma_f64 v[99:100], v[195:196], v[97:98], v[99:100]
	s_waitcnt lgkmcnt(0)
	v_mul_f64 v[97:98], v[217:218], v[99:100]
	v_fma_f64 v[97:98], v[215:216], v[213:214], -v[97:98]
	v_mul_f64 v[215:216], v[215:216], v[99:100]
	v_add_f64 v[93:94], v[93:94], -v[97:98]
	v_fma_f64 v[215:216], v[217:218], v[213:214], v[215:216]
	v_add_f64 v[95:96], v[95:96], -v[215:216]
	ds_read2_b64 v[215:218], v253 offset0:72 offset1:73
	s_waitcnt lgkmcnt(0)
	v_mul_f64 v[97:98], v[217:218], v[99:100]
	v_fma_f64 v[97:98], v[215:216], v[213:214], -v[97:98]
	v_mul_f64 v[215:216], v[215:216], v[99:100]
	v_add_f64 v[89:90], v[89:90], -v[97:98]
	v_fma_f64 v[215:216], v[217:218], v[213:214], v[215:216]
	v_add_f64 v[91:92], v[91:92], -v[215:216]
	ds_read2_b64 v[215:218], v253 offset0:74 offset1:75
	;; [unrolled: 8-line block ×23, first 2 shown]
	s_waitcnt lgkmcnt(0)
	v_mul_f64 v[97:98], v[217:218], v[99:100]
	v_fma_f64 v[97:98], v[215:216], v[213:214], -v[97:98]
	v_mul_f64 v[215:216], v[215:216], v[99:100]
	v_add_f64 v[1:2], v[1:2], -v[97:98]
	v_fma_f64 v[215:216], v[217:218], v[213:214], v[215:216]
	v_mov_b32_e32 v97, v213
	v_mov_b32_e32 v98, v214
	v_add_f64 v[3:4], v[3:4], -v[215:216]
.LBB117_316:
	s_or_b32 exec_lo, exec_lo, s1
	s_mov_b32 s2, exec_lo
	s_waitcnt_vscnt null, 0x0
	s_barrier
	buffer_gl0_inv
	v_cmpx_eq_u32_e32 35, v0
	s_cbranch_execz .LBB117_323
; %bb.317:
	ds_write2_b64 v255, v[93:94], v[95:96] offset1:1
	ds_write2_b64 v253, v[89:90], v[91:92] offset0:72 offset1:73
	ds_write2_b64 v253, v[85:86], v[87:88] offset0:74 offset1:75
	;; [unrolled: 1-line block ×23, first 2 shown]
	ds_read2_b64 v[213:216], v255 offset1:1
	s_waitcnt lgkmcnt(0)
	v_cmp_neq_f64_e32 vcc_lo, 0, v[213:214]
	v_cmp_neq_f64_e64 s1, 0, v[215:216]
	s_or_b32 s1, vcc_lo, s1
	s_and_b32 exec_lo, exec_lo, s1
	s_cbranch_execz .LBB117_323
; %bb.318:
	v_cmp_ngt_f64_e64 s1, |v[213:214]|, |v[215:216]|
                                        ; implicit-def: $vgpr217_vgpr218
	s_and_saveexec_b32 s3, s1
	s_xor_b32 s1, exec_lo, s3
                                        ; implicit-def: $vgpr219_vgpr220
	s_cbranch_execz .LBB117_320
; %bb.319:
	v_div_scale_f64 v[217:218], null, v[215:216], v[215:216], v[213:214]
	v_div_scale_f64 v[223:224], vcc_lo, v[213:214], v[215:216], v[213:214]
	v_rcp_f64_e32 v[219:220], v[217:218]
	v_fma_f64 v[221:222], -v[217:218], v[219:220], 1.0
	v_fma_f64 v[219:220], v[219:220], v[221:222], v[219:220]
	v_fma_f64 v[221:222], -v[217:218], v[219:220], 1.0
	v_fma_f64 v[219:220], v[219:220], v[221:222], v[219:220]
	v_mul_f64 v[221:222], v[223:224], v[219:220]
	v_fma_f64 v[217:218], -v[217:218], v[221:222], v[223:224]
	v_div_fmas_f64 v[217:218], v[217:218], v[219:220], v[221:222]
	v_div_fixup_f64 v[217:218], v[217:218], v[215:216], v[213:214]
	v_fma_f64 v[213:214], v[213:214], v[217:218], v[215:216]
	v_div_scale_f64 v[215:216], null, v[213:214], v[213:214], 1.0
	v_rcp_f64_e32 v[219:220], v[215:216]
	v_fma_f64 v[221:222], -v[215:216], v[219:220], 1.0
	v_fma_f64 v[219:220], v[219:220], v[221:222], v[219:220]
	v_fma_f64 v[221:222], -v[215:216], v[219:220], 1.0
	v_fma_f64 v[219:220], v[219:220], v[221:222], v[219:220]
	v_div_scale_f64 v[221:222], vcc_lo, 1.0, v[213:214], 1.0
	v_mul_f64 v[223:224], v[221:222], v[219:220]
	v_fma_f64 v[215:216], -v[215:216], v[223:224], v[221:222]
	v_div_fmas_f64 v[215:216], v[215:216], v[219:220], v[223:224]
	v_div_fixup_f64 v[219:220], v[215:216], v[213:214], 1.0
                                        ; implicit-def: $vgpr213_vgpr214
	v_mul_f64 v[217:218], v[217:218], v[219:220]
	v_xor_b32_e32 v220, 0x80000000, v220
.LBB117_320:
	s_andn2_saveexec_b32 s1, s1
	s_cbranch_execz .LBB117_322
; %bb.321:
	v_div_scale_f64 v[217:218], null, v[213:214], v[213:214], v[215:216]
	v_div_scale_f64 v[223:224], vcc_lo, v[215:216], v[213:214], v[215:216]
	v_rcp_f64_e32 v[219:220], v[217:218]
	v_fma_f64 v[221:222], -v[217:218], v[219:220], 1.0
	v_fma_f64 v[219:220], v[219:220], v[221:222], v[219:220]
	v_fma_f64 v[221:222], -v[217:218], v[219:220], 1.0
	v_fma_f64 v[219:220], v[219:220], v[221:222], v[219:220]
	v_mul_f64 v[221:222], v[223:224], v[219:220]
	v_fma_f64 v[217:218], -v[217:218], v[221:222], v[223:224]
	v_div_fmas_f64 v[217:218], v[217:218], v[219:220], v[221:222]
	v_div_fixup_f64 v[219:220], v[217:218], v[213:214], v[215:216]
	v_fma_f64 v[213:214], v[215:216], v[219:220], v[213:214]
	v_div_scale_f64 v[215:216], null, v[213:214], v[213:214], 1.0
	v_rcp_f64_e32 v[217:218], v[215:216]
	v_fma_f64 v[221:222], -v[215:216], v[217:218], 1.0
	v_fma_f64 v[217:218], v[217:218], v[221:222], v[217:218]
	v_fma_f64 v[221:222], -v[215:216], v[217:218], 1.0
	v_fma_f64 v[217:218], v[217:218], v[221:222], v[217:218]
	v_div_scale_f64 v[221:222], vcc_lo, 1.0, v[213:214], 1.0
	v_mul_f64 v[223:224], v[221:222], v[217:218]
	v_fma_f64 v[215:216], -v[215:216], v[223:224], v[221:222]
	v_div_fmas_f64 v[215:216], v[215:216], v[217:218], v[223:224]
	v_div_fixup_f64 v[217:218], v[215:216], v[213:214], 1.0
	v_mul_f64 v[219:220], v[219:220], -v[217:218]
.LBB117_322:
	s_or_b32 exec_lo, exec_lo, s1
	ds_write2_b64 v255, v[217:218], v[219:220] offset1:1
.LBB117_323:
	s_or_b32 exec_lo, exec_lo, s2
	s_waitcnt lgkmcnt(0)
	s_barrier
	buffer_gl0_inv
	ds_read2_b64 v[193:196], v255 offset1:1
	s_mov_b32 s1, exec_lo
	s_waitcnt lgkmcnt(0)
	buffer_store_dword v193, off, s[16:19], 0 offset:1112 ; 4-byte Folded Spill
	buffer_store_dword v194, off, s[16:19], 0 offset:1116 ; 4-byte Folded Spill
	;; [unrolled: 1-line block ×4, first 2 shown]
	v_cmpx_lt_u32_e32 35, v0
	s_cbranch_execz .LBB117_325
; %bb.324:
	s_clause 0x3
	buffer_load_dword v193, off, s[16:19], 0 offset:1112
	buffer_load_dword v194, off, s[16:19], 0 offset:1116
	;; [unrolled: 1-line block ×4, first 2 shown]
	ds_read2_b64 v[215:218], v253 offset0:72 offset1:73
	s_waitcnt vmcnt(0)
	v_mul_f64 v[213:214], v[195:196], v[95:96]
	v_mul_f64 v[95:96], v[193:194], v[95:96]
	v_fma_f64 v[213:214], v[193:194], v[93:94], -v[213:214]
	v_fma_f64 v[95:96], v[195:196], v[93:94], v[95:96]
	s_waitcnt lgkmcnt(0)
	v_mul_f64 v[93:94], v[217:218], v[95:96]
	v_fma_f64 v[93:94], v[215:216], v[213:214], -v[93:94]
	v_mul_f64 v[215:216], v[215:216], v[95:96]
	v_add_f64 v[89:90], v[89:90], -v[93:94]
	v_fma_f64 v[215:216], v[217:218], v[213:214], v[215:216]
	v_add_f64 v[91:92], v[91:92], -v[215:216]
	ds_read2_b64 v[215:218], v253 offset0:74 offset1:75
	s_waitcnt lgkmcnt(0)
	v_mul_f64 v[93:94], v[217:218], v[95:96]
	v_fma_f64 v[93:94], v[215:216], v[213:214], -v[93:94]
	v_mul_f64 v[215:216], v[215:216], v[95:96]
	v_add_f64 v[85:86], v[85:86], -v[93:94]
	v_fma_f64 v[215:216], v[217:218], v[213:214], v[215:216]
	v_add_f64 v[87:88], v[87:88], -v[215:216]
	ds_read2_b64 v[215:218], v253 offset0:76 offset1:77
	;; [unrolled: 8-line block ×22, first 2 shown]
	s_waitcnt lgkmcnt(0)
	v_mul_f64 v[93:94], v[217:218], v[95:96]
	v_fma_f64 v[93:94], v[215:216], v[213:214], -v[93:94]
	v_mul_f64 v[215:216], v[215:216], v[95:96]
	v_add_f64 v[1:2], v[1:2], -v[93:94]
	v_fma_f64 v[215:216], v[217:218], v[213:214], v[215:216]
	v_mov_b32_e32 v93, v213
	v_mov_b32_e32 v94, v214
	v_add_f64 v[3:4], v[3:4], -v[215:216]
.LBB117_325:
	s_or_b32 exec_lo, exec_lo, s1
	s_mov_b32 s2, exec_lo
	s_waitcnt_vscnt null, 0x0
	s_barrier
	buffer_gl0_inv
	v_cmpx_eq_u32_e32 36, v0
	s_cbranch_execz .LBB117_332
; %bb.326:
	ds_write2_b64 v255, v[89:90], v[91:92] offset1:1
	ds_write2_b64 v253, v[85:86], v[87:88] offset0:74 offset1:75
	ds_write2_b64 v253, v[81:82], v[83:84] offset0:76 offset1:77
	;; [unrolled: 1-line block ×22, first 2 shown]
	ds_read2_b64 v[213:216], v255 offset1:1
	s_waitcnt lgkmcnt(0)
	v_cmp_neq_f64_e32 vcc_lo, 0, v[213:214]
	v_cmp_neq_f64_e64 s1, 0, v[215:216]
	s_or_b32 s1, vcc_lo, s1
	s_and_b32 exec_lo, exec_lo, s1
	s_cbranch_execz .LBB117_332
; %bb.327:
	v_cmp_ngt_f64_e64 s1, |v[213:214]|, |v[215:216]|
                                        ; implicit-def: $vgpr217_vgpr218
	s_and_saveexec_b32 s3, s1
	s_xor_b32 s1, exec_lo, s3
                                        ; implicit-def: $vgpr219_vgpr220
	s_cbranch_execz .LBB117_329
; %bb.328:
	v_div_scale_f64 v[217:218], null, v[215:216], v[215:216], v[213:214]
	v_div_scale_f64 v[223:224], vcc_lo, v[213:214], v[215:216], v[213:214]
	v_rcp_f64_e32 v[219:220], v[217:218]
	v_fma_f64 v[221:222], -v[217:218], v[219:220], 1.0
	v_fma_f64 v[219:220], v[219:220], v[221:222], v[219:220]
	v_fma_f64 v[221:222], -v[217:218], v[219:220], 1.0
	v_fma_f64 v[219:220], v[219:220], v[221:222], v[219:220]
	v_mul_f64 v[221:222], v[223:224], v[219:220]
	v_fma_f64 v[217:218], -v[217:218], v[221:222], v[223:224]
	v_div_fmas_f64 v[217:218], v[217:218], v[219:220], v[221:222]
	v_div_fixup_f64 v[217:218], v[217:218], v[215:216], v[213:214]
	v_fma_f64 v[213:214], v[213:214], v[217:218], v[215:216]
	v_div_scale_f64 v[215:216], null, v[213:214], v[213:214], 1.0
	v_rcp_f64_e32 v[219:220], v[215:216]
	v_fma_f64 v[221:222], -v[215:216], v[219:220], 1.0
	v_fma_f64 v[219:220], v[219:220], v[221:222], v[219:220]
	v_fma_f64 v[221:222], -v[215:216], v[219:220], 1.0
	v_fma_f64 v[219:220], v[219:220], v[221:222], v[219:220]
	v_div_scale_f64 v[221:222], vcc_lo, 1.0, v[213:214], 1.0
	v_mul_f64 v[223:224], v[221:222], v[219:220]
	v_fma_f64 v[215:216], -v[215:216], v[223:224], v[221:222]
	v_div_fmas_f64 v[215:216], v[215:216], v[219:220], v[223:224]
	v_div_fixup_f64 v[219:220], v[215:216], v[213:214], 1.0
                                        ; implicit-def: $vgpr213_vgpr214
	v_mul_f64 v[217:218], v[217:218], v[219:220]
	v_xor_b32_e32 v220, 0x80000000, v220
.LBB117_329:
	s_andn2_saveexec_b32 s1, s1
	s_cbranch_execz .LBB117_331
; %bb.330:
	v_div_scale_f64 v[217:218], null, v[213:214], v[213:214], v[215:216]
	v_div_scale_f64 v[223:224], vcc_lo, v[215:216], v[213:214], v[215:216]
	v_rcp_f64_e32 v[219:220], v[217:218]
	v_fma_f64 v[221:222], -v[217:218], v[219:220], 1.0
	v_fma_f64 v[219:220], v[219:220], v[221:222], v[219:220]
	v_fma_f64 v[221:222], -v[217:218], v[219:220], 1.0
	v_fma_f64 v[219:220], v[219:220], v[221:222], v[219:220]
	v_mul_f64 v[221:222], v[223:224], v[219:220]
	v_fma_f64 v[217:218], -v[217:218], v[221:222], v[223:224]
	v_div_fmas_f64 v[217:218], v[217:218], v[219:220], v[221:222]
	v_div_fixup_f64 v[219:220], v[217:218], v[213:214], v[215:216]
	v_fma_f64 v[213:214], v[215:216], v[219:220], v[213:214]
	v_div_scale_f64 v[215:216], null, v[213:214], v[213:214], 1.0
	v_rcp_f64_e32 v[217:218], v[215:216]
	v_fma_f64 v[221:222], -v[215:216], v[217:218], 1.0
	v_fma_f64 v[217:218], v[217:218], v[221:222], v[217:218]
	v_fma_f64 v[221:222], -v[215:216], v[217:218], 1.0
	v_fma_f64 v[217:218], v[217:218], v[221:222], v[217:218]
	v_div_scale_f64 v[221:222], vcc_lo, 1.0, v[213:214], 1.0
	v_mul_f64 v[223:224], v[221:222], v[217:218]
	v_fma_f64 v[215:216], -v[215:216], v[223:224], v[221:222]
	v_div_fmas_f64 v[215:216], v[215:216], v[217:218], v[223:224]
	v_div_fixup_f64 v[217:218], v[215:216], v[213:214], 1.0
	v_mul_f64 v[219:220], v[219:220], -v[217:218]
.LBB117_331:
	s_or_b32 exec_lo, exec_lo, s1
	ds_write2_b64 v255, v[217:218], v[219:220] offset1:1
.LBB117_332:
	s_or_b32 exec_lo, exec_lo, s2
	s_waitcnt lgkmcnt(0)
	s_barrier
	buffer_gl0_inv
	ds_read2_b64 v[193:196], v255 offset1:1
	s_mov_b32 s1, exec_lo
	s_waitcnt lgkmcnt(0)
	buffer_store_dword v193, off, s[16:19], 0 offset:1128 ; 4-byte Folded Spill
	buffer_store_dword v194, off, s[16:19], 0 offset:1132 ; 4-byte Folded Spill
	;; [unrolled: 1-line block ×4, first 2 shown]
	v_cmpx_lt_u32_e32 36, v0
	s_cbranch_execz .LBB117_334
; %bb.333:
	s_clause 0x3
	buffer_load_dword v193, off, s[16:19], 0 offset:1128
	buffer_load_dword v194, off, s[16:19], 0 offset:1132
	;; [unrolled: 1-line block ×4, first 2 shown]
	ds_read2_b64 v[215:218], v253 offset0:74 offset1:75
	s_waitcnt vmcnt(0)
	v_mul_f64 v[213:214], v[195:196], v[91:92]
	v_mul_f64 v[91:92], v[193:194], v[91:92]
	v_fma_f64 v[213:214], v[193:194], v[89:90], -v[213:214]
	v_fma_f64 v[91:92], v[195:196], v[89:90], v[91:92]
	s_waitcnt lgkmcnt(0)
	v_mul_f64 v[89:90], v[217:218], v[91:92]
	v_fma_f64 v[89:90], v[215:216], v[213:214], -v[89:90]
	v_mul_f64 v[215:216], v[215:216], v[91:92]
	v_add_f64 v[85:86], v[85:86], -v[89:90]
	v_fma_f64 v[215:216], v[217:218], v[213:214], v[215:216]
	v_add_f64 v[87:88], v[87:88], -v[215:216]
	ds_read2_b64 v[215:218], v253 offset0:76 offset1:77
	s_waitcnt lgkmcnt(0)
	v_mul_f64 v[89:90], v[217:218], v[91:92]
	v_fma_f64 v[89:90], v[215:216], v[213:214], -v[89:90]
	v_mul_f64 v[215:216], v[215:216], v[91:92]
	v_add_f64 v[81:82], v[81:82], -v[89:90]
	v_fma_f64 v[215:216], v[217:218], v[213:214], v[215:216]
	v_add_f64 v[83:84], v[83:84], -v[215:216]
	ds_read2_b64 v[215:218], v253 offset0:78 offset1:79
	;; [unrolled: 8-line block ×21, first 2 shown]
	s_waitcnt lgkmcnt(0)
	v_mul_f64 v[89:90], v[217:218], v[91:92]
	v_fma_f64 v[89:90], v[215:216], v[213:214], -v[89:90]
	v_mul_f64 v[215:216], v[215:216], v[91:92]
	v_add_f64 v[1:2], v[1:2], -v[89:90]
	v_fma_f64 v[215:216], v[217:218], v[213:214], v[215:216]
	v_mov_b32_e32 v89, v213
	v_mov_b32_e32 v90, v214
	v_add_f64 v[3:4], v[3:4], -v[215:216]
.LBB117_334:
	s_or_b32 exec_lo, exec_lo, s1
	s_mov_b32 s2, exec_lo
	s_waitcnt_vscnt null, 0x0
	s_barrier
	buffer_gl0_inv
	v_cmpx_eq_u32_e32 37, v0
	s_cbranch_execz .LBB117_341
; %bb.335:
	ds_write2_b64 v255, v[85:86], v[87:88] offset1:1
	ds_write2_b64 v253, v[81:82], v[83:84] offset0:76 offset1:77
	ds_write2_b64 v253, v[77:78], v[79:80] offset0:78 offset1:79
	;; [unrolled: 1-line block ×21, first 2 shown]
	ds_read2_b64 v[213:216], v255 offset1:1
	s_waitcnt lgkmcnt(0)
	v_cmp_neq_f64_e32 vcc_lo, 0, v[213:214]
	v_cmp_neq_f64_e64 s1, 0, v[215:216]
	s_or_b32 s1, vcc_lo, s1
	s_and_b32 exec_lo, exec_lo, s1
	s_cbranch_execz .LBB117_341
; %bb.336:
	v_cmp_ngt_f64_e64 s1, |v[213:214]|, |v[215:216]|
                                        ; implicit-def: $vgpr217_vgpr218
	s_and_saveexec_b32 s3, s1
	s_xor_b32 s1, exec_lo, s3
                                        ; implicit-def: $vgpr219_vgpr220
	s_cbranch_execz .LBB117_338
; %bb.337:
	v_div_scale_f64 v[217:218], null, v[215:216], v[215:216], v[213:214]
	v_div_scale_f64 v[223:224], vcc_lo, v[213:214], v[215:216], v[213:214]
	v_rcp_f64_e32 v[219:220], v[217:218]
	v_fma_f64 v[221:222], -v[217:218], v[219:220], 1.0
	v_fma_f64 v[219:220], v[219:220], v[221:222], v[219:220]
	v_fma_f64 v[221:222], -v[217:218], v[219:220], 1.0
	v_fma_f64 v[219:220], v[219:220], v[221:222], v[219:220]
	v_mul_f64 v[221:222], v[223:224], v[219:220]
	v_fma_f64 v[217:218], -v[217:218], v[221:222], v[223:224]
	v_div_fmas_f64 v[217:218], v[217:218], v[219:220], v[221:222]
	v_div_fixup_f64 v[217:218], v[217:218], v[215:216], v[213:214]
	v_fma_f64 v[213:214], v[213:214], v[217:218], v[215:216]
	v_div_scale_f64 v[215:216], null, v[213:214], v[213:214], 1.0
	v_rcp_f64_e32 v[219:220], v[215:216]
	v_fma_f64 v[221:222], -v[215:216], v[219:220], 1.0
	v_fma_f64 v[219:220], v[219:220], v[221:222], v[219:220]
	v_fma_f64 v[221:222], -v[215:216], v[219:220], 1.0
	v_fma_f64 v[219:220], v[219:220], v[221:222], v[219:220]
	v_div_scale_f64 v[221:222], vcc_lo, 1.0, v[213:214], 1.0
	v_mul_f64 v[223:224], v[221:222], v[219:220]
	v_fma_f64 v[215:216], -v[215:216], v[223:224], v[221:222]
	v_div_fmas_f64 v[215:216], v[215:216], v[219:220], v[223:224]
	v_div_fixup_f64 v[219:220], v[215:216], v[213:214], 1.0
                                        ; implicit-def: $vgpr213_vgpr214
	v_mul_f64 v[217:218], v[217:218], v[219:220]
	v_xor_b32_e32 v220, 0x80000000, v220
.LBB117_338:
	s_andn2_saveexec_b32 s1, s1
	s_cbranch_execz .LBB117_340
; %bb.339:
	v_div_scale_f64 v[217:218], null, v[213:214], v[213:214], v[215:216]
	v_div_scale_f64 v[223:224], vcc_lo, v[215:216], v[213:214], v[215:216]
	v_rcp_f64_e32 v[219:220], v[217:218]
	v_fma_f64 v[221:222], -v[217:218], v[219:220], 1.0
	v_fma_f64 v[219:220], v[219:220], v[221:222], v[219:220]
	v_fma_f64 v[221:222], -v[217:218], v[219:220], 1.0
	v_fma_f64 v[219:220], v[219:220], v[221:222], v[219:220]
	v_mul_f64 v[221:222], v[223:224], v[219:220]
	v_fma_f64 v[217:218], -v[217:218], v[221:222], v[223:224]
	v_div_fmas_f64 v[217:218], v[217:218], v[219:220], v[221:222]
	v_div_fixup_f64 v[219:220], v[217:218], v[213:214], v[215:216]
	v_fma_f64 v[213:214], v[215:216], v[219:220], v[213:214]
	v_div_scale_f64 v[215:216], null, v[213:214], v[213:214], 1.0
	v_rcp_f64_e32 v[217:218], v[215:216]
	v_fma_f64 v[221:222], -v[215:216], v[217:218], 1.0
	v_fma_f64 v[217:218], v[217:218], v[221:222], v[217:218]
	v_fma_f64 v[221:222], -v[215:216], v[217:218], 1.0
	v_fma_f64 v[217:218], v[217:218], v[221:222], v[217:218]
	v_div_scale_f64 v[221:222], vcc_lo, 1.0, v[213:214], 1.0
	v_mul_f64 v[223:224], v[221:222], v[217:218]
	v_fma_f64 v[215:216], -v[215:216], v[223:224], v[221:222]
	v_div_fmas_f64 v[215:216], v[215:216], v[217:218], v[223:224]
	v_div_fixup_f64 v[217:218], v[215:216], v[213:214], 1.0
	v_mul_f64 v[219:220], v[219:220], -v[217:218]
.LBB117_340:
	s_or_b32 exec_lo, exec_lo, s1
	ds_write2_b64 v255, v[217:218], v[219:220] offset1:1
.LBB117_341:
	s_or_b32 exec_lo, exec_lo, s2
	s_waitcnt lgkmcnt(0)
	s_barrier
	buffer_gl0_inv
	ds_read2_b64 v[193:196], v255 offset1:1
	s_mov_b32 s1, exec_lo
	s_waitcnt lgkmcnt(0)
	buffer_store_dword v193, off, s[16:19], 0 offset:1144 ; 4-byte Folded Spill
	buffer_store_dword v194, off, s[16:19], 0 offset:1148 ; 4-byte Folded Spill
	;; [unrolled: 1-line block ×4, first 2 shown]
	v_cmpx_lt_u32_e32 37, v0
	s_cbranch_execz .LBB117_343
; %bb.342:
	s_clause 0x3
	buffer_load_dword v193, off, s[16:19], 0 offset:1144
	buffer_load_dword v194, off, s[16:19], 0 offset:1148
	;; [unrolled: 1-line block ×4, first 2 shown]
	ds_read2_b64 v[215:218], v253 offset0:76 offset1:77
	s_waitcnt vmcnt(0)
	v_mul_f64 v[213:214], v[195:196], v[87:88]
	v_mul_f64 v[87:88], v[193:194], v[87:88]
	v_fma_f64 v[213:214], v[193:194], v[85:86], -v[213:214]
	v_fma_f64 v[87:88], v[195:196], v[85:86], v[87:88]
	s_waitcnt lgkmcnt(0)
	v_mul_f64 v[85:86], v[217:218], v[87:88]
	v_fma_f64 v[85:86], v[215:216], v[213:214], -v[85:86]
	v_mul_f64 v[215:216], v[215:216], v[87:88]
	v_add_f64 v[81:82], v[81:82], -v[85:86]
	v_fma_f64 v[215:216], v[217:218], v[213:214], v[215:216]
	v_add_f64 v[83:84], v[83:84], -v[215:216]
	ds_read2_b64 v[215:218], v253 offset0:78 offset1:79
	s_waitcnt lgkmcnt(0)
	v_mul_f64 v[85:86], v[217:218], v[87:88]
	v_fma_f64 v[85:86], v[215:216], v[213:214], -v[85:86]
	v_mul_f64 v[215:216], v[215:216], v[87:88]
	v_add_f64 v[77:78], v[77:78], -v[85:86]
	v_fma_f64 v[215:216], v[217:218], v[213:214], v[215:216]
	v_add_f64 v[79:80], v[79:80], -v[215:216]
	ds_read2_b64 v[215:218], v253 offset0:80 offset1:81
	;; [unrolled: 8-line block ×20, first 2 shown]
	s_waitcnt lgkmcnt(0)
	v_mul_f64 v[85:86], v[217:218], v[87:88]
	v_fma_f64 v[85:86], v[215:216], v[213:214], -v[85:86]
	v_mul_f64 v[215:216], v[215:216], v[87:88]
	v_add_f64 v[1:2], v[1:2], -v[85:86]
	v_fma_f64 v[215:216], v[217:218], v[213:214], v[215:216]
	v_mov_b32_e32 v85, v213
	v_mov_b32_e32 v86, v214
	v_add_f64 v[3:4], v[3:4], -v[215:216]
.LBB117_343:
	s_or_b32 exec_lo, exec_lo, s1
	s_mov_b32 s2, exec_lo
	s_waitcnt_vscnt null, 0x0
	s_barrier
	buffer_gl0_inv
	v_cmpx_eq_u32_e32 38, v0
	s_cbranch_execz .LBB117_350
; %bb.344:
	ds_write2_b64 v255, v[81:82], v[83:84] offset1:1
	ds_write2_b64 v253, v[77:78], v[79:80] offset0:78 offset1:79
	ds_write2_b64 v253, v[73:74], v[75:76] offset0:80 offset1:81
	;; [unrolled: 1-line block ×20, first 2 shown]
	ds_read2_b64 v[213:216], v255 offset1:1
	s_waitcnt lgkmcnt(0)
	v_cmp_neq_f64_e32 vcc_lo, 0, v[213:214]
	v_cmp_neq_f64_e64 s1, 0, v[215:216]
	s_or_b32 s1, vcc_lo, s1
	s_and_b32 exec_lo, exec_lo, s1
	s_cbranch_execz .LBB117_350
; %bb.345:
	v_cmp_ngt_f64_e64 s1, |v[213:214]|, |v[215:216]|
                                        ; implicit-def: $vgpr217_vgpr218
	s_and_saveexec_b32 s3, s1
	s_xor_b32 s1, exec_lo, s3
                                        ; implicit-def: $vgpr219_vgpr220
	s_cbranch_execz .LBB117_347
; %bb.346:
	v_div_scale_f64 v[217:218], null, v[215:216], v[215:216], v[213:214]
	v_div_scale_f64 v[223:224], vcc_lo, v[213:214], v[215:216], v[213:214]
	v_rcp_f64_e32 v[219:220], v[217:218]
	v_fma_f64 v[221:222], -v[217:218], v[219:220], 1.0
	v_fma_f64 v[219:220], v[219:220], v[221:222], v[219:220]
	v_fma_f64 v[221:222], -v[217:218], v[219:220], 1.0
	v_fma_f64 v[219:220], v[219:220], v[221:222], v[219:220]
	v_mul_f64 v[221:222], v[223:224], v[219:220]
	v_fma_f64 v[217:218], -v[217:218], v[221:222], v[223:224]
	v_div_fmas_f64 v[217:218], v[217:218], v[219:220], v[221:222]
	v_div_fixup_f64 v[217:218], v[217:218], v[215:216], v[213:214]
	v_fma_f64 v[213:214], v[213:214], v[217:218], v[215:216]
	v_div_scale_f64 v[215:216], null, v[213:214], v[213:214], 1.0
	v_rcp_f64_e32 v[219:220], v[215:216]
	v_fma_f64 v[221:222], -v[215:216], v[219:220], 1.0
	v_fma_f64 v[219:220], v[219:220], v[221:222], v[219:220]
	v_fma_f64 v[221:222], -v[215:216], v[219:220], 1.0
	v_fma_f64 v[219:220], v[219:220], v[221:222], v[219:220]
	v_div_scale_f64 v[221:222], vcc_lo, 1.0, v[213:214], 1.0
	v_mul_f64 v[223:224], v[221:222], v[219:220]
	v_fma_f64 v[215:216], -v[215:216], v[223:224], v[221:222]
	v_div_fmas_f64 v[215:216], v[215:216], v[219:220], v[223:224]
	v_div_fixup_f64 v[219:220], v[215:216], v[213:214], 1.0
                                        ; implicit-def: $vgpr213_vgpr214
	v_mul_f64 v[217:218], v[217:218], v[219:220]
	v_xor_b32_e32 v220, 0x80000000, v220
.LBB117_347:
	s_andn2_saveexec_b32 s1, s1
	s_cbranch_execz .LBB117_349
; %bb.348:
	v_div_scale_f64 v[217:218], null, v[213:214], v[213:214], v[215:216]
	v_div_scale_f64 v[223:224], vcc_lo, v[215:216], v[213:214], v[215:216]
	v_rcp_f64_e32 v[219:220], v[217:218]
	v_fma_f64 v[221:222], -v[217:218], v[219:220], 1.0
	v_fma_f64 v[219:220], v[219:220], v[221:222], v[219:220]
	v_fma_f64 v[221:222], -v[217:218], v[219:220], 1.0
	v_fma_f64 v[219:220], v[219:220], v[221:222], v[219:220]
	v_mul_f64 v[221:222], v[223:224], v[219:220]
	v_fma_f64 v[217:218], -v[217:218], v[221:222], v[223:224]
	v_div_fmas_f64 v[217:218], v[217:218], v[219:220], v[221:222]
	v_div_fixup_f64 v[219:220], v[217:218], v[213:214], v[215:216]
	v_fma_f64 v[213:214], v[215:216], v[219:220], v[213:214]
	v_div_scale_f64 v[215:216], null, v[213:214], v[213:214], 1.0
	v_rcp_f64_e32 v[217:218], v[215:216]
	v_fma_f64 v[221:222], -v[215:216], v[217:218], 1.0
	v_fma_f64 v[217:218], v[217:218], v[221:222], v[217:218]
	v_fma_f64 v[221:222], -v[215:216], v[217:218], 1.0
	v_fma_f64 v[217:218], v[217:218], v[221:222], v[217:218]
	v_div_scale_f64 v[221:222], vcc_lo, 1.0, v[213:214], 1.0
	v_mul_f64 v[223:224], v[221:222], v[217:218]
	v_fma_f64 v[215:216], -v[215:216], v[223:224], v[221:222]
	v_div_fmas_f64 v[215:216], v[215:216], v[217:218], v[223:224]
	v_div_fixup_f64 v[217:218], v[215:216], v[213:214], 1.0
	v_mul_f64 v[219:220], v[219:220], -v[217:218]
.LBB117_349:
	s_or_b32 exec_lo, exec_lo, s1
	ds_write2_b64 v255, v[217:218], v[219:220] offset1:1
.LBB117_350:
	s_or_b32 exec_lo, exec_lo, s2
	s_waitcnt lgkmcnt(0)
	s_barrier
	buffer_gl0_inv
	ds_read2_b64 v[193:196], v255 offset1:1
	s_mov_b32 s1, exec_lo
	s_waitcnt lgkmcnt(0)
	buffer_store_dword v193, off, s[16:19], 0 offset:1160 ; 4-byte Folded Spill
	buffer_store_dword v194, off, s[16:19], 0 offset:1164 ; 4-byte Folded Spill
	;; [unrolled: 1-line block ×4, first 2 shown]
	v_cmpx_lt_u32_e32 38, v0
	s_cbranch_execz .LBB117_352
; %bb.351:
	s_clause 0x3
	buffer_load_dword v193, off, s[16:19], 0 offset:1160
	buffer_load_dword v194, off, s[16:19], 0 offset:1164
	;; [unrolled: 1-line block ×4, first 2 shown]
	ds_read2_b64 v[215:218], v253 offset0:78 offset1:79
	s_waitcnt vmcnt(0)
	v_mul_f64 v[213:214], v[195:196], v[83:84]
	v_mul_f64 v[83:84], v[193:194], v[83:84]
	v_fma_f64 v[213:214], v[193:194], v[81:82], -v[213:214]
	v_fma_f64 v[83:84], v[195:196], v[81:82], v[83:84]
	s_waitcnt lgkmcnt(0)
	v_mul_f64 v[81:82], v[217:218], v[83:84]
	v_fma_f64 v[81:82], v[215:216], v[213:214], -v[81:82]
	v_mul_f64 v[215:216], v[215:216], v[83:84]
	v_add_f64 v[77:78], v[77:78], -v[81:82]
	v_fma_f64 v[215:216], v[217:218], v[213:214], v[215:216]
	v_add_f64 v[79:80], v[79:80], -v[215:216]
	ds_read2_b64 v[215:218], v253 offset0:80 offset1:81
	s_waitcnt lgkmcnt(0)
	v_mul_f64 v[81:82], v[217:218], v[83:84]
	v_fma_f64 v[81:82], v[215:216], v[213:214], -v[81:82]
	v_mul_f64 v[215:216], v[215:216], v[83:84]
	v_add_f64 v[73:74], v[73:74], -v[81:82]
	v_fma_f64 v[215:216], v[217:218], v[213:214], v[215:216]
	v_add_f64 v[75:76], v[75:76], -v[215:216]
	ds_read2_b64 v[215:218], v253 offset0:82 offset1:83
	;; [unrolled: 8-line block ×19, first 2 shown]
	s_waitcnt lgkmcnt(0)
	v_mul_f64 v[81:82], v[217:218], v[83:84]
	v_fma_f64 v[81:82], v[215:216], v[213:214], -v[81:82]
	v_mul_f64 v[215:216], v[215:216], v[83:84]
	v_add_f64 v[1:2], v[1:2], -v[81:82]
	v_fma_f64 v[215:216], v[217:218], v[213:214], v[215:216]
	v_mov_b32_e32 v81, v213
	v_mov_b32_e32 v82, v214
	v_add_f64 v[3:4], v[3:4], -v[215:216]
.LBB117_352:
	s_or_b32 exec_lo, exec_lo, s1
	s_mov_b32 s2, exec_lo
	s_waitcnt_vscnt null, 0x0
	s_barrier
	buffer_gl0_inv
	v_cmpx_eq_u32_e32 39, v0
	s_cbranch_execz .LBB117_359
; %bb.353:
	ds_write2_b64 v255, v[77:78], v[79:80] offset1:1
	ds_write2_b64 v253, v[73:74], v[75:76] offset0:80 offset1:81
	ds_write2_b64 v253, v[69:70], v[71:72] offset0:82 offset1:83
	;; [unrolled: 1-line block ×19, first 2 shown]
	ds_read2_b64 v[213:216], v255 offset1:1
	s_waitcnt lgkmcnt(0)
	v_cmp_neq_f64_e32 vcc_lo, 0, v[213:214]
	v_cmp_neq_f64_e64 s1, 0, v[215:216]
	s_or_b32 s1, vcc_lo, s1
	s_and_b32 exec_lo, exec_lo, s1
	s_cbranch_execz .LBB117_359
; %bb.354:
	v_cmp_ngt_f64_e64 s1, |v[213:214]|, |v[215:216]|
                                        ; implicit-def: $vgpr217_vgpr218
	s_and_saveexec_b32 s3, s1
	s_xor_b32 s1, exec_lo, s3
                                        ; implicit-def: $vgpr219_vgpr220
	s_cbranch_execz .LBB117_356
; %bb.355:
	v_div_scale_f64 v[217:218], null, v[215:216], v[215:216], v[213:214]
	v_div_scale_f64 v[223:224], vcc_lo, v[213:214], v[215:216], v[213:214]
	v_rcp_f64_e32 v[219:220], v[217:218]
	v_fma_f64 v[221:222], -v[217:218], v[219:220], 1.0
	v_fma_f64 v[219:220], v[219:220], v[221:222], v[219:220]
	v_fma_f64 v[221:222], -v[217:218], v[219:220], 1.0
	v_fma_f64 v[219:220], v[219:220], v[221:222], v[219:220]
	v_mul_f64 v[221:222], v[223:224], v[219:220]
	v_fma_f64 v[217:218], -v[217:218], v[221:222], v[223:224]
	v_div_fmas_f64 v[217:218], v[217:218], v[219:220], v[221:222]
	v_div_fixup_f64 v[217:218], v[217:218], v[215:216], v[213:214]
	v_fma_f64 v[213:214], v[213:214], v[217:218], v[215:216]
	v_div_scale_f64 v[215:216], null, v[213:214], v[213:214], 1.0
	v_rcp_f64_e32 v[219:220], v[215:216]
	v_fma_f64 v[221:222], -v[215:216], v[219:220], 1.0
	v_fma_f64 v[219:220], v[219:220], v[221:222], v[219:220]
	v_fma_f64 v[221:222], -v[215:216], v[219:220], 1.0
	v_fma_f64 v[219:220], v[219:220], v[221:222], v[219:220]
	v_div_scale_f64 v[221:222], vcc_lo, 1.0, v[213:214], 1.0
	v_mul_f64 v[223:224], v[221:222], v[219:220]
	v_fma_f64 v[215:216], -v[215:216], v[223:224], v[221:222]
	v_div_fmas_f64 v[215:216], v[215:216], v[219:220], v[223:224]
	v_div_fixup_f64 v[219:220], v[215:216], v[213:214], 1.0
                                        ; implicit-def: $vgpr213_vgpr214
	v_mul_f64 v[217:218], v[217:218], v[219:220]
	v_xor_b32_e32 v220, 0x80000000, v220
.LBB117_356:
	s_andn2_saveexec_b32 s1, s1
	s_cbranch_execz .LBB117_358
; %bb.357:
	v_div_scale_f64 v[217:218], null, v[213:214], v[213:214], v[215:216]
	v_div_scale_f64 v[223:224], vcc_lo, v[215:216], v[213:214], v[215:216]
	v_rcp_f64_e32 v[219:220], v[217:218]
	v_fma_f64 v[221:222], -v[217:218], v[219:220], 1.0
	v_fma_f64 v[219:220], v[219:220], v[221:222], v[219:220]
	v_fma_f64 v[221:222], -v[217:218], v[219:220], 1.0
	v_fma_f64 v[219:220], v[219:220], v[221:222], v[219:220]
	v_mul_f64 v[221:222], v[223:224], v[219:220]
	v_fma_f64 v[217:218], -v[217:218], v[221:222], v[223:224]
	v_div_fmas_f64 v[217:218], v[217:218], v[219:220], v[221:222]
	v_div_fixup_f64 v[219:220], v[217:218], v[213:214], v[215:216]
	v_fma_f64 v[213:214], v[215:216], v[219:220], v[213:214]
	v_div_scale_f64 v[215:216], null, v[213:214], v[213:214], 1.0
	v_rcp_f64_e32 v[217:218], v[215:216]
	v_fma_f64 v[221:222], -v[215:216], v[217:218], 1.0
	v_fma_f64 v[217:218], v[217:218], v[221:222], v[217:218]
	v_fma_f64 v[221:222], -v[215:216], v[217:218], 1.0
	v_fma_f64 v[217:218], v[217:218], v[221:222], v[217:218]
	v_div_scale_f64 v[221:222], vcc_lo, 1.0, v[213:214], 1.0
	v_mul_f64 v[223:224], v[221:222], v[217:218]
	v_fma_f64 v[215:216], -v[215:216], v[223:224], v[221:222]
	v_div_fmas_f64 v[215:216], v[215:216], v[217:218], v[223:224]
	v_div_fixup_f64 v[217:218], v[215:216], v[213:214], 1.0
	v_mul_f64 v[219:220], v[219:220], -v[217:218]
.LBB117_358:
	s_or_b32 exec_lo, exec_lo, s1
	ds_write2_b64 v255, v[217:218], v[219:220] offset1:1
.LBB117_359:
	s_or_b32 exec_lo, exec_lo, s2
	s_waitcnt lgkmcnt(0)
	s_barrier
	buffer_gl0_inv
	ds_read2_b64 v[193:196], v255 offset1:1
	s_mov_b32 s1, exec_lo
	s_waitcnt lgkmcnt(0)
	buffer_store_dword v193, off, s[16:19], 0 offset:1176 ; 4-byte Folded Spill
	buffer_store_dword v194, off, s[16:19], 0 offset:1180 ; 4-byte Folded Spill
	;; [unrolled: 1-line block ×4, first 2 shown]
	v_cmpx_lt_u32_e32 39, v0
	s_cbranch_execz .LBB117_361
; %bb.360:
	s_clause 0x3
	buffer_load_dword v193, off, s[16:19], 0 offset:1176
	buffer_load_dword v194, off, s[16:19], 0 offset:1180
	;; [unrolled: 1-line block ×4, first 2 shown]
	ds_read2_b64 v[215:218], v253 offset0:80 offset1:81
	s_waitcnt vmcnt(0)
	v_mul_f64 v[213:214], v[195:196], v[79:80]
	v_mul_f64 v[79:80], v[193:194], v[79:80]
	v_fma_f64 v[213:214], v[193:194], v[77:78], -v[213:214]
	v_fma_f64 v[79:80], v[195:196], v[77:78], v[79:80]
	s_waitcnt lgkmcnt(0)
	v_mul_f64 v[77:78], v[217:218], v[79:80]
	v_fma_f64 v[77:78], v[215:216], v[213:214], -v[77:78]
	v_mul_f64 v[215:216], v[215:216], v[79:80]
	v_add_f64 v[73:74], v[73:74], -v[77:78]
	v_fma_f64 v[215:216], v[217:218], v[213:214], v[215:216]
	v_add_f64 v[75:76], v[75:76], -v[215:216]
	ds_read2_b64 v[215:218], v253 offset0:82 offset1:83
	s_waitcnt lgkmcnt(0)
	v_mul_f64 v[77:78], v[217:218], v[79:80]
	v_fma_f64 v[77:78], v[215:216], v[213:214], -v[77:78]
	v_mul_f64 v[215:216], v[215:216], v[79:80]
	v_add_f64 v[69:70], v[69:70], -v[77:78]
	v_fma_f64 v[215:216], v[217:218], v[213:214], v[215:216]
	v_add_f64 v[71:72], v[71:72], -v[215:216]
	ds_read2_b64 v[215:218], v253 offset0:84 offset1:85
	;; [unrolled: 8-line block ×18, first 2 shown]
	s_waitcnt lgkmcnt(0)
	v_mul_f64 v[77:78], v[217:218], v[79:80]
	v_fma_f64 v[77:78], v[215:216], v[213:214], -v[77:78]
	v_mul_f64 v[215:216], v[215:216], v[79:80]
	v_add_f64 v[1:2], v[1:2], -v[77:78]
	v_fma_f64 v[215:216], v[217:218], v[213:214], v[215:216]
	v_mov_b32_e32 v77, v213
	v_mov_b32_e32 v78, v214
	v_add_f64 v[3:4], v[3:4], -v[215:216]
.LBB117_361:
	s_or_b32 exec_lo, exec_lo, s1
	s_mov_b32 s2, exec_lo
	s_waitcnt_vscnt null, 0x0
	s_barrier
	buffer_gl0_inv
	v_cmpx_eq_u32_e32 40, v0
	s_cbranch_execz .LBB117_368
; %bb.362:
	ds_write2_b64 v255, v[73:74], v[75:76] offset1:1
	ds_write2_b64 v253, v[69:70], v[71:72] offset0:82 offset1:83
	ds_write2_b64 v253, v[65:66], v[67:68] offset0:84 offset1:85
	;; [unrolled: 1-line block ×18, first 2 shown]
	ds_read2_b64 v[213:216], v255 offset1:1
	s_waitcnt lgkmcnt(0)
	v_cmp_neq_f64_e32 vcc_lo, 0, v[213:214]
	v_cmp_neq_f64_e64 s1, 0, v[215:216]
	s_or_b32 s1, vcc_lo, s1
	s_and_b32 exec_lo, exec_lo, s1
	s_cbranch_execz .LBB117_368
; %bb.363:
	v_cmp_ngt_f64_e64 s1, |v[213:214]|, |v[215:216]|
                                        ; implicit-def: $vgpr217_vgpr218
	s_and_saveexec_b32 s3, s1
	s_xor_b32 s1, exec_lo, s3
                                        ; implicit-def: $vgpr219_vgpr220
	s_cbranch_execz .LBB117_365
; %bb.364:
	v_div_scale_f64 v[217:218], null, v[215:216], v[215:216], v[213:214]
	v_div_scale_f64 v[223:224], vcc_lo, v[213:214], v[215:216], v[213:214]
	v_rcp_f64_e32 v[219:220], v[217:218]
	v_fma_f64 v[221:222], -v[217:218], v[219:220], 1.0
	v_fma_f64 v[219:220], v[219:220], v[221:222], v[219:220]
	v_fma_f64 v[221:222], -v[217:218], v[219:220], 1.0
	v_fma_f64 v[219:220], v[219:220], v[221:222], v[219:220]
	v_mul_f64 v[221:222], v[223:224], v[219:220]
	v_fma_f64 v[217:218], -v[217:218], v[221:222], v[223:224]
	v_div_fmas_f64 v[217:218], v[217:218], v[219:220], v[221:222]
	v_div_fixup_f64 v[217:218], v[217:218], v[215:216], v[213:214]
	v_fma_f64 v[213:214], v[213:214], v[217:218], v[215:216]
	v_div_scale_f64 v[215:216], null, v[213:214], v[213:214], 1.0
	v_rcp_f64_e32 v[219:220], v[215:216]
	v_fma_f64 v[221:222], -v[215:216], v[219:220], 1.0
	v_fma_f64 v[219:220], v[219:220], v[221:222], v[219:220]
	v_fma_f64 v[221:222], -v[215:216], v[219:220], 1.0
	v_fma_f64 v[219:220], v[219:220], v[221:222], v[219:220]
	v_div_scale_f64 v[221:222], vcc_lo, 1.0, v[213:214], 1.0
	v_mul_f64 v[223:224], v[221:222], v[219:220]
	v_fma_f64 v[215:216], -v[215:216], v[223:224], v[221:222]
	v_div_fmas_f64 v[215:216], v[215:216], v[219:220], v[223:224]
	v_div_fixup_f64 v[219:220], v[215:216], v[213:214], 1.0
                                        ; implicit-def: $vgpr213_vgpr214
	v_mul_f64 v[217:218], v[217:218], v[219:220]
	v_xor_b32_e32 v220, 0x80000000, v220
.LBB117_365:
	s_andn2_saveexec_b32 s1, s1
	s_cbranch_execz .LBB117_367
; %bb.366:
	v_div_scale_f64 v[217:218], null, v[213:214], v[213:214], v[215:216]
	v_div_scale_f64 v[223:224], vcc_lo, v[215:216], v[213:214], v[215:216]
	v_rcp_f64_e32 v[219:220], v[217:218]
	v_fma_f64 v[221:222], -v[217:218], v[219:220], 1.0
	v_fma_f64 v[219:220], v[219:220], v[221:222], v[219:220]
	v_fma_f64 v[221:222], -v[217:218], v[219:220], 1.0
	v_fma_f64 v[219:220], v[219:220], v[221:222], v[219:220]
	v_mul_f64 v[221:222], v[223:224], v[219:220]
	v_fma_f64 v[217:218], -v[217:218], v[221:222], v[223:224]
	v_div_fmas_f64 v[217:218], v[217:218], v[219:220], v[221:222]
	v_div_fixup_f64 v[219:220], v[217:218], v[213:214], v[215:216]
	v_fma_f64 v[213:214], v[215:216], v[219:220], v[213:214]
	v_div_scale_f64 v[215:216], null, v[213:214], v[213:214], 1.0
	v_rcp_f64_e32 v[217:218], v[215:216]
	v_fma_f64 v[221:222], -v[215:216], v[217:218], 1.0
	v_fma_f64 v[217:218], v[217:218], v[221:222], v[217:218]
	v_fma_f64 v[221:222], -v[215:216], v[217:218], 1.0
	v_fma_f64 v[217:218], v[217:218], v[221:222], v[217:218]
	v_div_scale_f64 v[221:222], vcc_lo, 1.0, v[213:214], 1.0
	v_mul_f64 v[223:224], v[221:222], v[217:218]
	v_fma_f64 v[215:216], -v[215:216], v[223:224], v[221:222]
	v_div_fmas_f64 v[215:216], v[215:216], v[217:218], v[223:224]
	v_div_fixup_f64 v[217:218], v[215:216], v[213:214], 1.0
	v_mul_f64 v[219:220], v[219:220], -v[217:218]
.LBB117_367:
	s_or_b32 exec_lo, exec_lo, s1
	ds_write2_b64 v255, v[217:218], v[219:220] offset1:1
.LBB117_368:
	s_or_b32 exec_lo, exec_lo, s2
	s_waitcnt lgkmcnt(0)
	s_barrier
	buffer_gl0_inv
	ds_read2_b64 v[193:196], v255 offset1:1
	s_mov_b32 s1, exec_lo
	s_waitcnt lgkmcnt(0)
	buffer_store_dword v193, off, s[16:19], 0 offset:1192 ; 4-byte Folded Spill
	buffer_store_dword v194, off, s[16:19], 0 offset:1196 ; 4-byte Folded Spill
	buffer_store_dword v195, off, s[16:19], 0 offset:1200 ; 4-byte Folded Spill
	buffer_store_dword v196, off, s[16:19], 0 offset:1204 ; 4-byte Folded Spill
	v_cmpx_lt_u32_e32 40, v0
	s_cbranch_execz .LBB117_370
; %bb.369:
	s_clause 0x3
	buffer_load_dword v193, off, s[16:19], 0 offset:1192
	buffer_load_dword v194, off, s[16:19], 0 offset:1196
	;; [unrolled: 1-line block ×4, first 2 shown]
	ds_read2_b64 v[215:218], v253 offset0:82 offset1:83
	s_waitcnt vmcnt(0)
	v_mul_f64 v[213:214], v[195:196], v[75:76]
	v_mul_f64 v[75:76], v[193:194], v[75:76]
	v_fma_f64 v[213:214], v[193:194], v[73:74], -v[213:214]
	v_fma_f64 v[75:76], v[195:196], v[73:74], v[75:76]
	s_waitcnt lgkmcnt(0)
	v_mul_f64 v[73:74], v[217:218], v[75:76]
	v_fma_f64 v[73:74], v[215:216], v[213:214], -v[73:74]
	v_mul_f64 v[215:216], v[215:216], v[75:76]
	v_add_f64 v[69:70], v[69:70], -v[73:74]
	v_fma_f64 v[215:216], v[217:218], v[213:214], v[215:216]
	v_add_f64 v[71:72], v[71:72], -v[215:216]
	ds_read2_b64 v[215:218], v253 offset0:84 offset1:85
	s_waitcnt lgkmcnt(0)
	v_mul_f64 v[73:74], v[217:218], v[75:76]
	v_fma_f64 v[73:74], v[215:216], v[213:214], -v[73:74]
	v_mul_f64 v[215:216], v[215:216], v[75:76]
	v_add_f64 v[65:66], v[65:66], -v[73:74]
	v_fma_f64 v[215:216], v[217:218], v[213:214], v[215:216]
	v_add_f64 v[67:68], v[67:68], -v[215:216]
	ds_read2_b64 v[215:218], v253 offset0:86 offset1:87
	;; [unrolled: 8-line block ×17, first 2 shown]
	s_waitcnt lgkmcnt(0)
	v_mul_f64 v[73:74], v[217:218], v[75:76]
	v_fma_f64 v[73:74], v[215:216], v[213:214], -v[73:74]
	v_mul_f64 v[215:216], v[215:216], v[75:76]
	v_add_f64 v[1:2], v[1:2], -v[73:74]
	v_fma_f64 v[215:216], v[217:218], v[213:214], v[215:216]
	v_mov_b32_e32 v73, v213
	v_mov_b32_e32 v74, v214
	v_add_f64 v[3:4], v[3:4], -v[215:216]
.LBB117_370:
	s_or_b32 exec_lo, exec_lo, s1
	s_mov_b32 s2, exec_lo
	s_waitcnt_vscnt null, 0x0
	s_barrier
	buffer_gl0_inv
	v_cmpx_eq_u32_e32 41, v0
	s_cbranch_execz .LBB117_377
; %bb.371:
	ds_write2_b64 v255, v[69:70], v[71:72] offset1:1
	ds_write2_b64 v253, v[65:66], v[67:68] offset0:84 offset1:85
	ds_write2_b64 v253, v[61:62], v[63:64] offset0:86 offset1:87
	ds_write2_b64 v253, v[57:58], v[59:60] offset0:88 offset1:89
	ds_write2_b64 v253, v[53:54], v[55:56] offset0:90 offset1:91
	ds_write2_b64 v253, v[49:50], v[51:52] offset0:92 offset1:93
	ds_write2_b64 v253, v[45:46], v[47:48] offset0:94 offset1:95
	ds_write2_b64 v253, v[41:42], v[43:44] offset0:96 offset1:97
	ds_write2_b64 v253, v[37:38], v[39:40] offset0:98 offset1:99
	ds_write2_b64 v253, v[33:34], v[35:36] offset0:100 offset1:101
	ds_write2_b64 v253, v[29:30], v[31:32] offset0:102 offset1:103
	ds_write2_b64 v253, v[25:26], v[27:28] offset0:104 offset1:105
	ds_write2_b64 v253, v[21:22], v[23:24] offset0:106 offset1:107
	ds_write2_b64 v253, v[17:18], v[19:20] offset0:108 offset1:109
	ds_write2_b64 v253, v[13:14], v[15:16] offset0:110 offset1:111
	ds_write2_b64 v253, v[9:10], v[11:12] offset0:112 offset1:113
	ds_write2_b64 v253, v[5:6], v[7:8] offset0:114 offset1:115
	ds_write2_b64 v253, v[1:2], v[3:4] offset0:116 offset1:117
	ds_read2_b64 v[213:216], v255 offset1:1
	s_waitcnt lgkmcnt(0)
	v_cmp_neq_f64_e32 vcc_lo, 0, v[213:214]
	v_cmp_neq_f64_e64 s1, 0, v[215:216]
	s_or_b32 s1, vcc_lo, s1
	s_and_b32 exec_lo, exec_lo, s1
	s_cbranch_execz .LBB117_377
; %bb.372:
	v_cmp_ngt_f64_e64 s1, |v[213:214]|, |v[215:216]|
                                        ; implicit-def: $vgpr217_vgpr218
	s_and_saveexec_b32 s3, s1
	s_xor_b32 s1, exec_lo, s3
                                        ; implicit-def: $vgpr219_vgpr220
	s_cbranch_execz .LBB117_374
; %bb.373:
	v_div_scale_f64 v[217:218], null, v[215:216], v[215:216], v[213:214]
	v_div_scale_f64 v[223:224], vcc_lo, v[213:214], v[215:216], v[213:214]
	v_rcp_f64_e32 v[219:220], v[217:218]
	v_fma_f64 v[221:222], -v[217:218], v[219:220], 1.0
	v_fma_f64 v[219:220], v[219:220], v[221:222], v[219:220]
	v_fma_f64 v[221:222], -v[217:218], v[219:220], 1.0
	v_fma_f64 v[219:220], v[219:220], v[221:222], v[219:220]
	v_mul_f64 v[221:222], v[223:224], v[219:220]
	v_fma_f64 v[217:218], -v[217:218], v[221:222], v[223:224]
	v_div_fmas_f64 v[217:218], v[217:218], v[219:220], v[221:222]
	v_div_fixup_f64 v[217:218], v[217:218], v[215:216], v[213:214]
	v_fma_f64 v[213:214], v[213:214], v[217:218], v[215:216]
	v_div_scale_f64 v[215:216], null, v[213:214], v[213:214], 1.0
	v_rcp_f64_e32 v[219:220], v[215:216]
	v_fma_f64 v[221:222], -v[215:216], v[219:220], 1.0
	v_fma_f64 v[219:220], v[219:220], v[221:222], v[219:220]
	v_fma_f64 v[221:222], -v[215:216], v[219:220], 1.0
	v_fma_f64 v[219:220], v[219:220], v[221:222], v[219:220]
	v_div_scale_f64 v[221:222], vcc_lo, 1.0, v[213:214], 1.0
	v_mul_f64 v[223:224], v[221:222], v[219:220]
	v_fma_f64 v[215:216], -v[215:216], v[223:224], v[221:222]
	v_div_fmas_f64 v[215:216], v[215:216], v[219:220], v[223:224]
	v_div_fixup_f64 v[219:220], v[215:216], v[213:214], 1.0
                                        ; implicit-def: $vgpr213_vgpr214
	v_mul_f64 v[217:218], v[217:218], v[219:220]
	v_xor_b32_e32 v220, 0x80000000, v220
.LBB117_374:
	s_andn2_saveexec_b32 s1, s1
	s_cbranch_execz .LBB117_376
; %bb.375:
	v_div_scale_f64 v[217:218], null, v[213:214], v[213:214], v[215:216]
	v_div_scale_f64 v[223:224], vcc_lo, v[215:216], v[213:214], v[215:216]
	v_rcp_f64_e32 v[219:220], v[217:218]
	v_fma_f64 v[221:222], -v[217:218], v[219:220], 1.0
	v_fma_f64 v[219:220], v[219:220], v[221:222], v[219:220]
	v_fma_f64 v[221:222], -v[217:218], v[219:220], 1.0
	v_fma_f64 v[219:220], v[219:220], v[221:222], v[219:220]
	v_mul_f64 v[221:222], v[223:224], v[219:220]
	v_fma_f64 v[217:218], -v[217:218], v[221:222], v[223:224]
	v_div_fmas_f64 v[217:218], v[217:218], v[219:220], v[221:222]
	v_div_fixup_f64 v[219:220], v[217:218], v[213:214], v[215:216]
	v_fma_f64 v[213:214], v[215:216], v[219:220], v[213:214]
	v_div_scale_f64 v[215:216], null, v[213:214], v[213:214], 1.0
	v_rcp_f64_e32 v[217:218], v[215:216]
	v_fma_f64 v[221:222], -v[215:216], v[217:218], 1.0
	v_fma_f64 v[217:218], v[217:218], v[221:222], v[217:218]
	v_fma_f64 v[221:222], -v[215:216], v[217:218], 1.0
	v_fma_f64 v[217:218], v[217:218], v[221:222], v[217:218]
	v_div_scale_f64 v[221:222], vcc_lo, 1.0, v[213:214], 1.0
	v_mul_f64 v[223:224], v[221:222], v[217:218]
	v_fma_f64 v[215:216], -v[215:216], v[223:224], v[221:222]
	v_div_fmas_f64 v[215:216], v[215:216], v[217:218], v[223:224]
	v_div_fixup_f64 v[217:218], v[215:216], v[213:214], 1.0
	v_mul_f64 v[219:220], v[219:220], -v[217:218]
.LBB117_376:
	s_or_b32 exec_lo, exec_lo, s1
	ds_write2_b64 v255, v[217:218], v[219:220] offset1:1
.LBB117_377:
	s_or_b32 exec_lo, exec_lo, s2
	s_waitcnt lgkmcnt(0)
	s_barrier
	buffer_gl0_inv
	ds_read2_b64 v[193:196], v255 offset1:1
	s_mov_b32 s1, exec_lo
	s_waitcnt lgkmcnt(0)
	buffer_store_dword v193, off, s[16:19], 0 offset:1208 ; 4-byte Folded Spill
	buffer_store_dword v194, off, s[16:19], 0 offset:1212 ; 4-byte Folded Spill
	;; [unrolled: 1-line block ×4, first 2 shown]
	v_cmpx_lt_u32_e32 41, v0
	s_cbranch_execz .LBB117_379
; %bb.378:
	s_clause 0x3
	buffer_load_dword v193, off, s[16:19], 0 offset:1208
	buffer_load_dword v194, off, s[16:19], 0 offset:1212
	;; [unrolled: 1-line block ×4, first 2 shown]
	ds_read2_b64 v[215:218], v253 offset0:84 offset1:85
	s_waitcnt vmcnt(0)
	v_mul_f64 v[213:214], v[195:196], v[71:72]
	v_mul_f64 v[71:72], v[193:194], v[71:72]
	v_fma_f64 v[213:214], v[193:194], v[69:70], -v[213:214]
	v_fma_f64 v[71:72], v[195:196], v[69:70], v[71:72]
	s_waitcnt lgkmcnt(0)
	v_mul_f64 v[69:70], v[217:218], v[71:72]
	v_fma_f64 v[69:70], v[215:216], v[213:214], -v[69:70]
	v_mul_f64 v[215:216], v[215:216], v[71:72]
	v_add_f64 v[65:66], v[65:66], -v[69:70]
	v_fma_f64 v[215:216], v[217:218], v[213:214], v[215:216]
	v_add_f64 v[67:68], v[67:68], -v[215:216]
	ds_read2_b64 v[215:218], v253 offset0:86 offset1:87
	s_waitcnt lgkmcnt(0)
	v_mul_f64 v[69:70], v[217:218], v[71:72]
	v_fma_f64 v[69:70], v[215:216], v[213:214], -v[69:70]
	v_mul_f64 v[215:216], v[215:216], v[71:72]
	v_add_f64 v[61:62], v[61:62], -v[69:70]
	v_fma_f64 v[215:216], v[217:218], v[213:214], v[215:216]
	v_add_f64 v[63:64], v[63:64], -v[215:216]
	ds_read2_b64 v[215:218], v253 offset0:88 offset1:89
	s_waitcnt lgkmcnt(0)
	v_mul_f64 v[69:70], v[217:218], v[71:72]
	v_fma_f64 v[69:70], v[215:216], v[213:214], -v[69:70]
	v_mul_f64 v[215:216], v[215:216], v[71:72]
	v_add_f64 v[57:58], v[57:58], -v[69:70]
	v_fma_f64 v[215:216], v[217:218], v[213:214], v[215:216]
	v_add_f64 v[59:60], v[59:60], -v[215:216]
	ds_read2_b64 v[215:218], v253 offset0:90 offset1:91
	s_waitcnt lgkmcnt(0)
	v_mul_f64 v[69:70], v[217:218], v[71:72]
	v_fma_f64 v[69:70], v[215:216], v[213:214], -v[69:70]
	v_mul_f64 v[215:216], v[215:216], v[71:72]
	v_add_f64 v[53:54], v[53:54], -v[69:70]
	v_fma_f64 v[215:216], v[217:218], v[213:214], v[215:216]
	v_add_f64 v[55:56], v[55:56], -v[215:216]
	ds_read2_b64 v[215:218], v253 offset0:92 offset1:93
	s_waitcnt lgkmcnt(0)
	v_mul_f64 v[69:70], v[217:218], v[71:72]
	v_fma_f64 v[69:70], v[215:216], v[213:214], -v[69:70]
	v_mul_f64 v[215:216], v[215:216], v[71:72]
	v_add_f64 v[49:50], v[49:50], -v[69:70]
	v_fma_f64 v[215:216], v[217:218], v[213:214], v[215:216]
	v_add_f64 v[51:52], v[51:52], -v[215:216]
	ds_read2_b64 v[215:218], v253 offset0:94 offset1:95
	s_waitcnt lgkmcnt(0)
	v_mul_f64 v[69:70], v[217:218], v[71:72]
	v_fma_f64 v[69:70], v[215:216], v[213:214], -v[69:70]
	v_mul_f64 v[215:216], v[215:216], v[71:72]
	v_add_f64 v[45:46], v[45:46], -v[69:70]
	v_fma_f64 v[215:216], v[217:218], v[213:214], v[215:216]
	v_add_f64 v[47:48], v[47:48], -v[215:216]
	ds_read2_b64 v[215:218], v253 offset0:96 offset1:97
	s_waitcnt lgkmcnt(0)
	v_mul_f64 v[69:70], v[217:218], v[71:72]
	v_fma_f64 v[69:70], v[215:216], v[213:214], -v[69:70]
	v_mul_f64 v[215:216], v[215:216], v[71:72]
	v_add_f64 v[41:42], v[41:42], -v[69:70]
	v_fma_f64 v[215:216], v[217:218], v[213:214], v[215:216]
	v_add_f64 v[43:44], v[43:44], -v[215:216]
	ds_read2_b64 v[215:218], v253 offset0:98 offset1:99
	s_waitcnt lgkmcnt(0)
	v_mul_f64 v[69:70], v[217:218], v[71:72]
	v_fma_f64 v[69:70], v[215:216], v[213:214], -v[69:70]
	v_mul_f64 v[215:216], v[215:216], v[71:72]
	v_add_f64 v[37:38], v[37:38], -v[69:70]
	v_fma_f64 v[215:216], v[217:218], v[213:214], v[215:216]
	v_add_f64 v[39:40], v[39:40], -v[215:216]
	ds_read2_b64 v[215:218], v253 offset0:100 offset1:101
	s_waitcnt lgkmcnt(0)
	v_mul_f64 v[69:70], v[217:218], v[71:72]
	v_fma_f64 v[69:70], v[215:216], v[213:214], -v[69:70]
	v_mul_f64 v[215:216], v[215:216], v[71:72]
	v_add_f64 v[33:34], v[33:34], -v[69:70]
	v_fma_f64 v[215:216], v[217:218], v[213:214], v[215:216]
	v_add_f64 v[35:36], v[35:36], -v[215:216]
	ds_read2_b64 v[215:218], v253 offset0:102 offset1:103
	s_waitcnt lgkmcnt(0)
	v_mul_f64 v[69:70], v[217:218], v[71:72]
	v_fma_f64 v[69:70], v[215:216], v[213:214], -v[69:70]
	v_mul_f64 v[215:216], v[215:216], v[71:72]
	v_add_f64 v[29:30], v[29:30], -v[69:70]
	v_fma_f64 v[215:216], v[217:218], v[213:214], v[215:216]
	v_add_f64 v[31:32], v[31:32], -v[215:216]
	ds_read2_b64 v[215:218], v253 offset0:104 offset1:105
	s_waitcnt lgkmcnt(0)
	v_mul_f64 v[69:70], v[217:218], v[71:72]
	v_fma_f64 v[69:70], v[215:216], v[213:214], -v[69:70]
	v_mul_f64 v[215:216], v[215:216], v[71:72]
	v_add_f64 v[25:26], v[25:26], -v[69:70]
	v_fma_f64 v[215:216], v[217:218], v[213:214], v[215:216]
	v_add_f64 v[27:28], v[27:28], -v[215:216]
	ds_read2_b64 v[215:218], v253 offset0:106 offset1:107
	s_waitcnt lgkmcnt(0)
	v_mul_f64 v[69:70], v[217:218], v[71:72]
	v_fma_f64 v[69:70], v[215:216], v[213:214], -v[69:70]
	v_mul_f64 v[215:216], v[215:216], v[71:72]
	v_add_f64 v[21:22], v[21:22], -v[69:70]
	v_fma_f64 v[215:216], v[217:218], v[213:214], v[215:216]
	v_add_f64 v[23:24], v[23:24], -v[215:216]
	ds_read2_b64 v[215:218], v253 offset0:108 offset1:109
	s_waitcnt lgkmcnt(0)
	v_mul_f64 v[69:70], v[217:218], v[71:72]
	v_fma_f64 v[69:70], v[215:216], v[213:214], -v[69:70]
	v_mul_f64 v[215:216], v[215:216], v[71:72]
	v_add_f64 v[17:18], v[17:18], -v[69:70]
	v_fma_f64 v[215:216], v[217:218], v[213:214], v[215:216]
	v_add_f64 v[19:20], v[19:20], -v[215:216]
	ds_read2_b64 v[215:218], v253 offset0:110 offset1:111
	s_waitcnt lgkmcnt(0)
	v_mul_f64 v[69:70], v[217:218], v[71:72]
	v_fma_f64 v[69:70], v[215:216], v[213:214], -v[69:70]
	v_mul_f64 v[215:216], v[215:216], v[71:72]
	v_add_f64 v[13:14], v[13:14], -v[69:70]
	v_fma_f64 v[215:216], v[217:218], v[213:214], v[215:216]
	v_add_f64 v[15:16], v[15:16], -v[215:216]
	ds_read2_b64 v[215:218], v253 offset0:112 offset1:113
	s_waitcnt lgkmcnt(0)
	v_mul_f64 v[69:70], v[217:218], v[71:72]
	v_fma_f64 v[69:70], v[215:216], v[213:214], -v[69:70]
	v_mul_f64 v[215:216], v[215:216], v[71:72]
	v_add_f64 v[9:10], v[9:10], -v[69:70]
	v_fma_f64 v[215:216], v[217:218], v[213:214], v[215:216]
	v_add_f64 v[11:12], v[11:12], -v[215:216]
	ds_read2_b64 v[215:218], v253 offset0:114 offset1:115
	s_waitcnt lgkmcnt(0)
	v_mul_f64 v[69:70], v[217:218], v[71:72]
	v_fma_f64 v[69:70], v[215:216], v[213:214], -v[69:70]
	v_mul_f64 v[215:216], v[215:216], v[71:72]
	v_add_f64 v[5:6], v[5:6], -v[69:70]
	v_fma_f64 v[215:216], v[217:218], v[213:214], v[215:216]
	v_add_f64 v[7:8], v[7:8], -v[215:216]
	ds_read2_b64 v[215:218], v253 offset0:116 offset1:117
	s_waitcnt lgkmcnt(0)
	v_mul_f64 v[69:70], v[217:218], v[71:72]
	v_fma_f64 v[69:70], v[215:216], v[213:214], -v[69:70]
	v_mul_f64 v[215:216], v[215:216], v[71:72]
	v_add_f64 v[1:2], v[1:2], -v[69:70]
	v_fma_f64 v[215:216], v[217:218], v[213:214], v[215:216]
	v_mov_b32_e32 v69, v213
	v_mov_b32_e32 v70, v214
	v_add_f64 v[3:4], v[3:4], -v[215:216]
.LBB117_379:
	s_or_b32 exec_lo, exec_lo, s1
	s_mov_b32 s2, exec_lo
	s_waitcnt_vscnt null, 0x0
	s_barrier
	buffer_gl0_inv
	v_cmpx_eq_u32_e32 42, v0
	s_cbranch_execz .LBB117_386
; %bb.380:
	ds_write2_b64 v255, v[65:66], v[67:68] offset1:1
	ds_write2_b64 v253, v[61:62], v[63:64] offset0:86 offset1:87
	ds_write2_b64 v253, v[57:58], v[59:60] offset0:88 offset1:89
	;; [unrolled: 1-line block ×16, first 2 shown]
	ds_read2_b64 v[213:216], v255 offset1:1
	s_waitcnt lgkmcnt(0)
	v_cmp_neq_f64_e32 vcc_lo, 0, v[213:214]
	v_cmp_neq_f64_e64 s1, 0, v[215:216]
	s_or_b32 s1, vcc_lo, s1
	s_and_b32 exec_lo, exec_lo, s1
	s_cbranch_execz .LBB117_386
; %bb.381:
	v_cmp_ngt_f64_e64 s1, |v[213:214]|, |v[215:216]|
                                        ; implicit-def: $vgpr217_vgpr218
	s_and_saveexec_b32 s3, s1
	s_xor_b32 s1, exec_lo, s3
                                        ; implicit-def: $vgpr219_vgpr220
	s_cbranch_execz .LBB117_383
; %bb.382:
	v_div_scale_f64 v[217:218], null, v[215:216], v[215:216], v[213:214]
	v_div_scale_f64 v[223:224], vcc_lo, v[213:214], v[215:216], v[213:214]
	v_rcp_f64_e32 v[219:220], v[217:218]
	v_fma_f64 v[221:222], -v[217:218], v[219:220], 1.0
	v_fma_f64 v[219:220], v[219:220], v[221:222], v[219:220]
	v_fma_f64 v[221:222], -v[217:218], v[219:220], 1.0
	v_fma_f64 v[219:220], v[219:220], v[221:222], v[219:220]
	v_mul_f64 v[221:222], v[223:224], v[219:220]
	v_fma_f64 v[217:218], -v[217:218], v[221:222], v[223:224]
	v_div_fmas_f64 v[217:218], v[217:218], v[219:220], v[221:222]
	v_div_fixup_f64 v[217:218], v[217:218], v[215:216], v[213:214]
	v_fma_f64 v[213:214], v[213:214], v[217:218], v[215:216]
	v_div_scale_f64 v[215:216], null, v[213:214], v[213:214], 1.0
	v_rcp_f64_e32 v[219:220], v[215:216]
	v_fma_f64 v[221:222], -v[215:216], v[219:220], 1.0
	v_fma_f64 v[219:220], v[219:220], v[221:222], v[219:220]
	v_fma_f64 v[221:222], -v[215:216], v[219:220], 1.0
	v_fma_f64 v[219:220], v[219:220], v[221:222], v[219:220]
	v_div_scale_f64 v[221:222], vcc_lo, 1.0, v[213:214], 1.0
	v_mul_f64 v[223:224], v[221:222], v[219:220]
	v_fma_f64 v[215:216], -v[215:216], v[223:224], v[221:222]
	v_div_fmas_f64 v[215:216], v[215:216], v[219:220], v[223:224]
	v_div_fixup_f64 v[219:220], v[215:216], v[213:214], 1.0
                                        ; implicit-def: $vgpr213_vgpr214
	v_mul_f64 v[217:218], v[217:218], v[219:220]
	v_xor_b32_e32 v220, 0x80000000, v220
.LBB117_383:
	s_andn2_saveexec_b32 s1, s1
	s_cbranch_execz .LBB117_385
; %bb.384:
	v_div_scale_f64 v[217:218], null, v[213:214], v[213:214], v[215:216]
	v_div_scale_f64 v[223:224], vcc_lo, v[215:216], v[213:214], v[215:216]
	v_rcp_f64_e32 v[219:220], v[217:218]
	v_fma_f64 v[221:222], -v[217:218], v[219:220], 1.0
	v_fma_f64 v[219:220], v[219:220], v[221:222], v[219:220]
	v_fma_f64 v[221:222], -v[217:218], v[219:220], 1.0
	v_fma_f64 v[219:220], v[219:220], v[221:222], v[219:220]
	v_mul_f64 v[221:222], v[223:224], v[219:220]
	v_fma_f64 v[217:218], -v[217:218], v[221:222], v[223:224]
	v_div_fmas_f64 v[217:218], v[217:218], v[219:220], v[221:222]
	v_div_fixup_f64 v[219:220], v[217:218], v[213:214], v[215:216]
	v_fma_f64 v[213:214], v[215:216], v[219:220], v[213:214]
	v_div_scale_f64 v[215:216], null, v[213:214], v[213:214], 1.0
	v_rcp_f64_e32 v[217:218], v[215:216]
	v_fma_f64 v[221:222], -v[215:216], v[217:218], 1.0
	v_fma_f64 v[217:218], v[217:218], v[221:222], v[217:218]
	v_fma_f64 v[221:222], -v[215:216], v[217:218], 1.0
	v_fma_f64 v[217:218], v[217:218], v[221:222], v[217:218]
	v_div_scale_f64 v[221:222], vcc_lo, 1.0, v[213:214], 1.0
	v_mul_f64 v[223:224], v[221:222], v[217:218]
	v_fma_f64 v[215:216], -v[215:216], v[223:224], v[221:222]
	v_div_fmas_f64 v[215:216], v[215:216], v[217:218], v[223:224]
	v_div_fixup_f64 v[217:218], v[215:216], v[213:214], 1.0
	v_mul_f64 v[219:220], v[219:220], -v[217:218]
.LBB117_385:
	s_or_b32 exec_lo, exec_lo, s1
	ds_write2_b64 v255, v[217:218], v[219:220] offset1:1
.LBB117_386:
	s_or_b32 exec_lo, exec_lo, s2
	s_waitcnt lgkmcnt(0)
	s_barrier
	buffer_gl0_inv
	ds_read2_b64 v[193:196], v255 offset1:1
	s_mov_b32 s1, exec_lo
	s_waitcnt lgkmcnt(0)
	buffer_store_dword v193, off, s[16:19], 0 offset:1224 ; 4-byte Folded Spill
	buffer_store_dword v194, off, s[16:19], 0 offset:1228 ; 4-byte Folded Spill
	;; [unrolled: 1-line block ×4, first 2 shown]
	v_cmpx_lt_u32_e32 42, v0
	s_cbranch_execz .LBB117_388
; %bb.387:
	s_clause 0x3
	buffer_load_dword v193, off, s[16:19], 0 offset:1224
	buffer_load_dword v194, off, s[16:19], 0 offset:1228
	;; [unrolled: 1-line block ×4, first 2 shown]
	ds_read2_b64 v[215:218], v253 offset0:86 offset1:87
	s_waitcnt vmcnt(2)
	v_mul_f64 v[213:214], v[193:194], v[67:68]
	s_waitcnt vmcnt(0)
	v_mul_f64 v[67:68], v[195:196], v[67:68]
	v_fma_f64 v[213:214], v[195:196], v[65:66], v[213:214]
	v_fma_f64 v[65:66], v[193:194], v[65:66], -v[67:68]
	s_waitcnt lgkmcnt(0)
	v_mul_f64 v[67:68], v[217:218], v[213:214]
	v_fma_f64 v[67:68], v[215:216], v[65:66], -v[67:68]
	v_mul_f64 v[215:216], v[215:216], v[213:214]
	v_add_f64 v[61:62], v[61:62], -v[67:68]
	v_fma_f64 v[215:216], v[217:218], v[65:66], v[215:216]
	v_add_f64 v[63:64], v[63:64], -v[215:216]
	ds_read2_b64 v[215:218], v253 offset0:88 offset1:89
	s_waitcnt lgkmcnt(0)
	v_mul_f64 v[67:68], v[217:218], v[213:214]
	v_fma_f64 v[67:68], v[215:216], v[65:66], -v[67:68]
	v_mul_f64 v[215:216], v[215:216], v[213:214]
	v_add_f64 v[57:58], v[57:58], -v[67:68]
	v_fma_f64 v[215:216], v[217:218], v[65:66], v[215:216]
	v_add_f64 v[59:60], v[59:60], -v[215:216]
	ds_read2_b64 v[215:218], v253 offset0:90 offset1:91
	;; [unrolled: 8-line block ×15, first 2 shown]
	s_waitcnt lgkmcnt(0)
	v_mul_f64 v[67:68], v[217:218], v[213:214]
	v_fma_f64 v[67:68], v[215:216], v[65:66], -v[67:68]
	v_mul_f64 v[215:216], v[215:216], v[213:214]
	v_add_f64 v[1:2], v[1:2], -v[67:68]
	v_fma_f64 v[215:216], v[217:218], v[65:66], v[215:216]
	v_mov_b32_e32 v67, v213
	v_mov_b32_e32 v68, v214
	v_add_f64 v[3:4], v[3:4], -v[215:216]
.LBB117_388:
	s_or_b32 exec_lo, exec_lo, s1
	s_mov_b32 s2, exec_lo
	s_waitcnt_vscnt null, 0x0
	s_barrier
	buffer_gl0_inv
	v_cmpx_eq_u32_e32 43, v0
	s_cbranch_execz .LBB117_395
; %bb.389:
	ds_write2_b64 v255, v[61:62], v[63:64] offset1:1
	ds_write2_b64 v253, v[57:58], v[59:60] offset0:88 offset1:89
	ds_write2_b64 v253, v[53:54], v[55:56] offset0:90 offset1:91
	;; [unrolled: 1-line block ×15, first 2 shown]
	ds_read2_b64 v[213:216], v255 offset1:1
	s_waitcnt lgkmcnt(0)
	v_cmp_neq_f64_e32 vcc_lo, 0, v[213:214]
	v_cmp_neq_f64_e64 s1, 0, v[215:216]
	s_or_b32 s1, vcc_lo, s1
	s_and_b32 exec_lo, exec_lo, s1
	s_cbranch_execz .LBB117_395
; %bb.390:
	v_cmp_ngt_f64_e64 s1, |v[213:214]|, |v[215:216]|
                                        ; implicit-def: $vgpr217_vgpr218
	s_and_saveexec_b32 s3, s1
	s_xor_b32 s1, exec_lo, s3
                                        ; implicit-def: $vgpr219_vgpr220
	s_cbranch_execz .LBB117_392
; %bb.391:
	v_div_scale_f64 v[217:218], null, v[215:216], v[215:216], v[213:214]
	v_div_scale_f64 v[223:224], vcc_lo, v[213:214], v[215:216], v[213:214]
	v_rcp_f64_e32 v[219:220], v[217:218]
	v_fma_f64 v[221:222], -v[217:218], v[219:220], 1.0
	v_fma_f64 v[219:220], v[219:220], v[221:222], v[219:220]
	v_fma_f64 v[221:222], -v[217:218], v[219:220], 1.0
	v_fma_f64 v[219:220], v[219:220], v[221:222], v[219:220]
	v_mul_f64 v[221:222], v[223:224], v[219:220]
	v_fma_f64 v[217:218], -v[217:218], v[221:222], v[223:224]
	v_div_fmas_f64 v[217:218], v[217:218], v[219:220], v[221:222]
	v_div_fixup_f64 v[217:218], v[217:218], v[215:216], v[213:214]
	v_fma_f64 v[213:214], v[213:214], v[217:218], v[215:216]
	v_div_scale_f64 v[215:216], null, v[213:214], v[213:214], 1.0
	v_rcp_f64_e32 v[219:220], v[215:216]
	v_fma_f64 v[221:222], -v[215:216], v[219:220], 1.0
	v_fma_f64 v[219:220], v[219:220], v[221:222], v[219:220]
	v_fma_f64 v[221:222], -v[215:216], v[219:220], 1.0
	v_fma_f64 v[219:220], v[219:220], v[221:222], v[219:220]
	v_div_scale_f64 v[221:222], vcc_lo, 1.0, v[213:214], 1.0
	v_mul_f64 v[223:224], v[221:222], v[219:220]
	v_fma_f64 v[215:216], -v[215:216], v[223:224], v[221:222]
	v_div_fmas_f64 v[215:216], v[215:216], v[219:220], v[223:224]
	v_div_fixup_f64 v[219:220], v[215:216], v[213:214], 1.0
                                        ; implicit-def: $vgpr213_vgpr214
	v_mul_f64 v[217:218], v[217:218], v[219:220]
	v_xor_b32_e32 v220, 0x80000000, v220
.LBB117_392:
	s_andn2_saveexec_b32 s1, s1
	s_cbranch_execz .LBB117_394
; %bb.393:
	v_div_scale_f64 v[217:218], null, v[213:214], v[213:214], v[215:216]
	v_div_scale_f64 v[223:224], vcc_lo, v[215:216], v[213:214], v[215:216]
	v_rcp_f64_e32 v[219:220], v[217:218]
	v_fma_f64 v[221:222], -v[217:218], v[219:220], 1.0
	v_fma_f64 v[219:220], v[219:220], v[221:222], v[219:220]
	v_fma_f64 v[221:222], -v[217:218], v[219:220], 1.0
	v_fma_f64 v[219:220], v[219:220], v[221:222], v[219:220]
	v_mul_f64 v[221:222], v[223:224], v[219:220]
	v_fma_f64 v[217:218], -v[217:218], v[221:222], v[223:224]
	v_div_fmas_f64 v[217:218], v[217:218], v[219:220], v[221:222]
	v_div_fixup_f64 v[219:220], v[217:218], v[213:214], v[215:216]
	v_fma_f64 v[213:214], v[215:216], v[219:220], v[213:214]
	v_div_scale_f64 v[215:216], null, v[213:214], v[213:214], 1.0
	v_rcp_f64_e32 v[217:218], v[215:216]
	v_fma_f64 v[221:222], -v[215:216], v[217:218], 1.0
	v_fma_f64 v[217:218], v[217:218], v[221:222], v[217:218]
	v_fma_f64 v[221:222], -v[215:216], v[217:218], 1.0
	v_fma_f64 v[217:218], v[217:218], v[221:222], v[217:218]
	v_div_scale_f64 v[221:222], vcc_lo, 1.0, v[213:214], 1.0
	v_mul_f64 v[223:224], v[221:222], v[217:218]
	v_fma_f64 v[215:216], -v[215:216], v[223:224], v[221:222]
	v_div_fmas_f64 v[215:216], v[215:216], v[217:218], v[223:224]
	v_div_fixup_f64 v[217:218], v[215:216], v[213:214], 1.0
	v_mul_f64 v[219:220], v[219:220], -v[217:218]
.LBB117_394:
	s_or_b32 exec_lo, exec_lo, s1
	ds_write2_b64 v255, v[217:218], v[219:220] offset1:1
.LBB117_395:
	s_or_b32 exec_lo, exec_lo, s2
	s_waitcnt lgkmcnt(0)
	s_barrier
	buffer_gl0_inv
	ds_read2_b64 v[193:196], v255 offset1:1
	s_mov_b32 s1, exec_lo
	s_waitcnt lgkmcnt(0)
	buffer_store_dword v193, off, s[16:19], 0 offset:1240 ; 4-byte Folded Spill
	buffer_store_dword v194, off, s[16:19], 0 offset:1244 ; 4-byte Folded Spill
	;; [unrolled: 1-line block ×4, first 2 shown]
	v_cmpx_lt_u32_e32 43, v0
	s_cbranch_execz .LBB117_397
; %bb.396:
	s_clause 0x3
	buffer_load_dword v193, off, s[16:19], 0 offset:1240
	buffer_load_dword v194, off, s[16:19], 0 offset:1244
	;; [unrolled: 1-line block ×4, first 2 shown]
	ds_read2_b64 v[215:218], v253 offset0:88 offset1:89
	s_waitcnt vmcnt(2)
	v_mul_f64 v[213:214], v[193:194], v[63:64]
	s_waitcnt vmcnt(0)
	v_mul_f64 v[63:64], v[195:196], v[63:64]
	v_fma_f64 v[213:214], v[195:196], v[61:62], v[213:214]
	v_fma_f64 v[61:62], v[193:194], v[61:62], -v[63:64]
	s_waitcnt lgkmcnt(0)
	v_mul_f64 v[63:64], v[217:218], v[213:214]
	v_fma_f64 v[63:64], v[215:216], v[61:62], -v[63:64]
	v_mul_f64 v[215:216], v[215:216], v[213:214]
	v_add_f64 v[57:58], v[57:58], -v[63:64]
	v_fma_f64 v[215:216], v[217:218], v[61:62], v[215:216]
	v_add_f64 v[59:60], v[59:60], -v[215:216]
	ds_read2_b64 v[215:218], v253 offset0:90 offset1:91
	s_waitcnt lgkmcnt(0)
	v_mul_f64 v[63:64], v[217:218], v[213:214]
	v_fma_f64 v[63:64], v[215:216], v[61:62], -v[63:64]
	v_mul_f64 v[215:216], v[215:216], v[213:214]
	v_add_f64 v[53:54], v[53:54], -v[63:64]
	v_fma_f64 v[215:216], v[217:218], v[61:62], v[215:216]
	v_add_f64 v[55:56], v[55:56], -v[215:216]
	ds_read2_b64 v[215:218], v253 offset0:92 offset1:93
	;; [unrolled: 8-line block ×14, first 2 shown]
	s_waitcnt lgkmcnt(0)
	v_mul_f64 v[63:64], v[217:218], v[213:214]
	v_fma_f64 v[63:64], v[215:216], v[61:62], -v[63:64]
	v_mul_f64 v[215:216], v[215:216], v[213:214]
	v_add_f64 v[1:2], v[1:2], -v[63:64]
	v_fma_f64 v[215:216], v[217:218], v[61:62], v[215:216]
	v_mov_b32_e32 v63, v213
	v_mov_b32_e32 v64, v214
	v_add_f64 v[3:4], v[3:4], -v[215:216]
.LBB117_397:
	s_or_b32 exec_lo, exec_lo, s1
	s_mov_b32 s2, exec_lo
	s_waitcnt_vscnt null, 0x0
	s_barrier
	buffer_gl0_inv
	v_cmpx_eq_u32_e32 44, v0
	s_cbranch_execz .LBB117_404
; %bb.398:
	ds_write2_b64 v255, v[57:58], v[59:60] offset1:1
	ds_write2_b64 v253, v[53:54], v[55:56] offset0:90 offset1:91
	ds_write2_b64 v253, v[49:50], v[51:52] offset0:92 offset1:93
	;; [unrolled: 1-line block ×14, first 2 shown]
	ds_read2_b64 v[213:216], v255 offset1:1
	s_waitcnt lgkmcnt(0)
	v_cmp_neq_f64_e32 vcc_lo, 0, v[213:214]
	v_cmp_neq_f64_e64 s1, 0, v[215:216]
	s_or_b32 s1, vcc_lo, s1
	s_and_b32 exec_lo, exec_lo, s1
	s_cbranch_execz .LBB117_404
; %bb.399:
	v_cmp_ngt_f64_e64 s1, |v[213:214]|, |v[215:216]|
                                        ; implicit-def: $vgpr217_vgpr218
	s_and_saveexec_b32 s3, s1
	s_xor_b32 s1, exec_lo, s3
                                        ; implicit-def: $vgpr219_vgpr220
	s_cbranch_execz .LBB117_401
; %bb.400:
	v_div_scale_f64 v[217:218], null, v[215:216], v[215:216], v[213:214]
	v_div_scale_f64 v[223:224], vcc_lo, v[213:214], v[215:216], v[213:214]
	v_rcp_f64_e32 v[219:220], v[217:218]
	v_fma_f64 v[221:222], -v[217:218], v[219:220], 1.0
	v_fma_f64 v[219:220], v[219:220], v[221:222], v[219:220]
	v_fma_f64 v[221:222], -v[217:218], v[219:220], 1.0
	v_fma_f64 v[219:220], v[219:220], v[221:222], v[219:220]
	v_mul_f64 v[221:222], v[223:224], v[219:220]
	v_fma_f64 v[217:218], -v[217:218], v[221:222], v[223:224]
	v_div_fmas_f64 v[217:218], v[217:218], v[219:220], v[221:222]
	v_div_fixup_f64 v[217:218], v[217:218], v[215:216], v[213:214]
	v_fma_f64 v[213:214], v[213:214], v[217:218], v[215:216]
	v_div_scale_f64 v[215:216], null, v[213:214], v[213:214], 1.0
	v_rcp_f64_e32 v[219:220], v[215:216]
	v_fma_f64 v[221:222], -v[215:216], v[219:220], 1.0
	v_fma_f64 v[219:220], v[219:220], v[221:222], v[219:220]
	v_fma_f64 v[221:222], -v[215:216], v[219:220], 1.0
	v_fma_f64 v[219:220], v[219:220], v[221:222], v[219:220]
	v_div_scale_f64 v[221:222], vcc_lo, 1.0, v[213:214], 1.0
	v_mul_f64 v[223:224], v[221:222], v[219:220]
	v_fma_f64 v[215:216], -v[215:216], v[223:224], v[221:222]
	v_div_fmas_f64 v[215:216], v[215:216], v[219:220], v[223:224]
	v_div_fixup_f64 v[219:220], v[215:216], v[213:214], 1.0
                                        ; implicit-def: $vgpr213_vgpr214
	v_mul_f64 v[217:218], v[217:218], v[219:220]
	v_xor_b32_e32 v220, 0x80000000, v220
.LBB117_401:
	s_andn2_saveexec_b32 s1, s1
	s_cbranch_execz .LBB117_403
; %bb.402:
	v_div_scale_f64 v[217:218], null, v[213:214], v[213:214], v[215:216]
	v_div_scale_f64 v[223:224], vcc_lo, v[215:216], v[213:214], v[215:216]
	v_rcp_f64_e32 v[219:220], v[217:218]
	v_fma_f64 v[221:222], -v[217:218], v[219:220], 1.0
	v_fma_f64 v[219:220], v[219:220], v[221:222], v[219:220]
	v_fma_f64 v[221:222], -v[217:218], v[219:220], 1.0
	v_fma_f64 v[219:220], v[219:220], v[221:222], v[219:220]
	v_mul_f64 v[221:222], v[223:224], v[219:220]
	v_fma_f64 v[217:218], -v[217:218], v[221:222], v[223:224]
	v_div_fmas_f64 v[217:218], v[217:218], v[219:220], v[221:222]
	v_div_fixup_f64 v[219:220], v[217:218], v[213:214], v[215:216]
	v_fma_f64 v[213:214], v[215:216], v[219:220], v[213:214]
	v_div_scale_f64 v[215:216], null, v[213:214], v[213:214], 1.0
	v_rcp_f64_e32 v[217:218], v[215:216]
	v_fma_f64 v[221:222], -v[215:216], v[217:218], 1.0
	v_fma_f64 v[217:218], v[217:218], v[221:222], v[217:218]
	v_fma_f64 v[221:222], -v[215:216], v[217:218], 1.0
	v_fma_f64 v[217:218], v[217:218], v[221:222], v[217:218]
	v_div_scale_f64 v[221:222], vcc_lo, 1.0, v[213:214], 1.0
	v_mul_f64 v[223:224], v[221:222], v[217:218]
	v_fma_f64 v[215:216], -v[215:216], v[223:224], v[221:222]
	v_div_fmas_f64 v[215:216], v[215:216], v[217:218], v[223:224]
	v_div_fixup_f64 v[217:218], v[215:216], v[213:214], 1.0
	v_mul_f64 v[219:220], v[219:220], -v[217:218]
.LBB117_403:
	s_or_b32 exec_lo, exec_lo, s1
	ds_write2_b64 v255, v[217:218], v[219:220] offset1:1
.LBB117_404:
	s_or_b32 exec_lo, exec_lo, s2
	s_waitcnt lgkmcnt(0)
	s_barrier
	buffer_gl0_inv
	ds_read2_b64 v[193:196], v255 offset1:1
	s_mov_b32 s1, exec_lo
	s_waitcnt lgkmcnt(0)
	buffer_store_dword v193, off, s[16:19], 0 offset:1256 ; 4-byte Folded Spill
	buffer_store_dword v194, off, s[16:19], 0 offset:1260 ; 4-byte Folded Spill
	;; [unrolled: 1-line block ×4, first 2 shown]
	v_cmpx_lt_u32_e32 44, v0
	s_cbranch_execz .LBB117_406
; %bb.405:
	s_clause 0x3
	buffer_load_dword v193, off, s[16:19], 0 offset:1256
	buffer_load_dword v194, off, s[16:19], 0 offset:1260
	;; [unrolled: 1-line block ×4, first 2 shown]
	ds_read2_b64 v[215:218], v253 offset0:90 offset1:91
	s_waitcnt vmcnt(2)
	v_mul_f64 v[213:214], v[193:194], v[59:60]
	s_waitcnt vmcnt(0)
	v_mul_f64 v[59:60], v[195:196], v[59:60]
	v_fma_f64 v[213:214], v[195:196], v[57:58], v[213:214]
	v_fma_f64 v[57:58], v[193:194], v[57:58], -v[59:60]
	s_waitcnt lgkmcnt(0)
	v_mul_f64 v[59:60], v[217:218], v[213:214]
	v_fma_f64 v[59:60], v[215:216], v[57:58], -v[59:60]
	v_mul_f64 v[215:216], v[215:216], v[213:214]
	v_add_f64 v[53:54], v[53:54], -v[59:60]
	v_fma_f64 v[215:216], v[217:218], v[57:58], v[215:216]
	v_add_f64 v[55:56], v[55:56], -v[215:216]
	ds_read2_b64 v[215:218], v253 offset0:92 offset1:93
	s_waitcnt lgkmcnt(0)
	v_mul_f64 v[59:60], v[217:218], v[213:214]
	v_fma_f64 v[59:60], v[215:216], v[57:58], -v[59:60]
	v_mul_f64 v[215:216], v[215:216], v[213:214]
	v_add_f64 v[49:50], v[49:50], -v[59:60]
	v_fma_f64 v[215:216], v[217:218], v[57:58], v[215:216]
	v_add_f64 v[51:52], v[51:52], -v[215:216]
	ds_read2_b64 v[215:218], v253 offset0:94 offset1:95
	;; [unrolled: 8-line block ×13, first 2 shown]
	s_waitcnt lgkmcnt(0)
	v_mul_f64 v[59:60], v[217:218], v[213:214]
	v_fma_f64 v[59:60], v[215:216], v[57:58], -v[59:60]
	v_mul_f64 v[215:216], v[215:216], v[213:214]
	v_add_f64 v[1:2], v[1:2], -v[59:60]
	v_fma_f64 v[215:216], v[217:218], v[57:58], v[215:216]
	v_mov_b32_e32 v59, v213
	v_mov_b32_e32 v60, v214
	v_add_f64 v[3:4], v[3:4], -v[215:216]
.LBB117_406:
	s_or_b32 exec_lo, exec_lo, s1
	s_mov_b32 s2, exec_lo
	s_waitcnt_vscnt null, 0x0
	s_barrier
	buffer_gl0_inv
	v_cmpx_eq_u32_e32 45, v0
	s_cbranch_execz .LBB117_413
; %bb.407:
	ds_write2_b64 v255, v[53:54], v[55:56] offset1:1
	ds_write2_b64 v253, v[49:50], v[51:52] offset0:92 offset1:93
	ds_write2_b64 v253, v[45:46], v[47:48] offset0:94 offset1:95
	;; [unrolled: 1-line block ×13, first 2 shown]
	ds_read2_b64 v[213:216], v255 offset1:1
	s_waitcnt lgkmcnt(0)
	v_cmp_neq_f64_e32 vcc_lo, 0, v[213:214]
	v_cmp_neq_f64_e64 s1, 0, v[215:216]
	s_or_b32 s1, vcc_lo, s1
	s_and_b32 exec_lo, exec_lo, s1
	s_cbranch_execz .LBB117_413
; %bb.408:
	v_cmp_ngt_f64_e64 s1, |v[213:214]|, |v[215:216]|
                                        ; implicit-def: $vgpr217_vgpr218
	s_and_saveexec_b32 s3, s1
	s_xor_b32 s1, exec_lo, s3
                                        ; implicit-def: $vgpr219_vgpr220
	s_cbranch_execz .LBB117_410
; %bb.409:
	v_div_scale_f64 v[217:218], null, v[215:216], v[215:216], v[213:214]
	v_div_scale_f64 v[223:224], vcc_lo, v[213:214], v[215:216], v[213:214]
	v_rcp_f64_e32 v[219:220], v[217:218]
	v_fma_f64 v[221:222], -v[217:218], v[219:220], 1.0
	v_fma_f64 v[219:220], v[219:220], v[221:222], v[219:220]
	v_fma_f64 v[221:222], -v[217:218], v[219:220], 1.0
	v_fma_f64 v[219:220], v[219:220], v[221:222], v[219:220]
	v_mul_f64 v[221:222], v[223:224], v[219:220]
	v_fma_f64 v[217:218], -v[217:218], v[221:222], v[223:224]
	v_div_fmas_f64 v[217:218], v[217:218], v[219:220], v[221:222]
	v_div_fixup_f64 v[217:218], v[217:218], v[215:216], v[213:214]
	v_fma_f64 v[213:214], v[213:214], v[217:218], v[215:216]
	v_div_scale_f64 v[215:216], null, v[213:214], v[213:214], 1.0
	v_rcp_f64_e32 v[219:220], v[215:216]
	v_fma_f64 v[221:222], -v[215:216], v[219:220], 1.0
	v_fma_f64 v[219:220], v[219:220], v[221:222], v[219:220]
	v_fma_f64 v[221:222], -v[215:216], v[219:220], 1.0
	v_fma_f64 v[219:220], v[219:220], v[221:222], v[219:220]
	v_div_scale_f64 v[221:222], vcc_lo, 1.0, v[213:214], 1.0
	v_mul_f64 v[223:224], v[221:222], v[219:220]
	v_fma_f64 v[215:216], -v[215:216], v[223:224], v[221:222]
	v_div_fmas_f64 v[215:216], v[215:216], v[219:220], v[223:224]
	v_div_fixup_f64 v[219:220], v[215:216], v[213:214], 1.0
                                        ; implicit-def: $vgpr213_vgpr214
	v_mul_f64 v[217:218], v[217:218], v[219:220]
	v_xor_b32_e32 v220, 0x80000000, v220
.LBB117_410:
	s_andn2_saveexec_b32 s1, s1
	s_cbranch_execz .LBB117_412
; %bb.411:
	v_div_scale_f64 v[217:218], null, v[213:214], v[213:214], v[215:216]
	v_div_scale_f64 v[223:224], vcc_lo, v[215:216], v[213:214], v[215:216]
	v_rcp_f64_e32 v[219:220], v[217:218]
	v_fma_f64 v[221:222], -v[217:218], v[219:220], 1.0
	v_fma_f64 v[219:220], v[219:220], v[221:222], v[219:220]
	v_fma_f64 v[221:222], -v[217:218], v[219:220], 1.0
	v_fma_f64 v[219:220], v[219:220], v[221:222], v[219:220]
	v_mul_f64 v[221:222], v[223:224], v[219:220]
	v_fma_f64 v[217:218], -v[217:218], v[221:222], v[223:224]
	v_div_fmas_f64 v[217:218], v[217:218], v[219:220], v[221:222]
	v_div_fixup_f64 v[219:220], v[217:218], v[213:214], v[215:216]
	v_fma_f64 v[213:214], v[215:216], v[219:220], v[213:214]
	v_div_scale_f64 v[215:216], null, v[213:214], v[213:214], 1.0
	v_rcp_f64_e32 v[217:218], v[215:216]
	v_fma_f64 v[221:222], -v[215:216], v[217:218], 1.0
	v_fma_f64 v[217:218], v[217:218], v[221:222], v[217:218]
	v_fma_f64 v[221:222], -v[215:216], v[217:218], 1.0
	v_fma_f64 v[217:218], v[217:218], v[221:222], v[217:218]
	v_div_scale_f64 v[221:222], vcc_lo, 1.0, v[213:214], 1.0
	v_mul_f64 v[223:224], v[221:222], v[217:218]
	v_fma_f64 v[215:216], -v[215:216], v[223:224], v[221:222]
	v_div_fmas_f64 v[215:216], v[215:216], v[217:218], v[223:224]
	v_div_fixup_f64 v[217:218], v[215:216], v[213:214], 1.0
	v_mul_f64 v[219:220], v[219:220], -v[217:218]
.LBB117_412:
	s_or_b32 exec_lo, exec_lo, s1
	ds_write2_b64 v255, v[217:218], v[219:220] offset1:1
.LBB117_413:
	s_or_b32 exec_lo, exec_lo, s2
	s_waitcnt lgkmcnt(0)
	s_barrier
	buffer_gl0_inv
	ds_read2_b64 v[193:196], v255 offset1:1
	s_mov_b32 s1, exec_lo
	s_waitcnt lgkmcnt(0)
	buffer_store_dword v193, off, s[16:19], 0 offset:1272 ; 4-byte Folded Spill
	buffer_store_dword v194, off, s[16:19], 0 offset:1276 ; 4-byte Folded Spill
	;; [unrolled: 1-line block ×4, first 2 shown]
	v_cmpx_lt_u32_e32 45, v0
	s_cbranch_execz .LBB117_415
; %bb.414:
	s_clause 0x3
	buffer_load_dword v193, off, s[16:19], 0 offset:1272
	buffer_load_dword v194, off, s[16:19], 0 offset:1276
	;; [unrolled: 1-line block ×4, first 2 shown]
	ds_read2_b64 v[215:218], v253 offset0:92 offset1:93
	s_waitcnt vmcnt(2)
	v_mul_f64 v[213:214], v[193:194], v[55:56]
	s_waitcnt vmcnt(0)
	v_mul_f64 v[55:56], v[195:196], v[55:56]
	v_fma_f64 v[213:214], v[195:196], v[53:54], v[213:214]
	v_fma_f64 v[53:54], v[193:194], v[53:54], -v[55:56]
	s_waitcnt lgkmcnt(0)
	v_mul_f64 v[55:56], v[217:218], v[213:214]
	v_fma_f64 v[55:56], v[215:216], v[53:54], -v[55:56]
	v_mul_f64 v[215:216], v[215:216], v[213:214]
	v_add_f64 v[49:50], v[49:50], -v[55:56]
	v_fma_f64 v[215:216], v[217:218], v[53:54], v[215:216]
	v_add_f64 v[51:52], v[51:52], -v[215:216]
	ds_read2_b64 v[215:218], v253 offset0:94 offset1:95
	s_waitcnt lgkmcnt(0)
	v_mul_f64 v[55:56], v[217:218], v[213:214]
	v_fma_f64 v[55:56], v[215:216], v[53:54], -v[55:56]
	v_mul_f64 v[215:216], v[215:216], v[213:214]
	v_add_f64 v[45:46], v[45:46], -v[55:56]
	v_fma_f64 v[215:216], v[217:218], v[53:54], v[215:216]
	v_add_f64 v[47:48], v[47:48], -v[215:216]
	ds_read2_b64 v[215:218], v253 offset0:96 offset1:97
	;; [unrolled: 8-line block ×12, first 2 shown]
	s_waitcnt lgkmcnt(0)
	v_mul_f64 v[55:56], v[217:218], v[213:214]
	v_fma_f64 v[55:56], v[215:216], v[53:54], -v[55:56]
	v_mul_f64 v[215:216], v[215:216], v[213:214]
	v_add_f64 v[1:2], v[1:2], -v[55:56]
	v_fma_f64 v[215:216], v[217:218], v[53:54], v[215:216]
	v_mov_b32_e32 v55, v213
	v_mov_b32_e32 v56, v214
	v_add_f64 v[3:4], v[3:4], -v[215:216]
.LBB117_415:
	s_or_b32 exec_lo, exec_lo, s1
	s_mov_b32 s2, exec_lo
	s_waitcnt_vscnt null, 0x0
	s_barrier
	buffer_gl0_inv
	v_cmpx_eq_u32_e32 46, v0
	s_cbranch_execz .LBB117_422
; %bb.416:
	ds_write2_b64 v255, v[49:50], v[51:52] offset1:1
	ds_write2_b64 v253, v[45:46], v[47:48] offset0:94 offset1:95
	ds_write2_b64 v253, v[41:42], v[43:44] offset0:96 offset1:97
	;; [unrolled: 1-line block ×12, first 2 shown]
	ds_read2_b64 v[213:216], v255 offset1:1
	s_waitcnt lgkmcnt(0)
	v_cmp_neq_f64_e32 vcc_lo, 0, v[213:214]
	v_cmp_neq_f64_e64 s1, 0, v[215:216]
	s_or_b32 s1, vcc_lo, s1
	s_and_b32 exec_lo, exec_lo, s1
	s_cbranch_execz .LBB117_422
; %bb.417:
	v_cmp_ngt_f64_e64 s1, |v[213:214]|, |v[215:216]|
                                        ; implicit-def: $vgpr217_vgpr218
	s_and_saveexec_b32 s3, s1
	s_xor_b32 s1, exec_lo, s3
                                        ; implicit-def: $vgpr219_vgpr220
	s_cbranch_execz .LBB117_419
; %bb.418:
	v_div_scale_f64 v[217:218], null, v[215:216], v[215:216], v[213:214]
	v_div_scale_f64 v[223:224], vcc_lo, v[213:214], v[215:216], v[213:214]
	v_rcp_f64_e32 v[219:220], v[217:218]
	v_fma_f64 v[221:222], -v[217:218], v[219:220], 1.0
	v_fma_f64 v[219:220], v[219:220], v[221:222], v[219:220]
	v_fma_f64 v[221:222], -v[217:218], v[219:220], 1.0
	v_fma_f64 v[219:220], v[219:220], v[221:222], v[219:220]
	v_mul_f64 v[221:222], v[223:224], v[219:220]
	v_fma_f64 v[217:218], -v[217:218], v[221:222], v[223:224]
	v_div_fmas_f64 v[217:218], v[217:218], v[219:220], v[221:222]
	v_div_fixup_f64 v[217:218], v[217:218], v[215:216], v[213:214]
	v_fma_f64 v[213:214], v[213:214], v[217:218], v[215:216]
	v_div_scale_f64 v[215:216], null, v[213:214], v[213:214], 1.0
	v_rcp_f64_e32 v[219:220], v[215:216]
	v_fma_f64 v[221:222], -v[215:216], v[219:220], 1.0
	v_fma_f64 v[219:220], v[219:220], v[221:222], v[219:220]
	v_fma_f64 v[221:222], -v[215:216], v[219:220], 1.0
	v_fma_f64 v[219:220], v[219:220], v[221:222], v[219:220]
	v_div_scale_f64 v[221:222], vcc_lo, 1.0, v[213:214], 1.0
	v_mul_f64 v[223:224], v[221:222], v[219:220]
	v_fma_f64 v[215:216], -v[215:216], v[223:224], v[221:222]
	v_div_fmas_f64 v[215:216], v[215:216], v[219:220], v[223:224]
	v_div_fixup_f64 v[219:220], v[215:216], v[213:214], 1.0
                                        ; implicit-def: $vgpr213_vgpr214
	v_mul_f64 v[217:218], v[217:218], v[219:220]
	v_xor_b32_e32 v220, 0x80000000, v220
.LBB117_419:
	s_andn2_saveexec_b32 s1, s1
	s_cbranch_execz .LBB117_421
; %bb.420:
	v_div_scale_f64 v[217:218], null, v[213:214], v[213:214], v[215:216]
	v_div_scale_f64 v[223:224], vcc_lo, v[215:216], v[213:214], v[215:216]
	v_rcp_f64_e32 v[219:220], v[217:218]
	v_fma_f64 v[221:222], -v[217:218], v[219:220], 1.0
	v_fma_f64 v[219:220], v[219:220], v[221:222], v[219:220]
	v_fma_f64 v[221:222], -v[217:218], v[219:220], 1.0
	v_fma_f64 v[219:220], v[219:220], v[221:222], v[219:220]
	v_mul_f64 v[221:222], v[223:224], v[219:220]
	v_fma_f64 v[217:218], -v[217:218], v[221:222], v[223:224]
	v_div_fmas_f64 v[217:218], v[217:218], v[219:220], v[221:222]
	v_div_fixup_f64 v[219:220], v[217:218], v[213:214], v[215:216]
	v_fma_f64 v[213:214], v[215:216], v[219:220], v[213:214]
	v_div_scale_f64 v[215:216], null, v[213:214], v[213:214], 1.0
	v_rcp_f64_e32 v[217:218], v[215:216]
	v_fma_f64 v[221:222], -v[215:216], v[217:218], 1.0
	v_fma_f64 v[217:218], v[217:218], v[221:222], v[217:218]
	v_fma_f64 v[221:222], -v[215:216], v[217:218], 1.0
	v_fma_f64 v[217:218], v[217:218], v[221:222], v[217:218]
	v_div_scale_f64 v[221:222], vcc_lo, 1.0, v[213:214], 1.0
	v_mul_f64 v[223:224], v[221:222], v[217:218]
	v_fma_f64 v[215:216], -v[215:216], v[223:224], v[221:222]
	v_div_fmas_f64 v[215:216], v[215:216], v[217:218], v[223:224]
	v_div_fixup_f64 v[217:218], v[215:216], v[213:214], 1.0
	v_mul_f64 v[219:220], v[219:220], -v[217:218]
.LBB117_421:
	s_or_b32 exec_lo, exec_lo, s1
	ds_write2_b64 v255, v[217:218], v[219:220] offset1:1
.LBB117_422:
	s_or_b32 exec_lo, exec_lo, s2
	s_waitcnt lgkmcnt(0)
	s_barrier
	buffer_gl0_inv
	ds_read2_b64 v[193:196], v255 offset1:1
	s_mov_b32 s1, exec_lo
	s_waitcnt lgkmcnt(0)
	buffer_store_dword v193, off, s[16:19], 0 offset:1288 ; 4-byte Folded Spill
	buffer_store_dword v194, off, s[16:19], 0 offset:1292 ; 4-byte Folded Spill
	buffer_store_dword v195, off, s[16:19], 0 offset:1296 ; 4-byte Folded Spill
	buffer_store_dword v196, off, s[16:19], 0 offset:1300 ; 4-byte Folded Spill
	v_cmpx_lt_u32_e32 46, v0
	s_cbranch_execz .LBB117_424
; %bb.423:
	s_clause 0x3
	buffer_load_dword v193, off, s[16:19], 0 offset:1288
	buffer_load_dword v194, off, s[16:19], 0 offset:1292
	;; [unrolled: 1-line block ×4, first 2 shown]
	ds_read2_b64 v[215:218], v253 offset0:94 offset1:95
	s_waitcnt vmcnt(2)
	v_mul_f64 v[213:214], v[193:194], v[51:52]
	s_waitcnt vmcnt(0)
	v_mul_f64 v[51:52], v[195:196], v[51:52]
	v_fma_f64 v[213:214], v[195:196], v[49:50], v[213:214]
	v_fma_f64 v[49:50], v[193:194], v[49:50], -v[51:52]
	s_waitcnt lgkmcnt(0)
	v_mul_f64 v[51:52], v[217:218], v[213:214]
	v_fma_f64 v[51:52], v[215:216], v[49:50], -v[51:52]
	v_mul_f64 v[215:216], v[215:216], v[213:214]
	v_add_f64 v[45:46], v[45:46], -v[51:52]
	v_fma_f64 v[215:216], v[217:218], v[49:50], v[215:216]
	v_add_f64 v[47:48], v[47:48], -v[215:216]
	ds_read2_b64 v[215:218], v253 offset0:96 offset1:97
	s_waitcnt lgkmcnt(0)
	v_mul_f64 v[51:52], v[217:218], v[213:214]
	v_fma_f64 v[51:52], v[215:216], v[49:50], -v[51:52]
	v_mul_f64 v[215:216], v[215:216], v[213:214]
	v_add_f64 v[41:42], v[41:42], -v[51:52]
	v_fma_f64 v[215:216], v[217:218], v[49:50], v[215:216]
	v_add_f64 v[43:44], v[43:44], -v[215:216]
	ds_read2_b64 v[215:218], v253 offset0:98 offset1:99
	;; [unrolled: 8-line block ×11, first 2 shown]
	s_waitcnt lgkmcnt(0)
	v_mul_f64 v[51:52], v[217:218], v[213:214]
	v_fma_f64 v[51:52], v[215:216], v[49:50], -v[51:52]
	v_mul_f64 v[215:216], v[215:216], v[213:214]
	v_add_f64 v[1:2], v[1:2], -v[51:52]
	v_fma_f64 v[215:216], v[217:218], v[49:50], v[215:216]
	v_mov_b32_e32 v51, v213
	v_mov_b32_e32 v52, v214
	v_add_f64 v[3:4], v[3:4], -v[215:216]
.LBB117_424:
	s_or_b32 exec_lo, exec_lo, s1
	s_mov_b32 s2, exec_lo
	s_waitcnt_vscnt null, 0x0
	s_barrier
	buffer_gl0_inv
	v_cmpx_eq_u32_e32 47, v0
	s_cbranch_execz .LBB117_431
; %bb.425:
	ds_write2_b64 v255, v[45:46], v[47:48] offset1:1
	ds_write2_b64 v253, v[41:42], v[43:44] offset0:96 offset1:97
	ds_write2_b64 v253, v[37:38], v[39:40] offset0:98 offset1:99
	;; [unrolled: 1-line block ×11, first 2 shown]
	ds_read2_b64 v[213:216], v255 offset1:1
	s_waitcnt lgkmcnt(0)
	v_cmp_neq_f64_e32 vcc_lo, 0, v[213:214]
	v_cmp_neq_f64_e64 s1, 0, v[215:216]
	s_or_b32 s1, vcc_lo, s1
	s_and_b32 exec_lo, exec_lo, s1
	s_cbranch_execz .LBB117_431
; %bb.426:
	v_cmp_ngt_f64_e64 s1, |v[213:214]|, |v[215:216]|
                                        ; implicit-def: $vgpr217_vgpr218
	s_and_saveexec_b32 s3, s1
	s_xor_b32 s1, exec_lo, s3
                                        ; implicit-def: $vgpr219_vgpr220
	s_cbranch_execz .LBB117_428
; %bb.427:
	v_div_scale_f64 v[217:218], null, v[215:216], v[215:216], v[213:214]
	v_div_scale_f64 v[223:224], vcc_lo, v[213:214], v[215:216], v[213:214]
	v_rcp_f64_e32 v[219:220], v[217:218]
	v_fma_f64 v[221:222], -v[217:218], v[219:220], 1.0
	v_fma_f64 v[219:220], v[219:220], v[221:222], v[219:220]
	v_fma_f64 v[221:222], -v[217:218], v[219:220], 1.0
	v_fma_f64 v[219:220], v[219:220], v[221:222], v[219:220]
	v_mul_f64 v[221:222], v[223:224], v[219:220]
	v_fma_f64 v[217:218], -v[217:218], v[221:222], v[223:224]
	v_div_fmas_f64 v[217:218], v[217:218], v[219:220], v[221:222]
	v_div_fixup_f64 v[217:218], v[217:218], v[215:216], v[213:214]
	v_fma_f64 v[213:214], v[213:214], v[217:218], v[215:216]
	v_div_scale_f64 v[215:216], null, v[213:214], v[213:214], 1.0
	v_rcp_f64_e32 v[219:220], v[215:216]
	v_fma_f64 v[221:222], -v[215:216], v[219:220], 1.0
	v_fma_f64 v[219:220], v[219:220], v[221:222], v[219:220]
	v_fma_f64 v[221:222], -v[215:216], v[219:220], 1.0
	v_fma_f64 v[219:220], v[219:220], v[221:222], v[219:220]
	v_div_scale_f64 v[221:222], vcc_lo, 1.0, v[213:214], 1.0
	v_mul_f64 v[223:224], v[221:222], v[219:220]
	v_fma_f64 v[215:216], -v[215:216], v[223:224], v[221:222]
	v_div_fmas_f64 v[215:216], v[215:216], v[219:220], v[223:224]
	v_div_fixup_f64 v[219:220], v[215:216], v[213:214], 1.0
                                        ; implicit-def: $vgpr213_vgpr214
	v_mul_f64 v[217:218], v[217:218], v[219:220]
	v_xor_b32_e32 v220, 0x80000000, v220
.LBB117_428:
	s_andn2_saveexec_b32 s1, s1
	s_cbranch_execz .LBB117_430
; %bb.429:
	v_div_scale_f64 v[217:218], null, v[213:214], v[213:214], v[215:216]
	v_div_scale_f64 v[223:224], vcc_lo, v[215:216], v[213:214], v[215:216]
	v_rcp_f64_e32 v[219:220], v[217:218]
	v_fma_f64 v[221:222], -v[217:218], v[219:220], 1.0
	v_fma_f64 v[219:220], v[219:220], v[221:222], v[219:220]
	v_fma_f64 v[221:222], -v[217:218], v[219:220], 1.0
	v_fma_f64 v[219:220], v[219:220], v[221:222], v[219:220]
	v_mul_f64 v[221:222], v[223:224], v[219:220]
	v_fma_f64 v[217:218], -v[217:218], v[221:222], v[223:224]
	v_div_fmas_f64 v[217:218], v[217:218], v[219:220], v[221:222]
	v_div_fixup_f64 v[219:220], v[217:218], v[213:214], v[215:216]
	v_fma_f64 v[213:214], v[215:216], v[219:220], v[213:214]
	v_div_scale_f64 v[215:216], null, v[213:214], v[213:214], 1.0
	v_rcp_f64_e32 v[217:218], v[215:216]
	v_fma_f64 v[221:222], -v[215:216], v[217:218], 1.0
	v_fma_f64 v[217:218], v[217:218], v[221:222], v[217:218]
	v_fma_f64 v[221:222], -v[215:216], v[217:218], 1.0
	v_fma_f64 v[217:218], v[217:218], v[221:222], v[217:218]
	v_div_scale_f64 v[221:222], vcc_lo, 1.0, v[213:214], 1.0
	v_mul_f64 v[223:224], v[221:222], v[217:218]
	v_fma_f64 v[215:216], -v[215:216], v[223:224], v[221:222]
	v_div_fmas_f64 v[215:216], v[215:216], v[217:218], v[223:224]
	v_div_fixup_f64 v[217:218], v[215:216], v[213:214], 1.0
	v_mul_f64 v[219:220], v[219:220], -v[217:218]
.LBB117_430:
	s_or_b32 exec_lo, exec_lo, s1
	ds_write2_b64 v255, v[217:218], v[219:220] offset1:1
.LBB117_431:
	s_or_b32 exec_lo, exec_lo, s2
	s_waitcnt lgkmcnt(0)
	s_barrier
	buffer_gl0_inv
	ds_read2_b64 v[193:196], v255 offset1:1
	s_mov_b32 s1, exec_lo
	s_waitcnt lgkmcnt(0)
	buffer_store_dword v193, off, s[16:19], 0 offset:1304 ; 4-byte Folded Spill
	buffer_store_dword v194, off, s[16:19], 0 offset:1308 ; 4-byte Folded Spill
	;; [unrolled: 1-line block ×4, first 2 shown]
	v_cmpx_lt_u32_e32 47, v0
	s_cbranch_execz .LBB117_433
; %bb.432:
	s_clause 0x3
	buffer_load_dword v193, off, s[16:19], 0 offset:1304
	buffer_load_dword v194, off, s[16:19], 0 offset:1308
	;; [unrolled: 1-line block ×4, first 2 shown]
	ds_read2_b64 v[215:218], v253 offset0:96 offset1:97
	s_waitcnt vmcnt(2)
	v_mul_f64 v[213:214], v[193:194], v[47:48]
	s_waitcnt vmcnt(0)
	v_mul_f64 v[47:48], v[195:196], v[47:48]
	v_fma_f64 v[213:214], v[195:196], v[45:46], v[213:214]
	v_fma_f64 v[45:46], v[193:194], v[45:46], -v[47:48]
	s_waitcnt lgkmcnt(0)
	v_mul_f64 v[47:48], v[217:218], v[213:214]
	v_fma_f64 v[47:48], v[215:216], v[45:46], -v[47:48]
	v_mul_f64 v[215:216], v[215:216], v[213:214]
	v_add_f64 v[41:42], v[41:42], -v[47:48]
	v_fma_f64 v[215:216], v[217:218], v[45:46], v[215:216]
	v_add_f64 v[43:44], v[43:44], -v[215:216]
	ds_read2_b64 v[215:218], v253 offset0:98 offset1:99
	s_waitcnt lgkmcnt(0)
	v_mul_f64 v[47:48], v[217:218], v[213:214]
	v_fma_f64 v[47:48], v[215:216], v[45:46], -v[47:48]
	v_mul_f64 v[215:216], v[215:216], v[213:214]
	v_add_f64 v[37:38], v[37:38], -v[47:48]
	v_fma_f64 v[215:216], v[217:218], v[45:46], v[215:216]
	v_add_f64 v[39:40], v[39:40], -v[215:216]
	ds_read2_b64 v[215:218], v253 offset0:100 offset1:101
	;; [unrolled: 8-line block ×10, first 2 shown]
	s_waitcnt lgkmcnt(0)
	v_mul_f64 v[47:48], v[217:218], v[213:214]
	v_fma_f64 v[47:48], v[215:216], v[45:46], -v[47:48]
	v_mul_f64 v[215:216], v[215:216], v[213:214]
	v_add_f64 v[1:2], v[1:2], -v[47:48]
	v_fma_f64 v[215:216], v[217:218], v[45:46], v[215:216]
	v_mov_b32_e32 v47, v213
	v_mov_b32_e32 v48, v214
	v_add_f64 v[3:4], v[3:4], -v[215:216]
.LBB117_433:
	s_or_b32 exec_lo, exec_lo, s1
	s_mov_b32 s2, exec_lo
	s_waitcnt_vscnt null, 0x0
	s_barrier
	buffer_gl0_inv
	v_cmpx_eq_u32_e32 48, v0
	s_cbranch_execz .LBB117_440
; %bb.434:
	ds_write2_b64 v255, v[41:42], v[43:44] offset1:1
	ds_write2_b64 v253, v[37:38], v[39:40] offset0:98 offset1:99
	ds_write2_b64 v253, v[33:34], v[35:36] offset0:100 offset1:101
	ds_write2_b64 v253, v[29:30], v[31:32] offset0:102 offset1:103
	ds_write2_b64 v253, v[25:26], v[27:28] offset0:104 offset1:105
	ds_write2_b64 v253, v[21:22], v[23:24] offset0:106 offset1:107
	ds_write2_b64 v253, v[17:18], v[19:20] offset0:108 offset1:109
	ds_write2_b64 v253, v[13:14], v[15:16] offset0:110 offset1:111
	ds_write2_b64 v253, v[9:10], v[11:12] offset0:112 offset1:113
	ds_write2_b64 v253, v[5:6], v[7:8] offset0:114 offset1:115
	ds_write2_b64 v253, v[1:2], v[3:4] offset0:116 offset1:117
	ds_read2_b64 v[213:216], v255 offset1:1
	s_waitcnt lgkmcnt(0)
	v_cmp_neq_f64_e32 vcc_lo, 0, v[213:214]
	v_cmp_neq_f64_e64 s1, 0, v[215:216]
	s_or_b32 s1, vcc_lo, s1
	s_and_b32 exec_lo, exec_lo, s1
	s_cbranch_execz .LBB117_440
; %bb.435:
	v_cmp_ngt_f64_e64 s1, |v[213:214]|, |v[215:216]|
                                        ; implicit-def: $vgpr217_vgpr218
	s_and_saveexec_b32 s3, s1
	s_xor_b32 s1, exec_lo, s3
                                        ; implicit-def: $vgpr219_vgpr220
	s_cbranch_execz .LBB117_437
; %bb.436:
	v_div_scale_f64 v[217:218], null, v[215:216], v[215:216], v[213:214]
	v_div_scale_f64 v[223:224], vcc_lo, v[213:214], v[215:216], v[213:214]
	v_rcp_f64_e32 v[219:220], v[217:218]
	v_fma_f64 v[221:222], -v[217:218], v[219:220], 1.0
	v_fma_f64 v[219:220], v[219:220], v[221:222], v[219:220]
	v_fma_f64 v[221:222], -v[217:218], v[219:220], 1.0
	v_fma_f64 v[219:220], v[219:220], v[221:222], v[219:220]
	v_mul_f64 v[221:222], v[223:224], v[219:220]
	v_fma_f64 v[217:218], -v[217:218], v[221:222], v[223:224]
	v_div_fmas_f64 v[217:218], v[217:218], v[219:220], v[221:222]
	v_div_fixup_f64 v[217:218], v[217:218], v[215:216], v[213:214]
	v_fma_f64 v[213:214], v[213:214], v[217:218], v[215:216]
	v_div_scale_f64 v[215:216], null, v[213:214], v[213:214], 1.0
	v_rcp_f64_e32 v[219:220], v[215:216]
	v_fma_f64 v[221:222], -v[215:216], v[219:220], 1.0
	v_fma_f64 v[219:220], v[219:220], v[221:222], v[219:220]
	v_fma_f64 v[221:222], -v[215:216], v[219:220], 1.0
	v_fma_f64 v[219:220], v[219:220], v[221:222], v[219:220]
	v_div_scale_f64 v[221:222], vcc_lo, 1.0, v[213:214], 1.0
	v_mul_f64 v[223:224], v[221:222], v[219:220]
	v_fma_f64 v[215:216], -v[215:216], v[223:224], v[221:222]
	v_div_fmas_f64 v[215:216], v[215:216], v[219:220], v[223:224]
	v_div_fixup_f64 v[219:220], v[215:216], v[213:214], 1.0
                                        ; implicit-def: $vgpr213_vgpr214
	v_mul_f64 v[217:218], v[217:218], v[219:220]
	v_xor_b32_e32 v220, 0x80000000, v220
.LBB117_437:
	s_andn2_saveexec_b32 s1, s1
	s_cbranch_execz .LBB117_439
; %bb.438:
	v_div_scale_f64 v[217:218], null, v[213:214], v[213:214], v[215:216]
	v_div_scale_f64 v[223:224], vcc_lo, v[215:216], v[213:214], v[215:216]
	v_rcp_f64_e32 v[219:220], v[217:218]
	v_fma_f64 v[221:222], -v[217:218], v[219:220], 1.0
	v_fma_f64 v[219:220], v[219:220], v[221:222], v[219:220]
	v_fma_f64 v[221:222], -v[217:218], v[219:220], 1.0
	v_fma_f64 v[219:220], v[219:220], v[221:222], v[219:220]
	v_mul_f64 v[221:222], v[223:224], v[219:220]
	v_fma_f64 v[217:218], -v[217:218], v[221:222], v[223:224]
	v_div_fmas_f64 v[217:218], v[217:218], v[219:220], v[221:222]
	v_div_fixup_f64 v[219:220], v[217:218], v[213:214], v[215:216]
	v_fma_f64 v[213:214], v[215:216], v[219:220], v[213:214]
	v_div_scale_f64 v[215:216], null, v[213:214], v[213:214], 1.0
	v_rcp_f64_e32 v[217:218], v[215:216]
	v_fma_f64 v[221:222], -v[215:216], v[217:218], 1.0
	v_fma_f64 v[217:218], v[217:218], v[221:222], v[217:218]
	v_fma_f64 v[221:222], -v[215:216], v[217:218], 1.0
	v_fma_f64 v[217:218], v[217:218], v[221:222], v[217:218]
	v_div_scale_f64 v[221:222], vcc_lo, 1.0, v[213:214], 1.0
	v_mul_f64 v[223:224], v[221:222], v[217:218]
	v_fma_f64 v[215:216], -v[215:216], v[223:224], v[221:222]
	v_div_fmas_f64 v[215:216], v[215:216], v[217:218], v[223:224]
	v_div_fixup_f64 v[217:218], v[215:216], v[213:214], 1.0
	v_mul_f64 v[219:220], v[219:220], -v[217:218]
.LBB117_439:
	s_or_b32 exec_lo, exec_lo, s1
	ds_write2_b64 v255, v[217:218], v[219:220] offset1:1
.LBB117_440:
	s_or_b32 exec_lo, exec_lo, s2
	s_waitcnt lgkmcnt(0)
	s_barrier
	buffer_gl0_inv
	ds_read2_b64 v[193:196], v255 offset1:1
	s_mov_b32 s1, exec_lo
	s_waitcnt lgkmcnt(0)
	buffer_store_dword v193, off, s[16:19], 0 offset:1320 ; 4-byte Folded Spill
	buffer_store_dword v194, off, s[16:19], 0 offset:1324 ; 4-byte Folded Spill
	buffer_store_dword v195, off, s[16:19], 0 offset:1328 ; 4-byte Folded Spill
	buffer_store_dword v196, off, s[16:19], 0 offset:1332 ; 4-byte Folded Spill
	v_cmpx_lt_u32_e32 48, v0
	s_cbranch_execz .LBB117_442
; %bb.441:
	s_clause 0x3
	buffer_load_dword v193, off, s[16:19], 0 offset:1320
	buffer_load_dword v194, off, s[16:19], 0 offset:1324
	;; [unrolled: 1-line block ×4, first 2 shown]
	s_waitcnt vmcnt(2)
	v_mul_f64 v[213:214], v[193:194], v[43:44]
	s_waitcnt vmcnt(0)
	v_mul_f64 v[43:44], v[195:196], v[43:44]
	v_fma_f64 v[217:218], v[195:196], v[41:42], v[213:214]
	ds_read2_b64 v[213:216], v253 offset0:98 offset1:99
	v_fma_f64 v[41:42], v[193:194], v[41:42], -v[43:44]
	s_waitcnt lgkmcnt(0)
	v_mul_f64 v[43:44], v[215:216], v[217:218]
	v_fma_f64 v[43:44], v[213:214], v[41:42], -v[43:44]
	v_mul_f64 v[213:214], v[213:214], v[217:218]
	v_add_f64 v[37:38], v[37:38], -v[43:44]
	v_fma_f64 v[213:214], v[215:216], v[41:42], v[213:214]
	v_add_f64 v[39:40], v[39:40], -v[213:214]
	ds_read2_b64 v[213:216], v253 offset0:100 offset1:101
	s_waitcnt lgkmcnt(0)
	v_mul_f64 v[43:44], v[215:216], v[217:218]
	v_fma_f64 v[43:44], v[213:214], v[41:42], -v[43:44]
	v_mul_f64 v[213:214], v[213:214], v[217:218]
	v_add_f64 v[33:34], v[33:34], -v[43:44]
	v_fma_f64 v[213:214], v[215:216], v[41:42], v[213:214]
	v_add_f64 v[35:36], v[35:36], -v[213:214]
	ds_read2_b64 v[213:216], v253 offset0:102 offset1:103
	;; [unrolled: 8-line block ×9, first 2 shown]
	s_waitcnt lgkmcnt(0)
	v_mul_f64 v[43:44], v[215:216], v[217:218]
	v_fma_f64 v[43:44], v[213:214], v[41:42], -v[43:44]
	v_mul_f64 v[213:214], v[213:214], v[217:218]
	v_add_f64 v[1:2], v[1:2], -v[43:44]
	v_fma_f64 v[213:214], v[215:216], v[41:42], v[213:214]
	v_mov_b32_e32 v43, v217
	v_mov_b32_e32 v44, v218
	v_add_f64 v[3:4], v[3:4], -v[213:214]
.LBB117_442:
	s_or_b32 exec_lo, exec_lo, s1
	s_mov_b32 s2, exec_lo
	s_waitcnt_vscnt null, 0x0
	s_barrier
	buffer_gl0_inv
	v_cmpx_eq_u32_e32 49, v0
	s_cbranch_execz .LBB117_449
; %bb.443:
	ds_write2_b64 v255, v[37:38], v[39:40] offset1:1
	ds_write2_b64 v253, v[33:34], v[35:36] offset0:100 offset1:101
	ds_write2_b64 v253, v[29:30], v[31:32] offset0:102 offset1:103
	ds_write2_b64 v253, v[25:26], v[27:28] offset0:104 offset1:105
	ds_write2_b64 v253, v[21:22], v[23:24] offset0:106 offset1:107
	ds_write2_b64 v253, v[17:18], v[19:20] offset0:108 offset1:109
	ds_write2_b64 v253, v[13:14], v[15:16] offset0:110 offset1:111
	ds_write2_b64 v253, v[9:10], v[11:12] offset0:112 offset1:113
	ds_write2_b64 v253, v[5:6], v[7:8] offset0:114 offset1:115
	ds_write2_b64 v253, v[1:2], v[3:4] offset0:116 offset1:117
	ds_read2_b64 v[213:216], v255 offset1:1
	s_waitcnt lgkmcnt(0)
	v_cmp_neq_f64_e32 vcc_lo, 0, v[213:214]
	v_cmp_neq_f64_e64 s1, 0, v[215:216]
	s_or_b32 s1, vcc_lo, s1
	s_and_b32 exec_lo, exec_lo, s1
	s_cbranch_execz .LBB117_449
; %bb.444:
	v_cmp_ngt_f64_e64 s1, |v[213:214]|, |v[215:216]|
                                        ; implicit-def: $vgpr217_vgpr218
	s_and_saveexec_b32 s3, s1
	s_xor_b32 s1, exec_lo, s3
                                        ; implicit-def: $vgpr219_vgpr220
	s_cbranch_execz .LBB117_446
; %bb.445:
	v_div_scale_f64 v[217:218], null, v[215:216], v[215:216], v[213:214]
	v_div_scale_f64 v[223:224], vcc_lo, v[213:214], v[215:216], v[213:214]
	v_rcp_f64_e32 v[219:220], v[217:218]
	v_fma_f64 v[221:222], -v[217:218], v[219:220], 1.0
	v_fma_f64 v[219:220], v[219:220], v[221:222], v[219:220]
	v_fma_f64 v[221:222], -v[217:218], v[219:220], 1.0
	v_fma_f64 v[219:220], v[219:220], v[221:222], v[219:220]
	v_mul_f64 v[221:222], v[223:224], v[219:220]
	v_fma_f64 v[217:218], -v[217:218], v[221:222], v[223:224]
	v_div_fmas_f64 v[217:218], v[217:218], v[219:220], v[221:222]
	v_div_fixup_f64 v[217:218], v[217:218], v[215:216], v[213:214]
	v_fma_f64 v[213:214], v[213:214], v[217:218], v[215:216]
	v_div_scale_f64 v[215:216], null, v[213:214], v[213:214], 1.0
	v_rcp_f64_e32 v[219:220], v[215:216]
	v_fma_f64 v[221:222], -v[215:216], v[219:220], 1.0
	v_fma_f64 v[219:220], v[219:220], v[221:222], v[219:220]
	v_fma_f64 v[221:222], -v[215:216], v[219:220], 1.0
	v_fma_f64 v[219:220], v[219:220], v[221:222], v[219:220]
	v_div_scale_f64 v[221:222], vcc_lo, 1.0, v[213:214], 1.0
	v_mul_f64 v[223:224], v[221:222], v[219:220]
	v_fma_f64 v[215:216], -v[215:216], v[223:224], v[221:222]
	v_div_fmas_f64 v[215:216], v[215:216], v[219:220], v[223:224]
	v_div_fixup_f64 v[219:220], v[215:216], v[213:214], 1.0
                                        ; implicit-def: $vgpr213_vgpr214
	v_mul_f64 v[217:218], v[217:218], v[219:220]
	v_xor_b32_e32 v220, 0x80000000, v220
.LBB117_446:
	s_andn2_saveexec_b32 s1, s1
	s_cbranch_execz .LBB117_448
; %bb.447:
	v_div_scale_f64 v[217:218], null, v[213:214], v[213:214], v[215:216]
	v_div_scale_f64 v[223:224], vcc_lo, v[215:216], v[213:214], v[215:216]
	v_rcp_f64_e32 v[219:220], v[217:218]
	v_fma_f64 v[221:222], -v[217:218], v[219:220], 1.0
	v_fma_f64 v[219:220], v[219:220], v[221:222], v[219:220]
	v_fma_f64 v[221:222], -v[217:218], v[219:220], 1.0
	v_fma_f64 v[219:220], v[219:220], v[221:222], v[219:220]
	v_mul_f64 v[221:222], v[223:224], v[219:220]
	v_fma_f64 v[217:218], -v[217:218], v[221:222], v[223:224]
	v_div_fmas_f64 v[217:218], v[217:218], v[219:220], v[221:222]
	v_div_fixup_f64 v[219:220], v[217:218], v[213:214], v[215:216]
	v_fma_f64 v[213:214], v[215:216], v[219:220], v[213:214]
	v_div_scale_f64 v[215:216], null, v[213:214], v[213:214], 1.0
	v_rcp_f64_e32 v[217:218], v[215:216]
	v_fma_f64 v[221:222], -v[215:216], v[217:218], 1.0
	v_fma_f64 v[217:218], v[217:218], v[221:222], v[217:218]
	v_fma_f64 v[221:222], -v[215:216], v[217:218], 1.0
	v_fma_f64 v[217:218], v[217:218], v[221:222], v[217:218]
	v_div_scale_f64 v[221:222], vcc_lo, 1.0, v[213:214], 1.0
	v_mul_f64 v[223:224], v[221:222], v[217:218]
	v_fma_f64 v[215:216], -v[215:216], v[223:224], v[221:222]
	v_div_fmas_f64 v[215:216], v[215:216], v[217:218], v[223:224]
	v_div_fixup_f64 v[217:218], v[215:216], v[213:214], 1.0
	v_mul_f64 v[219:220], v[219:220], -v[217:218]
.LBB117_448:
	s_or_b32 exec_lo, exec_lo, s1
	ds_write2_b64 v255, v[217:218], v[219:220] offset1:1
.LBB117_449:
	s_or_b32 exec_lo, exec_lo, s2
	s_waitcnt lgkmcnt(0)
	s_barrier
	buffer_gl0_inv
	ds_read2_b64 v[193:196], v255 offset1:1
	s_mov_b32 s1, exec_lo
	s_waitcnt lgkmcnt(0)
	buffer_store_dword v193, off, s[16:19], 0 offset:1336 ; 4-byte Folded Spill
	buffer_store_dword v194, off, s[16:19], 0 offset:1340 ; 4-byte Folded Spill
	;; [unrolled: 1-line block ×4, first 2 shown]
	v_cmpx_lt_u32_e32 49, v0
	s_cbranch_execz .LBB117_451
; %bb.450:
	s_clause 0x3
	buffer_load_dword v193, off, s[16:19], 0 offset:1336
	buffer_load_dword v194, off, s[16:19], 0 offset:1340
	;; [unrolled: 1-line block ×4, first 2 shown]
	s_waitcnt vmcnt(2)
	v_mul_f64 v[213:214], v[193:194], v[39:40]
	s_waitcnt vmcnt(0)
	v_mul_f64 v[39:40], v[195:196], v[39:40]
	v_fma_f64 v[217:218], v[195:196], v[37:38], v[213:214]
	ds_read2_b64 v[213:216], v253 offset0:100 offset1:101
	v_fma_f64 v[37:38], v[193:194], v[37:38], -v[39:40]
	s_waitcnt lgkmcnt(0)
	v_mul_f64 v[39:40], v[215:216], v[217:218]
	v_fma_f64 v[39:40], v[213:214], v[37:38], -v[39:40]
	v_mul_f64 v[213:214], v[213:214], v[217:218]
	v_add_f64 v[33:34], v[33:34], -v[39:40]
	v_fma_f64 v[213:214], v[215:216], v[37:38], v[213:214]
	v_add_f64 v[35:36], v[35:36], -v[213:214]
	ds_read2_b64 v[213:216], v253 offset0:102 offset1:103
	s_waitcnt lgkmcnt(0)
	v_mul_f64 v[39:40], v[215:216], v[217:218]
	v_fma_f64 v[39:40], v[213:214], v[37:38], -v[39:40]
	v_mul_f64 v[213:214], v[213:214], v[217:218]
	v_add_f64 v[29:30], v[29:30], -v[39:40]
	v_fma_f64 v[213:214], v[215:216], v[37:38], v[213:214]
	v_add_f64 v[31:32], v[31:32], -v[213:214]
	ds_read2_b64 v[213:216], v253 offset0:104 offset1:105
	;; [unrolled: 8-line block ×8, first 2 shown]
	s_waitcnt lgkmcnt(0)
	v_mul_f64 v[39:40], v[215:216], v[217:218]
	v_fma_f64 v[39:40], v[213:214], v[37:38], -v[39:40]
	v_mul_f64 v[213:214], v[213:214], v[217:218]
	v_add_f64 v[1:2], v[1:2], -v[39:40]
	v_fma_f64 v[213:214], v[215:216], v[37:38], v[213:214]
	v_mov_b32_e32 v39, v217
	v_mov_b32_e32 v40, v218
	v_add_f64 v[3:4], v[3:4], -v[213:214]
.LBB117_451:
	s_or_b32 exec_lo, exec_lo, s1
	s_mov_b32 s2, exec_lo
	s_waitcnt_vscnt null, 0x0
	s_barrier
	buffer_gl0_inv
	v_cmpx_eq_u32_e32 50, v0
	s_cbranch_execz .LBB117_458
; %bb.452:
	ds_write2_b64 v255, v[33:34], v[35:36] offset1:1
	ds_write2_b64 v253, v[29:30], v[31:32] offset0:102 offset1:103
	ds_write2_b64 v253, v[25:26], v[27:28] offset0:104 offset1:105
	;; [unrolled: 1-line block ×8, first 2 shown]
	ds_read2_b64 v[213:216], v255 offset1:1
	s_waitcnt lgkmcnt(0)
	v_cmp_neq_f64_e32 vcc_lo, 0, v[213:214]
	v_cmp_neq_f64_e64 s1, 0, v[215:216]
	s_or_b32 s1, vcc_lo, s1
	s_and_b32 exec_lo, exec_lo, s1
	s_cbranch_execz .LBB117_458
; %bb.453:
	v_cmp_ngt_f64_e64 s1, |v[213:214]|, |v[215:216]|
                                        ; implicit-def: $vgpr217_vgpr218
	s_and_saveexec_b32 s3, s1
	s_xor_b32 s1, exec_lo, s3
                                        ; implicit-def: $vgpr219_vgpr220
	s_cbranch_execz .LBB117_455
; %bb.454:
	v_div_scale_f64 v[217:218], null, v[215:216], v[215:216], v[213:214]
	v_div_scale_f64 v[223:224], vcc_lo, v[213:214], v[215:216], v[213:214]
	v_rcp_f64_e32 v[219:220], v[217:218]
	v_fma_f64 v[221:222], -v[217:218], v[219:220], 1.0
	v_fma_f64 v[219:220], v[219:220], v[221:222], v[219:220]
	v_fma_f64 v[221:222], -v[217:218], v[219:220], 1.0
	v_fma_f64 v[219:220], v[219:220], v[221:222], v[219:220]
	v_mul_f64 v[221:222], v[223:224], v[219:220]
	v_fma_f64 v[217:218], -v[217:218], v[221:222], v[223:224]
	v_div_fmas_f64 v[217:218], v[217:218], v[219:220], v[221:222]
	v_div_fixup_f64 v[217:218], v[217:218], v[215:216], v[213:214]
	v_fma_f64 v[213:214], v[213:214], v[217:218], v[215:216]
	v_div_scale_f64 v[215:216], null, v[213:214], v[213:214], 1.0
	v_rcp_f64_e32 v[219:220], v[215:216]
	v_fma_f64 v[221:222], -v[215:216], v[219:220], 1.0
	v_fma_f64 v[219:220], v[219:220], v[221:222], v[219:220]
	v_fma_f64 v[221:222], -v[215:216], v[219:220], 1.0
	v_fma_f64 v[219:220], v[219:220], v[221:222], v[219:220]
	v_div_scale_f64 v[221:222], vcc_lo, 1.0, v[213:214], 1.0
	v_mul_f64 v[223:224], v[221:222], v[219:220]
	v_fma_f64 v[215:216], -v[215:216], v[223:224], v[221:222]
	v_div_fmas_f64 v[215:216], v[215:216], v[219:220], v[223:224]
	v_div_fixup_f64 v[219:220], v[215:216], v[213:214], 1.0
                                        ; implicit-def: $vgpr213_vgpr214
	v_mul_f64 v[217:218], v[217:218], v[219:220]
	v_xor_b32_e32 v220, 0x80000000, v220
.LBB117_455:
	s_andn2_saveexec_b32 s1, s1
	s_cbranch_execz .LBB117_457
; %bb.456:
	v_div_scale_f64 v[217:218], null, v[213:214], v[213:214], v[215:216]
	v_div_scale_f64 v[223:224], vcc_lo, v[215:216], v[213:214], v[215:216]
	v_rcp_f64_e32 v[219:220], v[217:218]
	v_fma_f64 v[221:222], -v[217:218], v[219:220], 1.0
	v_fma_f64 v[219:220], v[219:220], v[221:222], v[219:220]
	v_fma_f64 v[221:222], -v[217:218], v[219:220], 1.0
	v_fma_f64 v[219:220], v[219:220], v[221:222], v[219:220]
	v_mul_f64 v[221:222], v[223:224], v[219:220]
	v_fma_f64 v[217:218], -v[217:218], v[221:222], v[223:224]
	v_div_fmas_f64 v[217:218], v[217:218], v[219:220], v[221:222]
	v_div_fixup_f64 v[219:220], v[217:218], v[213:214], v[215:216]
	v_fma_f64 v[213:214], v[215:216], v[219:220], v[213:214]
	v_div_scale_f64 v[215:216], null, v[213:214], v[213:214], 1.0
	v_rcp_f64_e32 v[217:218], v[215:216]
	v_fma_f64 v[221:222], -v[215:216], v[217:218], 1.0
	v_fma_f64 v[217:218], v[217:218], v[221:222], v[217:218]
	v_fma_f64 v[221:222], -v[215:216], v[217:218], 1.0
	v_fma_f64 v[217:218], v[217:218], v[221:222], v[217:218]
	v_div_scale_f64 v[221:222], vcc_lo, 1.0, v[213:214], 1.0
	v_mul_f64 v[223:224], v[221:222], v[217:218]
	v_fma_f64 v[215:216], -v[215:216], v[223:224], v[221:222]
	v_div_fmas_f64 v[215:216], v[215:216], v[217:218], v[223:224]
	v_div_fixup_f64 v[217:218], v[215:216], v[213:214], 1.0
	v_mul_f64 v[219:220], v[219:220], -v[217:218]
.LBB117_457:
	s_or_b32 exec_lo, exec_lo, s1
	ds_write2_b64 v255, v[217:218], v[219:220] offset1:1
.LBB117_458:
	s_or_b32 exec_lo, exec_lo, s2
	s_waitcnt lgkmcnt(0)
	s_barrier
	buffer_gl0_inv
	ds_read2_b64 v[193:196], v255 offset1:1
	s_mov_b32 s1, exec_lo
	s_waitcnt lgkmcnt(0)
	buffer_store_dword v193, off, s[16:19], 0 offset:1352 ; 4-byte Folded Spill
	buffer_store_dword v194, off, s[16:19], 0 offset:1356 ; 4-byte Folded Spill
	;; [unrolled: 1-line block ×4, first 2 shown]
	v_cmpx_lt_u32_e32 50, v0
	s_cbranch_execz .LBB117_460
; %bb.459:
	s_clause 0x3
	buffer_load_dword v193, off, s[16:19], 0 offset:1352
	buffer_load_dword v194, off, s[16:19], 0 offset:1356
	;; [unrolled: 1-line block ×4, first 2 shown]
	s_waitcnt vmcnt(2)
	v_mul_f64 v[213:214], v[193:194], v[35:36]
	s_waitcnt vmcnt(0)
	v_mul_f64 v[35:36], v[195:196], v[35:36]
	v_fma_f64 v[217:218], v[195:196], v[33:34], v[213:214]
	ds_read2_b64 v[213:216], v253 offset0:102 offset1:103
	v_fma_f64 v[33:34], v[193:194], v[33:34], -v[35:36]
	s_waitcnt lgkmcnt(0)
	v_mul_f64 v[35:36], v[215:216], v[217:218]
	v_fma_f64 v[35:36], v[213:214], v[33:34], -v[35:36]
	v_mul_f64 v[213:214], v[213:214], v[217:218]
	v_add_f64 v[29:30], v[29:30], -v[35:36]
	v_fma_f64 v[213:214], v[215:216], v[33:34], v[213:214]
	v_add_f64 v[31:32], v[31:32], -v[213:214]
	ds_read2_b64 v[213:216], v253 offset0:104 offset1:105
	s_waitcnt lgkmcnt(0)
	v_mul_f64 v[35:36], v[215:216], v[217:218]
	v_fma_f64 v[35:36], v[213:214], v[33:34], -v[35:36]
	v_mul_f64 v[213:214], v[213:214], v[217:218]
	v_add_f64 v[25:26], v[25:26], -v[35:36]
	v_fma_f64 v[213:214], v[215:216], v[33:34], v[213:214]
	v_add_f64 v[27:28], v[27:28], -v[213:214]
	ds_read2_b64 v[213:216], v253 offset0:106 offset1:107
	;; [unrolled: 8-line block ×7, first 2 shown]
	s_waitcnt lgkmcnt(0)
	v_mul_f64 v[35:36], v[215:216], v[217:218]
	v_fma_f64 v[35:36], v[213:214], v[33:34], -v[35:36]
	v_mul_f64 v[213:214], v[213:214], v[217:218]
	v_add_f64 v[1:2], v[1:2], -v[35:36]
	v_fma_f64 v[213:214], v[215:216], v[33:34], v[213:214]
	v_mov_b32_e32 v35, v217
	v_mov_b32_e32 v36, v218
	v_add_f64 v[3:4], v[3:4], -v[213:214]
.LBB117_460:
	s_or_b32 exec_lo, exec_lo, s1
	s_mov_b32 s2, exec_lo
	s_waitcnt_vscnt null, 0x0
	s_barrier
	buffer_gl0_inv
	v_cmpx_eq_u32_e32 51, v0
	s_cbranch_execz .LBB117_467
; %bb.461:
	ds_write2_b64 v255, v[29:30], v[31:32] offset1:1
	ds_write2_b64 v253, v[25:26], v[27:28] offset0:104 offset1:105
	ds_write2_b64 v253, v[21:22], v[23:24] offset0:106 offset1:107
	;; [unrolled: 1-line block ×7, first 2 shown]
	ds_read2_b64 v[213:216], v255 offset1:1
	s_waitcnt lgkmcnt(0)
	v_cmp_neq_f64_e32 vcc_lo, 0, v[213:214]
	v_cmp_neq_f64_e64 s1, 0, v[215:216]
	s_or_b32 s1, vcc_lo, s1
	s_and_b32 exec_lo, exec_lo, s1
	s_cbranch_execz .LBB117_467
; %bb.462:
	v_cmp_ngt_f64_e64 s1, |v[213:214]|, |v[215:216]|
                                        ; implicit-def: $vgpr217_vgpr218
	s_and_saveexec_b32 s3, s1
	s_xor_b32 s1, exec_lo, s3
                                        ; implicit-def: $vgpr219_vgpr220
	s_cbranch_execz .LBB117_464
; %bb.463:
	v_div_scale_f64 v[217:218], null, v[215:216], v[215:216], v[213:214]
	v_div_scale_f64 v[223:224], vcc_lo, v[213:214], v[215:216], v[213:214]
	v_rcp_f64_e32 v[219:220], v[217:218]
	v_fma_f64 v[221:222], -v[217:218], v[219:220], 1.0
	v_fma_f64 v[219:220], v[219:220], v[221:222], v[219:220]
	v_fma_f64 v[221:222], -v[217:218], v[219:220], 1.0
	v_fma_f64 v[219:220], v[219:220], v[221:222], v[219:220]
	v_mul_f64 v[221:222], v[223:224], v[219:220]
	v_fma_f64 v[217:218], -v[217:218], v[221:222], v[223:224]
	v_div_fmas_f64 v[217:218], v[217:218], v[219:220], v[221:222]
	v_div_fixup_f64 v[217:218], v[217:218], v[215:216], v[213:214]
	v_fma_f64 v[213:214], v[213:214], v[217:218], v[215:216]
	v_div_scale_f64 v[215:216], null, v[213:214], v[213:214], 1.0
	v_rcp_f64_e32 v[219:220], v[215:216]
	v_fma_f64 v[221:222], -v[215:216], v[219:220], 1.0
	v_fma_f64 v[219:220], v[219:220], v[221:222], v[219:220]
	v_fma_f64 v[221:222], -v[215:216], v[219:220], 1.0
	v_fma_f64 v[219:220], v[219:220], v[221:222], v[219:220]
	v_div_scale_f64 v[221:222], vcc_lo, 1.0, v[213:214], 1.0
	v_mul_f64 v[223:224], v[221:222], v[219:220]
	v_fma_f64 v[215:216], -v[215:216], v[223:224], v[221:222]
	v_div_fmas_f64 v[215:216], v[215:216], v[219:220], v[223:224]
	v_div_fixup_f64 v[219:220], v[215:216], v[213:214], 1.0
                                        ; implicit-def: $vgpr213_vgpr214
	v_mul_f64 v[217:218], v[217:218], v[219:220]
	v_xor_b32_e32 v220, 0x80000000, v220
.LBB117_464:
	s_andn2_saveexec_b32 s1, s1
	s_cbranch_execz .LBB117_466
; %bb.465:
	v_div_scale_f64 v[217:218], null, v[213:214], v[213:214], v[215:216]
	v_div_scale_f64 v[223:224], vcc_lo, v[215:216], v[213:214], v[215:216]
	v_rcp_f64_e32 v[219:220], v[217:218]
	v_fma_f64 v[221:222], -v[217:218], v[219:220], 1.0
	v_fma_f64 v[219:220], v[219:220], v[221:222], v[219:220]
	v_fma_f64 v[221:222], -v[217:218], v[219:220], 1.0
	v_fma_f64 v[219:220], v[219:220], v[221:222], v[219:220]
	v_mul_f64 v[221:222], v[223:224], v[219:220]
	v_fma_f64 v[217:218], -v[217:218], v[221:222], v[223:224]
	v_div_fmas_f64 v[217:218], v[217:218], v[219:220], v[221:222]
	v_div_fixup_f64 v[219:220], v[217:218], v[213:214], v[215:216]
	v_fma_f64 v[213:214], v[215:216], v[219:220], v[213:214]
	v_div_scale_f64 v[215:216], null, v[213:214], v[213:214], 1.0
	v_rcp_f64_e32 v[217:218], v[215:216]
	v_fma_f64 v[221:222], -v[215:216], v[217:218], 1.0
	v_fma_f64 v[217:218], v[217:218], v[221:222], v[217:218]
	v_fma_f64 v[221:222], -v[215:216], v[217:218], 1.0
	v_fma_f64 v[217:218], v[217:218], v[221:222], v[217:218]
	v_div_scale_f64 v[221:222], vcc_lo, 1.0, v[213:214], 1.0
	v_mul_f64 v[223:224], v[221:222], v[217:218]
	v_fma_f64 v[215:216], -v[215:216], v[223:224], v[221:222]
	v_div_fmas_f64 v[215:216], v[215:216], v[217:218], v[223:224]
	v_div_fixup_f64 v[217:218], v[215:216], v[213:214], 1.0
	v_mul_f64 v[219:220], v[219:220], -v[217:218]
.LBB117_466:
	s_or_b32 exec_lo, exec_lo, s1
	ds_write2_b64 v255, v[217:218], v[219:220] offset1:1
.LBB117_467:
	s_or_b32 exec_lo, exec_lo, s2
	s_waitcnt lgkmcnt(0)
	s_barrier
	buffer_gl0_inv
	ds_read2_b64 v[193:196], v255 offset1:1
	s_mov_b32 s1, exec_lo
	s_waitcnt lgkmcnt(0)
	buffer_store_dword v193, off, s[16:19], 0 offset:1368 ; 4-byte Folded Spill
	buffer_store_dword v194, off, s[16:19], 0 offset:1372 ; 4-byte Folded Spill
	;; [unrolled: 1-line block ×4, first 2 shown]
	v_cmpx_lt_u32_e32 51, v0
	s_cbranch_execz .LBB117_469
; %bb.468:
	s_clause 0x3
	buffer_load_dword v193, off, s[16:19], 0 offset:1368
	buffer_load_dword v194, off, s[16:19], 0 offset:1372
	;; [unrolled: 1-line block ×4, first 2 shown]
	s_waitcnt vmcnt(2)
	v_mul_f64 v[213:214], v[193:194], v[31:32]
	s_waitcnt vmcnt(0)
	v_mul_f64 v[31:32], v[195:196], v[31:32]
	v_fma_f64 v[217:218], v[195:196], v[29:30], v[213:214]
	ds_read2_b64 v[213:216], v253 offset0:104 offset1:105
	v_fma_f64 v[29:30], v[193:194], v[29:30], -v[31:32]
	s_waitcnt lgkmcnt(0)
	v_mul_f64 v[31:32], v[215:216], v[217:218]
	v_fma_f64 v[31:32], v[213:214], v[29:30], -v[31:32]
	v_mul_f64 v[213:214], v[213:214], v[217:218]
	v_add_f64 v[25:26], v[25:26], -v[31:32]
	v_fma_f64 v[213:214], v[215:216], v[29:30], v[213:214]
	v_add_f64 v[27:28], v[27:28], -v[213:214]
	ds_read2_b64 v[213:216], v253 offset0:106 offset1:107
	s_waitcnt lgkmcnt(0)
	v_mul_f64 v[31:32], v[215:216], v[217:218]
	v_fma_f64 v[31:32], v[213:214], v[29:30], -v[31:32]
	v_mul_f64 v[213:214], v[213:214], v[217:218]
	v_add_f64 v[21:22], v[21:22], -v[31:32]
	v_fma_f64 v[213:214], v[215:216], v[29:30], v[213:214]
	v_add_f64 v[23:24], v[23:24], -v[213:214]
	ds_read2_b64 v[213:216], v253 offset0:108 offset1:109
	;; [unrolled: 8-line block ×6, first 2 shown]
	s_waitcnt lgkmcnt(0)
	v_mul_f64 v[31:32], v[215:216], v[217:218]
	v_fma_f64 v[31:32], v[213:214], v[29:30], -v[31:32]
	v_mul_f64 v[213:214], v[213:214], v[217:218]
	v_add_f64 v[1:2], v[1:2], -v[31:32]
	v_fma_f64 v[213:214], v[215:216], v[29:30], v[213:214]
	v_mov_b32_e32 v31, v217
	v_mov_b32_e32 v32, v218
	v_add_f64 v[3:4], v[3:4], -v[213:214]
.LBB117_469:
	s_or_b32 exec_lo, exec_lo, s1
	s_mov_b32 s2, exec_lo
	s_waitcnt_vscnt null, 0x0
	s_barrier
	buffer_gl0_inv
	v_cmpx_eq_u32_e32 52, v0
	s_cbranch_execz .LBB117_476
; %bb.470:
	ds_write2_b64 v255, v[25:26], v[27:28] offset1:1
	ds_write2_b64 v253, v[21:22], v[23:24] offset0:106 offset1:107
	ds_write2_b64 v253, v[17:18], v[19:20] offset0:108 offset1:109
	;; [unrolled: 1-line block ×6, first 2 shown]
	ds_read2_b64 v[213:216], v255 offset1:1
	s_waitcnt lgkmcnt(0)
	v_cmp_neq_f64_e32 vcc_lo, 0, v[213:214]
	v_cmp_neq_f64_e64 s1, 0, v[215:216]
	s_or_b32 s1, vcc_lo, s1
	s_and_b32 exec_lo, exec_lo, s1
	s_cbranch_execz .LBB117_476
; %bb.471:
	v_cmp_ngt_f64_e64 s1, |v[213:214]|, |v[215:216]|
                                        ; implicit-def: $vgpr217_vgpr218
	s_and_saveexec_b32 s3, s1
	s_xor_b32 s1, exec_lo, s3
                                        ; implicit-def: $vgpr219_vgpr220
	s_cbranch_execz .LBB117_473
; %bb.472:
	v_div_scale_f64 v[217:218], null, v[215:216], v[215:216], v[213:214]
	v_div_scale_f64 v[223:224], vcc_lo, v[213:214], v[215:216], v[213:214]
	v_rcp_f64_e32 v[219:220], v[217:218]
	v_fma_f64 v[221:222], -v[217:218], v[219:220], 1.0
	v_fma_f64 v[219:220], v[219:220], v[221:222], v[219:220]
	v_fma_f64 v[221:222], -v[217:218], v[219:220], 1.0
	v_fma_f64 v[219:220], v[219:220], v[221:222], v[219:220]
	v_mul_f64 v[221:222], v[223:224], v[219:220]
	v_fma_f64 v[217:218], -v[217:218], v[221:222], v[223:224]
	v_div_fmas_f64 v[217:218], v[217:218], v[219:220], v[221:222]
	v_div_fixup_f64 v[217:218], v[217:218], v[215:216], v[213:214]
	v_fma_f64 v[213:214], v[213:214], v[217:218], v[215:216]
	v_div_scale_f64 v[215:216], null, v[213:214], v[213:214], 1.0
	v_rcp_f64_e32 v[219:220], v[215:216]
	v_fma_f64 v[221:222], -v[215:216], v[219:220], 1.0
	v_fma_f64 v[219:220], v[219:220], v[221:222], v[219:220]
	v_fma_f64 v[221:222], -v[215:216], v[219:220], 1.0
	v_fma_f64 v[219:220], v[219:220], v[221:222], v[219:220]
	v_div_scale_f64 v[221:222], vcc_lo, 1.0, v[213:214], 1.0
	v_mul_f64 v[223:224], v[221:222], v[219:220]
	v_fma_f64 v[215:216], -v[215:216], v[223:224], v[221:222]
	v_div_fmas_f64 v[215:216], v[215:216], v[219:220], v[223:224]
	v_div_fixup_f64 v[219:220], v[215:216], v[213:214], 1.0
                                        ; implicit-def: $vgpr213_vgpr214
	v_mul_f64 v[217:218], v[217:218], v[219:220]
	v_xor_b32_e32 v220, 0x80000000, v220
.LBB117_473:
	s_andn2_saveexec_b32 s1, s1
	s_cbranch_execz .LBB117_475
; %bb.474:
	v_div_scale_f64 v[217:218], null, v[213:214], v[213:214], v[215:216]
	v_div_scale_f64 v[223:224], vcc_lo, v[215:216], v[213:214], v[215:216]
	v_rcp_f64_e32 v[219:220], v[217:218]
	v_fma_f64 v[221:222], -v[217:218], v[219:220], 1.0
	v_fma_f64 v[219:220], v[219:220], v[221:222], v[219:220]
	v_fma_f64 v[221:222], -v[217:218], v[219:220], 1.0
	v_fma_f64 v[219:220], v[219:220], v[221:222], v[219:220]
	v_mul_f64 v[221:222], v[223:224], v[219:220]
	v_fma_f64 v[217:218], -v[217:218], v[221:222], v[223:224]
	v_div_fmas_f64 v[217:218], v[217:218], v[219:220], v[221:222]
	v_div_fixup_f64 v[219:220], v[217:218], v[213:214], v[215:216]
	v_fma_f64 v[213:214], v[215:216], v[219:220], v[213:214]
	v_div_scale_f64 v[215:216], null, v[213:214], v[213:214], 1.0
	v_rcp_f64_e32 v[217:218], v[215:216]
	v_fma_f64 v[221:222], -v[215:216], v[217:218], 1.0
	v_fma_f64 v[217:218], v[217:218], v[221:222], v[217:218]
	v_fma_f64 v[221:222], -v[215:216], v[217:218], 1.0
	v_fma_f64 v[217:218], v[217:218], v[221:222], v[217:218]
	v_div_scale_f64 v[221:222], vcc_lo, 1.0, v[213:214], 1.0
	v_mul_f64 v[223:224], v[221:222], v[217:218]
	v_fma_f64 v[215:216], -v[215:216], v[223:224], v[221:222]
	v_div_fmas_f64 v[215:216], v[215:216], v[217:218], v[223:224]
	v_div_fixup_f64 v[217:218], v[215:216], v[213:214], 1.0
	v_mul_f64 v[219:220], v[219:220], -v[217:218]
.LBB117_475:
	s_or_b32 exec_lo, exec_lo, s1
	ds_write2_b64 v255, v[217:218], v[219:220] offset1:1
.LBB117_476:
	s_or_b32 exec_lo, exec_lo, s2
	s_waitcnt lgkmcnt(0)
	s_barrier
	buffer_gl0_inv
	ds_read2_b64 v[193:196], v255 offset1:1
	s_mov_b32 s1, exec_lo
	s_waitcnt lgkmcnt(0)
	buffer_store_dword v193, off, s[16:19], 0 offset:1384 ; 4-byte Folded Spill
	buffer_store_dword v194, off, s[16:19], 0 offset:1388 ; 4-byte Folded Spill
	;; [unrolled: 1-line block ×4, first 2 shown]
	v_cmpx_lt_u32_e32 52, v0
	s_cbranch_execz .LBB117_478
; %bb.477:
	s_clause 0x3
	buffer_load_dword v193, off, s[16:19], 0 offset:1384
	buffer_load_dword v194, off, s[16:19], 0 offset:1388
	;; [unrolled: 1-line block ×4, first 2 shown]
	s_waitcnt vmcnt(2)
	v_mul_f64 v[213:214], v[193:194], v[27:28]
	s_waitcnt vmcnt(0)
	v_mul_f64 v[27:28], v[195:196], v[27:28]
	v_fma_f64 v[217:218], v[195:196], v[25:26], v[213:214]
	ds_read2_b64 v[213:216], v253 offset0:106 offset1:107
	v_fma_f64 v[25:26], v[193:194], v[25:26], -v[27:28]
	s_waitcnt lgkmcnt(0)
	v_mul_f64 v[27:28], v[215:216], v[217:218]
	v_fma_f64 v[27:28], v[213:214], v[25:26], -v[27:28]
	v_mul_f64 v[213:214], v[213:214], v[217:218]
	v_add_f64 v[21:22], v[21:22], -v[27:28]
	v_fma_f64 v[213:214], v[215:216], v[25:26], v[213:214]
	v_add_f64 v[23:24], v[23:24], -v[213:214]
	ds_read2_b64 v[213:216], v253 offset0:108 offset1:109
	s_waitcnt lgkmcnt(0)
	v_mul_f64 v[27:28], v[215:216], v[217:218]
	v_fma_f64 v[27:28], v[213:214], v[25:26], -v[27:28]
	v_mul_f64 v[213:214], v[213:214], v[217:218]
	v_add_f64 v[17:18], v[17:18], -v[27:28]
	v_fma_f64 v[213:214], v[215:216], v[25:26], v[213:214]
	v_add_f64 v[19:20], v[19:20], -v[213:214]
	ds_read2_b64 v[213:216], v253 offset0:110 offset1:111
	;; [unrolled: 8-line block ×5, first 2 shown]
	s_waitcnt lgkmcnt(0)
	v_mul_f64 v[27:28], v[215:216], v[217:218]
	v_fma_f64 v[27:28], v[213:214], v[25:26], -v[27:28]
	v_mul_f64 v[213:214], v[213:214], v[217:218]
	v_add_f64 v[1:2], v[1:2], -v[27:28]
	v_fma_f64 v[213:214], v[215:216], v[25:26], v[213:214]
	v_mov_b32_e32 v27, v217
	v_mov_b32_e32 v28, v218
	v_add_f64 v[3:4], v[3:4], -v[213:214]
.LBB117_478:
	s_or_b32 exec_lo, exec_lo, s1
	s_mov_b32 s2, exec_lo
	s_waitcnt_vscnt null, 0x0
	s_barrier
	buffer_gl0_inv
	v_cmpx_eq_u32_e32 53, v0
	s_cbranch_execz .LBB117_485
; %bb.479:
	ds_write2_b64 v255, v[21:22], v[23:24] offset1:1
	ds_write2_b64 v253, v[17:18], v[19:20] offset0:108 offset1:109
	ds_write2_b64 v253, v[13:14], v[15:16] offset0:110 offset1:111
	ds_write2_b64 v253, v[9:10], v[11:12] offset0:112 offset1:113
	ds_write2_b64 v253, v[5:6], v[7:8] offset0:114 offset1:115
	ds_write2_b64 v253, v[1:2], v[3:4] offset0:116 offset1:117
	ds_read2_b64 v[213:216], v255 offset1:1
	s_waitcnt lgkmcnt(0)
	v_cmp_neq_f64_e32 vcc_lo, 0, v[213:214]
	v_cmp_neq_f64_e64 s1, 0, v[215:216]
	s_or_b32 s1, vcc_lo, s1
	s_and_b32 exec_lo, exec_lo, s1
	s_cbranch_execz .LBB117_485
; %bb.480:
	v_cmp_ngt_f64_e64 s1, |v[213:214]|, |v[215:216]|
                                        ; implicit-def: $vgpr217_vgpr218
	s_and_saveexec_b32 s3, s1
	s_xor_b32 s1, exec_lo, s3
                                        ; implicit-def: $vgpr219_vgpr220
	s_cbranch_execz .LBB117_482
; %bb.481:
	v_div_scale_f64 v[217:218], null, v[215:216], v[215:216], v[213:214]
	v_div_scale_f64 v[223:224], vcc_lo, v[213:214], v[215:216], v[213:214]
	v_rcp_f64_e32 v[219:220], v[217:218]
	v_fma_f64 v[221:222], -v[217:218], v[219:220], 1.0
	v_fma_f64 v[219:220], v[219:220], v[221:222], v[219:220]
	v_fma_f64 v[221:222], -v[217:218], v[219:220], 1.0
	v_fma_f64 v[219:220], v[219:220], v[221:222], v[219:220]
	v_mul_f64 v[221:222], v[223:224], v[219:220]
	v_fma_f64 v[217:218], -v[217:218], v[221:222], v[223:224]
	v_div_fmas_f64 v[217:218], v[217:218], v[219:220], v[221:222]
	v_div_fixup_f64 v[217:218], v[217:218], v[215:216], v[213:214]
	v_fma_f64 v[213:214], v[213:214], v[217:218], v[215:216]
	v_div_scale_f64 v[215:216], null, v[213:214], v[213:214], 1.0
	v_rcp_f64_e32 v[219:220], v[215:216]
	v_fma_f64 v[221:222], -v[215:216], v[219:220], 1.0
	v_fma_f64 v[219:220], v[219:220], v[221:222], v[219:220]
	v_fma_f64 v[221:222], -v[215:216], v[219:220], 1.0
	v_fma_f64 v[219:220], v[219:220], v[221:222], v[219:220]
	v_div_scale_f64 v[221:222], vcc_lo, 1.0, v[213:214], 1.0
	v_mul_f64 v[223:224], v[221:222], v[219:220]
	v_fma_f64 v[215:216], -v[215:216], v[223:224], v[221:222]
	v_div_fmas_f64 v[215:216], v[215:216], v[219:220], v[223:224]
	v_div_fixup_f64 v[219:220], v[215:216], v[213:214], 1.0
                                        ; implicit-def: $vgpr213_vgpr214
	v_mul_f64 v[217:218], v[217:218], v[219:220]
	v_xor_b32_e32 v220, 0x80000000, v220
.LBB117_482:
	s_andn2_saveexec_b32 s1, s1
	s_cbranch_execz .LBB117_484
; %bb.483:
	v_div_scale_f64 v[217:218], null, v[213:214], v[213:214], v[215:216]
	v_div_scale_f64 v[223:224], vcc_lo, v[215:216], v[213:214], v[215:216]
	v_rcp_f64_e32 v[219:220], v[217:218]
	v_fma_f64 v[221:222], -v[217:218], v[219:220], 1.0
	v_fma_f64 v[219:220], v[219:220], v[221:222], v[219:220]
	v_fma_f64 v[221:222], -v[217:218], v[219:220], 1.0
	v_fma_f64 v[219:220], v[219:220], v[221:222], v[219:220]
	v_mul_f64 v[221:222], v[223:224], v[219:220]
	v_fma_f64 v[217:218], -v[217:218], v[221:222], v[223:224]
	v_div_fmas_f64 v[217:218], v[217:218], v[219:220], v[221:222]
	v_div_fixup_f64 v[219:220], v[217:218], v[213:214], v[215:216]
	v_fma_f64 v[213:214], v[215:216], v[219:220], v[213:214]
	v_div_scale_f64 v[215:216], null, v[213:214], v[213:214], 1.0
	v_rcp_f64_e32 v[217:218], v[215:216]
	v_fma_f64 v[221:222], -v[215:216], v[217:218], 1.0
	v_fma_f64 v[217:218], v[217:218], v[221:222], v[217:218]
	v_fma_f64 v[221:222], -v[215:216], v[217:218], 1.0
	v_fma_f64 v[217:218], v[217:218], v[221:222], v[217:218]
	v_div_scale_f64 v[221:222], vcc_lo, 1.0, v[213:214], 1.0
	v_mul_f64 v[223:224], v[221:222], v[217:218]
	v_fma_f64 v[215:216], -v[215:216], v[223:224], v[221:222]
	v_div_fmas_f64 v[215:216], v[215:216], v[217:218], v[223:224]
	v_div_fixup_f64 v[217:218], v[215:216], v[213:214], 1.0
	v_mul_f64 v[219:220], v[219:220], -v[217:218]
.LBB117_484:
	s_or_b32 exec_lo, exec_lo, s1
	ds_write2_b64 v255, v[217:218], v[219:220] offset1:1
.LBB117_485:
	s_or_b32 exec_lo, exec_lo, s2
	s_waitcnt lgkmcnt(0)
	s_barrier
	buffer_gl0_inv
	ds_read2_b64 v[229:232], v255 offset1:1
	s_mov_b32 s1, exec_lo
	v_cmpx_lt_u32_e32 53, v0
	s_cbranch_execz .LBB117_487
; %bb.486:
	s_waitcnt lgkmcnt(0)
	v_mul_f64 v[213:214], v[229:230], v[23:24]
	v_mul_f64 v[23:24], v[231:232], v[23:24]
	v_fma_f64 v[217:218], v[231:232], v[21:22], v[213:214]
	ds_read2_b64 v[213:216], v253 offset0:108 offset1:109
	v_fma_f64 v[21:22], v[229:230], v[21:22], -v[23:24]
	s_waitcnt lgkmcnt(0)
	v_mul_f64 v[23:24], v[215:216], v[217:218]
	v_fma_f64 v[23:24], v[213:214], v[21:22], -v[23:24]
	v_mul_f64 v[213:214], v[213:214], v[217:218]
	v_add_f64 v[17:18], v[17:18], -v[23:24]
	v_fma_f64 v[213:214], v[215:216], v[21:22], v[213:214]
	v_add_f64 v[19:20], v[19:20], -v[213:214]
	ds_read2_b64 v[213:216], v253 offset0:110 offset1:111
	s_waitcnt lgkmcnt(0)
	v_mul_f64 v[23:24], v[215:216], v[217:218]
	v_fma_f64 v[23:24], v[213:214], v[21:22], -v[23:24]
	v_mul_f64 v[213:214], v[213:214], v[217:218]
	v_add_f64 v[13:14], v[13:14], -v[23:24]
	v_fma_f64 v[213:214], v[215:216], v[21:22], v[213:214]
	v_add_f64 v[15:16], v[15:16], -v[213:214]
	ds_read2_b64 v[213:216], v253 offset0:112 offset1:113
	;; [unrolled: 8-line block ×4, first 2 shown]
	s_waitcnt lgkmcnt(0)
	v_mul_f64 v[23:24], v[215:216], v[217:218]
	v_fma_f64 v[23:24], v[213:214], v[21:22], -v[23:24]
	v_mul_f64 v[213:214], v[213:214], v[217:218]
	v_add_f64 v[1:2], v[1:2], -v[23:24]
	v_fma_f64 v[213:214], v[215:216], v[21:22], v[213:214]
	v_mov_b32_e32 v23, v217
	v_mov_b32_e32 v24, v218
	v_add_f64 v[3:4], v[3:4], -v[213:214]
.LBB117_487:
	s_or_b32 exec_lo, exec_lo, s1
	s_mov_b32 s2, exec_lo
	s_waitcnt lgkmcnt(0)
	s_barrier
	buffer_gl0_inv
	v_cmpx_eq_u32_e32 54, v0
	s_cbranch_execz .LBB117_494
; %bb.488:
	ds_write2_b64 v255, v[17:18], v[19:20] offset1:1
	ds_write2_b64 v253, v[13:14], v[15:16] offset0:110 offset1:111
	ds_write2_b64 v253, v[9:10], v[11:12] offset0:112 offset1:113
	;; [unrolled: 1-line block ×4, first 2 shown]
	ds_read2_b64 v[213:216], v255 offset1:1
	s_waitcnt lgkmcnt(0)
	v_cmp_neq_f64_e32 vcc_lo, 0, v[213:214]
	v_cmp_neq_f64_e64 s1, 0, v[215:216]
	s_or_b32 s1, vcc_lo, s1
	s_and_b32 exec_lo, exec_lo, s1
	s_cbranch_execz .LBB117_494
; %bb.489:
	v_cmp_ngt_f64_e64 s1, |v[213:214]|, |v[215:216]|
                                        ; implicit-def: $vgpr217_vgpr218
	s_and_saveexec_b32 s3, s1
	s_xor_b32 s1, exec_lo, s3
                                        ; implicit-def: $vgpr219_vgpr220
	s_cbranch_execz .LBB117_491
; %bb.490:
	v_div_scale_f64 v[217:218], null, v[215:216], v[215:216], v[213:214]
	v_div_scale_f64 v[223:224], vcc_lo, v[213:214], v[215:216], v[213:214]
	v_rcp_f64_e32 v[219:220], v[217:218]
	v_fma_f64 v[221:222], -v[217:218], v[219:220], 1.0
	v_fma_f64 v[219:220], v[219:220], v[221:222], v[219:220]
	v_fma_f64 v[221:222], -v[217:218], v[219:220], 1.0
	v_fma_f64 v[219:220], v[219:220], v[221:222], v[219:220]
	v_mul_f64 v[221:222], v[223:224], v[219:220]
	v_fma_f64 v[217:218], -v[217:218], v[221:222], v[223:224]
	v_div_fmas_f64 v[217:218], v[217:218], v[219:220], v[221:222]
	v_div_fixup_f64 v[217:218], v[217:218], v[215:216], v[213:214]
	v_fma_f64 v[213:214], v[213:214], v[217:218], v[215:216]
	v_div_scale_f64 v[215:216], null, v[213:214], v[213:214], 1.0
	v_rcp_f64_e32 v[219:220], v[215:216]
	v_fma_f64 v[221:222], -v[215:216], v[219:220], 1.0
	v_fma_f64 v[219:220], v[219:220], v[221:222], v[219:220]
	v_fma_f64 v[221:222], -v[215:216], v[219:220], 1.0
	v_fma_f64 v[219:220], v[219:220], v[221:222], v[219:220]
	v_div_scale_f64 v[221:222], vcc_lo, 1.0, v[213:214], 1.0
	v_mul_f64 v[223:224], v[221:222], v[219:220]
	v_fma_f64 v[215:216], -v[215:216], v[223:224], v[221:222]
	v_div_fmas_f64 v[215:216], v[215:216], v[219:220], v[223:224]
	v_div_fixup_f64 v[219:220], v[215:216], v[213:214], 1.0
                                        ; implicit-def: $vgpr213_vgpr214
	v_mul_f64 v[217:218], v[217:218], v[219:220]
	v_xor_b32_e32 v220, 0x80000000, v220
.LBB117_491:
	s_andn2_saveexec_b32 s1, s1
	s_cbranch_execz .LBB117_493
; %bb.492:
	v_div_scale_f64 v[217:218], null, v[213:214], v[213:214], v[215:216]
	v_div_scale_f64 v[223:224], vcc_lo, v[215:216], v[213:214], v[215:216]
	v_rcp_f64_e32 v[219:220], v[217:218]
	v_fma_f64 v[221:222], -v[217:218], v[219:220], 1.0
	v_fma_f64 v[219:220], v[219:220], v[221:222], v[219:220]
	v_fma_f64 v[221:222], -v[217:218], v[219:220], 1.0
	v_fma_f64 v[219:220], v[219:220], v[221:222], v[219:220]
	v_mul_f64 v[221:222], v[223:224], v[219:220]
	v_fma_f64 v[217:218], -v[217:218], v[221:222], v[223:224]
	v_div_fmas_f64 v[217:218], v[217:218], v[219:220], v[221:222]
	v_div_fixup_f64 v[219:220], v[217:218], v[213:214], v[215:216]
	v_fma_f64 v[213:214], v[215:216], v[219:220], v[213:214]
	v_div_scale_f64 v[215:216], null, v[213:214], v[213:214], 1.0
	v_rcp_f64_e32 v[217:218], v[215:216]
	v_fma_f64 v[221:222], -v[215:216], v[217:218], 1.0
	v_fma_f64 v[217:218], v[217:218], v[221:222], v[217:218]
	v_fma_f64 v[221:222], -v[215:216], v[217:218], 1.0
	v_fma_f64 v[217:218], v[217:218], v[221:222], v[217:218]
	v_div_scale_f64 v[221:222], vcc_lo, 1.0, v[213:214], 1.0
	v_mul_f64 v[223:224], v[221:222], v[217:218]
	v_fma_f64 v[215:216], -v[215:216], v[223:224], v[221:222]
	v_div_fmas_f64 v[215:216], v[215:216], v[217:218], v[223:224]
	v_div_fixup_f64 v[217:218], v[215:216], v[213:214], 1.0
	v_mul_f64 v[219:220], v[219:220], -v[217:218]
.LBB117_493:
	s_or_b32 exec_lo, exec_lo, s1
	ds_write2_b64 v255, v[217:218], v[219:220] offset1:1
.LBB117_494:
	s_or_b32 exec_lo, exec_lo, s2
	s_waitcnt lgkmcnt(0)
	s_barrier
	buffer_gl0_inv
	ds_read2_b64 v[225:228], v255 offset1:1
	s_mov_b32 s1, exec_lo
	v_cmpx_lt_u32_e32 54, v0
	s_cbranch_execz .LBB117_496
; %bb.495:
	s_waitcnt lgkmcnt(0)
	v_mul_f64 v[213:214], v[225:226], v[19:20]
	v_mul_f64 v[19:20], v[227:228], v[19:20]
	v_fma_f64 v[217:218], v[227:228], v[17:18], v[213:214]
	ds_read2_b64 v[213:216], v253 offset0:110 offset1:111
	v_fma_f64 v[17:18], v[225:226], v[17:18], -v[19:20]
	s_waitcnt lgkmcnt(0)
	v_mul_f64 v[19:20], v[215:216], v[217:218]
	v_fma_f64 v[19:20], v[213:214], v[17:18], -v[19:20]
	v_mul_f64 v[213:214], v[213:214], v[217:218]
	v_add_f64 v[13:14], v[13:14], -v[19:20]
	v_fma_f64 v[213:214], v[215:216], v[17:18], v[213:214]
	v_add_f64 v[15:16], v[15:16], -v[213:214]
	ds_read2_b64 v[213:216], v253 offset0:112 offset1:113
	s_waitcnt lgkmcnt(0)
	v_mul_f64 v[19:20], v[215:216], v[217:218]
	v_fma_f64 v[19:20], v[213:214], v[17:18], -v[19:20]
	v_mul_f64 v[213:214], v[213:214], v[217:218]
	v_add_f64 v[9:10], v[9:10], -v[19:20]
	v_fma_f64 v[213:214], v[215:216], v[17:18], v[213:214]
	v_add_f64 v[11:12], v[11:12], -v[213:214]
	ds_read2_b64 v[213:216], v253 offset0:114 offset1:115
	;; [unrolled: 8-line block ×3, first 2 shown]
	s_waitcnt lgkmcnt(0)
	v_mul_f64 v[19:20], v[215:216], v[217:218]
	v_fma_f64 v[19:20], v[213:214], v[17:18], -v[19:20]
	v_mul_f64 v[213:214], v[213:214], v[217:218]
	v_add_f64 v[1:2], v[1:2], -v[19:20]
	v_fma_f64 v[213:214], v[215:216], v[17:18], v[213:214]
	v_mov_b32_e32 v19, v217
	v_mov_b32_e32 v20, v218
	v_add_f64 v[3:4], v[3:4], -v[213:214]
.LBB117_496:
	s_or_b32 exec_lo, exec_lo, s1
	s_mov_b32 s2, exec_lo
	s_waitcnt lgkmcnt(0)
	s_barrier
	buffer_gl0_inv
	v_cmpx_eq_u32_e32 55, v0
	s_cbranch_execz .LBB117_503
; %bb.497:
	ds_write2_b64 v255, v[13:14], v[15:16] offset1:1
	ds_write2_b64 v253, v[9:10], v[11:12] offset0:112 offset1:113
	ds_write2_b64 v253, v[5:6], v[7:8] offset0:114 offset1:115
	ds_write2_b64 v253, v[1:2], v[3:4] offset0:116 offset1:117
	ds_read2_b64 v[213:216], v255 offset1:1
	s_waitcnt lgkmcnt(0)
	v_cmp_neq_f64_e32 vcc_lo, 0, v[213:214]
	v_cmp_neq_f64_e64 s1, 0, v[215:216]
	s_or_b32 s1, vcc_lo, s1
	s_and_b32 exec_lo, exec_lo, s1
	s_cbranch_execz .LBB117_503
; %bb.498:
	v_cmp_ngt_f64_e64 s1, |v[213:214]|, |v[215:216]|
                                        ; implicit-def: $vgpr217_vgpr218
	s_and_saveexec_b32 s3, s1
	s_xor_b32 s1, exec_lo, s3
                                        ; implicit-def: $vgpr219_vgpr220
	s_cbranch_execz .LBB117_500
; %bb.499:
	v_div_scale_f64 v[217:218], null, v[215:216], v[215:216], v[213:214]
	v_div_scale_f64 v[223:224], vcc_lo, v[213:214], v[215:216], v[213:214]
	v_rcp_f64_e32 v[219:220], v[217:218]
	v_fma_f64 v[221:222], -v[217:218], v[219:220], 1.0
	v_fma_f64 v[219:220], v[219:220], v[221:222], v[219:220]
	v_fma_f64 v[221:222], -v[217:218], v[219:220], 1.0
	v_fma_f64 v[219:220], v[219:220], v[221:222], v[219:220]
	v_mul_f64 v[221:222], v[223:224], v[219:220]
	v_fma_f64 v[217:218], -v[217:218], v[221:222], v[223:224]
	v_div_fmas_f64 v[217:218], v[217:218], v[219:220], v[221:222]
	v_div_fixup_f64 v[217:218], v[217:218], v[215:216], v[213:214]
	v_fma_f64 v[213:214], v[213:214], v[217:218], v[215:216]
	v_div_scale_f64 v[215:216], null, v[213:214], v[213:214], 1.0
	v_rcp_f64_e32 v[219:220], v[215:216]
	v_fma_f64 v[221:222], -v[215:216], v[219:220], 1.0
	v_fma_f64 v[219:220], v[219:220], v[221:222], v[219:220]
	v_fma_f64 v[221:222], -v[215:216], v[219:220], 1.0
	v_fma_f64 v[219:220], v[219:220], v[221:222], v[219:220]
	v_div_scale_f64 v[221:222], vcc_lo, 1.0, v[213:214], 1.0
	v_mul_f64 v[223:224], v[221:222], v[219:220]
	v_fma_f64 v[215:216], -v[215:216], v[223:224], v[221:222]
	v_div_fmas_f64 v[215:216], v[215:216], v[219:220], v[223:224]
	v_div_fixup_f64 v[219:220], v[215:216], v[213:214], 1.0
                                        ; implicit-def: $vgpr213_vgpr214
	v_mul_f64 v[217:218], v[217:218], v[219:220]
	v_xor_b32_e32 v220, 0x80000000, v220
.LBB117_500:
	s_andn2_saveexec_b32 s1, s1
	s_cbranch_execz .LBB117_502
; %bb.501:
	v_div_scale_f64 v[217:218], null, v[213:214], v[213:214], v[215:216]
	v_div_scale_f64 v[223:224], vcc_lo, v[215:216], v[213:214], v[215:216]
	v_rcp_f64_e32 v[219:220], v[217:218]
	v_fma_f64 v[221:222], -v[217:218], v[219:220], 1.0
	v_fma_f64 v[219:220], v[219:220], v[221:222], v[219:220]
	v_fma_f64 v[221:222], -v[217:218], v[219:220], 1.0
	v_fma_f64 v[219:220], v[219:220], v[221:222], v[219:220]
	v_mul_f64 v[221:222], v[223:224], v[219:220]
	v_fma_f64 v[217:218], -v[217:218], v[221:222], v[223:224]
	v_div_fmas_f64 v[217:218], v[217:218], v[219:220], v[221:222]
	v_div_fixup_f64 v[219:220], v[217:218], v[213:214], v[215:216]
	v_fma_f64 v[213:214], v[215:216], v[219:220], v[213:214]
	v_div_scale_f64 v[215:216], null, v[213:214], v[213:214], 1.0
	v_rcp_f64_e32 v[217:218], v[215:216]
	v_fma_f64 v[221:222], -v[215:216], v[217:218], 1.0
	v_fma_f64 v[217:218], v[217:218], v[221:222], v[217:218]
	v_fma_f64 v[221:222], -v[215:216], v[217:218], 1.0
	v_fma_f64 v[217:218], v[217:218], v[221:222], v[217:218]
	v_div_scale_f64 v[221:222], vcc_lo, 1.0, v[213:214], 1.0
	v_mul_f64 v[223:224], v[221:222], v[217:218]
	v_fma_f64 v[215:216], -v[215:216], v[223:224], v[221:222]
	v_div_fmas_f64 v[215:216], v[215:216], v[217:218], v[223:224]
	v_div_fixup_f64 v[217:218], v[215:216], v[213:214], 1.0
	v_mul_f64 v[219:220], v[219:220], -v[217:218]
.LBB117_502:
	s_or_b32 exec_lo, exec_lo, s1
	ds_write2_b64 v255, v[217:218], v[219:220] offset1:1
.LBB117_503:
	s_or_b32 exec_lo, exec_lo, s2
	s_waitcnt lgkmcnt(0)
	s_barrier
	buffer_gl0_inv
	ds_read2_b64 v[221:224], v255 offset1:1
	s_mov_b32 s1, exec_lo
	v_cmpx_lt_u32_e32 55, v0
	s_cbranch_execz .LBB117_505
; %bb.504:
	s_waitcnt lgkmcnt(0)
	v_mul_f64 v[213:214], v[221:222], v[15:16]
	v_mul_f64 v[15:16], v[223:224], v[15:16]
	v_fma_f64 v[217:218], v[223:224], v[13:14], v[213:214]
	ds_read2_b64 v[213:216], v253 offset0:112 offset1:113
	v_fma_f64 v[13:14], v[221:222], v[13:14], -v[15:16]
	s_waitcnt lgkmcnt(0)
	v_mul_f64 v[15:16], v[215:216], v[217:218]
	v_fma_f64 v[15:16], v[213:214], v[13:14], -v[15:16]
	v_mul_f64 v[213:214], v[213:214], v[217:218]
	v_add_f64 v[9:10], v[9:10], -v[15:16]
	v_fma_f64 v[213:214], v[215:216], v[13:14], v[213:214]
	v_add_f64 v[11:12], v[11:12], -v[213:214]
	ds_read2_b64 v[213:216], v253 offset0:114 offset1:115
	s_waitcnt lgkmcnt(0)
	v_mul_f64 v[15:16], v[215:216], v[217:218]
	v_fma_f64 v[15:16], v[213:214], v[13:14], -v[15:16]
	v_mul_f64 v[213:214], v[213:214], v[217:218]
	v_add_f64 v[5:6], v[5:6], -v[15:16]
	v_fma_f64 v[213:214], v[215:216], v[13:14], v[213:214]
	v_add_f64 v[7:8], v[7:8], -v[213:214]
	ds_read2_b64 v[213:216], v253 offset0:116 offset1:117
	s_waitcnt lgkmcnt(0)
	v_mul_f64 v[15:16], v[215:216], v[217:218]
	v_fma_f64 v[15:16], v[213:214], v[13:14], -v[15:16]
	v_mul_f64 v[213:214], v[213:214], v[217:218]
	v_add_f64 v[1:2], v[1:2], -v[15:16]
	v_fma_f64 v[213:214], v[215:216], v[13:14], v[213:214]
	v_mov_b32_e32 v15, v217
	v_mov_b32_e32 v16, v218
	v_add_f64 v[3:4], v[3:4], -v[213:214]
.LBB117_505:
	s_or_b32 exec_lo, exec_lo, s1
	s_mov_b32 s2, exec_lo
	s_waitcnt lgkmcnt(0)
	s_barrier
	buffer_gl0_inv
	v_cmpx_eq_u32_e32 56, v0
	s_cbranch_execz .LBB117_512
; %bb.506:
	ds_write2_b64 v255, v[9:10], v[11:12] offset1:1
	ds_write2_b64 v253, v[5:6], v[7:8] offset0:114 offset1:115
	ds_write2_b64 v253, v[1:2], v[3:4] offset0:116 offset1:117
	ds_read2_b64 v[213:216], v255 offset1:1
	s_waitcnt lgkmcnt(0)
	v_cmp_neq_f64_e32 vcc_lo, 0, v[213:214]
	v_cmp_neq_f64_e64 s1, 0, v[215:216]
	s_or_b32 s1, vcc_lo, s1
	s_and_b32 exec_lo, exec_lo, s1
	s_cbranch_execz .LBB117_512
; %bb.507:
	v_cmp_ngt_f64_e64 s1, |v[213:214]|, |v[215:216]|
                                        ; implicit-def: $vgpr217_vgpr218
	s_and_saveexec_b32 s3, s1
	s_xor_b32 s1, exec_lo, s3
                                        ; implicit-def: $vgpr219_vgpr220
	s_cbranch_execz .LBB117_509
; %bb.508:
	v_div_scale_f64 v[217:218], null, v[215:216], v[215:216], v[213:214]
	v_div_scale_f64 v[239:240], vcc_lo, v[213:214], v[215:216], v[213:214]
	v_rcp_f64_e32 v[219:220], v[217:218]
	v_fma_f64 v[237:238], -v[217:218], v[219:220], 1.0
	v_fma_f64 v[219:220], v[219:220], v[237:238], v[219:220]
	v_fma_f64 v[237:238], -v[217:218], v[219:220], 1.0
	v_fma_f64 v[219:220], v[219:220], v[237:238], v[219:220]
	v_mul_f64 v[237:238], v[239:240], v[219:220]
	v_fma_f64 v[217:218], -v[217:218], v[237:238], v[239:240]
	v_div_fmas_f64 v[217:218], v[217:218], v[219:220], v[237:238]
	v_div_fixup_f64 v[217:218], v[217:218], v[215:216], v[213:214]
	v_fma_f64 v[213:214], v[213:214], v[217:218], v[215:216]
	v_div_scale_f64 v[215:216], null, v[213:214], v[213:214], 1.0
	v_rcp_f64_e32 v[219:220], v[215:216]
	v_fma_f64 v[237:238], -v[215:216], v[219:220], 1.0
	v_fma_f64 v[219:220], v[219:220], v[237:238], v[219:220]
	v_fma_f64 v[237:238], -v[215:216], v[219:220], 1.0
	v_fma_f64 v[219:220], v[219:220], v[237:238], v[219:220]
	v_div_scale_f64 v[237:238], vcc_lo, 1.0, v[213:214], 1.0
	v_mul_f64 v[239:240], v[237:238], v[219:220]
	v_fma_f64 v[215:216], -v[215:216], v[239:240], v[237:238]
	v_div_fmas_f64 v[215:216], v[215:216], v[219:220], v[239:240]
	v_div_fixup_f64 v[219:220], v[215:216], v[213:214], 1.0
                                        ; implicit-def: $vgpr213_vgpr214
	v_mul_f64 v[217:218], v[217:218], v[219:220]
	v_xor_b32_e32 v220, 0x80000000, v220
.LBB117_509:
	s_andn2_saveexec_b32 s1, s1
	s_cbranch_execz .LBB117_511
; %bb.510:
	v_div_scale_f64 v[217:218], null, v[213:214], v[213:214], v[215:216]
	v_div_scale_f64 v[239:240], vcc_lo, v[215:216], v[213:214], v[215:216]
	v_rcp_f64_e32 v[219:220], v[217:218]
	v_fma_f64 v[237:238], -v[217:218], v[219:220], 1.0
	v_fma_f64 v[219:220], v[219:220], v[237:238], v[219:220]
	v_fma_f64 v[237:238], -v[217:218], v[219:220], 1.0
	v_fma_f64 v[219:220], v[219:220], v[237:238], v[219:220]
	v_mul_f64 v[237:238], v[239:240], v[219:220]
	v_fma_f64 v[217:218], -v[217:218], v[237:238], v[239:240]
	v_div_fmas_f64 v[217:218], v[217:218], v[219:220], v[237:238]
	v_div_fixup_f64 v[219:220], v[217:218], v[213:214], v[215:216]
	v_fma_f64 v[213:214], v[215:216], v[219:220], v[213:214]
	v_div_scale_f64 v[215:216], null, v[213:214], v[213:214], 1.0
	v_rcp_f64_e32 v[217:218], v[215:216]
	v_fma_f64 v[237:238], -v[215:216], v[217:218], 1.0
	v_fma_f64 v[217:218], v[217:218], v[237:238], v[217:218]
	v_fma_f64 v[237:238], -v[215:216], v[217:218], 1.0
	v_fma_f64 v[217:218], v[217:218], v[237:238], v[217:218]
	v_div_scale_f64 v[237:238], vcc_lo, 1.0, v[213:214], 1.0
	v_mul_f64 v[239:240], v[237:238], v[217:218]
	v_fma_f64 v[215:216], -v[215:216], v[239:240], v[237:238]
	v_div_fmas_f64 v[215:216], v[215:216], v[217:218], v[239:240]
	v_div_fixup_f64 v[217:218], v[215:216], v[213:214], 1.0
	v_mul_f64 v[219:220], v[219:220], -v[217:218]
.LBB117_511:
	s_or_b32 exec_lo, exec_lo, s1
	ds_write2_b64 v255, v[217:218], v[219:220] offset1:1
.LBB117_512:
	s_or_b32 exec_lo, exec_lo, s2
	s_waitcnt lgkmcnt(0)
	s_barrier
	buffer_gl0_inv
	ds_read2_b64 v[217:220], v255 offset1:1
	s_mov_b32 s1, exec_lo
	v_cmpx_lt_u32_e32 56, v0
	s_cbranch_execz .LBB117_514
; %bb.513:
	s_waitcnt lgkmcnt(0)
	v_mul_f64 v[213:214], v[217:218], v[11:12]
	v_mul_f64 v[11:12], v[219:220], v[11:12]
	v_fma_f64 v[237:238], v[219:220], v[9:10], v[213:214]
	ds_read2_b64 v[213:216], v253 offset0:114 offset1:115
	v_fma_f64 v[9:10], v[217:218], v[9:10], -v[11:12]
	s_waitcnt lgkmcnt(0)
	v_mul_f64 v[11:12], v[215:216], v[237:238]
	v_fma_f64 v[11:12], v[213:214], v[9:10], -v[11:12]
	v_mul_f64 v[213:214], v[213:214], v[237:238]
	v_add_f64 v[5:6], v[5:6], -v[11:12]
	v_fma_f64 v[213:214], v[215:216], v[9:10], v[213:214]
	v_add_f64 v[7:8], v[7:8], -v[213:214]
	ds_read2_b64 v[213:216], v253 offset0:116 offset1:117
	s_waitcnt lgkmcnt(0)
	v_mul_f64 v[11:12], v[215:216], v[237:238]
	v_fma_f64 v[11:12], v[213:214], v[9:10], -v[11:12]
	v_mul_f64 v[213:214], v[213:214], v[237:238]
	v_add_f64 v[1:2], v[1:2], -v[11:12]
	v_fma_f64 v[213:214], v[215:216], v[9:10], v[213:214]
	v_mov_b32_e32 v11, v237
	v_mov_b32_e32 v12, v238
	v_add_f64 v[3:4], v[3:4], -v[213:214]
.LBB117_514:
	s_or_b32 exec_lo, exec_lo, s1
	s_mov_b32 s2, exec_lo
	s_waitcnt lgkmcnt(0)
	s_barrier
	buffer_gl0_inv
	v_cmpx_eq_u32_e32 57, v0
	s_cbranch_execz .LBB117_521
; %bb.515:
	ds_write2_b64 v255, v[5:6], v[7:8] offset1:1
	ds_write2_b64 v253, v[1:2], v[3:4] offset0:116 offset1:117
	ds_read2_b64 v[213:216], v255 offset1:1
	s_waitcnt lgkmcnt(0)
	v_cmp_neq_f64_e32 vcc_lo, 0, v[213:214]
	v_cmp_neq_f64_e64 s1, 0, v[215:216]
	s_or_b32 s1, vcc_lo, s1
	s_and_b32 exec_lo, exec_lo, s1
	s_cbranch_execz .LBB117_521
; %bb.516:
	v_cmp_ngt_f64_e64 s1, |v[213:214]|, |v[215:216]|
                                        ; implicit-def: $vgpr237_vgpr238
	s_and_saveexec_b32 s3, s1
	s_xor_b32 s1, exec_lo, s3
                                        ; implicit-def: $vgpr239_vgpr240
	s_cbranch_execz .LBB117_518
; %bb.517:
	v_div_scale_f64 v[237:238], null, v[215:216], v[215:216], v[213:214]
	v_mov_b32_e32 v196, v192
	v_mov_b32_e32 v195, v191
	;; [unrolled: 1-line block ×8, first 2 shown]
	v_rcp_f64_e32 v[239:240], v[237:238]
	v_fma_f64 v[209:210], -v[237:238], v[239:240], 1.0
	v_fma_f64 v[209:210], v[239:240], v[209:210], v[239:240]
	v_div_scale_f64 v[239:240], vcc_lo, v[213:214], v[215:216], v[213:214]
	v_fma_f64 v[211:212], -v[237:238], v[209:210], 1.0
	v_fma_f64 v[209:210], v[209:210], v[211:212], v[209:210]
	v_mul_f64 v[211:212], v[239:240], v[209:210]
	v_fma_f64 v[237:238], -v[237:238], v[211:212], v[239:240]
	v_div_fmas_f64 v[209:210], v[237:238], v[209:210], v[211:212]
	v_div_fixup_f64 v[209:210], v[209:210], v[215:216], v[213:214]
	v_fma_f64 v[211:212], v[213:214], v[209:210], v[215:216]
	v_div_scale_f64 v[213:214], null, v[211:212], v[211:212], 1.0
	v_rcp_f64_e32 v[215:216], v[213:214]
	v_fma_f64 v[237:238], -v[213:214], v[215:216], 1.0
	v_fma_f64 v[215:216], v[215:216], v[237:238], v[215:216]
	v_fma_f64 v[237:238], -v[213:214], v[215:216], 1.0
	v_fma_f64 v[215:216], v[215:216], v[237:238], v[215:216]
	v_div_scale_f64 v[237:238], vcc_lo, 1.0, v[211:212], 1.0
	v_mul_f64 v[239:240], v[237:238], v[215:216]
	v_fma_f64 v[213:214], -v[213:214], v[239:240], v[237:238]
	v_div_fmas_f64 v[213:214], v[213:214], v[215:216], v[239:240]
	v_div_fixup_f64 v[239:240], v[213:214], v[211:212], 1.0
                                        ; implicit-def: $vgpr213_vgpr214
	v_mul_f64 v[237:238], v[209:210], v[239:240]
	v_mov_b32_e32 v212, v192
	v_mov_b32_e32 v211, v191
	;; [unrolled: 1-line block ×8, first 2 shown]
	v_xor_b32_e32 v240, 0x80000000, v240
.LBB117_518:
	s_andn2_saveexec_b32 s1, s1
	s_cbranch_execz .LBB117_520
; %bb.519:
	v_mov_b32_e32 v196, v192
	v_mov_b32_e32 v195, v191
	;; [unrolled: 1-line block ×8, first 2 shown]
	v_div_scale_f64 v[209:210], null, v[213:214], v[213:214], v[215:216]
	v_div_scale_f64 v[239:240], vcc_lo, v[215:216], v[213:214], v[215:216]
	v_rcp_f64_e32 v[211:212], v[209:210]
	v_fma_f64 v[237:238], -v[209:210], v[211:212], 1.0
	v_fma_f64 v[211:212], v[211:212], v[237:238], v[211:212]
	v_fma_f64 v[237:238], -v[209:210], v[211:212], 1.0
	v_fma_f64 v[211:212], v[211:212], v[237:238], v[211:212]
	v_mul_f64 v[237:238], v[239:240], v[211:212]
	v_fma_f64 v[209:210], -v[209:210], v[237:238], v[239:240]
	v_div_fmas_f64 v[209:210], v[209:210], v[211:212], v[237:238]
	v_div_fixup_f64 v[209:210], v[209:210], v[213:214], v[215:216]
	v_fma_f64 v[211:212], v[215:216], v[209:210], v[213:214]
	v_div_scale_f64 v[213:214], null, v[211:212], v[211:212], 1.0
	v_rcp_f64_e32 v[215:216], v[213:214]
	v_fma_f64 v[237:238], -v[213:214], v[215:216], 1.0
	v_fma_f64 v[215:216], v[215:216], v[237:238], v[215:216]
	v_fma_f64 v[237:238], -v[213:214], v[215:216], 1.0
	v_fma_f64 v[215:216], v[215:216], v[237:238], v[215:216]
	v_div_scale_f64 v[237:238], vcc_lo, 1.0, v[211:212], 1.0
	v_mul_f64 v[239:240], v[237:238], v[215:216]
	v_fma_f64 v[213:214], -v[213:214], v[239:240], v[237:238]
	v_div_fmas_f64 v[213:214], v[213:214], v[215:216], v[239:240]
	v_div_fixup_f64 v[237:238], v[213:214], v[211:212], 1.0
	v_mul_f64 v[239:240], v[209:210], -v[237:238]
	v_mov_b32_e32 v212, v192
	v_mov_b32_e32 v211, v191
	;; [unrolled: 1-line block ×8, first 2 shown]
.LBB117_520:
	s_or_b32 exec_lo, exec_lo, s1
	ds_write2_b64 v255, v[237:238], v[239:240] offset1:1
.LBB117_521:
	s_or_b32 exec_lo, exec_lo, s2
	s_waitcnt lgkmcnt(0)
	s_barrier
	buffer_gl0_inv
	ds_read2_b64 v[237:240], v255 offset1:1
	s_mov_b32 s1, exec_lo
	v_cmpx_lt_u32_e32 57, v0
	s_cbranch_execz .LBB117_523
; %bb.522:
	v_mov_b32_e32 v193, v209
	v_mov_b32_e32 v194, v210
	;; [unrolled: 1-line block ×4, first 2 shown]
	s_waitcnt lgkmcnt(0)
	v_mul_f64 v[209:210], v[237:238], v[7:8]
	v_mul_f64 v[7:8], v[239:240], v[7:8]
	ds_read2_b64 v[213:216], v253 offset0:116 offset1:117
	v_fma_f64 v[209:210], v[239:240], v[5:6], v[209:210]
	v_fma_f64 v[5:6], v[237:238], v[5:6], -v[7:8]
	s_waitcnt lgkmcnt(0)
	v_mul_f64 v[7:8], v[215:216], v[209:210]
	v_mul_f64 v[211:212], v[213:214], v[209:210]
	v_fma_f64 v[7:8], v[213:214], v[5:6], -v[7:8]
	v_fma_f64 v[211:212], v[215:216], v[5:6], v[211:212]
	v_add_f64 v[1:2], v[1:2], -v[7:8]
	v_add_f64 v[3:4], v[3:4], -v[211:212]
	v_mov_b32_e32 v7, v209
	v_mov_b32_e32 v8, v210
	;; [unrolled: 1-line block ×6, first 2 shown]
.LBB117_523:
	s_or_b32 exec_lo, exec_lo, s1
	s_mov_b32 s2, exec_lo
	s_waitcnt lgkmcnt(0)
	s_barrier
	buffer_gl0_inv
	v_cmpx_eq_u32_e32 58, v0
	s_cbranch_execz .LBB117_530
; %bb.524:
	v_cmp_neq_f64_e32 vcc_lo, 0, v[1:2]
	v_cmp_neq_f64_e64 s1, 0, v[3:4]
	ds_write2_b64 v255, v[1:2], v[3:4] offset1:1
	s_or_b32 s1, vcc_lo, s1
	s_and_b32 exec_lo, exec_lo, s1
	s_cbranch_execz .LBB117_530
; %bb.525:
	v_cmp_ngt_f64_e64 s1, |v[1:2]|, |v[3:4]|
                                        ; implicit-def: $vgpr213_vgpr214
	s_and_saveexec_b32 s3, s1
	s_xor_b32 s1, exec_lo, s3
                                        ; implicit-def: $vgpr215_vgpr216
	s_cbranch_execz .LBB117_527
; %bb.526:
	v_mov_b32_e32 v236, v56
	v_mov_b32_e32 v235, v55
	;; [unrolled: 1-line block ×156, first 2 shown]
	v_div_scale_f64 v[209:210], null, v[3:4], v[3:4], v[1:2]
	v_div_scale_f64 v[215:216], vcc_lo, v[1:2], v[3:4], v[1:2]
	v_mov_b32_e32 v195, v201
	v_mov_b32_e32 v196, v202
	;; [unrolled: 1-line block ×4, first 2 shown]
	v_rcp_f64_e32 v[211:212], v[209:210]
	v_fma_f64 v[213:214], -v[209:210], v[211:212], 1.0
	v_fma_f64 v[211:212], v[211:212], v[213:214], v[211:212]
	v_fma_f64 v[213:214], -v[209:210], v[211:212], 1.0
	v_fma_f64 v[211:212], v[211:212], v[213:214], v[211:212]
	v_mul_f64 v[213:214], v[215:216], v[211:212]
	v_fma_f64 v[209:210], -v[209:210], v[213:214], v[215:216]
	v_div_fmas_f64 v[209:210], v[209:210], v[211:212], v[213:214]
	v_div_fixup_f64 v[209:210], v[209:210], v[3:4], v[1:2]
	v_fma_f64 v[211:212], v[1:2], v[209:210], v[3:4]
	v_div_scale_f64 v[213:214], null, v[211:212], v[211:212], 1.0
	v_rcp_f64_e32 v[215:216], v[213:214]
	v_fma_f64 v[253:254], -v[213:214], v[215:216], 1.0
	v_fma_f64 v[215:216], v[215:216], v[253:254], v[215:216]
	v_fma_f64 v[253:254], -v[213:214], v[215:216], 1.0
	v_fma_f64 v[215:216], v[215:216], v[253:254], v[215:216]
	v_div_scale_f64 v[253:254], vcc_lo, 1.0, v[211:212], 1.0
	v_mul_f64 v[205:206], v[253:254], v[215:216]
	v_fma_f64 v[207:208], -v[213:214], v[205:206], v[253:254]
	v_div_fmas_f64 v[205:206], v[207:208], v[215:216], v[205:206]
	v_mov_b32_e32 v208, v202
	v_mov_b32_e32 v207, v201
	v_mov_b32_e32 v202, v196
	v_mov_b32_e32 v201, v195
	v_div_fixup_f64 v[215:216], v[205:206], v[211:212], 1.0
	v_mul_f64 v[213:214], v[209:210], v[215:216]
	v_mov_b32_e32 v212, v192
	v_mov_b32_e32 v211, v191
	;; [unrolled: 1-line block ×156, first 2 shown]
	v_xor_b32_e32 v216, 0x80000000, v216
.LBB117_527:
	s_andn2_saveexec_b32 s1, s1
	s_cbranch_execz .LBB117_529
; %bb.528:
	v_div_scale_f64 v[205:206], null, v[1:2], v[1:2], v[3:4]
	v_mov_b32_e32 v254, v208
	v_mov_b32_e32 v253, v207
	;; [unrolled: 1-line block ×10, first 2 shown]
	v_div_scale_f64 v[211:212], vcc_lo, v[3:4], v[1:2], v[3:4]
	v_rcp_f64_e32 v[207:208], v[205:206]
	v_fma_f64 v[209:210], -v[205:206], v[207:208], 1.0
	v_fma_f64 v[207:208], v[207:208], v[209:210], v[207:208]
	v_fma_f64 v[209:210], -v[205:206], v[207:208], 1.0
	v_fma_f64 v[207:208], v[207:208], v[209:210], v[207:208]
	v_mul_f64 v[209:210], v[211:212], v[207:208]
	v_fma_f64 v[205:206], -v[205:206], v[209:210], v[211:212]
	v_div_fmas_f64 v[205:206], v[205:206], v[207:208], v[209:210]
	v_div_fixup_f64 v[205:206], v[205:206], v[1:2], v[3:4]
	v_fma_f64 v[207:208], v[3:4], v[205:206], v[1:2]
	v_div_scale_f64 v[209:210], null, v[207:208], v[207:208], 1.0
	v_rcp_f64_e32 v[211:212], v[209:210]
	v_fma_f64 v[213:214], -v[209:210], v[211:212], 1.0
	v_fma_f64 v[211:212], v[211:212], v[213:214], v[211:212]
	v_fma_f64 v[213:214], -v[209:210], v[211:212], 1.0
	v_fma_f64 v[211:212], v[211:212], v[213:214], v[211:212]
	v_div_scale_f64 v[213:214], vcc_lo, 1.0, v[207:208], 1.0
	v_mul_f64 v[215:216], v[213:214], v[211:212]
	v_fma_f64 v[209:210], -v[209:210], v[215:216], v[213:214]
	v_div_fmas_f64 v[209:210], v[209:210], v[211:212], v[215:216]
	v_div_fixup_f64 v[213:214], v[209:210], v[207:208], 1.0
	v_mov_b32_e32 v212, v192
	v_mov_b32_e32 v211, v191
	;; [unrolled: 1-line block ×10, first 2 shown]
	v_mul_f64 v[215:216], v[205:206], -v[213:214]
.LBB117_529:
	s_or_b32 exec_lo, exec_lo, s1
	ds_write2_b64 v255, v[213:214], v[215:216] offset1:1
.LBB117_530:
	s_or_b32 exec_lo, exec_lo, s2
	s_waitcnt lgkmcnt(0)
	s_barrier
	buffer_gl0_inv
	ds_read2_b64 v[213:216], v255 offset1:1
	s_mov_b32 s1, exec_lo
	v_cmpx_lt_u32_e32 58, v0
	s_cbranch_execz .LBB117_532
; %bb.531:
	s_waitcnt lgkmcnt(0)
	v_mul_f64 v[205:206], v[215:216], v[3:4]
	v_mul_f64 v[3:4], v[213:214], v[3:4]
	v_fma_f64 v[205:206], v[213:214], v[1:2], -v[205:206]
	v_fma_f64 v[3:4], v[215:216], v[1:2], v[3:4]
	v_mov_b32_e32 v1, v205
	v_mov_b32_e32 v2, v206
.LBB117_532:
	s_or_b32 exec_lo, exec_lo, s1
	v_mov_b32_e32 v236, v52
	v_mov_b32_e32 v235, v51
	;; [unrolled: 1-line block ×4, first 2 shown]
	s_waitcnt lgkmcnt(0)
	s_barrier
	buffer_gl0_inv
	s_and_saveexec_b32 s8, s0
	s_cbranch_execz .LBB117_535
; %bb.533:
	s_clause 0x3
	buffer_load_dword v49, off, s[16:19], 0 offset:552
	buffer_load_dword v50, off, s[16:19], 0 offset:556
	;; [unrolled: 1-line block ×4, first 2 shown]
	v_lshlrev_b64 v[205:206], 2, v[199:200]
	s_waitcnt vmcnt(2)
	v_cmp_eq_f64_e32 vcc_lo, 0, v[49:50]
	s_waitcnt vmcnt(0)
	v_cmp_eq_f64_e64 s0, 0, v[51:52]
	s_clause 0x3
	buffer_load_dword v49, off, s[16:19], 0 offset:568
	buffer_load_dword v50, off, s[16:19], 0 offset:572
	;; [unrolled: 1-line block ×4, first 2 shown]
	s_and_b32 s0, vcc_lo, s0
	v_cndmask_b32_e64 v0, 0, 1, s0
	s_waitcnt vmcnt(2)
	v_cmp_neq_f64_e64 s1, 0, v[49:50]
	s_waitcnt vmcnt(0)
	v_cmp_neq_f64_e64 s2, 0, v[51:52]
	s_clause 0x3
	buffer_load_dword v49, off, s[16:19], 0 offset:584
	buffer_load_dword v50, off, s[16:19], 0 offset:588
	buffer_load_dword v51, off, s[16:19], 0 offset:592
	buffer_load_dword v52, off, s[16:19], 0 offset:596
	s_or_b32 s1, s1, s2
	s_or_b32 s0, s1, s0
	v_cndmask_b32_e64 v0, 2, v0, s0
	v_cmp_eq_u32_e64 s0, 0, v0
	s_waitcnt vmcnt(2)
	v_cmp_eq_f64_e64 s3, 0, v[49:50]
	s_waitcnt vmcnt(0)
	v_cmp_eq_f64_e64 s4, 0, v[51:52]
	s_clause 0x3
	buffer_load_dword v49, off, s[16:19], 0 offset:600
	buffer_load_dword v50, off, s[16:19], 0 offset:604
	;; [unrolled: 1-line block ×4, first 2 shown]
	s_and_b32 s3, s3, s4
	s_and_b32 s0, s3, s0
	v_cndmask_b32_e64 v0, v0, 3, s0
	v_cmp_eq_u32_e64 s0, 0, v0
	s_waitcnt vmcnt(2)
	v_cmp_eq_f64_e64 s5, 0, v[49:50]
	s_waitcnt vmcnt(0)
	v_cmp_eq_f64_e32 vcc_lo, 0, v[51:52]
	s_clause 0x3
	buffer_load_dword v49, off, s[16:19], 0 offset:616
	buffer_load_dword v50, off, s[16:19], 0 offset:620
	;; [unrolled: 1-line block ×4, first 2 shown]
	s_and_b32 s5, s5, vcc_lo
	s_and_b32 s0, s5, s0
	v_cndmask_b32_e64 v0, v0, 4, s0
	v_cmp_eq_u32_e32 vcc_lo, 0, v0
	s_waitcnt vmcnt(2)
	v_cmp_eq_f64_e64 s1, 0, v[49:50]
	s_waitcnt vmcnt(0)
	v_cmp_eq_f64_e64 s2, 0, v[51:52]
	s_clause 0x3
	buffer_load_dword v49, off, s[16:19], 0 offset:632
	buffer_load_dword v50, off, s[16:19], 0 offset:636
	buffer_load_dword v51, off, s[16:19], 0 offset:640
	buffer_load_dword v52, off, s[16:19], 0 offset:644
	s_and_b32 s1, s1, s2
	s_and_b32 s1, s1, vcc_lo
	v_cndmask_b32_e64 v0, v0, 5, s1
	v_cmp_eq_u32_e32 vcc_lo, 0, v0
	s_waitcnt vmcnt(2)
	v_cmp_eq_f64_e64 s3, 0, v[49:50]
	s_waitcnt vmcnt(0)
	v_cmp_eq_f64_e64 s4, 0, v[51:52]
	s_clause 0x3
	buffer_load_dword v49, off, s[16:19], 0 offset:648
	buffer_load_dword v50, off, s[16:19], 0 offset:652
	buffer_load_dword v51, off, s[16:19], 0 offset:656
	buffer_load_dword v52, off, s[16:19], 0 offset:660
	s_and_b32 s3, s3, s4
	s_and_b32 s3, s3, vcc_lo
	;; [unrolled: 13-line block ×25, first 2 shown]
	v_cndmask_b32_e64 v0, v0, 29, s0
	s_waitcnt vmcnt(2)
	v_cmp_eq_f64_e64 s3, 0, v[49:50]
	s_waitcnt vmcnt(0)
	v_cmp_eq_f64_e64 s4, 0, v[51:52]
	s_clause 0x3
	buffer_load_dword v49, off, s[16:19], 0 offset:1032
	buffer_load_dword v50, off, s[16:19], 0 offset:1036
	buffer_load_dword v51, off, s[16:19], 0 offset:1040
	buffer_load_dword v52, off, s[16:19], 0 offset:1044
	s_and_b32 s5, s3, s4
	v_add_co_u32 v253, s4, s10, v205
	v_add_co_ci_u32_e64 v254, null, s11, v206, s4
	v_cmp_eq_u32_e64 s3, 0, v0
	s_and_b32 s3, s5, s3
	v_cndmask_b32_e64 v0, v0, 30, s3
	v_cmp_eq_u32_e64 s3, 0, v0
	s_waitcnt vmcnt(2)
	v_cmp_eq_f64_e64 s1, 0, v[49:50]
	s_waitcnt vmcnt(0)
	v_cmp_eq_f64_e64 s2, 0, v[51:52]
	s_clause 0x3
	buffer_load_dword v49, off, s[16:19], 0 offset:1048
	buffer_load_dword v50, off, s[16:19], 0 offset:1052
	;; [unrolled: 1-line block ×4, first 2 shown]
	global_load_dword v205, v[253:254], off
	s_and_b32 s1, s1, s2
	s_and_b32 s1, s1, s3
	v_cndmask_b32_e64 v0, v0, 31, s1
	v_cmp_eq_u32_e64 s1, 0, v0
	s_waitcnt vmcnt(3)
	v_cmp_eq_f64_e32 vcc_lo, 0, v[49:50]
	s_waitcnt vmcnt(1)
	v_cmp_eq_f64_e64 s0, 0, v[51:52]
	s_clause 0x3
	buffer_load_dword v49, off, s[16:19], 0 offset:1064
	buffer_load_dword v50, off, s[16:19], 0 offset:1068
	;; [unrolled: 1-line block ×4, first 2 shown]
	s_and_b32 s0, vcc_lo, s0
	s_and_b32 s0, s0, s1
	v_cndmask_b32_e64 v0, v0, 32, s0
	v_cmp_eq_u32_e32 vcc_lo, 0, v0
	s_waitcnt vmcnt(2)
	v_cmp_eq_f64_e64 s4, 0, v[49:50]
	s_waitcnt vmcnt(0)
	v_cmp_eq_f64_e64 s5, 0, v[51:52]
	s_clause 0x3
	buffer_load_dword v49, off, s[16:19], 0 offset:1080
	buffer_load_dword v50, off, s[16:19], 0 offset:1084
	buffer_load_dword v51, off, s[16:19], 0 offset:1088
	buffer_load_dword v52, off, s[16:19], 0 offset:1092
	s_and_b32 s4, s4, s5
	s_and_b32 s4, s4, vcc_lo
	v_cndmask_b32_e64 v0, v0, 33, s4
	v_cmp_eq_u32_e32 vcc_lo, 0, v0
	s_waitcnt vmcnt(2)
	v_cmp_eq_f64_e64 s2, 0, v[49:50]
	s_waitcnt vmcnt(0)
	v_cmp_eq_f64_e64 s3, 0, v[51:52]
	s_clause 0x3
	buffer_load_dword v49, off, s[16:19], 0 offset:1096
	buffer_load_dword v50, off, s[16:19], 0 offset:1100
	buffer_load_dword v51, off, s[16:19], 0 offset:1104
	buffer_load_dword v52, off, s[16:19], 0 offset:1108
	s_and_b32 s2, s2, s3
	s_and_b32 s2, s2, vcc_lo
	;; [unrolled: 13-line block ×18, first 2 shown]
	v_cndmask_b32_e64 v0, v0, 50, s0
	v_cmp_eq_u32_e32 vcc_lo, 0, v0
	s_waitcnt vmcnt(2)
	v_cmp_eq_f64_e64 s4, 0, v[49:50]
	s_waitcnt vmcnt(0)
	v_cmp_eq_f64_e64 s5, 0, v[51:52]
	s_clause 0x3
	buffer_load_dword v49, off, s[16:19], 0 offset:1368
	buffer_load_dword v50, off, s[16:19], 0 offset:1372
	buffer_load_dword v51, off, s[16:19], 0 offset:1376
	buffer_load_dword v52, off, s[16:19], 0 offset:1380
	s_and_b32 s4, s4, s5
	v_cmp_eq_f64_e64 s5, 0, v[231:232]
	s_and_b32 s4, s4, vcc_lo
	v_cndmask_b32_e64 v0, v0, 51, s4
	v_cmp_eq_f64_e64 s4, 0, v[229:230]
	v_cmp_eq_u32_e32 vcc_lo, 0, v0
	s_and_b32 s4, s4, s5
	v_cmp_eq_f64_e64 s5, 0, v[219:220]
	s_waitcnt vmcnt(2)
	v_cmp_eq_f64_e64 s2, 0, v[49:50]
	s_waitcnt vmcnt(0)
	v_cmp_eq_f64_e64 s3, 0, v[51:52]
	s_clause 0x3
	buffer_load_dword v49, off, s[16:19], 0 offset:1384
	buffer_load_dword v50, off, s[16:19], 0 offset:1388
	;; [unrolled: 1-line block ×4, first 2 shown]
	s_and_b32 s2, s2, s3
	v_cmp_eq_f64_e64 s3, 0, v[227:228]
	s_and_b32 s2, s2, vcc_lo
	v_cndmask_b32_e64 v0, v0, 52, s2
	v_cmp_eq_f64_e64 s2, 0, v[225:226]
	v_cmp_eq_u32_e32 vcc_lo, 0, v0
	s_and_b32 s2, s2, s3
	v_cmp_eq_f64_e64 s3, 0, v[239:240]
	s_waitcnt vmcnt(2)
	v_cmp_eq_f64_e64 s0, 0, v[49:50]
	s_waitcnt vmcnt(0)
	v_cmp_eq_f64_e64 s1, 0, v[51:52]
	s_and_b32 s0, s0, s1
	v_cmp_eq_f64_e64 s1, 0, v[223:224]
	s_and_b32 s0, s0, vcc_lo
	v_cndmask_b32_e64 v0, v0, 53, s0
	v_cmp_eq_f64_e64 s0, 0, v[221:222]
	v_cmp_eq_u32_e32 vcc_lo, 0, v0
	s_and_b32 s4, s4, vcc_lo
	v_cndmask_b32_e64 v0, v0, 54, s4
	v_cmp_eq_f64_e64 s4, 0, v[217:218]
	v_cmp_eq_u32_e32 vcc_lo, 0, v0
	s_and_b32 s2, s2, vcc_lo
	s_and_b32 s0, s0, s1
	v_cndmask_b32_e64 v0, v0, 55, s2
	v_cmp_eq_f64_e64 s2, 0, v[237:238]
	v_cmp_eq_f64_e64 s1, 0, v[215:216]
	v_cmp_eq_u32_e32 vcc_lo, 0, v0
	s_and_b32 s0, s0, vcc_lo
	s_and_b32 s4, s4, s5
	v_cndmask_b32_e64 v0, v0, 56, s0
	v_cmp_eq_f64_e64 s0, 0, v[213:214]
	v_cmp_eq_u32_e32 vcc_lo, 0, v0
	s_and_b32 s4, s4, vcc_lo
	s_and_b32 s2, s2, s3
	v_cndmask_b32_e64 v0, v0, 57, s4
	v_cmp_eq_u32_e32 vcc_lo, 0, v0
	s_and_b32 s2, s2, vcc_lo
	s_and_b32 s0, s0, s1
	v_cndmask_b32_e64 v0, v0, 58, s2
	v_cmp_eq_u32_e32 vcc_lo, 0, v0
	s_and_b32 s0, s0, vcc_lo
	v_cmp_eq_u32_e32 vcc_lo, 0, v205
	v_cndmask_b32_e64 v0, v0, 59, s0
	v_cmp_ne_u32_e64 s0, 0, v0
	s_and_b32 s0, vcc_lo, s0
	s_and_b32 exec_lo, exec_lo, s0
	s_cbranch_execz .LBB117_535
; %bb.534:
	v_add_nc_u32_e32 v0, s13, v0
	global_store_dword v[253:254], v0, off
.LBB117_535:
	s_or_b32 exec_lo, exec_lo, s8
	s_clause 0x3
	buffer_load_dword v49, off, s[16:19], 0 offset:96
	buffer_load_dword v50, off, s[16:19], 0 offset:100
	buffer_load_dword v51, off, s[16:19], 0 offset:104
	buffer_load_dword v52, off, s[16:19], 0 offset:108
	s_waitcnt vmcnt(0)
	global_store_dwordx4 v[203:204], v[49:52], off
	s_clause 0x3
	buffer_load_dword v49, off, s[16:19], 0 offset:80
	buffer_load_dword v50, off, s[16:19], 0 offset:84
	buffer_load_dword v51, off, s[16:19], 0 offset:88
	buffer_load_dword v52, off, s[16:19], 0 offset:92
	s_waitcnt vmcnt(0)
	global_store_dwordx4 v[201:202], v[49:52], off
	s_clause 0x5
	buffer_load_dword v49, off, s[16:19], 0 offset:544
	buffer_load_dword v50, off, s[16:19], 0 offset:548
	buffer_load_dword v193, off, s[16:19], 0 offset:64
	buffer_load_dword v194, off, s[16:19], 0 offset:68
	buffer_load_dword v195, off, s[16:19], 0 offset:72
	buffer_load_dword v196, off, s[16:19], 0 offset:76
	s_waitcnt vmcnt(0)
	global_store_dwordx4 v[49:50], v[193:196], off
	s_clause 0x5
	buffer_load_dword v201, off, s[16:19], 0 offset:112
	buffer_load_dword v202, off, s[16:19], 0 offset:116
	;; [unrolled: 9-line block ×3, first 2 shown]
	buffer_load_dword v51, off, s[16:19], 0 offset:40
	buffer_load_dword v52, off, s[16:19], 0 offset:44
	s_waitcnt vmcnt(0)
	global_store_dwordx4 v[207:208], v[49:52], off
	s_clause 0x5
	buffer_load_dword v49, off, s[16:19], 0 offset:536
	buffer_load_dword v50, off, s[16:19], 0 offset:540
	;; [unrolled: 1-line block ×6, first 2 shown]
	s_waitcnt vmcnt(0)
	global_store_dwordx4 v[49:50], v[193:196], off
	s_clause 0x5
	buffer_load_dword v199, off, s[16:19], 0 offset:120
	buffer_load_dword v200, off, s[16:19], 0 offset:124
	buffer_load_dword v49, off, s[16:19], 0
	buffer_load_dword v50, off, s[16:19], 0 offset:4
	buffer_load_dword v51, off, s[16:19], 0 offset:8
	;; [unrolled: 1-line block ×3, first 2 shown]
	s_waitcnt vmcnt(0)
	global_store_dwordx4 v[199:200], v[49:52], off
	global_store_dwordx4 v[197:198], v[249:252], off
	s_clause 0x1
	buffer_load_dword v197, off, s[16:19], 0 offset:128
	buffer_load_dword v198, off, s[16:19], 0 offset:132
	s_waitcnt vmcnt(0)
	global_store_dwordx4 v[197:198], v[245:248], off
	s_clause 0x1
	buffer_load_dword v197, off, s[16:19], 0 offset:136
	buffer_load_dword v198, off, s[16:19], 0 offset:140
	s_waitcnt vmcnt(0)
	;; [unrolled: 5-line block ×51, first 2 shown]
	global_store_dwordx4 v[5:6], v[1:4], off
.LBB117_536:
	s_endpgm
	.section	.rodata,"a",@progbits
	.p2align	6, 0x0
	.amdhsa_kernel _ZN9rocsolver6v33100L23getf2_npvt_small_kernelILi59E19rocblas_complex_numIdEiiPS3_EEvT1_T3_lS5_lPT2_S5_S5_
		.amdhsa_group_segment_fixed_size 0
		.amdhsa_private_segment_fixed_size 1404
		.amdhsa_kernarg_size 312
		.amdhsa_user_sgpr_count 6
		.amdhsa_user_sgpr_private_segment_buffer 1
		.amdhsa_user_sgpr_dispatch_ptr 0
		.amdhsa_user_sgpr_queue_ptr 0
		.amdhsa_user_sgpr_kernarg_segment_ptr 1
		.amdhsa_user_sgpr_dispatch_id 0
		.amdhsa_user_sgpr_flat_scratch_init 0
		.amdhsa_user_sgpr_private_segment_size 0
		.amdhsa_wavefront_size32 1
		.amdhsa_uses_dynamic_stack 0
		.amdhsa_system_sgpr_private_segment_wavefront_offset 1
		.amdhsa_system_sgpr_workgroup_id_x 1
		.amdhsa_system_sgpr_workgroup_id_y 1
		.amdhsa_system_sgpr_workgroup_id_z 0
		.amdhsa_system_sgpr_workgroup_info 0
		.amdhsa_system_vgpr_workitem_id 1
		.amdhsa_next_free_vgpr 256
		.amdhsa_next_free_sgpr 22
		.amdhsa_reserve_vcc 1
		.amdhsa_reserve_flat_scratch 0
		.amdhsa_float_round_mode_32 0
		.amdhsa_float_round_mode_16_64 0
		.amdhsa_float_denorm_mode_32 3
		.amdhsa_float_denorm_mode_16_64 3
		.amdhsa_dx10_clamp 1
		.amdhsa_ieee_mode 1
		.amdhsa_fp16_overflow 0
		.amdhsa_workgroup_processor_mode 1
		.amdhsa_memory_ordered 1
		.amdhsa_forward_progress 1
		.amdhsa_shared_vgpr_count 0
		.amdhsa_exception_fp_ieee_invalid_op 0
		.amdhsa_exception_fp_denorm_src 0
		.amdhsa_exception_fp_ieee_div_zero 0
		.amdhsa_exception_fp_ieee_overflow 0
		.amdhsa_exception_fp_ieee_underflow 0
		.amdhsa_exception_fp_ieee_inexact 0
		.amdhsa_exception_int_div_zero 0
	.end_amdhsa_kernel
	.section	.text._ZN9rocsolver6v33100L23getf2_npvt_small_kernelILi59E19rocblas_complex_numIdEiiPS3_EEvT1_T3_lS5_lPT2_S5_S5_,"axG",@progbits,_ZN9rocsolver6v33100L23getf2_npvt_small_kernelILi59E19rocblas_complex_numIdEiiPS3_EEvT1_T3_lS5_lPT2_S5_S5_,comdat
.Lfunc_end117:
	.size	_ZN9rocsolver6v33100L23getf2_npvt_small_kernelILi59E19rocblas_complex_numIdEiiPS3_EEvT1_T3_lS5_lPT2_S5_S5_, .Lfunc_end117-_ZN9rocsolver6v33100L23getf2_npvt_small_kernelILi59E19rocblas_complex_numIdEiiPS3_EEvT1_T3_lS5_lPT2_S5_S5_
                                        ; -- End function
	.set _ZN9rocsolver6v33100L23getf2_npvt_small_kernelILi59E19rocblas_complex_numIdEiiPS3_EEvT1_T3_lS5_lPT2_S5_S5_.num_vgpr, 256
	.set _ZN9rocsolver6v33100L23getf2_npvt_small_kernelILi59E19rocblas_complex_numIdEiiPS3_EEvT1_T3_lS5_lPT2_S5_S5_.num_agpr, 0
	.set _ZN9rocsolver6v33100L23getf2_npvt_small_kernelILi59E19rocblas_complex_numIdEiiPS3_EEvT1_T3_lS5_lPT2_S5_S5_.numbered_sgpr, 22
	.set _ZN9rocsolver6v33100L23getf2_npvt_small_kernelILi59E19rocblas_complex_numIdEiiPS3_EEvT1_T3_lS5_lPT2_S5_S5_.num_named_barrier, 0
	.set _ZN9rocsolver6v33100L23getf2_npvt_small_kernelILi59E19rocblas_complex_numIdEiiPS3_EEvT1_T3_lS5_lPT2_S5_S5_.private_seg_size, 1404
	.set _ZN9rocsolver6v33100L23getf2_npvt_small_kernelILi59E19rocblas_complex_numIdEiiPS3_EEvT1_T3_lS5_lPT2_S5_S5_.uses_vcc, 1
	.set _ZN9rocsolver6v33100L23getf2_npvt_small_kernelILi59E19rocblas_complex_numIdEiiPS3_EEvT1_T3_lS5_lPT2_S5_S5_.uses_flat_scratch, 0
	.set _ZN9rocsolver6v33100L23getf2_npvt_small_kernelILi59E19rocblas_complex_numIdEiiPS3_EEvT1_T3_lS5_lPT2_S5_S5_.has_dyn_sized_stack, 0
	.set _ZN9rocsolver6v33100L23getf2_npvt_small_kernelILi59E19rocblas_complex_numIdEiiPS3_EEvT1_T3_lS5_lPT2_S5_S5_.has_recursion, 0
	.set _ZN9rocsolver6v33100L23getf2_npvt_small_kernelILi59E19rocblas_complex_numIdEiiPS3_EEvT1_T3_lS5_lPT2_S5_S5_.has_indirect_call, 0
	.section	.AMDGPU.csdata,"",@progbits
; Kernel info:
; codeLenInByte = 169352
; TotalNumSgprs: 24
; NumVgprs: 256
; ScratchSize: 1404
; MemoryBound: 1
; FloatMode: 240
; IeeeMode: 1
; LDSByteSize: 0 bytes/workgroup (compile time only)
; SGPRBlocks: 0
; VGPRBlocks: 31
; NumSGPRsForWavesPerEU: 24
; NumVGPRsForWavesPerEU: 256
; Occupancy: 4
; WaveLimiterHint : 0
; COMPUTE_PGM_RSRC2:SCRATCH_EN: 1
; COMPUTE_PGM_RSRC2:USER_SGPR: 6
; COMPUTE_PGM_RSRC2:TRAP_HANDLER: 0
; COMPUTE_PGM_RSRC2:TGID_X_EN: 1
; COMPUTE_PGM_RSRC2:TGID_Y_EN: 1
; COMPUTE_PGM_RSRC2:TGID_Z_EN: 0
; COMPUTE_PGM_RSRC2:TIDIG_COMP_CNT: 1
	.section	.text._ZN9rocsolver6v33100L18getf2_small_kernelILi60E19rocblas_complex_numIdEiiPS3_EEvT1_T3_lS5_lPS5_llPT2_S5_S5_S7_l,"axG",@progbits,_ZN9rocsolver6v33100L18getf2_small_kernelILi60E19rocblas_complex_numIdEiiPS3_EEvT1_T3_lS5_lPS5_llPT2_S5_S5_S7_l,comdat
	.globl	_ZN9rocsolver6v33100L18getf2_small_kernelILi60E19rocblas_complex_numIdEiiPS3_EEvT1_T3_lS5_lPS5_llPT2_S5_S5_S7_l ; -- Begin function _ZN9rocsolver6v33100L18getf2_small_kernelILi60E19rocblas_complex_numIdEiiPS3_EEvT1_T3_lS5_lPS5_llPT2_S5_S5_S7_l
	.p2align	8
	.type	_ZN9rocsolver6v33100L18getf2_small_kernelILi60E19rocblas_complex_numIdEiiPS3_EEvT1_T3_lS5_lPS5_llPT2_S5_S5_S7_l,@function
_ZN9rocsolver6v33100L18getf2_small_kernelILi60E19rocblas_complex_numIdEiiPS3_EEvT1_T3_lS5_lPS5_llPT2_S5_S5_S7_l: ; @_ZN9rocsolver6v33100L18getf2_small_kernelILi60E19rocblas_complex_numIdEiiPS3_EEvT1_T3_lS5_lPS5_llPT2_S5_S5_S7_l
; %bb.0:
	s_mov_b64 s[22:23], s[2:3]
	s_mov_b64 s[20:21], s[0:1]
	s_clause 0x1
	s_load_dword s0, s[4:5], 0x6c
	s_load_dwordx2 s[16:17], s[4:5], 0x48
	s_add_u32 s20, s20, s8
	s_addc_u32 s21, s21, 0
	s_waitcnt lgkmcnt(0)
	s_lshr_b32 s0, s0, 16
	v_mad_u64_u32 v[6:7], null, s7, s0, v[1:2]
	s_mov_b32 s0, exec_lo
	v_cmpx_gt_i32_e64 s16, v6
	s_cbranch_execnz .LBB118_1
; %bb.1267:
	s_getpc_b64 s[18:19]
.Lpost_getpc20:
	s_add_u32 s18, s18, (.LBB118_1266-.Lpost_getpc20)&4294967295
	s_addc_u32 s19, s19, (.LBB118_1266-.Lpost_getpc20)>>32
	s_setpc_b64 s[18:19]
.LBB118_1:
	s_load_dwordx4 s[0:3], s[4:5], 0x50
	v_mov_b32_e32 v2, 0
	v_ashrrev_i32_e32 v7, 31, v6
	v_mov_b32_e32 v3, 0
	buffer_store_dword v2, off, s[20:23], 0 offset:16 ; 4-byte Folded Spill
	buffer_store_dword v3, off, s[20:23], 0 offset:20 ; 4-byte Folded Spill
	s_waitcnt lgkmcnt(0)
	s_cmp_eq_u64 s[0:1], 0
	s_cselect_b32 s16, -1, 0
	s_and_b32 vcc_lo, exec_lo, s16
	s_cbranch_vccnz .LBB118_3
; %bb.2:
	v_mul_lo_u32 v5, s3, v6
	v_mul_lo_u32 v4, s2, v7
	v_mad_u64_u32 v[2:3], null, s2, v6, 0
	v_add3_u32 v3, v3, v4, v5
	v_lshlrev_b64 v[2:3], 2, v[2:3]
	v_add_co_u32 v2, vcc_lo, s0, v2
	v_add_co_ci_u32_e64 v3, null, s1, v3, vcc_lo
	buffer_store_dword v2, off, s[20:23], 0 offset:16 ; 4-byte Folded Spill
	buffer_store_dword v3, off, s[20:23], 0 offset:20 ; 4-byte Folded Spill
.LBB118_3:
	s_clause 0x2
	s_load_dwordx8 s[8:15], s[4:5], 0x20
	s_load_dword s6, s[4:5], 0x18
	s_load_dwordx4 s[0:3], s[4:5], 0x8
	s_waitcnt lgkmcnt(0)
	v_mul_lo_u32 v8, s9, v6
	v_mul_lo_u32 v5, s8, v7
	buffer_store_dword v6, off, s[20:23], 0 offset:96 ; 4-byte Folded Spill
	buffer_store_dword v7, off, s[20:23], 0 offset:100 ; 4-byte Folded Spill
	v_add3_u32 v4, s6, s6, v0
	s_lshl_b64 s[2:3], s[2:3], 4
	buffer_store_dword v0, off, s[20:23], 0 offset:120 ; 4-byte Folded Spill
	v_lshlrev_b32_e32 v0, 4, v0
	s_ashr_i32 s7, s6, 31
	v_mad_u64_u32 v[2:3], null, s8, v6, 0
	v_add_nc_u32_e32 v6, s6, v4
	s_clause 0x1
	s_load_dword s8, s[4:5], 0x0
	s_load_dwordx2 s[4:5], s[4:5], 0x40
	v_ashrrev_i32_e32 v7, 31, v6
	v_add3_u32 v3, v3, v5, v8
	v_add_nc_u32_e32 v8, s6, v6
	v_ashrrev_i32_e32 v5, 31, v4
	v_lshlrev_b64 v[6:7], 4, v[6:7]
	v_lshlrev_b64 v[2:3], 4, v[2:3]
	v_ashrrev_i32_e32 v9, 31, v8
	v_add_nc_u32_e32 v10, s6, v8
	v_lshlrev_b64 v[4:5], 4, v[4:5]
	v_add_co_u32 v13, vcc_lo, s0, v2
	v_add_co_ci_u32_e64 v12, null, s1, v3, vcc_lo
	v_lshlrev_b64 v[2:3], 4, v[8:9]
	v_add_nc_u32_e32 v8, s6, v10
	v_add_co_u32 v88, vcc_lo, v13, s2
	v_add_co_ci_u32_e64 v89, null, s3, v12, vcc_lo
	v_add_nc_u32_e32 v12, s6, v8
	v_ashrrev_i32_e32 v11, 31, v10
	v_ashrrev_i32_e32 v9, 31, v8
	v_add_co_u32 v4, vcc_lo, v88, v4
	v_add_nc_u32_e32 v14, s6, v12
	v_ashrrev_i32_e32 v13, 31, v12
	v_lshlrev_b64 v[10:11], 4, v[10:11]
	v_add_co_ci_u32_e64 v5, null, v89, v5, vcc_lo
	v_add_nc_u32_e32 v16, s6, v14
	v_ashrrev_i32_e32 v15, 31, v14
	v_add_co_u32 v6, vcc_lo, v88, v6
	v_lshlrev_b64 v[8:9], 4, v[8:9]
	v_add_nc_u32_e32 v18, s6, v16
	v_ashrrev_i32_e32 v17, 31, v16
	v_add_co_ci_u32_e64 v7, null, v89, v7, vcc_lo
	v_add_co_u32 v2, vcc_lo, v88, v2
	v_add_nc_u32_e32 v20, s6, v18
	v_lshlrev_b64 v[12:13], 4, v[12:13]
	v_ashrrev_i32_e32 v19, 31, v18
	v_add_co_ci_u32_e64 v3, null, v89, v3, vcc_lo
	v_add_nc_u32_e32 v22, s6, v20
	v_add_co_u32 v10, vcc_lo, v88, v10
	v_lshlrev_b64 v[14:15], 4, v[14:15]
	v_ashrrev_i32_e32 v21, 31, v20
	v_add_nc_u32_e32 v24, s6, v22
	v_add_co_ci_u32_e64 v11, null, v89, v11, vcc_lo
	v_add_co_u32 v8, vcc_lo, v88, v8
	v_add_nc_u32_e32 v26, s6, v24
	v_lshlrev_b64 v[16:17], 4, v[16:17]
	v_ashrrev_i32_e32 v23, 31, v22
	v_add_co_ci_u32_e64 v9, null, v89, v9, vcc_lo
	v_add_nc_u32_e32 v28, s6, v26
	v_add_co_u32 v12, vcc_lo, v88, v12
	v_lshlrev_b64 v[18:19], 4, v[18:19]
	v_ashrrev_i32_e32 v25, 31, v24
	v_add_nc_u32_e32 v30, s6, v28
	;; [unrolled: 11-line block ×8, first 2 shown]
	v_add_co_ci_u32_e64 v37, null, v89, v37, vcc_lo
	v_add_co_u32 v38, vcc_lo, v88, v38
	v_add_nc_u32_e32 v68, s6, v66
	v_lshlrev_b64 v[44:45], 4, v[44:45]
	v_ashrrev_i32_e32 v51, 31, v50
	v_add_co_ci_u32_e64 v39, null, v89, v39, vcc_lo
	v_add_nc_u32_e32 v70, s6, v68
	v_add_co_u32 v40, vcc_lo, v88, v40
	v_lshlrev_b64 v[46:47], 4, v[46:47]
	v_ashrrev_i32_e32 v53, 31, v52
	v_add_co_ci_u32_e64 v41, null, v89, v41, vcc_lo
	v_add_co_u32 v42, vcc_lo, v88, v42
	v_lshlrev_b64 v[48:49], 4, v[48:49]
	v_add_nc_u32_e32 v72, s6, v70
	v_ashrrev_i32_e32 v55, 31, v54
	v_add_co_ci_u32_e64 v43, null, v89, v43, vcc_lo
	v_add_co_u32 v44, vcc_lo, v88, v44
	v_lshlrev_b64 v[50:51], 4, v[50:51]
	v_ashrrev_i32_e32 v57, 31, v56
	v_add_co_ci_u32_e64 v45, null, v89, v45, vcc_lo
	v_add_co_u32 v46, vcc_lo, v88, v46
	v_lshlrev_b64 v[52:53], 4, v[52:53]
	v_ashrrev_i32_e32 v59, 31, v58
	v_add_nc_u32_e32 v74, s6, v72
	v_add_co_ci_u32_e64 v47, null, v89, v47, vcc_lo
	v_add_co_u32 v48, vcc_lo, v88, v48
	v_lshlrev_b64 v[54:55], 4, v[54:55]
	v_ashrrev_i32_e32 v61, 31, v60
	v_add_co_ci_u32_e64 v49, null, v89, v49, vcc_lo
	v_add_co_u32 v50, vcc_lo, v88, v50
	v_lshlrev_b64 v[56:57], 4, v[56:57]
	v_ashrrev_i32_e32 v63, 31, v62
	v_add_co_ci_u32_e64 v51, null, v89, v51, vcc_lo
	v_add_co_u32 v52, vcc_lo, v88, v52
	v_lshlrev_b64 v[58:59], 4, v[58:59]
	v_add_nc_u32_e32 v76, s6, v74
	v_ashrrev_i32_e32 v65, 31, v64
	v_add_co_ci_u32_e64 v53, null, v89, v53, vcc_lo
	v_add_co_u32 v54, vcc_lo, v88, v54
	v_lshlrev_b64 v[60:61], 4, v[60:61]
	v_ashrrev_i32_e32 v67, 31, v66
	v_add_co_ci_u32_e64 v55, null, v89, v55, vcc_lo
	v_add_co_u32 v56, vcc_lo, v88, v56
	v_lshlrev_b64 v[62:63], 4, v[62:63]
	v_ashrrev_i32_e32 v69, 31, v68
	v_add_nc_u32_e32 v78, s6, v76
	v_add_co_ci_u32_e64 v57, null, v89, v57, vcc_lo
	v_add_co_u32 v58, vcc_lo, v88, v58
	v_lshlrev_b64 v[64:65], 4, v[64:65]
	v_ashrrev_i32_e32 v71, 31, v70
	v_add_co_ci_u32_e64 v59, null, v89, v59, vcc_lo
	;; [unrolled: 22-line block ×3, first 2 shown]
	v_add_co_u32 v70, vcc_lo, v88, v70
	v_lshlrev_b64 v[76:77], 4, v[76:77]
	v_add_co_ci_u32_e64 v71, null, v89, v71, vcc_lo
	v_add_co_u32 v72, vcc_lo, v88, v72
	v_lshlrev_b64 v[78:79], 4, v[78:79]
	v_add_nc_u32_e32 v84, s6, v82
	v_add_co_ci_u32_e64 v73, null, v89, v73, vcc_lo
	v_add_co_u32 v74, vcc_lo, v88, v74
	v_lshlrev_b64 v[80:81], 4, v[80:81]
	v_ashrrev_i32_e32 v83, 31, v82
	v_add_co_ci_u32_e64 v75, null, v89, v75, vcc_lo
	v_add_co_u32 v76, vcc_lo, v88, v76
	v_ashrrev_i32_e32 v85, 31, v84
	v_add_nc_u32_e32 v86, s6, v84
	v_add_co_ci_u32_e64 v77, null, v89, v77, vcc_lo
	v_add_co_u32 v78, vcc_lo, v88, v78
	v_lshlrev_b64 v[82:83], 4, v[82:83]
	v_add_co_ci_u32_e64 v79, null, v89, v79, vcc_lo
	v_add_co_u32 v234, vcc_lo, v88, v80
	v_add_co_ci_u32_e64 v235, null, v89, v81, vcc_lo
	v_lshlrev_b64 v[80:81], 4, v[84:85]
	v_ashrrev_i32_e32 v87, 31, v86
	v_add_nc_u32_e32 v84, s6, v86
	v_add_co_u32 v236, vcc_lo, v88, v82
	v_add_co_ci_u32_e64 v237, null, v89, v83, vcc_lo
	v_lshlrev_b64 v[82:83], 4, v[86:87]
	v_ashrrev_i32_e32 v85, 31, v84
	v_add_nc_u32_e32 v86, s6, v84
	;; [unrolled: 5-line block ×13, first 2 shown]
	v_add_co_u32 v222, vcc_lo, v88, v82
	v_add_co_ci_u32_e64 v223, null, v89, v83, vcc_lo
	v_lshlrev_b64 v[82:83], 4, v[86:87]
	v_add_nc_u32_e32 v86, s6, v84
	v_ashrrev_i32_e32 v85, 31, v84
	v_add_co_u32 v224, vcc_lo, v88, v80
	v_add_co_ci_u32_e64 v225, null, v89, v81, vcc_lo
	v_ashrrev_i32_e32 v87, 31, v86
	v_lshlrev_b64 v[80:81], 4, v[84:85]
	v_add_co_u32 v218, vcc_lo, v88, v82
	v_add_co_ci_u32_e64 v219, null, v89, v83, vcc_lo
	v_lshlrev_b64 v[82:83], 4, v[86:87]
	v_add_nc_u32_e32 v84, s6, v86
	v_add_co_u32 v220, vcc_lo, v88, v80
	v_add_co_ci_u32_e64 v221, null, v89, v81, vcc_lo
	v_ashrrev_i32_e32 v85, 31, v84
	v_add_co_u32 v214, vcc_lo, v88, v82
	v_add_co_ci_u32_e64 v215, null, v89, v83, vcc_lo
	v_add_co_u32 v82, vcc_lo, v88, v0
	v_add_co_ci_u32_e64 v83, null, 0, v89, vcc_lo
	v_lshlrev_b64 v[80:81], 4, v[84:85]
	s_lshl_b64 s[2:3], s[6:7], 4
	buffer_store_dword v88, off, s[20:23], 0 offset:88 ; 4-byte Folded Spill
	v_add_co_u32 v84, vcc_lo, v82, s2
	v_add_co_ci_u32_e64 v85, null, s3, v83, vcc_lo
	v_add_co_u32 v216, vcc_lo, v88, v80
	buffer_store_dword v89, off, s[20:23], 0 offset:92 ; 4-byte Folded Spill
	v_add_co_ci_u32_e64 v217, null, v89, v81, vcc_lo
	s_clause 0x1
	global_load_dwordx4 v[210:213], v[82:83], off
	global_load_dwordx4 v[80:83], v[84:85], off
	s_waitcnt lgkmcnt(0)
	s_max_i32 s0, s8, 60
	s_cmp_lt_i32 s8, 2
	s_waitcnt vmcnt(0)
	buffer_store_dword v80, off, s[20:23], 0 offset:56 ; 4-byte Folded Spill
	buffer_store_dword v81, off, s[20:23], 0 offset:60 ; 4-byte Folded Spill
	buffer_store_dword v82, off, s[20:23], 0 offset:64 ; 4-byte Folded Spill
	buffer_store_dword v83, off, s[20:23], 0 offset:68 ; 4-byte Folded Spill
	global_load_dwordx4 v[80:83], v[4:5], off
	s_waitcnt vmcnt(0)
	buffer_store_dword v80, off, s[20:23], 0 offset:40 ; 4-byte Folded Spill
	buffer_store_dword v81, off, s[20:23], 0 offset:44 ; 4-byte Folded Spill
	buffer_store_dword v82, off, s[20:23], 0 offset:48 ; 4-byte Folded Spill
	buffer_store_dword v83, off, s[20:23], 0 offset:52 ; 4-byte Folded Spill
	global_load_dwordx4 v[4:7], v[6:7], off
	s_waitcnt vmcnt(0)
	buffer_store_dword v4, off, s[20:23], 0 offset:24 ; 4-byte Folded Spill
	buffer_store_dword v5, off, s[20:23], 0 offset:28 ; 4-byte Folded Spill
	buffer_store_dword v6, off, s[20:23], 0 offset:32 ; 4-byte Folded Spill
	buffer_store_dword v7, off, s[20:23], 0 offset:36 ; 4-byte Folded Spill
	global_load_dwordx4 v[2:5], v[2:3], off
	s_waitcnt vmcnt(0)
	buffer_store_dword v2, off, s[20:23], 0 offset:104 ; 4-byte Folded Spill
	buffer_store_dword v3, off, s[20:23], 0 offset:108 ; 4-byte Folded Spill
	;; [unrolled: 1-line block ×4, first 2 shown]
	s_clause 0x36
	global_load_dwordx4 v[2:5], v[10:11], off
	global_load_dwordx4 v[6:9], v[8:9], off
	;; [unrolled: 1-line block ×55, first 2 shown]
	buffer_store_dword v210, off, s[20:23], 0 offset:72 ; 4-byte Folded Spill
	buffer_store_dword v211, off, s[20:23], 0 offset:76 ; 4-byte Folded Spill
	;; [unrolled: 1-line block ×4, first 2 shown]
	v_mul_lo_u32 v214, s0, v1
	v_mov_b32_e32 v250, 0
	v_lshl_add_u32 v1, v214, 4, 0
	v_lshlrev_b32_e32 v246, 4, v214
	v_add_nc_u32_e32 v0, v1, v0
	ds_write2_b64 v0, v[210:211], v[212:213] offset1:1
	s_waitcnt vmcnt(0) lgkmcnt(0)
	s_waitcnt_vscnt null, 0x0
	s_barrier
	buffer_gl0_inv
	ds_read2_b64 v[242:245], v1 offset1:1
	buffer_store_dword v6, off, s[20:23], 0 ; 4-byte Folded Spill
	buffer_store_dword v7, off, s[20:23], 0 offset:4 ; 4-byte Folded Spill
	buffer_store_dword v8, off, s[20:23], 0 offset:8 ; 4-byte Folded Spill
	;; [unrolled: 1-line block ×3, first 2 shown]
	s_cbranch_scc1 .LBB118_7
; %bb.4:
	v_mov_b32_e32 v210, v246
	v_add3_u32 v0, v246, 0, 16
	v_mov_b32_e32 v250, 0
	s_mov_b32 s0, 1
	s_inst_prefetch 0x1
	.p2align	6
.LBB118_5:                              ; =>This Inner Loop Header: Depth=1
	s_waitcnt lgkmcnt(0)
	v_cmp_gt_f64_e32 vcc_lo, 0, v[242:243]
	v_xor_b32_e32 v214, 0x80000000, v243
	ds_read2_b64 v[246:249], v0 offset1:1
	v_xor_b32_e32 v216, 0x80000000, v245
	v_add_nc_u32_e32 v0, 16, v0
	s_waitcnt lgkmcnt(0)
	v_xor_b32_e32 v218, 0x80000000, v249
	v_cndmask_b32_e32 v215, v243, v214, vcc_lo
	v_cmp_gt_f64_e32 vcc_lo, 0, v[244:245]
	v_mov_b32_e32 v214, v242
	v_cndmask_b32_e32 v217, v245, v216, vcc_lo
	v_cmp_gt_f64_e32 vcc_lo, 0, v[246:247]
	v_mov_b32_e32 v216, v244
	v_add_f64 v[214:215], v[214:215], v[216:217]
	v_xor_b32_e32 v216, 0x80000000, v247
	v_cndmask_b32_e32 v217, v247, v216, vcc_lo
	v_cmp_gt_f64_e32 vcc_lo, 0, v[248:249]
	v_mov_b32_e32 v216, v246
	v_cndmask_b32_e32 v219, v249, v218, vcc_lo
	v_mov_b32_e32 v218, v248
	v_add_f64 v[216:217], v[216:217], v[218:219]
	v_cmp_lt_f64_e32 vcc_lo, v[214:215], v[216:217]
	v_cndmask_b32_e32 v243, v243, v247, vcc_lo
	v_cndmask_b32_e32 v242, v242, v246, vcc_lo
	;; [unrolled: 1-line block ×4, first 2 shown]
	v_cndmask_b32_e64 v250, v250, s0, vcc_lo
	s_add_i32 s0, s0, 1
	s_cmp_eq_u32 s8, s0
	s_cbranch_scc0 .LBB118_5
; %bb.6:
	s_inst_prefetch 0x2
	s_clause 0x1
	buffer_load_dword v248, off, s[20:23], 0 offset:96
	buffer_load_dword v249, off, s[20:23], 0 offset:100
	v_mov_b32_e32 v233, v209
	v_mov_b32_e32 v232, v208
	v_mov_b32_e32 v231, v207
	v_mov_b32_e32 v230, v206
	v_mov_b32_e32 v206, v252
	v_mov_b32_e32 v207, v253
	v_mov_b32_e32 v208, v254
	v_mov_b32_e32 v209, v255
	v_mov_b32_e32 v246, v210
	s_branch .LBB118_8
.LBB118_7:
	s_clause 0x1
	buffer_load_dword v248, off, s[20:23], 0 offset:96
	buffer_load_dword v249, off, s[20:23], 0 offset:100
	v_mov_b32_e32 v233, v209
	v_mov_b32_e32 v232, v208
	;; [unrolled: 1-line block ×8, first 2 shown]
.LBB118_8:
	buffer_load_dword v253, off, s[20:23], 0 offset:120 ; 4-byte Folded Reload
	s_waitcnt lgkmcnt(0)
	v_cmp_neq_f64_e32 vcc_lo, 0, v[242:243]
	v_cmp_neq_f64_e64 s0, 0, v[244:245]
	v_mov_b32_e32 v9, v5
	v_mov_b32_e32 v8, v4
	;; [unrolled: 1-line block ×6, first 2 shown]
	s_or_b32 s1, vcc_lo, s0
	s_mov_b32 s0, exec_lo
	s_clause 0x3
	buffer_load_dword v2, off, s[20:23], 0 offset:104
	buffer_load_dword v3, off, s[20:23], 0 offset:108
	;; [unrolled: 1-line block ×4, first 2 shown]
	s_and_b32 s1, s0, s1
	s_mov_b32 exec_lo, s1
	s_cbranch_execz .LBB118_14
; %bb.9:
	v_cmp_ngt_f64_e64 s1, |v[242:243]|, |v[244:245]|
	s_and_saveexec_b32 s7, s1
	s_xor_b32 s1, exec_lo, s7
	s_cbranch_execz .LBB118_11
; %bb.10:
	v_div_scale_f64 v[214:215], null, v[244:245], v[244:245], v[242:243]
	v_div_scale_f64 v[220:221], vcc_lo, v[242:243], v[244:245], v[242:243]
	v_rcp_f64_e32 v[216:217], v[214:215]
	v_fma_f64 v[218:219], -v[214:215], v[216:217], 1.0
	v_fma_f64 v[216:217], v[216:217], v[218:219], v[216:217]
	v_fma_f64 v[218:219], -v[214:215], v[216:217], 1.0
	v_fma_f64 v[216:217], v[216:217], v[218:219], v[216:217]
	v_mul_f64 v[218:219], v[220:221], v[216:217]
	v_fma_f64 v[214:215], -v[214:215], v[218:219], v[220:221]
	v_div_fmas_f64 v[214:215], v[214:215], v[216:217], v[218:219]
	v_div_fixup_f64 v[214:215], v[214:215], v[244:245], v[242:243]
	v_fma_f64 v[216:217], v[242:243], v[214:215], v[244:245]
	v_div_scale_f64 v[218:219], null, v[216:217], v[216:217], 1.0
	v_rcp_f64_e32 v[220:221], v[218:219]
	v_fma_f64 v[222:223], -v[218:219], v[220:221], 1.0
	v_fma_f64 v[220:221], v[220:221], v[222:223], v[220:221]
	v_fma_f64 v[222:223], -v[218:219], v[220:221], 1.0
	v_fma_f64 v[220:221], v[220:221], v[222:223], v[220:221]
	v_div_scale_f64 v[222:223], vcc_lo, 1.0, v[216:217], 1.0
	v_mul_f64 v[224:225], v[222:223], v[220:221]
	v_fma_f64 v[218:219], -v[218:219], v[224:225], v[222:223]
	v_div_fmas_f64 v[218:219], v[218:219], v[220:221], v[224:225]
	v_div_fixup_f64 v[244:245], v[218:219], v[216:217], 1.0
	v_mul_f64 v[242:243], v[214:215], v[244:245]
	v_xor_b32_e32 v245, 0x80000000, v245
.LBB118_11:
	s_andn2_saveexec_b32 s1, s1
	s_cbranch_execz .LBB118_13
; %bb.12:
	v_div_scale_f64 v[214:215], null, v[242:243], v[242:243], v[244:245]
	v_div_scale_f64 v[220:221], vcc_lo, v[244:245], v[242:243], v[244:245]
	v_rcp_f64_e32 v[216:217], v[214:215]
	v_fma_f64 v[218:219], -v[214:215], v[216:217], 1.0
	v_fma_f64 v[216:217], v[216:217], v[218:219], v[216:217]
	v_fma_f64 v[218:219], -v[214:215], v[216:217], 1.0
	v_fma_f64 v[216:217], v[216:217], v[218:219], v[216:217]
	v_mul_f64 v[218:219], v[220:221], v[216:217]
	v_fma_f64 v[214:215], -v[214:215], v[218:219], v[220:221]
	v_div_fmas_f64 v[214:215], v[214:215], v[216:217], v[218:219]
	v_div_fixup_f64 v[214:215], v[214:215], v[242:243], v[244:245]
	v_fma_f64 v[216:217], v[244:245], v[214:215], v[242:243]
	v_div_scale_f64 v[218:219], null, v[216:217], v[216:217], 1.0
	v_rcp_f64_e32 v[220:221], v[218:219]
	v_fma_f64 v[222:223], -v[218:219], v[220:221], 1.0
	v_fma_f64 v[220:221], v[220:221], v[222:223], v[220:221]
	v_fma_f64 v[222:223], -v[218:219], v[220:221], 1.0
	v_fma_f64 v[220:221], v[220:221], v[222:223], v[220:221]
	v_div_scale_f64 v[222:223], vcc_lo, 1.0, v[216:217], 1.0
	v_mul_f64 v[224:225], v[222:223], v[220:221]
	v_fma_f64 v[218:219], -v[218:219], v[224:225], v[222:223]
	v_div_fmas_f64 v[218:219], v[218:219], v[220:221], v[224:225]
	v_div_fixup_f64 v[242:243], v[218:219], v[216:217], 1.0
	v_mul_f64 v[244:245], v[214:215], -v[242:243]
.LBB118_13:
	s_or_b32 exec_lo, exec_lo, s1
	v_mov_b32_e32 v252, 0
	v_mov_b32_e32 v255, 2
.LBB118_14:
	s_or_b32 exec_lo, exec_lo, s0
	s_mov_b32 s0, exec_lo
	s_waitcnt vmcnt(4)
	v_cmpx_ne_u32_e64 v253, v250
	s_xor_b32 s0, exec_lo, s0
	s_cbranch_execz .LBB118_20
; %bb.15:
	s_mov_b32 s1, exec_lo
	v_cmpx_eq_u32_e32 0, v253
	s_cbranch_execz .LBB118_19
; %bb.16:
	v_cmp_ne_u32_e32 vcc_lo, 0, v250
	s_xor_b32 s7, s16, -1
	s_and_b32 s9, s7, vcc_lo
	s_and_saveexec_b32 s7, s9
	s_cbranch_execz .LBB118_18
; %bb.17:
	s_clause 0x1
	buffer_load_dword v210, off, s[20:23], 0 offset:16
	buffer_load_dword v211, off, s[20:23], 0 offset:20
	v_ashrrev_i32_e32 v251, 31, v250
	v_lshlrev_b64 v[214:215], 2, v[250:251]
	s_waitcnt vmcnt(1)
	v_add_co_u32 v214, vcc_lo, v210, v214
	s_waitcnt vmcnt(0)
	v_add_co_ci_u32_e64 v215, null, v211, v215, vcc_lo
	s_clause 0x1
	global_load_dword v0, v[214:215], off
	global_load_dword v216, v[210:211], off
	s_waitcnt vmcnt(1)
	global_store_dword v[210:211], v0, off
	s_waitcnt vmcnt(0)
	global_store_dword v[214:215], v216, off
.LBB118_18:
	s_or_b32 exec_lo, exec_lo, s7
	v_mov_b32_e32 v253, v250
.LBB118_19:
	s_or_b32 exec_lo, exec_lo, s1
.LBB118_20:
	s_or_saveexec_b32 s0, s0
	v_mov_b32_e32 v0, v253
	s_xor_b32 exec_lo, exec_lo, s0
	s_cbranch_execz .LBB118_22
; %bb.21:
	s_clause 0x3
	buffer_load_dword v210, off, s[20:23], 0 offset:56
	buffer_load_dword v211, off, s[20:23], 0 offset:60
	;; [unrolled: 1-line block ×4, first 2 shown]
	v_mov_b32_e32 v0, 0
	s_waitcnt vmcnt(0)
	ds_write2_b64 v1, v[210:211], v[212:213] offset0:2 offset1:3
	s_clause 0x3
	buffer_load_dword v210, off, s[20:23], 0 offset:40
	buffer_load_dword v211, off, s[20:23], 0 offset:44
	;; [unrolled: 1-line block ×4, first 2 shown]
	s_waitcnt vmcnt(0)
	ds_write2_b64 v1, v[210:211], v[212:213] offset0:4 offset1:5
	s_clause 0x3
	buffer_load_dword v210, off, s[20:23], 0 offset:24
	buffer_load_dword v211, off, s[20:23], 0 offset:28
	;; [unrolled: 1-line block ×4, first 2 shown]
	s_waitcnt vmcnt(0)
	ds_write2_b64 v1, v[210:211], v[212:213] offset0:6 offset1:7
	ds_write2_b64 v1, v[2:3], v[4:5] offset0:8 offset1:9
	;; [unrolled: 1-line block ×3, first 2 shown]
	s_clause 0x3
	buffer_load_dword v210, off, s[20:23], 0
	buffer_load_dword v211, off, s[20:23], 0 offset:4
	buffer_load_dword v212, off, s[20:23], 0 offset:8
	;; [unrolled: 1-line block ×3, first 2 shown]
	s_waitcnt vmcnt(0)
	ds_write2_b64 v1, v[210:211], v[212:213] offset0:12 offset1:13
	ds_write2_b64 v1, v[230:231], v[232:233] offset0:14 offset1:15
	;; [unrolled: 1-line block ×54, first 2 shown]
.LBB118_22:
	s_or_b32 exec_lo, exec_lo, s0
	s_mov_b32 s0, exec_lo
	s_waitcnt vmcnt(0) lgkmcnt(0)
	s_waitcnt_vscnt null, 0x0
	s_barrier
	buffer_gl0_inv
	v_cmpx_lt_i32_e32 0, v0
	s_cbranch_execz .LBB118_24
; %bb.23:
	s_clause 0x3
	buffer_load_dword v216, off, s[20:23], 0 offset:72
	buffer_load_dword v217, off, s[20:23], 0 offset:76
	;; [unrolled: 1-line block ×4, first 2 shown]
	s_waitcnt vmcnt(0)
	v_mul_f64 v[214:215], v[244:245], v[218:219]
	v_fma_f64 v[250:251], v[242:243], v[216:217], -v[214:215]
	v_mul_f64 v[214:215], v[242:243], v[218:219]
	v_fma_f64 v[218:219], v[244:245], v[216:217], v[214:215]
	ds_read2_b64 v[242:245], v1 offset0:2 offset1:3
	s_clause 0x3
	buffer_load_dword v210, off, s[20:23], 0 offset:56
	buffer_load_dword v211, off, s[20:23], 0 offset:60
	buffer_load_dword v212, off, s[20:23], 0 offset:64
	buffer_load_dword v213, off, s[20:23], 0 offset:68
	s_waitcnt lgkmcnt(0)
	v_mul_f64 v[214:215], v[244:245], v[218:219]
	v_mul_f64 v[216:217], v[242:243], v[218:219]
	v_fma_f64 v[214:215], v[242:243], v[250:251], -v[214:215]
	v_fma_f64 v[216:217], v[244:245], v[250:251], v[216:217]
	s_waitcnt vmcnt(2)
	v_add_f64 v[210:211], v[210:211], -v[214:215]
	s_waitcnt vmcnt(0)
	v_add_f64 v[212:213], v[212:213], -v[216:217]
	buffer_store_dword v210, off, s[20:23], 0 offset:56 ; 4-byte Folded Spill
	buffer_store_dword v211, off, s[20:23], 0 offset:60 ; 4-byte Folded Spill
	buffer_store_dword v212, off, s[20:23], 0 offset:64 ; 4-byte Folded Spill
	buffer_store_dword v213, off, s[20:23], 0 offset:68 ; 4-byte Folded Spill
	ds_read2_b64 v[242:245], v1 offset0:4 offset1:5
	s_clause 0x3
	buffer_load_dword v210, off, s[20:23], 0 offset:40
	buffer_load_dword v211, off, s[20:23], 0 offset:44
	buffer_load_dword v212, off, s[20:23], 0 offset:48
	buffer_load_dword v213, off, s[20:23], 0 offset:52
	s_waitcnt lgkmcnt(0)
	v_mul_f64 v[214:215], v[244:245], v[218:219]
	v_mul_f64 v[216:217], v[242:243], v[218:219]
	v_fma_f64 v[214:215], v[242:243], v[250:251], -v[214:215]
	v_fma_f64 v[216:217], v[244:245], v[250:251], v[216:217]
	s_waitcnt vmcnt(2)
	v_add_f64 v[210:211], v[210:211], -v[214:215]
	s_waitcnt vmcnt(0)
	v_add_f64 v[212:213], v[212:213], -v[216:217]
	buffer_store_dword v210, off, s[20:23], 0 offset:40 ; 4-byte Folded Spill
	buffer_store_dword v211, off, s[20:23], 0 offset:44 ; 4-byte Folded Spill
	buffer_store_dword v212, off, s[20:23], 0 offset:48 ; 4-byte Folded Spill
	buffer_store_dword v213, off, s[20:23], 0 offset:52 ; 4-byte Folded Spill
	;; [unrolled: 19-line block ×3, first 2 shown]
	ds_read2_b64 v[242:245], v1 offset0:8 offset1:9
	s_waitcnt lgkmcnt(0)
	v_mul_f64 v[214:215], v[244:245], v[218:219]
	v_mul_f64 v[216:217], v[242:243], v[218:219]
	v_fma_f64 v[214:215], v[242:243], v[250:251], -v[214:215]
	v_fma_f64 v[216:217], v[244:245], v[250:251], v[216:217]
	ds_read2_b64 v[242:245], v1 offset0:10 offset1:11
	v_add_f64 v[2:3], v[2:3], -v[214:215]
	v_add_f64 v[4:5], v[4:5], -v[216:217]
	s_waitcnt lgkmcnt(0)
	v_mul_f64 v[214:215], v[244:245], v[218:219]
	v_mul_f64 v[216:217], v[242:243], v[218:219]
	v_fma_f64 v[214:215], v[242:243], v[250:251], -v[214:215]
	v_fma_f64 v[216:217], v[244:245], v[250:251], v[216:217]
	ds_read2_b64 v[242:245], v1 offset0:12 offset1:13
	s_clause 0x3
	buffer_load_dword v210, off, s[20:23], 0
	buffer_load_dword v211, off, s[20:23], 0 offset:4
	buffer_load_dword v212, off, s[20:23], 0 offset:8
	;; [unrolled: 1-line block ×3, first 2 shown]
	v_add_f64 v[6:7], v[6:7], -v[214:215]
	v_add_f64 v[8:9], v[8:9], -v[216:217]
	s_waitcnt lgkmcnt(0)
	v_mul_f64 v[214:215], v[244:245], v[218:219]
	v_mul_f64 v[216:217], v[242:243], v[218:219]
	v_fma_f64 v[214:215], v[242:243], v[250:251], -v[214:215]
	v_fma_f64 v[216:217], v[244:245], v[250:251], v[216:217]
	s_waitcnt vmcnt(2)
	v_add_f64 v[210:211], v[210:211], -v[214:215]
	s_waitcnt vmcnt(0)
	v_add_f64 v[212:213], v[212:213], -v[216:217]
	buffer_store_dword v210, off, s[20:23], 0 ; 4-byte Folded Spill
	buffer_store_dword v211, off, s[20:23], 0 offset:4 ; 4-byte Folded Spill
	buffer_store_dword v212, off, s[20:23], 0 offset:8 ; 4-byte Folded Spill
	;; [unrolled: 1-line block ×3, first 2 shown]
	ds_read2_b64 v[242:245], v1 offset0:14 offset1:15
	s_waitcnt lgkmcnt(0)
	v_mul_f64 v[214:215], v[244:245], v[218:219]
	v_mul_f64 v[216:217], v[242:243], v[218:219]
	v_fma_f64 v[214:215], v[242:243], v[250:251], -v[214:215]
	v_fma_f64 v[216:217], v[244:245], v[250:251], v[216:217]
	ds_read2_b64 v[242:245], v1 offset0:16 offset1:17
	v_add_f64 v[230:231], v[230:231], -v[214:215]
	v_add_f64 v[232:233], v[232:233], -v[216:217]
	s_waitcnt lgkmcnt(0)
	v_mul_f64 v[214:215], v[244:245], v[218:219]
	v_mul_f64 v[216:217], v[242:243], v[218:219]
	v_fma_f64 v[214:215], v[242:243], v[250:251], -v[214:215]
	v_fma_f64 v[216:217], v[244:245], v[250:251], v[216:217]
	ds_read2_b64 v[242:245], v1 offset0:18 offset1:19
	v_add_f64 v[206:207], v[206:207], -v[214:215]
	v_add_f64 v[208:209], v[208:209], -v[216:217]
	;; [unrolled: 8-line block ×52, first 2 shown]
	s_waitcnt lgkmcnt(0)
	v_mul_f64 v[214:215], v[244:245], v[218:219]
	v_mul_f64 v[216:217], v[242:243], v[218:219]
	v_fma_f64 v[214:215], v[242:243], v[250:251], -v[214:215]
	v_fma_f64 v[216:217], v[244:245], v[250:251], v[216:217]
	v_add_f64 v[226:227], v[226:227], -v[214:215]
	v_add_f64 v[228:229], v[228:229], -v[216:217]
	v_mov_b32_e32 v216, v250
	v_mov_b32_e32 v217, v251
	buffer_store_dword v216, off, s[20:23], 0 offset:72 ; 4-byte Folded Spill
	buffer_store_dword v217, off, s[20:23], 0 offset:76 ; 4-byte Folded Spill
	buffer_store_dword v218, off, s[20:23], 0 offset:80 ; 4-byte Folded Spill
	buffer_store_dword v219, off, s[20:23], 0 offset:84 ; 4-byte Folded Spill
.LBB118_24:
	s_or_b32 exec_lo, exec_lo, s0
	s_waitcnt_vscnt null, 0x0
	s_barrier
	buffer_gl0_inv
	s_clause 0x3
	buffer_load_dword v210, off, s[20:23], 0 offset:56
	buffer_load_dword v211, off, s[20:23], 0 offset:60
	;; [unrolled: 1-line block ×4, first 2 shown]
	v_lshl_add_u32 v214, v0, 4, v1
	v_mov_b32_e32 v250, 1
	s_cmp_lt_i32 s8, 3
	s_waitcnt vmcnt(0)
	ds_write2_b64 v214, v[210:211], v[212:213] offset1:1
	s_waitcnt lgkmcnt(0)
	s_barrier
	buffer_gl0_inv
	ds_read2_b64 v[242:245], v1 offset0:2 offset1:3
	s_cbranch_scc1 .LBB118_28
; %bb.25:
	v_mov_b32_e32 v210, v248
	v_mov_b32_e32 v211, v249
	;; [unrolled: 1-line block ×3, first 2 shown]
	v_add3_u32 v251, v246, 0, 32
	v_mov_b32_e32 v250, 1
	s_mov_b32 s0, 2
	s_inst_prefetch 0x1
	.p2align	6
.LBB118_26:                             ; =>This Inner Loop Header: Depth=1
	s_waitcnt lgkmcnt(0)
	v_cmp_gt_f64_e32 vcc_lo, 0, v[242:243]
	v_xor_b32_e32 v214, 0x80000000, v243
	ds_read2_b64 v[246:249], v251 offset1:1
	v_xor_b32_e32 v216, 0x80000000, v245
	v_add_nc_u32_e32 v251, 16, v251
	s_waitcnt lgkmcnt(0)
	v_xor_b32_e32 v218, 0x80000000, v249
	v_cndmask_b32_e32 v215, v243, v214, vcc_lo
	v_cmp_gt_f64_e32 vcc_lo, 0, v[244:245]
	v_mov_b32_e32 v214, v242
	v_cndmask_b32_e32 v217, v245, v216, vcc_lo
	v_cmp_gt_f64_e32 vcc_lo, 0, v[246:247]
	v_mov_b32_e32 v216, v244
	v_add_f64 v[214:215], v[214:215], v[216:217]
	v_xor_b32_e32 v216, 0x80000000, v247
	v_cndmask_b32_e32 v217, v247, v216, vcc_lo
	v_cmp_gt_f64_e32 vcc_lo, 0, v[248:249]
	v_mov_b32_e32 v216, v246
	v_cndmask_b32_e32 v219, v249, v218, vcc_lo
	v_mov_b32_e32 v218, v248
	v_add_f64 v[216:217], v[216:217], v[218:219]
	v_cmp_lt_f64_e32 vcc_lo, v[214:215], v[216:217]
	v_cndmask_b32_e32 v243, v243, v247, vcc_lo
	v_cndmask_b32_e32 v242, v242, v246, vcc_lo
	;; [unrolled: 1-line block ×4, first 2 shown]
	v_cndmask_b32_e64 v250, v250, s0, vcc_lo
	s_add_i32 s0, s0, 1
	s_cmp_lg_u32 s8, s0
	s_cbranch_scc1 .LBB118_26
; %bb.27:
	s_inst_prefetch 0x2
	v_mov_b32_e32 v249, v211
	v_mov_b32_e32 v248, v210
	v_mov_b32_e32 v246, v212
.LBB118_28:
	s_waitcnt lgkmcnt(0)
	v_cmp_neq_f64_e32 vcc_lo, 0, v[242:243]
	v_cmp_neq_f64_e64 s0, 0, v[244:245]
	s_or_b32 s1, vcc_lo, s0
	s_and_saveexec_b32 s0, s1
	s_cbranch_execz .LBB118_34
; %bb.29:
	v_cmp_ngt_f64_e64 s1, |v[242:243]|, |v[244:245]|
	s_and_saveexec_b32 s7, s1
	s_xor_b32 s1, exec_lo, s7
	s_cbranch_execz .LBB118_31
; %bb.30:
	v_div_scale_f64 v[214:215], null, v[244:245], v[244:245], v[242:243]
	v_div_scale_f64 v[220:221], vcc_lo, v[242:243], v[244:245], v[242:243]
	v_rcp_f64_e32 v[216:217], v[214:215]
	v_fma_f64 v[218:219], -v[214:215], v[216:217], 1.0
	v_fma_f64 v[216:217], v[216:217], v[218:219], v[216:217]
	v_fma_f64 v[218:219], -v[214:215], v[216:217], 1.0
	v_fma_f64 v[216:217], v[216:217], v[218:219], v[216:217]
	v_mul_f64 v[218:219], v[220:221], v[216:217]
	v_fma_f64 v[214:215], -v[214:215], v[218:219], v[220:221]
	v_div_fmas_f64 v[214:215], v[214:215], v[216:217], v[218:219]
	v_div_fixup_f64 v[214:215], v[214:215], v[244:245], v[242:243]
	v_fma_f64 v[216:217], v[242:243], v[214:215], v[244:245]
	v_div_scale_f64 v[218:219], null, v[216:217], v[216:217], 1.0
	v_rcp_f64_e32 v[220:221], v[218:219]
	v_fma_f64 v[222:223], -v[218:219], v[220:221], 1.0
	v_fma_f64 v[220:221], v[220:221], v[222:223], v[220:221]
	v_fma_f64 v[222:223], -v[218:219], v[220:221], 1.0
	v_fma_f64 v[220:221], v[220:221], v[222:223], v[220:221]
	v_div_scale_f64 v[222:223], vcc_lo, 1.0, v[216:217], 1.0
	v_mul_f64 v[224:225], v[222:223], v[220:221]
	v_fma_f64 v[218:219], -v[218:219], v[224:225], v[222:223]
	v_div_fmas_f64 v[218:219], v[218:219], v[220:221], v[224:225]
	v_div_fixup_f64 v[244:245], v[218:219], v[216:217], 1.0
	v_mul_f64 v[242:243], v[214:215], v[244:245]
	v_xor_b32_e32 v245, 0x80000000, v245
.LBB118_31:
	s_andn2_saveexec_b32 s1, s1
	s_cbranch_execz .LBB118_33
; %bb.32:
	v_div_scale_f64 v[214:215], null, v[242:243], v[242:243], v[244:245]
	v_div_scale_f64 v[220:221], vcc_lo, v[244:245], v[242:243], v[244:245]
	v_rcp_f64_e32 v[216:217], v[214:215]
	v_fma_f64 v[218:219], -v[214:215], v[216:217], 1.0
	v_fma_f64 v[216:217], v[216:217], v[218:219], v[216:217]
	v_fma_f64 v[218:219], -v[214:215], v[216:217], 1.0
	v_fma_f64 v[216:217], v[216:217], v[218:219], v[216:217]
	v_mul_f64 v[218:219], v[220:221], v[216:217]
	v_fma_f64 v[214:215], -v[214:215], v[218:219], v[220:221]
	v_div_fmas_f64 v[214:215], v[214:215], v[216:217], v[218:219]
	v_div_fixup_f64 v[214:215], v[214:215], v[242:243], v[244:245]
	v_fma_f64 v[216:217], v[244:245], v[214:215], v[242:243]
	v_div_scale_f64 v[218:219], null, v[216:217], v[216:217], 1.0
	v_rcp_f64_e32 v[220:221], v[218:219]
	v_fma_f64 v[222:223], -v[218:219], v[220:221], 1.0
	v_fma_f64 v[220:221], v[220:221], v[222:223], v[220:221]
	v_fma_f64 v[222:223], -v[218:219], v[220:221], 1.0
	v_fma_f64 v[220:221], v[220:221], v[222:223], v[220:221]
	v_div_scale_f64 v[222:223], vcc_lo, 1.0, v[216:217], 1.0
	v_mul_f64 v[224:225], v[222:223], v[220:221]
	v_fma_f64 v[218:219], -v[218:219], v[224:225], v[222:223]
	v_div_fmas_f64 v[218:219], v[218:219], v[220:221], v[224:225]
	v_div_fixup_f64 v[242:243], v[218:219], v[216:217], 1.0
	v_mul_f64 v[244:245], v[214:215], -v[242:243]
.LBB118_33:
	s_or_b32 exec_lo, exec_lo, s1
	v_mov_b32_e32 v255, v252
.LBB118_34:
	s_or_b32 exec_lo, exec_lo, s0
	s_mov_b32 s0, exec_lo
	v_cmpx_ne_u32_e64 v0, v250
	s_xor_b32 s0, exec_lo, s0
	s_cbranch_execz .LBB118_40
; %bb.35:
	s_mov_b32 s1, exec_lo
	v_cmpx_eq_u32_e32 1, v0
	s_cbranch_execz .LBB118_39
; %bb.36:
	v_cmp_ne_u32_e32 vcc_lo, 1, v250
	s_xor_b32 s7, s16, -1
	s_and_b32 s9, s7, vcc_lo
	s_and_saveexec_b32 s7, s9
	s_cbranch_execz .LBB118_38
; %bb.37:
	s_clause 0x1
	buffer_load_dword v210, off, s[20:23], 0 offset:16
	buffer_load_dword v211, off, s[20:23], 0 offset:20
	v_ashrrev_i32_e32 v251, 31, v250
	v_lshlrev_b64 v[214:215], 2, v[250:251]
	s_waitcnt vmcnt(1)
	v_add_co_u32 v214, vcc_lo, v210, v214
	s_waitcnt vmcnt(0)
	v_add_co_ci_u32_e64 v215, null, v211, v215, vcc_lo
	s_clause 0x1
	global_load_dword v0, v[214:215], off
	global_load_dword v216, v[210:211], off offset:4
	s_waitcnt vmcnt(1)
	global_store_dword v[210:211], v0, off offset:4
	s_waitcnt vmcnt(0)
	global_store_dword v[214:215], v216, off
.LBB118_38:
	s_or_b32 exec_lo, exec_lo, s7
	v_mov_b32_e32 v0, v250
	v_mov_b32_e32 v253, v250
.LBB118_39:
	s_or_b32 exec_lo, exec_lo, s1
.LBB118_40:
	s_andn2_saveexec_b32 s0, s0
	s_cbranch_execz .LBB118_42
; %bb.41:
	s_clause 0x3
	buffer_load_dword v210, off, s[20:23], 0 offset:40
	buffer_load_dword v211, off, s[20:23], 0 offset:44
	;; [unrolled: 1-line block ×4, first 2 shown]
	v_mov_b32_e32 v0, 1
	s_waitcnt vmcnt(0)
	ds_write2_b64 v1, v[210:211], v[212:213] offset0:4 offset1:5
	s_clause 0x3
	buffer_load_dword v210, off, s[20:23], 0 offset:24
	buffer_load_dword v211, off, s[20:23], 0 offset:28
	;; [unrolled: 1-line block ×4, first 2 shown]
	s_waitcnt vmcnt(0)
	ds_write2_b64 v1, v[210:211], v[212:213] offset0:6 offset1:7
	ds_write2_b64 v1, v[2:3], v[4:5] offset0:8 offset1:9
	;; [unrolled: 1-line block ×3, first 2 shown]
	s_clause 0x3
	buffer_load_dword v210, off, s[20:23], 0
	buffer_load_dword v211, off, s[20:23], 0 offset:4
	buffer_load_dword v212, off, s[20:23], 0 offset:8
	;; [unrolled: 1-line block ×3, first 2 shown]
	s_waitcnt vmcnt(0)
	ds_write2_b64 v1, v[210:211], v[212:213] offset0:12 offset1:13
	ds_write2_b64 v1, v[230:231], v[232:233] offset0:14 offset1:15
	;; [unrolled: 1-line block ×54, first 2 shown]
.LBB118_42:
	s_or_b32 exec_lo, exec_lo, s0
	s_mov_b32 s0, exec_lo
	s_waitcnt lgkmcnt(0)
	s_waitcnt_vscnt null, 0x0
	s_barrier
	buffer_gl0_inv
	v_cmpx_lt_i32_e32 1, v0
	s_cbranch_execz .LBB118_44
; %bb.43:
	s_clause 0x3
	buffer_load_dword v216, off, s[20:23], 0 offset:56
	buffer_load_dword v217, off, s[20:23], 0 offset:60
	;; [unrolled: 1-line block ×4, first 2 shown]
	s_waitcnt vmcnt(0)
	v_mul_f64 v[214:215], v[244:245], v[218:219]
	v_fma_f64 v[250:251], v[242:243], v[216:217], -v[214:215]
	v_mul_f64 v[214:215], v[242:243], v[218:219]
	v_fma_f64 v[218:219], v[244:245], v[216:217], v[214:215]
	ds_read2_b64 v[242:245], v1 offset0:4 offset1:5
	s_clause 0x3
	buffer_load_dword v210, off, s[20:23], 0 offset:40
	buffer_load_dword v211, off, s[20:23], 0 offset:44
	;; [unrolled: 1-line block ×4, first 2 shown]
	s_waitcnt lgkmcnt(0)
	v_mul_f64 v[214:215], v[244:245], v[218:219]
	v_mul_f64 v[216:217], v[242:243], v[218:219]
	v_fma_f64 v[214:215], v[242:243], v[250:251], -v[214:215]
	v_fma_f64 v[216:217], v[244:245], v[250:251], v[216:217]
	s_waitcnt vmcnt(2)
	v_add_f64 v[210:211], v[210:211], -v[214:215]
	s_waitcnt vmcnt(0)
	v_add_f64 v[212:213], v[212:213], -v[216:217]
	buffer_store_dword v210, off, s[20:23], 0 offset:40 ; 4-byte Folded Spill
	buffer_store_dword v211, off, s[20:23], 0 offset:44 ; 4-byte Folded Spill
	;; [unrolled: 1-line block ×4, first 2 shown]
	ds_read2_b64 v[242:245], v1 offset0:6 offset1:7
	s_clause 0x3
	buffer_load_dword v210, off, s[20:23], 0 offset:24
	buffer_load_dword v211, off, s[20:23], 0 offset:28
	;; [unrolled: 1-line block ×4, first 2 shown]
	s_waitcnt lgkmcnt(0)
	v_mul_f64 v[214:215], v[244:245], v[218:219]
	v_mul_f64 v[216:217], v[242:243], v[218:219]
	v_fma_f64 v[214:215], v[242:243], v[250:251], -v[214:215]
	v_fma_f64 v[216:217], v[244:245], v[250:251], v[216:217]
	s_waitcnt vmcnt(2)
	v_add_f64 v[210:211], v[210:211], -v[214:215]
	s_waitcnt vmcnt(0)
	v_add_f64 v[212:213], v[212:213], -v[216:217]
	buffer_store_dword v210, off, s[20:23], 0 offset:24 ; 4-byte Folded Spill
	buffer_store_dword v211, off, s[20:23], 0 offset:28 ; 4-byte Folded Spill
	;; [unrolled: 1-line block ×4, first 2 shown]
	ds_read2_b64 v[242:245], v1 offset0:8 offset1:9
	s_waitcnt lgkmcnt(0)
	v_mul_f64 v[214:215], v[244:245], v[218:219]
	v_mul_f64 v[216:217], v[242:243], v[218:219]
	v_fma_f64 v[214:215], v[242:243], v[250:251], -v[214:215]
	v_fma_f64 v[216:217], v[244:245], v[250:251], v[216:217]
	ds_read2_b64 v[242:245], v1 offset0:10 offset1:11
	v_add_f64 v[2:3], v[2:3], -v[214:215]
	v_add_f64 v[4:5], v[4:5], -v[216:217]
	s_waitcnt lgkmcnt(0)
	v_mul_f64 v[214:215], v[244:245], v[218:219]
	v_mul_f64 v[216:217], v[242:243], v[218:219]
	v_fma_f64 v[214:215], v[242:243], v[250:251], -v[214:215]
	v_fma_f64 v[216:217], v[244:245], v[250:251], v[216:217]
	ds_read2_b64 v[242:245], v1 offset0:12 offset1:13
	s_clause 0x3
	buffer_load_dword v210, off, s[20:23], 0
	buffer_load_dword v211, off, s[20:23], 0 offset:4
	buffer_load_dword v212, off, s[20:23], 0 offset:8
	;; [unrolled: 1-line block ×3, first 2 shown]
	v_add_f64 v[6:7], v[6:7], -v[214:215]
	v_add_f64 v[8:9], v[8:9], -v[216:217]
	s_waitcnt lgkmcnt(0)
	v_mul_f64 v[214:215], v[244:245], v[218:219]
	v_mul_f64 v[216:217], v[242:243], v[218:219]
	v_fma_f64 v[214:215], v[242:243], v[250:251], -v[214:215]
	v_fma_f64 v[216:217], v[244:245], v[250:251], v[216:217]
	s_waitcnt vmcnt(2)
	v_add_f64 v[210:211], v[210:211], -v[214:215]
	s_waitcnt vmcnt(0)
	v_add_f64 v[212:213], v[212:213], -v[216:217]
	buffer_store_dword v210, off, s[20:23], 0 ; 4-byte Folded Spill
	buffer_store_dword v211, off, s[20:23], 0 offset:4 ; 4-byte Folded Spill
	buffer_store_dword v212, off, s[20:23], 0 offset:8 ; 4-byte Folded Spill
	;; [unrolled: 1-line block ×3, first 2 shown]
	ds_read2_b64 v[242:245], v1 offset0:14 offset1:15
	s_waitcnt lgkmcnt(0)
	v_mul_f64 v[214:215], v[244:245], v[218:219]
	v_mul_f64 v[216:217], v[242:243], v[218:219]
	v_fma_f64 v[214:215], v[242:243], v[250:251], -v[214:215]
	v_fma_f64 v[216:217], v[244:245], v[250:251], v[216:217]
	ds_read2_b64 v[242:245], v1 offset0:16 offset1:17
	v_add_f64 v[230:231], v[230:231], -v[214:215]
	v_add_f64 v[232:233], v[232:233], -v[216:217]
	s_waitcnt lgkmcnt(0)
	v_mul_f64 v[214:215], v[244:245], v[218:219]
	v_mul_f64 v[216:217], v[242:243], v[218:219]
	v_fma_f64 v[214:215], v[242:243], v[250:251], -v[214:215]
	v_fma_f64 v[216:217], v[244:245], v[250:251], v[216:217]
	ds_read2_b64 v[242:245], v1 offset0:18 offset1:19
	v_add_f64 v[206:207], v[206:207], -v[214:215]
	v_add_f64 v[208:209], v[208:209], -v[216:217]
	;; [unrolled: 8-line block ×52, first 2 shown]
	s_waitcnt lgkmcnt(0)
	v_mul_f64 v[214:215], v[244:245], v[218:219]
	v_mul_f64 v[216:217], v[242:243], v[218:219]
	v_fma_f64 v[214:215], v[242:243], v[250:251], -v[214:215]
	v_fma_f64 v[216:217], v[244:245], v[250:251], v[216:217]
	v_add_f64 v[226:227], v[226:227], -v[214:215]
	v_add_f64 v[228:229], v[228:229], -v[216:217]
	v_mov_b32_e32 v216, v250
	v_mov_b32_e32 v217, v251
	buffer_store_dword v216, off, s[20:23], 0 offset:56 ; 4-byte Folded Spill
	buffer_store_dword v217, off, s[20:23], 0 offset:60 ; 4-byte Folded Spill
	;; [unrolled: 1-line block ×4, first 2 shown]
.LBB118_44:
	s_or_b32 exec_lo, exec_lo, s0
	s_waitcnt_vscnt null, 0x0
	s_barrier
	buffer_gl0_inv
	s_clause 0x3
	buffer_load_dword v210, off, s[20:23], 0 offset:40
	buffer_load_dword v211, off, s[20:23], 0 offset:44
	;; [unrolled: 1-line block ×4, first 2 shown]
	v_lshl_add_u32 v214, v0, 4, v1
	v_mov_b32_e32 v250, 2
	s_cmp_lt_i32 s8, 4
	s_waitcnt vmcnt(0)
	ds_write2_b64 v214, v[210:211], v[212:213] offset1:1
	s_waitcnt lgkmcnt(0)
	s_barrier
	buffer_gl0_inv
	ds_read2_b64 v[242:245], v1 offset0:4 offset1:5
	s_cbranch_scc1 .LBB118_47
; %bb.45:
	v_add3_u32 v247, v246, 0, 48
	v_mov_b32_e32 v250, 2
	s_mov_b32 s0, 3
	s_inst_prefetch 0x1
	.p2align	6
.LBB118_46:                             ; =>This Inner Loop Header: Depth=1
	s_waitcnt lgkmcnt(0)
	v_cmp_gt_f64_e32 vcc_lo, 0, v[242:243]
	v_xor_b32_e32 v214, 0x80000000, v243
	ds_read2_b64 v[234:237], v247 offset1:1
	v_xor_b32_e32 v216, 0x80000000, v245
	v_add_nc_u32_e32 v247, 16, v247
	s_waitcnt lgkmcnt(0)
	v_xor_b32_e32 v218, 0x80000000, v237
	v_cndmask_b32_e32 v215, v243, v214, vcc_lo
	v_cmp_gt_f64_e32 vcc_lo, 0, v[244:245]
	v_mov_b32_e32 v214, v242
	v_cndmask_b32_e32 v217, v245, v216, vcc_lo
	v_cmp_gt_f64_e32 vcc_lo, 0, v[234:235]
	v_mov_b32_e32 v216, v244
	v_add_f64 v[214:215], v[214:215], v[216:217]
	v_xor_b32_e32 v216, 0x80000000, v235
	v_cndmask_b32_e32 v217, v235, v216, vcc_lo
	v_cmp_gt_f64_e32 vcc_lo, 0, v[236:237]
	v_mov_b32_e32 v216, v234
	v_cndmask_b32_e32 v219, v237, v218, vcc_lo
	v_mov_b32_e32 v218, v236
	v_add_f64 v[216:217], v[216:217], v[218:219]
	v_cmp_lt_f64_e32 vcc_lo, v[214:215], v[216:217]
	v_cndmask_b32_e32 v243, v243, v235, vcc_lo
	v_cndmask_b32_e32 v242, v242, v234, vcc_lo
	;; [unrolled: 1-line block ×4, first 2 shown]
	v_cndmask_b32_e64 v250, v250, s0, vcc_lo
	s_add_i32 s0, s0, 1
	s_cmp_lg_u32 s8, s0
	s_cbranch_scc1 .LBB118_46
.LBB118_47:
	s_inst_prefetch 0x2
	s_waitcnt lgkmcnt(0)
	v_cmp_eq_f64_e32 vcc_lo, 0, v[242:243]
	v_cmp_eq_f64_e64 s0, 0, v[244:245]
	s_and_b32 s0, vcc_lo, s0
	s_and_saveexec_b32 s1, s0
	s_xor_b32 s0, exec_lo, s1
; %bb.48:
	v_cmp_ne_u32_e32 vcc_lo, 0, v255
	v_cndmask_b32_e32 v255, 3, v255, vcc_lo
; %bb.49:
	s_andn2_saveexec_b32 s0, s0
	s_cbranch_execz .LBB118_55
; %bb.50:
	v_cmp_ngt_f64_e64 s1, |v[242:243]|, |v[244:245]|
	s_and_saveexec_b32 s7, s1
	s_xor_b32 s1, exec_lo, s7
	s_cbranch_execz .LBB118_52
; %bb.51:
	v_div_scale_f64 v[214:215], null, v[244:245], v[244:245], v[242:243]
	v_div_scale_f64 v[220:221], vcc_lo, v[242:243], v[244:245], v[242:243]
	v_rcp_f64_e32 v[216:217], v[214:215]
	v_fma_f64 v[218:219], -v[214:215], v[216:217], 1.0
	v_fma_f64 v[216:217], v[216:217], v[218:219], v[216:217]
	v_fma_f64 v[218:219], -v[214:215], v[216:217], 1.0
	v_fma_f64 v[216:217], v[216:217], v[218:219], v[216:217]
	v_mul_f64 v[218:219], v[220:221], v[216:217]
	v_fma_f64 v[214:215], -v[214:215], v[218:219], v[220:221]
	v_div_fmas_f64 v[214:215], v[214:215], v[216:217], v[218:219]
	v_div_fixup_f64 v[214:215], v[214:215], v[244:245], v[242:243]
	v_fma_f64 v[216:217], v[242:243], v[214:215], v[244:245]
	v_div_scale_f64 v[218:219], null, v[216:217], v[216:217], 1.0
	v_rcp_f64_e32 v[220:221], v[218:219]
	v_fma_f64 v[222:223], -v[218:219], v[220:221], 1.0
	v_fma_f64 v[220:221], v[220:221], v[222:223], v[220:221]
	v_fma_f64 v[222:223], -v[218:219], v[220:221], 1.0
	v_fma_f64 v[220:221], v[220:221], v[222:223], v[220:221]
	v_div_scale_f64 v[222:223], vcc_lo, 1.0, v[216:217], 1.0
	v_mul_f64 v[224:225], v[222:223], v[220:221]
	v_fma_f64 v[218:219], -v[218:219], v[224:225], v[222:223]
	v_div_fmas_f64 v[218:219], v[218:219], v[220:221], v[224:225]
	v_div_fixup_f64 v[244:245], v[218:219], v[216:217], 1.0
	v_mul_f64 v[242:243], v[214:215], v[244:245]
	v_xor_b32_e32 v245, 0x80000000, v245
.LBB118_52:
	s_andn2_saveexec_b32 s1, s1
	s_cbranch_execz .LBB118_54
; %bb.53:
	v_div_scale_f64 v[214:215], null, v[242:243], v[242:243], v[244:245]
	v_div_scale_f64 v[220:221], vcc_lo, v[244:245], v[242:243], v[244:245]
	v_rcp_f64_e32 v[216:217], v[214:215]
	v_fma_f64 v[218:219], -v[214:215], v[216:217], 1.0
	v_fma_f64 v[216:217], v[216:217], v[218:219], v[216:217]
	v_fma_f64 v[218:219], -v[214:215], v[216:217], 1.0
	v_fma_f64 v[216:217], v[216:217], v[218:219], v[216:217]
	v_mul_f64 v[218:219], v[220:221], v[216:217]
	v_fma_f64 v[214:215], -v[214:215], v[218:219], v[220:221]
	v_div_fmas_f64 v[214:215], v[214:215], v[216:217], v[218:219]
	v_div_fixup_f64 v[214:215], v[214:215], v[242:243], v[244:245]
	v_fma_f64 v[216:217], v[244:245], v[214:215], v[242:243]
	v_div_scale_f64 v[218:219], null, v[216:217], v[216:217], 1.0
	v_rcp_f64_e32 v[220:221], v[218:219]
	v_fma_f64 v[222:223], -v[218:219], v[220:221], 1.0
	v_fma_f64 v[220:221], v[220:221], v[222:223], v[220:221]
	v_fma_f64 v[222:223], -v[218:219], v[220:221], 1.0
	v_fma_f64 v[220:221], v[220:221], v[222:223], v[220:221]
	v_div_scale_f64 v[222:223], vcc_lo, 1.0, v[216:217], 1.0
	v_mul_f64 v[224:225], v[222:223], v[220:221]
	v_fma_f64 v[218:219], -v[218:219], v[224:225], v[222:223]
	v_div_fmas_f64 v[218:219], v[218:219], v[220:221], v[224:225]
	v_div_fixup_f64 v[242:243], v[218:219], v[216:217], 1.0
	v_mul_f64 v[244:245], v[214:215], -v[242:243]
.LBB118_54:
	s_or_b32 exec_lo, exec_lo, s1
.LBB118_55:
	s_or_b32 exec_lo, exec_lo, s0
	s_mov_b32 s0, exec_lo
	v_cmpx_ne_u32_e64 v0, v250
	s_xor_b32 s0, exec_lo, s0
	s_cbranch_execz .LBB118_61
; %bb.56:
	s_mov_b32 s1, exec_lo
	v_cmpx_eq_u32_e32 2, v0
	s_cbranch_execz .LBB118_60
; %bb.57:
	v_cmp_ne_u32_e32 vcc_lo, 2, v250
	s_xor_b32 s7, s16, -1
	s_and_b32 s9, s7, vcc_lo
	s_and_saveexec_b32 s7, s9
	s_cbranch_execz .LBB118_59
; %bb.58:
	s_clause 0x1
	buffer_load_dword v210, off, s[20:23], 0 offset:16
	buffer_load_dword v211, off, s[20:23], 0 offset:20
	v_ashrrev_i32_e32 v251, 31, v250
	v_lshlrev_b64 v[214:215], 2, v[250:251]
	s_waitcnt vmcnt(1)
	v_add_co_u32 v214, vcc_lo, v210, v214
	s_waitcnt vmcnt(0)
	v_add_co_ci_u32_e64 v215, null, v211, v215, vcc_lo
	s_clause 0x1
	global_load_dword v0, v[214:215], off
	global_load_dword v216, v[210:211], off offset:8
	s_waitcnt vmcnt(1)
	global_store_dword v[210:211], v0, off offset:8
	s_waitcnt vmcnt(0)
	global_store_dword v[214:215], v216, off
.LBB118_59:
	s_or_b32 exec_lo, exec_lo, s7
	v_mov_b32_e32 v0, v250
	v_mov_b32_e32 v253, v250
.LBB118_60:
	s_or_b32 exec_lo, exec_lo, s1
.LBB118_61:
	s_andn2_saveexec_b32 s0, s0
	s_cbranch_execz .LBB118_63
; %bb.62:
	s_clause 0x3
	buffer_load_dword v210, off, s[20:23], 0 offset:24
	buffer_load_dword v211, off, s[20:23], 0 offset:28
	;; [unrolled: 1-line block ×4, first 2 shown]
	v_mov_b32_e32 v0, 2
	s_waitcnt vmcnt(0)
	ds_write2_b64 v1, v[210:211], v[212:213] offset0:6 offset1:7
	ds_write2_b64 v1, v[2:3], v[4:5] offset0:8 offset1:9
	;; [unrolled: 1-line block ×3, first 2 shown]
	s_clause 0x3
	buffer_load_dword v210, off, s[20:23], 0
	buffer_load_dword v211, off, s[20:23], 0 offset:4
	buffer_load_dword v212, off, s[20:23], 0 offset:8
	;; [unrolled: 1-line block ×3, first 2 shown]
	s_waitcnt vmcnt(0)
	ds_write2_b64 v1, v[210:211], v[212:213] offset0:12 offset1:13
	ds_write2_b64 v1, v[230:231], v[232:233] offset0:14 offset1:15
	;; [unrolled: 1-line block ×54, first 2 shown]
.LBB118_63:
	s_or_b32 exec_lo, exec_lo, s0
	s_mov_b32 s0, exec_lo
	s_waitcnt lgkmcnt(0)
	s_waitcnt_vscnt null, 0x0
	s_barrier
	buffer_gl0_inv
	v_cmpx_lt_i32_e32 2, v0
	s_cbranch_execz .LBB118_65
; %bb.64:
	s_clause 0x3
	buffer_load_dword v216, off, s[20:23], 0 offset:40
	buffer_load_dword v217, off, s[20:23], 0 offset:44
	buffer_load_dword v218, off, s[20:23], 0 offset:48
	buffer_load_dword v219, off, s[20:23], 0 offset:52
	ds_read2_b64 v[234:237], v1 offset0:6 offset1:7
	s_clause 0x3
	buffer_load_dword v210, off, s[20:23], 0 offset:24
	buffer_load_dword v211, off, s[20:23], 0 offset:28
	;; [unrolled: 1-line block ×4, first 2 shown]
	s_waitcnt vmcnt(4)
	v_mul_f64 v[214:215], v[244:245], v[218:219]
	v_fma_f64 v[250:251], v[242:243], v[216:217], -v[214:215]
	v_mul_f64 v[214:215], v[242:243], v[218:219]
	v_fma_f64 v[218:219], v[244:245], v[216:217], v[214:215]
	s_waitcnt lgkmcnt(0)
	v_mul_f64 v[214:215], v[236:237], v[218:219]
	v_mul_f64 v[216:217], v[234:235], v[218:219]
	v_fma_f64 v[214:215], v[234:235], v[250:251], -v[214:215]
	v_fma_f64 v[216:217], v[236:237], v[250:251], v[216:217]
	s_waitcnt vmcnt(2)
	v_add_f64 v[210:211], v[210:211], -v[214:215]
	s_waitcnt vmcnt(0)
	v_add_f64 v[212:213], v[212:213], -v[216:217]
	buffer_store_dword v210, off, s[20:23], 0 offset:24 ; 4-byte Folded Spill
	buffer_store_dword v211, off, s[20:23], 0 offset:28 ; 4-byte Folded Spill
	buffer_store_dword v212, off, s[20:23], 0 offset:32 ; 4-byte Folded Spill
	buffer_store_dword v213, off, s[20:23], 0 offset:36 ; 4-byte Folded Spill
	ds_read2_b64 v[234:237], v1 offset0:8 offset1:9
	s_waitcnt lgkmcnt(0)
	v_mul_f64 v[214:215], v[236:237], v[218:219]
	v_mul_f64 v[216:217], v[234:235], v[218:219]
	v_fma_f64 v[214:215], v[234:235], v[250:251], -v[214:215]
	v_fma_f64 v[216:217], v[236:237], v[250:251], v[216:217]
	ds_read2_b64 v[234:237], v1 offset0:10 offset1:11
	v_add_f64 v[2:3], v[2:3], -v[214:215]
	v_add_f64 v[4:5], v[4:5], -v[216:217]
	s_waitcnt lgkmcnt(0)
	v_mul_f64 v[214:215], v[236:237], v[218:219]
	v_mul_f64 v[216:217], v[234:235], v[218:219]
	v_fma_f64 v[214:215], v[234:235], v[250:251], -v[214:215]
	v_fma_f64 v[216:217], v[236:237], v[250:251], v[216:217]
	ds_read2_b64 v[234:237], v1 offset0:12 offset1:13
	s_clause 0x3
	buffer_load_dword v210, off, s[20:23], 0
	buffer_load_dword v211, off, s[20:23], 0 offset:4
	buffer_load_dword v212, off, s[20:23], 0 offset:8
	;; [unrolled: 1-line block ×3, first 2 shown]
	v_add_f64 v[6:7], v[6:7], -v[214:215]
	v_add_f64 v[8:9], v[8:9], -v[216:217]
	s_waitcnt lgkmcnt(0)
	v_mul_f64 v[214:215], v[236:237], v[218:219]
	v_mul_f64 v[216:217], v[234:235], v[218:219]
	v_fma_f64 v[214:215], v[234:235], v[250:251], -v[214:215]
	v_fma_f64 v[216:217], v[236:237], v[250:251], v[216:217]
	s_waitcnt vmcnt(2)
	v_add_f64 v[210:211], v[210:211], -v[214:215]
	s_waitcnt vmcnt(0)
	v_add_f64 v[212:213], v[212:213], -v[216:217]
	buffer_store_dword v210, off, s[20:23], 0 ; 4-byte Folded Spill
	buffer_store_dword v211, off, s[20:23], 0 offset:4 ; 4-byte Folded Spill
	buffer_store_dword v212, off, s[20:23], 0 offset:8 ; 4-byte Folded Spill
	;; [unrolled: 1-line block ×3, first 2 shown]
	ds_read2_b64 v[234:237], v1 offset0:14 offset1:15
	s_waitcnt lgkmcnt(0)
	v_mul_f64 v[214:215], v[236:237], v[218:219]
	v_mul_f64 v[216:217], v[234:235], v[218:219]
	v_fma_f64 v[214:215], v[234:235], v[250:251], -v[214:215]
	v_fma_f64 v[216:217], v[236:237], v[250:251], v[216:217]
	ds_read2_b64 v[234:237], v1 offset0:16 offset1:17
	v_add_f64 v[230:231], v[230:231], -v[214:215]
	v_add_f64 v[232:233], v[232:233], -v[216:217]
	s_waitcnt lgkmcnt(0)
	v_mul_f64 v[214:215], v[236:237], v[218:219]
	v_mul_f64 v[216:217], v[234:235], v[218:219]
	v_fma_f64 v[214:215], v[234:235], v[250:251], -v[214:215]
	v_fma_f64 v[216:217], v[236:237], v[250:251], v[216:217]
	ds_read2_b64 v[234:237], v1 offset0:18 offset1:19
	v_add_f64 v[206:207], v[206:207], -v[214:215]
	v_add_f64 v[208:209], v[208:209], -v[216:217]
	;; [unrolled: 8-line block ×52, first 2 shown]
	s_waitcnt lgkmcnt(0)
	v_mul_f64 v[214:215], v[236:237], v[218:219]
	v_mul_f64 v[216:217], v[234:235], v[218:219]
	v_fma_f64 v[214:215], v[234:235], v[250:251], -v[214:215]
	v_fma_f64 v[216:217], v[236:237], v[250:251], v[216:217]
	v_add_f64 v[226:227], v[226:227], -v[214:215]
	v_add_f64 v[228:229], v[228:229], -v[216:217]
	v_mov_b32_e32 v216, v250
	v_mov_b32_e32 v217, v251
	buffer_store_dword v216, off, s[20:23], 0 offset:40 ; 4-byte Folded Spill
	buffer_store_dword v217, off, s[20:23], 0 offset:44 ; 4-byte Folded Spill
	;; [unrolled: 1-line block ×4, first 2 shown]
.LBB118_65:
	s_or_b32 exec_lo, exec_lo, s0
	s_waitcnt_vscnt null, 0x0
	s_barrier
	buffer_gl0_inv
	s_clause 0x3
	buffer_load_dword v210, off, s[20:23], 0 offset:24
	buffer_load_dword v211, off, s[20:23], 0 offset:28
	;; [unrolled: 1-line block ×4, first 2 shown]
	v_lshl_add_u32 v214, v0, 4, v1
	v_mov_b32_e32 v250, 3
	s_cmp_lt_i32 s8, 5
	s_mov_b32 s0, 4
	s_waitcnt vmcnt(0)
	ds_write2_b64 v214, v[210:211], v[212:213] offset1:1
	s_waitcnt lgkmcnt(0)
	s_barrier
	buffer_gl0_inv
	ds_read2_b64 v[242:245], v1 offset0:6 offset1:7
	s_cbranch_scc1 .LBB118_68
; %bb.66:
	v_add3_u32 v247, v246, 0, 64
	v_mov_b32_e32 v250, 3
	s_inst_prefetch 0x1
	.p2align	6
.LBB118_67:                             ; =>This Inner Loop Header: Depth=1
	s_waitcnt lgkmcnt(0)
	v_cmp_gt_f64_e32 vcc_lo, 0, v[242:243]
	v_xor_b32_e32 v214, 0x80000000, v243
	ds_read2_b64 v[234:237], v247 offset1:1
	v_xor_b32_e32 v216, 0x80000000, v245
	v_add_nc_u32_e32 v247, 16, v247
	s_waitcnt lgkmcnt(0)
	v_xor_b32_e32 v218, 0x80000000, v237
	v_cndmask_b32_e32 v215, v243, v214, vcc_lo
	v_cmp_gt_f64_e32 vcc_lo, 0, v[244:245]
	v_mov_b32_e32 v214, v242
	v_cndmask_b32_e32 v217, v245, v216, vcc_lo
	v_cmp_gt_f64_e32 vcc_lo, 0, v[234:235]
	v_mov_b32_e32 v216, v244
	v_add_f64 v[214:215], v[214:215], v[216:217]
	v_xor_b32_e32 v216, 0x80000000, v235
	v_cndmask_b32_e32 v217, v235, v216, vcc_lo
	v_cmp_gt_f64_e32 vcc_lo, 0, v[236:237]
	v_mov_b32_e32 v216, v234
	v_cndmask_b32_e32 v219, v237, v218, vcc_lo
	v_mov_b32_e32 v218, v236
	v_add_f64 v[216:217], v[216:217], v[218:219]
	v_cmp_lt_f64_e32 vcc_lo, v[214:215], v[216:217]
	v_cndmask_b32_e32 v243, v243, v235, vcc_lo
	v_cndmask_b32_e32 v242, v242, v234, vcc_lo
	v_cndmask_b32_e32 v245, v245, v237, vcc_lo
	v_cndmask_b32_e32 v244, v244, v236, vcc_lo
	v_cndmask_b32_e64 v250, v250, s0, vcc_lo
	s_add_i32 s0, s0, 1
	s_cmp_lg_u32 s8, s0
	s_cbranch_scc1 .LBB118_67
.LBB118_68:
	s_inst_prefetch 0x2
	s_waitcnt lgkmcnt(0)
	v_cmp_eq_f64_e32 vcc_lo, 0, v[242:243]
	v_cmp_eq_f64_e64 s0, 0, v[244:245]
	s_and_b32 s0, vcc_lo, s0
	s_and_saveexec_b32 s1, s0
	s_xor_b32 s0, exec_lo, s1
; %bb.69:
	v_cmp_ne_u32_e32 vcc_lo, 0, v255
	v_cndmask_b32_e32 v255, 4, v255, vcc_lo
; %bb.70:
	s_andn2_saveexec_b32 s0, s0
	s_cbranch_execz .LBB118_76
; %bb.71:
	v_cmp_ngt_f64_e64 s1, |v[242:243]|, |v[244:245]|
	s_and_saveexec_b32 s7, s1
	s_xor_b32 s1, exec_lo, s7
	s_cbranch_execz .LBB118_73
; %bb.72:
	v_div_scale_f64 v[214:215], null, v[244:245], v[244:245], v[242:243]
	v_div_scale_f64 v[220:221], vcc_lo, v[242:243], v[244:245], v[242:243]
	v_rcp_f64_e32 v[216:217], v[214:215]
	v_fma_f64 v[218:219], -v[214:215], v[216:217], 1.0
	v_fma_f64 v[216:217], v[216:217], v[218:219], v[216:217]
	v_fma_f64 v[218:219], -v[214:215], v[216:217], 1.0
	v_fma_f64 v[216:217], v[216:217], v[218:219], v[216:217]
	v_mul_f64 v[218:219], v[220:221], v[216:217]
	v_fma_f64 v[214:215], -v[214:215], v[218:219], v[220:221]
	v_div_fmas_f64 v[214:215], v[214:215], v[216:217], v[218:219]
	v_div_fixup_f64 v[214:215], v[214:215], v[244:245], v[242:243]
	v_fma_f64 v[216:217], v[242:243], v[214:215], v[244:245]
	v_div_scale_f64 v[218:219], null, v[216:217], v[216:217], 1.0
	v_rcp_f64_e32 v[220:221], v[218:219]
	v_fma_f64 v[222:223], -v[218:219], v[220:221], 1.0
	v_fma_f64 v[220:221], v[220:221], v[222:223], v[220:221]
	v_fma_f64 v[222:223], -v[218:219], v[220:221], 1.0
	v_fma_f64 v[220:221], v[220:221], v[222:223], v[220:221]
	v_div_scale_f64 v[222:223], vcc_lo, 1.0, v[216:217], 1.0
	v_mul_f64 v[224:225], v[222:223], v[220:221]
	v_fma_f64 v[218:219], -v[218:219], v[224:225], v[222:223]
	v_div_fmas_f64 v[218:219], v[218:219], v[220:221], v[224:225]
	v_div_fixup_f64 v[244:245], v[218:219], v[216:217], 1.0
	v_mul_f64 v[242:243], v[214:215], v[244:245]
	v_xor_b32_e32 v245, 0x80000000, v245
.LBB118_73:
	s_andn2_saveexec_b32 s1, s1
	s_cbranch_execz .LBB118_75
; %bb.74:
	v_div_scale_f64 v[214:215], null, v[242:243], v[242:243], v[244:245]
	v_div_scale_f64 v[220:221], vcc_lo, v[244:245], v[242:243], v[244:245]
	v_rcp_f64_e32 v[216:217], v[214:215]
	v_fma_f64 v[218:219], -v[214:215], v[216:217], 1.0
	v_fma_f64 v[216:217], v[216:217], v[218:219], v[216:217]
	v_fma_f64 v[218:219], -v[214:215], v[216:217], 1.0
	v_fma_f64 v[216:217], v[216:217], v[218:219], v[216:217]
	v_mul_f64 v[218:219], v[220:221], v[216:217]
	v_fma_f64 v[214:215], -v[214:215], v[218:219], v[220:221]
	v_div_fmas_f64 v[214:215], v[214:215], v[216:217], v[218:219]
	v_div_fixup_f64 v[214:215], v[214:215], v[242:243], v[244:245]
	v_fma_f64 v[216:217], v[244:245], v[214:215], v[242:243]
	v_div_scale_f64 v[218:219], null, v[216:217], v[216:217], 1.0
	v_rcp_f64_e32 v[220:221], v[218:219]
	v_fma_f64 v[222:223], -v[218:219], v[220:221], 1.0
	v_fma_f64 v[220:221], v[220:221], v[222:223], v[220:221]
	v_fma_f64 v[222:223], -v[218:219], v[220:221], 1.0
	v_fma_f64 v[220:221], v[220:221], v[222:223], v[220:221]
	v_div_scale_f64 v[222:223], vcc_lo, 1.0, v[216:217], 1.0
	v_mul_f64 v[224:225], v[222:223], v[220:221]
	v_fma_f64 v[218:219], -v[218:219], v[224:225], v[222:223]
	v_div_fmas_f64 v[218:219], v[218:219], v[220:221], v[224:225]
	v_div_fixup_f64 v[242:243], v[218:219], v[216:217], 1.0
	v_mul_f64 v[244:245], v[214:215], -v[242:243]
.LBB118_75:
	s_or_b32 exec_lo, exec_lo, s1
.LBB118_76:
	s_or_b32 exec_lo, exec_lo, s0
	s_mov_b32 s0, exec_lo
	v_cmpx_ne_u32_e64 v0, v250
	s_xor_b32 s0, exec_lo, s0
	s_cbranch_execz .LBB118_82
; %bb.77:
	s_mov_b32 s1, exec_lo
	v_cmpx_eq_u32_e32 3, v0
	s_cbranch_execz .LBB118_81
; %bb.78:
	v_cmp_ne_u32_e32 vcc_lo, 3, v250
	s_xor_b32 s7, s16, -1
	s_and_b32 s9, s7, vcc_lo
	s_and_saveexec_b32 s7, s9
	s_cbranch_execz .LBB118_80
; %bb.79:
	s_clause 0x1
	buffer_load_dword v210, off, s[20:23], 0 offset:16
	buffer_load_dword v211, off, s[20:23], 0 offset:20
	v_ashrrev_i32_e32 v251, 31, v250
	v_lshlrev_b64 v[214:215], 2, v[250:251]
	s_waitcnt vmcnt(1)
	v_add_co_u32 v214, vcc_lo, v210, v214
	s_waitcnt vmcnt(0)
	v_add_co_ci_u32_e64 v215, null, v211, v215, vcc_lo
	s_clause 0x1
	global_load_dword v0, v[214:215], off
	global_load_dword v216, v[210:211], off offset:12
	s_waitcnt vmcnt(1)
	global_store_dword v[210:211], v0, off offset:12
	s_waitcnt vmcnt(0)
	global_store_dword v[214:215], v216, off
.LBB118_80:
	s_or_b32 exec_lo, exec_lo, s7
	v_mov_b32_e32 v0, v250
	v_mov_b32_e32 v253, v250
.LBB118_81:
	s_or_b32 exec_lo, exec_lo, s1
.LBB118_82:
	s_andn2_saveexec_b32 s0, s0
	s_cbranch_execz .LBB118_84
; %bb.83:
	ds_write2_b64 v1, v[2:3], v[4:5] offset0:8 offset1:9
	ds_write2_b64 v1, v[6:7], v[8:9] offset0:10 offset1:11
	s_clause 0x3
	buffer_load_dword v210, off, s[20:23], 0
	buffer_load_dword v211, off, s[20:23], 0 offset:4
	buffer_load_dword v212, off, s[20:23], 0 offset:8
	;; [unrolled: 1-line block ×3, first 2 shown]
	v_mov_b32_e32 v0, 3
	s_waitcnt vmcnt(0)
	ds_write2_b64 v1, v[210:211], v[212:213] offset0:12 offset1:13
	ds_write2_b64 v1, v[230:231], v[232:233] offset0:14 offset1:15
	;; [unrolled: 1-line block ×54, first 2 shown]
.LBB118_84:
	s_or_b32 exec_lo, exec_lo, s0
	s_mov_b32 s0, exec_lo
	s_waitcnt lgkmcnt(0)
	s_waitcnt_vscnt null, 0x0
	s_barrier
	buffer_gl0_inv
	v_cmpx_lt_i32_e32 3, v0
	s_cbranch_execz .LBB118_86
; %bb.85:
	s_clause 0x3
	buffer_load_dword v210, off, s[20:23], 0 offset:24
	buffer_load_dword v211, off, s[20:23], 0 offset:28
	;; [unrolled: 1-line block ×4, first 2 shown]
	ds_read2_b64 v[234:237], v1 offset0:8 offset1:9
	s_waitcnt vmcnt(0)
	v_mul_f64 v[214:215], v[244:245], v[212:213]
	v_fma_f64 v[250:251], v[242:243], v[210:211], -v[214:215]
	v_mul_f64 v[214:215], v[242:243], v[212:213]
	v_fma_f64 v[212:213], v[244:245], v[210:211], v[214:215]
	v_mov_b32_e32 v210, v250
	v_mov_b32_e32 v211, v251
	s_waitcnt lgkmcnt(0)
	v_mul_f64 v[214:215], v[236:237], v[212:213]
	v_mul_f64 v[216:217], v[234:235], v[212:213]
	v_fma_f64 v[214:215], v[234:235], v[250:251], -v[214:215]
	v_fma_f64 v[216:217], v[236:237], v[250:251], v[216:217]
	ds_read2_b64 v[234:237], v1 offset0:10 offset1:11
	v_add_f64 v[2:3], v[2:3], -v[214:215]
	v_add_f64 v[4:5], v[4:5], -v[216:217]
	s_waitcnt lgkmcnt(0)
	v_mul_f64 v[214:215], v[236:237], v[212:213]
	v_mul_f64 v[216:217], v[234:235], v[212:213]
	v_fma_f64 v[214:215], v[234:235], v[250:251], -v[214:215]
	v_fma_f64 v[216:217], v[236:237], v[250:251], v[216:217]
	ds_read2_b64 v[234:237], v1 offset0:12 offset1:13
	s_clause 0x3
	buffer_load_dword v218, off, s[20:23], 0
	buffer_load_dword v219, off, s[20:23], 0 offset:4
	buffer_load_dword v220, off, s[20:23], 0 offset:8
	buffer_load_dword v221, off, s[20:23], 0 offset:12
	v_add_f64 v[6:7], v[6:7], -v[214:215]
	v_add_f64 v[8:9], v[8:9], -v[216:217]
	s_waitcnt lgkmcnt(0)
	v_mul_f64 v[214:215], v[236:237], v[212:213]
	v_mul_f64 v[216:217], v[234:235], v[212:213]
	v_fma_f64 v[214:215], v[234:235], v[250:251], -v[214:215]
	v_fma_f64 v[216:217], v[236:237], v[250:251], v[216:217]
	s_waitcnt vmcnt(2)
	v_add_f64 v[218:219], v[218:219], -v[214:215]
	s_waitcnt vmcnt(0)
	v_add_f64 v[220:221], v[220:221], -v[216:217]
	buffer_store_dword v218, off, s[20:23], 0 ; 4-byte Folded Spill
	buffer_store_dword v219, off, s[20:23], 0 offset:4 ; 4-byte Folded Spill
	buffer_store_dword v220, off, s[20:23], 0 offset:8 ; 4-byte Folded Spill
	;; [unrolled: 1-line block ×3, first 2 shown]
	ds_read2_b64 v[234:237], v1 offset0:14 offset1:15
	s_waitcnt lgkmcnt(0)
	v_mul_f64 v[214:215], v[236:237], v[212:213]
	v_mul_f64 v[216:217], v[234:235], v[212:213]
	v_fma_f64 v[214:215], v[234:235], v[250:251], -v[214:215]
	v_fma_f64 v[216:217], v[236:237], v[250:251], v[216:217]
	ds_read2_b64 v[234:237], v1 offset0:16 offset1:17
	v_add_f64 v[230:231], v[230:231], -v[214:215]
	v_add_f64 v[232:233], v[232:233], -v[216:217]
	s_waitcnt lgkmcnt(0)
	v_mul_f64 v[214:215], v[236:237], v[212:213]
	v_mul_f64 v[216:217], v[234:235], v[212:213]
	v_fma_f64 v[214:215], v[234:235], v[250:251], -v[214:215]
	v_fma_f64 v[216:217], v[236:237], v[250:251], v[216:217]
	ds_read2_b64 v[234:237], v1 offset0:18 offset1:19
	v_add_f64 v[206:207], v[206:207], -v[214:215]
	v_add_f64 v[208:209], v[208:209], -v[216:217]
	;; [unrolled: 8-line block ×52, first 2 shown]
	s_waitcnt lgkmcnt(0)
	v_mul_f64 v[214:215], v[236:237], v[212:213]
	v_mul_f64 v[216:217], v[234:235], v[212:213]
	buffer_store_dword v210, off, s[20:23], 0 offset:24 ; 4-byte Folded Spill
	buffer_store_dword v211, off, s[20:23], 0 offset:28 ; 4-byte Folded Spill
	;; [unrolled: 1-line block ×4, first 2 shown]
	v_fma_f64 v[214:215], v[234:235], v[250:251], -v[214:215]
	v_fma_f64 v[216:217], v[236:237], v[250:251], v[216:217]
	v_add_f64 v[226:227], v[226:227], -v[214:215]
	v_add_f64 v[228:229], v[228:229], -v[216:217]
.LBB118_86:
	s_or_b32 exec_lo, exec_lo, s0
	v_lshl_add_u32 v214, v0, 4, v1
	s_waitcnt_vscnt null, 0x0
	s_barrier
	buffer_gl0_inv
	v_mov_b32_e32 v250, 4
	ds_write2_b64 v214, v[2:3], v[4:5] offset1:1
	s_waitcnt lgkmcnt(0)
	s_barrier
	buffer_gl0_inv
	ds_read2_b64 v[242:245], v1 offset0:8 offset1:9
	s_cmp_lt_i32 s8, 6
	s_cbranch_scc1 .LBB118_89
; %bb.87:
	v_mov_b32_e32 v250, 4
	v_add3_u32 v247, v246, 0, 0x50
	s_mov_b32 s0, 5
	s_inst_prefetch 0x1
	.p2align	6
.LBB118_88:                             ; =>This Inner Loop Header: Depth=1
	s_waitcnt lgkmcnt(0)
	v_cmp_gt_f64_e32 vcc_lo, 0, v[242:243]
	v_xor_b32_e32 v214, 0x80000000, v243
	ds_read2_b64 v[234:237], v247 offset1:1
	v_xor_b32_e32 v216, 0x80000000, v245
	v_add_nc_u32_e32 v247, 16, v247
	s_waitcnt lgkmcnt(0)
	v_xor_b32_e32 v218, 0x80000000, v237
	v_cndmask_b32_e32 v215, v243, v214, vcc_lo
	v_cmp_gt_f64_e32 vcc_lo, 0, v[244:245]
	v_mov_b32_e32 v214, v242
	v_cndmask_b32_e32 v217, v245, v216, vcc_lo
	v_cmp_gt_f64_e32 vcc_lo, 0, v[234:235]
	v_mov_b32_e32 v216, v244
	v_add_f64 v[214:215], v[214:215], v[216:217]
	v_xor_b32_e32 v216, 0x80000000, v235
	v_cndmask_b32_e32 v217, v235, v216, vcc_lo
	v_cmp_gt_f64_e32 vcc_lo, 0, v[236:237]
	v_mov_b32_e32 v216, v234
	v_cndmask_b32_e32 v219, v237, v218, vcc_lo
	v_mov_b32_e32 v218, v236
	v_add_f64 v[216:217], v[216:217], v[218:219]
	v_cmp_lt_f64_e32 vcc_lo, v[214:215], v[216:217]
	v_cndmask_b32_e32 v243, v243, v235, vcc_lo
	v_cndmask_b32_e32 v242, v242, v234, vcc_lo
	;; [unrolled: 1-line block ×4, first 2 shown]
	v_cndmask_b32_e64 v250, v250, s0, vcc_lo
	s_add_i32 s0, s0, 1
	s_cmp_lg_u32 s8, s0
	s_cbranch_scc1 .LBB118_88
.LBB118_89:
	s_inst_prefetch 0x2
	s_waitcnt lgkmcnt(0)
	v_cmp_eq_f64_e32 vcc_lo, 0, v[242:243]
	v_cmp_eq_f64_e64 s0, 0, v[244:245]
	s_and_b32 s0, vcc_lo, s0
	s_and_saveexec_b32 s1, s0
	s_xor_b32 s0, exec_lo, s1
; %bb.90:
	v_cmp_ne_u32_e32 vcc_lo, 0, v255
	v_cndmask_b32_e32 v255, 5, v255, vcc_lo
; %bb.91:
	s_andn2_saveexec_b32 s0, s0
	s_cbranch_execz .LBB118_97
; %bb.92:
	v_cmp_ngt_f64_e64 s1, |v[242:243]|, |v[244:245]|
	s_and_saveexec_b32 s7, s1
	s_xor_b32 s1, exec_lo, s7
	s_cbranch_execz .LBB118_94
; %bb.93:
	v_div_scale_f64 v[214:215], null, v[244:245], v[244:245], v[242:243]
	v_div_scale_f64 v[220:221], vcc_lo, v[242:243], v[244:245], v[242:243]
	v_rcp_f64_e32 v[216:217], v[214:215]
	v_fma_f64 v[218:219], -v[214:215], v[216:217], 1.0
	v_fma_f64 v[216:217], v[216:217], v[218:219], v[216:217]
	v_fma_f64 v[218:219], -v[214:215], v[216:217], 1.0
	v_fma_f64 v[216:217], v[216:217], v[218:219], v[216:217]
	v_mul_f64 v[218:219], v[220:221], v[216:217]
	v_fma_f64 v[214:215], -v[214:215], v[218:219], v[220:221]
	v_div_fmas_f64 v[214:215], v[214:215], v[216:217], v[218:219]
	v_div_fixup_f64 v[214:215], v[214:215], v[244:245], v[242:243]
	v_fma_f64 v[216:217], v[242:243], v[214:215], v[244:245]
	v_div_scale_f64 v[218:219], null, v[216:217], v[216:217], 1.0
	v_rcp_f64_e32 v[220:221], v[218:219]
	v_fma_f64 v[222:223], -v[218:219], v[220:221], 1.0
	v_fma_f64 v[220:221], v[220:221], v[222:223], v[220:221]
	v_fma_f64 v[222:223], -v[218:219], v[220:221], 1.0
	v_fma_f64 v[220:221], v[220:221], v[222:223], v[220:221]
	v_div_scale_f64 v[222:223], vcc_lo, 1.0, v[216:217], 1.0
	v_mul_f64 v[224:225], v[222:223], v[220:221]
	v_fma_f64 v[218:219], -v[218:219], v[224:225], v[222:223]
	v_div_fmas_f64 v[218:219], v[218:219], v[220:221], v[224:225]
	v_div_fixup_f64 v[244:245], v[218:219], v[216:217], 1.0
	v_mul_f64 v[242:243], v[214:215], v[244:245]
	v_xor_b32_e32 v245, 0x80000000, v245
.LBB118_94:
	s_andn2_saveexec_b32 s1, s1
	s_cbranch_execz .LBB118_96
; %bb.95:
	v_div_scale_f64 v[214:215], null, v[242:243], v[242:243], v[244:245]
	v_div_scale_f64 v[220:221], vcc_lo, v[244:245], v[242:243], v[244:245]
	v_rcp_f64_e32 v[216:217], v[214:215]
	v_fma_f64 v[218:219], -v[214:215], v[216:217], 1.0
	v_fma_f64 v[216:217], v[216:217], v[218:219], v[216:217]
	v_fma_f64 v[218:219], -v[214:215], v[216:217], 1.0
	v_fma_f64 v[216:217], v[216:217], v[218:219], v[216:217]
	v_mul_f64 v[218:219], v[220:221], v[216:217]
	v_fma_f64 v[214:215], -v[214:215], v[218:219], v[220:221]
	v_div_fmas_f64 v[214:215], v[214:215], v[216:217], v[218:219]
	v_div_fixup_f64 v[214:215], v[214:215], v[242:243], v[244:245]
	v_fma_f64 v[216:217], v[244:245], v[214:215], v[242:243]
	v_div_scale_f64 v[218:219], null, v[216:217], v[216:217], 1.0
	v_rcp_f64_e32 v[220:221], v[218:219]
	v_fma_f64 v[222:223], -v[218:219], v[220:221], 1.0
	v_fma_f64 v[220:221], v[220:221], v[222:223], v[220:221]
	v_fma_f64 v[222:223], -v[218:219], v[220:221], 1.0
	v_fma_f64 v[220:221], v[220:221], v[222:223], v[220:221]
	v_div_scale_f64 v[222:223], vcc_lo, 1.0, v[216:217], 1.0
	v_mul_f64 v[224:225], v[222:223], v[220:221]
	v_fma_f64 v[218:219], -v[218:219], v[224:225], v[222:223]
	v_div_fmas_f64 v[218:219], v[218:219], v[220:221], v[224:225]
	v_div_fixup_f64 v[242:243], v[218:219], v[216:217], 1.0
	v_mul_f64 v[244:245], v[214:215], -v[242:243]
.LBB118_96:
	s_or_b32 exec_lo, exec_lo, s1
.LBB118_97:
	s_or_b32 exec_lo, exec_lo, s0
	s_mov_b32 s0, exec_lo
	v_cmpx_ne_u32_e64 v0, v250
	s_xor_b32 s0, exec_lo, s0
	s_cbranch_execz .LBB118_103
; %bb.98:
	s_mov_b32 s1, exec_lo
	v_cmpx_eq_u32_e32 4, v0
	s_cbranch_execz .LBB118_102
; %bb.99:
	v_cmp_ne_u32_e32 vcc_lo, 4, v250
	s_xor_b32 s7, s16, -1
	s_and_b32 s9, s7, vcc_lo
	s_and_saveexec_b32 s7, s9
	s_cbranch_execz .LBB118_101
; %bb.100:
	s_clause 0x1
	buffer_load_dword v210, off, s[20:23], 0 offset:16
	buffer_load_dword v211, off, s[20:23], 0 offset:20
	v_ashrrev_i32_e32 v251, 31, v250
	v_lshlrev_b64 v[214:215], 2, v[250:251]
	s_waitcnt vmcnt(1)
	v_add_co_u32 v214, vcc_lo, v210, v214
	s_waitcnt vmcnt(0)
	v_add_co_ci_u32_e64 v215, null, v211, v215, vcc_lo
	s_clause 0x1
	global_load_dword v0, v[214:215], off
	global_load_dword v216, v[210:211], off offset:16
	s_waitcnt vmcnt(1)
	global_store_dword v[210:211], v0, off offset:16
	s_waitcnt vmcnt(0)
	global_store_dword v[214:215], v216, off
.LBB118_101:
	s_or_b32 exec_lo, exec_lo, s7
	v_mov_b32_e32 v0, v250
	v_mov_b32_e32 v253, v250
.LBB118_102:
	s_or_b32 exec_lo, exec_lo, s1
.LBB118_103:
	s_andn2_saveexec_b32 s0, s0
	s_cbranch_execz .LBB118_105
; %bb.104:
	ds_write2_b64 v1, v[6:7], v[8:9] offset0:10 offset1:11
	s_clause 0x3
	buffer_load_dword v210, off, s[20:23], 0
	buffer_load_dword v211, off, s[20:23], 0 offset:4
	buffer_load_dword v212, off, s[20:23], 0 offset:8
	;; [unrolled: 1-line block ×3, first 2 shown]
	v_mov_b32_e32 v0, 4
	s_waitcnt vmcnt(0)
	ds_write2_b64 v1, v[210:211], v[212:213] offset0:12 offset1:13
	ds_write2_b64 v1, v[230:231], v[232:233] offset0:14 offset1:15
	;; [unrolled: 1-line block ×54, first 2 shown]
.LBB118_105:
	s_or_b32 exec_lo, exec_lo, s0
	s_mov_b32 s0, exec_lo
	s_waitcnt lgkmcnt(0)
	s_waitcnt_vscnt null, 0x0
	s_barrier
	buffer_gl0_inv
	v_cmpx_lt_i32_e32 4, v0
	s_cbranch_execz .LBB118_107
; %bb.106:
	v_mul_f64 v[214:215], v[244:245], v[4:5]
	ds_read2_b64 v[234:237], v1 offset0:10 offset1:11
	v_fma_f64 v[250:251], v[242:243], v[2:3], -v[214:215]
	v_mul_f64 v[214:215], v[242:243], v[4:5]
	v_fma_f64 v[4:5], v[244:245], v[2:3], v[214:215]
	v_mov_b32_e32 v2, v250
	v_mov_b32_e32 v3, v251
	s_waitcnt lgkmcnt(0)
	v_mul_f64 v[214:215], v[236:237], v[4:5]
	v_mul_f64 v[216:217], v[234:235], v[4:5]
	v_fma_f64 v[214:215], v[234:235], v[250:251], -v[214:215]
	v_fma_f64 v[216:217], v[236:237], v[250:251], v[216:217]
	ds_read2_b64 v[234:237], v1 offset0:12 offset1:13
	s_clause 0x3
	buffer_load_dword v210, off, s[20:23], 0
	buffer_load_dword v211, off, s[20:23], 0 offset:4
	buffer_load_dword v212, off, s[20:23], 0 offset:8
	;; [unrolled: 1-line block ×3, first 2 shown]
	v_add_f64 v[6:7], v[6:7], -v[214:215]
	v_add_f64 v[8:9], v[8:9], -v[216:217]
	s_waitcnt lgkmcnt(0)
	v_mul_f64 v[214:215], v[236:237], v[4:5]
	v_mul_f64 v[216:217], v[234:235], v[4:5]
	v_fma_f64 v[214:215], v[234:235], v[250:251], -v[214:215]
	v_fma_f64 v[216:217], v[236:237], v[250:251], v[216:217]
	s_waitcnt vmcnt(2)
	v_add_f64 v[210:211], v[210:211], -v[214:215]
	s_waitcnt vmcnt(0)
	v_add_f64 v[212:213], v[212:213], -v[216:217]
	buffer_store_dword v210, off, s[20:23], 0 ; 4-byte Folded Spill
	buffer_store_dword v211, off, s[20:23], 0 offset:4 ; 4-byte Folded Spill
	buffer_store_dword v212, off, s[20:23], 0 offset:8 ; 4-byte Folded Spill
	;; [unrolled: 1-line block ×3, first 2 shown]
	ds_read2_b64 v[234:237], v1 offset0:14 offset1:15
	s_waitcnt lgkmcnt(0)
	v_mul_f64 v[214:215], v[236:237], v[4:5]
	v_mul_f64 v[216:217], v[234:235], v[4:5]
	v_fma_f64 v[214:215], v[234:235], v[250:251], -v[214:215]
	v_fma_f64 v[216:217], v[236:237], v[250:251], v[216:217]
	ds_read2_b64 v[234:237], v1 offset0:16 offset1:17
	v_add_f64 v[230:231], v[230:231], -v[214:215]
	v_add_f64 v[232:233], v[232:233], -v[216:217]
	s_waitcnt lgkmcnt(0)
	v_mul_f64 v[214:215], v[236:237], v[4:5]
	v_mul_f64 v[216:217], v[234:235], v[4:5]
	v_fma_f64 v[214:215], v[234:235], v[250:251], -v[214:215]
	v_fma_f64 v[216:217], v[236:237], v[250:251], v[216:217]
	ds_read2_b64 v[234:237], v1 offset0:18 offset1:19
	v_add_f64 v[206:207], v[206:207], -v[214:215]
	v_add_f64 v[208:209], v[208:209], -v[216:217]
	;; [unrolled: 8-line block ×52, first 2 shown]
	s_waitcnt lgkmcnt(0)
	v_mul_f64 v[214:215], v[236:237], v[4:5]
	v_mul_f64 v[216:217], v[234:235], v[4:5]
	v_fma_f64 v[214:215], v[234:235], v[250:251], -v[214:215]
	v_fma_f64 v[216:217], v[236:237], v[250:251], v[216:217]
	v_add_f64 v[226:227], v[226:227], -v[214:215]
	v_add_f64 v[228:229], v[228:229], -v[216:217]
.LBB118_107:
	s_or_b32 exec_lo, exec_lo, s0
	v_lshl_add_u32 v214, v0, 4, v1
	s_waitcnt_vscnt null, 0x0
	s_barrier
	buffer_gl0_inv
	v_mov_b32_e32 v250, 5
	ds_write2_b64 v214, v[6:7], v[8:9] offset1:1
	s_waitcnt lgkmcnt(0)
	s_barrier
	buffer_gl0_inv
	ds_read2_b64 v[242:245], v1 offset0:10 offset1:11
	s_cmp_lt_i32 s8, 7
	s_cbranch_scc1 .LBB118_110
; %bb.108:
	v_add3_u32 v247, v246, 0, 0x60
	v_mov_b32_e32 v250, 5
	s_mov_b32 s0, 6
	s_inst_prefetch 0x1
	.p2align	6
.LBB118_109:                            ; =>This Inner Loop Header: Depth=1
	s_waitcnt lgkmcnt(0)
	v_cmp_gt_f64_e32 vcc_lo, 0, v[242:243]
	v_xor_b32_e32 v214, 0x80000000, v243
	ds_read2_b64 v[234:237], v247 offset1:1
	v_xor_b32_e32 v216, 0x80000000, v245
	v_add_nc_u32_e32 v247, 16, v247
	s_waitcnt lgkmcnt(0)
	v_xor_b32_e32 v218, 0x80000000, v237
	v_cndmask_b32_e32 v215, v243, v214, vcc_lo
	v_cmp_gt_f64_e32 vcc_lo, 0, v[244:245]
	v_mov_b32_e32 v214, v242
	v_cndmask_b32_e32 v217, v245, v216, vcc_lo
	v_cmp_gt_f64_e32 vcc_lo, 0, v[234:235]
	v_mov_b32_e32 v216, v244
	v_add_f64 v[214:215], v[214:215], v[216:217]
	v_xor_b32_e32 v216, 0x80000000, v235
	v_cndmask_b32_e32 v217, v235, v216, vcc_lo
	v_cmp_gt_f64_e32 vcc_lo, 0, v[236:237]
	v_mov_b32_e32 v216, v234
	v_cndmask_b32_e32 v219, v237, v218, vcc_lo
	v_mov_b32_e32 v218, v236
	v_add_f64 v[216:217], v[216:217], v[218:219]
	v_cmp_lt_f64_e32 vcc_lo, v[214:215], v[216:217]
	v_cndmask_b32_e32 v243, v243, v235, vcc_lo
	v_cndmask_b32_e32 v242, v242, v234, vcc_lo
	v_cndmask_b32_e32 v245, v245, v237, vcc_lo
	v_cndmask_b32_e32 v244, v244, v236, vcc_lo
	v_cndmask_b32_e64 v250, v250, s0, vcc_lo
	s_add_i32 s0, s0, 1
	s_cmp_lg_u32 s8, s0
	s_cbranch_scc1 .LBB118_109
.LBB118_110:
	s_inst_prefetch 0x2
	s_waitcnt lgkmcnt(0)
	v_cmp_eq_f64_e32 vcc_lo, 0, v[242:243]
	v_cmp_eq_f64_e64 s0, 0, v[244:245]
	s_and_b32 s0, vcc_lo, s0
	s_and_saveexec_b32 s1, s0
	s_xor_b32 s0, exec_lo, s1
; %bb.111:
	v_cmp_ne_u32_e32 vcc_lo, 0, v255
	v_cndmask_b32_e32 v255, 6, v255, vcc_lo
; %bb.112:
	s_andn2_saveexec_b32 s0, s0
	s_cbranch_execz .LBB118_118
; %bb.113:
	v_cmp_ngt_f64_e64 s1, |v[242:243]|, |v[244:245]|
	s_and_saveexec_b32 s7, s1
	s_xor_b32 s1, exec_lo, s7
	s_cbranch_execz .LBB118_115
; %bb.114:
	v_div_scale_f64 v[214:215], null, v[244:245], v[244:245], v[242:243]
	v_div_scale_f64 v[220:221], vcc_lo, v[242:243], v[244:245], v[242:243]
	v_rcp_f64_e32 v[216:217], v[214:215]
	v_fma_f64 v[218:219], -v[214:215], v[216:217], 1.0
	v_fma_f64 v[216:217], v[216:217], v[218:219], v[216:217]
	v_fma_f64 v[218:219], -v[214:215], v[216:217], 1.0
	v_fma_f64 v[216:217], v[216:217], v[218:219], v[216:217]
	v_mul_f64 v[218:219], v[220:221], v[216:217]
	v_fma_f64 v[214:215], -v[214:215], v[218:219], v[220:221]
	v_div_fmas_f64 v[214:215], v[214:215], v[216:217], v[218:219]
	v_div_fixup_f64 v[214:215], v[214:215], v[244:245], v[242:243]
	v_fma_f64 v[216:217], v[242:243], v[214:215], v[244:245]
	v_div_scale_f64 v[218:219], null, v[216:217], v[216:217], 1.0
	v_rcp_f64_e32 v[220:221], v[218:219]
	v_fma_f64 v[222:223], -v[218:219], v[220:221], 1.0
	v_fma_f64 v[220:221], v[220:221], v[222:223], v[220:221]
	v_fma_f64 v[222:223], -v[218:219], v[220:221], 1.0
	v_fma_f64 v[220:221], v[220:221], v[222:223], v[220:221]
	v_div_scale_f64 v[222:223], vcc_lo, 1.0, v[216:217], 1.0
	v_mul_f64 v[224:225], v[222:223], v[220:221]
	v_fma_f64 v[218:219], -v[218:219], v[224:225], v[222:223]
	v_div_fmas_f64 v[218:219], v[218:219], v[220:221], v[224:225]
	v_div_fixup_f64 v[244:245], v[218:219], v[216:217], 1.0
	v_mul_f64 v[242:243], v[214:215], v[244:245]
	v_xor_b32_e32 v245, 0x80000000, v245
.LBB118_115:
	s_andn2_saveexec_b32 s1, s1
	s_cbranch_execz .LBB118_117
; %bb.116:
	v_div_scale_f64 v[214:215], null, v[242:243], v[242:243], v[244:245]
	v_div_scale_f64 v[220:221], vcc_lo, v[244:245], v[242:243], v[244:245]
	v_rcp_f64_e32 v[216:217], v[214:215]
	v_fma_f64 v[218:219], -v[214:215], v[216:217], 1.0
	v_fma_f64 v[216:217], v[216:217], v[218:219], v[216:217]
	v_fma_f64 v[218:219], -v[214:215], v[216:217], 1.0
	v_fma_f64 v[216:217], v[216:217], v[218:219], v[216:217]
	v_mul_f64 v[218:219], v[220:221], v[216:217]
	v_fma_f64 v[214:215], -v[214:215], v[218:219], v[220:221]
	v_div_fmas_f64 v[214:215], v[214:215], v[216:217], v[218:219]
	v_div_fixup_f64 v[214:215], v[214:215], v[242:243], v[244:245]
	v_fma_f64 v[216:217], v[244:245], v[214:215], v[242:243]
	v_div_scale_f64 v[218:219], null, v[216:217], v[216:217], 1.0
	v_rcp_f64_e32 v[220:221], v[218:219]
	v_fma_f64 v[222:223], -v[218:219], v[220:221], 1.0
	v_fma_f64 v[220:221], v[220:221], v[222:223], v[220:221]
	v_fma_f64 v[222:223], -v[218:219], v[220:221], 1.0
	v_fma_f64 v[220:221], v[220:221], v[222:223], v[220:221]
	v_div_scale_f64 v[222:223], vcc_lo, 1.0, v[216:217], 1.0
	v_mul_f64 v[224:225], v[222:223], v[220:221]
	v_fma_f64 v[218:219], -v[218:219], v[224:225], v[222:223]
	v_div_fmas_f64 v[218:219], v[218:219], v[220:221], v[224:225]
	v_div_fixup_f64 v[242:243], v[218:219], v[216:217], 1.0
	v_mul_f64 v[244:245], v[214:215], -v[242:243]
.LBB118_117:
	s_or_b32 exec_lo, exec_lo, s1
.LBB118_118:
	s_or_b32 exec_lo, exec_lo, s0
	s_mov_b32 s0, exec_lo
	v_cmpx_ne_u32_e64 v0, v250
	s_xor_b32 s0, exec_lo, s0
	s_cbranch_execz .LBB118_124
; %bb.119:
	s_mov_b32 s1, exec_lo
	v_cmpx_eq_u32_e32 5, v0
	s_cbranch_execz .LBB118_123
; %bb.120:
	v_cmp_ne_u32_e32 vcc_lo, 5, v250
	s_xor_b32 s7, s16, -1
	s_and_b32 s9, s7, vcc_lo
	s_and_saveexec_b32 s7, s9
	s_cbranch_execz .LBB118_122
; %bb.121:
	s_clause 0x1
	buffer_load_dword v210, off, s[20:23], 0 offset:16
	buffer_load_dword v211, off, s[20:23], 0 offset:20
	v_ashrrev_i32_e32 v251, 31, v250
	v_lshlrev_b64 v[214:215], 2, v[250:251]
	s_waitcnt vmcnt(1)
	v_add_co_u32 v214, vcc_lo, v210, v214
	s_waitcnt vmcnt(0)
	v_add_co_ci_u32_e64 v215, null, v211, v215, vcc_lo
	s_clause 0x1
	global_load_dword v0, v[214:215], off
	global_load_dword v216, v[210:211], off offset:20
	s_waitcnt vmcnt(1)
	global_store_dword v[210:211], v0, off offset:20
	s_waitcnt vmcnt(0)
	global_store_dword v[214:215], v216, off
.LBB118_122:
	s_or_b32 exec_lo, exec_lo, s7
	v_mov_b32_e32 v0, v250
	v_mov_b32_e32 v253, v250
.LBB118_123:
	s_or_b32 exec_lo, exec_lo, s1
.LBB118_124:
	s_andn2_saveexec_b32 s0, s0
	s_cbranch_execz .LBB118_126
; %bb.125:
	s_clause 0x3
	buffer_load_dword v210, off, s[20:23], 0
	buffer_load_dword v211, off, s[20:23], 0 offset:4
	buffer_load_dword v212, off, s[20:23], 0 offset:8
	;; [unrolled: 1-line block ×3, first 2 shown]
	v_mov_b32_e32 v0, 5
	s_waitcnt vmcnt(0)
	ds_write2_b64 v1, v[210:211], v[212:213] offset0:12 offset1:13
	ds_write2_b64 v1, v[230:231], v[232:233] offset0:14 offset1:15
	;; [unrolled: 1-line block ×54, first 2 shown]
.LBB118_126:
	s_or_b32 exec_lo, exec_lo, s0
	s_mov_b32 s0, exec_lo
	s_waitcnt lgkmcnt(0)
	s_waitcnt_vscnt null, 0x0
	s_barrier
	buffer_gl0_inv
	v_cmpx_lt_i32_e32 5, v0
	s_cbranch_execz .LBB118_128
; %bb.127:
	ds_read2_b64 v[234:237], v1 offset0:12 offset1:13
	s_clause 0x3
	buffer_load_dword v210, off, s[20:23], 0
	buffer_load_dword v211, off, s[20:23], 0 offset:4
	buffer_load_dword v212, off, s[20:23], 0 offset:8
	;; [unrolled: 1-line block ×3, first 2 shown]
	v_mul_f64 v[214:215], v[244:245], v[8:9]
	v_fma_f64 v[250:251], v[242:243], v[6:7], -v[214:215]
	v_mul_f64 v[214:215], v[242:243], v[8:9]
	v_fma_f64 v[8:9], v[244:245], v[6:7], v[214:215]
	v_mov_b32_e32 v6, v250
	v_mov_b32_e32 v7, v251
	s_waitcnt lgkmcnt(0)
	v_mul_f64 v[214:215], v[236:237], v[8:9]
	v_mul_f64 v[216:217], v[234:235], v[8:9]
	v_fma_f64 v[214:215], v[234:235], v[250:251], -v[214:215]
	v_fma_f64 v[216:217], v[236:237], v[250:251], v[216:217]
	s_waitcnt vmcnt(2)
	v_add_f64 v[210:211], v[210:211], -v[214:215]
	s_waitcnt vmcnt(0)
	v_add_f64 v[212:213], v[212:213], -v[216:217]
	buffer_store_dword v210, off, s[20:23], 0 ; 4-byte Folded Spill
	buffer_store_dword v211, off, s[20:23], 0 offset:4 ; 4-byte Folded Spill
	buffer_store_dword v212, off, s[20:23], 0 offset:8 ; 4-byte Folded Spill
	;; [unrolled: 1-line block ×3, first 2 shown]
	ds_read2_b64 v[234:237], v1 offset0:14 offset1:15
	s_waitcnt lgkmcnt(0)
	v_mul_f64 v[214:215], v[236:237], v[8:9]
	v_mul_f64 v[216:217], v[234:235], v[8:9]
	v_fma_f64 v[214:215], v[234:235], v[250:251], -v[214:215]
	v_fma_f64 v[216:217], v[236:237], v[250:251], v[216:217]
	ds_read2_b64 v[234:237], v1 offset0:16 offset1:17
	v_add_f64 v[230:231], v[230:231], -v[214:215]
	v_add_f64 v[232:233], v[232:233], -v[216:217]
	s_waitcnt lgkmcnt(0)
	v_mul_f64 v[214:215], v[236:237], v[8:9]
	v_mul_f64 v[216:217], v[234:235], v[8:9]
	v_fma_f64 v[214:215], v[234:235], v[250:251], -v[214:215]
	v_fma_f64 v[216:217], v[236:237], v[250:251], v[216:217]
	ds_read2_b64 v[234:237], v1 offset0:18 offset1:19
	v_add_f64 v[206:207], v[206:207], -v[214:215]
	v_add_f64 v[208:209], v[208:209], -v[216:217]
	;; [unrolled: 8-line block ×52, first 2 shown]
	s_waitcnt lgkmcnt(0)
	v_mul_f64 v[214:215], v[236:237], v[8:9]
	v_mul_f64 v[216:217], v[234:235], v[8:9]
	v_fma_f64 v[214:215], v[234:235], v[250:251], -v[214:215]
	v_fma_f64 v[216:217], v[236:237], v[250:251], v[216:217]
	v_add_f64 v[226:227], v[226:227], -v[214:215]
	v_add_f64 v[228:229], v[228:229], -v[216:217]
.LBB118_128:
	s_or_b32 exec_lo, exec_lo, s0
	s_waitcnt_vscnt null, 0x0
	s_barrier
	buffer_gl0_inv
	s_clause 0x3
	buffer_load_dword v210, off, s[20:23], 0
	buffer_load_dword v211, off, s[20:23], 0 offset:4
	buffer_load_dword v212, off, s[20:23], 0 offset:8
	;; [unrolled: 1-line block ×3, first 2 shown]
	v_lshl_add_u32 v214, v0, 4, v1
	v_mov_b32_e32 v250, 6
	s_cmp_lt_i32 s8, 8
	s_waitcnt vmcnt(0)
	ds_write2_b64 v214, v[210:211], v[212:213] offset1:1
	s_waitcnt lgkmcnt(0)
	s_barrier
	buffer_gl0_inv
	ds_read2_b64 v[242:245], v1 offset0:12 offset1:13
	s_cbranch_scc1 .LBB118_131
; %bb.129:
	v_add3_u32 v247, v246, 0, 0x70
	v_mov_b32_e32 v250, 6
	s_mov_b32 s0, 7
	s_inst_prefetch 0x1
	.p2align	6
.LBB118_130:                            ; =>This Inner Loop Header: Depth=1
	s_waitcnt lgkmcnt(0)
	v_cmp_gt_f64_e32 vcc_lo, 0, v[242:243]
	v_xor_b32_e32 v214, 0x80000000, v243
	ds_read2_b64 v[234:237], v247 offset1:1
	v_xor_b32_e32 v216, 0x80000000, v245
	v_add_nc_u32_e32 v247, 16, v247
	s_waitcnt lgkmcnt(0)
	v_xor_b32_e32 v218, 0x80000000, v237
	v_cndmask_b32_e32 v215, v243, v214, vcc_lo
	v_cmp_gt_f64_e32 vcc_lo, 0, v[244:245]
	v_mov_b32_e32 v214, v242
	v_cndmask_b32_e32 v217, v245, v216, vcc_lo
	v_cmp_gt_f64_e32 vcc_lo, 0, v[234:235]
	v_mov_b32_e32 v216, v244
	v_add_f64 v[214:215], v[214:215], v[216:217]
	v_xor_b32_e32 v216, 0x80000000, v235
	v_cndmask_b32_e32 v217, v235, v216, vcc_lo
	v_cmp_gt_f64_e32 vcc_lo, 0, v[236:237]
	v_mov_b32_e32 v216, v234
	v_cndmask_b32_e32 v219, v237, v218, vcc_lo
	v_mov_b32_e32 v218, v236
	v_add_f64 v[216:217], v[216:217], v[218:219]
	v_cmp_lt_f64_e32 vcc_lo, v[214:215], v[216:217]
	v_cndmask_b32_e32 v243, v243, v235, vcc_lo
	v_cndmask_b32_e32 v242, v242, v234, vcc_lo
	;; [unrolled: 1-line block ×4, first 2 shown]
	v_cndmask_b32_e64 v250, v250, s0, vcc_lo
	s_add_i32 s0, s0, 1
	s_cmp_lg_u32 s8, s0
	s_cbranch_scc1 .LBB118_130
.LBB118_131:
	s_inst_prefetch 0x2
	s_waitcnt lgkmcnt(0)
	v_cmp_eq_f64_e32 vcc_lo, 0, v[242:243]
	v_cmp_eq_f64_e64 s0, 0, v[244:245]
	s_and_b32 s0, vcc_lo, s0
	s_and_saveexec_b32 s1, s0
	s_xor_b32 s0, exec_lo, s1
; %bb.132:
	v_cmp_ne_u32_e32 vcc_lo, 0, v255
	v_cndmask_b32_e32 v255, 7, v255, vcc_lo
; %bb.133:
	s_andn2_saveexec_b32 s0, s0
	s_cbranch_execz .LBB118_139
; %bb.134:
	v_cmp_ngt_f64_e64 s1, |v[242:243]|, |v[244:245]|
	s_and_saveexec_b32 s7, s1
	s_xor_b32 s1, exec_lo, s7
	s_cbranch_execz .LBB118_136
; %bb.135:
	v_div_scale_f64 v[214:215], null, v[244:245], v[244:245], v[242:243]
	v_div_scale_f64 v[220:221], vcc_lo, v[242:243], v[244:245], v[242:243]
	v_rcp_f64_e32 v[216:217], v[214:215]
	v_fma_f64 v[218:219], -v[214:215], v[216:217], 1.0
	v_fma_f64 v[216:217], v[216:217], v[218:219], v[216:217]
	v_fma_f64 v[218:219], -v[214:215], v[216:217], 1.0
	v_fma_f64 v[216:217], v[216:217], v[218:219], v[216:217]
	v_mul_f64 v[218:219], v[220:221], v[216:217]
	v_fma_f64 v[214:215], -v[214:215], v[218:219], v[220:221]
	v_div_fmas_f64 v[214:215], v[214:215], v[216:217], v[218:219]
	v_div_fixup_f64 v[214:215], v[214:215], v[244:245], v[242:243]
	v_fma_f64 v[216:217], v[242:243], v[214:215], v[244:245]
	v_div_scale_f64 v[218:219], null, v[216:217], v[216:217], 1.0
	v_rcp_f64_e32 v[220:221], v[218:219]
	v_fma_f64 v[222:223], -v[218:219], v[220:221], 1.0
	v_fma_f64 v[220:221], v[220:221], v[222:223], v[220:221]
	v_fma_f64 v[222:223], -v[218:219], v[220:221], 1.0
	v_fma_f64 v[220:221], v[220:221], v[222:223], v[220:221]
	v_div_scale_f64 v[222:223], vcc_lo, 1.0, v[216:217], 1.0
	v_mul_f64 v[224:225], v[222:223], v[220:221]
	v_fma_f64 v[218:219], -v[218:219], v[224:225], v[222:223]
	v_div_fmas_f64 v[218:219], v[218:219], v[220:221], v[224:225]
	v_div_fixup_f64 v[244:245], v[218:219], v[216:217], 1.0
	v_mul_f64 v[242:243], v[214:215], v[244:245]
	v_xor_b32_e32 v245, 0x80000000, v245
.LBB118_136:
	s_andn2_saveexec_b32 s1, s1
	s_cbranch_execz .LBB118_138
; %bb.137:
	v_div_scale_f64 v[214:215], null, v[242:243], v[242:243], v[244:245]
	v_div_scale_f64 v[220:221], vcc_lo, v[244:245], v[242:243], v[244:245]
	v_rcp_f64_e32 v[216:217], v[214:215]
	v_fma_f64 v[218:219], -v[214:215], v[216:217], 1.0
	v_fma_f64 v[216:217], v[216:217], v[218:219], v[216:217]
	v_fma_f64 v[218:219], -v[214:215], v[216:217], 1.0
	v_fma_f64 v[216:217], v[216:217], v[218:219], v[216:217]
	v_mul_f64 v[218:219], v[220:221], v[216:217]
	v_fma_f64 v[214:215], -v[214:215], v[218:219], v[220:221]
	v_div_fmas_f64 v[214:215], v[214:215], v[216:217], v[218:219]
	v_div_fixup_f64 v[214:215], v[214:215], v[242:243], v[244:245]
	v_fma_f64 v[216:217], v[244:245], v[214:215], v[242:243]
	v_div_scale_f64 v[218:219], null, v[216:217], v[216:217], 1.0
	v_rcp_f64_e32 v[220:221], v[218:219]
	v_fma_f64 v[222:223], -v[218:219], v[220:221], 1.0
	v_fma_f64 v[220:221], v[220:221], v[222:223], v[220:221]
	v_fma_f64 v[222:223], -v[218:219], v[220:221], 1.0
	v_fma_f64 v[220:221], v[220:221], v[222:223], v[220:221]
	v_div_scale_f64 v[222:223], vcc_lo, 1.0, v[216:217], 1.0
	v_mul_f64 v[224:225], v[222:223], v[220:221]
	v_fma_f64 v[218:219], -v[218:219], v[224:225], v[222:223]
	v_div_fmas_f64 v[218:219], v[218:219], v[220:221], v[224:225]
	v_div_fixup_f64 v[242:243], v[218:219], v[216:217], 1.0
	v_mul_f64 v[244:245], v[214:215], -v[242:243]
.LBB118_138:
	s_or_b32 exec_lo, exec_lo, s1
.LBB118_139:
	s_or_b32 exec_lo, exec_lo, s0
	s_mov_b32 s0, exec_lo
	v_cmpx_ne_u32_e64 v0, v250
	s_xor_b32 s0, exec_lo, s0
	s_cbranch_execz .LBB118_145
; %bb.140:
	s_mov_b32 s1, exec_lo
	v_cmpx_eq_u32_e32 6, v0
	s_cbranch_execz .LBB118_144
; %bb.141:
	v_cmp_ne_u32_e32 vcc_lo, 6, v250
	s_xor_b32 s7, s16, -1
	s_and_b32 s9, s7, vcc_lo
	s_and_saveexec_b32 s7, s9
	s_cbranch_execz .LBB118_143
; %bb.142:
	s_clause 0x1
	buffer_load_dword v210, off, s[20:23], 0 offset:16
	buffer_load_dword v211, off, s[20:23], 0 offset:20
	v_ashrrev_i32_e32 v251, 31, v250
	v_lshlrev_b64 v[214:215], 2, v[250:251]
	s_waitcnt vmcnt(1)
	v_add_co_u32 v214, vcc_lo, v210, v214
	s_waitcnt vmcnt(0)
	v_add_co_ci_u32_e64 v215, null, v211, v215, vcc_lo
	s_clause 0x1
	global_load_dword v0, v[214:215], off
	global_load_dword v216, v[210:211], off offset:24
	s_waitcnt vmcnt(1)
	global_store_dword v[210:211], v0, off offset:24
	s_waitcnt vmcnt(0)
	global_store_dword v[214:215], v216, off
.LBB118_143:
	s_or_b32 exec_lo, exec_lo, s7
	v_mov_b32_e32 v0, v250
	v_mov_b32_e32 v253, v250
.LBB118_144:
	s_or_b32 exec_lo, exec_lo, s1
.LBB118_145:
	s_andn2_saveexec_b32 s0, s0
	s_cbranch_execz .LBB118_147
; %bb.146:
	v_mov_b32_e32 v0, 6
	ds_write2_b64 v1, v[230:231], v[232:233] offset0:14 offset1:15
	ds_write2_b64 v1, v[206:207], v[208:209] offset0:16 offset1:17
	;; [unrolled: 1-line block ×53, first 2 shown]
.LBB118_147:
	s_or_b32 exec_lo, exec_lo, s0
	s_mov_b32 s0, exec_lo
	s_waitcnt lgkmcnt(0)
	s_waitcnt_vscnt null, 0x0
	s_barrier
	buffer_gl0_inv
	v_cmpx_lt_i32_e32 6, v0
	s_cbranch_execz .LBB118_149
; %bb.148:
	s_clause 0x3
	buffer_load_dword v210, off, s[20:23], 0
	buffer_load_dword v211, off, s[20:23], 0 offset:4
	buffer_load_dword v212, off, s[20:23], 0 offset:8
	;; [unrolled: 1-line block ×3, first 2 shown]
	ds_read2_b64 v[234:237], v1 offset0:14 offset1:15
	s_waitcnt vmcnt(0)
	v_mul_f64 v[214:215], v[244:245], v[212:213]
	v_fma_f64 v[250:251], v[242:243], v[210:211], -v[214:215]
	v_mul_f64 v[214:215], v[242:243], v[212:213]
	v_fma_f64 v[212:213], v[244:245], v[210:211], v[214:215]
	v_mov_b32_e32 v210, v250
	v_mov_b32_e32 v211, v251
	s_waitcnt lgkmcnt(0)
	v_mul_f64 v[214:215], v[236:237], v[212:213]
	v_mul_f64 v[216:217], v[234:235], v[212:213]
	v_fma_f64 v[214:215], v[234:235], v[250:251], -v[214:215]
	v_fma_f64 v[216:217], v[236:237], v[250:251], v[216:217]
	ds_read2_b64 v[234:237], v1 offset0:16 offset1:17
	v_add_f64 v[230:231], v[230:231], -v[214:215]
	v_add_f64 v[232:233], v[232:233], -v[216:217]
	s_waitcnt lgkmcnt(0)
	v_mul_f64 v[214:215], v[236:237], v[212:213]
	v_mul_f64 v[216:217], v[234:235], v[212:213]
	v_fma_f64 v[214:215], v[234:235], v[250:251], -v[214:215]
	v_fma_f64 v[216:217], v[236:237], v[250:251], v[216:217]
	ds_read2_b64 v[234:237], v1 offset0:18 offset1:19
	v_add_f64 v[206:207], v[206:207], -v[214:215]
	v_add_f64 v[208:209], v[208:209], -v[216:217]
	;; [unrolled: 8-line block ×52, first 2 shown]
	s_waitcnt lgkmcnt(0)
	v_mul_f64 v[214:215], v[236:237], v[212:213]
	v_mul_f64 v[216:217], v[234:235], v[212:213]
	buffer_store_dword v210, off, s[20:23], 0 ; 4-byte Folded Spill
	buffer_store_dword v211, off, s[20:23], 0 offset:4 ; 4-byte Folded Spill
	buffer_store_dword v212, off, s[20:23], 0 offset:8 ; 4-byte Folded Spill
	buffer_store_dword v213, off, s[20:23], 0 offset:12 ; 4-byte Folded Spill
	v_fma_f64 v[214:215], v[234:235], v[250:251], -v[214:215]
	v_fma_f64 v[216:217], v[236:237], v[250:251], v[216:217]
	v_add_f64 v[226:227], v[226:227], -v[214:215]
	v_add_f64 v[228:229], v[228:229], -v[216:217]
.LBB118_149:
	s_or_b32 exec_lo, exec_lo, s0
	v_lshl_add_u32 v214, v0, 4, v1
	s_waitcnt_vscnt null, 0x0
	s_barrier
	buffer_gl0_inv
	v_mov_b32_e32 v250, 7
	ds_write2_b64 v214, v[230:231], v[232:233] offset1:1
	s_waitcnt lgkmcnt(0)
	s_barrier
	buffer_gl0_inv
	ds_read2_b64 v[242:245], v1 offset0:14 offset1:15
	s_cmp_lt_i32 s8, 9
	s_cbranch_scc1 .LBB118_152
; %bb.150:
	v_add3_u32 v247, v246, 0, 0x80
	v_mov_b32_e32 v250, 7
	s_mov_b32 s0, 8
	s_inst_prefetch 0x1
	.p2align	6
.LBB118_151:                            ; =>This Inner Loop Header: Depth=1
	s_waitcnt lgkmcnt(0)
	v_cmp_gt_f64_e32 vcc_lo, 0, v[242:243]
	v_xor_b32_e32 v214, 0x80000000, v243
	ds_read2_b64 v[234:237], v247 offset1:1
	v_xor_b32_e32 v216, 0x80000000, v245
	v_add_nc_u32_e32 v247, 16, v247
	s_waitcnt lgkmcnt(0)
	v_xor_b32_e32 v218, 0x80000000, v237
	v_cndmask_b32_e32 v215, v243, v214, vcc_lo
	v_cmp_gt_f64_e32 vcc_lo, 0, v[244:245]
	v_mov_b32_e32 v214, v242
	v_cndmask_b32_e32 v217, v245, v216, vcc_lo
	v_cmp_gt_f64_e32 vcc_lo, 0, v[234:235]
	v_mov_b32_e32 v216, v244
	v_add_f64 v[214:215], v[214:215], v[216:217]
	v_xor_b32_e32 v216, 0x80000000, v235
	v_cndmask_b32_e32 v217, v235, v216, vcc_lo
	v_cmp_gt_f64_e32 vcc_lo, 0, v[236:237]
	v_mov_b32_e32 v216, v234
	v_cndmask_b32_e32 v219, v237, v218, vcc_lo
	v_mov_b32_e32 v218, v236
	v_add_f64 v[216:217], v[216:217], v[218:219]
	v_cmp_lt_f64_e32 vcc_lo, v[214:215], v[216:217]
	v_cndmask_b32_e32 v243, v243, v235, vcc_lo
	v_cndmask_b32_e32 v242, v242, v234, vcc_lo
	v_cndmask_b32_e32 v245, v245, v237, vcc_lo
	v_cndmask_b32_e32 v244, v244, v236, vcc_lo
	v_cndmask_b32_e64 v250, v250, s0, vcc_lo
	s_add_i32 s0, s0, 1
	s_cmp_lg_u32 s8, s0
	s_cbranch_scc1 .LBB118_151
.LBB118_152:
	s_inst_prefetch 0x2
	s_waitcnt lgkmcnt(0)
	v_cmp_eq_f64_e32 vcc_lo, 0, v[242:243]
	v_cmp_eq_f64_e64 s0, 0, v[244:245]
	s_and_b32 s0, vcc_lo, s0
	s_and_saveexec_b32 s1, s0
	s_xor_b32 s0, exec_lo, s1
; %bb.153:
	v_cmp_ne_u32_e32 vcc_lo, 0, v255
	v_cndmask_b32_e32 v255, 8, v255, vcc_lo
; %bb.154:
	s_andn2_saveexec_b32 s0, s0
	s_cbranch_execz .LBB118_160
; %bb.155:
	v_cmp_ngt_f64_e64 s1, |v[242:243]|, |v[244:245]|
	s_and_saveexec_b32 s7, s1
	s_xor_b32 s1, exec_lo, s7
	s_cbranch_execz .LBB118_157
; %bb.156:
	v_div_scale_f64 v[214:215], null, v[244:245], v[244:245], v[242:243]
	v_div_scale_f64 v[220:221], vcc_lo, v[242:243], v[244:245], v[242:243]
	v_rcp_f64_e32 v[216:217], v[214:215]
	v_fma_f64 v[218:219], -v[214:215], v[216:217], 1.0
	v_fma_f64 v[216:217], v[216:217], v[218:219], v[216:217]
	v_fma_f64 v[218:219], -v[214:215], v[216:217], 1.0
	v_fma_f64 v[216:217], v[216:217], v[218:219], v[216:217]
	v_mul_f64 v[218:219], v[220:221], v[216:217]
	v_fma_f64 v[214:215], -v[214:215], v[218:219], v[220:221]
	v_div_fmas_f64 v[214:215], v[214:215], v[216:217], v[218:219]
	v_div_fixup_f64 v[214:215], v[214:215], v[244:245], v[242:243]
	v_fma_f64 v[216:217], v[242:243], v[214:215], v[244:245]
	v_div_scale_f64 v[218:219], null, v[216:217], v[216:217], 1.0
	v_rcp_f64_e32 v[220:221], v[218:219]
	v_fma_f64 v[222:223], -v[218:219], v[220:221], 1.0
	v_fma_f64 v[220:221], v[220:221], v[222:223], v[220:221]
	v_fma_f64 v[222:223], -v[218:219], v[220:221], 1.0
	v_fma_f64 v[220:221], v[220:221], v[222:223], v[220:221]
	v_div_scale_f64 v[222:223], vcc_lo, 1.0, v[216:217], 1.0
	v_mul_f64 v[224:225], v[222:223], v[220:221]
	v_fma_f64 v[218:219], -v[218:219], v[224:225], v[222:223]
	v_div_fmas_f64 v[218:219], v[218:219], v[220:221], v[224:225]
	v_div_fixup_f64 v[244:245], v[218:219], v[216:217], 1.0
	v_mul_f64 v[242:243], v[214:215], v[244:245]
	v_xor_b32_e32 v245, 0x80000000, v245
.LBB118_157:
	s_andn2_saveexec_b32 s1, s1
	s_cbranch_execz .LBB118_159
; %bb.158:
	v_div_scale_f64 v[214:215], null, v[242:243], v[242:243], v[244:245]
	v_div_scale_f64 v[220:221], vcc_lo, v[244:245], v[242:243], v[244:245]
	v_rcp_f64_e32 v[216:217], v[214:215]
	v_fma_f64 v[218:219], -v[214:215], v[216:217], 1.0
	v_fma_f64 v[216:217], v[216:217], v[218:219], v[216:217]
	v_fma_f64 v[218:219], -v[214:215], v[216:217], 1.0
	v_fma_f64 v[216:217], v[216:217], v[218:219], v[216:217]
	v_mul_f64 v[218:219], v[220:221], v[216:217]
	v_fma_f64 v[214:215], -v[214:215], v[218:219], v[220:221]
	v_div_fmas_f64 v[214:215], v[214:215], v[216:217], v[218:219]
	v_div_fixup_f64 v[214:215], v[214:215], v[242:243], v[244:245]
	v_fma_f64 v[216:217], v[244:245], v[214:215], v[242:243]
	v_div_scale_f64 v[218:219], null, v[216:217], v[216:217], 1.0
	v_rcp_f64_e32 v[220:221], v[218:219]
	v_fma_f64 v[222:223], -v[218:219], v[220:221], 1.0
	v_fma_f64 v[220:221], v[220:221], v[222:223], v[220:221]
	v_fma_f64 v[222:223], -v[218:219], v[220:221], 1.0
	v_fma_f64 v[220:221], v[220:221], v[222:223], v[220:221]
	v_div_scale_f64 v[222:223], vcc_lo, 1.0, v[216:217], 1.0
	v_mul_f64 v[224:225], v[222:223], v[220:221]
	v_fma_f64 v[218:219], -v[218:219], v[224:225], v[222:223]
	v_div_fmas_f64 v[218:219], v[218:219], v[220:221], v[224:225]
	v_div_fixup_f64 v[242:243], v[218:219], v[216:217], 1.0
	v_mul_f64 v[244:245], v[214:215], -v[242:243]
.LBB118_159:
	s_or_b32 exec_lo, exec_lo, s1
.LBB118_160:
	s_or_b32 exec_lo, exec_lo, s0
	s_mov_b32 s0, exec_lo
	v_cmpx_ne_u32_e64 v0, v250
	s_xor_b32 s0, exec_lo, s0
	s_cbranch_execz .LBB118_166
; %bb.161:
	s_mov_b32 s1, exec_lo
	v_cmpx_eq_u32_e32 7, v0
	s_cbranch_execz .LBB118_165
; %bb.162:
	v_cmp_ne_u32_e32 vcc_lo, 7, v250
	s_xor_b32 s7, s16, -1
	s_and_b32 s9, s7, vcc_lo
	s_and_saveexec_b32 s7, s9
	s_cbranch_execz .LBB118_164
; %bb.163:
	s_clause 0x1
	buffer_load_dword v210, off, s[20:23], 0 offset:16
	buffer_load_dword v211, off, s[20:23], 0 offset:20
	v_ashrrev_i32_e32 v251, 31, v250
	v_lshlrev_b64 v[214:215], 2, v[250:251]
	s_waitcnt vmcnt(1)
	v_add_co_u32 v214, vcc_lo, v210, v214
	s_waitcnt vmcnt(0)
	v_add_co_ci_u32_e64 v215, null, v211, v215, vcc_lo
	s_clause 0x1
	global_load_dword v0, v[214:215], off
	global_load_dword v216, v[210:211], off offset:28
	s_waitcnt vmcnt(1)
	global_store_dword v[210:211], v0, off offset:28
	s_waitcnt vmcnt(0)
	global_store_dword v[214:215], v216, off
.LBB118_164:
	s_or_b32 exec_lo, exec_lo, s7
	v_mov_b32_e32 v0, v250
	v_mov_b32_e32 v253, v250
.LBB118_165:
	s_or_b32 exec_lo, exec_lo, s1
.LBB118_166:
	s_andn2_saveexec_b32 s0, s0
	s_cbranch_execz .LBB118_168
; %bb.167:
	v_mov_b32_e32 v0, 7
	ds_write2_b64 v1, v[206:207], v[208:209] offset0:16 offset1:17
	ds_write2_b64 v1, v[202:203], v[204:205] offset0:18 offset1:19
	;; [unrolled: 1-line block ×52, first 2 shown]
.LBB118_168:
	s_or_b32 exec_lo, exec_lo, s0
	s_mov_b32 s0, exec_lo
	s_waitcnt lgkmcnt(0)
	s_waitcnt_vscnt null, 0x0
	s_barrier
	buffer_gl0_inv
	v_cmpx_lt_i32_e32 7, v0
	s_cbranch_execz .LBB118_170
; %bb.169:
	v_mul_f64 v[212:213], v[242:243], v[232:233]
	v_mul_f64 v[214:215], v[244:245], v[232:233]
	ds_read2_b64 v[234:237], v1 offset0:16 offset1:17
	v_fma_f64 v[232:233], v[244:245], v[230:231], v[212:213]
	v_fma_f64 v[250:251], v[242:243], v[230:231], -v[214:215]
	s_waitcnt lgkmcnt(0)
	v_mul_f64 v[210:211], v[236:237], v[232:233]
	v_mul_f64 v[214:215], v[234:235], v[232:233]
	v_mov_b32_e32 v230, v250
	v_mov_b32_e32 v231, v251
	v_fma_f64 v[210:211], v[234:235], v[250:251], -v[210:211]
	v_fma_f64 v[214:215], v[236:237], v[250:251], v[214:215]
	ds_read2_b64 v[234:237], v1 offset0:18 offset1:19
	v_add_f64 v[206:207], v[206:207], -v[210:211]
	v_add_f64 v[208:209], v[208:209], -v[214:215]
	s_waitcnt lgkmcnt(0)
	v_mul_f64 v[210:211], v[236:237], v[232:233]
	v_mul_f64 v[214:215], v[234:235], v[232:233]
	v_fma_f64 v[210:211], v[234:235], v[250:251], -v[210:211]
	v_fma_f64 v[214:215], v[236:237], v[250:251], v[214:215]
	ds_read2_b64 v[234:237], v1 offset0:20 offset1:21
	v_add_f64 v[202:203], v[202:203], -v[210:211]
	v_add_f64 v[204:205], v[204:205], -v[214:215]
	s_waitcnt lgkmcnt(0)
	v_mul_f64 v[210:211], v[236:237], v[232:233]
	v_mul_f64 v[214:215], v[234:235], v[232:233]
	;; [unrolled: 8-line block ×51, first 2 shown]
	v_fma_f64 v[210:211], v[234:235], v[250:251], -v[210:211]
	v_fma_f64 v[214:215], v[236:237], v[250:251], v[214:215]
	v_add_f64 v[226:227], v[226:227], -v[210:211]
	v_add_f64 v[228:229], v[228:229], -v[214:215]
.LBB118_170:
	s_or_b32 exec_lo, exec_lo, s0
	v_lshl_add_u32 v214, v0, 4, v1
	s_barrier
	buffer_gl0_inv
	v_mov_b32_e32 v250, 8
	ds_write2_b64 v214, v[206:207], v[208:209] offset1:1
	s_waitcnt lgkmcnt(0)
	s_barrier
	buffer_gl0_inv
	ds_read2_b64 v[242:245], v1 offset0:16 offset1:17
	s_cmp_lt_i32 s8, 10
	s_cbranch_scc1 .LBB118_173
; %bb.171:
	v_add3_u32 v247, v246, 0, 0x90
	v_mov_b32_e32 v250, 8
	s_mov_b32 s0, 9
	s_inst_prefetch 0x1
	.p2align	6
.LBB118_172:                            ; =>This Inner Loop Header: Depth=1
	s_waitcnt lgkmcnt(0)
	v_cmp_gt_f64_e32 vcc_lo, 0, v[242:243]
	v_xor_b32_e32 v214, 0x80000000, v243
	ds_read2_b64 v[234:237], v247 offset1:1
	v_xor_b32_e32 v216, 0x80000000, v245
	v_add_nc_u32_e32 v247, 16, v247
	s_waitcnt lgkmcnt(0)
	v_xor_b32_e32 v218, 0x80000000, v237
	v_cndmask_b32_e32 v215, v243, v214, vcc_lo
	v_cmp_gt_f64_e32 vcc_lo, 0, v[244:245]
	v_mov_b32_e32 v214, v242
	v_cndmask_b32_e32 v217, v245, v216, vcc_lo
	v_cmp_gt_f64_e32 vcc_lo, 0, v[234:235]
	v_mov_b32_e32 v216, v244
	v_add_f64 v[214:215], v[214:215], v[216:217]
	v_xor_b32_e32 v216, 0x80000000, v235
	v_cndmask_b32_e32 v217, v235, v216, vcc_lo
	v_cmp_gt_f64_e32 vcc_lo, 0, v[236:237]
	v_mov_b32_e32 v216, v234
	v_cndmask_b32_e32 v219, v237, v218, vcc_lo
	v_mov_b32_e32 v218, v236
	v_add_f64 v[216:217], v[216:217], v[218:219]
	v_cmp_lt_f64_e32 vcc_lo, v[214:215], v[216:217]
	v_cndmask_b32_e32 v243, v243, v235, vcc_lo
	v_cndmask_b32_e32 v242, v242, v234, vcc_lo
	;; [unrolled: 1-line block ×4, first 2 shown]
	v_cndmask_b32_e64 v250, v250, s0, vcc_lo
	s_add_i32 s0, s0, 1
	s_cmp_lg_u32 s8, s0
	s_cbranch_scc1 .LBB118_172
.LBB118_173:
	s_inst_prefetch 0x2
	s_waitcnt lgkmcnt(0)
	v_cmp_eq_f64_e32 vcc_lo, 0, v[242:243]
	v_cmp_eq_f64_e64 s0, 0, v[244:245]
	s_and_b32 s0, vcc_lo, s0
	s_and_saveexec_b32 s1, s0
	s_xor_b32 s0, exec_lo, s1
; %bb.174:
	v_cmp_ne_u32_e32 vcc_lo, 0, v255
	v_cndmask_b32_e32 v255, 9, v255, vcc_lo
; %bb.175:
	s_andn2_saveexec_b32 s0, s0
	s_cbranch_execz .LBB118_181
; %bb.176:
	v_cmp_ngt_f64_e64 s1, |v[242:243]|, |v[244:245]|
	s_and_saveexec_b32 s7, s1
	s_xor_b32 s1, exec_lo, s7
	s_cbranch_execz .LBB118_178
; %bb.177:
	v_div_scale_f64 v[214:215], null, v[244:245], v[244:245], v[242:243]
	v_div_scale_f64 v[220:221], vcc_lo, v[242:243], v[244:245], v[242:243]
	v_rcp_f64_e32 v[216:217], v[214:215]
	v_fma_f64 v[218:219], -v[214:215], v[216:217], 1.0
	v_fma_f64 v[216:217], v[216:217], v[218:219], v[216:217]
	v_fma_f64 v[218:219], -v[214:215], v[216:217], 1.0
	v_fma_f64 v[216:217], v[216:217], v[218:219], v[216:217]
	v_mul_f64 v[218:219], v[220:221], v[216:217]
	v_fma_f64 v[214:215], -v[214:215], v[218:219], v[220:221]
	v_div_fmas_f64 v[214:215], v[214:215], v[216:217], v[218:219]
	v_div_fixup_f64 v[214:215], v[214:215], v[244:245], v[242:243]
	v_fma_f64 v[216:217], v[242:243], v[214:215], v[244:245]
	v_div_scale_f64 v[218:219], null, v[216:217], v[216:217], 1.0
	v_rcp_f64_e32 v[220:221], v[218:219]
	v_fma_f64 v[222:223], -v[218:219], v[220:221], 1.0
	v_fma_f64 v[220:221], v[220:221], v[222:223], v[220:221]
	v_fma_f64 v[222:223], -v[218:219], v[220:221], 1.0
	v_fma_f64 v[220:221], v[220:221], v[222:223], v[220:221]
	v_div_scale_f64 v[222:223], vcc_lo, 1.0, v[216:217], 1.0
	v_mul_f64 v[224:225], v[222:223], v[220:221]
	v_fma_f64 v[218:219], -v[218:219], v[224:225], v[222:223]
	v_div_fmas_f64 v[218:219], v[218:219], v[220:221], v[224:225]
	v_div_fixup_f64 v[244:245], v[218:219], v[216:217], 1.0
	v_mul_f64 v[242:243], v[214:215], v[244:245]
	v_xor_b32_e32 v245, 0x80000000, v245
.LBB118_178:
	s_andn2_saveexec_b32 s1, s1
	s_cbranch_execz .LBB118_180
; %bb.179:
	v_div_scale_f64 v[214:215], null, v[242:243], v[242:243], v[244:245]
	v_div_scale_f64 v[220:221], vcc_lo, v[244:245], v[242:243], v[244:245]
	v_rcp_f64_e32 v[216:217], v[214:215]
	v_fma_f64 v[218:219], -v[214:215], v[216:217], 1.0
	v_fma_f64 v[216:217], v[216:217], v[218:219], v[216:217]
	v_fma_f64 v[218:219], -v[214:215], v[216:217], 1.0
	v_fma_f64 v[216:217], v[216:217], v[218:219], v[216:217]
	v_mul_f64 v[218:219], v[220:221], v[216:217]
	v_fma_f64 v[214:215], -v[214:215], v[218:219], v[220:221]
	v_div_fmas_f64 v[214:215], v[214:215], v[216:217], v[218:219]
	v_div_fixup_f64 v[214:215], v[214:215], v[242:243], v[244:245]
	v_fma_f64 v[216:217], v[244:245], v[214:215], v[242:243]
	v_div_scale_f64 v[218:219], null, v[216:217], v[216:217], 1.0
	v_rcp_f64_e32 v[220:221], v[218:219]
	v_fma_f64 v[222:223], -v[218:219], v[220:221], 1.0
	v_fma_f64 v[220:221], v[220:221], v[222:223], v[220:221]
	v_fma_f64 v[222:223], -v[218:219], v[220:221], 1.0
	v_fma_f64 v[220:221], v[220:221], v[222:223], v[220:221]
	v_div_scale_f64 v[222:223], vcc_lo, 1.0, v[216:217], 1.0
	v_mul_f64 v[224:225], v[222:223], v[220:221]
	v_fma_f64 v[218:219], -v[218:219], v[224:225], v[222:223]
	v_div_fmas_f64 v[218:219], v[218:219], v[220:221], v[224:225]
	v_div_fixup_f64 v[242:243], v[218:219], v[216:217], 1.0
	v_mul_f64 v[244:245], v[214:215], -v[242:243]
.LBB118_180:
	s_or_b32 exec_lo, exec_lo, s1
.LBB118_181:
	s_or_b32 exec_lo, exec_lo, s0
	s_mov_b32 s0, exec_lo
	v_cmpx_ne_u32_e64 v0, v250
	s_xor_b32 s0, exec_lo, s0
	s_cbranch_execz .LBB118_187
; %bb.182:
	s_mov_b32 s1, exec_lo
	v_cmpx_eq_u32_e32 8, v0
	s_cbranch_execz .LBB118_186
; %bb.183:
	v_cmp_ne_u32_e32 vcc_lo, 8, v250
	s_xor_b32 s7, s16, -1
	s_and_b32 s9, s7, vcc_lo
	s_and_saveexec_b32 s7, s9
	s_cbranch_execz .LBB118_185
; %bb.184:
	s_clause 0x1
	buffer_load_dword v210, off, s[20:23], 0 offset:16
	buffer_load_dword v211, off, s[20:23], 0 offset:20
	v_ashrrev_i32_e32 v251, 31, v250
	v_lshlrev_b64 v[214:215], 2, v[250:251]
	s_waitcnt vmcnt(1)
	v_add_co_u32 v214, vcc_lo, v210, v214
	s_waitcnt vmcnt(0)
	v_add_co_ci_u32_e64 v215, null, v211, v215, vcc_lo
	s_clause 0x1
	global_load_dword v0, v[214:215], off
	global_load_dword v216, v[210:211], off offset:32
	s_waitcnt vmcnt(1)
	global_store_dword v[210:211], v0, off offset:32
	s_waitcnt vmcnt(0)
	global_store_dword v[214:215], v216, off
.LBB118_185:
	s_or_b32 exec_lo, exec_lo, s7
	v_mov_b32_e32 v0, v250
	v_mov_b32_e32 v253, v250
.LBB118_186:
	s_or_b32 exec_lo, exec_lo, s1
.LBB118_187:
	s_andn2_saveexec_b32 s0, s0
	s_cbranch_execz .LBB118_189
; %bb.188:
	v_mov_b32_e32 v0, 8
	ds_write2_b64 v1, v[202:203], v[204:205] offset0:18 offset1:19
	ds_write2_b64 v1, v[198:199], v[200:201] offset0:20 offset1:21
	ds_write2_b64 v1, v[194:195], v[196:197] offset0:22 offset1:23
	ds_write2_b64 v1, v[190:191], v[192:193] offset0:24 offset1:25
	ds_write2_b64 v1, v[186:187], v[188:189] offset0:26 offset1:27
	ds_write2_b64 v1, v[182:183], v[184:185] offset0:28 offset1:29
	ds_write2_b64 v1, v[178:179], v[180:181] offset0:30 offset1:31
	ds_write2_b64 v1, v[174:175], v[176:177] offset0:32 offset1:33
	ds_write2_b64 v1, v[170:171], v[172:173] offset0:34 offset1:35
	ds_write2_b64 v1, v[166:167], v[168:169] offset0:36 offset1:37
	ds_write2_b64 v1, v[162:163], v[164:165] offset0:38 offset1:39
	ds_write2_b64 v1, v[158:159], v[160:161] offset0:40 offset1:41
	ds_write2_b64 v1, v[154:155], v[156:157] offset0:42 offset1:43
	ds_write2_b64 v1, v[150:151], v[152:153] offset0:44 offset1:45
	ds_write2_b64 v1, v[146:147], v[148:149] offset0:46 offset1:47
	ds_write2_b64 v1, v[142:143], v[144:145] offset0:48 offset1:49
	ds_write2_b64 v1, v[138:139], v[140:141] offset0:50 offset1:51
	ds_write2_b64 v1, v[134:135], v[136:137] offset0:52 offset1:53
	ds_write2_b64 v1, v[130:131], v[132:133] offset0:54 offset1:55
	ds_write2_b64 v1, v[126:127], v[128:129] offset0:56 offset1:57
	ds_write2_b64 v1, v[122:123], v[124:125] offset0:58 offset1:59
	ds_write2_b64 v1, v[118:119], v[120:121] offset0:60 offset1:61
	ds_write2_b64 v1, v[114:115], v[116:117] offset0:62 offset1:63
	ds_write2_b64 v1, v[110:111], v[112:113] offset0:64 offset1:65
	ds_write2_b64 v1, v[106:107], v[108:109] offset0:66 offset1:67
	ds_write2_b64 v1, v[102:103], v[104:105] offset0:68 offset1:69
	ds_write2_b64 v1, v[98:99], v[100:101] offset0:70 offset1:71
	ds_write2_b64 v1, v[94:95], v[96:97] offset0:72 offset1:73
	ds_write2_b64 v1, v[90:91], v[92:93] offset0:74 offset1:75
	ds_write2_b64 v1, v[86:87], v[88:89] offset0:76 offset1:77
	ds_write2_b64 v1, v[82:83], v[84:85] offset0:78 offset1:79
	ds_write2_b64 v1, v[78:79], v[80:81] offset0:80 offset1:81
	ds_write2_b64 v1, v[74:75], v[76:77] offset0:82 offset1:83
	ds_write2_b64 v1, v[70:71], v[72:73] offset0:84 offset1:85
	ds_write2_b64 v1, v[66:67], v[68:69] offset0:86 offset1:87
	ds_write2_b64 v1, v[62:63], v[64:65] offset0:88 offset1:89
	ds_write2_b64 v1, v[58:59], v[60:61] offset0:90 offset1:91
	ds_write2_b64 v1, v[54:55], v[56:57] offset0:92 offset1:93
	ds_write2_b64 v1, v[50:51], v[52:53] offset0:94 offset1:95
	ds_write2_b64 v1, v[46:47], v[48:49] offset0:96 offset1:97
	ds_write2_b64 v1, v[42:43], v[44:45] offset0:98 offset1:99
	ds_write2_b64 v1, v[38:39], v[40:41] offset0:100 offset1:101
	ds_write2_b64 v1, v[34:35], v[36:37] offset0:102 offset1:103
	ds_write2_b64 v1, v[30:31], v[32:33] offset0:104 offset1:105
	ds_write2_b64 v1, v[26:27], v[28:29] offset0:106 offset1:107
	ds_write2_b64 v1, v[22:23], v[24:25] offset0:108 offset1:109
	ds_write2_b64 v1, v[18:19], v[20:21] offset0:110 offset1:111
	ds_write2_b64 v1, v[14:15], v[16:17] offset0:112 offset1:113
	ds_write2_b64 v1, v[10:11], v[12:13] offset0:114 offset1:115
	ds_write2_b64 v1, v[238:239], v[240:241] offset0:116 offset1:117
	ds_write2_b64 v1, v[226:227], v[228:229] offset0:118 offset1:119
.LBB118_189:
	s_or_b32 exec_lo, exec_lo, s0
	s_mov_b32 s0, exec_lo
	s_waitcnt lgkmcnt(0)
	s_waitcnt_vscnt null, 0x0
	s_barrier
	buffer_gl0_inv
	v_cmpx_lt_i32_e32 8, v0
	s_cbranch_execz .LBB118_191
; %bb.190:
	v_mul_f64 v[214:215], v[244:245], v[208:209]
	v_mul_f64 v[208:209], v[242:243], v[208:209]
	ds_read2_b64 v[234:237], v1 offset0:18 offset1:19
	v_fma_f64 v[250:251], v[242:243], v[206:207], -v[214:215]
	v_fma_f64 v[208:209], v[244:245], v[206:207], v[208:209]
	s_waitcnt lgkmcnt(0)
	v_mul_f64 v[206:207], v[236:237], v[208:209]
	v_mul_f64 v[214:215], v[234:235], v[208:209]
	v_fma_f64 v[206:207], v[234:235], v[250:251], -v[206:207]
	v_fma_f64 v[214:215], v[236:237], v[250:251], v[214:215]
	ds_read2_b64 v[234:237], v1 offset0:20 offset1:21
	v_add_f64 v[202:203], v[202:203], -v[206:207]
	v_add_f64 v[204:205], v[204:205], -v[214:215]
	s_waitcnt lgkmcnt(0)
	v_mul_f64 v[206:207], v[236:237], v[208:209]
	v_mul_f64 v[214:215], v[234:235], v[208:209]
	v_fma_f64 v[206:207], v[234:235], v[250:251], -v[206:207]
	v_fma_f64 v[214:215], v[236:237], v[250:251], v[214:215]
	ds_read2_b64 v[234:237], v1 offset0:22 offset1:23
	v_add_f64 v[198:199], v[198:199], -v[206:207]
	v_add_f64 v[200:201], v[200:201], -v[214:215]
	;; [unrolled: 8-line block ×50, first 2 shown]
	s_waitcnt lgkmcnt(0)
	v_mul_f64 v[206:207], v[236:237], v[208:209]
	v_mul_f64 v[214:215], v[234:235], v[208:209]
	v_fma_f64 v[206:207], v[234:235], v[250:251], -v[206:207]
	v_fma_f64 v[214:215], v[236:237], v[250:251], v[214:215]
	v_add_f64 v[226:227], v[226:227], -v[206:207]
	v_add_f64 v[228:229], v[228:229], -v[214:215]
	v_mov_b32_e32 v206, v250
	v_mov_b32_e32 v207, v251
.LBB118_191:
	s_or_b32 exec_lo, exec_lo, s0
	v_lshl_add_u32 v214, v0, 4, v1
	s_barrier
	buffer_gl0_inv
	v_mov_b32_e32 v250, 9
	ds_write2_b64 v214, v[202:203], v[204:205] offset1:1
	s_waitcnt lgkmcnt(0)
	s_barrier
	buffer_gl0_inv
	ds_read2_b64 v[242:245], v1 offset0:18 offset1:19
	s_cmp_lt_i32 s8, 11
	s_cbranch_scc1 .LBB118_194
; %bb.192:
	v_add3_u32 v247, v246, 0, 0xa0
	v_mov_b32_e32 v250, 9
	s_mov_b32 s0, 10
	s_inst_prefetch 0x1
	.p2align	6
.LBB118_193:                            ; =>This Inner Loop Header: Depth=1
	s_waitcnt lgkmcnt(0)
	v_cmp_gt_f64_e32 vcc_lo, 0, v[242:243]
	v_xor_b32_e32 v214, 0x80000000, v243
	ds_read2_b64 v[234:237], v247 offset1:1
	v_xor_b32_e32 v216, 0x80000000, v245
	v_add_nc_u32_e32 v247, 16, v247
	s_waitcnt lgkmcnt(0)
	v_xor_b32_e32 v218, 0x80000000, v237
	v_cndmask_b32_e32 v215, v243, v214, vcc_lo
	v_cmp_gt_f64_e32 vcc_lo, 0, v[244:245]
	v_mov_b32_e32 v214, v242
	v_cndmask_b32_e32 v217, v245, v216, vcc_lo
	v_cmp_gt_f64_e32 vcc_lo, 0, v[234:235]
	v_mov_b32_e32 v216, v244
	v_add_f64 v[214:215], v[214:215], v[216:217]
	v_xor_b32_e32 v216, 0x80000000, v235
	v_cndmask_b32_e32 v217, v235, v216, vcc_lo
	v_cmp_gt_f64_e32 vcc_lo, 0, v[236:237]
	v_mov_b32_e32 v216, v234
	v_cndmask_b32_e32 v219, v237, v218, vcc_lo
	v_mov_b32_e32 v218, v236
	v_add_f64 v[216:217], v[216:217], v[218:219]
	v_cmp_lt_f64_e32 vcc_lo, v[214:215], v[216:217]
	v_cndmask_b32_e32 v243, v243, v235, vcc_lo
	v_cndmask_b32_e32 v242, v242, v234, vcc_lo
	;; [unrolled: 1-line block ×4, first 2 shown]
	v_cndmask_b32_e64 v250, v250, s0, vcc_lo
	s_add_i32 s0, s0, 1
	s_cmp_lg_u32 s8, s0
	s_cbranch_scc1 .LBB118_193
.LBB118_194:
	s_inst_prefetch 0x2
	s_waitcnt lgkmcnt(0)
	v_cmp_eq_f64_e32 vcc_lo, 0, v[242:243]
	v_cmp_eq_f64_e64 s0, 0, v[244:245]
	s_and_b32 s0, vcc_lo, s0
	s_and_saveexec_b32 s1, s0
	s_xor_b32 s0, exec_lo, s1
; %bb.195:
	v_cmp_ne_u32_e32 vcc_lo, 0, v255
	v_cndmask_b32_e32 v255, 10, v255, vcc_lo
; %bb.196:
	s_andn2_saveexec_b32 s0, s0
	s_cbranch_execz .LBB118_202
; %bb.197:
	v_cmp_ngt_f64_e64 s1, |v[242:243]|, |v[244:245]|
	s_and_saveexec_b32 s7, s1
	s_xor_b32 s1, exec_lo, s7
	s_cbranch_execz .LBB118_199
; %bb.198:
	v_div_scale_f64 v[214:215], null, v[244:245], v[244:245], v[242:243]
	v_div_scale_f64 v[220:221], vcc_lo, v[242:243], v[244:245], v[242:243]
	v_rcp_f64_e32 v[216:217], v[214:215]
	v_fma_f64 v[218:219], -v[214:215], v[216:217], 1.0
	v_fma_f64 v[216:217], v[216:217], v[218:219], v[216:217]
	v_fma_f64 v[218:219], -v[214:215], v[216:217], 1.0
	v_fma_f64 v[216:217], v[216:217], v[218:219], v[216:217]
	v_mul_f64 v[218:219], v[220:221], v[216:217]
	v_fma_f64 v[214:215], -v[214:215], v[218:219], v[220:221]
	v_div_fmas_f64 v[214:215], v[214:215], v[216:217], v[218:219]
	v_div_fixup_f64 v[214:215], v[214:215], v[244:245], v[242:243]
	v_fma_f64 v[216:217], v[242:243], v[214:215], v[244:245]
	v_div_scale_f64 v[218:219], null, v[216:217], v[216:217], 1.0
	v_rcp_f64_e32 v[220:221], v[218:219]
	v_fma_f64 v[222:223], -v[218:219], v[220:221], 1.0
	v_fma_f64 v[220:221], v[220:221], v[222:223], v[220:221]
	v_fma_f64 v[222:223], -v[218:219], v[220:221], 1.0
	v_fma_f64 v[220:221], v[220:221], v[222:223], v[220:221]
	v_div_scale_f64 v[222:223], vcc_lo, 1.0, v[216:217], 1.0
	v_mul_f64 v[224:225], v[222:223], v[220:221]
	v_fma_f64 v[218:219], -v[218:219], v[224:225], v[222:223]
	v_div_fmas_f64 v[218:219], v[218:219], v[220:221], v[224:225]
	v_div_fixup_f64 v[244:245], v[218:219], v[216:217], 1.0
	v_mul_f64 v[242:243], v[214:215], v[244:245]
	v_xor_b32_e32 v245, 0x80000000, v245
.LBB118_199:
	s_andn2_saveexec_b32 s1, s1
	s_cbranch_execz .LBB118_201
; %bb.200:
	v_div_scale_f64 v[214:215], null, v[242:243], v[242:243], v[244:245]
	v_div_scale_f64 v[220:221], vcc_lo, v[244:245], v[242:243], v[244:245]
	v_rcp_f64_e32 v[216:217], v[214:215]
	v_fma_f64 v[218:219], -v[214:215], v[216:217], 1.0
	v_fma_f64 v[216:217], v[216:217], v[218:219], v[216:217]
	v_fma_f64 v[218:219], -v[214:215], v[216:217], 1.0
	v_fma_f64 v[216:217], v[216:217], v[218:219], v[216:217]
	v_mul_f64 v[218:219], v[220:221], v[216:217]
	v_fma_f64 v[214:215], -v[214:215], v[218:219], v[220:221]
	v_div_fmas_f64 v[214:215], v[214:215], v[216:217], v[218:219]
	v_div_fixup_f64 v[214:215], v[214:215], v[242:243], v[244:245]
	v_fma_f64 v[216:217], v[244:245], v[214:215], v[242:243]
	v_div_scale_f64 v[218:219], null, v[216:217], v[216:217], 1.0
	v_rcp_f64_e32 v[220:221], v[218:219]
	v_fma_f64 v[222:223], -v[218:219], v[220:221], 1.0
	v_fma_f64 v[220:221], v[220:221], v[222:223], v[220:221]
	v_fma_f64 v[222:223], -v[218:219], v[220:221], 1.0
	v_fma_f64 v[220:221], v[220:221], v[222:223], v[220:221]
	v_div_scale_f64 v[222:223], vcc_lo, 1.0, v[216:217], 1.0
	v_mul_f64 v[224:225], v[222:223], v[220:221]
	v_fma_f64 v[218:219], -v[218:219], v[224:225], v[222:223]
	v_div_fmas_f64 v[218:219], v[218:219], v[220:221], v[224:225]
	v_div_fixup_f64 v[242:243], v[218:219], v[216:217], 1.0
	v_mul_f64 v[244:245], v[214:215], -v[242:243]
.LBB118_201:
	s_or_b32 exec_lo, exec_lo, s1
.LBB118_202:
	s_or_b32 exec_lo, exec_lo, s0
	s_mov_b32 s0, exec_lo
	v_cmpx_ne_u32_e64 v0, v250
	s_xor_b32 s0, exec_lo, s0
	s_cbranch_execz .LBB118_208
; %bb.203:
	s_mov_b32 s1, exec_lo
	v_cmpx_eq_u32_e32 9, v0
	s_cbranch_execz .LBB118_207
; %bb.204:
	v_cmp_ne_u32_e32 vcc_lo, 9, v250
	s_xor_b32 s7, s16, -1
	s_and_b32 s9, s7, vcc_lo
	s_and_saveexec_b32 s7, s9
	s_cbranch_execz .LBB118_206
; %bb.205:
	s_clause 0x1
	buffer_load_dword v210, off, s[20:23], 0 offset:16
	buffer_load_dword v211, off, s[20:23], 0 offset:20
	v_ashrrev_i32_e32 v251, 31, v250
	v_lshlrev_b64 v[214:215], 2, v[250:251]
	s_waitcnt vmcnt(1)
	v_add_co_u32 v214, vcc_lo, v210, v214
	s_waitcnt vmcnt(0)
	v_add_co_ci_u32_e64 v215, null, v211, v215, vcc_lo
	s_clause 0x1
	global_load_dword v0, v[214:215], off
	global_load_dword v216, v[210:211], off offset:36
	s_waitcnt vmcnt(1)
	global_store_dword v[210:211], v0, off offset:36
	s_waitcnt vmcnt(0)
	global_store_dword v[214:215], v216, off
.LBB118_206:
	s_or_b32 exec_lo, exec_lo, s7
	v_mov_b32_e32 v0, v250
	v_mov_b32_e32 v253, v250
.LBB118_207:
	s_or_b32 exec_lo, exec_lo, s1
.LBB118_208:
	s_andn2_saveexec_b32 s0, s0
	s_cbranch_execz .LBB118_210
; %bb.209:
	v_mov_b32_e32 v0, 9
	ds_write2_b64 v1, v[198:199], v[200:201] offset0:20 offset1:21
	ds_write2_b64 v1, v[194:195], v[196:197] offset0:22 offset1:23
	;; [unrolled: 1-line block ×50, first 2 shown]
.LBB118_210:
	s_or_b32 exec_lo, exec_lo, s0
	s_mov_b32 s0, exec_lo
	s_waitcnt lgkmcnt(0)
	s_waitcnt_vscnt null, 0x0
	s_barrier
	buffer_gl0_inv
	v_cmpx_lt_i32_e32 9, v0
	s_cbranch_execz .LBB118_212
; %bb.211:
	v_mul_f64 v[214:215], v[244:245], v[204:205]
	v_mul_f64 v[204:205], v[242:243], v[204:205]
	ds_read2_b64 v[234:237], v1 offset0:20 offset1:21
	v_fma_f64 v[250:251], v[242:243], v[202:203], -v[214:215]
	v_fma_f64 v[204:205], v[244:245], v[202:203], v[204:205]
	s_waitcnt lgkmcnt(0)
	v_mul_f64 v[202:203], v[236:237], v[204:205]
	v_mul_f64 v[214:215], v[234:235], v[204:205]
	v_fma_f64 v[202:203], v[234:235], v[250:251], -v[202:203]
	v_fma_f64 v[214:215], v[236:237], v[250:251], v[214:215]
	ds_read2_b64 v[234:237], v1 offset0:22 offset1:23
	v_add_f64 v[198:199], v[198:199], -v[202:203]
	v_add_f64 v[200:201], v[200:201], -v[214:215]
	s_waitcnt lgkmcnt(0)
	v_mul_f64 v[202:203], v[236:237], v[204:205]
	v_mul_f64 v[214:215], v[234:235], v[204:205]
	v_fma_f64 v[202:203], v[234:235], v[250:251], -v[202:203]
	v_fma_f64 v[214:215], v[236:237], v[250:251], v[214:215]
	ds_read2_b64 v[234:237], v1 offset0:24 offset1:25
	v_add_f64 v[194:195], v[194:195], -v[202:203]
	v_add_f64 v[196:197], v[196:197], -v[214:215]
	;; [unrolled: 8-line block ×49, first 2 shown]
	s_waitcnt lgkmcnt(0)
	v_mul_f64 v[202:203], v[236:237], v[204:205]
	v_mul_f64 v[214:215], v[234:235], v[204:205]
	v_fma_f64 v[202:203], v[234:235], v[250:251], -v[202:203]
	v_fma_f64 v[214:215], v[236:237], v[250:251], v[214:215]
	v_add_f64 v[226:227], v[226:227], -v[202:203]
	v_add_f64 v[228:229], v[228:229], -v[214:215]
	v_mov_b32_e32 v202, v250
	v_mov_b32_e32 v203, v251
.LBB118_212:
	s_or_b32 exec_lo, exec_lo, s0
	v_lshl_add_u32 v214, v0, 4, v1
	s_barrier
	buffer_gl0_inv
	v_mov_b32_e32 v250, 10
	ds_write2_b64 v214, v[198:199], v[200:201] offset1:1
	s_waitcnt lgkmcnt(0)
	s_barrier
	buffer_gl0_inv
	ds_read2_b64 v[242:245], v1 offset0:20 offset1:21
	s_cmp_lt_i32 s8, 12
	s_cbranch_scc1 .LBB118_215
; %bb.213:
	v_add3_u32 v247, v246, 0, 0xb0
	v_mov_b32_e32 v250, 10
	s_mov_b32 s0, 11
	s_inst_prefetch 0x1
	.p2align	6
.LBB118_214:                            ; =>This Inner Loop Header: Depth=1
	s_waitcnt lgkmcnt(0)
	v_cmp_gt_f64_e32 vcc_lo, 0, v[242:243]
	v_xor_b32_e32 v214, 0x80000000, v243
	ds_read2_b64 v[234:237], v247 offset1:1
	v_xor_b32_e32 v216, 0x80000000, v245
	v_add_nc_u32_e32 v247, 16, v247
	s_waitcnt lgkmcnt(0)
	v_xor_b32_e32 v218, 0x80000000, v237
	v_cndmask_b32_e32 v215, v243, v214, vcc_lo
	v_cmp_gt_f64_e32 vcc_lo, 0, v[244:245]
	v_mov_b32_e32 v214, v242
	v_cndmask_b32_e32 v217, v245, v216, vcc_lo
	v_cmp_gt_f64_e32 vcc_lo, 0, v[234:235]
	v_mov_b32_e32 v216, v244
	v_add_f64 v[214:215], v[214:215], v[216:217]
	v_xor_b32_e32 v216, 0x80000000, v235
	v_cndmask_b32_e32 v217, v235, v216, vcc_lo
	v_cmp_gt_f64_e32 vcc_lo, 0, v[236:237]
	v_mov_b32_e32 v216, v234
	v_cndmask_b32_e32 v219, v237, v218, vcc_lo
	v_mov_b32_e32 v218, v236
	v_add_f64 v[216:217], v[216:217], v[218:219]
	v_cmp_lt_f64_e32 vcc_lo, v[214:215], v[216:217]
	v_cndmask_b32_e32 v243, v243, v235, vcc_lo
	v_cndmask_b32_e32 v242, v242, v234, vcc_lo
	;; [unrolled: 1-line block ×4, first 2 shown]
	v_cndmask_b32_e64 v250, v250, s0, vcc_lo
	s_add_i32 s0, s0, 1
	s_cmp_lg_u32 s8, s0
	s_cbranch_scc1 .LBB118_214
.LBB118_215:
	s_inst_prefetch 0x2
	s_waitcnt lgkmcnt(0)
	v_cmp_eq_f64_e32 vcc_lo, 0, v[242:243]
	v_cmp_eq_f64_e64 s0, 0, v[244:245]
	s_and_b32 s0, vcc_lo, s0
	s_and_saveexec_b32 s1, s0
	s_xor_b32 s0, exec_lo, s1
; %bb.216:
	v_cmp_ne_u32_e32 vcc_lo, 0, v255
	v_cndmask_b32_e32 v255, 11, v255, vcc_lo
; %bb.217:
	s_andn2_saveexec_b32 s0, s0
	s_cbranch_execz .LBB118_223
; %bb.218:
	v_cmp_ngt_f64_e64 s1, |v[242:243]|, |v[244:245]|
	s_and_saveexec_b32 s7, s1
	s_xor_b32 s1, exec_lo, s7
	s_cbranch_execz .LBB118_220
; %bb.219:
	v_div_scale_f64 v[214:215], null, v[244:245], v[244:245], v[242:243]
	v_div_scale_f64 v[220:221], vcc_lo, v[242:243], v[244:245], v[242:243]
	v_rcp_f64_e32 v[216:217], v[214:215]
	v_fma_f64 v[218:219], -v[214:215], v[216:217], 1.0
	v_fma_f64 v[216:217], v[216:217], v[218:219], v[216:217]
	v_fma_f64 v[218:219], -v[214:215], v[216:217], 1.0
	v_fma_f64 v[216:217], v[216:217], v[218:219], v[216:217]
	v_mul_f64 v[218:219], v[220:221], v[216:217]
	v_fma_f64 v[214:215], -v[214:215], v[218:219], v[220:221]
	v_div_fmas_f64 v[214:215], v[214:215], v[216:217], v[218:219]
	v_div_fixup_f64 v[214:215], v[214:215], v[244:245], v[242:243]
	v_fma_f64 v[216:217], v[242:243], v[214:215], v[244:245]
	v_div_scale_f64 v[218:219], null, v[216:217], v[216:217], 1.0
	v_rcp_f64_e32 v[220:221], v[218:219]
	v_fma_f64 v[222:223], -v[218:219], v[220:221], 1.0
	v_fma_f64 v[220:221], v[220:221], v[222:223], v[220:221]
	v_fma_f64 v[222:223], -v[218:219], v[220:221], 1.0
	v_fma_f64 v[220:221], v[220:221], v[222:223], v[220:221]
	v_div_scale_f64 v[222:223], vcc_lo, 1.0, v[216:217], 1.0
	v_mul_f64 v[224:225], v[222:223], v[220:221]
	v_fma_f64 v[218:219], -v[218:219], v[224:225], v[222:223]
	v_div_fmas_f64 v[218:219], v[218:219], v[220:221], v[224:225]
	v_div_fixup_f64 v[244:245], v[218:219], v[216:217], 1.0
	v_mul_f64 v[242:243], v[214:215], v[244:245]
	v_xor_b32_e32 v245, 0x80000000, v245
.LBB118_220:
	s_andn2_saveexec_b32 s1, s1
	s_cbranch_execz .LBB118_222
; %bb.221:
	v_div_scale_f64 v[214:215], null, v[242:243], v[242:243], v[244:245]
	v_div_scale_f64 v[220:221], vcc_lo, v[244:245], v[242:243], v[244:245]
	v_rcp_f64_e32 v[216:217], v[214:215]
	v_fma_f64 v[218:219], -v[214:215], v[216:217], 1.0
	v_fma_f64 v[216:217], v[216:217], v[218:219], v[216:217]
	v_fma_f64 v[218:219], -v[214:215], v[216:217], 1.0
	v_fma_f64 v[216:217], v[216:217], v[218:219], v[216:217]
	v_mul_f64 v[218:219], v[220:221], v[216:217]
	v_fma_f64 v[214:215], -v[214:215], v[218:219], v[220:221]
	v_div_fmas_f64 v[214:215], v[214:215], v[216:217], v[218:219]
	v_div_fixup_f64 v[214:215], v[214:215], v[242:243], v[244:245]
	v_fma_f64 v[216:217], v[244:245], v[214:215], v[242:243]
	v_div_scale_f64 v[218:219], null, v[216:217], v[216:217], 1.0
	v_rcp_f64_e32 v[220:221], v[218:219]
	v_fma_f64 v[222:223], -v[218:219], v[220:221], 1.0
	v_fma_f64 v[220:221], v[220:221], v[222:223], v[220:221]
	v_fma_f64 v[222:223], -v[218:219], v[220:221], 1.0
	v_fma_f64 v[220:221], v[220:221], v[222:223], v[220:221]
	v_div_scale_f64 v[222:223], vcc_lo, 1.0, v[216:217], 1.0
	v_mul_f64 v[224:225], v[222:223], v[220:221]
	v_fma_f64 v[218:219], -v[218:219], v[224:225], v[222:223]
	v_div_fmas_f64 v[218:219], v[218:219], v[220:221], v[224:225]
	v_div_fixup_f64 v[242:243], v[218:219], v[216:217], 1.0
	v_mul_f64 v[244:245], v[214:215], -v[242:243]
.LBB118_222:
	s_or_b32 exec_lo, exec_lo, s1
.LBB118_223:
	s_or_b32 exec_lo, exec_lo, s0
	s_mov_b32 s0, exec_lo
	v_cmpx_ne_u32_e64 v0, v250
	s_xor_b32 s0, exec_lo, s0
	s_cbranch_execz .LBB118_229
; %bb.224:
	s_mov_b32 s1, exec_lo
	v_cmpx_eq_u32_e32 10, v0
	s_cbranch_execz .LBB118_228
; %bb.225:
	v_cmp_ne_u32_e32 vcc_lo, 10, v250
	s_xor_b32 s7, s16, -1
	s_and_b32 s9, s7, vcc_lo
	s_and_saveexec_b32 s7, s9
	s_cbranch_execz .LBB118_227
; %bb.226:
	s_clause 0x1
	buffer_load_dword v210, off, s[20:23], 0 offset:16
	buffer_load_dword v211, off, s[20:23], 0 offset:20
	v_ashrrev_i32_e32 v251, 31, v250
	v_lshlrev_b64 v[214:215], 2, v[250:251]
	s_waitcnt vmcnt(1)
	v_add_co_u32 v214, vcc_lo, v210, v214
	s_waitcnt vmcnt(0)
	v_add_co_ci_u32_e64 v215, null, v211, v215, vcc_lo
	s_clause 0x1
	global_load_dword v0, v[214:215], off
	global_load_dword v216, v[210:211], off offset:40
	s_waitcnt vmcnt(1)
	global_store_dword v[210:211], v0, off offset:40
	s_waitcnt vmcnt(0)
	global_store_dword v[214:215], v216, off
.LBB118_227:
	s_or_b32 exec_lo, exec_lo, s7
	v_mov_b32_e32 v0, v250
	v_mov_b32_e32 v253, v250
.LBB118_228:
	s_or_b32 exec_lo, exec_lo, s1
.LBB118_229:
	s_andn2_saveexec_b32 s0, s0
	s_cbranch_execz .LBB118_231
; %bb.230:
	v_mov_b32_e32 v0, 10
	ds_write2_b64 v1, v[194:195], v[196:197] offset0:22 offset1:23
	ds_write2_b64 v1, v[190:191], v[192:193] offset0:24 offset1:25
	;; [unrolled: 1-line block ×49, first 2 shown]
.LBB118_231:
	s_or_b32 exec_lo, exec_lo, s0
	s_mov_b32 s0, exec_lo
	s_waitcnt lgkmcnt(0)
	s_waitcnt_vscnt null, 0x0
	s_barrier
	buffer_gl0_inv
	v_cmpx_lt_i32_e32 10, v0
	s_cbranch_execz .LBB118_233
; %bb.232:
	v_mul_f64 v[214:215], v[244:245], v[200:201]
	v_mul_f64 v[200:201], v[242:243], v[200:201]
	ds_read2_b64 v[234:237], v1 offset0:22 offset1:23
	v_fma_f64 v[250:251], v[242:243], v[198:199], -v[214:215]
	v_fma_f64 v[200:201], v[244:245], v[198:199], v[200:201]
	s_waitcnt lgkmcnt(0)
	v_mul_f64 v[198:199], v[236:237], v[200:201]
	v_mul_f64 v[214:215], v[234:235], v[200:201]
	v_fma_f64 v[198:199], v[234:235], v[250:251], -v[198:199]
	v_fma_f64 v[214:215], v[236:237], v[250:251], v[214:215]
	ds_read2_b64 v[234:237], v1 offset0:24 offset1:25
	v_add_f64 v[194:195], v[194:195], -v[198:199]
	v_add_f64 v[196:197], v[196:197], -v[214:215]
	s_waitcnt lgkmcnt(0)
	v_mul_f64 v[198:199], v[236:237], v[200:201]
	v_mul_f64 v[214:215], v[234:235], v[200:201]
	v_fma_f64 v[198:199], v[234:235], v[250:251], -v[198:199]
	v_fma_f64 v[214:215], v[236:237], v[250:251], v[214:215]
	ds_read2_b64 v[234:237], v1 offset0:26 offset1:27
	v_add_f64 v[190:191], v[190:191], -v[198:199]
	v_add_f64 v[192:193], v[192:193], -v[214:215]
	;; [unrolled: 8-line block ×48, first 2 shown]
	s_waitcnt lgkmcnt(0)
	v_mul_f64 v[198:199], v[236:237], v[200:201]
	v_mul_f64 v[214:215], v[234:235], v[200:201]
	v_fma_f64 v[198:199], v[234:235], v[250:251], -v[198:199]
	v_fma_f64 v[214:215], v[236:237], v[250:251], v[214:215]
	v_add_f64 v[226:227], v[226:227], -v[198:199]
	v_add_f64 v[228:229], v[228:229], -v[214:215]
	v_mov_b32_e32 v198, v250
	v_mov_b32_e32 v199, v251
.LBB118_233:
	s_or_b32 exec_lo, exec_lo, s0
	v_lshl_add_u32 v214, v0, 4, v1
	s_barrier
	buffer_gl0_inv
	v_mov_b32_e32 v250, 11
	ds_write2_b64 v214, v[194:195], v[196:197] offset1:1
	s_waitcnt lgkmcnt(0)
	s_barrier
	buffer_gl0_inv
	ds_read2_b64 v[242:245], v1 offset0:22 offset1:23
	s_cmp_lt_i32 s8, 13
	s_cbranch_scc1 .LBB118_236
; %bb.234:
	v_add3_u32 v247, v246, 0, 0xc0
	v_mov_b32_e32 v250, 11
	s_mov_b32 s0, 12
	s_inst_prefetch 0x1
	.p2align	6
.LBB118_235:                            ; =>This Inner Loop Header: Depth=1
	s_waitcnt lgkmcnt(0)
	v_cmp_gt_f64_e32 vcc_lo, 0, v[242:243]
	v_xor_b32_e32 v214, 0x80000000, v243
	ds_read2_b64 v[234:237], v247 offset1:1
	v_xor_b32_e32 v216, 0x80000000, v245
	v_add_nc_u32_e32 v247, 16, v247
	s_waitcnt lgkmcnt(0)
	v_xor_b32_e32 v218, 0x80000000, v237
	v_cndmask_b32_e32 v215, v243, v214, vcc_lo
	v_cmp_gt_f64_e32 vcc_lo, 0, v[244:245]
	v_mov_b32_e32 v214, v242
	v_cndmask_b32_e32 v217, v245, v216, vcc_lo
	v_cmp_gt_f64_e32 vcc_lo, 0, v[234:235]
	v_mov_b32_e32 v216, v244
	v_add_f64 v[214:215], v[214:215], v[216:217]
	v_xor_b32_e32 v216, 0x80000000, v235
	v_cndmask_b32_e32 v217, v235, v216, vcc_lo
	v_cmp_gt_f64_e32 vcc_lo, 0, v[236:237]
	v_mov_b32_e32 v216, v234
	v_cndmask_b32_e32 v219, v237, v218, vcc_lo
	v_mov_b32_e32 v218, v236
	v_add_f64 v[216:217], v[216:217], v[218:219]
	v_cmp_lt_f64_e32 vcc_lo, v[214:215], v[216:217]
	v_cndmask_b32_e32 v243, v243, v235, vcc_lo
	v_cndmask_b32_e32 v242, v242, v234, vcc_lo
	;; [unrolled: 1-line block ×4, first 2 shown]
	v_cndmask_b32_e64 v250, v250, s0, vcc_lo
	s_add_i32 s0, s0, 1
	s_cmp_lg_u32 s8, s0
	s_cbranch_scc1 .LBB118_235
.LBB118_236:
	s_inst_prefetch 0x2
	s_waitcnt lgkmcnt(0)
	v_cmp_eq_f64_e32 vcc_lo, 0, v[242:243]
	v_cmp_eq_f64_e64 s0, 0, v[244:245]
	s_and_b32 s0, vcc_lo, s0
	s_and_saveexec_b32 s1, s0
	s_xor_b32 s0, exec_lo, s1
; %bb.237:
	v_cmp_ne_u32_e32 vcc_lo, 0, v255
	v_cndmask_b32_e32 v255, 12, v255, vcc_lo
; %bb.238:
	s_andn2_saveexec_b32 s0, s0
	s_cbranch_execz .LBB118_244
; %bb.239:
	v_cmp_ngt_f64_e64 s1, |v[242:243]|, |v[244:245]|
	s_and_saveexec_b32 s7, s1
	s_xor_b32 s1, exec_lo, s7
	s_cbranch_execz .LBB118_241
; %bb.240:
	v_div_scale_f64 v[214:215], null, v[244:245], v[244:245], v[242:243]
	v_div_scale_f64 v[220:221], vcc_lo, v[242:243], v[244:245], v[242:243]
	v_rcp_f64_e32 v[216:217], v[214:215]
	v_fma_f64 v[218:219], -v[214:215], v[216:217], 1.0
	v_fma_f64 v[216:217], v[216:217], v[218:219], v[216:217]
	v_fma_f64 v[218:219], -v[214:215], v[216:217], 1.0
	v_fma_f64 v[216:217], v[216:217], v[218:219], v[216:217]
	v_mul_f64 v[218:219], v[220:221], v[216:217]
	v_fma_f64 v[214:215], -v[214:215], v[218:219], v[220:221]
	v_div_fmas_f64 v[214:215], v[214:215], v[216:217], v[218:219]
	v_div_fixup_f64 v[214:215], v[214:215], v[244:245], v[242:243]
	v_fma_f64 v[216:217], v[242:243], v[214:215], v[244:245]
	v_div_scale_f64 v[218:219], null, v[216:217], v[216:217], 1.0
	v_rcp_f64_e32 v[220:221], v[218:219]
	v_fma_f64 v[222:223], -v[218:219], v[220:221], 1.0
	v_fma_f64 v[220:221], v[220:221], v[222:223], v[220:221]
	v_fma_f64 v[222:223], -v[218:219], v[220:221], 1.0
	v_fma_f64 v[220:221], v[220:221], v[222:223], v[220:221]
	v_div_scale_f64 v[222:223], vcc_lo, 1.0, v[216:217], 1.0
	v_mul_f64 v[224:225], v[222:223], v[220:221]
	v_fma_f64 v[218:219], -v[218:219], v[224:225], v[222:223]
	v_div_fmas_f64 v[218:219], v[218:219], v[220:221], v[224:225]
	v_div_fixup_f64 v[244:245], v[218:219], v[216:217], 1.0
	v_mul_f64 v[242:243], v[214:215], v[244:245]
	v_xor_b32_e32 v245, 0x80000000, v245
.LBB118_241:
	s_andn2_saveexec_b32 s1, s1
	s_cbranch_execz .LBB118_243
; %bb.242:
	v_div_scale_f64 v[214:215], null, v[242:243], v[242:243], v[244:245]
	v_div_scale_f64 v[220:221], vcc_lo, v[244:245], v[242:243], v[244:245]
	v_rcp_f64_e32 v[216:217], v[214:215]
	v_fma_f64 v[218:219], -v[214:215], v[216:217], 1.0
	v_fma_f64 v[216:217], v[216:217], v[218:219], v[216:217]
	v_fma_f64 v[218:219], -v[214:215], v[216:217], 1.0
	v_fma_f64 v[216:217], v[216:217], v[218:219], v[216:217]
	v_mul_f64 v[218:219], v[220:221], v[216:217]
	v_fma_f64 v[214:215], -v[214:215], v[218:219], v[220:221]
	v_div_fmas_f64 v[214:215], v[214:215], v[216:217], v[218:219]
	v_div_fixup_f64 v[214:215], v[214:215], v[242:243], v[244:245]
	v_fma_f64 v[216:217], v[244:245], v[214:215], v[242:243]
	v_div_scale_f64 v[218:219], null, v[216:217], v[216:217], 1.0
	v_rcp_f64_e32 v[220:221], v[218:219]
	v_fma_f64 v[222:223], -v[218:219], v[220:221], 1.0
	v_fma_f64 v[220:221], v[220:221], v[222:223], v[220:221]
	v_fma_f64 v[222:223], -v[218:219], v[220:221], 1.0
	v_fma_f64 v[220:221], v[220:221], v[222:223], v[220:221]
	v_div_scale_f64 v[222:223], vcc_lo, 1.0, v[216:217], 1.0
	v_mul_f64 v[224:225], v[222:223], v[220:221]
	v_fma_f64 v[218:219], -v[218:219], v[224:225], v[222:223]
	v_div_fmas_f64 v[218:219], v[218:219], v[220:221], v[224:225]
	v_div_fixup_f64 v[242:243], v[218:219], v[216:217], 1.0
	v_mul_f64 v[244:245], v[214:215], -v[242:243]
.LBB118_243:
	s_or_b32 exec_lo, exec_lo, s1
.LBB118_244:
	s_or_b32 exec_lo, exec_lo, s0
	s_mov_b32 s0, exec_lo
	v_cmpx_ne_u32_e64 v0, v250
	s_xor_b32 s0, exec_lo, s0
	s_cbranch_execz .LBB118_250
; %bb.245:
	s_mov_b32 s1, exec_lo
	v_cmpx_eq_u32_e32 11, v0
	s_cbranch_execz .LBB118_249
; %bb.246:
	v_cmp_ne_u32_e32 vcc_lo, 11, v250
	s_xor_b32 s7, s16, -1
	s_and_b32 s9, s7, vcc_lo
	s_and_saveexec_b32 s7, s9
	s_cbranch_execz .LBB118_248
; %bb.247:
	s_clause 0x1
	buffer_load_dword v210, off, s[20:23], 0 offset:16
	buffer_load_dword v211, off, s[20:23], 0 offset:20
	v_ashrrev_i32_e32 v251, 31, v250
	v_lshlrev_b64 v[214:215], 2, v[250:251]
	s_waitcnt vmcnt(1)
	v_add_co_u32 v214, vcc_lo, v210, v214
	s_waitcnt vmcnt(0)
	v_add_co_ci_u32_e64 v215, null, v211, v215, vcc_lo
	s_clause 0x1
	global_load_dword v0, v[214:215], off
	global_load_dword v216, v[210:211], off offset:44
	s_waitcnt vmcnt(1)
	global_store_dword v[210:211], v0, off offset:44
	s_waitcnt vmcnt(0)
	global_store_dword v[214:215], v216, off
.LBB118_248:
	s_or_b32 exec_lo, exec_lo, s7
	v_mov_b32_e32 v0, v250
	v_mov_b32_e32 v253, v250
.LBB118_249:
	s_or_b32 exec_lo, exec_lo, s1
.LBB118_250:
	s_andn2_saveexec_b32 s0, s0
	s_cbranch_execz .LBB118_252
; %bb.251:
	v_mov_b32_e32 v0, 11
	ds_write2_b64 v1, v[190:191], v[192:193] offset0:24 offset1:25
	ds_write2_b64 v1, v[186:187], v[188:189] offset0:26 offset1:27
	;; [unrolled: 1-line block ×48, first 2 shown]
.LBB118_252:
	s_or_b32 exec_lo, exec_lo, s0
	s_mov_b32 s0, exec_lo
	s_waitcnt lgkmcnt(0)
	s_waitcnt_vscnt null, 0x0
	s_barrier
	buffer_gl0_inv
	v_cmpx_lt_i32_e32 11, v0
	s_cbranch_execz .LBB118_254
; %bb.253:
	v_mul_f64 v[214:215], v[244:245], v[196:197]
	v_mul_f64 v[196:197], v[242:243], v[196:197]
	ds_read2_b64 v[234:237], v1 offset0:24 offset1:25
	v_fma_f64 v[250:251], v[242:243], v[194:195], -v[214:215]
	v_fma_f64 v[196:197], v[244:245], v[194:195], v[196:197]
	s_waitcnt lgkmcnt(0)
	v_mul_f64 v[194:195], v[236:237], v[196:197]
	v_mul_f64 v[214:215], v[234:235], v[196:197]
	v_fma_f64 v[194:195], v[234:235], v[250:251], -v[194:195]
	v_fma_f64 v[214:215], v[236:237], v[250:251], v[214:215]
	ds_read2_b64 v[234:237], v1 offset0:26 offset1:27
	v_add_f64 v[190:191], v[190:191], -v[194:195]
	v_add_f64 v[192:193], v[192:193], -v[214:215]
	s_waitcnt lgkmcnt(0)
	v_mul_f64 v[194:195], v[236:237], v[196:197]
	v_mul_f64 v[214:215], v[234:235], v[196:197]
	v_fma_f64 v[194:195], v[234:235], v[250:251], -v[194:195]
	v_fma_f64 v[214:215], v[236:237], v[250:251], v[214:215]
	ds_read2_b64 v[234:237], v1 offset0:28 offset1:29
	v_add_f64 v[186:187], v[186:187], -v[194:195]
	v_add_f64 v[188:189], v[188:189], -v[214:215]
	;; [unrolled: 8-line block ×47, first 2 shown]
	s_waitcnt lgkmcnt(0)
	v_mul_f64 v[194:195], v[236:237], v[196:197]
	v_mul_f64 v[214:215], v[234:235], v[196:197]
	v_fma_f64 v[194:195], v[234:235], v[250:251], -v[194:195]
	v_fma_f64 v[214:215], v[236:237], v[250:251], v[214:215]
	v_add_f64 v[226:227], v[226:227], -v[194:195]
	v_add_f64 v[228:229], v[228:229], -v[214:215]
	v_mov_b32_e32 v194, v250
	v_mov_b32_e32 v195, v251
.LBB118_254:
	s_or_b32 exec_lo, exec_lo, s0
	v_lshl_add_u32 v214, v0, 4, v1
	s_barrier
	buffer_gl0_inv
	v_mov_b32_e32 v250, 12
	ds_write2_b64 v214, v[190:191], v[192:193] offset1:1
	s_waitcnt lgkmcnt(0)
	s_barrier
	buffer_gl0_inv
	ds_read2_b64 v[242:245], v1 offset0:24 offset1:25
	s_cmp_lt_i32 s8, 14
	s_cbranch_scc1 .LBB118_257
; %bb.255:
	v_add3_u32 v247, v246, 0, 0xd0
	v_mov_b32_e32 v250, 12
	s_mov_b32 s0, 13
	s_inst_prefetch 0x1
	.p2align	6
.LBB118_256:                            ; =>This Inner Loop Header: Depth=1
	s_waitcnt lgkmcnt(0)
	v_cmp_gt_f64_e32 vcc_lo, 0, v[242:243]
	v_xor_b32_e32 v214, 0x80000000, v243
	ds_read2_b64 v[234:237], v247 offset1:1
	v_xor_b32_e32 v216, 0x80000000, v245
	v_add_nc_u32_e32 v247, 16, v247
	s_waitcnt lgkmcnt(0)
	v_xor_b32_e32 v218, 0x80000000, v237
	v_cndmask_b32_e32 v215, v243, v214, vcc_lo
	v_cmp_gt_f64_e32 vcc_lo, 0, v[244:245]
	v_mov_b32_e32 v214, v242
	v_cndmask_b32_e32 v217, v245, v216, vcc_lo
	v_cmp_gt_f64_e32 vcc_lo, 0, v[234:235]
	v_mov_b32_e32 v216, v244
	v_add_f64 v[214:215], v[214:215], v[216:217]
	v_xor_b32_e32 v216, 0x80000000, v235
	v_cndmask_b32_e32 v217, v235, v216, vcc_lo
	v_cmp_gt_f64_e32 vcc_lo, 0, v[236:237]
	v_mov_b32_e32 v216, v234
	v_cndmask_b32_e32 v219, v237, v218, vcc_lo
	v_mov_b32_e32 v218, v236
	v_add_f64 v[216:217], v[216:217], v[218:219]
	v_cmp_lt_f64_e32 vcc_lo, v[214:215], v[216:217]
	v_cndmask_b32_e32 v243, v243, v235, vcc_lo
	v_cndmask_b32_e32 v242, v242, v234, vcc_lo
	;; [unrolled: 1-line block ×4, first 2 shown]
	v_cndmask_b32_e64 v250, v250, s0, vcc_lo
	s_add_i32 s0, s0, 1
	s_cmp_lg_u32 s8, s0
	s_cbranch_scc1 .LBB118_256
.LBB118_257:
	s_inst_prefetch 0x2
	s_waitcnt lgkmcnt(0)
	v_cmp_eq_f64_e32 vcc_lo, 0, v[242:243]
	v_cmp_eq_f64_e64 s0, 0, v[244:245]
	s_and_b32 s0, vcc_lo, s0
	s_and_saveexec_b32 s1, s0
	s_xor_b32 s0, exec_lo, s1
; %bb.258:
	v_cmp_ne_u32_e32 vcc_lo, 0, v255
	v_cndmask_b32_e32 v255, 13, v255, vcc_lo
; %bb.259:
	s_andn2_saveexec_b32 s0, s0
	s_cbranch_execz .LBB118_265
; %bb.260:
	v_cmp_ngt_f64_e64 s1, |v[242:243]|, |v[244:245]|
	s_and_saveexec_b32 s7, s1
	s_xor_b32 s1, exec_lo, s7
	s_cbranch_execz .LBB118_262
; %bb.261:
	v_div_scale_f64 v[214:215], null, v[244:245], v[244:245], v[242:243]
	v_div_scale_f64 v[220:221], vcc_lo, v[242:243], v[244:245], v[242:243]
	v_rcp_f64_e32 v[216:217], v[214:215]
	v_fma_f64 v[218:219], -v[214:215], v[216:217], 1.0
	v_fma_f64 v[216:217], v[216:217], v[218:219], v[216:217]
	v_fma_f64 v[218:219], -v[214:215], v[216:217], 1.0
	v_fma_f64 v[216:217], v[216:217], v[218:219], v[216:217]
	v_mul_f64 v[218:219], v[220:221], v[216:217]
	v_fma_f64 v[214:215], -v[214:215], v[218:219], v[220:221]
	v_div_fmas_f64 v[214:215], v[214:215], v[216:217], v[218:219]
	v_div_fixup_f64 v[214:215], v[214:215], v[244:245], v[242:243]
	v_fma_f64 v[216:217], v[242:243], v[214:215], v[244:245]
	v_div_scale_f64 v[218:219], null, v[216:217], v[216:217], 1.0
	v_rcp_f64_e32 v[220:221], v[218:219]
	v_fma_f64 v[222:223], -v[218:219], v[220:221], 1.0
	v_fma_f64 v[220:221], v[220:221], v[222:223], v[220:221]
	v_fma_f64 v[222:223], -v[218:219], v[220:221], 1.0
	v_fma_f64 v[220:221], v[220:221], v[222:223], v[220:221]
	v_div_scale_f64 v[222:223], vcc_lo, 1.0, v[216:217], 1.0
	v_mul_f64 v[224:225], v[222:223], v[220:221]
	v_fma_f64 v[218:219], -v[218:219], v[224:225], v[222:223]
	v_div_fmas_f64 v[218:219], v[218:219], v[220:221], v[224:225]
	v_div_fixup_f64 v[244:245], v[218:219], v[216:217], 1.0
	v_mul_f64 v[242:243], v[214:215], v[244:245]
	v_xor_b32_e32 v245, 0x80000000, v245
.LBB118_262:
	s_andn2_saveexec_b32 s1, s1
	s_cbranch_execz .LBB118_264
; %bb.263:
	v_div_scale_f64 v[214:215], null, v[242:243], v[242:243], v[244:245]
	v_div_scale_f64 v[220:221], vcc_lo, v[244:245], v[242:243], v[244:245]
	v_rcp_f64_e32 v[216:217], v[214:215]
	v_fma_f64 v[218:219], -v[214:215], v[216:217], 1.0
	v_fma_f64 v[216:217], v[216:217], v[218:219], v[216:217]
	v_fma_f64 v[218:219], -v[214:215], v[216:217], 1.0
	v_fma_f64 v[216:217], v[216:217], v[218:219], v[216:217]
	v_mul_f64 v[218:219], v[220:221], v[216:217]
	v_fma_f64 v[214:215], -v[214:215], v[218:219], v[220:221]
	v_div_fmas_f64 v[214:215], v[214:215], v[216:217], v[218:219]
	v_div_fixup_f64 v[214:215], v[214:215], v[242:243], v[244:245]
	v_fma_f64 v[216:217], v[244:245], v[214:215], v[242:243]
	v_div_scale_f64 v[218:219], null, v[216:217], v[216:217], 1.0
	v_rcp_f64_e32 v[220:221], v[218:219]
	v_fma_f64 v[222:223], -v[218:219], v[220:221], 1.0
	v_fma_f64 v[220:221], v[220:221], v[222:223], v[220:221]
	v_fma_f64 v[222:223], -v[218:219], v[220:221], 1.0
	v_fma_f64 v[220:221], v[220:221], v[222:223], v[220:221]
	v_div_scale_f64 v[222:223], vcc_lo, 1.0, v[216:217], 1.0
	v_mul_f64 v[224:225], v[222:223], v[220:221]
	v_fma_f64 v[218:219], -v[218:219], v[224:225], v[222:223]
	v_div_fmas_f64 v[218:219], v[218:219], v[220:221], v[224:225]
	v_div_fixup_f64 v[242:243], v[218:219], v[216:217], 1.0
	v_mul_f64 v[244:245], v[214:215], -v[242:243]
.LBB118_264:
	s_or_b32 exec_lo, exec_lo, s1
.LBB118_265:
	s_or_b32 exec_lo, exec_lo, s0
	s_mov_b32 s0, exec_lo
	v_cmpx_ne_u32_e64 v0, v250
	s_xor_b32 s0, exec_lo, s0
	s_cbranch_execz .LBB118_271
; %bb.266:
	s_mov_b32 s1, exec_lo
	v_cmpx_eq_u32_e32 12, v0
	s_cbranch_execz .LBB118_270
; %bb.267:
	v_cmp_ne_u32_e32 vcc_lo, 12, v250
	s_xor_b32 s7, s16, -1
	s_and_b32 s9, s7, vcc_lo
	s_and_saveexec_b32 s7, s9
	s_cbranch_execz .LBB118_269
; %bb.268:
	s_clause 0x1
	buffer_load_dword v210, off, s[20:23], 0 offset:16
	buffer_load_dword v211, off, s[20:23], 0 offset:20
	v_ashrrev_i32_e32 v251, 31, v250
	v_lshlrev_b64 v[214:215], 2, v[250:251]
	s_waitcnt vmcnt(1)
	v_add_co_u32 v214, vcc_lo, v210, v214
	s_waitcnt vmcnt(0)
	v_add_co_ci_u32_e64 v215, null, v211, v215, vcc_lo
	s_clause 0x1
	global_load_dword v0, v[214:215], off
	global_load_dword v216, v[210:211], off offset:48
	s_waitcnt vmcnt(1)
	global_store_dword v[210:211], v0, off offset:48
	s_waitcnt vmcnt(0)
	global_store_dword v[214:215], v216, off
.LBB118_269:
	s_or_b32 exec_lo, exec_lo, s7
	v_mov_b32_e32 v0, v250
	v_mov_b32_e32 v253, v250
.LBB118_270:
	s_or_b32 exec_lo, exec_lo, s1
.LBB118_271:
	s_andn2_saveexec_b32 s0, s0
	s_cbranch_execz .LBB118_273
; %bb.272:
	v_mov_b32_e32 v0, 12
	ds_write2_b64 v1, v[186:187], v[188:189] offset0:26 offset1:27
	ds_write2_b64 v1, v[182:183], v[184:185] offset0:28 offset1:29
	;; [unrolled: 1-line block ×47, first 2 shown]
.LBB118_273:
	s_or_b32 exec_lo, exec_lo, s0
	s_mov_b32 s0, exec_lo
	s_waitcnt lgkmcnt(0)
	s_waitcnt_vscnt null, 0x0
	s_barrier
	buffer_gl0_inv
	v_cmpx_lt_i32_e32 12, v0
	s_cbranch_execz .LBB118_275
; %bb.274:
	v_mul_f64 v[214:215], v[244:245], v[192:193]
	v_mul_f64 v[192:193], v[242:243], v[192:193]
	ds_read2_b64 v[234:237], v1 offset0:26 offset1:27
	v_fma_f64 v[250:251], v[242:243], v[190:191], -v[214:215]
	v_fma_f64 v[192:193], v[244:245], v[190:191], v[192:193]
	s_waitcnt lgkmcnt(0)
	v_mul_f64 v[190:191], v[236:237], v[192:193]
	v_mul_f64 v[214:215], v[234:235], v[192:193]
	v_fma_f64 v[190:191], v[234:235], v[250:251], -v[190:191]
	v_fma_f64 v[214:215], v[236:237], v[250:251], v[214:215]
	ds_read2_b64 v[234:237], v1 offset0:28 offset1:29
	v_add_f64 v[186:187], v[186:187], -v[190:191]
	v_add_f64 v[188:189], v[188:189], -v[214:215]
	s_waitcnt lgkmcnt(0)
	v_mul_f64 v[190:191], v[236:237], v[192:193]
	v_mul_f64 v[214:215], v[234:235], v[192:193]
	v_fma_f64 v[190:191], v[234:235], v[250:251], -v[190:191]
	v_fma_f64 v[214:215], v[236:237], v[250:251], v[214:215]
	ds_read2_b64 v[234:237], v1 offset0:30 offset1:31
	v_add_f64 v[182:183], v[182:183], -v[190:191]
	v_add_f64 v[184:185], v[184:185], -v[214:215]
	;; [unrolled: 8-line block ×46, first 2 shown]
	s_waitcnt lgkmcnt(0)
	v_mul_f64 v[190:191], v[236:237], v[192:193]
	v_mul_f64 v[214:215], v[234:235], v[192:193]
	v_fma_f64 v[190:191], v[234:235], v[250:251], -v[190:191]
	v_fma_f64 v[214:215], v[236:237], v[250:251], v[214:215]
	v_add_f64 v[226:227], v[226:227], -v[190:191]
	v_add_f64 v[228:229], v[228:229], -v[214:215]
	v_mov_b32_e32 v190, v250
	v_mov_b32_e32 v191, v251
.LBB118_275:
	s_or_b32 exec_lo, exec_lo, s0
	v_lshl_add_u32 v214, v0, 4, v1
	s_barrier
	buffer_gl0_inv
	v_mov_b32_e32 v250, 13
	ds_write2_b64 v214, v[186:187], v[188:189] offset1:1
	s_waitcnt lgkmcnt(0)
	s_barrier
	buffer_gl0_inv
	ds_read2_b64 v[242:245], v1 offset0:26 offset1:27
	s_cmp_lt_i32 s8, 15
	s_cbranch_scc1 .LBB118_278
; %bb.276:
	v_add3_u32 v247, v246, 0, 0xe0
	v_mov_b32_e32 v250, 13
	s_mov_b32 s0, 14
	s_inst_prefetch 0x1
	.p2align	6
.LBB118_277:                            ; =>This Inner Loop Header: Depth=1
	s_waitcnt lgkmcnt(0)
	v_cmp_gt_f64_e32 vcc_lo, 0, v[242:243]
	v_xor_b32_e32 v214, 0x80000000, v243
	ds_read2_b64 v[234:237], v247 offset1:1
	v_xor_b32_e32 v216, 0x80000000, v245
	v_add_nc_u32_e32 v247, 16, v247
	s_waitcnt lgkmcnt(0)
	v_xor_b32_e32 v218, 0x80000000, v237
	v_cndmask_b32_e32 v215, v243, v214, vcc_lo
	v_cmp_gt_f64_e32 vcc_lo, 0, v[244:245]
	v_mov_b32_e32 v214, v242
	v_cndmask_b32_e32 v217, v245, v216, vcc_lo
	v_cmp_gt_f64_e32 vcc_lo, 0, v[234:235]
	v_mov_b32_e32 v216, v244
	v_add_f64 v[214:215], v[214:215], v[216:217]
	v_xor_b32_e32 v216, 0x80000000, v235
	v_cndmask_b32_e32 v217, v235, v216, vcc_lo
	v_cmp_gt_f64_e32 vcc_lo, 0, v[236:237]
	v_mov_b32_e32 v216, v234
	v_cndmask_b32_e32 v219, v237, v218, vcc_lo
	v_mov_b32_e32 v218, v236
	v_add_f64 v[216:217], v[216:217], v[218:219]
	v_cmp_lt_f64_e32 vcc_lo, v[214:215], v[216:217]
	v_cndmask_b32_e32 v243, v243, v235, vcc_lo
	v_cndmask_b32_e32 v242, v242, v234, vcc_lo
	;; [unrolled: 1-line block ×4, first 2 shown]
	v_cndmask_b32_e64 v250, v250, s0, vcc_lo
	s_add_i32 s0, s0, 1
	s_cmp_lg_u32 s8, s0
	s_cbranch_scc1 .LBB118_277
.LBB118_278:
	s_inst_prefetch 0x2
	s_waitcnt lgkmcnt(0)
	v_cmp_eq_f64_e32 vcc_lo, 0, v[242:243]
	v_cmp_eq_f64_e64 s0, 0, v[244:245]
	s_and_b32 s0, vcc_lo, s0
	s_and_saveexec_b32 s1, s0
	s_xor_b32 s0, exec_lo, s1
; %bb.279:
	v_cmp_ne_u32_e32 vcc_lo, 0, v255
	v_cndmask_b32_e32 v255, 14, v255, vcc_lo
; %bb.280:
	s_andn2_saveexec_b32 s0, s0
	s_cbranch_execz .LBB118_286
; %bb.281:
	v_cmp_ngt_f64_e64 s1, |v[242:243]|, |v[244:245]|
	s_and_saveexec_b32 s7, s1
	s_xor_b32 s1, exec_lo, s7
	s_cbranch_execz .LBB118_283
; %bb.282:
	v_div_scale_f64 v[214:215], null, v[244:245], v[244:245], v[242:243]
	v_div_scale_f64 v[220:221], vcc_lo, v[242:243], v[244:245], v[242:243]
	v_rcp_f64_e32 v[216:217], v[214:215]
	v_fma_f64 v[218:219], -v[214:215], v[216:217], 1.0
	v_fma_f64 v[216:217], v[216:217], v[218:219], v[216:217]
	v_fma_f64 v[218:219], -v[214:215], v[216:217], 1.0
	v_fma_f64 v[216:217], v[216:217], v[218:219], v[216:217]
	v_mul_f64 v[218:219], v[220:221], v[216:217]
	v_fma_f64 v[214:215], -v[214:215], v[218:219], v[220:221]
	v_div_fmas_f64 v[214:215], v[214:215], v[216:217], v[218:219]
	v_div_fixup_f64 v[214:215], v[214:215], v[244:245], v[242:243]
	v_fma_f64 v[216:217], v[242:243], v[214:215], v[244:245]
	v_div_scale_f64 v[218:219], null, v[216:217], v[216:217], 1.0
	v_rcp_f64_e32 v[220:221], v[218:219]
	v_fma_f64 v[222:223], -v[218:219], v[220:221], 1.0
	v_fma_f64 v[220:221], v[220:221], v[222:223], v[220:221]
	v_fma_f64 v[222:223], -v[218:219], v[220:221], 1.0
	v_fma_f64 v[220:221], v[220:221], v[222:223], v[220:221]
	v_div_scale_f64 v[222:223], vcc_lo, 1.0, v[216:217], 1.0
	v_mul_f64 v[224:225], v[222:223], v[220:221]
	v_fma_f64 v[218:219], -v[218:219], v[224:225], v[222:223]
	v_div_fmas_f64 v[218:219], v[218:219], v[220:221], v[224:225]
	v_div_fixup_f64 v[244:245], v[218:219], v[216:217], 1.0
	v_mul_f64 v[242:243], v[214:215], v[244:245]
	v_xor_b32_e32 v245, 0x80000000, v245
.LBB118_283:
	s_andn2_saveexec_b32 s1, s1
	s_cbranch_execz .LBB118_285
; %bb.284:
	v_div_scale_f64 v[214:215], null, v[242:243], v[242:243], v[244:245]
	v_div_scale_f64 v[220:221], vcc_lo, v[244:245], v[242:243], v[244:245]
	v_rcp_f64_e32 v[216:217], v[214:215]
	v_fma_f64 v[218:219], -v[214:215], v[216:217], 1.0
	v_fma_f64 v[216:217], v[216:217], v[218:219], v[216:217]
	v_fma_f64 v[218:219], -v[214:215], v[216:217], 1.0
	v_fma_f64 v[216:217], v[216:217], v[218:219], v[216:217]
	v_mul_f64 v[218:219], v[220:221], v[216:217]
	v_fma_f64 v[214:215], -v[214:215], v[218:219], v[220:221]
	v_div_fmas_f64 v[214:215], v[214:215], v[216:217], v[218:219]
	v_div_fixup_f64 v[214:215], v[214:215], v[242:243], v[244:245]
	v_fma_f64 v[216:217], v[244:245], v[214:215], v[242:243]
	v_div_scale_f64 v[218:219], null, v[216:217], v[216:217], 1.0
	v_rcp_f64_e32 v[220:221], v[218:219]
	v_fma_f64 v[222:223], -v[218:219], v[220:221], 1.0
	v_fma_f64 v[220:221], v[220:221], v[222:223], v[220:221]
	v_fma_f64 v[222:223], -v[218:219], v[220:221], 1.0
	v_fma_f64 v[220:221], v[220:221], v[222:223], v[220:221]
	v_div_scale_f64 v[222:223], vcc_lo, 1.0, v[216:217], 1.0
	v_mul_f64 v[224:225], v[222:223], v[220:221]
	v_fma_f64 v[218:219], -v[218:219], v[224:225], v[222:223]
	v_div_fmas_f64 v[218:219], v[218:219], v[220:221], v[224:225]
	v_div_fixup_f64 v[242:243], v[218:219], v[216:217], 1.0
	v_mul_f64 v[244:245], v[214:215], -v[242:243]
.LBB118_285:
	s_or_b32 exec_lo, exec_lo, s1
.LBB118_286:
	s_or_b32 exec_lo, exec_lo, s0
	s_mov_b32 s0, exec_lo
	v_cmpx_ne_u32_e64 v0, v250
	s_xor_b32 s0, exec_lo, s0
	s_cbranch_execz .LBB118_292
; %bb.287:
	s_mov_b32 s1, exec_lo
	v_cmpx_eq_u32_e32 13, v0
	s_cbranch_execz .LBB118_291
; %bb.288:
	v_cmp_ne_u32_e32 vcc_lo, 13, v250
	s_xor_b32 s7, s16, -1
	s_and_b32 s9, s7, vcc_lo
	s_and_saveexec_b32 s7, s9
	s_cbranch_execz .LBB118_290
; %bb.289:
	s_clause 0x1
	buffer_load_dword v210, off, s[20:23], 0 offset:16
	buffer_load_dword v211, off, s[20:23], 0 offset:20
	v_ashrrev_i32_e32 v251, 31, v250
	v_lshlrev_b64 v[214:215], 2, v[250:251]
	s_waitcnt vmcnt(1)
	v_add_co_u32 v214, vcc_lo, v210, v214
	s_waitcnt vmcnt(0)
	v_add_co_ci_u32_e64 v215, null, v211, v215, vcc_lo
	s_clause 0x1
	global_load_dword v0, v[214:215], off
	global_load_dword v216, v[210:211], off offset:52
	s_waitcnt vmcnt(1)
	global_store_dword v[210:211], v0, off offset:52
	s_waitcnt vmcnt(0)
	global_store_dword v[214:215], v216, off
.LBB118_290:
	s_or_b32 exec_lo, exec_lo, s7
	v_mov_b32_e32 v0, v250
	v_mov_b32_e32 v253, v250
.LBB118_291:
	s_or_b32 exec_lo, exec_lo, s1
.LBB118_292:
	s_andn2_saveexec_b32 s0, s0
	s_cbranch_execz .LBB118_294
; %bb.293:
	v_mov_b32_e32 v0, 13
	ds_write2_b64 v1, v[182:183], v[184:185] offset0:28 offset1:29
	ds_write2_b64 v1, v[178:179], v[180:181] offset0:30 offset1:31
	;; [unrolled: 1-line block ×46, first 2 shown]
.LBB118_294:
	s_or_b32 exec_lo, exec_lo, s0
	s_mov_b32 s0, exec_lo
	s_waitcnt lgkmcnt(0)
	s_waitcnt_vscnt null, 0x0
	s_barrier
	buffer_gl0_inv
	v_cmpx_lt_i32_e32 13, v0
	s_cbranch_execz .LBB118_296
; %bb.295:
	v_mul_f64 v[214:215], v[244:245], v[188:189]
	v_mul_f64 v[188:189], v[242:243], v[188:189]
	ds_read2_b64 v[234:237], v1 offset0:28 offset1:29
	v_fma_f64 v[250:251], v[242:243], v[186:187], -v[214:215]
	v_fma_f64 v[188:189], v[244:245], v[186:187], v[188:189]
	s_waitcnt lgkmcnt(0)
	v_mul_f64 v[186:187], v[236:237], v[188:189]
	v_mul_f64 v[214:215], v[234:235], v[188:189]
	v_fma_f64 v[186:187], v[234:235], v[250:251], -v[186:187]
	v_fma_f64 v[214:215], v[236:237], v[250:251], v[214:215]
	ds_read2_b64 v[234:237], v1 offset0:30 offset1:31
	v_add_f64 v[182:183], v[182:183], -v[186:187]
	v_add_f64 v[184:185], v[184:185], -v[214:215]
	s_waitcnt lgkmcnt(0)
	v_mul_f64 v[186:187], v[236:237], v[188:189]
	v_mul_f64 v[214:215], v[234:235], v[188:189]
	v_fma_f64 v[186:187], v[234:235], v[250:251], -v[186:187]
	v_fma_f64 v[214:215], v[236:237], v[250:251], v[214:215]
	ds_read2_b64 v[234:237], v1 offset0:32 offset1:33
	v_add_f64 v[178:179], v[178:179], -v[186:187]
	v_add_f64 v[180:181], v[180:181], -v[214:215]
	s_waitcnt lgkmcnt(0)
	v_mul_f64 v[186:187], v[236:237], v[188:189]
	v_mul_f64 v[214:215], v[234:235], v[188:189]
	v_fma_f64 v[186:187], v[234:235], v[250:251], -v[186:187]
	v_fma_f64 v[214:215], v[236:237], v[250:251], v[214:215]
	ds_read2_b64 v[234:237], v1 offset0:34 offset1:35
	v_add_f64 v[174:175], v[174:175], -v[186:187]
	v_add_f64 v[176:177], v[176:177], -v[214:215]
	s_waitcnt lgkmcnt(0)
	v_mul_f64 v[186:187], v[236:237], v[188:189]
	v_mul_f64 v[214:215], v[234:235], v[188:189]
	v_fma_f64 v[186:187], v[234:235], v[250:251], -v[186:187]
	v_fma_f64 v[214:215], v[236:237], v[250:251], v[214:215]
	ds_read2_b64 v[234:237], v1 offset0:36 offset1:37
	v_add_f64 v[170:171], v[170:171], -v[186:187]
	v_add_f64 v[172:173], v[172:173], -v[214:215]
	s_waitcnt lgkmcnt(0)
	v_mul_f64 v[186:187], v[236:237], v[188:189]
	v_mul_f64 v[214:215], v[234:235], v[188:189]
	v_fma_f64 v[186:187], v[234:235], v[250:251], -v[186:187]
	v_fma_f64 v[214:215], v[236:237], v[250:251], v[214:215]
	ds_read2_b64 v[234:237], v1 offset0:38 offset1:39
	v_add_f64 v[166:167], v[166:167], -v[186:187]
	v_add_f64 v[168:169], v[168:169], -v[214:215]
	s_waitcnt lgkmcnt(0)
	v_mul_f64 v[186:187], v[236:237], v[188:189]
	v_mul_f64 v[214:215], v[234:235], v[188:189]
	v_fma_f64 v[186:187], v[234:235], v[250:251], -v[186:187]
	v_fma_f64 v[214:215], v[236:237], v[250:251], v[214:215]
	ds_read2_b64 v[234:237], v1 offset0:40 offset1:41
	v_add_f64 v[162:163], v[162:163], -v[186:187]
	v_add_f64 v[164:165], v[164:165], -v[214:215]
	s_waitcnt lgkmcnt(0)
	v_mul_f64 v[186:187], v[236:237], v[188:189]
	v_mul_f64 v[214:215], v[234:235], v[188:189]
	v_fma_f64 v[186:187], v[234:235], v[250:251], -v[186:187]
	v_fma_f64 v[214:215], v[236:237], v[250:251], v[214:215]
	ds_read2_b64 v[234:237], v1 offset0:42 offset1:43
	v_add_f64 v[158:159], v[158:159], -v[186:187]
	v_add_f64 v[160:161], v[160:161], -v[214:215]
	s_waitcnt lgkmcnt(0)
	v_mul_f64 v[186:187], v[236:237], v[188:189]
	v_mul_f64 v[214:215], v[234:235], v[188:189]
	v_fma_f64 v[186:187], v[234:235], v[250:251], -v[186:187]
	v_fma_f64 v[214:215], v[236:237], v[250:251], v[214:215]
	ds_read2_b64 v[234:237], v1 offset0:44 offset1:45
	v_add_f64 v[154:155], v[154:155], -v[186:187]
	v_add_f64 v[156:157], v[156:157], -v[214:215]
	s_waitcnt lgkmcnt(0)
	v_mul_f64 v[186:187], v[236:237], v[188:189]
	v_mul_f64 v[214:215], v[234:235], v[188:189]
	v_fma_f64 v[186:187], v[234:235], v[250:251], -v[186:187]
	v_fma_f64 v[214:215], v[236:237], v[250:251], v[214:215]
	ds_read2_b64 v[234:237], v1 offset0:46 offset1:47
	v_add_f64 v[150:151], v[150:151], -v[186:187]
	v_add_f64 v[152:153], v[152:153], -v[214:215]
	s_waitcnt lgkmcnt(0)
	v_mul_f64 v[186:187], v[236:237], v[188:189]
	v_mul_f64 v[214:215], v[234:235], v[188:189]
	v_fma_f64 v[186:187], v[234:235], v[250:251], -v[186:187]
	v_fma_f64 v[214:215], v[236:237], v[250:251], v[214:215]
	ds_read2_b64 v[234:237], v1 offset0:48 offset1:49
	v_add_f64 v[146:147], v[146:147], -v[186:187]
	v_add_f64 v[148:149], v[148:149], -v[214:215]
	s_waitcnt lgkmcnt(0)
	v_mul_f64 v[186:187], v[236:237], v[188:189]
	v_mul_f64 v[214:215], v[234:235], v[188:189]
	v_fma_f64 v[186:187], v[234:235], v[250:251], -v[186:187]
	v_fma_f64 v[214:215], v[236:237], v[250:251], v[214:215]
	ds_read2_b64 v[234:237], v1 offset0:50 offset1:51
	v_add_f64 v[142:143], v[142:143], -v[186:187]
	v_add_f64 v[144:145], v[144:145], -v[214:215]
	s_waitcnt lgkmcnt(0)
	v_mul_f64 v[186:187], v[236:237], v[188:189]
	v_mul_f64 v[214:215], v[234:235], v[188:189]
	v_fma_f64 v[186:187], v[234:235], v[250:251], -v[186:187]
	v_fma_f64 v[214:215], v[236:237], v[250:251], v[214:215]
	ds_read2_b64 v[234:237], v1 offset0:52 offset1:53
	v_add_f64 v[138:139], v[138:139], -v[186:187]
	v_add_f64 v[140:141], v[140:141], -v[214:215]
	s_waitcnt lgkmcnt(0)
	v_mul_f64 v[186:187], v[236:237], v[188:189]
	v_mul_f64 v[214:215], v[234:235], v[188:189]
	v_fma_f64 v[186:187], v[234:235], v[250:251], -v[186:187]
	v_fma_f64 v[214:215], v[236:237], v[250:251], v[214:215]
	ds_read2_b64 v[234:237], v1 offset0:54 offset1:55
	v_add_f64 v[134:135], v[134:135], -v[186:187]
	v_add_f64 v[136:137], v[136:137], -v[214:215]
	s_waitcnt lgkmcnt(0)
	v_mul_f64 v[186:187], v[236:237], v[188:189]
	v_mul_f64 v[214:215], v[234:235], v[188:189]
	v_fma_f64 v[186:187], v[234:235], v[250:251], -v[186:187]
	v_fma_f64 v[214:215], v[236:237], v[250:251], v[214:215]
	ds_read2_b64 v[234:237], v1 offset0:56 offset1:57
	v_add_f64 v[130:131], v[130:131], -v[186:187]
	v_add_f64 v[132:133], v[132:133], -v[214:215]
	s_waitcnt lgkmcnt(0)
	v_mul_f64 v[186:187], v[236:237], v[188:189]
	v_mul_f64 v[214:215], v[234:235], v[188:189]
	v_fma_f64 v[186:187], v[234:235], v[250:251], -v[186:187]
	v_fma_f64 v[214:215], v[236:237], v[250:251], v[214:215]
	ds_read2_b64 v[234:237], v1 offset0:58 offset1:59
	v_add_f64 v[126:127], v[126:127], -v[186:187]
	v_add_f64 v[128:129], v[128:129], -v[214:215]
	s_waitcnt lgkmcnt(0)
	v_mul_f64 v[186:187], v[236:237], v[188:189]
	v_mul_f64 v[214:215], v[234:235], v[188:189]
	v_fma_f64 v[186:187], v[234:235], v[250:251], -v[186:187]
	v_fma_f64 v[214:215], v[236:237], v[250:251], v[214:215]
	ds_read2_b64 v[234:237], v1 offset0:60 offset1:61
	v_add_f64 v[122:123], v[122:123], -v[186:187]
	v_add_f64 v[124:125], v[124:125], -v[214:215]
	s_waitcnt lgkmcnt(0)
	v_mul_f64 v[186:187], v[236:237], v[188:189]
	v_mul_f64 v[214:215], v[234:235], v[188:189]
	v_fma_f64 v[186:187], v[234:235], v[250:251], -v[186:187]
	v_fma_f64 v[214:215], v[236:237], v[250:251], v[214:215]
	ds_read2_b64 v[234:237], v1 offset0:62 offset1:63
	v_add_f64 v[118:119], v[118:119], -v[186:187]
	v_add_f64 v[120:121], v[120:121], -v[214:215]
	s_waitcnt lgkmcnt(0)
	v_mul_f64 v[186:187], v[236:237], v[188:189]
	v_mul_f64 v[214:215], v[234:235], v[188:189]
	v_fma_f64 v[186:187], v[234:235], v[250:251], -v[186:187]
	v_fma_f64 v[214:215], v[236:237], v[250:251], v[214:215]
	ds_read2_b64 v[234:237], v1 offset0:64 offset1:65
	v_add_f64 v[114:115], v[114:115], -v[186:187]
	v_add_f64 v[116:117], v[116:117], -v[214:215]
	s_waitcnt lgkmcnt(0)
	v_mul_f64 v[186:187], v[236:237], v[188:189]
	v_mul_f64 v[214:215], v[234:235], v[188:189]
	v_fma_f64 v[186:187], v[234:235], v[250:251], -v[186:187]
	v_fma_f64 v[214:215], v[236:237], v[250:251], v[214:215]
	ds_read2_b64 v[234:237], v1 offset0:66 offset1:67
	v_add_f64 v[110:111], v[110:111], -v[186:187]
	v_add_f64 v[112:113], v[112:113], -v[214:215]
	s_waitcnt lgkmcnt(0)
	v_mul_f64 v[186:187], v[236:237], v[188:189]
	v_mul_f64 v[214:215], v[234:235], v[188:189]
	v_fma_f64 v[186:187], v[234:235], v[250:251], -v[186:187]
	v_fma_f64 v[214:215], v[236:237], v[250:251], v[214:215]
	ds_read2_b64 v[234:237], v1 offset0:68 offset1:69
	v_add_f64 v[106:107], v[106:107], -v[186:187]
	v_add_f64 v[108:109], v[108:109], -v[214:215]
	s_waitcnt lgkmcnt(0)
	v_mul_f64 v[186:187], v[236:237], v[188:189]
	v_mul_f64 v[214:215], v[234:235], v[188:189]
	v_fma_f64 v[186:187], v[234:235], v[250:251], -v[186:187]
	v_fma_f64 v[214:215], v[236:237], v[250:251], v[214:215]
	ds_read2_b64 v[234:237], v1 offset0:70 offset1:71
	v_add_f64 v[102:103], v[102:103], -v[186:187]
	v_add_f64 v[104:105], v[104:105], -v[214:215]
	s_waitcnt lgkmcnt(0)
	v_mul_f64 v[186:187], v[236:237], v[188:189]
	v_mul_f64 v[214:215], v[234:235], v[188:189]
	v_fma_f64 v[186:187], v[234:235], v[250:251], -v[186:187]
	v_fma_f64 v[214:215], v[236:237], v[250:251], v[214:215]
	ds_read2_b64 v[234:237], v1 offset0:72 offset1:73
	v_add_f64 v[98:99], v[98:99], -v[186:187]
	v_add_f64 v[100:101], v[100:101], -v[214:215]
	s_waitcnt lgkmcnt(0)
	v_mul_f64 v[186:187], v[236:237], v[188:189]
	v_mul_f64 v[214:215], v[234:235], v[188:189]
	v_fma_f64 v[186:187], v[234:235], v[250:251], -v[186:187]
	v_fma_f64 v[214:215], v[236:237], v[250:251], v[214:215]
	ds_read2_b64 v[234:237], v1 offset0:74 offset1:75
	v_add_f64 v[94:95], v[94:95], -v[186:187]
	v_add_f64 v[96:97], v[96:97], -v[214:215]
	s_waitcnt lgkmcnt(0)
	v_mul_f64 v[186:187], v[236:237], v[188:189]
	v_mul_f64 v[214:215], v[234:235], v[188:189]
	v_fma_f64 v[186:187], v[234:235], v[250:251], -v[186:187]
	v_fma_f64 v[214:215], v[236:237], v[250:251], v[214:215]
	ds_read2_b64 v[234:237], v1 offset0:76 offset1:77
	v_add_f64 v[90:91], v[90:91], -v[186:187]
	v_add_f64 v[92:93], v[92:93], -v[214:215]
	s_waitcnt lgkmcnt(0)
	v_mul_f64 v[186:187], v[236:237], v[188:189]
	v_mul_f64 v[214:215], v[234:235], v[188:189]
	v_fma_f64 v[186:187], v[234:235], v[250:251], -v[186:187]
	v_fma_f64 v[214:215], v[236:237], v[250:251], v[214:215]
	ds_read2_b64 v[234:237], v1 offset0:78 offset1:79
	v_add_f64 v[86:87], v[86:87], -v[186:187]
	v_add_f64 v[88:89], v[88:89], -v[214:215]
	s_waitcnt lgkmcnt(0)
	v_mul_f64 v[186:187], v[236:237], v[188:189]
	v_mul_f64 v[214:215], v[234:235], v[188:189]
	v_fma_f64 v[186:187], v[234:235], v[250:251], -v[186:187]
	v_fma_f64 v[214:215], v[236:237], v[250:251], v[214:215]
	ds_read2_b64 v[234:237], v1 offset0:80 offset1:81
	v_add_f64 v[82:83], v[82:83], -v[186:187]
	v_add_f64 v[84:85], v[84:85], -v[214:215]
	s_waitcnt lgkmcnt(0)
	v_mul_f64 v[186:187], v[236:237], v[188:189]
	v_mul_f64 v[214:215], v[234:235], v[188:189]
	v_fma_f64 v[186:187], v[234:235], v[250:251], -v[186:187]
	v_fma_f64 v[214:215], v[236:237], v[250:251], v[214:215]
	ds_read2_b64 v[234:237], v1 offset0:82 offset1:83
	v_add_f64 v[78:79], v[78:79], -v[186:187]
	v_add_f64 v[80:81], v[80:81], -v[214:215]
	s_waitcnt lgkmcnt(0)
	v_mul_f64 v[186:187], v[236:237], v[188:189]
	v_mul_f64 v[214:215], v[234:235], v[188:189]
	v_fma_f64 v[186:187], v[234:235], v[250:251], -v[186:187]
	v_fma_f64 v[214:215], v[236:237], v[250:251], v[214:215]
	ds_read2_b64 v[234:237], v1 offset0:84 offset1:85
	v_add_f64 v[74:75], v[74:75], -v[186:187]
	v_add_f64 v[76:77], v[76:77], -v[214:215]
	s_waitcnt lgkmcnt(0)
	v_mul_f64 v[186:187], v[236:237], v[188:189]
	v_mul_f64 v[214:215], v[234:235], v[188:189]
	v_fma_f64 v[186:187], v[234:235], v[250:251], -v[186:187]
	v_fma_f64 v[214:215], v[236:237], v[250:251], v[214:215]
	ds_read2_b64 v[234:237], v1 offset0:86 offset1:87
	v_add_f64 v[70:71], v[70:71], -v[186:187]
	v_add_f64 v[72:73], v[72:73], -v[214:215]
	s_waitcnt lgkmcnt(0)
	v_mul_f64 v[186:187], v[236:237], v[188:189]
	v_mul_f64 v[214:215], v[234:235], v[188:189]
	v_fma_f64 v[186:187], v[234:235], v[250:251], -v[186:187]
	v_fma_f64 v[214:215], v[236:237], v[250:251], v[214:215]
	ds_read2_b64 v[234:237], v1 offset0:88 offset1:89
	v_add_f64 v[66:67], v[66:67], -v[186:187]
	v_add_f64 v[68:69], v[68:69], -v[214:215]
	s_waitcnt lgkmcnt(0)
	v_mul_f64 v[186:187], v[236:237], v[188:189]
	v_mul_f64 v[214:215], v[234:235], v[188:189]
	v_fma_f64 v[186:187], v[234:235], v[250:251], -v[186:187]
	v_fma_f64 v[214:215], v[236:237], v[250:251], v[214:215]
	ds_read2_b64 v[234:237], v1 offset0:90 offset1:91
	v_add_f64 v[62:63], v[62:63], -v[186:187]
	v_add_f64 v[64:65], v[64:65], -v[214:215]
	s_waitcnt lgkmcnt(0)
	v_mul_f64 v[186:187], v[236:237], v[188:189]
	v_mul_f64 v[214:215], v[234:235], v[188:189]
	v_fma_f64 v[186:187], v[234:235], v[250:251], -v[186:187]
	v_fma_f64 v[214:215], v[236:237], v[250:251], v[214:215]
	ds_read2_b64 v[234:237], v1 offset0:92 offset1:93
	v_add_f64 v[58:59], v[58:59], -v[186:187]
	v_add_f64 v[60:61], v[60:61], -v[214:215]
	s_waitcnt lgkmcnt(0)
	v_mul_f64 v[186:187], v[236:237], v[188:189]
	v_mul_f64 v[214:215], v[234:235], v[188:189]
	v_fma_f64 v[186:187], v[234:235], v[250:251], -v[186:187]
	v_fma_f64 v[214:215], v[236:237], v[250:251], v[214:215]
	ds_read2_b64 v[234:237], v1 offset0:94 offset1:95
	v_add_f64 v[54:55], v[54:55], -v[186:187]
	v_add_f64 v[56:57], v[56:57], -v[214:215]
	s_waitcnt lgkmcnt(0)
	v_mul_f64 v[186:187], v[236:237], v[188:189]
	v_mul_f64 v[214:215], v[234:235], v[188:189]
	v_fma_f64 v[186:187], v[234:235], v[250:251], -v[186:187]
	v_fma_f64 v[214:215], v[236:237], v[250:251], v[214:215]
	ds_read2_b64 v[234:237], v1 offset0:96 offset1:97
	v_add_f64 v[50:51], v[50:51], -v[186:187]
	v_add_f64 v[52:53], v[52:53], -v[214:215]
	s_waitcnt lgkmcnt(0)
	v_mul_f64 v[186:187], v[236:237], v[188:189]
	v_mul_f64 v[214:215], v[234:235], v[188:189]
	v_fma_f64 v[186:187], v[234:235], v[250:251], -v[186:187]
	v_fma_f64 v[214:215], v[236:237], v[250:251], v[214:215]
	ds_read2_b64 v[234:237], v1 offset0:98 offset1:99
	v_add_f64 v[46:47], v[46:47], -v[186:187]
	v_add_f64 v[48:49], v[48:49], -v[214:215]
	s_waitcnt lgkmcnt(0)
	v_mul_f64 v[186:187], v[236:237], v[188:189]
	v_mul_f64 v[214:215], v[234:235], v[188:189]
	v_fma_f64 v[186:187], v[234:235], v[250:251], -v[186:187]
	v_fma_f64 v[214:215], v[236:237], v[250:251], v[214:215]
	ds_read2_b64 v[234:237], v1 offset0:100 offset1:101
	v_add_f64 v[42:43], v[42:43], -v[186:187]
	v_add_f64 v[44:45], v[44:45], -v[214:215]
	s_waitcnt lgkmcnt(0)
	v_mul_f64 v[186:187], v[236:237], v[188:189]
	v_mul_f64 v[214:215], v[234:235], v[188:189]
	v_fma_f64 v[186:187], v[234:235], v[250:251], -v[186:187]
	v_fma_f64 v[214:215], v[236:237], v[250:251], v[214:215]
	ds_read2_b64 v[234:237], v1 offset0:102 offset1:103
	v_add_f64 v[38:39], v[38:39], -v[186:187]
	v_add_f64 v[40:41], v[40:41], -v[214:215]
	s_waitcnt lgkmcnt(0)
	v_mul_f64 v[186:187], v[236:237], v[188:189]
	v_mul_f64 v[214:215], v[234:235], v[188:189]
	v_fma_f64 v[186:187], v[234:235], v[250:251], -v[186:187]
	v_fma_f64 v[214:215], v[236:237], v[250:251], v[214:215]
	ds_read2_b64 v[234:237], v1 offset0:104 offset1:105
	v_add_f64 v[34:35], v[34:35], -v[186:187]
	v_add_f64 v[36:37], v[36:37], -v[214:215]
	s_waitcnt lgkmcnt(0)
	v_mul_f64 v[186:187], v[236:237], v[188:189]
	v_mul_f64 v[214:215], v[234:235], v[188:189]
	v_fma_f64 v[186:187], v[234:235], v[250:251], -v[186:187]
	v_fma_f64 v[214:215], v[236:237], v[250:251], v[214:215]
	ds_read2_b64 v[234:237], v1 offset0:106 offset1:107
	v_add_f64 v[30:31], v[30:31], -v[186:187]
	v_add_f64 v[32:33], v[32:33], -v[214:215]
	s_waitcnt lgkmcnt(0)
	v_mul_f64 v[186:187], v[236:237], v[188:189]
	v_mul_f64 v[214:215], v[234:235], v[188:189]
	v_fma_f64 v[186:187], v[234:235], v[250:251], -v[186:187]
	v_fma_f64 v[214:215], v[236:237], v[250:251], v[214:215]
	ds_read2_b64 v[234:237], v1 offset0:108 offset1:109
	v_add_f64 v[26:27], v[26:27], -v[186:187]
	v_add_f64 v[28:29], v[28:29], -v[214:215]
	s_waitcnt lgkmcnt(0)
	v_mul_f64 v[186:187], v[236:237], v[188:189]
	v_mul_f64 v[214:215], v[234:235], v[188:189]
	v_fma_f64 v[186:187], v[234:235], v[250:251], -v[186:187]
	v_fma_f64 v[214:215], v[236:237], v[250:251], v[214:215]
	ds_read2_b64 v[234:237], v1 offset0:110 offset1:111
	v_add_f64 v[22:23], v[22:23], -v[186:187]
	v_add_f64 v[24:25], v[24:25], -v[214:215]
	s_waitcnt lgkmcnt(0)
	v_mul_f64 v[186:187], v[236:237], v[188:189]
	v_mul_f64 v[214:215], v[234:235], v[188:189]
	v_fma_f64 v[186:187], v[234:235], v[250:251], -v[186:187]
	v_fma_f64 v[214:215], v[236:237], v[250:251], v[214:215]
	ds_read2_b64 v[234:237], v1 offset0:112 offset1:113
	v_add_f64 v[18:19], v[18:19], -v[186:187]
	v_add_f64 v[20:21], v[20:21], -v[214:215]
	s_waitcnt lgkmcnt(0)
	v_mul_f64 v[186:187], v[236:237], v[188:189]
	v_mul_f64 v[214:215], v[234:235], v[188:189]
	v_fma_f64 v[186:187], v[234:235], v[250:251], -v[186:187]
	v_fma_f64 v[214:215], v[236:237], v[250:251], v[214:215]
	ds_read2_b64 v[234:237], v1 offset0:114 offset1:115
	v_add_f64 v[14:15], v[14:15], -v[186:187]
	v_add_f64 v[16:17], v[16:17], -v[214:215]
	s_waitcnt lgkmcnt(0)
	v_mul_f64 v[186:187], v[236:237], v[188:189]
	v_mul_f64 v[214:215], v[234:235], v[188:189]
	v_fma_f64 v[186:187], v[234:235], v[250:251], -v[186:187]
	v_fma_f64 v[214:215], v[236:237], v[250:251], v[214:215]
	ds_read2_b64 v[234:237], v1 offset0:116 offset1:117
	v_add_f64 v[10:11], v[10:11], -v[186:187]
	v_add_f64 v[12:13], v[12:13], -v[214:215]
	s_waitcnt lgkmcnt(0)
	v_mul_f64 v[186:187], v[236:237], v[188:189]
	v_mul_f64 v[214:215], v[234:235], v[188:189]
	v_fma_f64 v[186:187], v[234:235], v[250:251], -v[186:187]
	v_fma_f64 v[214:215], v[236:237], v[250:251], v[214:215]
	ds_read2_b64 v[234:237], v1 offset0:118 offset1:119
	v_add_f64 v[238:239], v[238:239], -v[186:187]
	v_add_f64 v[240:241], v[240:241], -v[214:215]
	s_waitcnt lgkmcnt(0)
	v_mul_f64 v[186:187], v[236:237], v[188:189]
	v_mul_f64 v[214:215], v[234:235], v[188:189]
	v_fma_f64 v[186:187], v[234:235], v[250:251], -v[186:187]
	v_fma_f64 v[214:215], v[236:237], v[250:251], v[214:215]
	v_add_f64 v[226:227], v[226:227], -v[186:187]
	v_add_f64 v[228:229], v[228:229], -v[214:215]
	v_mov_b32_e32 v186, v250
	v_mov_b32_e32 v187, v251
.LBB118_296:
	s_or_b32 exec_lo, exec_lo, s0
	v_lshl_add_u32 v214, v0, 4, v1
	s_barrier
	buffer_gl0_inv
	v_mov_b32_e32 v250, 14
	ds_write2_b64 v214, v[182:183], v[184:185] offset1:1
	s_waitcnt lgkmcnt(0)
	s_barrier
	buffer_gl0_inv
	ds_read2_b64 v[242:245], v1 offset0:28 offset1:29
	s_cmp_lt_i32 s8, 16
	s_cbranch_scc1 .LBB118_299
; %bb.297:
	v_add3_u32 v247, v246, 0, 0xf0
	v_mov_b32_e32 v250, 14
	s_mov_b32 s0, 15
	s_inst_prefetch 0x1
	.p2align	6
.LBB118_298:                            ; =>This Inner Loop Header: Depth=1
	s_waitcnt lgkmcnt(0)
	v_cmp_gt_f64_e32 vcc_lo, 0, v[242:243]
	v_xor_b32_e32 v214, 0x80000000, v243
	ds_read2_b64 v[234:237], v247 offset1:1
	v_xor_b32_e32 v216, 0x80000000, v245
	v_add_nc_u32_e32 v247, 16, v247
	s_waitcnt lgkmcnt(0)
	v_xor_b32_e32 v218, 0x80000000, v237
	v_cndmask_b32_e32 v215, v243, v214, vcc_lo
	v_cmp_gt_f64_e32 vcc_lo, 0, v[244:245]
	v_mov_b32_e32 v214, v242
	v_cndmask_b32_e32 v217, v245, v216, vcc_lo
	v_cmp_gt_f64_e32 vcc_lo, 0, v[234:235]
	v_mov_b32_e32 v216, v244
	v_add_f64 v[214:215], v[214:215], v[216:217]
	v_xor_b32_e32 v216, 0x80000000, v235
	v_cndmask_b32_e32 v217, v235, v216, vcc_lo
	v_cmp_gt_f64_e32 vcc_lo, 0, v[236:237]
	v_mov_b32_e32 v216, v234
	v_cndmask_b32_e32 v219, v237, v218, vcc_lo
	v_mov_b32_e32 v218, v236
	v_add_f64 v[216:217], v[216:217], v[218:219]
	v_cmp_lt_f64_e32 vcc_lo, v[214:215], v[216:217]
	v_cndmask_b32_e32 v243, v243, v235, vcc_lo
	v_cndmask_b32_e32 v242, v242, v234, vcc_lo
	;; [unrolled: 1-line block ×4, first 2 shown]
	v_cndmask_b32_e64 v250, v250, s0, vcc_lo
	s_add_i32 s0, s0, 1
	s_cmp_lg_u32 s8, s0
	s_cbranch_scc1 .LBB118_298
.LBB118_299:
	s_inst_prefetch 0x2
	s_waitcnt lgkmcnt(0)
	v_cmp_eq_f64_e32 vcc_lo, 0, v[242:243]
	v_cmp_eq_f64_e64 s0, 0, v[244:245]
	s_and_b32 s0, vcc_lo, s0
	s_and_saveexec_b32 s1, s0
	s_xor_b32 s0, exec_lo, s1
; %bb.300:
	v_cmp_ne_u32_e32 vcc_lo, 0, v255
	v_cndmask_b32_e32 v255, 15, v255, vcc_lo
; %bb.301:
	s_andn2_saveexec_b32 s0, s0
	s_cbranch_execz .LBB118_307
; %bb.302:
	v_cmp_ngt_f64_e64 s1, |v[242:243]|, |v[244:245]|
	s_and_saveexec_b32 s7, s1
	s_xor_b32 s1, exec_lo, s7
	s_cbranch_execz .LBB118_304
; %bb.303:
	v_div_scale_f64 v[214:215], null, v[244:245], v[244:245], v[242:243]
	v_div_scale_f64 v[220:221], vcc_lo, v[242:243], v[244:245], v[242:243]
	v_rcp_f64_e32 v[216:217], v[214:215]
	v_fma_f64 v[218:219], -v[214:215], v[216:217], 1.0
	v_fma_f64 v[216:217], v[216:217], v[218:219], v[216:217]
	v_fma_f64 v[218:219], -v[214:215], v[216:217], 1.0
	v_fma_f64 v[216:217], v[216:217], v[218:219], v[216:217]
	v_mul_f64 v[218:219], v[220:221], v[216:217]
	v_fma_f64 v[214:215], -v[214:215], v[218:219], v[220:221]
	v_div_fmas_f64 v[214:215], v[214:215], v[216:217], v[218:219]
	v_div_fixup_f64 v[214:215], v[214:215], v[244:245], v[242:243]
	v_fma_f64 v[216:217], v[242:243], v[214:215], v[244:245]
	v_div_scale_f64 v[218:219], null, v[216:217], v[216:217], 1.0
	v_rcp_f64_e32 v[220:221], v[218:219]
	v_fma_f64 v[222:223], -v[218:219], v[220:221], 1.0
	v_fma_f64 v[220:221], v[220:221], v[222:223], v[220:221]
	v_fma_f64 v[222:223], -v[218:219], v[220:221], 1.0
	v_fma_f64 v[220:221], v[220:221], v[222:223], v[220:221]
	v_div_scale_f64 v[222:223], vcc_lo, 1.0, v[216:217], 1.0
	v_mul_f64 v[224:225], v[222:223], v[220:221]
	v_fma_f64 v[218:219], -v[218:219], v[224:225], v[222:223]
	v_div_fmas_f64 v[218:219], v[218:219], v[220:221], v[224:225]
	v_div_fixup_f64 v[244:245], v[218:219], v[216:217], 1.0
	v_mul_f64 v[242:243], v[214:215], v[244:245]
	v_xor_b32_e32 v245, 0x80000000, v245
.LBB118_304:
	s_andn2_saveexec_b32 s1, s1
	s_cbranch_execz .LBB118_306
; %bb.305:
	v_div_scale_f64 v[214:215], null, v[242:243], v[242:243], v[244:245]
	v_div_scale_f64 v[220:221], vcc_lo, v[244:245], v[242:243], v[244:245]
	v_rcp_f64_e32 v[216:217], v[214:215]
	v_fma_f64 v[218:219], -v[214:215], v[216:217], 1.0
	v_fma_f64 v[216:217], v[216:217], v[218:219], v[216:217]
	v_fma_f64 v[218:219], -v[214:215], v[216:217], 1.0
	v_fma_f64 v[216:217], v[216:217], v[218:219], v[216:217]
	v_mul_f64 v[218:219], v[220:221], v[216:217]
	v_fma_f64 v[214:215], -v[214:215], v[218:219], v[220:221]
	v_div_fmas_f64 v[214:215], v[214:215], v[216:217], v[218:219]
	v_div_fixup_f64 v[214:215], v[214:215], v[242:243], v[244:245]
	v_fma_f64 v[216:217], v[244:245], v[214:215], v[242:243]
	v_div_scale_f64 v[218:219], null, v[216:217], v[216:217], 1.0
	v_rcp_f64_e32 v[220:221], v[218:219]
	v_fma_f64 v[222:223], -v[218:219], v[220:221], 1.0
	v_fma_f64 v[220:221], v[220:221], v[222:223], v[220:221]
	v_fma_f64 v[222:223], -v[218:219], v[220:221], 1.0
	v_fma_f64 v[220:221], v[220:221], v[222:223], v[220:221]
	v_div_scale_f64 v[222:223], vcc_lo, 1.0, v[216:217], 1.0
	v_mul_f64 v[224:225], v[222:223], v[220:221]
	v_fma_f64 v[218:219], -v[218:219], v[224:225], v[222:223]
	v_div_fmas_f64 v[218:219], v[218:219], v[220:221], v[224:225]
	v_div_fixup_f64 v[242:243], v[218:219], v[216:217], 1.0
	v_mul_f64 v[244:245], v[214:215], -v[242:243]
.LBB118_306:
	s_or_b32 exec_lo, exec_lo, s1
.LBB118_307:
	s_or_b32 exec_lo, exec_lo, s0
	s_mov_b32 s0, exec_lo
	v_cmpx_ne_u32_e64 v0, v250
	s_xor_b32 s0, exec_lo, s0
	s_cbranch_execz .LBB118_313
; %bb.308:
	s_mov_b32 s1, exec_lo
	v_cmpx_eq_u32_e32 14, v0
	s_cbranch_execz .LBB118_312
; %bb.309:
	v_cmp_ne_u32_e32 vcc_lo, 14, v250
	s_xor_b32 s7, s16, -1
	s_and_b32 s9, s7, vcc_lo
	s_and_saveexec_b32 s7, s9
	s_cbranch_execz .LBB118_311
; %bb.310:
	s_clause 0x1
	buffer_load_dword v210, off, s[20:23], 0 offset:16
	buffer_load_dword v211, off, s[20:23], 0 offset:20
	v_ashrrev_i32_e32 v251, 31, v250
	v_lshlrev_b64 v[214:215], 2, v[250:251]
	s_waitcnt vmcnt(1)
	v_add_co_u32 v214, vcc_lo, v210, v214
	s_waitcnt vmcnt(0)
	v_add_co_ci_u32_e64 v215, null, v211, v215, vcc_lo
	s_clause 0x1
	global_load_dword v0, v[214:215], off
	global_load_dword v216, v[210:211], off offset:56
	s_waitcnt vmcnt(1)
	global_store_dword v[210:211], v0, off offset:56
	s_waitcnt vmcnt(0)
	global_store_dword v[214:215], v216, off
.LBB118_311:
	s_or_b32 exec_lo, exec_lo, s7
	v_mov_b32_e32 v0, v250
	v_mov_b32_e32 v253, v250
.LBB118_312:
	s_or_b32 exec_lo, exec_lo, s1
.LBB118_313:
	s_andn2_saveexec_b32 s0, s0
	s_cbranch_execz .LBB118_315
; %bb.314:
	v_mov_b32_e32 v0, 14
	ds_write2_b64 v1, v[178:179], v[180:181] offset0:30 offset1:31
	ds_write2_b64 v1, v[174:175], v[176:177] offset0:32 offset1:33
	;; [unrolled: 1-line block ×45, first 2 shown]
.LBB118_315:
	s_or_b32 exec_lo, exec_lo, s0
	s_mov_b32 s0, exec_lo
	s_waitcnt lgkmcnt(0)
	s_waitcnt_vscnt null, 0x0
	s_barrier
	buffer_gl0_inv
	v_cmpx_lt_i32_e32 14, v0
	s_cbranch_execz .LBB118_317
; %bb.316:
	v_mul_f64 v[214:215], v[244:245], v[184:185]
	v_mul_f64 v[184:185], v[242:243], v[184:185]
	ds_read2_b64 v[234:237], v1 offset0:30 offset1:31
	v_fma_f64 v[250:251], v[242:243], v[182:183], -v[214:215]
	v_fma_f64 v[184:185], v[244:245], v[182:183], v[184:185]
	s_waitcnt lgkmcnt(0)
	v_mul_f64 v[182:183], v[236:237], v[184:185]
	v_mul_f64 v[214:215], v[234:235], v[184:185]
	v_fma_f64 v[182:183], v[234:235], v[250:251], -v[182:183]
	v_fma_f64 v[214:215], v[236:237], v[250:251], v[214:215]
	ds_read2_b64 v[234:237], v1 offset0:32 offset1:33
	v_add_f64 v[178:179], v[178:179], -v[182:183]
	v_add_f64 v[180:181], v[180:181], -v[214:215]
	s_waitcnt lgkmcnt(0)
	v_mul_f64 v[182:183], v[236:237], v[184:185]
	v_mul_f64 v[214:215], v[234:235], v[184:185]
	v_fma_f64 v[182:183], v[234:235], v[250:251], -v[182:183]
	v_fma_f64 v[214:215], v[236:237], v[250:251], v[214:215]
	ds_read2_b64 v[234:237], v1 offset0:34 offset1:35
	v_add_f64 v[174:175], v[174:175], -v[182:183]
	v_add_f64 v[176:177], v[176:177], -v[214:215]
	;; [unrolled: 8-line block ×44, first 2 shown]
	s_waitcnt lgkmcnt(0)
	v_mul_f64 v[182:183], v[236:237], v[184:185]
	v_mul_f64 v[214:215], v[234:235], v[184:185]
	v_fma_f64 v[182:183], v[234:235], v[250:251], -v[182:183]
	v_fma_f64 v[214:215], v[236:237], v[250:251], v[214:215]
	v_add_f64 v[226:227], v[226:227], -v[182:183]
	v_add_f64 v[228:229], v[228:229], -v[214:215]
	v_mov_b32_e32 v182, v250
	v_mov_b32_e32 v183, v251
.LBB118_317:
	s_or_b32 exec_lo, exec_lo, s0
	v_lshl_add_u32 v214, v0, 4, v1
	s_barrier
	buffer_gl0_inv
	v_mov_b32_e32 v250, 15
	ds_write2_b64 v214, v[178:179], v[180:181] offset1:1
	s_waitcnt lgkmcnt(0)
	s_barrier
	buffer_gl0_inv
	ds_read2_b64 v[242:245], v1 offset0:30 offset1:31
	s_cmp_lt_i32 s8, 17
	s_cbranch_scc1 .LBB118_320
; %bb.318:
	v_add3_u32 v247, v246, 0, 0x100
	v_mov_b32_e32 v250, 15
	s_mov_b32 s0, 16
	s_inst_prefetch 0x1
	.p2align	6
.LBB118_319:                            ; =>This Inner Loop Header: Depth=1
	s_waitcnt lgkmcnt(0)
	v_cmp_gt_f64_e32 vcc_lo, 0, v[242:243]
	v_xor_b32_e32 v214, 0x80000000, v243
	ds_read2_b64 v[234:237], v247 offset1:1
	v_xor_b32_e32 v216, 0x80000000, v245
	v_add_nc_u32_e32 v247, 16, v247
	s_waitcnt lgkmcnt(0)
	v_xor_b32_e32 v218, 0x80000000, v237
	v_cndmask_b32_e32 v215, v243, v214, vcc_lo
	v_cmp_gt_f64_e32 vcc_lo, 0, v[244:245]
	v_mov_b32_e32 v214, v242
	v_cndmask_b32_e32 v217, v245, v216, vcc_lo
	v_cmp_gt_f64_e32 vcc_lo, 0, v[234:235]
	v_mov_b32_e32 v216, v244
	v_add_f64 v[214:215], v[214:215], v[216:217]
	v_xor_b32_e32 v216, 0x80000000, v235
	v_cndmask_b32_e32 v217, v235, v216, vcc_lo
	v_cmp_gt_f64_e32 vcc_lo, 0, v[236:237]
	v_mov_b32_e32 v216, v234
	v_cndmask_b32_e32 v219, v237, v218, vcc_lo
	v_mov_b32_e32 v218, v236
	v_add_f64 v[216:217], v[216:217], v[218:219]
	v_cmp_lt_f64_e32 vcc_lo, v[214:215], v[216:217]
	v_cndmask_b32_e32 v243, v243, v235, vcc_lo
	v_cndmask_b32_e32 v242, v242, v234, vcc_lo
	;; [unrolled: 1-line block ×4, first 2 shown]
	v_cndmask_b32_e64 v250, v250, s0, vcc_lo
	s_add_i32 s0, s0, 1
	s_cmp_lg_u32 s8, s0
	s_cbranch_scc1 .LBB118_319
.LBB118_320:
	s_inst_prefetch 0x2
	s_waitcnt lgkmcnt(0)
	v_cmp_eq_f64_e32 vcc_lo, 0, v[242:243]
	v_cmp_eq_f64_e64 s0, 0, v[244:245]
	s_and_b32 s0, vcc_lo, s0
	s_and_saveexec_b32 s1, s0
	s_xor_b32 s0, exec_lo, s1
; %bb.321:
	v_cmp_ne_u32_e32 vcc_lo, 0, v255
	v_cndmask_b32_e32 v255, 16, v255, vcc_lo
; %bb.322:
	s_andn2_saveexec_b32 s0, s0
	s_cbranch_execz .LBB118_328
; %bb.323:
	v_cmp_ngt_f64_e64 s1, |v[242:243]|, |v[244:245]|
	s_and_saveexec_b32 s7, s1
	s_xor_b32 s1, exec_lo, s7
	s_cbranch_execz .LBB118_325
; %bb.324:
	v_div_scale_f64 v[214:215], null, v[244:245], v[244:245], v[242:243]
	v_div_scale_f64 v[220:221], vcc_lo, v[242:243], v[244:245], v[242:243]
	v_rcp_f64_e32 v[216:217], v[214:215]
	v_fma_f64 v[218:219], -v[214:215], v[216:217], 1.0
	v_fma_f64 v[216:217], v[216:217], v[218:219], v[216:217]
	v_fma_f64 v[218:219], -v[214:215], v[216:217], 1.0
	v_fma_f64 v[216:217], v[216:217], v[218:219], v[216:217]
	v_mul_f64 v[218:219], v[220:221], v[216:217]
	v_fma_f64 v[214:215], -v[214:215], v[218:219], v[220:221]
	v_div_fmas_f64 v[214:215], v[214:215], v[216:217], v[218:219]
	v_div_fixup_f64 v[214:215], v[214:215], v[244:245], v[242:243]
	v_fma_f64 v[216:217], v[242:243], v[214:215], v[244:245]
	v_div_scale_f64 v[218:219], null, v[216:217], v[216:217], 1.0
	v_rcp_f64_e32 v[220:221], v[218:219]
	v_fma_f64 v[222:223], -v[218:219], v[220:221], 1.0
	v_fma_f64 v[220:221], v[220:221], v[222:223], v[220:221]
	v_fma_f64 v[222:223], -v[218:219], v[220:221], 1.0
	v_fma_f64 v[220:221], v[220:221], v[222:223], v[220:221]
	v_div_scale_f64 v[222:223], vcc_lo, 1.0, v[216:217], 1.0
	v_mul_f64 v[224:225], v[222:223], v[220:221]
	v_fma_f64 v[218:219], -v[218:219], v[224:225], v[222:223]
	v_div_fmas_f64 v[218:219], v[218:219], v[220:221], v[224:225]
	v_div_fixup_f64 v[244:245], v[218:219], v[216:217], 1.0
	v_mul_f64 v[242:243], v[214:215], v[244:245]
	v_xor_b32_e32 v245, 0x80000000, v245
.LBB118_325:
	s_andn2_saveexec_b32 s1, s1
	s_cbranch_execz .LBB118_327
; %bb.326:
	v_div_scale_f64 v[214:215], null, v[242:243], v[242:243], v[244:245]
	v_div_scale_f64 v[220:221], vcc_lo, v[244:245], v[242:243], v[244:245]
	v_rcp_f64_e32 v[216:217], v[214:215]
	v_fma_f64 v[218:219], -v[214:215], v[216:217], 1.0
	v_fma_f64 v[216:217], v[216:217], v[218:219], v[216:217]
	v_fma_f64 v[218:219], -v[214:215], v[216:217], 1.0
	v_fma_f64 v[216:217], v[216:217], v[218:219], v[216:217]
	v_mul_f64 v[218:219], v[220:221], v[216:217]
	v_fma_f64 v[214:215], -v[214:215], v[218:219], v[220:221]
	v_div_fmas_f64 v[214:215], v[214:215], v[216:217], v[218:219]
	v_div_fixup_f64 v[214:215], v[214:215], v[242:243], v[244:245]
	v_fma_f64 v[216:217], v[244:245], v[214:215], v[242:243]
	v_div_scale_f64 v[218:219], null, v[216:217], v[216:217], 1.0
	v_rcp_f64_e32 v[220:221], v[218:219]
	v_fma_f64 v[222:223], -v[218:219], v[220:221], 1.0
	v_fma_f64 v[220:221], v[220:221], v[222:223], v[220:221]
	v_fma_f64 v[222:223], -v[218:219], v[220:221], 1.0
	v_fma_f64 v[220:221], v[220:221], v[222:223], v[220:221]
	v_div_scale_f64 v[222:223], vcc_lo, 1.0, v[216:217], 1.0
	v_mul_f64 v[224:225], v[222:223], v[220:221]
	v_fma_f64 v[218:219], -v[218:219], v[224:225], v[222:223]
	v_div_fmas_f64 v[218:219], v[218:219], v[220:221], v[224:225]
	v_div_fixup_f64 v[242:243], v[218:219], v[216:217], 1.0
	v_mul_f64 v[244:245], v[214:215], -v[242:243]
.LBB118_327:
	s_or_b32 exec_lo, exec_lo, s1
.LBB118_328:
	s_or_b32 exec_lo, exec_lo, s0
	s_mov_b32 s0, exec_lo
	v_cmpx_ne_u32_e64 v0, v250
	s_xor_b32 s0, exec_lo, s0
	s_cbranch_execz .LBB118_334
; %bb.329:
	s_mov_b32 s1, exec_lo
	v_cmpx_eq_u32_e32 15, v0
	s_cbranch_execz .LBB118_333
; %bb.330:
	v_cmp_ne_u32_e32 vcc_lo, 15, v250
	s_xor_b32 s7, s16, -1
	s_and_b32 s9, s7, vcc_lo
	s_and_saveexec_b32 s7, s9
	s_cbranch_execz .LBB118_332
; %bb.331:
	s_clause 0x1
	buffer_load_dword v210, off, s[20:23], 0 offset:16
	buffer_load_dword v211, off, s[20:23], 0 offset:20
	v_ashrrev_i32_e32 v251, 31, v250
	v_lshlrev_b64 v[214:215], 2, v[250:251]
	s_waitcnt vmcnt(1)
	v_add_co_u32 v214, vcc_lo, v210, v214
	s_waitcnt vmcnt(0)
	v_add_co_ci_u32_e64 v215, null, v211, v215, vcc_lo
	s_clause 0x1
	global_load_dword v0, v[214:215], off
	global_load_dword v216, v[210:211], off offset:60
	s_waitcnt vmcnt(1)
	global_store_dword v[210:211], v0, off offset:60
	s_waitcnt vmcnt(0)
	global_store_dword v[214:215], v216, off
.LBB118_332:
	s_or_b32 exec_lo, exec_lo, s7
	v_mov_b32_e32 v0, v250
	v_mov_b32_e32 v253, v250
.LBB118_333:
	s_or_b32 exec_lo, exec_lo, s1
.LBB118_334:
	s_andn2_saveexec_b32 s0, s0
	s_cbranch_execz .LBB118_336
; %bb.335:
	v_mov_b32_e32 v0, 15
	ds_write2_b64 v1, v[174:175], v[176:177] offset0:32 offset1:33
	ds_write2_b64 v1, v[170:171], v[172:173] offset0:34 offset1:35
	;; [unrolled: 1-line block ×44, first 2 shown]
.LBB118_336:
	s_or_b32 exec_lo, exec_lo, s0
	s_mov_b32 s0, exec_lo
	s_waitcnt lgkmcnt(0)
	s_waitcnt_vscnt null, 0x0
	s_barrier
	buffer_gl0_inv
	v_cmpx_lt_i32_e32 15, v0
	s_cbranch_execz .LBB118_338
; %bb.337:
	v_mul_f64 v[214:215], v[244:245], v[180:181]
	v_mul_f64 v[180:181], v[242:243], v[180:181]
	ds_read2_b64 v[234:237], v1 offset0:32 offset1:33
	v_fma_f64 v[250:251], v[242:243], v[178:179], -v[214:215]
	v_fma_f64 v[180:181], v[244:245], v[178:179], v[180:181]
	s_waitcnt lgkmcnt(0)
	v_mul_f64 v[178:179], v[236:237], v[180:181]
	v_mul_f64 v[214:215], v[234:235], v[180:181]
	v_fma_f64 v[178:179], v[234:235], v[250:251], -v[178:179]
	v_fma_f64 v[214:215], v[236:237], v[250:251], v[214:215]
	ds_read2_b64 v[234:237], v1 offset0:34 offset1:35
	v_add_f64 v[174:175], v[174:175], -v[178:179]
	v_add_f64 v[176:177], v[176:177], -v[214:215]
	s_waitcnt lgkmcnt(0)
	v_mul_f64 v[178:179], v[236:237], v[180:181]
	v_mul_f64 v[214:215], v[234:235], v[180:181]
	v_fma_f64 v[178:179], v[234:235], v[250:251], -v[178:179]
	v_fma_f64 v[214:215], v[236:237], v[250:251], v[214:215]
	ds_read2_b64 v[234:237], v1 offset0:36 offset1:37
	v_add_f64 v[170:171], v[170:171], -v[178:179]
	v_add_f64 v[172:173], v[172:173], -v[214:215]
	s_waitcnt lgkmcnt(0)
	v_mul_f64 v[178:179], v[236:237], v[180:181]
	v_mul_f64 v[214:215], v[234:235], v[180:181]
	v_fma_f64 v[178:179], v[234:235], v[250:251], -v[178:179]
	v_fma_f64 v[214:215], v[236:237], v[250:251], v[214:215]
	ds_read2_b64 v[234:237], v1 offset0:38 offset1:39
	v_add_f64 v[166:167], v[166:167], -v[178:179]
	v_add_f64 v[168:169], v[168:169], -v[214:215]
	s_waitcnt lgkmcnt(0)
	v_mul_f64 v[178:179], v[236:237], v[180:181]
	v_mul_f64 v[214:215], v[234:235], v[180:181]
	v_fma_f64 v[178:179], v[234:235], v[250:251], -v[178:179]
	v_fma_f64 v[214:215], v[236:237], v[250:251], v[214:215]
	ds_read2_b64 v[234:237], v1 offset0:40 offset1:41
	v_add_f64 v[162:163], v[162:163], -v[178:179]
	v_add_f64 v[164:165], v[164:165], -v[214:215]
	s_waitcnt lgkmcnt(0)
	v_mul_f64 v[178:179], v[236:237], v[180:181]
	v_mul_f64 v[214:215], v[234:235], v[180:181]
	v_fma_f64 v[178:179], v[234:235], v[250:251], -v[178:179]
	v_fma_f64 v[214:215], v[236:237], v[250:251], v[214:215]
	ds_read2_b64 v[234:237], v1 offset0:42 offset1:43
	v_add_f64 v[158:159], v[158:159], -v[178:179]
	v_add_f64 v[160:161], v[160:161], -v[214:215]
	s_waitcnt lgkmcnt(0)
	v_mul_f64 v[178:179], v[236:237], v[180:181]
	v_mul_f64 v[214:215], v[234:235], v[180:181]
	v_fma_f64 v[178:179], v[234:235], v[250:251], -v[178:179]
	v_fma_f64 v[214:215], v[236:237], v[250:251], v[214:215]
	ds_read2_b64 v[234:237], v1 offset0:44 offset1:45
	v_add_f64 v[154:155], v[154:155], -v[178:179]
	v_add_f64 v[156:157], v[156:157], -v[214:215]
	s_waitcnt lgkmcnt(0)
	v_mul_f64 v[178:179], v[236:237], v[180:181]
	v_mul_f64 v[214:215], v[234:235], v[180:181]
	v_fma_f64 v[178:179], v[234:235], v[250:251], -v[178:179]
	v_fma_f64 v[214:215], v[236:237], v[250:251], v[214:215]
	ds_read2_b64 v[234:237], v1 offset0:46 offset1:47
	v_add_f64 v[150:151], v[150:151], -v[178:179]
	v_add_f64 v[152:153], v[152:153], -v[214:215]
	s_waitcnt lgkmcnt(0)
	v_mul_f64 v[178:179], v[236:237], v[180:181]
	v_mul_f64 v[214:215], v[234:235], v[180:181]
	v_fma_f64 v[178:179], v[234:235], v[250:251], -v[178:179]
	v_fma_f64 v[214:215], v[236:237], v[250:251], v[214:215]
	ds_read2_b64 v[234:237], v1 offset0:48 offset1:49
	v_add_f64 v[146:147], v[146:147], -v[178:179]
	v_add_f64 v[148:149], v[148:149], -v[214:215]
	s_waitcnt lgkmcnt(0)
	v_mul_f64 v[178:179], v[236:237], v[180:181]
	v_mul_f64 v[214:215], v[234:235], v[180:181]
	v_fma_f64 v[178:179], v[234:235], v[250:251], -v[178:179]
	v_fma_f64 v[214:215], v[236:237], v[250:251], v[214:215]
	ds_read2_b64 v[234:237], v1 offset0:50 offset1:51
	v_add_f64 v[142:143], v[142:143], -v[178:179]
	v_add_f64 v[144:145], v[144:145], -v[214:215]
	s_waitcnt lgkmcnt(0)
	v_mul_f64 v[178:179], v[236:237], v[180:181]
	v_mul_f64 v[214:215], v[234:235], v[180:181]
	v_fma_f64 v[178:179], v[234:235], v[250:251], -v[178:179]
	v_fma_f64 v[214:215], v[236:237], v[250:251], v[214:215]
	ds_read2_b64 v[234:237], v1 offset0:52 offset1:53
	v_add_f64 v[138:139], v[138:139], -v[178:179]
	v_add_f64 v[140:141], v[140:141], -v[214:215]
	s_waitcnt lgkmcnt(0)
	v_mul_f64 v[178:179], v[236:237], v[180:181]
	v_mul_f64 v[214:215], v[234:235], v[180:181]
	v_fma_f64 v[178:179], v[234:235], v[250:251], -v[178:179]
	v_fma_f64 v[214:215], v[236:237], v[250:251], v[214:215]
	ds_read2_b64 v[234:237], v1 offset0:54 offset1:55
	v_add_f64 v[134:135], v[134:135], -v[178:179]
	v_add_f64 v[136:137], v[136:137], -v[214:215]
	s_waitcnt lgkmcnt(0)
	v_mul_f64 v[178:179], v[236:237], v[180:181]
	v_mul_f64 v[214:215], v[234:235], v[180:181]
	v_fma_f64 v[178:179], v[234:235], v[250:251], -v[178:179]
	v_fma_f64 v[214:215], v[236:237], v[250:251], v[214:215]
	ds_read2_b64 v[234:237], v1 offset0:56 offset1:57
	v_add_f64 v[130:131], v[130:131], -v[178:179]
	v_add_f64 v[132:133], v[132:133], -v[214:215]
	s_waitcnt lgkmcnt(0)
	v_mul_f64 v[178:179], v[236:237], v[180:181]
	v_mul_f64 v[214:215], v[234:235], v[180:181]
	v_fma_f64 v[178:179], v[234:235], v[250:251], -v[178:179]
	v_fma_f64 v[214:215], v[236:237], v[250:251], v[214:215]
	ds_read2_b64 v[234:237], v1 offset0:58 offset1:59
	v_add_f64 v[126:127], v[126:127], -v[178:179]
	v_add_f64 v[128:129], v[128:129], -v[214:215]
	s_waitcnt lgkmcnt(0)
	v_mul_f64 v[178:179], v[236:237], v[180:181]
	v_mul_f64 v[214:215], v[234:235], v[180:181]
	v_fma_f64 v[178:179], v[234:235], v[250:251], -v[178:179]
	v_fma_f64 v[214:215], v[236:237], v[250:251], v[214:215]
	ds_read2_b64 v[234:237], v1 offset0:60 offset1:61
	v_add_f64 v[122:123], v[122:123], -v[178:179]
	v_add_f64 v[124:125], v[124:125], -v[214:215]
	s_waitcnt lgkmcnt(0)
	v_mul_f64 v[178:179], v[236:237], v[180:181]
	v_mul_f64 v[214:215], v[234:235], v[180:181]
	v_fma_f64 v[178:179], v[234:235], v[250:251], -v[178:179]
	v_fma_f64 v[214:215], v[236:237], v[250:251], v[214:215]
	ds_read2_b64 v[234:237], v1 offset0:62 offset1:63
	v_add_f64 v[118:119], v[118:119], -v[178:179]
	v_add_f64 v[120:121], v[120:121], -v[214:215]
	s_waitcnt lgkmcnt(0)
	v_mul_f64 v[178:179], v[236:237], v[180:181]
	v_mul_f64 v[214:215], v[234:235], v[180:181]
	v_fma_f64 v[178:179], v[234:235], v[250:251], -v[178:179]
	v_fma_f64 v[214:215], v[236:237], v[250:251], v[214:215]
	ds_read2_b64 v[234:237], v1 offset0:64 offset1:65
	v_add_f64 v[114:115], v[114:115], -v[178:179]
	v_add_f64 v[116:117], v[116:117], -v[214:215]
	s_waitcnt lgkmcnt(0)
	v_mul_f64 v[178:179], v[236:237], v[180:181]
	v_mul_f64 v[214:215], v[234:235], v[180:181]
	v_fma_f64 v[178:179], v[234:235], v[250:251], -v[178:179]
	v_fma_f64 v[214:215], v[236:237], v[250:251], v[214:215]
	ds_read2_b64 v[234:237], v1 offset0:66 offset1:67
	v_add_f64 v[110:111], v[110:111], -v[178:179]
	v_add_f64 v[112:113], v[112:113], -v[214:215]
	s_waitcnt lgkmcnt(0)
	v_mul_f64 v[178:179], v[236:237], v[180:181]
	v_mul_f64 v[214:215], v[234:235], v[180:181]
	v_fma_f64 v[178:179], v[234:235], v[250:251], -v[178:179]
	v_fma_f64 v[214:215], v[236:237], v[250:251], v[214:215]
	ds_read2_b64 v[234:237], v1 offset0:68 offset1:69
	v_add_f64 v[106:107], v[106:107], -v[178:179]
	v_add_f64 v[108:109], v[108:109], -v[214:215]
	s_waitcnt lgkmcnt(0)
	v_mul_f64 v[178:179], v[236:237], v[180:181]
	v_mul_f64 v[214:215], v[234:235], v[180:181]
	v_fma_f64 v[178:179], v[234:235], v[250:251], -v[178:179]
	v_fma_f64 v[214:215], v[236:237], v[250:251], v[214:215]
	ds_read2_b64 v[234:237], v1 offset0:70 offset1:71
	v_add_f64 v[102:103], v[102:103], -v[178:179]
	v_add_f64 v[104:105], v[104:105], -v[214:215]
	s_waitcnt lgkmcnt(0)
	v_mul_f64 v[178:179], v[236:237], v[180:181]
	v_mul_f64 v[214:215], v[234:235], v[180:181]
	v_fma_f64 v[178:179], v[234:235], v[250:251], -v[178:179]
	v_fma_f64 v[214:215], v[236:237], v[250:251], v[214:215]
	ds_read2_b64 v[234:237], v1 offset0:72 offset1:73
	v_add_f64 v[98:99], v[98:99], -v[178:179]
	v_add_f64 v[100:101], v[100:101], -v[214:215]
	s_waitcnt lgkmcnt(0)
	v_mul_f64 v[178:179], v[236:237], v[180:181]
	v_mul_f64 v[214:215], v[234:235], v[180:181]
	v_fma_f64 v[178:179], v[234:235], v[250:251], -v[178:179]
	v_fma_f64 v[214:215], v[236:237], v[250:251], v[214:215]
	ds_read2_b64 v[234:237], v1 offset0:74 offset1:75
	v_add_f64 v[94:95], v[94:95], -v[178:179]
	v_add_f64 v[96:97], v[96:97], -v[214:215]
	s_waitcnt lgkmcnt(0)
	v_mul_f64 v[178:179], v[236:237], v[180:181]
	v_mul_f64 v[214:215], v[234:235], v[180:181]
	v_fma_f64 v[178:179], v[234:235], v[250:251], -v[178:179]
	v_fma_f64 v[214:215], v[236:237], v[250:251], v[214:215]
	ds_read2_b64 v[234:237], v1 offset0:76 offset1:77
	v_add_f64 v[90:91], v[90:91], -v[178:179]
	v_add_f64 v[92:93], v[92:93], -v[214:215]
	s_waitcnt lgkmcnt(0)
	v_mul_f64 v[178:179], v[236:237], v[180:181]
	v_mul_f64 v[214:215], v[234:235], v[180:181]
	v_fma_f64 v[178:179], v[234:235], v[250:251], -v[178:179]
	v_fma_f64 v[214:215], v[236:237], v[250:251], v[214:215]
	ds_read2_b64 v[234:237], v1 offset0:78 offset1:79
	v_add_f64 v[86:87], v[86:87], -v[178:179]
	v_add_f64 v[88:89], v[88:89], -v[214:215]
	s_waitcnt lgkmcnt(0)
	v_mul_f64 v[178:179], v[236:237], v[180:181]
	v_mul_f64 v[214:215], v[234:235], v[180:181]
	v_fma_f64 v[178:179], v[234:235], v[250:251], -v[178:179]
	v_fma_f64 v[214:215], v[236:237], v[250:251], v[214:215]
	ds_read2_b64 v[234:237], v1 offset0:80 offset1:81
	v_add_f64 v[82:83], v[82:83], -v[178:179]
	v_add_f64 v[84:85], v[84:85], -v[214:215]
	s_waitcnt lgkmcnt(0)
	v_mul_f64 v[178:179], v[236:237], v[180:181]
	v_mul_f64 v[214:215], v[234:235], v[180:181]
	v_fma_f64 v[178:179], v[234:235], v[250:251], -v[178:179]
	v_fma_f64 v[214:215], v[236:237], v[250:251], v[214:215]
	ds_read2_b64 v[234:237], v1 offset0:82 offset1:83
	v_add_f64 v[78:79], v[78:79], -v[178:179]
	v_add_f64 v[80:81], v[80:81], -v[214:215]
	s_waitcnt lgkmcnt(0)
	v_mul_f64 v[178:179], v[236:237], v[180:181]
	v_mul_f64 v[214:215], v[234:235], v[180:181]
	v_fma_f64 v[178:179], v[234:235], v[250:251], -v[178:179]
	v_fma_f64 v[214:215], v[236:237], v[250:251], v[214:215]
	ds_read2_b64 v[234:237], v1 offset0:84 offset1:85
	v_add_f64 v[74:75], v[74:75], -v[178:179]
	v_add_f64 v[76:77], v[76:77], -v[214:215]
	s_waitcnt lgkmcnt(0)
	v_mul_f64 v[178:179], v[236:237], v[180:181]
	v_mul_f64 v[214:215], v[234:235], v[180:181]
	v_fma_f64 v[178:179], v[234:235], v[250:251], -v[178:179]
	v_fma_f64 v[214:215], v[236:237], v[250:251], v[214:215]
	ds_read2_b64 v[234:237], v1 offset0:86 offset1:87
	v_add_f64 v[70:71], v[70:71], -v[178:179]
	v_add_f64 v[72:73], v[72:73], -v[214:215]
	s_waitcnt lgkmcnt(0)
	v_mul_f64 v[178:179], v[236:237], v[180:181]
	v_mul_f64 v[214:215], v[234:235], v[180:181]
	v_fma_f64 v[178:179], v[234:235], v[250:251], -v[178:179]
	v_fma_f64 v[214:215], v[236:237], v[250:251], v[214:215]
	ds_read2_b64 v[234:237], v1 offset0:88 offset1:89
	v_add_f64 v[66:67], v[66:67], -v[178:179]
	v_add_f64 v[68:69], v[68:69], -v[214:215]
	s_waitcnt lgkmcnt(0)
	v_mul_f64 v[178:179], v[236:237], v[180:181]
	v_mul_f64 v[214:215], v[234:235], v[180:181]
	v_fma_f64 v[178:179], v[234:235], v[250:251], -v[178:179]
	v_fma_f64 v[214:215], v[236:237], v[250:251], v[214:215]
	ds_read2_b64 v[234:237], v1 offset0:90 offset1:91
	v_add_f64 v[62:63], v[62:63], -v[178:179]
	v_add_f64 v[64:65], v[64:65], -v[214:215]
	s_waitcnt lgkmcnt(0)
	v_mul_f64 v[178:179], v[236:237], v[180:181]
	v_mul_f64 v[214:215], v[234:235], v[180:181]
	v_fma_f64 v[178:179], v[234:235], v[250:251], -v[178:179]
	v_fma_f64 v[214:215], v[236:237], v[250:251], v[214:215]
	ds_read2_b64 v[234:237], v1 offset0:92 offset1:93
	v_add_f64 v[58:59], v[58:59], -v[178:179]
	v_add_f64 v[60:61], v[60:61], -v[214:215]
	s_waitcnt lgkmcnt(0)
	v_mul_f64 v[178:179], v[236:237], v[180:181]
	v_mul_f64 v[214:215], v[234:235], v[180:181]
	v_fma_f64 v[178:179], v[234:235], v[250:251], -v[178:179]
	v_fma_f64 v[214:215], v[236:237], v[250:251], v[214:215]
	ds_read2_b64 v[234:237], v1 offset0:94 offset1:95
	v_add_f64 v[54:55], v[54:55], -v[178:179]
	v_add_f64 v[56:57], v[56:57], -v[214:215]
	s_waitcnt lgkmcnt(0)
	v_mul_f64 v[178:179], v[236:237], v[180:181]
	v_mul_f64 v[214:215], v[234:235], v[180:181]
	v_fma_f64 v[178:179], v[234:235], v[250:251], -v[178:179]
	v_fma_f64 v[214:215], v[236:237], v[250:251], v[214:215]
	ds_read2_b64 v[234:237], v1 offset0:96 offset1:97
	v_add_f64 v[50:51], v[50:51], -v[178:179]
	v_add_f64 v[52:53], v[52:53], -v[214:215]
	s_waitcnt lgkmcnt(0)
	v_mul_f64 v[178:179], v[236:237], v[180:181]
	v_mul_f64 v[214:215], v[234:235], v[180:181]
	v_fma_f64 v[178:179], v[234:235], v[250:251], -v[178:179]
	v_fma_f64 v[214:215], v[236:237], v[250:251], v[214:215]
	ds_read2_b64 v[234:237], v1 offset0:98 offset1:99
	v_add_f64 v[46:47], v[46:47], -v[178:179]
	v_add_f64 v[48:49], v[48:49], -v[214:215]
	s_waitcnt lgkmcnt(0)
	v_mul_f64 v[178:179], v[236:237], v[180:181]
	v_mul_f64 v[214:215], v[234:235], v[180:181]
	v_fma_f64 v[178:179], v[234:235], v[250:251], -v[178:179]
	v_fma_f64 v[214:215], v[236:237], v[250:251], v[214:215]
	ds_read2_b64 v[234:237], v1 offset0:100 offset1:101
	v_add_f64 v[42:43], v[42:43], -v[178:179]
	v_add_f64 v[44:45], v[44:45], -v[214:215]
	s_waitcnt lgkmcnt(0)
	v_mul_f64 v[178:179], v[236:237], v[180:181]
	v_mul_f64 v[214:215], v[234:235], v[180:181]
	v_fma_f64 v[178:179], v[234:235], v[250:251], -v[178:179]
	v_fma_f64 v[214:215], v[236:237], v[250:251], v[214:215]
	ds_read2_b64 v[234:237], v1 offset0:102 offset1:103
	v_add_f64 v[38:39], v[38:39], -v[178:179]
	v_add_f64 v[40:41], v[40:41], -v[214:215]
	s_waitcnt lgkmcnt(0)
	v_mul_f64 v[178:179], v[236:237], v[180:181]
	v_mul_f64 v[214:215], v[234:235], v[180:181]
	v_fma_f64 v[178:179], v[234:235], v[250:251], -v[178:179]
	v_fma_f64 v[214:215], v[236:237], v[250:251], v[214:215]
	ds_read2_b64 v[234:237], v1 offset0:104 offset1:105
	v_add_f64 v[34:35], v[34:35], -v[178:179]
	v_add_f64 v[36:37], v[36:37], -v[214:215]
	s_waitcnt lgkmcnt(0)
	v_mul_f64 v[178:179], v[236:237], v[180:181]
	v_mul_f64 v[214:215], v[234:235], v[180:181]
	v_fma_f64 v[178:179], v[234:235], v[250:251], -v[178:179]
	v_fma_f64 v[214:215], v[236:237], v[250:251], v[214:215]
	ds_read2_b64 v[234:237], v1 offset0:106 offset1:107
	v_add_f64 v[30:31], v[30:31], -v[178:179]
	v_add_f64 v[32:33], v[32:33], -v[214:215]
	s_waitcnt lgkmcnt(0)
	v_mul_f64 v[178:179], v[236:237], v[180:181]
	v_mul_f64 v[214:215], v[234:235], v[180:181]
	v_fma_f64 v[178:179], v[234:235], v[250:251], -v[178:179]
	v_fma_f64 v[214:215], v[236:237], v[250:251], v[214:215]
	ds_read2_b64 v[234:237], v1 offset0:108 offset1:109
	v_add_f64 v[26:27], v[26:27], -v[178:179]
	v_add_f64 v[28:29], v[28:29], -v[214:215]
	s_waitcnt lgkmcnt(0)
	v_mul_f64 v[178:179], v[236:237], v[180:181]
	v_mul_f64 v[214:215], v[234:235], v[180:181]
	v_fma_f64 v[178:179], v[234:235], v[250:251], -v[178:179]
	v_fma_f64 v[214:215], v[236:237], v[250:251], v[214:215]
	ds_read2_b64 v[234:237], v1 offset0:110 offset1:111
	v_add_f64 v[22:23], v[22:23], -v[178:179]
	v_add_f64 v[24:25], v[24:25], -v[214:215]
	s_waitcnt lgkmcnt(0)
	v_mul_f64 v[178:179], v[236:237], v[180:181]
	v_mul_f64 v[214:215], v[234:235], v[180:181]
	v_fma_f64 v[178:179], v[234:235], v[250:251], -v[178:179]
	v_fma_f64 v[214:215], v[236:237], v[250:251], v[214:215]
	ds_read2_b64 v[234:237], v1 offset0:112 offset1:113
	v_add_f64 v[18:19], v[18:19], -v[178:179]
	v_add_f64 v[20:21], v[20:21], -v[214:215]
	s_waitcnt lgkmcnt(0)
	v_mul_f64 v[178:179], v[236:237], v[180:181]
	v_mul_f64 v[214:215], v[234:235], v[180:181]
	v_fma_f64 v[178:179], v[234:235], v[250:251], -v[178:179]
	v_fma_f64 v[214:215], v[236:237], v[250:251], v[214:215]
	ds_read2_b64 v[234:237], v1 offset0:114 offset1:115
	v_add_f64 v[14:15], v[14:15], -v[178:179]
	v_add_f64 v[16:17], v[16:17], -v[214:215]
	s_waitcnt lgkmcnt(0)
	v_mul_f64 v[178:179], v[236:237], v[180:181]
	v_mul_f64 v[214:215], v[234:235], v[180:181]
	v_fma_f64 v[178:179], v[234:235], v[250:251], -v[178:179]
	v_fma_f64 v[214:215], v[236:237], v[250:251], v[214:215]
	ds_read2_b64 v[234:237], v1 offset0:116 offset1:117
	v_add_f64 v[10:11], v[10:11], -v[178:179]
	v_add_f64 v[12:13], v[12:13], -v[214:215]
	s_waitcnt lgkmcnt(0)
	v_mul_f64 v[178:179], v[236:237], v[180:181]
	v_mul_f64 v[214:215], v[234:235], v[180:181]
	v_fma_f64 v[178:179], v[234:235], v[250:251], -v[178:179]
	v_fma_f64 v[214:215], v[236:237], v[250:251], v[214:215]
	ds_read2_b64 v[234:237], v1 offset0:118 offset1:119
	v_add_f64 v[238:239], v[238:239], -v[178:179]
	v_add_f64 v[240:241], v[240:241], -v[214:215]
	s_waitcnt lgkmcnt(0)
	v_mul_f64 v[178:179], v[236:237], v[180:181]
	v_mul_f64 v[214:215], v[234:235], v[180:181]
	v_fma_f64 v[178:179], v[234:235], v[250:251], -v[178:179]
	v_fma_f64 v[214:215], v[236:237], v[250:251], v[214:215]
	v_add_f64 v[226:227], v[226:227], -v[178:179]
	v_add_f64 v[228:229], v[228:229], -v[214:215]
	v_mov_b32_e32 v178, v250
	v_mov_b32_e32 v179, v251
.LBB118_338:
	s_or_b32 exec_lo, exec_lo, s0
	v_lshl_add_u32 v214, v0, 4, v1
	s_barrier
	buffer_gl0_inv
	v_mov_b32_e32 v250, 16
	ds_write2_b64 v214, v[174:175], v[176:177] offset1:1
	s_waitcnt lgkmcnt(0)
	s_barrier
	buffer_gl0_inv
	ds_read2_b64 v[242:245], v1 offset0:32 offset1:33
	s_cmp_lt_i32 s8, 18
	s_cbranch_scc1 .LBB118_341
; %bb.339:
	v_add3_u32 v247, v246, 0, 0x110
	v_mov_b32_e32 v250, 16
	s_mov_b32 s0, 17
	s_inst_prefetch 0x1
	.p2align	6
.LBB118_340:                            ; =>This Inner Loop Header: Depth=1
	s_waitcnt lgkmcnt(0)
	v_cmp_gt_f64_e32 vcc_lo, 0, v[242:243]
	v_xor_b32_e32 v214, 0x80000000, v243
	ds_read2_b64 v[234:237], v247 offset1:1
	v_xor_b32_e32 v216, 0x80000000, v245
	v_add_nc_u32_e32 v247, 16, v247
	s_waitcnt lgkmcnt(0)
	v_xor_b32_e32 v218, 0x80000000, v237
	v_cndmask_b32_e32 v215, v243, v214, vcc_lo
	v_cmp_gt_f64_e32 vcc_lo, 0, v[244:245]
	v_mov_b32_e32 v214, v242
	v_cndmask_b32_e32 v217, v245, v216, vcc_lo
	v_cmp_gt_f64_e32 vcc_lo, 0, v[234:235]
	v_mov_b32_e32 v216, v244
	v_add_f64 v[214:215], v[214:215], v[216:217]
	v_xor_b32_e32 v216, 0x80000000, v235
	v_cndmask_b32_e32 v217, v235, v216, vcc_lo
	v_cmp_gt_f64_e32 vcc_lo, 0, v[236:237]
	v_mov_b32_e32 v216, v234
	v_cndmask_b32_e32 v219, v237, v218, vcc_lo
	v_mov_b32_e32 v218, v236
	v_add_f64 v[216:217], v[216:217], v[218:219]
	v_cmp_lt_f64_e32 vcc_lo, v[214:215], v[216:217]
	v_cndmask_b32_e32 v243, v243, v235, vcc_lo
	v_cndmask_b32_e32 v242, v242, v234, vcc_lo
	;; [unrolled: 1-line block ×4, first 2 shown]
	v_cndmask_b32_e64 v250, v250, s0, vcc_lo
	s_add_i32 s0, s0, 1
	s_cmp_lg_u32 s8, s0
	s_cbranch_scc1 .LBB118_340
.LBB118_341:
	s_inst_prefetch 0x2
	s_waitcnt lgkmcnt(0)
	v_cmp_eq_f64_e32 vcc_lo, 0, v[242:243]
	v_cmp_eq_f64_e64 s0, 0, v[244:245]
	s_and_b32 s0, vcc_lo, s0
	s_and_saveexec_b32 s1, s0
	s_xor_b32 s0, exec_lo, s1
; %bb.342:
	v_cmp_ne_u32_e32 vcc_lo, 0, v255
	v_cndmask_b32_e32 v255, 17, v255, vcc_lo
; %bb.343:
	s_andn2_saveexec_b32 s0, s0
	s_cbranch_execz .LBB118_349
; %bb.344:
	v_cmp_ngt_f64_e64 s1, |v[242:243]|, |v[244:245]|
	s_and_saveexec_b32 s7, s1
	s_xor_b32 s1, exec_lo, s7
	s_cbranch_execz .LBB118_346
; %bb.345:
	v_div_scale_f64 v[214:215], null, v[244:245], v[244:245], v[242:243]
	v_div_scale_f64 v[220:221], vcc_lo, v[242:243], v[244:245], v[242:243]
	v_rcp_f64_e32 v[216:217], v[214:215]
	v_fma_f64 v[218:219], -v[214:215], v[216:217], 1.0
	v_fma_f64 v[216:217], v[216:217], v[218:219], v[216:217]
	v_fma_f64 v[218:219], -v[214:215], v[216:217], 1.0
	v_fma_f64 v[216:217], v[216:217], v[218:219], v[216:217]
	v_mul_f64 v[218:219], v[220:221], v[216:217]
	v_fma_f64 v[214:215], -v[214:215], v[218:219], v[220:221]
	v_div_fmas_f64 v[214:215], v[214:215], v[216:217], v[218:219]
	v_div_fixup_f64 v[214:215], v[214:215], v[244:245], v[242:243]
	v_fma_f64 v[216:217], v[242:243], v[214:215], v[244:245]
	v_div_scale_f64 v[218:219], null, v[216:217], v[216:217], 1.0
	v_rcp_f64_e32 v[220:221], v[218:219]
	v_fma_f64 v[222:223], -v[218:219], v[220:221], 1.0
	v_fma_f64 v[220:221], v[220:221], v[222:223], v[220:221]
	v_fma_f64 v[222:223], -v[218:219], v[220:221], 1.0
	v_fma_f64 v[220:221], v[220:221], v[222:223], v[220:221]
	v_div_scale_f64 v[222:223], vcc_lo, 1.0, v[216:217], 1.0
	v_mul_f64 v[224:225], v[222:223], v[220:221]
	v_fma_f64 v[218:219], -v[218:219], v[224:225], v[222:223]
	v_div_fmas_f64 v[218:219], v[218:219], v[220:221], v[224:225]
	v_div_fixup_f64 v[244:245], v[218:219], v[216:217], 1.0
	v_mul_f64 v[242:243], v[214:215], v[244:245]
	v_xor_b32_e32 v245, 0x80000000, v245
.LBB118_346:
	s_andn2_saveexec_b32 s1, s1
	s_cbranch_execz .LBB118_348
; %bb.347:
	v_div_scale_f64 v[214:215], null, v[242:243], v[242:243], v[244:245]
	v_div_scale_f64 v[220:221], vcc_lo, v[244:245], v[242:243], v[244:245]
	v_rcp_f64_e32 v[216:217], v[214:215]
	v_fma_f64 v[218:219], -v[214:215], v[216:217], 1.0
	v_fma_f64 v[216:217], v[216:217], v[218:219], v[216:217]
	v_fma_f64 v[218:219], -v[214:215], v[216:217], 1.0
	v_fma_f64 v[216:217], v[216:217], v[218:219], v[216:217]
	v_mul_f64 v[218:219], v[220:221], v[216:217]
	v_fma_f64 v[214:215], -v[214:215], v[218:219], v[220:221]
	v_div_fmas_f64 v[214:215], v[214:215], v[216:217], v[218:219]
	v_div_fixup_f64 v[214:215], v[214:215], v[242:243], v[244:245]
	v_fma_f64 v[216:217], v[244:245], v[214:215], v[242:243]
	v_div_scale_f64 v[218:219], null, v[216:217], v[216:217], 1.0
	v_rcp_f64_e32 v[220:221], v[218:219]
	v_fma_f64 v[222:223], -v[218:219], v[220:221], 1.0
	v_fma_f64 v[220:221], v[220:221], v[222:223], v[220:221]
	v_fma_f64 v[222:223], -v[218:219], v[220:221], 1.0
	v_fma_f64 v[220:221], v[220:221], v[222:223], v[220:221]
	v_div_scale_f64 v[222:223], vcc_lo, 1.0, v[216:217], 1.0
	v_mul_f64 v[224:225], v[222:223], v[220:221]
	v_fma_f64 v[218:219], -v[218:219], v[224:225], v[222:223]
	v_div_fmas_f64 v[218:219], v[218:219], v[220:221], v[224:225]
	v_div_fixup_f64 v[242:243], v[218:219], v[216:217], 1.0
	v_mul_f64 v[244:245], v[214:215], -v[242:243]
.LBB118_348:
	s_or_b32 exec_lo, exec_lo, s1
.LBB118_349:
	s_or_b32 exec_lo, exec_lo, s0
	s_mov_b32 s0, exec_lo
	v_cmpx_ne_u32_e64 v0, v250
	s_xor_b32 s0, exec_lo, s0
	s_cbranch_execz .LBB118_355
; %bb.350:
	s_mov_b32 s1, exec_lo
	v_cmpx_eq_u32_e32 16, v0
	s_cbranch_execz .LBB118_354
; %bb.351:
	v_cmp_ne_u32_e32 vcc_lo, 16, v250
	s_xor_b32 s7, s16, -1
	s_and_b32 s9, s7, vcc_lo
	s_and_saveexec_b32 s7, s9
	s_cbranch_execz .LBB118_353
; %bb.352:
	s_clause 0x1
	buffer_load_dword v210, off, s[20:23], 0 offset:16
	buffer_load_dword v211, off, s[20:23], 0 offset:20
	v_ashrrev_i32_e32 v251, 31, v250
	v_lshlrev_b64 v[214:215], 2, v[250:251]
	s_waitcnt vmcnt(1)
	v_add_co_u32 v214, vcc_lo, v210, v214
	s_waitcnt vmcnt(0)
	v_add_co_ci_u32_e64 v215, null, v211, v215, vcc_lo
	s_clause 0x1
	global_load_dword v0, v[214:215], off
	global_load_dword v216, v[210:211], off offset:64
	s_waitcnt vmcnt(1)
	global_store_dword v[210:211], v0, off offset:64
	s_waitcnt vmcnt(0)
	global_store_dword v[214:215], v216, off
.LBB118_353:
	s_or_b32 exec_lo, exec_lo, s7
	v_mov_b32_e32 v0, v250
	v_mov_b32_e32 v253, v250
.LBB118_354:
	s_or_b32 exec_lo, exec_lo, s1
.LBB118_355:
	s_andn2_saveexec_b32 s0, s0
	s_cbranch_execz .LBB118_357
; %bb.356:
	v_mov_b32_e32 v0, 16
	ds_write2_b64 v1, v[170:171], v[172:173] offset0:34 offset1:35
	ds_write2_b64 v1, v[166:167], v[168:169] offset0:36 offset1:37
	;; [unrolled: 1-line block ×43, first 2 shown]
.LBB118_357:
	s_or_b32 exec_lo, exec_lo, s0
	s_mov_b32 s0, exec_lo
	s_waitcnt lgkmcnt(0)
	s_waitcnt_vscnt null, 0x0
	s_barrier
	buffer_gl0_inv
	v_cmpx_lt_i32_e32 16, v0
	s_cbranch_execz .LBB118_359
; %bb.358:
	v_mul_f64 v[214:215], v[244:245], v[176:177]
	v_mul_f64 v[176:177], v[242:243], v[176:177]
	ds_read2_b64 v[234:237], v1 offset0:34 offset1:35
	v_fma_f64 v[250:251], v[242:243], v[174:175], -v[214:215]
	v_fma_f64 v[176:177], v[244:245], v[174:175], v[176:177]
	s_waitcnt lgkmcnt(0)
	v_mul_f64 v[174:175], v[236:237], v[176:177]
	v_mul_f64 v[214:215], v[234:235], v[176:177]
	v_fma_f64 v[174:175], v[234:235], v[250:251], -v[174:175]
	v_fma_f64 v[214:215], v[236:237], v[250:251], v[214:215]
	ds_read2_b64 v[234:237], v1 offset0:36 offset1:37
	v_add_f64 v[170:171], v[170:171], -v[174:175]
	v_add_f64 v[172:173], v[172:173], -v[214:215]
	s_waitcnt lgkmcnt(0)
	v_mul_f64 v[174:175], v[236:237], v[176:177]
	v_mul_f64 v[214:215], v[234:235], v[176:177]
	v_fma_f64 v[174:175], v[234:235], v[250:251], -v[174:175]
	v_fma_f64 v[214:215], v[236:237], v[250:251], v[214:215]
	ds_read2_b64 v[234:237], v1 offset0:38 offset1:39
	v_add_f64 v[166:167], v[166:167], -v[174:175]
	v_add_f64 v[168:169], v[168:169], -v[214:215]
	;; [unrolled: 8-line block ×42, first 2 shown]
	s_waitcnt lgkmcnt(0)
	v_mul_f64 v[174:175], v[236:237], v[176:177]
	v_mul_f64 v[214:215], v[234:235], v[176:177]
	v_fma_f64 v[174:175], v[234:235], v[250:251], -v[174:175]
	v_fma_f64 v[214:215], v[236:237], v[250:251], v[214:215]
	v_add_f64 v[226:227], v[226:227], -v[174:175]
	v_add_f64 v[228:229], v[228:229], -v[214:215]
	v_mov_b32_e32 v174, v250
	v_mov_b32_e32 v175, v251
.LBB118_359:
	s_or_b32 exec_lo, exec_lo, s0
	v_lshl_add_u32 v214, v0, 4, v1
	s_barrier
	buffer_gl0_inv
	v_mov_b32_e32 v250, 17
	ds_write2_b64 v214, v[170:171], v[172:173] offset1:1
	s_waitcnt lgkmcnt(0)
	s_barrier
	buffer_gl0_inv
	ds_read2_b64 v[242:245], v1 offset0:34 offset1:35
	s_cmp_lt_i32 s8, 19
	s_cbranch_scc1 .LBB118_362
; %bb.360:
	v_add3_u32 v247, v246, 0, 0x120
	v_mov_b32_e32 v250, 17
	s_mov_b32 s0, 18
	s_inst_prefetch 0x1
	.p2align	6
.LBB118_361:                            ; =>This Inner Loop Header: Depth=1
	s_waitcnt lgkmcnt(0)
	v_cmp_gt_f64_e32 vcc_lo, 0, v[242:243]
	v_xor_b32_e32 v214, 0x80000000, v243
	ds_read2_b64 v[234:237], v247 offset1:1
	v_xor_b32_e32 v216, 0x80000000, v245
	v_add_nc_u32_e32 v247, 16, v247
	s_waitcnt lgkmcnt(0)
	v_xor_b32_e32 v218, 0x80000000, v237
	v_cndmask_b32_e32 v215, v243, v214, vcc_lo
	v_cmp_gt_f64_e32 vcc_lo, 0, v[244:245]
	v_mov_b32_e32 v214, v242
	v_cndmask_b32_e32 v217, v245, v216, vcc_lo
	v_cmp_gt_f64_e32 vcc_lo, 0, v[234:235]
	v_mov_b32_e32 v216, v244
	v_add_f64 v[214:215], v[214:215], v[216:217]
	v_xor_b32_e32 v216, 0x80000000, v235
	v_cndmask_b32_e32 v217, v235, v216, vcc_lo
	v_cmp_gt_f64_e32 vcc_lo, 0, v[236:237]
	v_mov_b32_e32 v216, v234
	v_cndmask_b32_e32 v219, v237, v218, vcc_lo
	v_mov_b32_e32 v218, v236
	v_add_f64 v[216:217], v[216:217], v[218:219]
	v_cmp_lt_f64_e32 vcc_lo, v[214:215], v[216:217]
	v_cndmask_b32_e32 v243, v243, v235, vcc_lo
	v_cndmask_b32_e32 v242, v242, v234, vcc_lo
	;; [unrolled: 1-line block ×4, first 2 shown]
	v_cndmask_b32_e64 v250, v250, s0, vcc_lo
	s_add_i32 s0, s0, 1
	s_cmp_lg_u32 s8, s0
	s_cbranch_scc1 .LBB118_361
.LBB118_362:
	s_inst_prefetch 0x2
	s_waitcnt lgkmcnt(0)
	v_cmp_eq_f64_e32 vcc_lo, 0, v[242:243]
	v_cmp_eq_f64_e64 s0, 0, v[244:245]
	s_and_b32 s0, vcc_lo, s0
	s_and_saveexec_b32 s1, s0
	s_xor_b32 s0, exec_lo, s1
; %bb.363:
	v_cmp_ne_u32_e32 vcc_lo, 0, v255
	v_cndmask_b32_e32 v255, 18, v255, vcc_lo
; %bb.364:
	s_andn2_saveexec_b32 s0, s0
	s_cbranch_execz .LBB118_370
; %bb.365:
	v_cmp_ngt_f64_e64 s1, |v[242:243]|, |v[244:245]|
	s_and_saveexec_b32 s7, s1
	s_xor_b32 s1, exec_lo, s7
	s_cbranch_execz .LBB118_367
; %bb.366:
	v_div_scale_f64 v[214:215], null, v[244:245], v[244:245], v[242:243]
	v_div_scale_f64 v[220:221], vcc_lo, v[242:243], v[244:245], v[242:243]
	v_rcp_f64_e32 v[216:217], v[214:215]
	v_fma_f64 v[218:219], -v[214:215], v[216:217], 1.0
	v_fma_f64 v[216:217], v[216:217], v[218:219], v[216:217]
	v_fma_f64 v[218:219], -v[214:215], v[216:217], 1.0
	v_fma_f64 v[216:217], v[216:217], v[218:219], v[216:217]
	v_mul_f64 v[218:219], v[220:221], v[216:217]
	v_fma_f64 v[214:215], -v[214:215], v[218:219], v[220:221]
	v_div_fmas_f64 v[214:215], v[214:215], v[216:217], v[218:219]
	v_div_fixup_f64 v[214:215], v[214:215], v[244:245], v[242:243]
	v_fma_f64 v[216:217], v[242:243], v[214:215], v[244:245]
	v_div_scale_f64 v[218:219], null, v[216:217], v[216:217], 1.0
	v_rcp_f64_e32 v[220:221], v[218:219]
	v_fma_f64 v[222:223], -v[218:219], v[220:221], 1.0
	v_fma_f64 v[220:221], v[220:221], v[222:223], v[220:221]
	v_fma_f64 v[222:223], -v[218:219], v[220:221], 1.0
	v_fma_f64 v[220:221], v[220:221], v[222:223], v[220:221]
	v_div_scale_f64 v[222:223], vcc_lo, 1.0, v[216:217], 1.0
	v_mul_f64 v[224:225], v[222:223], v[220:221]
	v_fma_f64 v[218:219], -v[218:219], v[224:225], v[222:223]
	v_div_fmas_f64 v[218:219], v[218:219], v[220:221], v[224:225]
	v_div_fixup_f64 v[244:245], v[218:219], v[216:217], 1.0
	v_mul_f64 v[242:243], v[214:215], v[244:245]
	v_xor_b32_e32 v245, 0x80000000, v245
.LBB118_367:
	s_andn2_saveexec_b32 s1, s1
	s_cbranch_execz .LBB118_369
; %bb.368:
	v_div_scale_f64 v[214:215], null, v[242:243], v[242:243], v[244:245]
	v_div_scale_f64 v[220:221], vcc_lo, v[244:245], v[242:243], v[244:245]
	v_rcp_f64_e32 v[216:217], v[214:215]
	v_fma_f64 v[218:219], -v[214:215], v[216:217], 1.0
	v_fma_f64 v[216:217], v[216:217], v[218:219], v[216:217]
	v_fma_f64 v[218:219], -v[214:215], v[216:217], 1.0
	v_fma_f64 v[216:217], v[216:217], v[218:219], v[216:217]
	v_mul_f64 v[218:219], v[220:221], v[216:217]
	v_fma_f64 v[214:215], -v[214:215], v[218:219], v[220:221]
	v_div_fmas_f64 v[214:215], v[214:215], v[216:217], v[218:219]
	v_div_fixup_f64 v[214:215], v[214:215], v[242:243], v[244:245]
	v_fma_f64 v[216:217], v[244:245], v[214:215], v[242:243]
	v_div_scale_f64 v[218:219], null, v[216:217], v[216:217], 1.0
	v_rcp_f64_e32 v[220:221], v[218:219]
	v_fma_f64 v[222:223], -v[218:219], v[220:221], 1.0
	v_fma_f64 v[220:221], v[220:221], v[222:223], v[220:221]
	v_fma_f64 v[222:223], -v[218:219], v[220:221], 1.0
	v_fma_f64 v[220:221], v[220:221], v[222:223], v[220:221]
	v_div_scale_f64 v[222:223], vcc_lo, 1.0, v[216:217], 1.0
	v_mul_f64 v[224:225], v[222:223], v[220:221]
	v_fma_f64 v[218:219], -v[218:219], v[224:225], v[222:223]
	v_div_fmas_f64 v[218:219], v[218:219], v[220:221], v[224:225]
	v_div_fixup_f64 v[242:243], v[218:219], v[216:217], 1.0
	v_mul_f64 v[244:245], v[214:215], -v[242:243]
.LBB118_369:
	s_or_b32 exec_lo, exec_lo, s1
.LBB118_370:
	s_or_b32 exec_lo, exec_lo, s0
	s_mov_b32 s0, exec_lo
	v_cmpx_ne_u32_e64 v0, v250
	s_xor_b32 s0, exec_lo, s0
	s_cbranch_execz .LBB118_376
; %bb.371:
	s_mov_b32 s1, exec_lo
	v_cmpx_eq_u32_e32 17, v0
	s_cbranch_execz .LBB118_375
; %bb.372:
	v_cmp_ne_u32_e32 vcc_lo, 17, v250
	s_xor_b32 s7, s16, -1
	s_and_b32 s9, s7, vcc_lo
	s_and_saveexec_b32 s7, s9
	s_cbranch_execz .LBB118_374
; %bb.373:
	s_clause 0x1
	buffer_load_dword v210, off, s[20:23], 0 offset:16
	buffer_load_dword v211, off, s[20:23], 0 offset:20
	v_ashrrev_i32_e32 v251, 31, v250
	v_lshlrev_b64 v[214:215], 2, v[250:251]
	s_waitcnt vmcnt(1)
	v_add_co_u32 v214, vcc_lo, v210, v214
	s_waitcnt vmcnt(0)
	v_add_co_ci_u32_e64 v215, null, v211, v215, vcc_lo
	s_clause 0x1
	global_load_dword v0, v[214:215], off
	global_load_dword v216, v[210:211], off offset:68
	s_waitcnt vmcnt(1)
	global_store_dword v[210:211], v0, off offset:68
	s_waitcnt vmcnt(0)
	global_store_dword v[214:215], v216, off
.LBB118_374:
	s_or_b32 exec_lo, exec_lo, s7
	v_mov_b32_e32 v0, v250
	v_mov_b32_e32 v253, v250
.LBB118_375:
	s_or_b32 exec_lo, exec_lo, s1
.LBB118_376:
	s_andn2_saveexec_b32 s0, s0
	s_cbranch_execz .LBB118_378
; %bb.377:
	v_mov_b32_e32 v0, 17
	ds_write2_b64 v1, v[166:167], v[168:169] offset0:36 offset1:37
	ds_write2_b64 v1, v[162:163], v[164:165] offset0:38 offset1:39
	ds_write2_b64 v1, v[158:159], v[160:161] offset0:40 offset1:41
	ds_write2_b64 v1, v[154:155], v[156:157] offset0:42 offset1:43
	ds_write2_b64 v1, v[150:151], v[152:153] offset0:44 offset1:45
	ds_write2_b64 v1, v[146:147], v[148:149] offset0:46 offset1:47
	ds_write2_b64 v1, v[142:143], v[144:145] offset0:48 offset1:49
	ds_write2_b64 v1, v[138:139], v[140:141] offset0:50 offset1:51
	ds_write2_b64 v1, v[134:135], v[136:137] offset0:52 offset1:53
	ds_write2_b64 v1, v[130:131], v[132:133] offset0:54 offset1:55
	ds_write2_b64 v1, v[126:127], v[128:129] offset0:56 offset1:57
	ds_write2_b64 v1, v[122:123], v[124:125] offset0:58 offset1:59
	ds_write2_b64 v1, v[118:119], v[120:121] offset0:60 offset1:61
	ds_write2_b64 v1, v[114:115], v[116:117] offset0:62 offset1:63
	ds_write2_b64 v1, v[110:111], v[112:113] offset0:64 offset1:65
	ds_write2_b64 v1, v[106:107], v[108:109] offset0:66 offset1:67
	ds_write2_b64 v1, v[102:103], v[104:105] offset0:68 offset1:69
	ds_write2_b64 v1, v[98:99], v[100:101] offset0:70 offset1:71
	ds_write2_b64 v1, v[94:95], v[96:97] offset0:72 offset1:73
	ds_write2_b64 v1, v[90:91], v[92:93] offset0:74 offset1:75
	ds_write2_b64 v1, v[86:87], v[88:89] offset0:76 offset1:77
	ds_write2_b64 v1, v[82:83], v[84:85] offset0:78 offset1:79
	ds_write2_b64 v1, v[78:79], v[80:81] offset0:80 offset1:81
	ds_write2_b64 v1, v[74:75], v[76:77] offset0:82 offset1:83
	ds_write2_b64 v1, v[70:71], v[72:73] offset0:84 offset1:85
	ds_write2_b64 v1, v[66:67], v[68:69] offset0:86 offset1:87
	ds_write2_b64 v1, v[62:63], v[64:65] offset0:88 offset1:89
	ds_write2_b64 v1, v[58:59], v[60:61] offset0:90 offset1:91
	ds_write2_b64 v1, v[54:55], v[56:57] offset0:92 offset1:93
	ds_write2_b64 v1, v[50:51], v[52:53] offset0:94 offset1:95
	ds_write2_b64 v1, v[46:47], v[48:49] offset0:96 offset1:97
	ds_write2_b64 v1, v[42:43], v[44:45] offset0:98 offset1:99
	ds_write2_b64 v1, v[38:39], v[40:41] offset0:100 offset1:101
	ds_write2_b64 v1, v[34:35], v[36:37] offset0:102 offset1:103
	ds_write2_b64 v1, v[30:31], v[32:33] offset0:104 offset1:105
	ds_write2_b64 v1, v[26:27], v[28:29] offset0:106 offset1:107
	ds_write2_b64 v1, v[22:23], v[24:25] offset0:108 offset1:109
	ds_write2_b64 v1, v[18:19], v[20:21] offset0:110 offset1:111
	ds_write2_b64 v1, v[14:15], v[16:17] offset0:112 offset1:113
	ds_write2_b64 v1, v[10:11], v[12:13] offset0:114 offset1:115
	ds_write2_b64 v1, v[238:239], v[240:241] offset0:116 offset1:117
	ds_write2_b64 v1, v[226:227], v[228:229] offset0:118 offset1:119
.LBB118_378:
	s_or_b32 exec_lo, exec_lo, s0
	s_mov_b32 s0, exec_lo
	s_waitcnt lgkmcnt(0)
	s_waitcnt_vscnt null, 0x0
	s_barrier
	buffer_gl0_inv
	v_cmpx_lt_i32_e32 17, v0
	s_cbranch_execz .LBB118_380
; %bb.379:
	v_mul_f64 v[214:215], v[244:245], v[172:173]
	v_mul_f64 v[172:173], v[242:243], v[172:173]
	ds_read2_b64 v[234:237], v1 offset0:36 offset1:37
	v_fma_f64 v[250:251], v[242:243], v[170:171], -v[214:215]
	v_fma_f64 v[172:173], v[244:245], v[170:171], v[172:173]
	s_waitcnt lgkmcnt(0)
	v_mul_f64 v[170:171], v[236:237], v[172:173]
	v_mul_f64 v[214:215], v[234:235], v[172:173]
	v_fma_f64 v[170:171], v[234:235], v[250:251], -v[170:171]
	v_fma_f64 v[214:215], v[236:237], v[250:251], v[214:215]
	ds_read2_b64 v[234:237], v1 offset0:38 offset1:39
	v_add_f64 v[166:167], v[166:167], -v[170:171]
	v_add_f64 v[168:169], v[168:169], -v[214:215]
	s_waitcnt lgkmcnt(0)
	v_mul_f64 v[170:171], v[236:237], v[172:173]
	v_mul_f64 v[214:215], v[234:235], v[172:173]
	v_fma_f64 v[170:171], v[234:235], v[250:251], -v[170:171]
	v_fma_f64 v[214:215], v[236:237], v[250:251], v[214:215]
	ds_read2_b64 v[234:237], v1 offset0:40 offset1:41
	v_add_f64 v[162:163], v[162:163], -v[170:171]
	v_add_f64 v[164:165], v[164:165], -v[214:215]
	;; [unrolled: 8-line block ×41, first 2 shown]
	s_waitcnt lgkmcnt(0)
	v_mul_f64 v[170:171], v[236:237], v[172:173]
	v_mul_f64 v[214:215], v[234:235], v[172:173]
	v_fma_f64 v[170:171], v[234:235], v[250:251], -v[170:171]
	v_fma_f64 v[214:215], v[236:237], v[250:251], v[214:215]
	v_add_f64 v[226:227], v[226:227], -v[170:171]
	v_add_f64 v[228:229], v[228:229], -v[214:215]
	v_mov_b32_e32 v170, v250
	v_mov_b32_e32 v171, v251
.LBB118_380:
	s_or_b32 exec_lo, exec_lo, s0
	v_lshl_add_u32 v214, v0, 4, v1
	s_barrier
	buffer_gl0_inv
	v_mov_b32_e32 v250, 18
	ds_write2_b64 v214, v[166:167], v[168:169] offset1:1
	s_waitcnt lgkmcnt(0)
	s_barrier
	buffer_gl0_inv
	ds_read2_b64 v[242:245], v1 offset0:36 offset1:37
	s_cmp_lt_i32 s8, 20
	s_cbranch_scc1 .LBB118_383
; %bb.381:
	v_add3_u32 v247, v246, 0, 0x130
	v_mov_b32_e32 v250, 18
	s_mov_b32 s0, 19
	s_inst_prefetch 0x1
	.p2align	6
.LBB118_382:                            ; =>This Inner Loop Header: Depth=1
	s_waitcnt lgkmcnt(0)
	v_cmp_gt_f64_e32 vcc_lo, 0, v[242:243]
	v_xor_b32_e32 v214, 0x80000000, v243
	ds_read2_b64 v[234:237], v247 offset1:1
	v_xor_b32_e32 v216, 0x80000000, v245
	v_add_nc_u32_e32 v247, 16, v247
	s_waitcnt lgkmcnt(0)
	v_xor_b32_e32 v218, 0x80000000, v237
	v_cndmask_b32_e32 v215, v243, v214, vcc_lo
	v_cmp_gt_f64_e32 vcc_lo, 0, v[244:245]
	v_mov_b32_e32 v214, v242
	v_cndmask_b32_e32 v217, v245, v216, vcc_lo
	v_cmp_gt_f64_e32 vcc_lo, 0, v[234:235]
	v_mov_b32_e32 v216, v244
	v_add_f64 v[214:215], v[214:215], v[216:217]
	v_xor_b32_e32 v216, 0x80000000, v235
	v_cndmask_b32_e32 v217, v235, v216, vcc_lo
	v_cmp_gt_f64_e32 vcc_lo, 0, v[236:237]
	v_mov_b32_e32 v216, v234
	v_cndmask_b32_e32 v219, v237, v218, vcc_lo
	v_mov_b32_e32 v218, v236
	v_add_f64 v[216:217], v[216:217], v[218:219]
	v_cmp_lt_f64_e32 vcc_lo, v[214:215], v[216:217]
	v_cndmask_b32_e32 v243, v243, v235, vcc_lo
	v_cndmask_b32_e32 v242, v242, v234, vcc_lo
	;; [unrolled: 1-line block ×4, first 2 shown]
	v_cndmask_b32_e64 v250, v250, s0, vcc_lo
	s_add_i32 s0, s0, 1
	s_cmp_lg_u32 s8, s0
	s_cbranch_scc1 .LBB118_382
.LBB118_383:
	s_inst_prefetch 0x2
	s_waitcnt lgkmcnt(0)
	v_cmp_eq_f64_e32 vcc_lo, 0, v[242:243]
	v_cmp_eq_f64_e64 s0, 0, v[244:245]
	s_and_b32 s0, vcc_lo, s0
	s_and_saveexec_b32 s1, s0
	s_xor_b32 s0, exec_lo, s1
; %bb.384:
	v_cmp_ne_u32_e32 vcc_lo, 0, v255
	v_cndmask_b32_e32 v255, 19, v255, vcc_lo
; %bb.385:
	s_andn2_saveexec_b32 s0, s0
	s_cbranch_execz .LBB118_391
; %bb.386:
	v_cmp_ngt_f64_e64 s1, |v[242:243]|, |v[244:245]|
	s_and_saveexec_b32 s7, s1
	s_xor_b32 s1, exec_lo, s7
	s_cbranch_execz .LBB118_388
; %bb.387:
	v_div_scale_f64 v[214:215], null, v[244:245], v[244:245], v[242:243]
	v_div_scale_f64 v[220:221], vcc_lo, v[242:243], v[244:245], v[242:243]
	v_rcp_f64_e32 v[216:217], v[214:215]
	v_fma_f64 v[218:219], -v[214:215], v[216:217], 1.0
	v_fma_f64 v[216:217], v[216:217], v[218:219], v[216:217]
	v_fma_f64 v[218:219], -v[214:215], v[216:217], 1.0
	v_fma_f64 v[216:217], v[216:217], v[218:219], v[216:217]
	v_mul_f64 v[218:219], v[220:221], v[216:217]
	v_fma_f64 v[214:215], -v[214:215], v[218:219], v[220:221]
	v_div_fmas_f64 v[214:215], v[214:215], v[216:217], v[218:219]
	v_div_fixup_f64 v[214:215], v[214:215], v[244:245], v[242:243]
	v_fma_f64 v[216:217], v[242:243], v[214:215], v[244:245]
	v_div_scale_f64 v[218:219], null, v[216:217], v[216:217], 1.0
	v_rcp_f64_e32 v[220:221], v[218:219]
	v_fma_f64 v[222:223], -v[218:219], v[220:221], 1.0
	v_fma_f64 v[220:221], v[220:221], v[222:223], v[220:221]
	v_fma_f64 v[222:223], -v[218:219], v[220:221], 1.0
	v_fma_f64 v[220:221], v[220:221], v[222:223], v[220:221]
	v_div_scale_f64 v[222:223], vcc_lo, 1.0, v[216:217], 1.0
	v_mul_f64 v[224:225], v[222:223], v[220:221]
	v_fma_f64 v[218:219], -v[218:219], v[224:225], v[222:223]
	v_div_fmas_f64 v[218:219], v[218:219], v[220:221], v[224:225]
	v_div_fixup_f64 v[244:245], v[218:219], v[216:217], 1.0
	v_mul_f64 v[242:243], v[214:215], v[244:245]
	v_xor_b32_e32 v245, 0x80000000, v245
.LBB118_388:
	s_andn2_saveexec_b32 s1, s1
	s_cbranch_execz .LBB118_390
; %bb.389:
	v_div_scale_f64 v[214:215], null, v[242:243], v[242:243], v[244:245]
	v_div_scale_f64 v[220:221], vcc_lo, v[244:245], v[242:243], v[244:245]
	v_rcp_f64_e32 v[216:217], v[214:215]
	v_fma_f64 v[218:219], -v[214:215], v[216:217], 1.0
	v_fma_f64 v[216:217], v[216:217], v[218:219], v[216:217]
	v_fma_f64 v[218:219], -v[214:215], v[216:217], 1.0
	v_fma_f64 v[216:217], v[216:217], v[218:219], v[216:217]
	v_mul_f64 v[218:219], v[220:221], v[216:217]
	v_fma_f64 v[214:215], -v[214:215], v[218:219], v[220:221]
	v_div_fmas_f64 v[214:215], v[214:215], v[216:217], v[218:219]
	v_div_fixup_f64 v[214:215], v[214:215], v[242:243], v[244:245]
	v_fma_f64 v[216:217], v[244:245], v[214:215], v[242:243]
	v_div_scale_f64 v[218:219], null, v[216:217], v[216:217], 1.0
	v_rcp_f64_e32 v[220:221], v[218:219]
	v_fma_f64 v[222:223], -v[218:219], v[220:221], 1.0
	v_fma_f64 v[220:221], v[220:221], v[222:223], v[220:221]
	v_fma_f64 v[222:223], -v[218:219], v[220:221], 1.0
	v_fma_f64 v[220:221], v[220:221], v[222:223], v[220:221]
	v_div_scale_f64 v[222:223], vcc_lo, 1.0, v[216:217], 1.0
	v_mul_f64 v[224:225], v[222:223], v[220:221]
	v_fma_f64 v[218:219], -v[218:219], v[224:225], v[222:223]
	v_div_fmas_f64 v[218:219], v[218:219], v[220:221], v[224:225]
	v_div_fixup_f64 v[242:243], v[218:219], v[216:217], 1.0
	v_mul_f64 v[244:245], v[214:215], -v[242:243]
.LBB118_390:
	s_or_b32 exec_lo, exec_lo, s1
.LBB118_391:
	s_or_b32 exec_lo, exec_lo, s0
	s_mov_b32 s0, exec_lo
	v_cmpx_ne_u32_e64 v0, v250
	s_xor_b32 s0, exec_lo, s0
	s_cbranch_execz .LBB118_397
; %bb.392:
	s_mov_b32 s1, exec_lo
	v_cmpx_eq_u32_e32 18, v0
	s_cbranch_execz .LBB118_396
; %bb.393:
	v_cmp_ne_u32_e32 vcc_lo, 18, v250
	s_xor_b32 s7, s16, -1
	s_and_b32 s9, s7, vcc_lo
	s_and_saveexec_b32 s7, s9
	s_cbranch_execz .LBB118_395
; %bb.394:
	s_clause 0x1
	buffer_load_dword v210, off, s[20:23], 0 offset:16
	buffer_load_dword v211, off, s[20:23], 0 offset:20
	v_ashrrev_i32_e32 v251, 31, v250
	v_lshlrev_b64 v[214:215], 2, v[250:251]
	s_waitcnt vmcnt(1)
	v_add_co_u32 v214, vcc_lo, v210, v214
	s_waitcnt vmcnt(0)
	v_add_co_ci_u32_e64 v215, null, v211, v215, vcc_lo
	s_clause 0x1
	global_load_dword v0, v[214:215], off
	global_load_dword v216, v[210:211], off offset:72
	s_waitcnt vmcnt(1)
	global_store_dword v[210:211], v0, off offset:72
	s_waitcnt vmcnt(0)
	global_store_dword v[214:215], v216, off
.LBB118_395:
	s_or_b32 exec_lo, exec_lo, s7
	v_mov_b32_e32 v0, v250
	v_mov_b32_e32 v253, v250
.LBB118_396:
	s_or_b32 exec_lo, exec_lo, s1
.LBB118_397:
	s_andn2_saveexec_b32 s0, s0
	s_cbranch_execz .LBB118_399
; %bb.398:
	v_mov_b32_e32 v0, 18
	ds_write2_b64 v1, v[162:163], v[164:165] offset0:38 offset1:39
	ds_write2_b64 v1, v[158:159], v[160:161] offset0:40 offset1:41
	;; [unrolled: 1-line block ×41, first 2 shown]
.LBB118_399:
	s_or_b32 exec_lo, exec_lo, s0
	s_mov_b32 s0, exec_lo
	s_waitcnt lgkmcnt(0)
	s_waitcnt_vscnt null, 0x0
	s_barrier
	buffer_gl0_inv
	v_cmpx_lt_i32_e32 18, v0
	s_cbranch_execz .LBB118_401
; %bb.400:
	v_mul_f64 v[214:215], v[244:245], v[168:169]
	v_mul_f64 v[168:169], v[242:243], v[168:169]
	ds_read2_b64 v[234:237], v1 offset0:38 offset1:39
	v_fma_f64 v[250:251], v[242:243], v[166:167], -v[214:215]
	v_fma_f64 v[168:169], v[244:245], v[166:167], v[168:169]
	s_waitcnt lgkmcnt(0)
	v_mul_f64 v[166:167], v[236:237], v[168:169]
	v_mul_f64 v[214:215], v[234:235], v[168:169]
	v_fma_f64 v[166:167], v[234:235], v[250:251], -v[166:167]
	v_fma_f64 v[214:215], v[236:237], v[250:251], v[214:215]
	ds_read2_b64 v[234:237], v1 offset0:40 offset1:41
	v_add_f64 v[162:163], v[162:163], -v[166:167]
	v_add_f64 v[164:165], v[164:165], -v[214:215]
	s_waitcnt lgkmcnt(0)
	v_mul_f64 v[166:167], v[236:237], v[168:169]
	v_mul_f64 v[214:215], v[234:235], v[168:169]
	v_fma_f64 v[166:167], v[234:235], v[250:251], -v[166:167]
	v_fma_f64 v[214:215], v[236:237], v[250:251], v[214:215]
	ds_read2_b64 v[234:237], v1 offset0:42 offset1:43
	v_add_f64 v[158:159], v[158:159], -v[166:167]
	v_add_f64 v[160:161], v[160:161], -v[214:215]
	;; [unrolled: 8-line block ×40, first 2 shown]
	s_waitcnt lgkmcnt(0)
	v_mul_f64 v[166:167], v[236:237], v[168:169]
	v_mul_f64 v[214:215], v[234:235], v[168:169]
	v_fma_f64 v[166:167], v[234:235], v[250:251], -v[166:167]
	v_fma_f64 v[214:215], v[236:237], v[250:251], v[214:215]
	v_add_f64 v[226:227], v[226:227], -v[166:167]
	v_add_f64 v[228:229], v[228:229], -v[214:215]
	v_mov_b32_e32 v166, v250
	v_mov_b32_e32 v167, v251
.LBB118_401:
	s_or_b32 exec_lo, exec_lo, s0
	v_lshl_add_u32 v214, v0, 4, v1
	s_barrier
	buffer_gl0_inv
	v_mov_b32_e32 v250, 19
	ds_write2_b64 v214, v[162:163], v[164:165] offset1:1
	s_waitcnt lgkmcnt(0)
	s_barrier
	buffer_gl0_inv
	ds_read2_b64 v[242:245], v1 offset0:38 offset1:39
	s_cmp_lt_i32 s8, 21
	s_cbranch_scc1 .LBB118_404
; %bb.402:
	v_add3_u32 v247, v246, 0, 0x140
	v_mov_b32_e32 v250, 19
	s_mov_b32 s0, 20
	s_inst_prefetch 0x1
	.p2align	6
.LBB118_403:                            ; =>This Inner Loop Header: Depth=1
	s_waitcnt lgkmcnt(0)
	v_cmp_gt_f64_e32 vcc_lo, 0, v[242:243]
	v_xor_b32_e32 v214, 0x80000000, v243
	ds_read2_b64 v[234:237], v247 offset1:1
	v_xor_b32_e32 v216, 0x80000000, v245
	v_add_nc_u32_e32 v247, 16, v247
	s_waitcnt lgkmcnt(0)
	v_xor_b32_e32 v218, 0x80000000, v237
	v_cndmask_b32_e32 v215, v243, v214, vcc_lo
	v_cmp_gt_f64_e32 vcc_lo, 0, v[244:245]
	v_mov_b32_e32 v214, v242
	v_cndmask_b32_e32 v217, v245, v216, vcc_lo
	v_cmp_gt_f64_e32 vcc_lo, 0, v[234:235]
	v_mov_b32_e32 v216, v244
	v_add_f64 v[214:215], v[214:215], v[216:217]
	v_xor_b32_e32 v216, 0x80000000, v235
	v_cndmask_b32_e32 v217, v235, v216, vcc_lo
	v_cmp_gt_f64_e32 vcc_lo, 0, v[236:237]
	v_mov_b32_e32 v216, v234
	v_cndmask_b32_e32 v219, v237, v218, vcc_lo
	v_mov_b32_e32 v218, v236
	v_add_f64 v[216:217], v[216:217], v[218:219]
	v_cmp_lt_f64_e32 vcc_lo, v[214:215], v[216:217]
	v_cndmask_b32_e32 v243, v243, v235, vcc_lo
	v_cndmask_b32_e32 v242, v242, v234, vcc_lo
	;; [unrolled: 1-line block ×4, first 2 shown]
	v_cndmask_b32_e64 v250, v250, s0, vcc_lo
	s_add_i32 s0, s0, 1
	s_cmp_lg_u32 s8, s0
	s_cbranch_scc1 .LBB118_403
.LBB118_404:
	s_inst_prefetch 0x2
	s_waitcnt lgkmcnt(0)
	v_cmp_eq_f64_e32 vcc_lo, 0, v[242:243]
	v_cmp_eq_f64_e64 s0, 0, v[244:245]
	s_and_b32 s0, vcc_lo, s0
	s_and_saveexec_b32 s1, s0
	s_xor_b32 s0, exec_lo, s1
; %bb.405:
	v_cmp_ne_u32_e32 vcc_lo, 0, v255
	v_cndmask_b32_e32 v255, 20, v255, vcc_lo
; %bb.406:
	s_andn2_saveexec_b32 s0, s0
	s_cbranch_execz .LBB118_412
; %bb.407:
	v_cmp_ngt_f64_e64 s1, |v[242:243]|, |v[244:245]|
	s_and_saveexec_b32 s7, s1
	s_xor_b32 s1, exec_lo, s7
	s_cbranch_execz .LBB118_409
; %bb.408:
	v_div_scale_f64 v[214:215], null, v[244:245], v[244:245], v[242:243]
	v_div_scale_f64 v[220:221], vcc_lo, v[242:243], v[244:245], v[242:243]
	v_rcp_f64_e32 v[216:217], v[214:215]
	v_fma_f64 v[218:219], -v[214:215], v[216:217], 1.0
	v_fma_f64 v[216:217], v[216:217], v[218:219], v[216:217]
	v_fma_f64 v[218:219], -v[214:215], v[216:217], 1.0
	v_fma_f64 v[216:217], v[216:217], v[218:219], v[216:217]
	v_mul_f64 v[218:219], v[220:221], v[216:217]
	v_fma_f64 v[214:215], -v[214:215], v[218:219], v[220:221]
	v_div_fmas_f64 v[214:215], v[214:215], v[216:217], v[218:219]
	v_div_fixup_f64 v[214:215], v[214:215], v[244:245], v[242:243]
	v_fma_f64 v[216:217], v[242:243], v[214:215], v[244:245]
	v_div_scale_f64 v[218:219], null, v[216:217], v[216:217], 1.0
	v_rcp_f64_e32 v[220:221], v[218:219]
	v_fma_f64 v[222:223], -v[218:219], v[220:221], 1.0
	v_fma_f64 v[220:221], v[220:221], v[222:223], v[220:221]
	v_fma_f64 v[222:223], -v[218:219], v[220:221], 1.0
	v_fma_f64 v[220:221], v[220:221], v[222:223], v[220:221]
	v_div_scale_f64 v[222:223], vcc_lo, 1.0, v[216:217], 1.0
	v_mul_f64 v[224:225], v[222:223], v[220:221]
	v_fma_f64 v[218:219], -v[218:219], v[224:225], v[222:223]
	v_div_fmas_f64 v[218:219], v[218:219], v[220:221], v[224:225]
	v_div_fixup_f64 v[244:245], v[218:219], v[216:217], 1.0
	v_mul_f64 v[242:243], v[214:215], v[244:245]
	v_xor_b32_e32 v245, 0x80000000, v245
.LBB118_409:
	s_andn2_saveexec_b32 s1, s1
	s_cbranch_execz .LBB118_411
; %bb.410:
	v_div_scale_f64 v[214:215], null, v[242:243], v[242:243], v[244:245]
	v_div_scale_f64 v[220:221], vcc_lo, v[244:245], v[242:243], v[244:245]
	v_rcp_f64_e32 v[216:217], v[214:215]
	v_fma_f64 v[218:219], -v[214:215], v[216:217], 1.0
	v_fma_f64 v[216:217], v[216:217], v[218:219], v[216:217]
	v_fma_f64 v[218:219], -v[214:215], v[216:217], 1.0
	v_fma_f64 v[216:217], v[216:217], v[218:219], v[216:217]
	v_mul_f64 v[218:219], v[220:221], v[216:217]
	v_fma_f64 v[214:215], -v[214:215], v[218:219], v[220:221]
	v_div_fmas_f64 v[214:215], v[214:215], v[216:217], v[218:219]
	v_div_fixup_f64 v[214:215], v[214:215], v[242:243], v[244:245]
	v_fma_f64 v[216:217], v[244:245], v[214:215], v[242:243]
	v_div_scale_f64 v[218:219], null, v[216:217], v[216:217], 1.0
	v_rcp_f64_e32 v[220:221], v[218:219]
	v_fma_f64 v[222:223], -v[218:219], v[220:221], 1.0
	v_fma_f64 v[220:221], v[220:221], v[222:223], v[220:221]
	v_fma_f64 v[222:223], -v[218:219], v[220:221], 1.0
	v_fma_f64 v[220:221], v[220:221], v[222:223], v[220:221]
	v_div_scale_f64 v[222:223], vcc_lo, 1.0, v[216:217], 1.0
	v_mul_f64 v[224:225], v[222:223], v[220:221]
	v_fma_f64 v[218:219], -v[218:219], v[224:225], v[222:223]
	v_div_fmas_f64 v[218:219], v[218:219], v[220:221], v[224:225]
	v_div_fixup_f64 v[242:243], v[218:219], v[216:217], 1.0
	v_mul_f64 v[244:245], v[214:215], -v[242:243]
.LBB118_411:
	s_or_b32 exec_lo, exec_lo, s1
.LBB118_412:
	s_or_b32 exec_lo, exec_lo, s0
	s_mov_b32 s0, exec_lo
	v_cmpx_ne_u32_e64 v0, v250
	s_xor_b32 s0, exec_lo, s0
	s_cbranch_execz .LBB118_418
; %bb.413:
	s_mov_b32 s1, exec_lo
	v_cmpx_eq_u32_e32 19, v0
	s_cbranch_execz .LBB118_417
; %bb.414:
	v_cmp_ne_u32_e32 vcc_lo, 19, v250
	s_xor_b32 s7, s16, -1
	s_and_b32 s9, s7, vcc_lo
	s_and_saveexec_b32 s7, s9
	s_cbranch_execz .LBB118_416
; %bb.415:
	s_clause 0x1
	buffer_load_dword v210, off, s[20:23], 0 offset:16
	buffer_load_dword v211, off, s[20:23], 0 offset:20
	v_ashrrev_i32_e32 v251, 31, v250
	v_lshlrev_b64 v[214:215], 2, v[250:251]
	s_waitcnt vmcnt(1)
	v_add_co_u32 v214, vcc_lo, v210, v214
	s_waitcnt vmcnt(0)
	v_add_co_ci_u32_e64 v215, null, v211, v215, vcc_lo
	s_clause 0x1
	global_load_dword v0, v[214:215], off
	global_load_dword v216, v[210:211], off offset:76
	s_waitcnt vmcnt(1)
	global_store_dword v[210:211], v0, off offset:76
	s_waitcnt vmcnt(0)
	global_store_dword v[214:215], v216, off
.LBB118_416:
	s_or_b32 exec_lo, exec_lo, s7
	v_mov_b32_e32 v0, v250
	v_mov_b32_e32 v253, v250
.LBB118_417:
	s_or_b32 exec_lo, exec_lo, s1
.LBB118_418:
	s_andn2_saveexec_b32 s0, s0
	s_cbranch_execz .LBB118_420
; %bb.419:
	v_mov_b32_e32 v0, 19
	ds_write2_b64 v1, v[158:159], v[160:161] offset0:40 offset1:41
	ds_write2_b64 v1, v[154:155], v[156:157] offset0:42 offset1:43
	;; [unrolled: 1-line block ×40, first 2 shown]
.LBB118_420:
	s_or_b32 exec_lo, exec_lo, s0
	s_mov_b32 s0, exec_lo
	s_waitcnt lgkmcnt(0)
	s_waitcnt_vscnt null, 0x0
	s_barrier
	buffer_gl0_inv
	v_cmpx_lt_i32_e32 19, v0
	s_cbranch_execz .LBB118_422
; %bb.421:
	v_mul_f64 v[214:215], v[244:245], v[164:165]
	v_mul_f64 v[164:165], v[242:243], v[164:165]
	ds_read2_b64 v[234:237], v1 offset0:40 offset1:41
	v_fma_f64 v[250:251], v[242:243], v[162:163], -v[214:215]
	v_fma_f64 v[164:165], v[244:245], v[162:163], v[164:165]
	s_waitcnt lgkmcnt(0)
	v_mul_f64 v[162:163], v[236:237], v[164:165]
	v_mul_f64 v[214:215], v[234:235], v[164:165]
	v_fma_f64 v[162:163], v[234:235], v[250:251], -v[162:163]
	v_fma_f64 v[214:215], v[236:237], v[250:251], v[214:215]
	ds_read2_b64 v[234:237], v1 offset0:42 offset1:43
	v_add_f64 v[158:159], v[158:159], -v[162:163]
	v_add_f64 v[160:161], v[160:161], -v[214:215]
	s_waitcnt lgkmcnt(0)
	v_mul_f64 v[162:163], v[236:237], v[164:165]
	v_mul_f64 v[214:215], v[234:235], v[164:165]
	v_fma_f64 v[162:163], v[234:235], v[250:251], -v[162:163]
	v_fma_f64 v[214:215], v[236:237], v[250:251], v[214:215]
	ds_read2_b64 v[234:237], v1 offset0:44 offset1:45
	v_add_f64 v[154:155], v[154:155], -v[162:163]
	v_add_f64 v[156:157], v[156:157], -v[214:215]
	;; [unrolled: 8-line block ×39, first 2 shown]
	s_waitcnt lgkmcnt(0)
	v_mul_f64 v[162:163], v[236:237], v[164:165]
	v_mul_f64 v[214:215], v[234:235], v[164:165]
	v_fma_f64 v[162:163], v[234:235], v[250:251], -v[162:163]
	v_fma_f64 v[214:215], v[236:237], v[250:251], v[214:215]
	v_add_f64 v[226:227], v[226:227], -v[162:163]
	v_add_f64 v[228:229], v[228:229], -v[214:215]
	v_mov_b32_e32 v162, v250
	v_mov_b32_e32 v163, v251
.LBB118_422:
	s_or_b32 exec_lo, exec_lo, s0
	v_lshl_add_u32 v214, v0, 4, v1
	s_barrier
	buffer_gl0_inv
	v_mov_b32_e32 v250, 20
	ds_write2_b64 v214, v[158:159], v[160:161] offset1:1
	s_waitcnt lgkmcnt(0)
	s_barrier
	buffer_gl0_inv
	ds_read2_b64 v[242:245], v1 offset0:40 offset1:41
	s_cmp_lt_i32 s8, 22
	s_cbranch_scc1 .LBB118_425
; %bb.423:
	v_add3_u32 v247, v246, 0, 0x150
	v_mov_b32_e32 v250, 20
	s_mov_b32 s0, 21
	s_inst_prefetch 0x1
	.p2align	6
.LBB118_424:                            ; =>This Inner Loop Header: Depth=1
	s_waitcnt lgkmcnt(0)
	v_cmp_gt_f64_e32 vcc_lo, 0, v[242:243]
	v_xor_b32_e32 v214, 0x80000000, v243
	ds_read2_b64 v[234:237], v247 offset1:1
	v_xor_b32_e32 v216, 0x80000000, v245
	v_add_nc_u32_e32 v247, 16, v247
	s_waitcnt lgkmcnt(0)
	v_xor_b32_e32 v218, 0x80000000, v237
	v_cndmask_b32_e32 v215, v243, v214, vcc_lo
	v_cmp_gt_f64_e32 vcc_lo, 0, v[244:245]
	v_mov_b32_e32 v214, v242
	v_cndmask_b32_e32 v217, v245, v216, vcc_lo
	v_cmp_gt_f64_e32 vcc_lo, 0, v[234:235]
	v_mov_b32_e32 v216, v244
	v_add_f64 v[214:215], v[214:215], v[216:217]
	v_xor_b32_e32 v216, 0x80000000, v235
	v_cndmask_b32_e32 v217, v235, v216, vcc_lo
	v_cmp_gt_f64_e32 vcc_lo, 0, v[236:237]
	v_mov_b32_e32 v216, v234
	v_cndmask_b32_e32 v219, v237, v218, vcc_lo
	v_mov_b32_e32 v218, v236
	v_add_f64 v[216:217], v[216:217], v[218:219]
	v_cmp_lt_f64_e32 vcc_lo, v[214:215], v[216:217]
	v_cndmask_b32_e32 v243, v243, v235, vcc_lo
	v_cndmask_b32_e32 v242, v242, v234, vcc_lo
	;; [unrolled: 1-line block ×4, first 2 shown]
	v_cndmask_b32_e64 v250, v250, s0, vcc_lo
	s_add_i32 s0, s0, 1
	s_cmp_lg_u32 s8, s0
	s_cbranch_scc1 .LBB118_424
.LBB118_425:
	s_inst_prefetch 0x2
	s_waitcnt lgkmcnt(0)
	v_cmp_eq_f64_e32 vcc_lo, 0, v[242:243]
	v_cmp_eq_f64_e64 s0, 0, v[244:245]
	s_and_b32 s0, vcc_lo, s0
	s_and_saveexec_b32 s1, s0
	s_xor_b32 s0, exec_lo, s1
; %bb.426:
	v_cmp_ne_u32_e32 vcc_lo, 0, v255
	v_cndmask_b32_e32 v255, 21, v255, vcc_lo
; %bb.427:
	s_andn2_saveexec_b32 s0, s0
	s_cbranch_execz .LBB118_433
; %bb.428:
	v_cmp_ngt_f64_e64 s1, |v[242:243]|, |v[244:245]|
	s_and_saveexec_b32 s7, s1
	s_xor_b32 s1, exec_lo, s7
	s_cbranch_execz .LBB118_430
; %bb.429:
	v_div_scale_f64 v[214:215], null, v[244:245], v[244:245], v[242:243]
	v_div_scale_f64 v[220:221], vcc_lo, v[242:243], v[244:245], v[242:243]
	v_rcp_f64_e32 v[216:217], v[214:215]
	v_fma_f64 v[218:219], -v[214:215], v[216:217], 1.0
	v_fma_f64 v[216:217], v[216:217], v[218:219], v[216:217]
	v_fma_f64 v[218:219], -v[214:215], v[216:217], 1.0
	v_fma_f64 v[216:217], v[216:217], v[218:219], v[216:217]
	v_mul_f64 v[218:219], v[220:221], v[216:217]
	v_fma_f64 v[214:215], -v[214:215], v[218:219], v[220:221]
	v_div_fmas_f64 v[214:215], v[214:215], v[216:217], v[218:219]
	v_div_fixup_f64 v[214:215], v[214:215], v[244:245], v[242:243]
	v_fma_f64 v[216:217], v[242:243], v[214:215], v[244:245]
	v_div_scale_f64 v[218:219], null, v[216:217], v[216:217], 1.0
	v_rcp_f64_e32 v[220:221], v[218:219]
	v_fma_f64 v[222:223], -v[218:219], v[220:221], 1.0
	v_fma_f64 v[220:221], v[220:221], v[222:223], v[220:221]
	v_fma_f64 v[222:223], -v[218:219], v[220:221], 1.0
	v_fma_f64 v[220:221], v[220:221], v[222:223], v[220:221]
	v_div_scale_f64 v[222:223], vcc_lo, 1.0, v[216:217], 1.0
	v_mul_f64 v[224:225], v[222:223], v[220:221]
	v_fma_f64 v[218:219], -v[218:219], v[224:225], v[222:223]
	v_div_fmas_f64 v[218:219], v[218:219], v[220:221], v[224:225]
	v_div_fixup_f64 v[244:245], v[218:219], v[216:217], 1.0
	v_mul_f64 v[242:243], v[214:215], v[244:245]
	v_xor_b32_e32 v245, 0x80000000, v245
.LBB118_430:
	s_andn2_saveexec_b32 s1, s1
	s_cbranch_execz .LBB118_432
; %bb.431:
	v_div_scale_f64 v[214:215], null, v[242:243], v[242:243], v[244:245]
	v_div_scale_f64 v[220:221], vcc_lo, v[244:245], v[242:243], v[244:245]
	v_rcp_f64_e32 v[216:217], v[214:215]
	v_fma_f64 v[218:219], -v[214:215], v[216:217], 1.0
	v_fma_f64 v[216:217], v[216:217], v[218:219], v[216:217]
	v_fma_f64 v[218:219], -v[214:215], v[216:217], 1.0
	v_fma_f64 v[216:217], v[216:217], v[218:219], v[216:217]
	v_mul_f64 v[218:219], v[220:221], v[216:217]
	v_fma_f64 v[214:215], -v[214:215], v[218:219], v[220:221]
	v_div_fmas_f64 v[214:215], v[214:215], v[216:217], v[218:219]
	v_div_fixup_f64 v[214:215], v[214:215], v[242:243], v[244:245]
	v_fma_f64 v[216:217], v[244:245], v[214:215], v[242:243]
	v_div_scale_f64 v[218:219], null, v[216:217], v[216:217], 1.0
	v_rcp_f64_e32 v[220:221], v[218:219]
	v_fma_f64 v[222:223], -v[218:219], v[220:221], 1.0
	v_fma_f64 v[220:221], v[220:221], v[222:223], v[220:221]
	v_fma_f64 v[222:223], -v[218:219], v[220:221], 1.0
	v_fma_f64 v[220:221], v[220:221], v[222:223], v[220:221]
	v_div_scale_f64 v[222:223], vcc_lo, 1.0, v[216:217], 1.0
	v_mul_f64 v[224:225], v[222:223], v[220:221]
	v_fma_f64 v[218:219], -v[218:219], v[224:225], v[222:223]
	v_div_fmas_f64 v[218:219], v[218:219], v[220:221], v[224:225]
	v_div_fixup_f64 v[242:243], v[218:219], v[216:217], 1.0
	v_mul_f64 v[244:245], v[214:215], -v[242:243]
.LBB118_432:
	s_or_b32 exec_lo, exec_lo, s1
.LBB118_433:
	s_or_b32 exec_lo, exec_lo, s0
	s_mov_b32 s0, exec_lo
	v_cmpx_ne_u32_e64 v0, v250
	s_xor_b32 s0, exec_lo, s0
	s_cbranch_execz .LBB118_439
; %bb.434:
	s_mov_b32 s1, exec_lo
	v_cmpx_eq_u32_e32 20, v0
	s_cbranch_execz .LBB118_438
; %bb.435:
	v_cmp_ne_u32_e32 vcc_lo, 20, v250
	s_xor_b32 s7, s16, -1
	s_and_b32 s9, s7, vcc_lo
	s_and_saveexec_b32 s7, s9
	s_cbranch_execz .LBB118_437
; %bb.436:
	s_clause 0x1
	buffer_load_dword v210, off, s[20:23], 0 offset:16
	buffer_load_dword v211, off, s[20:23], 0 offset:20
	v_ashrrev_i32_e32 v251, 31, v250
	v_lshlrev_b64 v[214:215], 2, v[250:251]
	s_waitcnt vmcnt(1)
	v_add_co_u32 v214, vcc_lo, v210, v214
	s_waitcnt vmcnt(0)
	v_add_co_ci_u32_e64 v215, null, v211, v215, vcc_lo
	s_clause 0x1
	global_load_dword v0, v[214:215], off
	global_load_dword v216, v[210:211], off offset:80
	s_waitcnt vmcnt(1)
	global_store_dword v[210:211], v0, off offset:80
	s_waitcnt vmcnt(0)
	global_store_dword v[214:215], v216, off
.LBB118_437:
	s_or_b32 exec_lo, exec_lo, s7
	v_mov_b32_e32 v0, v250
	v_mov_b32_e32 v253, v250
.LBB118_438:
	s_or_b32 exec_lo, exec_lo, s1
.LBB118_439:
	s_andn2_saveexec_b32 s0, s0
	s_cbranch_execz .LBB118_441
; %bb.440:
	v_mov_b32_e32 v0, 20
	ds_write2_b64 v1, v[154:155], v[156:157] offset0:42 offset1:43
	ds_write2_b64 v1, v[150:151], v[152:153] offset0:44 offset1:45
	;; [unrolled: 1-line block ×39, first 2 shown]
.LBB118_441:
	s_or_b32 exec_lo, exec_lo, s0
	s_mov_b32 s0, exec_lo
	s_waitcnt lgkmcnt(0)
	s_waitcnt_vscnt null, 0x0
	s_barrier
	buffer_gl0_inv
	v_cmpx_lt_i32_e32 20, v0
	s_cbranch_execz .LBB118_443
; %bb.442:
	v_mul_f64 v[214:215], v[244:245], v[160:161]
	v_mul_f64 v[160:161], v[242:243], v[160:161]
	ds_read2_b64 v[234:237], v1 offset0:42 offset1:43
	v_fma_f64 v[250:251], v[242:243], v[158:159], -v[214:215]
	v_fma_f64 v[160:161], v[244:245], v[158:159], v[160:161]
	s_waitcnt lgkmcnt(0)
	v_mul_f64 v[158:159], v[236:237], v[160:161]
	v_mul_f64 v[214:215], v[234:235], v[160:161]
	v_fma_f64 v[158:159], v[234:235], v[250:251], -v[158:159]
	v_fma_f64 v[214:215], v[236:237], v[250:251], v[214:215]
	ds_read2_b64 v[234:237], v1 offset0:44 offset1:45
	v_add_f64 v[154:155], v[154:155], -v[158:159]
	v_add_f64 v[156:157], v[156:157], -v[214:215]
	s_waitcnt lgkmcnt(0)
	v_mul_f64 v[158:159], v[236:237], v[160:161]
	v_mul_f64 v[214:215], v[234:235], v[160:161]
	v_fma_f64 v[158:159], v[234:235], v[250:251], -v[158:159]
	v_fma_f64 v[214:215], v[236:237], v[250:251], v[214:215]
	ds_read2_b64 v[234:237], v1 offset0:46 offset1:47
	v_add_f64 v[150:151], v[150:151], -v[158:159]
	v_add_f64 v[152:153], v[152:153], -v[214:215]
	;; [unrolled: 8-line block ×38, first 2 shown]
	s_waitcnt lgkmcnt(0)
	v_mul_f64 v[158:159], v[236:237], v[160:161]
	v_mul_f64 v[214:215], v[234:235], v[160:161]
	v_fma_f64 v[158:159], v[234:235], v[250:251], -v[158:159]
	v_fma_f64 v[214:215], v[236:237], v[250:251], v[214:215]
	v_add_f64 v[226:227], v[226:227], -v[158:159]
	v_add_f64 v[228:229], v[228:229], -v[214:215]
	v_mov_b32_e32 v158, v250
	v_mov_b32_e32 v159, v251
.LBB118_443:
	s_or_b32 exec_lo, exec_lo, s0
	v_lshl_add_u32 v214, v0, 4, v1
	s_barrier
	buffer_gl0_inv
	v_mov_b32_e32 v250, 21
	ds_write2_b64 v214, v[154:155], v[156:157] offset1:1
	s_waitcnt lgkmcnt(0)
	s_barrier
	buffer_gl0_inv
	ds_read2_b64 v[242:245], v1 offset0:42 offset1:43
	s_cmp_lt_i32 s8, 23
	s_cbranch_scc1 .LBB118_446
; %bb.444:
	v_add3_u32 v247, v246, 0, 0x160
	v_mov_b32_e32 v250, 21
	s_mov_b32 s0, 22
	s_inst_prefetch 0x1
	.p2align	6
.LBB118_445:                            ; =>This Inner Loop Header: Depth=1
	s_waitcnt lgkmcnt(0)
	v_cmp_gt_f64_e32 vcc_lo, 0, v[242:243]
	v_xor_b32_e32 v214, 0x80000000, v243
	ds_read2_b64 v[234:237], v247 offset1:1
	v_xor_b32_e32 v216, 0x80000000, v245
	v_add_nc_u32_e32 v247, 16, v247
	s_waitcnt lgkmcnt(0)
	v_xor_b32_e32 v218, 0x80000000, v237
	v_cndmask_b32_e32 v215, v243, v214, vcc_lo
	v_cmp_gt_f64_e32 vcc_lo, 0, v[244:245]
	v_mov_b32_e32 v214, v242
	v_cndmask_b32_e32 v217, v245, v216, vcc_lo
	v_cmp_gt_f64_e32 vcc_lo, 0, v[234:235]
	v_mov_b32_e32 v216, v244
	v_add_f64 v[214:215], v[214:215], v[216:217]
	v_xor_b32_e32 v216, 0x80000000, v235
	v_cndmask_b32_e32 v217, v235, v216, vcc_lo
	v_cmp_gt_f64_e32 vcc_lo, 0, v[236:237]
	v_mov_b32_e32 v216, v234
	v_cndmask_b32_e32 v219, v237, v218, vcc_lo
	v_mov_b32_e32 v218, v236
	v_add_f64 v[216:217], v[216:217], v[218:219]
	v_cmp_lt_f64_e32 vcc_lo, v[214:215], v[216:217]
	v_cndmask_b32_e32 v243, v243, v235, vcc_lo
	v_cndmask_b32_e32 v242, v242, v234, vcc_lo
	;; [unrolled: 1-line block ×4, first 2 shown]
	v_cndmask_b32_e64 v250, v250, s0, vcc_lo
	s_add_i32 s0, s0, 1
	s_cmp_lg_u32 s8, s0
	s_cbranch_scc1 .LBB118_445
.LBB118_446:
	s_inst_prefetch 0x2
	s_waitcnt lgkmcnt(0)
	v_cmp_eq_f64_e32 vcc_lo, 0, v[242:243]
	v_cmp_eq_f64_e64 s0, 0, v[244:245]
	s_and_b32 s0, vcc_lo, s0
	s_and_saveexec_b32 s1, s0
	s_xor_b32 s0, exec_lo, s1
; %bb.447:
	v_cmp_ne_u32_e32 vcc_lo, 0, v255
	v_cndmask_b32_e32 v255, 22, v255, vcc_lo
; %bb.448:
	s_andn2_saveexec_b32 s0, s0
	s_cbranch_execz .LBB118_454
; %bb.449:
	v_cmp_ngt_f64_e64 s1, |v[242:243]|, |v[244:245]|
	s_and_saveexec_b32 s7, s1
	s_xor_b32 s1, exec_lo, s7
	s_cbranch_execz .LBB118_451
; %bb.450:
	v_div_scale_f64 v[214:215], null, v[244:245], v[244:245], v[242:243]
	v_div_scale_f64 v[220:221], vcc_lo, v[242:243], v[244:245], v[242:243]
	v_rcp_f64_e32 v[216:217], v[214:215]
	v_fma_f64 v[218:219], -v[214:215], v[216:217], 1.0
	v_fma_f64 v[216:217], v[216:217], v[218:219], v[216:217]
	v_fma_f64 v[218:219], -v[214:215], v[216:217], 1.0
	v_fma_f64 v[216:217], v[216:217], v[218:219], v[216:217]
	v_mul_f64 v[218:219], v[220:221], v[216:217]
	v_fma_f64 v[214:215], -v[214:215], v[218:219], v[220:221]
	v_div_fmas_f64 v[214:215], v[214:215], v[216:217], v[218:219]
	v_div_fixup_f64 v[214:215], v[214:215], v[244:245], v[242:243]
	v_fma_f64 v[216:217], v[242:243], v[214:215], v[244:245]
	v_div_scale_f64 v[218:219], null, v[216:217], v[216:217], 1.0
	v_rcp_f64_e32 v[220:221], v[218:219]
	v_fma_f64 v[222:223], -v[218:219], v[220:221], 1.0
	v_fma_f64 v[220:221], v[220:221], v[222:223], v[220:221]
	v_fma_f64 v[222:223], -v[218:219], v[220:221], 1.0
	v_fma_f64 v[220:221], v[220:221], v[222:223], v[220:221]
	v_div_scale_f64 v[222:223], vcc_lo, 1.0, v[216:217], 1.0
	v_mul_f64 v[224:225], v[222:223], v[220:221]
	v_fma_f64 v[218:219], -v[218:219], v[224:225], v[222:223]
	v_div_fmas_f64 v[218:219], v[218:219], v[220:221], v[224:225]
	v_div_fixup_f64 v[244:245], v[218:219], v[216:217], 1.0
	v_mul_f64 v[242:243], v[214:215], v[244:245]
	v_xor_b32_e32 v245, 0x80000000, v245
.LBB118_451:
	s_andn2_saveexec_b32 s1, s1
	s_cbranch_execz .LBB118_453
; %bb.452:
	v_div_scale_f64 v[214:215], null, v[242:243], v[242:243], v[244:245]
	v_div_scale_f64 v[220:221], vcc_lo, v[244:245], v[242:243], v[244:245]
	v_rcp_f64_e32 v[216:217], v[214:215]
	v_fma_f64 v[218:219], -v[214:215], v[216:217], 1.0
	v_fma_f64 v[216:217], v[216:217], v[218:219], v[216:217]
	v_fma_f64 v[218:219], -v[214:215], v[216:217], 1.0
	v_fma_f64 v[216:217], v[216:217], v[218:219], v[216:217]
	v_mul_f64 v[218:219], v[220:221], v[216:217]
	v_fma_f64 v[214:215], -v[214:215], v[218:219], v[220:221]
	v_div_fmas_f64 v[214:215], v[214:215], v[216:217], v[218:219]
	v_div_fixup_f64 v[214:215], v[214:215], v[242:243], v[244:245]
	v_fma_f64 v[216:217], v[244:245], v[214:215], v[242:243]
	v_div_scale_f64 v[218:219], null, v[216:217], v[216:217], 1.0
	v_rcp_f64_e32 v[220:221], v[218:219]
	v_fma_f64 v[222:223], -v[218:219], v[220:221], 1.0
	v_fma_f64 v[220:221], v[220:221], v[222:223], v[220:221]
	v_fma_f64 v[222:223], -v[218:219], v[220:221], 1.0
	v_fma_f64 v[220:221], v[220:221], v[222:223], v[220:221]
	v_div_scale_f64 v[222:223], vcc_lo, 1.0, v[216:217], 1.0
	v_mul_f64 v[224:225], v[222:223], v[220:221]
	v_fma_f64 v[218:219], -v[218:219], v[224:225], v[222:223]
	v_div_fmas_f64 v[218:219], v[218:219], v[220:221], v[224:225]
	v_div_fixup_f64 v[242:243], v[218:219], v[216:217], 1.0
	v_mul_f64 v[244:245], v[214:215], -v[242:243]
.LBB118_453:
	s_or_b32 exec_lo, exec_lo, s1
.LBB118_454:
	s_or_b32 exec_lo, exec_lo, s0
	s_mov_b32 s0, exec_lo
	v_cmpx_ne_u32_e64 v0, v250
	s_xor_b32 s0, exec_lo, s0
	s_cbranch_execz .LBB118_460
; %bb.455:
	s_mov_b32 s1, exec_lo
	v_cmpx_eq_u32_e32 21, v0
	s_cbranch_execz .LBB118_459
; %bb.456:
	v_cmp_ne_u32_e32 vcc_lo, 21, v250
	s_xor_b32 s7, s16, -1
	s_and_b32 s9, s7, vcc_lo
	s_and_saveexec_b32 s7, s9
	s_cbranch_execz .LBB118_458
; %bb.457:
	s_clause 0x1
	buffer_load_dword v210, off, s[20:23], 0 offset:16
	buffer_load_dword v211, off, s[20:23], 0 offset:20
	v_ashrrev_i32_e32 v251, 31, v250
	v_lshlrev_b64 v[214:215], 2, v[250:251]
	s_waitcnt vmcnt(1)
	v_add_co_u32 v214, vcc_lo, v210, v214
	s_waitcnt vmcnt(0)
	v_add_co_ci_u32_e64 v215, null, v211, v215, vcc_lo
	s_clause 0x1
	global_load_dword v0, v[214:215], off
	global_load_dword v216, v[210:211], off offset:84
	s_waitcnt vmcnt(1)
	global_store_dword v[210:211], v0, off offset:84
	s_waitcnt vmcnt(0)
	global_store_dword v[214:215], v216, off
.LBB118_458:
	s_or_b32 exec_lo, exec_lo, s7
	v_mov_b32_e32 v0, v250
	v_mov_b32_e32 v253, v250
.LBB118_459:
	s_or_b32 exec_lo, exec_lo, s1
.LBB118_460:
	s_andn2_saveexec_b32 s0, s0
	s_cbranch_execz .LBB118_462
; %bb.461:
	v_mov_b32_e32 v0, 21
	ds_write2_b64 v1, v[150:151], v[152:153] offset0:44 offset1:45
	ds_write2_b64 v1, v[146:147], v[148:149] offset0:46 offset1:47
	;; [unrolled: 1-line block ×38, first 2 shown]
.LBB118_462:
	s_or_b32 exec_lo, exec_lo, s0
	s_mov_b32 s0, exec_lo
	s_waitcnt lgkmcnt(0)
	s_waitcnt_vscnt null, 0x0
	s_barrier
	buffer_gl0_inv
	v_cmpx_lt_i32_e32 21, v0
	s_cbranch_execz .LBB118_464
; %bb.463:
	v_mul_f64 v[214:215], v[244:245], v[156:157]
	v_mul_f64 v[156:157], v[242:243], v[156:157]
	ds_read2_b64 v[234:237], v1 offset0:44 offset1:45
	v_fma_f64 v[250:251], v[242:243], v[154:155], -v[214:215]
	v_fma_f64 v[156:157], v[244:245], v[154:155], v[156:157]
	s_waitcnt lgkmcnt(0)
	v_mul_f64 v[154:155], v[236:237], v[156:157]
	v_mul_f64 v[214:215], v[234:235], v[156:157]
	v_fma_f64 v[154:155], v[234:235], v[250:251], -v[154:155]
	v_fma_f64 v[214:215], v[236:237], v[250:251], v[214:215]
	ds_read2_b64 v[234:237], v1 offset0:46 offset1:47
	v_add_f64 v[150:151], v[150:151], -v[154:155]
	v_add_f64 v[152:153], v[152:153], -v[214:215]
	s_waitcnt lgkmcnt(0)
	v_mul_f64 v[154:155], v[236:237], v[156:157]
	v_mul_f64 v[214:215], v[234:235], v[156:157]
	v_fma_f64 v[154:155], v[234:235], v[250:251], -v[154:155]
	v_fma_f64 v[214:215], v[236:237], v[250:251], v[214:215]
	ds_read2_b64 v[234:237], v1 offset0:48 offset1:49
	v_add_f64 v[146:147], v[146:147], -v[154:155]
	v_add_f64 v[148:149], v[148:149], -v[214:215]
	;; [unrolled: 8-line block ×37, first 2 shown]
	s_waitcnt lgkmcnt(0)
	v_mul_f64 v[154:155], v[236:237], v[156:157]
	v_mul_f64 v[214:215], v[234:235], v[156:157]
	v_fma_f64 v[154:155], v[234:235], v[250:251], -v[154:155]
	v_fma_f64 v[214:215], v[236:237], v[250:251], v[214:215]
	v_add_f64 v[226:227], v[226:227], -v[154:155]
	v_add_f64 v[228:229], v[228:229], -v[214:215]
	v_mov_b32_e32 v154, v250
	v_mov_b32_e32 v155, v251
.LBB118_464:
	s_or_b32 exec_lo, exec_lo, s0
	v_lshl_add_u32 v214, v0, 4, v1
	s_barrier
	buffer_gl0_inv
	v_mov_b32_e32 v250, 22
	ds_write2_b64 v214, v[150:151], v[152:153] offset1:1
	s_waitcnt lgkmcnt(0)
	s_barrier
	buffer_gl0_inv
	ds_read2_b64 v[242:245], v1 offset0:44 offset1:45
	s_cmp_lt_i32 s8, 24
	s_cbranch_scc1 .LBB118_467
; %bb.465:
	v_add3_u32 v247, v246, 0, 0x170
	v_mov_b32_e32 v250, 22
	s_mov_b32 s0, 23
	s_inst_prefetch 0x1
	.p2align	6
.LBB118_466:                            ; =>This Inner Loop Header: Depth=1
	s_waitcnt lgkmcnt(0)
	v_cmp_gt_f64_e32 vcc_lo, 0, v[242:243]
	v_xor_b32_e32 v214, 0x80000000, v243
	ds_read2_b64 v[234:237], v247 offset1:1
	v_xor_b32_e32 v216, 0x80000000, v245
	v_add_nc_u32_e32 v247, 16, v247
	s_waitcnt lgkmcnt(0)
	v_xor_b32_e32 v218, 0x80000000, v237
	v_cndmask_b32_e32 v215, v243, v214, vcc_lo
	v_cmp_gt_f64_e32 vcc_lo, 0, v[244:245]
	v_mov_b32_e32 v214, v242
	v_cndmask_b32_e32 v217, v245, v216, vcc_lo
	v_cmp_gt_f64_e32 vcc_lo, 0, v[234:235]
	v_mov_b32_e32 v216, v244
	v_add_f64 v[214:215], v[214:215], v[216:217]
	v_xor_b32_e32 v216, 0x80000000, v235
	v_cndmask_b32_e32 v217, v235, v216, vcc_lo
	v_cmp_gt_f64_e32 vcc_lo, 0, v[236:237]
	v_mov_b32_e32 v216, v234
	v_cndmask_b32_e32 v219, v237, v218, vcc_lo
	v_mov_b32_e32 v218, v236
	v_add_f64 v[216:217], v[216:217], v[218:219]
	v_cmp_lt_f64_e32 vcc_lo, v[214:215], v[216:217]
	v_cndmask_b32_e32 v243, v243, v235, vcc_lo
	v_cndmask_b32_e32 v242, v242, v234, vcc_lo
	;; [unrolled: 1-line block ×4, first 2 shown]
	v_cndmask_b32_e64 v250, v250, s0, vcc_lo
	s_add_i32 s0, s0, 1
	s_cmp_lg_u32 s8, s0
	s_cbranch_scc1 .LBB118_466
.LBB118_467:
	s_inst_prefetch 0x2
	s_waitcnt lgkmcnt(0)
	v_cmp_eq_f64_e32 vcc_lo, 0, v[242:243]
	v_cmp_eq_f64_e64 s0, 0, v[244:245]
	s_and_b32 s0, vcc_lo, s0
	s_and_saveexec_b32 s1, s0
	s_xor_b32 s0, exec_lo, s1
; %bb.468:
	v_cmp_ne_u32_e32 vcc_lo, 0, v255
	v_cndmask_b32_e32 v255, 23, v255, vcc_lo
; %bb.469:
	s_andn2_saveexec_b32 s0, s0
	s_cbranch_execz .LBB118_475
; %bb.470:
	v_cmp_ngt_f64_e64 s1, |v[242:243]|, |v[244:245]|
	s_and_saveexec_b32 s7, s1
	s_xor_b32 s1, exec_lo, s7
	s_cbranch_execz .LBB118_472
; %bb.471:
	v_div_scale_f64 v[214:215], null, v[244:245], v[244:245], v[242:243]
	v_div_scale_f64 v[220:221], vcc_lo, v[242:243], v[244:245], v[242:243]
	v_rcp_f64_e32 v[216:217], v[214:215]
	v_fma_f64 v[218:219], -v[214:215], v[216:217], 1.0
	v_fma_f64 v[216:217], v[216:217], v[218:219], v[216:217]
	v_fma_f64 v[218:219], -v[214:215], v[216:217], 1.0
	v_fma_f64 v[216:217], v[216:217], v[218:219], v[216:217]
	v_mul_f64 v[218:219], v[220:221], v[216:217]
	v_fma_f64 v[214:215], -v[214:215], v[218:219], v[220:221]
	v_div_fmas_f64 v[214:215], v[214:215], v[216:217], v[218:219]
	v_div_fixup_f64 v[214:215], v[214:215], v[244:245], v[242:243]
	v_fma_f64 v[216:217], v[242:243], v[214:215], v[244:245]
	v_div_scale_f64 v[218:219], null, v[216:217], v[216:217], 1.0
	v_rcp_f64_e32 v[220:221], v[218:219]
	v_fma_f64 v[222:223], -v[218:219], v[220:221], 1.0
	v_fma_f64 v[220:221], v[220:221], v[222:223], v[220:221]
	v_fma_f64 v[222:223], -v[218:219], v[220:221], 1.0
	v_fma_f64 v[220:221], v[220:221], v[222:223], v[220:221]
	v_div_scale_f64 v[222:223], vcc_lo, 1.0, v[216:217], 1.0
	v_mul_f64 v[224:225], v[222:223], v[220:221]
	v_fma_f64 v[218:219], -v[218:219], v[224:225], v[222:223]
	v_div_fmas_f64 v[218:219], v[218:219], v[220:221], v[224:225]
	v_div_fixup_f64 v[244:245], v[218:219], v[216:217], 1.0
	v_mul_f64 v[242:243], v[214:215], v[244:245]
	v_xor_b32_e32 v245, 0x80000000, v245
.LBB118_472:
	s_andn2_saveexec_b32 s1, s1
	s_cbranch_execz .LBB118_474
; %bb.473:
	v_div_scale_f64 v[214:215], null, v[242:243], v[242:243], v[244:245]
	v_div_scale_f64 v[220:221], vcc_lo, v[244:245], v[242:243], v[244:245]
	v_rcp_f64_e32 v[216:217], v[214:215]
	v_fma_f64 v[218:219], -v[214:215], v[216:217], 1.0
	v_fma_f64 v[216:217], v[216:217], v[218:219], v[216:217]
	v_fma_f64 v[218:219], -v[214:215], v[216:217], 1.0
	v_fma_f64 v[216:217], v[216:217], v[218:219], v[216:217]
	v_mul_f64 v[218:219], v[220:221], v[216:217]
	v_fma_f64 v[214:215], -v[214:215], v[218:219], v[220:221]
	v_div_fmas_f64 v[214:215], v[214:215], v[216:217], v[218:219]
	v_div_fixup_f64 v[214:215], v[214:215], v[242:243], v[244:245]
	v_fma_f64 v[216:217], v[244:245], v[214:215], v[242:243]
	v_div_scale_f64 v[218:219], null, v[216:217], v[216:217], 1.0
	v_rcp_f64_e32 v[220:221], v[218:219]
	v_fma_f64 v[222:223], -v[218:219], v[220:221], 1.0
	v_fma_f64 v[220:221], v[220:221], v[222:223], v[220:221]
	v_fma_f64 v[222:223], -v[218:219], v[220:221], 1.0
	v_fma_f64 v[220:221], v[220:221], v[222:223], v[220:221]
	v_div_scale_f64 v[222:223], vcc_lo, 1.0, v[216:217], 1.0
	v_mul_f64 v[224:225], v[222:223], v[220:221]
	v_fma_f64 v[218:219], -v[218:219], v[224:225], v[222:223]
	v_div_fmas_f64 v[218:219], v[218:219], v[220:221], v[224:225]
	v_div_fixup_f64 v[242:243], v[218:219], v[216:217], 1.0
	v_mul_f64 v[244:245], v[214:215], -v[242:243]
.LBB118_474:
	s_or_b32 exec_lo, exec_lo, s1
.LBB118_475:
	s_or_b32 exec_lo, exec_lo, s0
	s_mov_b32 s0, exec_lo
	v_cmpx_ne_u32_e64 v0, v250
	s_xor_b32 s0, exec_lo, s0
	s_cbranch_execz .LBB118_481
; %bb.476:
	s_mov_b32 s1, exec_lo
	v_cmpx_eq_u32_e32 22, v0
	s_cbranch_execz .LBB118_480
; %bb.477:
	v_cmp_ne_u32_e32 vcc_lo, 22, v250
	s_xor_b32 s7, s16, -1
	s_and_b32 s9, s7, vcc_lo
	s_and_saveexec_b32 s7, s9
	s_cbranch_execz .LBB118_479
; %bb.478:
	s_clause 0x1
	buffer_load_dword v210, off, s[20:23], 0 offset:16
	buffer_load_dword v211, off, s[20:23], 0 offset:20
	v_ashrrev_i32_e32 v251, 31, v250
	v_lshlrev_b64 v[214:215], 2, v[250:251]
	s_waitcnt vmcnt(1)
	v_add_co_u32 v214, vcc_lo, v210, v214
	s_waitcnt vmcnt(0)
	v_add_co_ci_u32_e64 v215, null, v211, v215, vcc_lo
	s_clause 0x1
	global_load_dword v0, v[214:215], off
	global_load_dword v216, v[210:211], off offset:88
	s_waitcnt vmcnt(1)
	global_store_dword v[210:211], v0, off offset:88
	s_waitcnt vmcnt(0)
	global_store_dword v[214:215], v216, off
.LBB118_479:
	s_or_b32 exec_lo, exec_lo, s7
	v_mov_b32_e32 v0, v250
	v_mov_b32_e32 v253, v250
.LBB118_480:
	s_or_b32 exec_lo, exec_lo, s1
.LBB118_481:
	s_andn2_saveexec_b32 s0, s0
	s_cbranch_execz .LBB118_483
; %bb.482:
	v_mov_b32_e32 v0, 22
	ds_write2_b64 v1, v[146:147], v[148:149] offset0:46 offset1:47
	ds_write2_b64 v1, v[142:143], v[144:145] offset0:48 offset1:49
	;; [unrolled: 1-line block ×37, first 2 shown]
.LBB118_483:
	s_or_b32 exec_lo, exec_lo, s0
	s_mov_b32 s0, exec_lo
	s_waitcnt lgkmcnt(0)
	s_waitcnt_vscnt null, 0x0
	s_barrier
	buffer_gl0_inv
	v_cmpx_lt_i32_e32 22, v0
	s_cbranch_execz .LBB118_485
; %bb.484:
	v_mul_f64 v[214:215], v[244:245], v[152:153]
	v_mul_f64 v[152:153], v[242:243], v[152:153]
	ds_read2_b64 v[234:237], v1 offset0:46 offset1:47
	v_fma_f64 v[250:251], v[242:243], v[150:151], -v[214:215]
	v_fma_f64 v[152:153], v[244:245], v[150:151], v[152:153]
	s_waitcnt lgkmcnt(0)
	v_mul_f64 v[150:151], v[236:237], v[152:153]
	v_mul_f64 v[214:215], v[234:235], v[152:153]
	v_fma_f64 v[150:151], v[234:235], v[250:251], -v[150:151]
	v_fma_f64 v[214:215], v[236:237], v[250:251], v[214:215]
	ds_read2_b64 v[234:237], v1 offset0:48 offset1:49
	v_add_f64 v[146:147], v[146:147], -v[150:151]
	v_add_f64 v[148:149], v[148:149], -v[214:215]
	s_waitcnt lgkmcnt(0)
	v_mul_f64 v[150:151], v[236:237], v[152:153]
	v_mul_f64 v[214:215], v[234:235], v[152:153]
	v_fma_f64 v[150:151], v[234:235], v[250:251], -v[150:151]
	v_fma_f64 v[214:215], v[236:237], v[250:251], v[214:215]
	ds_read2_b64 v[234:237], v1 offset0:50 offset1:51
	v_add_f64 v[142:143], v[142:143], -v[150:151]
	v_add_f64 v[144:145], v[144:145], -v[214:215]
	s_waitcnt lgkmcnt(0)
	v_mul_f64 v[150:151], v[236:237], v[152:153]
	v_mul_f64 v[214:215], v[234:235], v[152:153]
	v_fma_f64 v[150:151], v[234:235], v[250:251], -v[150:151]
	v_fma_f64 v[214:215], v[236:237], v[250:251], v[214:215]
	ds_read2_b64 v[234:237], v1 offset0:52 offset1:53
	v_add_f64 v[138:139], v[138:139], -v[150:151]
	v_add_f64 v[140:141], v[140:141], -v[214:215]
	s_waitcnt lgkmcnt(0)
	v_mul_f64 v[150:151], v[236:237], v[152:153]
	v_mul_f64 v[214:215], v[234:235], v[152:153]
	v_fma_f64 v[150:151], v[234:235], v[250:251], -v[150:151]
	v_fma_f64 v[214:215], v[236:237], v[250:251], v[214:215]
	ds_read2_b64 v[234:237], v1 offset0:54 offset1:55
	v_add_f64 v[134:135], v[134:135], -v[150:151]
	v_add_f64 v[136:137], v[136:137], -v[214:215]
	s_waitcnt lgkmcnt(0)
	v_mul_f64 v[150:151], v[236:237], v[152:153]
	v_mul_f64 v[214:215], v[234:235], v[152:153]
	v_fma_f64 v[150:151], v[234:235], v[250:251], -v[150:151]
	v_fma_f64 v[214:215], v[236:237], v[250:251], v[214:215]
	ds_read2_b64 v[234:237], v1 offset0:56 offset1:57
	v_add_f64 v[130:131], v[130:131], -v[150:151]
	v_add_f64 v[132:133], v[132:133], -v[214:215]
	s_waitcnt lgkmcnt(0)
	v_mul_f64 v[150:151], v[236:237], v[152:153]
	v_mul_f64 v[214:215], v[234:235], v[152:153]
	v_fma_f64 v[150:151], v[234:235], v[250:251], -v[150:151]
	v_fma_f64 v[214:215], v[236:237], v[250:251], v[214:215]
	ds_read2_b64 v[234:237], v1 offset0:58 offset1:59
	v_add_f64 v[126:127], v[126:127], -v[150:151]
	v_add_f64 v[128:129], v[128:129], -v[214:215]
	s_waitcnt lgkmcnt(0)
	v_mul_f64 v[150:151], v[236:237], v[152:153]
	v_mul_f64 v[214:215], v[234:235], v[152:153]
	v_fma_f64 v[150:151], v[234:235], v[250:251], -v[150:151]
	v_fma_f64 v[214:215], v[236:237], v[250:251], v[214:215]
	ds_read2_b64 v[234:237], v1 offset0:60 offset1:61
	v_add_f64 v[122:123], v[122:123], -v[150:151]
	v_add_f64 v[124:125], v[124:125], -v[214:215]
	s_waitcnt lgkmcnt(0)
	v_mul_f64 v[150:151], v[236:237], v[152:153]
	v_mul_f64 v[214:215], v[234:235], v[152:153]
	v_fma_f64 v[150:151], v[234:235], v[250:251], -v[150:151]
	v_fma_f64 v[214:215], v[236:237], v[250:251], v[214:215]
	ds_read2_b64 v[234:237], v1 offset0:62 offset1:63
	v_add_f64 v[118:119], v[118:119], -v[150:151]
	v_add_f64 v[120:121], v[120:121], -v[214:215]
	s_waitcnt lgkmcnt(0)
	v_mul_f64 v[150:151], v[236:237], v[152:153]
	v_mul_f64 v[214:215], v[234:235], v[152:153]
	v_fma_f64 v[150:151], v[234:235], v[250:251], -v[150:151]
	v_fma_f64 v[214:215], v[236:237], v[250:251], v[214:215]
	ds_read2_b64 v[234:237], v1 offset0:64 offset1:65
	v_add_f64 v[114:115], v[114:115], -v[150:151]
	v_add_f64 v[116:117], v[116:117], -v[214:215]
	s_waitcnt lgkmcnt(0)
	v_mul_f64 v[150:151], v[236:237], v[152:153]
	v_mul_f64 v[214:215], v[234:235], v[152:153]
	v_fma_f64 v[150:151], v[234:235], v[250:251], -v[150:151]
	v_fma_f64 v[214:215], v[236:237], v[250:251], v[214:215]
	ds_read2_b64 v[234:237], v1 offset0:66 offset1:67
	v_add_f64 v[110:111], v[110:111], -v[150:151]
	v_add_f64 v[112:113], v[112:113], -v[214:215]
	s_waitcnt lgkmcnt(0)
	v_mul_f64 v[150:151], v[236:237], v[152:153]
	v_mul_f64 v[214:215], v[234:235], v[152:153]
	v_fma_f64 v[150:151], v[234:235], v[250:251], -v[150:151]
	v_fma_f64 v[214:215], v[236:237], v[250:251], v[214:215]
	ds_read2_b64 v[234:237], v1 offset0:68 offset1:69
	v_add_f64 v[106:107], v[106:107], -v[150:151]
	v_add_f64 v[108:109], v[108:109], -v[214:215]
	s_waitcnt lgkmcnt(0)
	v_mul_f64 v[150:151], v[236:237], v[152:153]
	v_mul_f64 v[214:215], v[234:235], v[152:153]
	v_fma_f64 v[150:151], v[234:235], v[250:251], -v[150:151]
	v_fma_f64 v[214:215], v[236:237], v[250:251], v[214:215]
	ds_read2_b64 v[234:237], v1 offset0:70 offset1:71
	v_add_f64 v[102:103], v[102:103], -v[150:151]
	v_add_f64 v[104:105], v[104:105], -v[214:215]
	s_waitcnt lgkmcnt(0)
	v_mul_f64 v[150:151], v[236:237], v[152:153]
	v_mul_f64 v[214:215], v[234:235], v[152:153]
	v_fma_f64 v[150:151], v[234:235], v[250:251], -v[150:151]
	v_fma_f64 v[214:215], v[236:237], v[250:251], v[214:215]
	ds_read2_b64 v[234:237], v1 offset0:72 offset1:73
	v_add_f64 v[98:99], v[98:99], -v[150:151]
	v_add_f64 v[100:101], v[100:101], -v[214:215]
	s_waitcnt lgkmcnt(0)
	v_mul_f64 v[150:151], v[236:237], v[152:153]
	v_mul_f64 v[214:215], v[234:235], v[152:153]
	v_fma_f64 v[150:151], v[234:235], v[250:251], -v[150:151]
	v_fma_f64 v[214:215], v[236:237], v[250:251], v[214:215]
	ds_read2_b64 v[234:237], v1 offset0:74 offset1:75
	v_add_f64 v[94:95], v[94:95], -v[150:151]
	v_add_f64 v[96:97], v[96:97], -v[214:215]
	s_waitcnt lgkmcnt(0)
	v_mul_f64 v[150:151], v[236:237], v[152:153]
	v_mul_f64 v[214:215], v[234:235], v[152:153]
	v_fma_f64 v[150:151], v[234:235], v[250:251], -v[150:151]
	v_fma_f64 v[214:215], v[236:237], v[250:251], v[214:215]
	ds_read2_b64 v[234:237], v1 offset0:76 offset1:77
	v_add_f64 v[90:91], v[90:91], -v[150:151]
	v_add_f64 v[92:93], v[92:93], -v[214:215]
	s_waitcnt lgkmcnt(0)
	v_mul_f64 v[150:151], v[236:237], v[152:153]
	v_mul_f64 v[214:215], v[234:235], v[152:153]
	v_fma_f64 v[150:151], v[234:235], v[250:251], -v[150:151]
	v_fma_f64 v[214:215], v[236:237], v[250:251], v[214:215]
	ds_read2_b64 v[234:237], v1 offset0:78 offset1:79
	v_add_f64 v[86:87], v[86:87], -v[150:151]
	v_add_f64 v[88:89], v[88:89], -v[214:215]
	s_waitcnt lgkmcnt(0)
	v_mul_f64 v[150:151], v[236:237], v[152:153]
	v_mul_f64 v[214:215], v[234:235], v[152:153]
	v_fma_f64 v[150:151], v[234:235], v[250:251], -v[150:151]
	v_fma_f64 v[214:215], v[236:237], v[250:251], v[214:215]
	ds_read2_b64 v[234:237], v1 offset0:80 offset1:81
	v_add_f64 v[82:83], v[82:83], -v[150:151]
	v_add_f64 v[84:85], v[84:85], -v[214:215]
	s_waitcnt lgkmcnt(0)
	v_mul_f64 v[150:151], v[236:237], v[152:153]
	v_mul_f64 v[214:215], v[234:235], v[152:153]
	v_fma_f64 v[150:151], v[234:235], v[250:251], -v[150:151]
	v_fma_f64 v[214:215], v[236:237], v[250:251], v[214:215]
	ds_read2_b64 v[234:237], v1 offset0:82 offset1:83
	v_add_f64 v[78:79], v[78:79], -v[150:151]
	v_add_f64 v[80:81], v[80:81], -v[214:215]
	s_waitcnt lgkmcnt(0)
	v_mul_f64 v[150:151], v[236:237], v[152:153]
	v_mul_f64 v[214:215], v[234:235], v[152:153]
	v_fma_f64 v[150:151], v[234:235], v[250:251], -v[150:151]
	v_fma_f64 v[214:215], v[236:237], v[250:251], v[214:215]
	ds_read2_b64 v[234:237], v1 offset0:84 offset1:85
	v_add_f64 v[74:75], v[74:75], -v[150:151]
	v_add_f64 v[76:77], v[76:77], -v[214:215]
	s_waitcnt lgkmcnt(0)
	v_mul_f64 v[150:151], v[236:237], v[152:153]
	v_mul_f64 v[214:215], v[234:235], v[152:153]
	v_fma_f64 v[150:151], v[234:235], v[250:251], -v[150:151]
	v_fma_f64 v[214:215], v[236:237], v[250:251], v[214:215]
	ds_read2_b64 v[234:237], v1 offset0:86 offset1:87
	v_add_f64 v[70:71], v[70:71], -v[150:151]
	v_add_f64 v[72:73], v[72:73], -v[214:215]
	s_waitcnt lgkmcnt(0)
	v_mul_f64 v[150:151], v[236:237], v[152:153]
	v_mul_f64 v[214:215], v[234:235], v[152:153]
	v_fma_f64 v[150:151], v[234:235], v[250:251], -v[150:151]
	v_fma_f64 v[214:215], v[236:237], v[250:251], v[214:215]
	ds_read2_b64 v[234:237], v1 offset0:88 offset1:89
	v_add_f64 v[66:67], v[66:67], -v[150:151]
	v_add_f64 v[68:69], v[68:69], -v[214:215]
	s_waitcnt lgkmcnt(0)
	v_mul_f64 v[150:151], v[236:237], v[152:153]
	v_mul_f64 v[214:215], v[234:235], v[152:153]
	v_fma_f64 v[150:151], v[234:235], v[250:251], -v[150:151]
	v_fma_f64 v[214:215], v[236:237], v[250:251], v[214:215]
	ds_read2_b64 v[234:237], v1 offset0:90 offset1:91
	v_add_f64 v[62:63], v[62:63], -v[150:151]
	v_add_f64 v[64:65], v[64:65], -v[214:215]
	s_waitcnt lgkmcnt(0)
	v_mul_f64 v[150:151], v[236:237], v[152:153]
	v_mul_f64 v[214:215], v[234:235], v[152:153]
	v_fma_f64 v[150:151], v[234:235], v[250:251], -v[150:151]
	v_fma_f64 v[214:215], v[236:237], v[250:251], v[214:215]
	ds_read2_b64 v[234:237], v1 offset0:92 offset1:93
	v_add_f64 v[58:59], v[58:59], -v[150:151]
	v_add_f64 v[60:61], v[60:61], -v[214:215]
	s_waitcnt lgkmcnt(0)
	v_mul_f64 v[150:151], v[236:237], v[152:153]
	v_mul_f64 v[214:215], v[234:235], v[152:153]
	v_fma_f64 v[150:151], v[234:235], v[250:251], -v[150:151]
	v_fma_f64 v[214:215], v[236:237], v[250:251], v[214:215]
	ds_read2_b64 v[234:237], v1 offset0:94 offset1:95
	v_add_f64 v[54:55], v[54:55], -v[150:151]
	v_add_f64 v[56:57], v[56:57], -v[214:215]
	s_waitcnt lgkmcnt(0)
	v_mul_f64 v[150:151], v[236:237], v[152:153]
	v_mul_f64 v[214:215], v[234:235], v[152:153]
	v_fma_f64 v[150:151], v[234:235], v[250:251], -v[150:151]
	v_fma_f64 v[214:215], v[236:237], v[250:251], v[214:215]
	ds_read2_b64 v[234:237], v1 offset0:96 offset1:97
	v_add_f64 v[50:51], v[50:51], -v[150:151]
	v_add_f64 v[52:53], v[52:53], -v[214:215]
	s_waitcnt lgkmcnt(0)
	v_mul_f64 v[150:151], v[236:237], v[152:153]
	v_mul_f64 v[214:215], v[234:235], v[152:153]
	v_fma_f64 v[150:151], v[234:235], v[250:251], -v[150:151]
	v_fma_f64 v[214:215], v[236:237], v[250:251], v[214:215]
	ds_read2_b64 v[234:237], v1 offset0:98 offset1:99
	v_add_f64 v[46:47], v[46:47], -v[150:151]
	v_add_f64 v[48:49], v[48:49], -v[214:215]
	s_waitcnt lgkmcnt(0)
	v_mul_f64 v[150:151], v[236:237], v[152:153]
	v_mul_f64 v[214:215], v[234:235], v[152:153]
	v_fma_f64 v[150:151], v[234:235], v[250:251], -v[150:151]
	v_fma_f64 v[214:215], v[236:237], v[250:251], v[214:215]
	ds_read2_b64 v[234:237], v1 offset0:100 offset1:101
	v_add_f64 v[42:43], v[42:43], -v[150:151]
	v_add_f64 v[44:45], v[44:45], -v[214:215]
	s_waitcnt lgkmcnt(0)
	v_mul_f64 v[150:151], v[236:237], v[152:153]
	v_mul_f64 v[214:215], v[234:235], v[152:153]
	v_fma_f64 v[150:151], v[234:235], v[250:251], -v[150:151]
	v_fma_f64 v[214:215], v[236:237], v[250:251], v[214:215]
	ds_read2_b64 v[234:237], v1 offset0:102 offset1:103
	v_add_f64 v[38:39], v[38:39], -v[150:151]
	v_add_f64 v[40:41], v[40:41], -v[214:215]
	s_waitcnt lgkmcnt(0)
	v_mul_f64 v[150:151], v[236:237], v[152:153]
	v_mul_f64 v[214:215], v[234:235], v[152:153]
	v_fma_f64 v[150:151], v[234:235], v[250:251], -v[150:151]
	v_fma_f64 v[214:215], v[236:237], v[250:251], v[214:215]
	ds_read2_b64 v[234:237], v1 offset0:104 offset1:105
	v_add_f64 v[34:35], v[34:35], -v[150:151]
	v_add_f64 v[36:37], v[36:37], -v[214:215]
	s_waitcnt lgkmcnt(0)
	v_mul_f64 v[150:151], v[236:237], v[152:153]
	v_mul_f64 v[214:215], v[234:235], v[152:153]
	v_fma_f64 v[150:151], v[234:235], v[250:251], -v[150:151]
	v_fma_f64 v[214:215], v[236:237], v[250:251], v[214:215]
	ds_read2_b64 v[234:237], v1 offset0:106 offset1:107
	v_add_f64 v[30:31], v[30:31], -v[150:151]
	v_add_f64 v[32:33], v[32:33], -v[214:215]
	s_waitcnt lgkmcnt(0)
	v_mul_f64 v[150:151], v[236:237], v[152:153]
	v_mul_f64 v[214:215], v[234:235], v[152:153]
	v_fma_f64 v[150:151], v[234:235], v[250:251], -v[150:151]
	v_fma_f64 v[214:215], v[236:237], v[250:251], v[214:215]
	ds_read2_b64 v[234:237], v1 offset0:108 offset1:109
	v_add_f64 v[26:27], v[26:27], -v[150:151]
	v_add_f64 v[28:29], v[28:29], -v[214:215]
	s_waitcnt lgkmcnt(0)
	v_mul_f64 v[150:151], v[236:237], v[152:153]
	v_mul_f64 v[214:215], v[234:235], v[152:153]
	v_fma_f64 v[150:151], v[234:235], v[250:251], -v[150:151]
	v_fma_f64 v[214:215], v[236:237], v[250:251], v[214:215]
	ds_read2_b64 v[234:237], v1 offset0:110 offset1:111
	v_add_f64 v[22:23], v[22:23], -v[150:151]
	v_add_f64 v[24:25], v[24:25], -v[214:215]
	s_waitcnt lgkmcnt(0)
	v_mul_f64 v[150:151], v[236:237], v[152:153]
	v_mul_f64 v[214:215], v[234:235], v[152:153]
	v_fma_f64 v[150:151], v[234:235], v[250:251], -v[150:151]
	v_fma_f64 v[214:215], v[236:237], v[250:251], v[214:215]
	ds_read2_b64 v[234:237], v1 offset0:112 offset1:113
	v_add_f64 v[18:19], v[18:19], -v[150:151]
	v_add_f64 v[20:21], v[20:21], -v[214:215]
	s_waitcnt lgkmcnt(0)
	v_mul_f64 v[150:151], v[236:237], v[152:153]
	v_mul_f64 v[214:215], v[234:235], v[152:153]
	v_fma_f64 v[150:151], v[234:235], v[250:251], -v[150:151]
	v_fma_f64 v[214:215], v[236:237], v[250:251], v[214:215]
	ds_read2_b64 v[234:237], v1 offset0:114 offset1:115
	v_add_f64 v[14:15], v[14:15], -v[150:151]
	v_add_f64 v[16:17], v[16:17], -v[214:215]
	s_waitcnt lgkmcnt(0)
	v_mul_f64 v[150:151], v[236:237], v[152:153]
	v_mul_f64 v[214:215], v[234:235], v[152:153]
	v_fma_f64 v[150:151], v[234:235], v[250:251], -v[150:151]
	v_fma_f64 v[214:215], v[236:237], v[250:251], v[214:215]
	ds_read2_b64 v[234:237], v1 offset0:116 offset1:117
	v_add_f64 v[10:11], v[10:11], -v[150:151]
	v_add_f64 v[12:13], v[12:13], -v[214:215]
	s_waitcnt lgkmcnt(0)
	v_mul_f64 v[150:151], v[236:237], v[152:153]
	v_mul_f64 v[214:215], v[234:235], v[152:153]
	v_fma_f64 v[150:151], v[234:235], v[250:251], -v[150:151]
	v_fma_f64 v[214:215], v[236:237], v[250:251], v[214:215]
	ds_read2_b64 v[234:237], v1 offset0:118 offset1:119
	v_add_f64 v[238:239], v[238:239], -v[150:151]
	v_add_f64 v[240:241], v[240:241], -v[214:215]
	s_waitcnt lgkmcnt(0)
	v_mul_f64 v[150:151], v[236:237], v[152:153]
	v_mul_f64 v[214:215], v[234:235], v[152:153]
	v_fma_f64 v[150:151], v[234:235], v[250:251], -v[150:151]
	v_fma_f64 v[214:215], v[236:237], v[250:251], v[214:215]
	v_add_f64 v[226:227], v[226:227], -v[150:151]
	v_add_f64 v[228:229], v[228:229], -v[214:215]
	v_mov_b32_e32 v150, v250
	v_mov_b32_e32 v151, v251
.LBB118_485:
	s_or_b32 exec_lo, exec_lo, s0
	v_lshl_add_u32 v214, v0, 4, v1
	s_barrier
	buffer_gl0_inv
	v_mov_b32_e32 v250, 23
	ds_write2_b64 v214, v[146:147], v[148:149] offset1:1
	s_waitcnt lgkmcnt(0)
	s_barrier
	buffer_gl0_inv
	ds_read2_b64 v[242:245], v1 offset0:46 offset1:47
	s_cmp_lt_i32 s8, 25
	s_cbranch_scc1 .LBB118_488
; %bb.486:
	v_add3_u32 v247, v246, 0, 0x180
	v_mov_b32_e32 v250, 23
	s_mov_b32 s0, 24
	s_inst_prefetch 0x1
	.p2align	6
.LBB118_487:                            ; =>This Inner Loop Header: Depth=1
	s_waitcnt lgkmcnt(0)
	v_cmp_gt_f64_e32 vcc_lo, 0, v[242:243]
	v_xor_b32_e32 v214, 0x80000000, v243
	ds_read2_b64 v[234:237], v247 offset1:1
	v_xor_b32_e32 v216, 0x80000000, v245
	v_add_nc_u32_e32 v247, 16, v247
	s_waitcnt lgkmcnt(0)
	v_xor_b32_e32 v218, 0x80000000, v237
	v_cndmask_b32_e32 v215, v243, v214, vcc_lo
	v_cmp_gt_f64_e32 vcc_lo, 0, v[244:245]
	v_mov_b32_e32 v214, v242
	v_cndmask_b32_e32 v217, v245, v216, vcc_lo
	v_cmp_gt_f64_e32 vcc_lo, 0, v[234:235]
	v_mov_b32_e32 v216, v244
	v_add_f64 v[214:215], v[214:215], v[216:217]
	v_xor_b32_e32 v216, 0x80000000, v235
	v_cndmask_b32_e32 v217, v235, v216, vcc_lo
	v_cmp_gt_f64_e32 vcc_lo, 0, v[236:237]
	v_mov_b32_e32 v216, v234
	v_cndmask_b32_e32 v219, v237, v218, vcc_lo
	v_mov_b32_e32 v218, v236
	v_add_f64 v[216:217], v[216:217], v[218:219]
	v_cmp_lt_f64_e32 vcc_lo, v[214:215], v[216:217]
	v_cndmask_b32_e32 v243, v243, v235, vcc_lo
	v_cndmask_b32_e32 v242, v242, v234, vcc_lo
	;; [unrolled: 1-line block ×4, first 2 shown]
	v_cndmask_b32_e64 v250, v250, s0, vcc_lo
	s_add_i32 s0, s0, 1
	s_cmp_lg_u32 s8, s0
	s_cbranch_scc1 .LBB118_487
.LBB118_488:
	s_inst_prefetch 0x2
	s_waitcnt lgkmcnt(0)
	v_cmp_eq_f64_e32 vcc_lo, 0, v[242:243]
	v_cmp_eq_f64_e64 s0, 0, v[244:245]
	s_and_b32 s0, vcc_lo, s0
	s_and_saveexec_b32 s1, s0
	s_xor_b32 s0, exec_lo, s1
; %bb.489:
	v_cmp_ne_u32_e32 vcc_lo, 0, v255
	v_cndmask_b32_e32 v255, 24, v255, vcc_lo
; %bb.490:
	s_andn2_saveexec_b32 s0, s0
	s_cbranch_execz .LBB118_496
; %bb.491:
	v_cmp_ngt_f64_e64 s1, |v[242:243]|, |v[244:245]|
	s_and_saveexec_b32 s7, s1
	s_xor_b32 s1, exec_lo, s7
	s_cbranch_execz .LBB118_493
; %bb.492:
	v_div_scale_f64 v[214:215], null, v[244:245], v[244:245], v[242:243]
	v_div_scale_f64 v[220:221], vcc_lo, v[242:243], v[244:245], v[242:243]
	v_rcp_f64_e32 v[216:217], v[214:215]
	v_fma_f64 v[218:219], -v[214:215], v[216:217], 1.0
	v_fma_f64 v[216:217], v[216:217], v[218:219], v[216:217]
	v_fma_f64 v[218:219], -v[214:215], v[216:217], 1.0
	v_fma_f64 v[216:217], v[216:217], v[218:219], v[216:217]
	v_mul_f64 v[218:219], v[220:221], v[216:217]
	v_fma_f64 v[214:215], -v[214:215], v[218:219], v[220:221]
	v_div_fmas_f64 v[214:215], v[214:215], v[216:217], v[218:219]
	v_div_fixup_f64 v[214:215], v[214:215], v[244:245], v[242:243]
	v_fma_f64 v[216:217], v[242:243], v[214:215], v[244:245]
	v_div_scale_f64 v[218:219], null, v[216:217], v[216:217], 1.0
	v_rcp_f64_e32 v[220:221], v[218:219]
	v_fma_f64 v[222:223], -v[218:219], v[220:221], 1.0
	v_fma_f64 v[220:221], v[220:221], v[222:223], v[220:221]
	v_fma_f64 v[222:223], -v[218:219], v[220:221], 1.0
	v_fma_f64 v[220:221], v[220:221], v[222:223], v[220:221]
	v_div_scale_f64 v[222:223], vcc_lo, 1.0, v[216:217], 1.0
	v_mul_f64 v[224:225], v[222:223], v[220:221]
	v_fma_f64 v[218:219], -v[218:219], v[224:225], v[222:223]
	v_div_fmas_f64 v[218:219], v[218:219], v[220:221], v[224:225]
	v_div_fixup_f64 v[244:245], v[218:219], v[216:217], 1.0
	v_mul_f64 v[242:243], v[214:215], v[244:245]
	v_xor_b32_e32 v245, 0x80000000, v245
.LBB118_493:
	s_andn2_saveexec_b32 s1, s1
	s_cbranch_execz .LBB118_495
; %bb.494:
	v_div_scale_f64 v[214:215], null, v[242:243], v[242:243], v[244:245]
	v_div_scale_f64 v[220:221], vcc_lo, v[244:245], v[242:243], v[244:245]
	v_rcp_f64_e32 v[216:217], v[214:215]
	v_fma_f64 v[218:219], -v[214:215], v[216:217], 1.0
	v_fma_f64 v[216:217], v[216:217], v[218:219], v[216:217]
	v_fma_f64 v[218:219], -v[214:215], v[216:217], 1.0
	v_fma_f64 v[216:217], v[216:217], v[218:219], v[216:217]
	v_mul_f64 v[218:219], v[220:221], v[216:217]
	v_fma_f64 v[214:215], -v[214:215], v[218:219], v[220:221]
	v_div_fmas_f64 v[214:215], v[214:215], v[216:217], v[218:219]
	v_div_fixup_f64 v[214:215], v[214:215], v[242:243], v[244:245]
	v_fma_f64 v[216:217], v[244:245], v[214:215], v[242:243]
	v_div_scale_f64 v[218:219], null, v[216:217], v[216:217], 1.0
	v_rcp_f64_e32 v[220:221], v[218:219]
	v_fma_f64 v[222:223], -v[218:219], v[220:221], 1.0
	v_fma_f64 v[220:221], v[220:221], v[222:223], v[220:221]
	v_fma_f64 v[222:223], -v[218:219], v[220:221], 1.0
	v_fma_f64 v[220:221], v[220:221], v[222:223], v[220:221]
	v_div_scale_f64 v[222:223], vcc_lo, 1.0, v[216:217], 1.0
	v_mul_f64 v[224:225], v[222:223], v[220:221]
	v_fma_f64 v[218:219], -v[218:219], v[224:225], v[222:223]
	v_div_fmas_f64 v[218:219], v[218:219], v[220:221], v[224:225]
	v_div_fixup_f64 v[242:243], v[218:219], v[216:217], 1.0
	v_mul_f64 v[244:245], v[214:215], -v[242:243]
.LBB118_495:
	s_or_b32 exec_lo, exec_lo, s1
.LBB118_496:
	s_or_b32 exec_lo, exec_lo, s0
	s_mov_b32 s0, exec_lo
	v_cmpx_ne_u32_e64 v0, v250
	s_xor_b32 s0, exec_lo, s0
	s_cbranch_execz .LBB118_502
; %bb.497:
	s_mov_b32 s1, exec_lo
	v_cmpx_eq_u32_e32 23, v0
	s_cbranch_execz .LBB118_501
; %bb.498:
	v_cmp_ne_u32_e32 vcc_lo, 23, v250
	s_xor_b32 s7, s16, -1
	s_and_b32 s9, s7, vcc_lo
	s_and_saveexec_b32 s7, s9
	s_cbranch_execz .LBB118_500
; %bb.499:
	s_clause 0x1
	buffer_load_dword v210, off, s[20:23], 0 offset:16
	buffer_load_dword v211, off, s[20:23], 0 offset:20
	v_ashrrev_i32_e32 v251, 31, v250
	v_lshlrev_b64 v[214:215], 2, v[250:251]
	s_waitcnt vmcnt(1)
	v_add_co_u32 v214, vcc_lo, v210, v214
	s_waitcnt vmcnt(0)
	v_add_co_ci_u32_e64 v215, null, v211, v215, vcc_lo
	s_clause 0x1
	global_load_dword v0, v[214:215], off
	global_load_dword v216, v[210:211], off offset:92
	s_waitcnt vmcnt(1)
	global_store_dword v[210:211], v0, off offset:92
	s_waitcnt vmcnt(0)
	global_store_dword v[214:215], v216, off
.LBB118_500:
	s_or_b32 exec_lo, exec_lo, s7
	v_mov_b32_e32 v0, v250
	v_mov_b32_e32 v253, v250
.LBB118_501:
	s_or_b32 exec_lo, exec_lo, s1
.LBB118_502:
	s_andn2_saveexec_b32 s0, s0
	s_cbranch_execz .LBB118_504
; %bb.503:
	v_mov_b32_e32 v0, 23
	ds_write2_b64 v1, v[142:143], v[144:145] offset0:48 offset1:49
	ds_write2_b64 v1, v[138:139], v[140:141] offset0:50 offset1:51
	;; [unrolled: 1-line block ×36, first 2 shown]
.LBB118_504:
	s_or_b32 exec_lo, exec_lo, s0
	s_mov_b32 s0, exec_lo
	s_waitcnt lgkmcnt(0)
	s_waitcnt_vscnt null, 0x0
	s_barrier
	buffer_gl0_inv
	v_cmpx_lt_i32_e32 23, v0
	s_cbranch_execz .LBB118_506
; %bb.505:
	v_mul_f64 v[214:215], v[244:245], v[148:149]
	v_mul_f64 v[148:149], v[242:243], v[148:149]
	ds_read2_b64 v[234:237], v1 offset0:48 offset1:49
	v_fma_f64 v[250:251], v[242:243], v[146:147], -v[214:215]
	v_fma_f64 v[148:149], v[244:245], v[146:147], v[148:149]
	s_waitcnt lgkmcnt(0)
	v_mul_f64 v[146:147], v[236:237], v[148:149]
	v_mul_f64 v[214:215], v[234:235], v[148:149]
	v_fma_f64 v[146:147], v[234:235], v[250:251], -v[146:147]
	v_fma_f64 v[214:215], v[236:237], v[250:251], v[214:215]
	ds_read2_b64 v[234:237], v1 offset0:50 offset1:51
	v_add_f64 v[142:143], v[142:143], -v[146:147]
	v_add_f64 v[144:145], v[144:145], -v[214:215]
	s_waitcnt lgkmcnt(0)
	v_mul_f64 v[146:147], v[236:237], v[148:149]
	v_mul_f64 v[214:215], v[234:235], v[148:149]
	v_fma_f64 v[146:147], v[234:235], v[250:251], -v[146:147]
	v_fma_f64 v[214:215], v[236:237], v[250:251], v[214:215]
	ds_read2_b64 v[234:237], v1 offset0:52 offset1:53
	v_add_f64 v[138:139], v[138:139], -v[146:147]
	v_add_f64 v[140:141], v[140:141], -v[214:215]
	;; [unrolled: 8-line block ×35, first 2 shown]
	s_waitcnt lgkmcnt(0)
	v_mul_f64 v[146:147], v[236:237], v[148:149]
	v_mul_f64 v[214:215], v[234:235], v[148:149]
	v_fma_f64 v[146:147], v[234:235], v[250:251], -v[146:147]
	v_fma_f64 v[214:215], v[236:237], v[250:251], v[214:215]
	v_add_f64 v[226:227], v[226:227], -v[146:147]
	v_add_f64 v[228:229], v[228:229], -v[214:215]
	v_mov_b32_e32 v146, v250
	v_mov_b32_e32 v147, v251
.LBB118_506:
	s_or_b32 exec_lo, exec_lo, s0
	v_lshl_add_u32 v214, v0, 4, v1
	s_barrier
	buffer_gl0_inv
	v_mov_b32_e32 v250, 24
	ds_write2_b64 v214, v[142:143], v[144:145] offset1:1
	s_waitcnt lgkmcnt(0)
	s_barrier
	buffer_gl0_inv
	ds_read2_b64 v[242:245], v1 offset0:48 offset1:49
	s_cmp_lt_i32 s8, 26
	s_cbranch_scc1 .LBB118_509
; %bb.507:
	v_add3_u32 v247, v246, 0, 0x190
	v_mov_b32_e32 v250, 24
	s_mov_b32 s0, 25
	s_inst_prefetch 0x1
	.p2align	6
.LBB118_508:                            ; =>This Inner Loop Header: Depth=1
	s_waitcnt lgkmcnt(0)
	v_cmp_gt_f64_e32 vcc_lo, 0, v[242:243]
	v_xor_b32_e32 v214, 0x80000000, v243
	ds_read2_b64 v[234:237], v247 offset1:1
	v_xor_b32_e32 v216, 0x80000000, v245
	v_add_nc_u32_e32 v247, 16, v247
	s_waitcnt lgkmcnt(0)
	v_xor_b32_e32 v218, 0x80000000, v237
	v_cndmask_b32_e32 v215, v243, v214, vcc_lo
	v_cmp_gt_f64_e32 vcc_lo, 0, v[244:245]
	v_mov_b32_e32 v214, v242
	v_cndmask_b32_e32 v217, v245, v216, vcc_lo
	v_cmp_gt_f64_e32 vcc_lo, 0, v[234:235]
	v_mov_b32_e32 v216, v244
	v_add_f64 v[214:215], v[214:215], v[216:217]
	v_xor_b32_e32 v216, 0x80000000, v235
	v_cndmask_b32_e32 v217, v235, v216, vcc_lo
	v_cmp_gt_f64_e32 vcc_lo, 0, v[236:237]
	v_mov_b32_e32 v216, v234
	v_cndmask_b32_e32 v219, v237, v218, vcc_lo
	v_mov_b32_e32 v218, v236
	v_add_f64 v[216:217], v[216:217], v[218:219]
	v_cmp_lt_f64_e32 vcc_lo, v[214:215], v[216:217]
	v_cndmask_b32_e32 v243, v243, v235, vcc_lo
	v_cndmask_b32_e32 v242, v242, v234, vcc_lo
	;; [unrolled: 1-line block ×4, first 2 shown]
	v_cndmask_b32_e64 v250, v250, s0, vcc_lo
	s_add_i32 s0, s0, 1
	s_cmp_lg_u32 s8, s0
	s_cbranch_scc1 .LBB118_508
.LBB118_509:
	s_inst_prefetch 0x2
	s_waitcnt lgkmcnt(0)
	v_cmp_eq_f64_e32 vcc_lo, 0, v[242:243]
	v_cmp_eq_f64_e64 s0, 0, v[244:245]
	s_and_b32 s0, vcc_lo, s0
	s_and_saveexec_b32 s1, s0
	s_xor_b32 s0, exec_lo, s1
; %bb.510:
	v_cmp_ne_u32_e32 vcc_lo, 0, v255
	v_cndmask_b32_e32 v255, 25, v255, vcc_lo
; %bb.511:
	s_andn2_saveexec_b32 s0, s0
	s_cbranch_execz .LBB118_517
; %bb.512:
	v_cmp_ngt_f64_e64 s1, |v[242:243]|, |v[244:245]|
	s_and_saveexec_b32 s7, s1
	s_xor_b32 s1, exec_lo, s7
	s_cbranch_execz .LBB118_514
; %bb.513:
	v_div_scale_f64 v[214:215], null, v[244:245], v[244:245], v[242:243]
	v_div_scale_f64 v[220:221], vcc_lo, v[242:243], v[244:245], v[242:243]
	v_rcp_f64_e32 v[216:217], v[214:215]
	v_fma_f64 v[218:219], -v[214:215], v[216:217], 1.0
	v_fma_f64 v[216:217], v[216:217], v[218:219], v[216:217]
	v_fma_f64 v[218:219], -v[214:215], v[216:217], 1.0
	v_fma_f64 v[216:217], v[216:217], v[218:219], v[216:217]
	v_mul_f64 v[218:219], v[220:221], v[216:217]
	v_fma_f64 v[214:215], -v[214:215], v[218:219], v[220:221]
	v_div_fmas_f64 v[214:215], v[214:215], v[216:217], v[218:219]
	v_div_fixup_f64 v[214:215], v[214:215], v[244:245], v[242:243]
	v_fma_f64 v[216:217], v[242:243], v[214:215], v[244:245]
	v_div_scale_f64 v[218:219], null, v[216:217], v[216:217], 1.0
	v_rcp_f64_e32 v[220:221], v[218:219]
	v_fma_f64 v[222:223], -v[218:219], v[220:221], 1.0
	v_fma_f64 v[220:221], v[220:221], v[222:223], v[220:221]
	v_fma_f64 v[222:223], -v[218:219], v[220:221], 1.0
	v_fma_f64 v[220:221], v[220:221], v[222:223], v[220:221]
	v_div_scale_f64 v[222:223], vcc_lo, 1.0, v[216:217], 1.0
	v_mul_f64 v[224:225], v[222:223], v[220:221]
	v_fma_f64 v[218:219], -v[218:219], v[224:225], v[222:223]
	v_div_fmas_f64 v[218:219], v[218:219], v[220:221], v[224:225]
	v_div_fixup_f64 v[244:245], v[218:219], v[216:217], 1.0
	v_mul_f64 v[242:243], v[214:215], v[244:245]
	v_xor_b32_e32 v245, 0x80000000, v245
.LBB118_514:
	s_andn2_saveexec_b32 s1, s1
	s_cbranch_execz .LBB118_516
; %bb.515:
	v_div_scale_f64 v[214:215], null, v[242:243], v[242:243], v[244:245]
	v_div_scale_f64 v[220:221], vcc_lo, v[244:245], v[242:243], v[244:245]
	v_rcp_f64_e32 v[216:217], v[214:215]
	v_fma_f64 v[218:219], -v[214:215], v[216:217], 1.0
	v_fma_f64 v[216:217], v[216:217], v[218:219], v[216:217]
	v_fma_f64 v[218:219], -v[214:215], v[216:217], 1.0
	v_fma_f64 v[216:217], v[216:217], v[218:219], v[216:217]
	v_mul_f64 v[218:219], v[220:221], v[216:217]
	v_fma_f64 v[214:215], -v[214:215], v[218:219], v[220:221]
	v_div_fmas_f64 v[214:215], v[214:215], v[216:217], v[218:219]
	v_div_fixup_f64 v[214:215], v[214:215], v[242:243], v[244:245]
	v_fma_f64 v[216:217], v[244:245], v[214:215], v[242:243]
	v_div_scale_f64 v[218:219], null, v[216:217], v[216:217], 1.0
	v_rcp_f64_e32 v[220:221], v[218:219]
	v_fma_f64 v[222:223], -v[218:219], v[220:221], 1.0
	v_fma_f64 v[220:221], v[220:221], v[222:223], v[220:221]
	v_fma_f64 v[222:223], -v[218:219], v[220:221], 1.0
	v_fma_f64 v[220:221], v[220:221], v[222:223], v[220:221]
	v_div_scale_f64 v[222:223], vcc_lo, 1.0, v[216:217], 1.0
	v_mul_f64 v[224:225], v[222:223], v[220:221]
	v_fma_f64 v[218:219], -v[218:219], v[224:225], v[222:223]
	v_div_fmas_f64 v[218:219], v[218:219], v[220:221], v[224:225]
	v_div_fixup_f64 v[242:243], v[218:219], v[216:217], 1.0
	v_mul_f64 v[244:245], v[214:215], -v[242:243]
.LBB118_516:
	s_or_b32 exec_lo, exec_lo, s1
.LBB118_517:
	s_or_b32 exec_lo, exec_lo, s0
	s_mov_b32 s0, exec_lo
	v_cmpx_ne_u32_e64 v0, v250
	s_xor_b32 s0, exec_lo, s0
	s_cbranch_execz .LBB118_523
; %bb.518:
	s_mov_b32 s1, exec_lo
	v_cmpx_eq_u32_e32 24, v0
	s_cbranch_execz .LBB118_522
; %bb.519:
	v_cmp_ne_u32_e32 vcc_lo, 24, v250
	s_xor_b32 s7, s16, -1
	s_and_b32 s9, s7, vcc_lo
	s_and_saveexec_b32 s7, s9
	s_cbranch_execz .LBB118_521
; %bb.520:
	s_clause 0x1
	buffer_load_dword v210, off, s[20:23], 0 offset:16
	buffer_load_dword v211, off, s[20:23], 0 offset:20
	v_ashrrev_i32_e32 v251, 31, v250
	v_lshlrev_b64 v[214:215], 2, v[250:251]
	s_waitcnt vmcnt(1)
	v_add_co_u32 v214, vcc_lo, v210, v214
	s_waitcnt vmcnt(0)
	v_add_co_ci_u32_e64 v215, null, v211, v215, vcc_lo
	s_clause 0x1
	global_load_dword v0, v[214:215], off
	global_load_dword v216, v[210:211], off offset:96
	s_waitcnt vmcnt(1)
	global_store_dword v[210:211], v0, off offset:96
	s_waitcnt vmcnt(0)
	global_store_dword v[214:215], v216, off
.LBB118_521:
	s_or_b32 exec_lo, exec_lo, s7
	v_mov_b32_e32 v0, v250
	v_mov_b32_e32 v253, v250
.LBB118_522:
	s_or_b32 exec_lo, exec_lo, s1
.LBB118_523:
	s_andn2_saveexec_b32 s0, s0
	s_cbranch_execz .LBB118_525
; %bb.524:
	v_mov_b32_e32 v0, 24
	ds_write2_b64 v1, v[138:139], v[140:141] offset0:50 offset1:51
	ds_write2_b64 v1, v[134:135], v[136:137] offset0:52 offset1:53
	;; [unrolled: 1-line block ×35, first 2 shown]
.LBB118_525:
	s_or_b32 exec_lo, exec_lo, s0
	s_mov_b32 s0, exec_lo
	s_waitcnt lgkmcnt(0)
	s_waitcnt_vscnt null, 0x0
	s_barrier
	buffer_gl0_inv
	v_cmpx_lt_i32_e32 24, v0
	s_cbranch_execz .LBB118_527
; %bb.526:
	v_mul_f64 v[214:215], v[244:245], v[144:145]
	v_mul_f64 v[144:145], v[242:243], v[144:145]
	ds_read2_b64 v[234:237], v1 offset0:50 offset1:51
	v_fma_f64 v[250:251], v[242:243], v[142:143], -v[214:215]
	v_fma_f64 v[144:145], v[244:245], v[142:143], v[144:145]
	s_waitcnt lgkmcnt(0)
	v_mul_f64 v[142:143], v[236:237], v[144:145]
	v_mul_f64 v[214:215], v[234:235], v[144:145]
	v_fma_f64 v[142:143], v[234:235], v[250:251], -v[142:143]
	v_fma_f64 v[214:215], v[236:237], v[250:251], v[214:215]
	ds_read2_b64 v[234:237], v1 offset0:52 offset1:53
	v_add_f64 v[138:139], v[138:139], -v[142:143]
	v_add_f64 v[140:141], v[140:141], -v[214:215]
	s_waitcnt lgkmcnt(0)
	v_mul_f64 v[142:143], v[236:237], v[144:145]
	v_mul_f64 v[214:215], v[234:235], v[144:145]
	v_fma_f64 v[142:143], v[234:235], v[250:251], -v[142:143]
	v_fma_f64 v[214:215], v[236:237], v[250:251], v[214:215]
	ds_read2_b64 v[234:237], v1 offset0:54 offset1:55
	v_add_f64 v[134:135], v[134:135], -v[142:143]
	v_add_f64 v[136:137], v[136:137], -v[214:215]
	;; [unrolled: 8-line block ×34, first 2 shown]
	s_waitcnt lgkmcnt(0)
	v_mul_f64 v[142:143], v[236:237], v[144:145]
	v_mul_f64 v[214:215], v[234:235], v[144:145]
	v_fma_f64 v[142:143], v[234:235], v[250:251], -v[142:143]
	v_fma_f64 v[214:215], v[236:237], v[250:251], v[214:215]
	v_add_f64 v[226:227], v[226:227], -v[142:143]
	v_add_f64 v[228:229], v[228:229], -v[214:215]
	v_mov_b32_e32 v142, v250
	v_mov_b32_e32 v143, v251
.LBB118_527:
	s_or_b32 exec_lo, exec_lo, s0
	v_lshl_add_u32 v214, v0, 4, v1
	s_barrier
	buffer_gl0_inv
	v_mov_b32_e32 v250, 25
	ds_write2_b64 v214, v[138:139], v[140:141] offset1:1
	s_waitcnt lgkmcnt(0)
	s_barrier
	buffer_gl0_inv
	ds_read2_b64 v[242:245], v1 offset0:50 offset1:51
	s_cmp_lt_i32 s8, 27
	s_cbranch_scc1 .LBB118_530
; %bb.528:
	v_add3_u32 v247, v246, 0, 0x1a0
	v_mov_b32_e32 v250, 25
	s_mov_b32 s0, 26
	s_inst_prefetch 0x1
	.p2align	6
.LBB118_529:                            ; =>This Inner Loop Header: Depth=1
	s_waitcnt lgkmcnt(0)
	v_cmp_gt_f64_e32 vcc_lo, 0, v[242:243]
	v_xor_b32_e32 v214, 0x80000000, v243
	ds_read2_b64 v[234:237], v247 offset1:1
	v_xor_b32_e32 v216, 0x80000000, v245
	v_add_nc_u32_e32 v247, 16, v247
	s_waitcnt lgkmcnt(0)
	v_xor_b32_e32 v218, 0x80000000, v237
	v_cndmask_b32_e32 v215, v243, v214, vcc_lo
	v_cmp_gt_f64_e32 vcc_lo, 0, v[244:245]
	v_mov_b32_e32 v214, v242
	v_cndmask_b32_e32 v217, v245, v216, vcc_lo
	v_cmp_gt_f64_e32 vcc_lo, 0, v[234:235]
	v_mov_b32_e32 v216, v244
	v_add_f64 v[214:215], v[214:215], v[216:217]
	v_xor_b32_e32 v216, 0x80000000, v235
	v_cndmask_b32_e32 v217, v235, v216, vcc_lo
	v_cmp_gt_f64_e32 vcc_lo, 0, v[236:237]
	v_mov_b32_e32 v216, v234
	v_cndmask_b32_e32 v219, v237, v218, vcc_lo
	v_mov_b32_e32 v218, v236
	v_add_f64 v[216:217], v[216:217], v[218:219]
	v_cmp_lt_f64_e32 vcc_lo, v[214:215], v[216:217]
	v_cndmask_b32_e32 v243, v243, v235, vcc_lo
	v_cndmask_b32_e32 v242, v242, v234, vcc_lo
	;; [unrolled: 1-line block ×4, first 2 shown]
	v_cndmask_b32_e64 v250, v250, s0, vcc_lo
	s_add_i32 s0, s0, 1
	s_cmp_lg_u32 s8, s0
	s_cbranch_scc1 .LBB118_529
.LBB118_530:
	s_inst_prefetch 0x2
	s_waitcnt lgkmcnt(0)
	v_cmp_eq_f64_e32 vcc_lo, 0, v[242:243]
	v_cmp_eq_f64_e64 s0, 0, v[244:245]
	s_and_b32 s0, vcc_lo, s0
	s_and_saveexec_b32 s1, s0
	s_xor_b32 s0, exec_lo, s1
; %bb.531:
	v_cmp_ne_u32_e32 vcc_lo, 0, v255
	v_cndmask_b32_e32 v255, 26, v255, vcc_lo
; %bb.532:
	s_andn2_saveexec_b32 s0, s0
	s_cbranch_execz .LBB118_538
; %bb.533:
	v_cmp_ngt_f64_e64 s1, |v[242:243]|, |v[244:245]|
	s_and_saveexec_b32 s7, s1
	s_xor_b32 s1, exec_lo, s7
	s_cbranch_execz .LBB118_535
; %bb.534:
	v_div_scale_f64 v[214:215], null, v[244:245], v[244:245], v[242:243]
	v_div_scale_f64 v[220:221], vcc_lo, v[242:243], v[244:245], v[242:243]
	v_rcp_f64_e32 v[216:217], v[214:215]
	v_fma_f64 v[218:219], -v[214:215], v[216:217], 1.0
	v_fma_f64 v[216:217], v[216:217], v[218:219], v[216:217]
	v_fma_f64 v[218:219], -v[214:215], v[216:217], 1.0
	v_fma_f64 v[216:217], v[216:217], v[218:219], v[216:217]
	v_mul_f64 v[218:219], v[220:221], v[216:217]
	v_fma_f64 v[214:215], -v[214:215], v[218:219], v[220:221]
	v_div_fmas_f64 v[214:215], v[214:215], v[216:217], v[218:219]
	v_div_fixup_f64 v[214:215], v[214:215], v[244:245], v[242:243]
	v_fma_f64 v[216:217], v[242:243], v[214:215], v[244:245]
	v_div_scale_f64 v[218:219], null, v[216:217], v[216:217], 1.0
	v_rcp_f64_e32 v[220:221], v[218:219]
	v_fma_f64 v[222:223], -v[218:219], v[220:221], 1.0
	v_fma_f64 v[220:221], v[220:221], v[222:223], v[220:221]
	v_fma_f64 v[222:223], -v[218:219], v[220:221], 1.0
	v_fma_f64 v[220:221], v[220:221], v[222:223], v[220:221]
	v_div_scale_f64 v[222:223], vcc_lo, 1.0, v[216:217], 1.0
	v_mul_f64 v[224:225], v[222:223], v[220:221]
	v_fma_f64 v[218:219], -v[218:219], v[224:225], v[222:223]
	v_div_fmas_f64 v[218:219], v[218:219], v[220:221], v[224:225]
	v_div_fixup_f64 v[244:245], v[218:219], v[216:217], 1.0
	v_mul_f64 v[242:243], v[214:215], v[244:245]
	v_xor_b32_e32 v245, 0x80000000, v245
.LBB118_535:
	s_andn2_saveexec_b32 s1, s1
	s_cbranch_execz .LBB118_537
; %bb.536:
	v_div_scale_f64 v[214:215], null, v[242:243], v[242:243], v[244:245]
	v_div_scale_f64 v[220:221], vcc_lo, v[244:245], v[242:243], v[244:245]
	v_rcp_f64_e32 v[216:217], v[214:215]
	v_fma_f64 v[218:219], -v[214:215], v[216:217], 1.0
	v_fma_f64 v[216:217], v[216:217], v[218:219], v[216:217]
	v_fma_f64 v[218:219], -v[214:215], v[216:217], 1.0
	v_fma_f64 v[216:217], v[216:217], v[218:219], v[216:217]
	v_mul_f64 v[218:219], v[220:221], v[216:217]
	v_fma_f64 v[214:215], -v[214:215], v[218:219], v[220:221]
	v_div_fmas_f64 v[214:215], v[214:215], v[216:217], v[218:219]
	v_div_fixup_f64 v[214:215], v[214:215], v[242:243], v[244:245]
	v_fma_f64 v[216:217], v[244:245], v[214:215], v[242:243]
	v_div_scale_f64 v[218:219], null, v[216:217], v[216:217], 1.0
	v_rcp_f64_e32 v[220:221], v[218:219]
	v_fma_f64 v[222:223], -v[218:219], v[220:221], 1.0
	v_fma_f64 v[220:221], v[220:221], v[222:223], v[220:221]
	v_fma_f64 v[222:223], -v[218:219], v[220:221], 1.0
	v_fma_f64 v[220:221], v[220:221], v[222:223], v[220:221]
	v_div_scale_f64 v[222:223], vcc_lo, 1.0, v[216:217], 1.0
	v_mul_f64 v[224:225], v[222:223], v[220:221]
	v_fma_f64 v[218:219], -v[218:219], v[224:225], v[222:223]
	v_div_fmas_f64 v[218:219], v[218:219], v[220:221], v[224:225]
	v_div_fixup_f64 v[242:243], v[218:219], v[216:217], 1.0
	v_mul_f64 v[244:245], v[214:215], -v[242:243]
.LBB118_537:
	s_or_b32 exec_lo, exec_lo, s1
.LBB118_538:
	s_or_b32 exec_lo, exec_lo, s0
	s_mov_b32 s0, exec_lo
	v_cmpx_ne_u32_e64 v0, v250
	s_xor_b32 s0, exec_lo, s0
	s_cbranch_execz .LBB118_544
; %bb.539:
	s_mov_b32 s1, exec_lo
	v_cmpx_eq_u32_e32 25, v0
	s_cbranch_execz .LBB118_543
; %bb.540:
	v_cmp_ne_u32_e32 vcc_lo, 25, v250
	s_xor_b32 s7, s16, -1
	s_and_b32 s9, s7, vcc_lo
	s_and_saveexec_b32 s7, s9
	s_cbranch_execz .LBB118_542
; %bb.541:
	s_clause 0x1
	buffer_load_dword v210, off, s[20:23], 0 offset:16
	buffer_load_dword v211, off, s[20:23], 0 offset:20
	v_ashrrev_i32_e32 v251, 31, v250
	v_lshlrev_b64 v[214:215], 2, v[250:251]
	s_waitcnt vmcnt(1)
	v_add_co_u32 v214, vcc_lo, v210, v214
	s_waitcnt vmcnt(0)
	v_add_co_ci_u32_e64 v215, null, v211, v215, vcc_lo
	s_clause 0x1
	global_load_dword v0, v[214:215], off
	global_load_dword v216, v[210:211], off offset:100
	s_waitcnt vmcnt(1)
	global_store_dword v[210:211], v0, off offset:100
	s_waitcnt vmcnt(0)
	global_store_dword v[214:215], v216, off
.LBB118_542:
	s_or_b32 exec_lo, exec_lo, s7
	v_mov_b32_e32 v0, v250
	v_mov_b32_e32 v253, v250
.LBB118_543:
	s_or_b32 exec_lo, exec_lo, s1
.LBB118_544:
	s_andn2_saveexec_b32 s0, s0
	s_cbranch_execz .LBB118_546
; %bb.545:
	v_mov_b32_e32 v0, 25
	ds_write2_b64 v1, v[134:135], v[136:137] offset0:52 offset1:53
	ds_write2_b64 v1, v[130:131], v[132:133] offset0:54 offset1:55
	;; [unrolled: 1-line block ×34, first 2 shown]
.LBB118_546:
	s_or_b32 exec_lo, exec_lo, s0
	s_mov_b32 s0, exec_lo
	s_waitcnt lgkmcnt(0)
	s_waitcnt_vscnt null, 0x0
	s_barrier
	buffer_gl0_inv
	v_cmpx_lt_i32_e32 25, v0
	s_cbranch_execz .LBB118_548
; %bb.547:
	v_mul_f64 v[214:215], v[244:245], v[140:141]
	v_mul_f64 v[140:141], v[242:243], v[140:141]
	ds_read2_b64 v[234:237], v1 offset0:52 offset1:53
	v_fma_f64 v[250:251], v[242:243], v[138:139], -v[214:215]
	v_fma_f64 v[140:141], v[244:245], v[138:139], v[140:141]
	s_waitcnt lgkmcnt(0)
	v_mul_f64 v[138:139], v[236:237], v[140:141]
	v_mul_f64 v[214:215], v[234:235], v[140:141]
	v_fma_f64 v[138:139], v[234:235], v[250:251], -v[138:139]
	v_fma_f64 v[214:215], v[236:237], v[250:251], v[214:215]
	ds_read2_b64 v[234:237], v1 offset0:54 offset1:55
	v_add_f64 v[134:135], v[134:135], -v[138:139]
	v_add_f64 v[136:137], v[136:137], -v[214:215]
	s_waitcnt lgkmcnt(0)
	v_mul_f64 v[138:139], v[236:237], v[140:141]
	v_mul_f64 v[214:215], v[234:235], v[140:141]
	v_fma_f64 v[138:139], v[234:235], v[250:251], -v[138:139]
	v_fma_f64 v[214:215], v[236:237], v[250:251], v[214:215]
	ds_read2_b64 v[234:237], v1 offset0:56 offset1:57
	v_add_f64 v[130:131], v[130:131], -v[138:139]
	v_add_f64 v[132:133], v[132:133], -v[214:215]
	;; [unrolled: 8-line block ×33, first 2 shown]
	s_waitcnt lgkmcnt(0)
	v_mul_f64 v[138:139], v[236:237], v[140:141]
	v_mul_f64 v[214:215], v[234:235], v[140:141]
	v_fma_f64 v[138:139], v[234:235], v[250:251], -v[138:139]
	v_fma_f64 v[214:215], v[236:237], v[250:251], v[214:215]
	v_add_f64 v[226:227], v[226:227], -v[138:139]
	v_add_f64 v[228:229], v[228:229], -v[214:215]
	v_mov_b32_e32 v138, v250
	v_mov_b32_e32 v139, v251
.LBB118_548:
	s_or_b32 exec_lo, exec_lo, s0
	v_lshl_add_u32 v214, v0, 4, v1
	s_barrier
	buffer_gl0_inv
	v_mov_b32_e32 v250, 26
	ds_write2_b64 v214, v[134:135], v[136:137] offset1:1
	s_waitcnt lgkmcnt(0)
	s_barrier
	buffer_gl0_inv
	ds_read2_b64 v[242:245], v1 offset0:52 offset1:53
	s_cmp_lt_i32 s8, 28
	s_cbranch_scc1 .LBB118_551
; %bb.549:
	v_add3_u32 v247, v246, 0, 0x1b0
	v_mov_b32_e32 v250, 26
	s_mov_b32 s0, 27
	s_inst_prefetch 0x1
	.p2align	6
.LBB118_550:                            ; =>This Inner Loop Header: Depth=1
	s_waitcnt lgkmcnt(0)
	v_cmp_gt_f64_e32 vcc_lo, 0, v[242:243]
	v_xor_b32_e32 v214, 0x80000000, v243
	ds_read2_b64 v[234:237], v247 offset1:1
	v_xor_b32_e32 v216, 0x80000000, v245
	v_add_nc_u32_e32 v247, 16, v247
	s_waitcnt lgkmcnt(0)
	v_xor_b32_e32 v218, 0x80000000, v237
	v_cndmask_b32_e32 v215, v243, v214, vcc_lo
	v_cmp_gt_f64_e32 vcc_lo, 0, v[244:245]
	v_mov_b32_e32 v214, v242
	v_cndmask_b32_e32 v217, v245, v216, vcc_lo
	v_cmp_gt_f64_e32 vcc_lo, 0, v[234:235]
	v_mov_b32_e32 v216, v244
	v_add_f64 v[214:215], v[214:215], v[216:217]
	v_xor_b32_e32 v216, 0x80000000, v235
	v_cndmask_b32_e32 v217, v235, v216, vcc_lo
	v_cmp_gt_f64_e32 vcc_lo, 0, v[236:237]
	v_mov_b32_e32 v216, v234
	v_cndmask_b32_e32 v219, v237, v218, vcc_lo
	v_mov_b32_e32 v218, v236
	v_add_f64 v[216:217], v[216:217], v[218:219]
	v_cmp_lt_f64_e32 vcc_lo, v[214:215], v[216:217]
	v_cndmask_b32_e32 v243, v243, v235, vcc_lo
	v_cndmask_b32_e32 v242, v242, v234, vcc_lo
	;; [unrolled: 1-line block ×4, first 2 shown]
	v_cndmask_b32_e64 v250, v250, s0, vcc_lo
	s_add_i32 s0, s0, 1
	s_cmp_lg_u32 s8, s0
	s_cbranch_scc1 .LBB118_550
.LBB118_551:
	s_inst_prefetch 0x2
	s_waitcnt lgkmcnt(0)
	v_cmp_eq_f64_e32 vcc_lo, 0, v[242:243]
	v_cmp_eq_f64_e64 s0, 0, v[244:245]
	s_and_b32 s0, vcc_lo, s0
	s_and_saveexec_b32 s1, s0
	s_xor_b32 s0, exec_lo, s1
; %bb.552:
	v_cmp_ne_u32_e32 vcc_lo, 0, v255
	v_cndmask_b32_e32 v255, 27, v255, vcc_lo
; %bb.553:
	s_andn2_saveexec_b32 s0, s0
	s_cbranch_execz .LBB118_559
; %bb.554:
	v_cmp_ngt_f64_e64 s1, |v[242:243]|, |v[244:245]|
	s_and_saveexec_b32 s7, s1
	s_xor_b32 s1, exec_lo, s7
	s_cbranch_execz .LBB118_556
; %bb.555:
	v_div_scale_f64 v[214:215], null, v[244:245], v[244:245], v[242:243]
	v_div_scale_f64 v[220:221], vcc_lo, v[242:243], v[244:245], v[242:243]
	v_rcp_f64_e32 v[216:217], v[214:215]
	v_fma_f64 v[218:219], -v[214:215], v[216:217], 1.0
	v_fma_f64 v[216:217], v[216:217], v[218:219], v[216:217]
	v_fma_f64 v[218:219], -v[214:215], v[216:217], 1.0
	v_fma_f64 v[216:217], v[216:217], v[218:219], v[216:217]
	v_mul_f64 v[218:219], v[220:221], v[216:217]
	v_fma_f64 v[214:215], -v[214:215], v[218:219], v[220:221]
	v_div_fmas_f64 v[214:215], v[214:215], v[216:217], v[218:219]
	v_div_fixup_f64 v[214:215], v[214:215], v[244:245], v[242:243]
	v_fma_f64 v[216:217], v[242:243], v[214:215], v[244:245]
	v_div_scale_f64 v[218:219], null, v[216:217], v[216:217], 1.0
	v_rcp_f64_e32 v[220:221], v[218:219]
	v_fma_f64 v[222:223], -v[218:219], v[220:221], 1.0
	v_fma_f64 v[220:221], v[220:221], v[222:223], v[220:221]
	v_fma_f64 v[222:223], -v[218:219], v[220:221], 1.0
	v_fma_f64 v[220:221], v[220:221], v[222:223], v[220:221]
	v_div_scale_f64 v[222:223], vcc_lo, 1.0, v[216:217], 1.0
	v_mul_f64 v[224:225], v[222:223], v[220:221]
	v_fma_f64 v[218:219], -v[218:219], v[224:225], v[222:223]
	v_div_fmas_f64 v[218:219], v[218:219], v[220:221], v[224:225]
	v_div_fixup_f64 v[244:245], v[218:219], v[216:217], 1.0
	v_mul_f64 v[242:243], v[214:215], v[244:245]
	v_xor_b32_e32 v245, 0x80000000, v245
.LBB118_556:
	s_andn2_saveexec_b32 s1, s1
	s_cbranch_execz .LBB118_558
; %bb.557:
	v_div_scale_f64 v[214:215], null, v[242:243], v[242:243], v[244:245]
	v_div_scale_f64 v[220:221], vcc_lo, v[244:245], v[242:243], v[244:245]
	v_rcp_f64_e32 v[216:217], v[214:215]
	v_fma_f64 v[218:219], -v[214:215], v[216:217], 1.0
	v_fma_f64 v[216:217], v[216:217], v[218:219], v[216:217]
	v_fma_f64 v[218:219], -v[214:215], v[216:217], 1.0
	v_fma_f64 v[216:217], v[216:217], v[218:219], v[216:217]
	v_mul_f64 v[218:219], v[220:221], v[216:217]
	v_fma_f64 v[214:215], -v[214:215], v[218:219], v[220:221]
	v_div_fmas_f64 v[214:215], v[214:215], v[216:217], v[218:219]
	v_div_fixup_f64 v[214:215], v[214:215], v[242:243], v[244:245]
	v_fma_f64 v[216:217], v[244:245], v[214:215], v[242:243]
	v_div_scale_f64 v[218:219], null, v[216:217], v[216:217], 1.0
	v_rcp_f64_e32 v[220:221], v[218:219]
	v_fma_f64 v[222:223], -v[218:219], v[220:221], 1.0
	v_fma_f64 v[220:221], v[220:221], v[222:223], v[220:221]
	v_fma_f64 v[222:223], -v[218:219], v[220:221], 1.0
	v_fma_f64 v[220:221], v[220:221], v[222:223], v[220:221]
	v_div_scale_f64 v[222:223], vcc_lo, 1.0, v[216:217], 1.0
	v_mul_f64 v[224:225], v[222:223], v[220:221]
	v_fma_f64 v[218:219], -v[218:219], v[224:225], v[222:223]
	v_div_fmas_f64 v[218:219], v[218:219], v[220:221], v[224:225]
	v_div_fixup_f64 v[242:243], v[218:219], v[216:217], 1.0
	v_mul_f64 v[244:245], v[214:215], -v[242:243]
.LBB118_558:
	s_or_b32 exec_lo, exec_lo, s1
.LBB118_559:
	s_or_b32 exec_lo, exec_lo, s0
	s_mov_b32 s0, exec_lo
	v_cmpx_ne_u32_e64 v0, v250
	s_xor_b32 s0, exec_lo, s0
	s_cbranch_execz .LBB118_565
; %bb.560:
	s_mov_b32 s1, exec_lo
	v_cmpx_eq_u32_e32 26, v0
	s_cbranch_execz .LBB118_564
; %bb.561:
	v_cmp_ne_u32_e32 vcc_lo, 26, v250
	s_xor_b32 s7, s16, -1
	s_and_b32 s9, s7, vcc_lo
	s_and_saveexec_b32 s7, s9
	s_cbranch_execz .LBB118_563
; %bb.562:
	s_clause 0x1
	buffer_load_dword v210, off, s[20:23], 0 offset:16
	buffer_load_dword v211, off, s[20:23], 0 offset:20
	v_ashrrev_i32_e32 v251, 31, v250
	v_lshlrev_b64 v[214:215], 2, v[250:251]
	s_waitcnt vmcnt(1)
	v_add_co_u32 v214, vcc_lo, v210, v214
	s_waitcnt vmcnt(0)
	v_add_co_ci_u32_e64 v215, null, v211, v215, vcc_lo
	s_clause 0x1
	global_load_dword v0, v[214:215], off
	global_load_dword v216, v[210:211], off offset:104
	s_waitcnt vmcnt(1)
	global_store_dword v[210:211], v0, off offset:104
	s_waitcnt vmcnt(0)
	global_store_dword v[214:215], v216, off
.LBB118_563:
	s_or_b32 exec_lo, exec_lo, s7
	v_mov_b32_e32 v0, v250
	v_mov_b32_e32 v253, v250
.LBB118_564:
	s_or_b32 exec_lo, exec_lo, s1
.LBB118_565:
	s_andn2_saveexec_b32 s0, s0
	s_cbranch_execz .LBB118_567
; %bb.566:
	v_mov_b32_e32 v0, 26
	ds_write2_b64 v1, v[130:131], v[132:133] offset0:54 offset1:55
	ds_write2_b64 v1, v[126:127], v[128:129] offset0:56 offset1:57
	;; [unrolled: 1-line block ×33, first 2 shown]
.LBB118_567:
	s_or_b32 exec_lo, exec_lo, s0
	s_mov_b32 s0, exec_lo
	s_waitcnt lgkmcnt(0)
	s_waitcnt_vscnt null, 0x0
	s_barrier
	buffer_gl0_inv
	v_cmpx_lt_i32_e32 26, v0
	s_cbranch_execz .LBB118_569
; %bb.568:
	v_mul_f64 v[214:215], v[244:245], v[136:137]
	v_mul_f64 v[136:137], v[242:243], v[136:137]
	ds_read2_b64 v[234:237], v1 offset0:54 offset1:55
	v_fma_f64 v[250:251], v[242:243], v[134:135], -v[214:215]
	v_fma_f64 v[136:137], v[244:245], v[134:135], v[136:137]
	s_waitcnt lgkmcnt(0)
	v_mul_f64 v[134:135], v[236:237], v[136:137]
	v_mul_f64 v[214:215], v[234:235], v[136:137]
	v_fma_f64 v[134:135], v[234:235], v[250:251], -v[134:135]
	v_fma_f64 v[214:215], v[236:237], v[250:251], v[214:215]
	ds_read2_b64 v[234:237], v1 offset0:56 offset1:57
	v_add_f64 v[130:131], v[130:131], -v[134:135]
	v_add_f64 v[132:133], v[132:133], -v[214:215]
	s_waitcnt lgkmcnt(0)
	v_mul_f64 v[134:135], v[236:237], v[136:137]
	v_mul_f64 v[214:215], v[234:235], v[136:137]
	v_fma_f64 v[134:135], v[234:235], v[250:251], -v[134:135]
	v_fma_f64 v[214:215], v[236:237], v[250:251], v[214:215]
	ds_read2_b64 v[234:237], v1 offset0:58 offset1:59
	v_add_f64 v[126:127], v[126:127], -v[134:135]
	v_add_f64 v[128:129], v[128:129], -v[214:215]
	;; [unrolled: 8-line block ×32, first 2 shown]
	s_waitcnt lgkmcnt(0)
	v_mul_f64 v[134:135], v[236:237], v[136:137]
	v_mul_f64 v[214:215], v[234:235], v[136:137]
	v_fma_f64 v[134:135], v[234:235], v[250:251], -v[134:135]
	v_fma_f64 v[214:215], v[236:237], v[250:251], v[214:215]
	v_add_f64 v[226:227], v[226:227], -v[134:135]
	v_add_f64 v[228:229], v[228:229], -v[214:215]
	v_mov_b32_e32 v134, v250
	v_mov_b32_e32 v135, v251
.LBB118_569:
	s_or_b32 exec_lo, exec_lo, s0
	v_lshl_add_u32 v214, v0, 4, v1
	s_barrier
	buffer_gl0_inv
	v_mov_b32_e32 v250, 27
	ds_write2_b64 v214, v[130:131], v[132:133] offset1:1
	s_waitcnt lgkmcnt(0)
	s_barrier
	buffer_gl0_inv
	ds_read2_b64 v[242:245], v1 offset0:54 offset1:55
	s_cmp_lt_i32 s8, 29
	s_cbranch_scc1 .LBB118_572
; %bb.570:
	v_add3_u32 v247, v246, 0, 0x1c0
	v_mov_b32_e32 v250, 27
	s_mov_b32 s0, 28
	s_inst_prefetch 0x1
	.p2align	6
.LBB118_571:                            ; =>This Inner Loop Header: Depth=1
	s_waitcnt lgkmcnt(0)
	v_cmp_gt_f64_e32 vcc_lo, 0, v[242:243]
	v_xor_b32_e32 v214, 0x80000000, v243
	ds_read2_b64 v[234:237], v247 offset1:1
	v_xor_b32_e32 v216, 0x80000000, v245
	v_add_nc_u32_e32 v247, 16, v247
	s_waitcnt lgkmcnt(0)
	v_xor_b32_e32 v218, 0x80000000, v237
	v_cndmask_b32_e32 v215, v243, v214, vcc_lo
	v_cmp_gt_f64_e32 vcc_lo, 0, v[244:245]
	v_mov_b32_e32 v214, v242
	v_cndmask_b32_e32 v217, v245, v216, vcc_lo
	v_cmp_gt_f64_e32 vcc_lo, 0, v[234:235]
	v_mov_b32_e32 v216, v244
	v_add_f64 v[214:215], v[214:215], v[216:217]
	v_xor_b32_e32 v216, 0x80000000, v235
	v_cndmask_b32_e32 v217, v235, v216, vcc_lo
	v_cmp_gt_f64_e32 vcc_lo, 0, v[236:237]
	v_mov_b32_e32 v216, v234
	v_cndmask_b32_e32 v219, v237, v218, vcc_lo
	v_mov_b32_e32 v218, v236
	v_add_f64 v[216:217], v[216:217], v[218:219]
	v_cmp_lt_f64_e32 vcc_lo, v[214:215], v[216:217]
	v_cndmask_b32_e32 v243, v243, v235, vcc_lo
	v_cndmask_b32_e32 v242, v242, v234, vcc_lo
	v_cndmask_b32_e32 v245, v245, v237, vcc_lo
	v_cndmask_b32_e32 v244, v244, v236, vcc_lo
	v_cndmask_b32_e64 v250, v250, s0, vcc_lo
	s_add_i32 s0, s0, 1
	s_cmp_lg_u32 s8, s0
	s_cbranch_scc1 .LBB118_571
.LBB118_572:
	s_inst_prefetch 0x2
	s_waitcnt lgkmcnt(0)
	v_cmp_eq_f64_e32 vcc_lo, 0, v[242:243]
	v_cmp_eq_f64_e64 s0, 0, v[244:245]
	s_and_b32 s0, vcc_lo, s0
	s_and_saveexec_b32 s1, s0
	s_xor_b32 s0, exec_lo, s1
; %bb.573:
	v_cmp_ne_u32_e32 vcc_lo, 0, v255
	v_cndmask_b32_e32 v255, 28, v255, vcc_lo
; %bb.574:
	s_andn2_saveexec_b32 s0, s0
	s_cbranch_execz .LBB118_580
; %bb.575:
	v_cmp_ngt_f64_e64 s1, |v[242:243]|, |v[244:245]|
	s_and_saveexec_b32 s7, s1
	s_xor_b32 s1, exec_lo, s7
	s_cbranch_execz .LBB118_577
; %bb.576:
	v_div_scale_f64 v[214:215], null, v[244:245], v[244:245], v[242:243]
	v_div_scale_f64 v[220:221], vcc_lo, v[242:243], v[244:245], v[242:243]
	v_rcp_f64_e32 v[216:217], v[214:215]
	v_fma_f64 v[218:219], -v[214:215], v[216:217], 1.0
	v_fma_f64 v[216:217], v[216:217], v[218:219], v[216:217]
	v_fma_f64 v[218:219], -v[214:215], v[216:217], 1.0
	v_fma_f64 v[216:217], v[216:217], v[218:219], v[216:217]
	v_mul_f64 v[218:219], v[220:221], v[216:217]
	v_fma_f64 v[214:215], -v[214:215], v[218:219], v[220:221]
	v_div_fmas_f64 v[214:215], v[214:215], v[216:217], v[218:219]
	v_div_fixup_f64 v[214:215], v[214:215], v[244:245], v[242:243]
	v_fma_f64 v[216:217], v[242:243], v[214:215], v[244:245]
	v_div_scale_f64 v[218:219], null, v[216:217], v[216:217], 1.0
	v_rcp_f64_e32 v[220:221], v[218:219]
	v_fma_f64 v[222:223], -v[218:219], v[220:221], 1.0
	v_fma_f64 v[220:221], v[220:221], v[222:223], v[220:221]
	v_fma_f64 v[222:223], -v[218:219], v[220:221], 1.0
	v_fma_f64 v[220:221], v[220:221], v[222:223], v[220:221]
	v_div_scale_f64 v[222:223], vcc_lo, 1.0, v[216:217], 1.0
	v_mul_f64 v[224:225], v[222:223], v[220:221]
	v_fma_f64 v[218:219], -v[218:219], v[224:225], v[222:223]
	v_div_fmas_f64 v[218:219], v[218:219], v[220:221], v[224:225]
	v_div_fixup_f64 v[244:245], v[218:219], v[216:217], 1.0
	v_mul_f64 v[242:243], v[214:215], v[244:245]
	v_xor_b32_e32 v245, 0x80000000, v245
.LBB118_577:
	s_andn2_saveexec_b32 s1, s1
	s_cbranch_execz .LBB118_579
; %bb.578:
	v_div_scale_f64 v[214:215], null, v[242:243], v[242:243], v[244:245]
	v_div_scale_f64 v[220:221], vcc_lo, v[244:245], v[242:243], v[244:245]
	v_rcp_f64_e32 v[216:217], v[214:215]
	v_fma_f64 v[218:219], -v[214:215], v[216:217], 1.0
	v_fma_f64 v[216:217], v[216:217], v[218:219], v[216:217]
	v_fma_f64 v[218:219], -v[214:215], v[216:217], 1.0
	v_fma_f64 v[216:217], v[216:217], v[218:219], v[216:217]
	v_mul_f64 v[218:219], v[220:221], v[216:217]
	v_fma_f64 v[214:215], -v[214:215], v[218:219], v[220:221]
	v_div_fmas_f64 v[214:215], v[214:215], v[216:217], v[218:219]
	v_div_fixup_f64 v[214:215], v[214:215], v[242:243], v[244:245]
	v_fma_f64 v[216:217], v[244:245], v[214:215], v[242:243]
	v_div_scale_f64 v[218:219], null, v[216:217], v[216:217], 1.0
	v_rcp_f64_e32 v[220:221], v[218:219]
	v_fma_f64 v[222:223], -v[218:219], v[220:221], 1.0
	v_fma_f64 v[220:221], v[220:221], v[222:223], v[220:221]
	v_fma_f64 v[222:223], -v[218:219], v[220:221], 1.0
	v_fma_f64 v[220:221], v[220:221], v[222:223], v[220:221]
	v_div_scale_f64 v[222:223], vcc_lo, 1.0, v[216:217], 1.0
	v_mul_f64 v[224:225], v[222:223], v[220:221]
	v_fma_f64 v[218:219], -v[218:219], v[224:225], v[222:223]
	v_div_fmas_f64 v[218:219], v[218:219], v[220:221], v[224:225]
	v_div_fixup_f64 v[242:243], v[218:219], v[216:217], 1.0
	v_mul_f64 v[244:245], v[214:215], -v[242:243]
.LBB118_579:
	s_or_b32 exec_lo, exec_lo, s1
.LBB118_580:
	s_or_b32 exec_lo, exec_lo, s0
	s_mov_b32 s0, exec_lo
	v_cmpx_ne_u32_e64 v0, v250
	s_xor_b32 s0, exec_lo, s0
	s_cbranch_execz .LBB118_586
; %bb.581:
	s_mov_b32 s1, exec_lo
	v_cmpx_eq_u32_e32 27, v0
	s_cbranch_execz .LBB118_585
; %bb.582:
	v_cmp_ne_u32_e32 vcc_lo, 27, v250
	s_xor_b32 s7, s16, -1
	s_and_b32 s9, s7, vcc_lo
	s_and_saveexec_b32 s7, s9
	s_cbranch_execz .LBB118_584
; %bb.583:
	s_clause 0x1
	buffer_load_dword v210, off, s[20:23], 0 offset:16
	buffer_load_dword v211, off, s[20:23], 0 offset:20
	v_ashrrev_i32_e32 v251, 31, v250
	v_lshlrev_b64 v[214:215], 2, v[250:251]
	s_waitcnt vmcnt(1)
	v_add_co_u32 v214, vcc_lo, v210, v214
	s_waitcnt vmcnt(0)
	v_add_co_ci_u32_e64 v215, null, v211, v215, vcc_lo
	s_clause 0x1
	global_load_dword v0, v[214:215], off
	global_load_dword v216, v[210:211], off offset:108
	s_waitcnt vmcnt(1)
	global_store_dword v[210:211], v0, off offset:108
	s_waitcnt vmcnt(0)
	global_store_dword v[214:215], v216, off
.LBB118_584:
	s_or_b32 exec_lo, exec_lo, s7
	v_mov_b32_e32 v0, v250
	v_mov_b32_e32 v253, v250
.LBB118_585:
	s_or_b32 exec_lo, exec_lo, s1
.LBB118_586:
	s_andn2_saveexec_b32 s0, s0
	s_cbranch_execz .LBB118_588
; %bb.587:
	v_mov_b32_e32 v0, 27
	ds_write2_b64 v1, v[126:127], v[128:129] offset0:56 offset1:57
	ds_write2_b64 v1, v[122:123], v[124:125] offset0:58 offset1:59
	;; [unrolled: 1-line block ×32, first 2 shown]
.LBB118_588:
	s_or_b32 exec_lo, exec_lo, s0
	s_mov_b32 s0, exec_lo
	s_waitcnt lgkmcnt(0)
	s_waitcnt_vscnt null, 0x0
	s_barrier
	buffer_gl0_inv
	v_cmpx_lt_i32_e32 27, v0
	s_cbranch_execz .LBB118_590
; %bb.589:
	v_mul_f64 v[214:215], v[244:245], v[132:133]
	v_mul_f64 v[132:133], v[242:243], v[132:133]
	ds_read2_b64 v[234:237], v1 offset0:56 offset1:57
	v_fma_f64 v[250:251], v[242:243], v[130:131], -v[214:215]
	v_fma_f64 v[132:133], v[244:245], v[130:131], v[132:133]
	s_waitcnt lgkmcnt(0)
	v_mul_f64 v[130:131], v[236:237], v[132:133]
	v_mul_f64 v[214:215], v[234:235], v[132:133]
	v_fma_f64 v[130:131], v[234:235], v[250:251], -v[130:131]
	v_fma_f64 v[214:215], v[236:237], v[250:251], v[214:215]
	ds_read2_b64 v[234:237], v1 offset0:58 offset1:59
	v_add_f64 v[126:127], v[126:127], -v[130:131]
	v_add_f64 v[128:129], v[128:129], -v[214:215]
	s_waitcnt lgkmcnt(0)
	v_mul_f64 v[130:131], v[236:237], v[132:133]
	v_mul_f64 v[214:215], v[234:235], v[132:133]
	v_fma_f64 v[130:131], v[234:235], v[250:251], -v[130:131]
	v_fma_f64 v[214:215], v[236:237], v[250:251], v[214:215]
	ds_read2_b64 v[234:237], v1 offset0:60 offset1:61
	v_add_f64 v[122:123], v[122:123], -v[130:131]
	v_add_f64 v[124:125], v[124:125], -v[214:215]
	;; [unrolled: 8-line block ×31, first 2 shown]
	s_waitcnt lgkmcnt(0)
	v_mul_f64 v[130:131], v[236:237], v[132:133]
	v_mul_f64 v[214:215], v[234:235], v[132:133]
	v_fma_f64 v[130:131], v[234:235], v[250:251], -v[130:131]
	v_fma_f64 v[214:215], v[236:237], v[250:251], v[214:215]
	v_add_f64 v[226:227], v[226:227], -v[130:131]
	v_add_f64 v[228:229], v[228:229], -v[214:215]
	v_mov_b32_e32 v130, v250
	v_mov_b32_e32 v131, v251
.LBB118_590:
	s_or_b32 exec_lo, exec_lo, s0
	v_lshl_add_u32 v214, v0, 4, v1
	s_barrier
	buffer_gl0_inv
	v_mov_b32_e32 v250, 28
	ds_write2_b64 v214, v[126:127], v[128:129] offset1:1
	s_waitcnt lgkmcnt(0)
	s_barrier
	buffer_gl0_inv
	ds_read2_b64 v[242:245], v1 offset0:56 offset1:57
	s_cmp_lt_i32 s8, 30
	s_cbranch_scc1 .LBB118_593
; %bb.591:
	v_add3_u32 v247, v246, 0, 0x1d0
	v_mov_b32_e32 v250, 28
	s_mov_b32 s0, 29
	s_inst_prefetch 0x1
	.p2align	6
.LBB118_592:                            ; =>This Inner Loop Header: Depth=1
	s_waitcnt lgkmcnt(0)
	v_cmp_gt_f64_e32 vcc_lo, 0, v[242:243]
	v_xor_b32_e32 v214, 0x80000000, v243
	ds_read2_b64 v[234:237], v247 offset1:1
	v_xor_b32_e32 v216, 0x80000000, v245
	v_add_nc_u32_e32 v247, 16, v247
	s_waitcnt lgkmcnt(0)
	v_xor_b32_e32 v218, 0x80000000, v237
	v_cndmask_b32_e32 v215, v243, v214, vcc_lo
	v_cmp_gt_f64_e32 vcc_lo, 0, v[244:245]
	v_mov_b32_e32 v214, v242
	v_cndmask_b32_e32 v217, v245, v216, vcc_lo
	v_cmp_gt_f64_e32 vcc_lo, 0, v[234:235]
	v_mov_b32_e32 v216, v244
	v_add_f64 v[214:215], v[214:215], v[216:217]
	v_xor_b32_e32 v216, 0x80000000, v235
	v_cndmask_b32_e32 v217, v235, v216, vcc_lo
	v_cmp_gt_f64_e32 vcc_lo, 0, v[236:237]
	v_mov_b32_e32 v216, v234
	v_cndmask_b32_e32 v219, v237, v218, vcc_lo
	v_mov_b32_e32 v218, v236
	v_add_f64 v[216:217], v[216:217], v[218:219]
	v_cmp_lt_f64_e32 vcc_lo, v[214:215], v[216:217]
	v_cndmask_b32_e32 v243, v243, v235, vcc_lo
	v_cndmask_b32_e32 v242, v242, v234, vcc_lo
	;; [unrolled: 1-line block ×4, first 2 shown]
	v_cndmask_b32_e64 v250, v250, s0, vcc_lo
	s_add_i32 s0, s0, 1
	s_cmp_lg_u32 s8, s0
	s_cbranch_scc1 .LBB118_592
.LBB118_593:
	s_inst_prefetch 0x2
	s_waitcnt lgkmcnt(0)
	v_cmp_eq_f64_e32 vcc_lo, 0, v[242:243]
	v_cmp_eq_f64_e64 s0, 0, v[244:245]
	s_and_b32 s0, vcc_lo, s0
	s_and_saveexec_b32 s1, s0
	s_xor_b32 s0, exec_lo, s1
; %bb.594:
	v_cmp_ne_u32_e32 vcc_lo, 0, v255
	v_cndmask_b32_e32 v255, 29, v255, vcc_lo
; %bb.595:
	s_andn2_saveexec_b32 s0, s0
	s_cbranch_execz .LBB118_601
; %bb.596:
	v_cmp_ngt_f64_e64 s1, |v[242:243]|, |v[244:245]|
	s_and_saveexec_b32 s7, s1
	s_xor_b32 s1, exec_lo, s7
	s_cbranch_execz .LBB118_598
; %bb.597:
	v_div_scale_f64 v[214:215], null, v[244:245], v[244:245], v[242:243]
	v_div_scale_f64 v[220:221], vcc_lo, v[242:243], v[244:245], v[242:243]
	v_rcp_f64_e32 v[216:217], v[214:215]
	v_fma_f64 v[218:219], -v[214:215], v[216:217], 1.0
	v_fma_f64 v[216:217], v[216:217], v[218:219], v[216:217]
	v_fma_f64 v[218:219], -v[214:215], v[216:217], 1.0
	v_fma_f64 v[216:217], v[216:217], v[218:219], v[216:217]
	v_mul_f64 v[218:219], v[220:221], v[216:217]
	v_fma_f64 v[214:215], -v[214:215], v[218:219], v[220:221]
	v_div_fmas_f64 v[214:215], v[214:215], v[216:217], v[218:219]
	v_div_fixup_f64 v[214:215], v[214:215], v[244:245], v[242:243]
	v_fma_f64 v[216:217], v[242:243], v[214:215], v[244:245]
	v_div_scale_f64 v[218:219], null, v[216:217], v[216:217], 1.0
	v_rcp_f64_e32 v[220:221], v[218:219]
	v_fma_f64 v[222:223], -v[218:219], v[220:221], 1.0
	v_fma_f64 v[220:221], v[220:221], v[222:223], v[220:221]
	v_fma_f64 v[222:223], -v[218:219], v[220:221], 1.0
	v_fma_f64 v[220:221], v[220:221], v[222:223], v[220:221]
	v_div_scale_f64 v[222:223], vcc_lo, 1.0, v[216:217], 1.0
	v_mul_f64 v[224:225], v[222:223], v[220:221]
	v_fma_f64 v[218:219], -v[218:219], v[224:225], v[222:223]
	v_div_fmas_f64 v[218:219], v[218:219], v[220:221], v[224:225]
	v_div_fixup_f64 v[244:245], v[218:219], v[216:217], 1.0
	v_mul_f64 v[242:243], v[214:215], v[244:245]
	v_xor_b32_e32 v245, 0x80000000, v245
.LBB118_598:
	s_andn2_saveexec_b32 s1, s1
	s_cbranch_execz .LBB118_600
; %bb.599:
	v_div_scale_f64 v[214:215], null, v[242:243], v[242:243], v[244:245]
	v_div_scale_f64 v[220:221], vcc_lo, v[244:245], v[242:243], v[244:245]
	v_rcp_f64_e32 v[216:217], v[214:215]
	v_fma_f64 v[218:219], -v[214:215], v[216:217], 1.0
	v_fma_f64 v[216:217], v[216:217], v[218:219], v[216:217]
	v_fma_f64 v[218:219], -v[214:215], v[216:217], 1.0
	v_fma_f64 v[216:217], v[216:217], v[218:219], v[216:217]
	v_mul_f64 v[218:219], v[220:221], v[216:217]
	v_fma_f64 v[214:215], -v[214:215], v[218:219], v[220:221]
	v_div_fmas_f64 v[214:215], v[214:215], v[216:217], v[218:219]
	v_div_fixup_f64 v[214:215], v[214:215], v[242:243], v[244:245]
	v_fma_f64 v[216:217], v[244:245], v[214:215], v[242:243]
	v_div_scale_f64 v[218:219], null, v[216:217], v[216:217], 1.0
	v_rcp_f64_e32 v[220:221], v[218:219]
	v_fma_f64 v[222:223], -v[218:219], v[220:221], 1.0
	v_fma_f64 v[220:221], v[220:221], v[222:223], v[220:221]
	v_fma_f64 v[222:223], -v[218:219], v[220:221], 1.0
	v_fma_f64 v[220:221], v[220:221], v[222:223], v[220:221]
	v_div_scale_f64 v[222:223], vcc_lo, 1.0, v[216:217], 1.0
	v_mul_f64 v[224:225], v[222:223], v[220:221]
	v_fma_f64 v[218:219], -v[218:219], v[224:225], v[222:223]
	v_div_fmas_f64 v[218:219], v[218:219], v[220:221], v[224:225]
	v_div_fixup_f64 v[242:243], v[218:219], v[216:217], 1.0
	v_mul_f64 v[244:245], v[214:215], -v[242:243]
.LBB118_600:
	s_or_b32 exec_lo, exec_lo, s1
.LBB118_601:
	s_or_b32 exec_lo, exec_lo, s0
	s_mov_b32 s0, exec_lo
	v_cmpx_ne_u32_e64 v0, v250
	s_xor_b32 s0, exec_lo, s0
	s_cbranch_execz .LBB118_607
; %bb.602:
	s_mov_b32 s1, exec_lo
	v_cmpx_eq_u32_e32 28, v0
	s_cbranch_execz .LBB118_606
; %bb.603:
	v_cmp_ne_u32_e32 vcc_lo, 28, v250
	s_xor_b32 s7, s16, -1
	s_and_b32 s9, s7, vcc_lo
	s_and_saveexec_b32 s7, s9
	s_cbranch_execz .LBB118_605
; %bb.604:
	s_clause 0x1
	buffer_load_dword v210, off, s[20:23], 0 offset:16
	buffer_load_dword v211, off, s[20:23], 0 offset:20
	v_ashrrev_i32_e32 v251, 31, v250
	v_lshlrev_b64 v[214:215], 2, v[250:251]
	s_waitcnt vmcnt(1)
	v_add_co_u32 v214, vcc_lo, v210, v214
	s_waitcnt vmcnt(0)
	v_add_co_ci_u32_e64 v215, null, v211, v215, vcc_lo
	s_clause 0x1
	global_load_dword v0, v[214:215], off
	global_load_dword v216, v[210:211], off offset:112
	s_waitcnt vmcnt(1)
	global_store_dword v[210:211], v0, off offset:112
	s_waitcnt vmcnt(0)
	global_store_dword v[214:215], v216, off
.LBB118_605:
	s_or_b32 exec_lo, exec_lo, s7
	v_mov_b32_e32 v0, v250
	v_mov_b32_e32 v253, v250
.LBB118_606:
	s_or_b32 exec_lo, exec_lo, s1
.LBB118_607:
	s_andn2_saveexec_b32 s0, s0
	s_cbranch_execz .LBB118_609
; %bb.608:
	v_mov_b32_e32 v0, 28
	ds_write2_b64 v1, v[122:123], v[124:125] offset0:58 offset1:59
	ds_write2_b64 v1, v[118:119], v[120:121] offset0:60 offset1:61
	;; [unrolled: 1-line block ×31, first 2 shown]
.LBB118_609:
	s_or_b32 exec_lo, exec_lo, s0
	s_mov_b32 s0, exec_lo
	s_waitcnt lgkmcnt(0)
	s_waitcnt_vscnt null, 0x0
	s_barrier
	buffer_gl0_inv
	v_cmpx_lt_i32_e32 28, v0
	s_cbranch_execz .LBB118_611
; %bb.610:
	v_mul_f64 v[214:215], v[244:245], v[128:129]
	v_mul_f64 v[128:129], v[242:243], v[128:129]
	ds_read2_b64 v[234:237], v1 offset0:58 offset1:59
	v_fma_f64 v[250:251], v[242:243], v[126:127], -v[214:215]
	v_fma_f64 v[128:129], v[244:245], v[126:127], v[128:129]
	s_waitcnt lgkmcnt(0)
	v_mul_f64 v[126:127], v[236:237], v[128:129]
	v_mul_f64 v[214:215], v[234:235], v[128:129]
	v_fma_f64 v[126:127], v[234:235], v[250:251], -v[126:127]
	v_fma_f64 v[214:215], v[236:237], v[250:251], v[214:215]
	ds_read2_b64 v[234:237], v1 offset0:60 offset1:61
	v_add_f64 v[122:123], v[122:123], -v[126:127]
	v_add_f64 v[124:125], v[124:125], -v[214:215]
	s_waitcnt lgkmcnt(0)
	v_mul_f64 v[126:127], v[236:237], v[128:129]
	v_mul_f64 v[214:215], v[234:235], v[128:129]
	v_fma_f64 v[126:127], v[234:235], v[250:251], -v[126:127]
	v_fma_f64 v[214:215], v[236:237], v[250:251], v[214:215]
	ds_read2_b64 v[234:237], v1 offset0:62 offset1:63
	v_add_f64 v[118:119], v[118:119], -v[126:127]
	v_add_f64 v[120:121], v[120:121], -v[214:215]
	;; [unrolled: 8-line block ×30, first 2 shown]
	s_waitcnt lgkmcnt(0)
	v_mul_f64 v[126:127], v[236:237], v[128:129]
	v_mul_f64 v[214:215], v[234:235], v[128:129]
	v_fma_f64 v[126:127], v[234:235], v[250:251], -v[126:127]
	v_fma_f64 v[214:215], v[236:237], v[250:251], v[214:215]
	v_add_f64 v[226:227], v[226:227], -v[126:127]
	v_add_f64 v[228:229], v[228:229], -v[214:215]
	v_mov_b32_e32 v126, v250
	v_mov_b32_e32 v127, v251
.LBB118_611:
	s_or_b32 exec_lo, exec_lo, s0
	v_lshl_add_u32 v214, v0, 4, v1
	s_barrier
	buffer_gl0_inv
	v_mov_b32_e32 v250, 29
	ds_write2_b64 v214, v[122:123], v[124:125] offset1:1
	s_waitcnt lgkmcnt(0)
	s_barrier
	buffer_gl0_inv
	ds_read2_b64 v[242:245], v1 offset0:58 offset1:59
	s_cmp_lt_i32 s8, 31
	s_cbranch_scc1 .LBB118_614
; %bb.612:
	v_add3_u32 v247, v246, 0, 0x1e0
	v_mov_b32_e32 v250, 29
	s_mov_b32 s0, 30
	s_inst_prefetch 0x1
	.p2align	6
.LBB118_613:                            ; =>This Inner Loop Header: Depth=1
	s_waitcnt lgkmcnt(0)
	v_cmp_gt_f64_e32 vcc_lo, 0, v[242:243]
	v_xor_b32_e32 v214, 0x80000000, v243
	ds_read2_b64 v[234:237], v247 offset1:1
	v_xor_b32_e32 v216, 0x80000000, v245
	v_add_nc_u32_e32 v247, 16, v247
	s_waitcnt lgkmcnt(0)
	v_xor_b32_e32 v218, 0x80000000, v237
	v_cndmask_b32_e32 v215, v243, v214, vcc_lo
	v_cmp_gt_f64_e32 vcc_lo, 0, v[244:245]
	v_mov_b32_e32 v214, v242
	v_cndmask_b32_e32 v217, v245, v216, vcc_lo
	v_cmp_gt_f64_e32 vcc_lo, 0, v[234:235]
	v_mov_b32_e32 v216, v244
	v_add_f64 v[214:215], v[214:215], v[216:217]
	v_xor_b32_e32 v216, 0x80000000, v235
	v_cndmask_b32_e32 v217, v235, v216, vcc_lo
	v_cmp_gt_f64_e32 vcc_lo, 0, v[236:237]
	v_mov_b32_e32 v216, v234
	v_cndmask_b32_e32 v219, v237, v218, vcc_lo
	v_mov_b32_e32 v218, v236
	v_add_f64 v[216:217], v[216:217], v[218:219]
	v_cmp_lt_f64_e32 vcc_lo, v[214:215], v[216:217]
	v_cndmask_b32_e32 v243, v243, v235, vcc_lo
	v_cndmask_b32_e32 v242, v242, v234, vcc_lo
	;; [unrolled: 1-line block ×4, first 2 shown]
	v_cndmask_b32_e64 v250, v250, s0, vcc_lo
	s_add_i32 s0, s0, 1
	s_cmp_lg_u32 s8, s0
	s_cbranch_scc1 .LBB118_613
.LBB118_614:
	s_inst_prefetch 0x2
	s_waitcnt lgkmcnt(0)
	v_cmp_eq_f64_e32 vcc_lo, 0, v[242:243]
	v_cmp_eq_f64_e64 s0, 0, v[244:245]
	s_and_b32 s0, vcc_lo, s0
	s_and_saveexec_b32 s1, s0
	s_xor_b32 s0, exec_lo, s1
; %bb.615:
	v_cmp_ne_u32_e32 vcc_lo, 0, v255
	v_cndmask_b32_e32 v255, 30, v255, vcc_lo
; %bb.616:
	s_andn2_saveexec_b32 s0, s0
	s_cbranch_execz .LBB118_622
; %bb.617:
	v_cmp_ngt_f64_e64 s1, |v[242:243]|, |v[244:245]|
	s_and_saveexec_b32 s7, s1
	s_xor_b32 s1, exec_lo, s7
	s_cbranch_execz .LBB118_619
; %bb.618:
	v_div_scale_f64 v[214:215], null, v[244:245], v[244:245], v[242:243]
	v_div_scale_f64 v[220:221], vcc_lo, v[242:243], v[244:245], v[242:243]
	v_rcp_f64_e32 v[216:217], v[214:215]
	v_fma_f64 v[218:219], -v[214:215], v[216:217], 1.0
	v_fma_f64 v[216:217], v[216:217], v[218:219], v[216:217]
	v_fma_f64 v[218:219], -v[214:215], v[216:217], 1.0
	v_fma_f64 v[216:217], v[216:217], v[218:219], v[216:217]
	v_mul_f64 v[218:219], v[220:221], v[216:217]
	v_fma_f64 v[214:215], -v[214:215], v[218:219], v[220:221]
	v_div_fmas_f64 v[214:215], v[214:215], v[216:217], v[218:219]
	v_div_fixup_f64 v[214:215], v[214:215], v[244:245], v[242:243]
	v_fma_f64 v[216:217], v[242:243], v[214:215], v[244:245]
	v_div_scale_f64 v[218:219], null, v[216:217], v[216:217], 1.0
	v_rcp_f64_e32 v[220:221], v[218:219]
	v_fma_f64 v[222:223], -v[218:219], v[220:221], 1.0
	v_fma_f64 v[220:221], v[220:221], v[222:223], v[220:221]
	v_fma_f64 v[222:223], -v[218:219], v[220:221], 1.0
	v_fma_f64 v[220:221], v[220:221], v[222:223], v[220:221]
	v_div_scale_f64 v[222:223], vcc_lo, 1.0, v[216:217], 1.0
	v_mul_f64 v[224:225], v[222:223], v[220:221]
	v_fma_f64 v[218:219], -v[218:219], v[224:225], v[222:223]
	v_div_fmas_f64 v[218:219], v[218:219], v[220:221], v[224:225]
	v_div_fixup_f64 v[244:245], v[218:219], v[216:217], 1.0
	v_mul_f64 v[242:243], v[214:215], v[244:245]
	v_xor_b32_e32 v245, 0x80000000, v245
.LBB118_619:
	s_andn2_saveexec_b32 s1, s1
	s_cbranch_execz .LBB118_621
; %bb.620:
	v_div_scale_f64 v[214:215], null, v[242:243], v[242:243], v[244:245]
	v_div_scale_f64 v[220:221], vcc_lo, v[244:245], v[242:243], v[244:245]
	v_rcp_f64_e32 v[216:217], v[214:215]
	v_fma_f64 v[218:219], -v[214:215], v[216:217], 1.0
	v_fma_f64 v[216:217], v[216:217], v[218:219], v[216:217]
	v_fma_f64 v[218:219], -v[214:215], v[216:217], 1.0
	v_fma_f64 v[216:217], v[216:217], v[218:219], v[216:217]
	v_mul_f64 v[218:219], v[220:221], v[216:217]
	v_fma_f64 v[214:215], -v[214:215], v[218:219], v[220:221]
	v_div_fmas_f64 v[214:215], v[214:215], v[216:217], v[218:219]
	v_div_fixup_f64 v[214:215], v[214:215], v[242:243], v[244:245]
	v_fma_f64 v[216:217], v[244:245], v[214:215], v[242:243]
	v_div_scale_f64 v[218:219], null, v[216:217], v[216:217], 1.0
	v_rcp_f64_e32 v[220:221], v[218:219]
	v_fma_f64 v[222:223], -v[218:219], v[220:221], 1.0
	v_fma_f64 v[220:221], v[220:221], v[222:223], v[220:221]
	v_fma_f64 v[222:223], -v[218:219], v[220:221], 1.0
	v_fma_f64 v[220:221], v[220:221], v[222:223], v[220:221]
	v_div_scale_f64 v[222:223], vcc_lo, 1.0, v[216:217], 1.0
	v_mul_f64 v[224:225], v[222:223], v[220:221]
	v_fma_f64 v[218:219], -v[218:219], v[224:225], v[222:223]
	v_div_fmas_f64 v[218:219], v[218:219], v[220:221], v[224:225]
	v_div_fixup_f64 v[242:243], v[218:219], v[216:217], 1.0
	v_mul_f64 v[244:245], v[214:215], -v[242:243]
.LBB118_621:
	s_or_b32 exec_lo, exec_lo, s1
.LBB118_622:
	s_or_b32 exec_lo, exec_lo, s0
	s_mov_b32 s0, exec_lo
	v_cmpx_ne_u32_e64 v0, v250
	s_xor_b32 s0, exec_lo, s0
	s_cbranch_execz .LBB118_628
; %bb.623:
	s_mov_b32 s1, exec_lo
	v_cmpx_eq_u32_e32 29, v0
	s_cbranch_execz .LBB118_627
; %bb.624:
	v_cmp_ne_u32_e32 vcc_lo, 29, v250
	s_xor_b32 s7, s16, -1
	s_and_b32 s9, s7, vcc_lo
	s_and_saveexec_b32 s7, s9
	s_cbranch_execz .LBB118_626
; %bb.625:
	s_clause 0x1
	buffer_load_dword v210, off, s[20:23], 0 offset:16
	buffer_load_dword v211, off, s[20:23], 0 offset:20
	v_ashrrev_i32_e32 v251, 31, v250
	v_lshlrev_b64 v[214:215], 2, v[250:251]
	s_waitcnt vmcnt(1)
	v_add_co_u32 v214, vcc_lo, v210, v214
	s_waitcnt vmcnt(0)
	v_add_co_ci_u32_e64 v215, null, v211, v215, vcc_lo
	s_clause 0x1
	global_load_dword v0, v[214:215], off
	global_load_dword v216, v[210:211], off offset:116
	s_waitcnt vmcnt(1)
	global_store_dword v[210:211], v0, off offset:116
	s_waitcnt vmcnt(0)
	global_store_dword v[214:215], v216, off
.LBB118_626:
	s_or_b32 exec_lo, exec_lo, s7
	v_mov_b32_e32 v0, v250
	v_mov_b32_e32 v253, v250
.LBB118_627:
	s_or_b32 exec_lo, exec_lo, s1
.LBB118_628:
	s_andn2_saveexec_b32 s0, s0
	s_cbranch_execz .LBB118_630
; %bb.629:
	v_mov_b32_e32 v0, 29
	ds_write2_b64 v1, v[118:119], v[120:121] offset0:60 offset1:61
	ds_write2_b64 v1, v[114:115], v[116:117] offset0:62 offset1:63
	;; [unrolled: 1-line block ×30, first 2 shown]
.LBB118_630:
	s_or_b32 exec_lo, exec_lo, s0
	s_mov_b32 s0, exec_lo
	s_waitcnt lgkmcnt(0)
	s_waitcnt_vscnt null, 0x0
	s_barrier
	buffer_gl0_inv
	v_cmpx_lt_i32_e32 29, v0
	s_cbranch_execz .LBB118_632
; %bb.631:
	v_mul_f64 v[214:215], v[244:245], v[124:125]
	v_mul_f64 v[124:125], v[242:243], v[124:125]
	ds_read2_b64 v[234:237], v1 offset0:60 offset1:61
	v_fma_f64 v[250:251], v[242:243], v[122:123], -v[214:215]
	v_fma_f64 v[124:125], v[244:245], v[122:123], v[124:125]
	s_waitcnt lgkmcnt(0)
	v_mul_f64 v[122:123], v[236:237], v[124:125]
	v_mul_f64 v[214:215], v[234:235], v[124:125]
	v_fma_f64 v[122:123], v[234:235], v[250:251], -v[122:123]
	v_fma_f64 v[214:215], v[236:237], v[250:251], v[214:215]
	ds_read2_b64 v[234:237], v1 offset0:62 offset1:63
	v_add_f64 v[118:119], v[118:119], -v[122:123]
	v_add_f64 v[120:121], v[120:121], -v[214:215]
	s_waitcnt lgkmcnt(0)
	v_mul_f64 v[122:123], v[236:237], v[124:125]
	v_mul_f64 v[214:215], v[234:235], v[124:125]
	v_fma_f64 v[122:123], v[234:235], v[250:251], -v[122:123]
	v_fma_f64 v[214:215], v[236:237], v[250:251], v[214:215]
	ds_read2_b64 v[234:237], v1 offset0:64 offset1:65
	v_add_f64 v[114:115], v[114:115], -v[122:123]
	v_add_f64 v[116:117], v[116:117], -v[214:215]
	;; [unrolled: 8-line block ×29, first 2 shown]
	s_waitcnt lgkmcnt(0)
	v_mul_f64 v[122:123], v[236:237], v[124:125]
	v_mul_f64 v[214:215], v[234:235], v[124:125]
	v_fma_f64 v[122:123], v[234:235], v[250:251], -v[122:123]
	v_fma_f64 v[214:215], v[236:237], v[250:251], v[214:215]
	v_add_f64 v[226:227], v[226:227], -v[122:123]
	v_add_f64 v[228:229], v[228:229], -v[214:215]
	v_mov_b32_e32 v122, v250
	v_mov_b32_e32 v123, v251
.LBB118_632:
	s_or_b32 exec_lo, exec_lo, s0
	v_lshl_add_u32 v214, v0, 4, v1
	s_barrier
	buffer_gl0_inv
	v_mov_b32_e32 v250, 30
	ds_write2_b64 v214, v[118:119], v[120:121] offset1:1
	s_waitcnt lgkmcnt(0)
	s_barrier
	buffer_gl0_inv
	ds_read2_b64 v[242:245], v1 offset0:60 offset1:61
	s_cmp_lt_i32 s8, 32
	s_cbranch_scc1 .LBB118_635
; %bb.633:
	v_add3_u32 v247, v246, 0, 0x1f0
	v_mov_b32_e32 v250, 30
	s_mov_b32 s0, 31
	s_inst_prefetch 0x1
	.p2align	6
.LBB118_634:                            ; =>This Inner Loop Header: Depth=1
	s_waitcnt lgkmcnt(0)
	v_cmp_gt_f64_e32 vcc_lo, 0, v[242:243]
	v_xor_b32_e32 v214, 0x80000000, v243
	ds_read2_b64 v[234:237], v247 offset1:1
	v_xor_b32_e32 v216, 0x80000000, v245
	v_add_nc_u32_e32 v247, 16, v247
	s_waitcnt lgkmcnt(0)
	v_xor_b32_e32 v218, 0x80000000, v237
	v_cndmask_b32_e32 v215, v243, v214, vcc_lo
	v_cmp_gt_f64_e32 vcc_lo, 0, v[244:245]
	v_mov_b32_e32 v214, v242
	v_cndmask_b32_e32 v217, v245, v216, vcc_lo
	v_cmp_gt_f64_e32 vcc_lo, 0, v[234:235]
	v_mov_b32_e32 v216, v244
	v_add_f64 v[214:215], v[214:215], v[216:217]
	v_xor_b32_e32 v216, 0x80000000, v235
	v_cndmask_b32_e32 v217, v235, v216, vcc_lo
	v_cmp_gt_f64_e32 vcc_lo, 0, v[236:237]
	v_mov_b32_e32 v216, v234
	v_cndmask_b32_e32 v219, v237, v218, vcc_lo
	v_mov_b32_e32 v218, v236
	v_add_f64 v[216:217], v[216:217], v[218:219]
	v_cmp_lt_f64_e32 vcc_lo, v[214:215], v[216:217]
	v_cndmask_b32_e32 v243, v243, v235, vcc_lo
	v_cndmask_b32_e32 v242, v242, v234, vcc_lo
	;; [unrolled: 1-line block ×4, first 2 shown]
	v_cndmask_b32_e64 v250, v250, s0, vcc_lo
	s_add_i32 s0, s0, 1
	s_cmp_lg_u32 s8, s0
	s_cbranch_scc1 .LBB118_634
.LBB118_635:
	s_inst_prefetch 0x2
	s_waitcnt lgkmcnt(0)
	v_cmp_eq_f64_e32 vcc_lo, 0, v[242:243]
	v_cmp_eq_f64_e64 s0, 0, v[244:245]
	s_and_b32 s0, vcc_lo, s0
	s_and_saveexec_b32 s1, s0
	s_xor_b32 s0, exec_lo, s1
; %bb.636:
	v_cmp_ne_u32_e32 vcc_lo, 0, v255
	v_cndmask_b32_e32 v255, 31, v255, vcc_lo
; %bb.637:
	s_andn2_saveexec_b32 s0, s0
	s_cbranch_execz .LBB118_643
; %bb.638:
	v_cmp_ngt_f64_e64 s1, |v[242:243]|, |v[244:245]|
	s_and_saveexec_b32 s7, s1
	s_xor_b32 s1, exec_lo, s7
	s_cbranch_execz .LBB118_640
; %bb.639:
	v_div_scale_f64 v[214:215], null, v[244:245], v[244:245], v[242:243]
	v_div_scale_f64 v[220:221], vcc_lo, v[242:243], v[244:245], v[242:243]
	v_rcp_f64_e32 v[216:217], v[214:215]
	v_fma_f64 v[218:219], -v[214:215], v[216:217], 1.0
	v_fma_f64 v[216:217], v[216:217], v[218:219], v[216:217]
	v_fma_f64 v[218:219], -v[214:215], v[216:217], 1.0
	v_fma_f64 v[216:217], v[216:217], v[218:219], v[216:217]
	v_mul_f64 v[218:219], v[220:221], v[216:217]
	v_fma_f64 v[214:215], -v[214:215], v[218:219], v[220:221]
	v_div_fmas_f64 v[214:215], v[214:215], v[216:217], v[218:219]
	v_div_fixup_f64 v[214:215], v[214:215], v[244:245], v[242:243]
	v_fma_f64 v[216:217], v[242:243], v[214:215], v[244:245]
	v_div_scale_f64 v[218:219], null, v[216:217], v[216:217], 1.0
	v_rcp_f64_e32 v[220:221], v[218:219]
	v_fma_f64 v[222:223], -v[218:219], v[220:221], 1.0
	v_fma_f64 v[220:221], v[220:221], v[222:223], v[220:221]
	v_fma_f64 v[222:223], -v[218:219], v[220:221], 1.0
	v_fma_f64 v[220:221], v[220:221], v[222:223], v[220:221]
	v_div_scale_f64 v[222:223], vcc_lo, 1.0, v[216:217], 1.0
	v_mul_f64 v[224:225], v[222:223], v[220:221]
	v_fma_f64 v[218:219], -v[218:219], v[224:225], v[222:223]
	v_div_fmas_f64 v[218:219], v[218:219], v[220:221], v[224:225]
	v_div_fixup_f64 v[244:245], v[218:219], v[216:217], 1.0
	v_mul_f64 v[242:243], v[214:215], v[244:245]
	v_xor_b32_e32 v245, 0x80000000, v245
.LBB118_640:
	s_andn2_saveexec_b32 s1, s1
	s_cbranch_execz .LBB118_642
; %bb.641:
	v_div_scale_f64 v[214:215], null, v[242:243], v[242:243], v[244:245]
	v_div_scale_f64 v[220:221], vcc_lo, v[244:245], v[242:243], v[244:245]
	v_rcp_f64_e32 v[216:217], v[214:215]
	v_fma_f64 v[218:219], -v[214:215], v[216:217], 1.0
	v_fma_f64 v[216:217], v[216:217], v[218:219], v[216:217]
	v_fma_f64 v[218:219], -v[214:215], v[216:217], 1.0
	v_fma_f64 v[216:217], v[216:217], v[218:219], v[216:217]
	v_mul_f64 v[218:219], v[220:221], v[216:217]
	v_fma_f64 v[214:215], -v[214:215], v[218:219], v[220:221]
	v_div_fmas_f64 v[214:215], v[214:215], v[216:217], v[218:219]
	v_div_fixup_f64 v[214:215], v[214:215], v[242:243], v[244:245]
	v_fma_f64 v[216:217], v[244:245], v[214:215], v[242:243]
	v_div_scale_f64 v[218:219], null, v[216:217], v[216:217], 1.0
	v_rcp_f64_e32 v[220:221], v[218:219]
	v_fma_f64 v[222:223], -v[218:219], v[220:221], 1.0
	v_fma_f64 v[220:221], v[220:221], v[222:223], v[220:221]
	v_fma_f64 v[222:223], -v[218:219], v[220:221], 1.0
	v_fma_f64 v[220:221], v[220:221], v[222:223], v[220:221]
	v_div_scale_f64 v[222:223], vcc_lo, 1.0, v[216:217], 1.0
	v_mul_f64 v[224:225], v[222:223], v[220:221]
	v_fma_f64 v[218:219], -v[218:219], v[224:225], v[222:223]
	v_div_fmas_f64 v[218:219], v[218:219], v[220:221], v[224:225]
	v_div_fixup_f64 v[242:243], v[218:219], v[216:217], 1.0
	v_mul_f64 v[244:245], v[214:215], -v[242:243]
.LBB118_642:
	s_or_b32 exec_lo, exec_lo, s1
.LBB118_643:
	s_or_b32 exec_lo, exec_lo, s0
	s_mov_b32 s0, exec_lo
	v_cmpx_ne_u32_e64 v0, v250
	s_xor_b32 s0, exec_lo, s0
	s_cbranch_execz .LBB118_649
; %bb.644:
	s_mov_b32 s1, exec_lo
	v_cmpx_eq_u32_e32 30, v0
	s_cbranch_execz .LBB118_648
; %bb.645:
	v_cmp_ne_u32_e32 vcc_lo, 30, v250
	s_xor_b32 s7, s16, -1
	s_and_b32 s9, s7, vcc_lo
	s_and_saveexec_b32 s7, s9
	s_cbranch_execz .LBB118_647
; %bb.646:
	s_clause 0x1
	buffer_load_dword v210, off, s[20:23], 0 offset:16
	buffer_load_dword v211, off, s[20:23], 0 offset:20
	v_ashrrev_i32_e32 v251, 31, v250
	v_lshlrev_b64 v[214:215], 2, v[250:251]
	s_waitcnt vmcnt(1)
	v_add_co_u32 v214, vcc_lo, v210, v214
	s_waitcnt vmcnt(0)
	v_add_co_ci_u32_e64 v215, null, v211, v215, vcc_lo
	s_clause 0x1
	global_load_dword v0, v[214:215], off
	global_load_dword v216, v[210:211], off offset:120
	s_waitcnt vmcnt(1)
	global_store_dword v[210:211], v0, off offset:120
	s_waitcnt vmcnt(0)
	global_store_dword v[214:215], v216, off
.LBB118_647:
	s_or_b32 exec_lo, exec_lo, s7
	v_mov_b32_e32 v0, v250
	v_mov_b32_e32 v253, v250
.LBB118_648:
	s_or_b32 exec_lo, exec_lo, s1
.LBB118_649:
	s_andn2_saveexec_b32 s0, s0
	s_cbranch_execz .LBB118_651
; %bb.650:
	v_mov_b32_e32 v0, 30
	ds_write2_b64 v1, v[114:115], v[116:117] offset0:62 offset1:63
	ds_write2_b64 v1, v[110:111], v[112:113] offset0:64 offset1:65
	;; [unrolled: 1-line block ×29, first 2 shown]
.LBB118_651:
	s_or_b32 exec_lo, exec_lo, s0
	s_mov_b32 s0, exec_lo
	s_waitcnt lgkmcnt(0)
	s_waitcnt_vscnt null, 0x0
	s_barrier
	buffer_gl0_inv
	v_cmpx_lt_i32_e32 30, v0
	s_cbranch_execz .LBB118_653
; %bb.652:
	v_mul_f64 v[214:215], v[244:245], v[120:121]
	v_mul_f64 v[120:121], v[242:243], v[120:121]
	ds_read2_b64 v[234:237], v1 offset0:62 offset1:63
	v_fma_f64 v[250:251], v[242:243], v[118:119], -v[214:215]
	v_fma_f64 v[120:121], v[244:245], v[118:119], v[120:121]
	s_waitcnt lgkmcnt(0)
	v_mul_f64 v[118:119], v[236:237], v[120:121]
	v_mul_f64 v[214:215], v[234:235], v[120:121]
	v_fma_f64 v[118:119], v[234:235], v[250:251], -v[118:119]
	v_fma_f64 v[214:215], v[236:237], v[250:251], v[214:215]
	ds_read2_b64 v[234:237], v1 offset0:64 offset1:65
	v_add_f64 v[114:115], v[114:115], -v[118:119]
	v_add_f64 v[116:117], v[116:117], -v[214:215]
	s_waitcnt lgkmcnt(0)
	v_mul_f64 v[118:119], v[236:237], v[120:121]
	v_mul_f64 v[214:215], v[234:235], v[120:121]
	v_fma_f64 v[118:119], v[234:235], v[250:251], -v[118:119]
	v_fma_f64 v[214:215], v[236:237], v[250:251], v[214:215]
	ds_read2_b64 v[234:237], v1 offset0:66 offset1:67
	v_add_f64 v[110:111], v[110:111], -v[118:119]
	v_add_f64 v[112:113], v[112:113], -v[214:215]
	;; [unrolled: 8-line block ×28, first 2 shown]
	s_waitcnt lgkmcnt(0)
	v_mul_f64 v[118:119], v[236:237], v[120:121]
	v_mul_f64 v[214:215], v[234:235], v[120:121]
	v_fma_f64 v[118:119], v[234:235], v[250:251], -v[118:119]
	v_fma_f64 v[214:215], v[236:237], v[250:251], v[214:215]
	v_add_f64 v[226:227], v[226:227], -v[118:119]
	v_add_f64 v[228:229], v[228:229], -v[214:215]
	v_mov_b32_e32 v118, v250
	v_mov_b32_e32 v119, v251
.LBB118_653:
	s_or_b32 exec_lo, exec_lo, s0
	v_lshl_add_u32 v214, v0, 4, v1
	s_barrier
	buffer_gl0_inv
	v_mov_b32_e32 v250, 31
	ds_write2_b64 v214, v[114:115], v[116:117] offset1:1
	s_waitcnt lgkmcnt(0)
	s_barrier
	buffer_gl0_inv
	ds_read2_b64 v[242:245], v1 offset0:62 offset1:63
	s_cmp_lt_i32 s8, 33
	s_cbranch_scc1 .LBB118_656
; %bb.654:
	v_add3_u32 v247, v246, 0, 0x200
	v_mov_b32_e32 v250, 31
	s_mov_b32 s0, 32
	s_inst_prefetch 0x1
	.p2align	6
.LBB118_655:                            ; =>This Inner Loop Header: Depth=1
	s_waitcnt lgkmcnt(0)
	v_cmp_gt_f64_e32 vcc_lo, 0, v[242:243]
	v_xor_b32_e32 v214, 0x80000000, v243
	ds_read2_b64 v[234:237], v247 offset1:1
	v_xor_b32_e32 v216, 0x80000000, v245
	v_add_nc_u32_e32 v247, 16, v247
	s_waitcnt lgkmcnt(0)
	v_xor_b32_e32 v218, 0x80000000, v237
	v_cndmask_b32_e32 v215, v243, v214, vcc_lo
	v_cmp_gt_f64_e32 vcc_lo, 0, v[244:245]
	v_mov_b32_e32 v214, v242
	v_cndmask_b32_e32 v217, v245, v216, vcc_lo
	v_cmp_gt_f64_e32 vcc_lo, 0, v[234:235]
	v_mov_b32_e32 v216, v244
	v_add_f64 v[214:215], v[214:215], v[216:217]
	v_xor_b32_e32 v216, 0x80000000, v235
	v_cndmask_b32_e32 v217, v235, v216, vcc_lo
	v_cmp_gt_f64_e32 vcc_lo, 0, v[236:237]
	v_mov_b32_e32 v216, v234
	v_cndmask_b32_e32 v219, v237, v218, vcc_lo
	v_mov_b32_e32 v218, v236
	v_add_f64 v[216:217], v[216:217], v[218:219]
	v_cmp_lt_f64_e32 vcc_lo, v[214:215], v[216:217]
	v_cndmask_b32_e32 v243, v243, v235, vcc_lo
	v_cndmask_b32_e32 v242, v242, v234, vcc_lo
	;; [unrolled: 1-line block ×4, first 2 shown]
	v_cndmask_b32_e64 v250, v250, s0, vcc_lo
	s_add_i32 s0, s0, 1
	s_cmp_lg_u32 s8, s0
	s_cbranch_scc1 .LBB118_655
.LBB118_656:
	s_inst_prefetch 0x2
	s_waitcnt lgkmcnt(0)
	v_cmp_eq_f64_e32 vcc_lo, 0, v[242:243]
	v_cmp_eq_f64_e64 s0, 0, v[244:245]
	s_and_b32 s0, vcc_lo, s0
	s_and_saveexec_b32 s1, s0
	s_xor_b32 s0, exec_lo, s1
; %bb.657:
	v_cmp_ne_u32_e32 vcc_lo, 0, v255
	v_cndmask_b32_e32 v255, 32, v255, vcc_lo
; %bb.658:
	s_andn2_saveexec_b32 s0, s0
	s_cbranch_execz .LBB118_664
; %bb.659:
	v_cmp_ngt_f64_e64 s1, |v[242:243]|, |v[244:245]|
	s_and_saveexec_b32 s7, s1
	s_xor_b32 s1, exec_lo, s7
	s_cbranch_execz .LBB118_661
; %bb.660:
	v_div_scale_f64 v[214:215], null, v[244:245], v[244:245], v[242:243]
	v_div_scale_f64 v[220:221], vcc_lo, v[242:243], v[244:245], v[242:243]
	v_rcp_f64_e32 v[216:217], v[214:215]
	v_fma_f64 v[218:219], -v[214:215], v[216:217], 1.0
	v_fma_f64 v[216:217], v[216:217], v[218:219], v[216:217]
	v_fma_f64 v[218:219], -v[214:215], v[216:217], 1.0
	v_fma_f64 v[216:217], v[216:217], v[218:219], v[216:217]
	v_mul_f64 v[218:219], v[220:221], v[216:217]
	v_fma_f64 v[214:215], -v[214:215], v[218:219], v[220:221]
	v_div_fmas_f64 v[214:215], v[214:215], v[216:217], v[218:219]
	v_div_fixup_f64 v[214:215], v[214:215], v[244:245], v[242:243]
	v_fma_f64 v[216:217], v[242:243], v[214:215], v[244:245]
	v_div_scale_f64 v[218:219], null, v[216:217], v[216:217], 1.0
	v_rcp_f64_e32 v[220:221], v[218:219]
	v_fma_f64 v[222:223], -v[218:219], v[220:221], 1.0
	v_fma_f64 v[220:221], v[220:221], v[222:223], v[220:221]
	v_fma_f64 v[222:223], -v[218:219], v[220:221], 1.0
	v_fma_f64 v[220:221], v[220:221], v[222:223], v[220:221]
	v_div_scale_f64 v[222:223], vcc_lo, 1.0, v[216:217], 1.0
	v_mul_f64 v[224:225], v[222:223], v[220:221]
	v_fma_f64 v[218:219], -v[218:219], v[224:225], v[222:223]
	v_div_fmas_f64 v[218:219], v[218:219], v[220:221], v[224:225]
	v_div_fixup_f64 v[244:245], v[218:219], v[216:217], 1.0
	v_mul_f64 v[242:243], v[214:215], v[244:245]
	v_xor_b32_e32 v245, 0x80000000, v245
.LBB118_661:
	s_andn2_saveexec_b32 s1, s1
	s_cbranch_execz .LBB118_663
; %bb.662:
	v_div_scale_f64 v[214:215], null, v[242:243], v[242:243], v[244:245]
	v_div_scale_f64 v[220:221], vcc_lo, v[244:245], v[242:243], v[244:245]
	v_rcp_f64_e32 v[216:217], v[214:215]
	v_fma_f64 v[218:219], -v[214:215], v[216:217], 1.0
	v_fma_f64 v[216:217], v[216:217], v[218:219], v[216:217]
	v_fma_f64 v[218:219], -v[214:215], v[216:217], 1.0
	v_fma_f64 v[216:217], v[216:217], v[218:219], v[216:217]
	v_mul_f64 v[218:219], v[220:221], v[216:217]
	v_fma_f64 v[214:215], -v[214:215], v[218:219], v[220:221]
	v_div_fmas_f64 v[214:215], v[214:215], v[216:217], v[218:219]
	v_div_fixup_f64 v[214:215], v[214:215], v[242:243], v[244:245]
	v_fma_f64 v[216:217], v[244:245], v[214:215], v[242:243]
	v_div_scale_f64 v[218:219], null, v[216:217], v[216:217], 1.0
	v_rcp_f64_e32 v[220:221], v[218:219]
	v_fma_f64 v[222:223], -v[218:219], v[220:221], 1.0
	v_fma_f64 v[220:221], v[220:221], v[222:223], v[220:221]
	v_fma_f64 v[222:223], -v[218:219], v[220:221], 1.0
	v_fma_f64 v[220:221], v[220:221], v[222:223], v[220:221]
	v_div_scale_f64 v[222:223], vcc_lo, 1.0, v[216:217], 1.0
	v_mul_f64 v[224:225], v[222:223], v[220:221]
	v_fma_f64 v[218:219], -v[218:219], v[224:225], v[222:223]
	v_div_fmas_f64 v[218:219], v[218:219], v[220:221], v[224:225]
	v_div_fixup_f64 v[242:243], v[218:219], v[216:217], 1.0
	v_mul_f64 v[244:245], v[214:215], -v[242:243]
.LBB118_663:
	s_or_b32 exec_lo, exec_lo, s1
.LBB118_664:
	s_or_b32 exec_lo, exec_lo, s0
	s_mov_b32 s0, exec_lo
	v_cmpx_ne_u32_e64 v0, v250
	s_xor_b32 s0, exec_lo, s0
	s_cbranch_execz .LBB118_670
; %bb.665:
	s_mov_b32 s1, exec_lo
	v_cmpx_eq_u32_e32 31, v0
	s_cbranch_execz .LBB118_669
; %bb.666:
	v_cmp_ne_u32_e32 vcc_lo, 31, v250
	s_xor_b32 s7, s16, -1
	s_and_b32 s9, s7, vcc_lo
	s_and_saveexec_b32 s7, s9
	s_cbranch_execz .LBB118_668
; %bb.667:
	s_clause 0x1
	buffer_load_dword v210, off, s[20:23], 0 offset:16
	buffer_load_dword v211, off, s[20:23], 0 offset:20
	v_ashrrev_i32_e32 v251, 31, v250
	v_lshlrev_b64 v[214:215], 2, v[250:251]
	s_waitcnt vmcnt(1)
	v_add_co_u32 v214, vcc_lo, v210, v214
	s_waitcnt vmcnt(0)
	v_add_co_ci_u32_e64 v215, null, v211, v215, vcc_lo
	s_clause 0x1
	global_load_dword v0, v[214:215], off
	global_load_dword v216, v[210:211], off offset:124
	s_waitcnt vmcnt(1)
	global_store_dword v[210:211], v0, off offset:124
	s_waitcnt vmcnt(0)
	global_store_dword v[214:215], v216, off
.LBB118_668:
	s_or_b32 exec_lo, exec_lo, s7
	v_mov_b32_e32 v0, v250
	v_mov_b32_e32 v253, v250
.LBB118_669:
	s_or_b32 exec_lo, exec_lo, s1
.LBB118_670:
	s_andn2_saveexec_b32 s0, s0
	s_cbranch_execz .LBB118_672
; %bb.671:
	v_mov_b32_e32 v0, 31
	ds_write2_b64 v1, v[110:111], v[112:113] offset0:64 offset1:65
	ds_write2_b64 v1, v[106:107], v[108:109] offset0:66 offset1:67
	;; [unrolled: 1-line block ×28, first 2 shown]
.LBB118_672:
	s_or_b32 exec_lo, exec_lo, s0
	s_mov_b32 s0, exec_lo
	s_waitcnt lgkmcnt(0)
	s_waitcnt_vscnt null, 0x0
	s_barrier
	buffer_gl0_inv
	v_cmpx_lt_i32_e32 31, v0
	s_cbranch_execz .LBB118_674
; %bb.673:
	v_mul_f64 v[214:215], v[244:245], v[116:117]
	v_mul_f64 v[116:117], v[242:243], v[116:117]
	ds_read2_b64 v[234:237], v1 offset0:64 offset1:65
	v_fma_f64 v[250:251], v[242:243], v[114:115], -v[214:215]
	v_fma_f64 v[116:117], v[244:245], v[114:115], v[116:117]
	s_waitcnt lgkmcnt(0)
	v_mul_f64 v[114:115], v[236:237], v[116:117]
	v_mul_f64 v[214:215], v[234:235], v[116:117]
	v_fma_f64 v[114:115], v[234:235], v[250:251], -v[114:115]
	v_fma_f64 v[214:215], v[236:237], v[250:251], v[214:215]
	ds_read2_b64 v[234:237], v1 offset0:66 offset1:67
	v_add_f64 v[110:111], v[110:111], -v[114:115]
	v_add_f64 v[112:113], v[112:113], -v[214:215]
	s_waitcnt lgkmcnt(0)
	v_mul_f64 v[114:115], v[236:237], v[116:117]
	v_mul_f64 v[214:215], v[234:235], v[116:117]
	v_fma_f64 v[114:115], v[234:235], v[250:251], -v[114:115]
	v_fma_f64 v[214:215], v[236:237], v[250:251], v[214:215]
	ds_read2_b64 v[234:237], v1 offset0:68 offset1:69
	v_add_f64 v[106:107], v[106:107], -v[114:115]
	v_add_f64 v[108:109], v[108:109], -v[214:215]
	;; [unrolled: 8-line block ×27, first 2 shown]
	s_waitcnt lgkmcnt(0)
	v_mul_f64 v[114:115], v[236:237], v[116:117]
	v_mul_f64 v[214:215], v[234:235], v[116:117]
	v_fma_f64 v[114:115], v[234:235], v[250:251], -v[114:115]
	v_fma_f64 v[214:215], v[236:237], v[250:251], v[214:215]
	v_add_f64 v[226:227], v[226:227], -v[114:115]
	v_add_f64 v[228:229], v[228:229], -v[214:215]
	v_mov_b32_e32 v114, v250
	v_mov_b32_e32 v115, v251
.LBB118_674:
	s_or_b32 exec_lo, exec_lo, s0
	v_lshl_add_u32 v214, v0, 4, v1
	s_barrier
	buffer_gl0_inv
	v_mov_b32_e32 v250, 32
	ds_write2_b64 v214, v[110:111], v[112:113] offset1:1
	s_waitcnt lgkmcnt(0)
	s_barrier
	buffer_gl0_inv
	ds_read2_b64 v[242:245], v1 offset0:64 offset1:65
	s_cmp_lt_i32 s8, 34
	s_cbranch_scc1 .LBB118_677
; %bb.675:
	v_add3_u32 v247, v246, 0, 0x210
	v_mov_b32_e32 v250, 32
	s_mov_b32 s0, 33
	s_inst_prefetch 0x1
	.p2align	6
.LBB118_676:                            ; =>This Inner Loop Header: Depth=1
	s_waitcnt lgkmcnt(0)
	v_cmp_gt_f64_e32 vcc_lo, 0, v[242:243]
	v_xor_b32_e32 v214, 0x80000000, v243
	ds_read2_b64 v[234:237], v247 offset1:1
	v_xor_b32_e32 v216, 0x80000000, v245
	v_add_nc_u32_e32 v247, 16, v247
	s_waitcnt lgkmcnt(0)
	v_xor_b32_e32 v218, 0x80000000, v237
	v_cndmask_b32_e32 v215, v243, v214, vcc_lo
	v_cmp_gt_f64_e32 vcc_lo, 0, v[244:245]
	v_mov_b32_e32 v214, v242
	v_cndmask_b32_e32 v217, v245, v216, vcc_lo
	v_cmp_gt_f64_e32 vcc_lo, 0, v[234:235]
	v_mov_b32_e32 v216, v244
	v_add_f64 v[214:215], v[214:215], v[216:217]
	v_xor_b32_e32 v216, 0x80000000, v235
	v_cndmask_b32_e32 v217, v235, v216, vcc_lo
	v_cmp_gt_f64_e32 vcc_lo, 0, v[236:237]
	v_mov_b32_e32 v216, v234
	v_cndmask_b32_e32 v219, v237, v218, vcc_lo
	v_mov_b32_e32 v218, v236
	v_add_f64 v[216:217], v[216:217], v[218:219]
	v_cmp_lt_f64_e32 vcc_lo, v[214:215], v[216:217]
	v_cndmask_b32_e32 v243, v243, v235, vcc_lo
	v_cndmask_b32_e32 v242, v242, v234, vcc_lo
	;; [unrolled: 1-line block ×4, first 2 shown]
	v_cndmask_b32_e64 v250, v250, s0, vcc_lo
	s_add_i32 s0, s0, 1
	s_cmp_lg_u32 s8, s0
	s_cbranch_scc1 .LBB118_676
.LBB118_677:
	s_inst_prefetch 0x2
	s_waitcnt lgkmcnt(0)
	v_cmp_eq_f64_e32 vcc_lo, 0, v[242:243]
	v_cmp_eq_f64_e64 s0, 0, v[244:245]
	s_and_b32 s0, vcc_lo, s0
	s_and_saveexec_b32 s1, s0
	s_xor_b32 s0, exec_lo, s1
; %bb.678:
	v_cmp_ne_u32_e32 vcc_lo, 0, v255
	v_cndmask_b32_e32 v255, 33, v255, vcc_lo
; %bb.679:
	s_andn2_saveexec_b32 s0, s0
	s_cbranch_execz .LBB118_685
; %bb.680:
	v_cmp_ngt_f64_e64 s1, |v[242:243]|, |v[244:245]|
	s_and_saveexec_b32 s7, s1
	s_xor_b32 s1, exec_lo, s7
	s_cbranch_execz .LBB118_682
; %bb.681:
	v_div_scale_f64 v[214:215], null, v[244:245], v[244:245], v[242:243]
	v_div_scale_f64 v[220:221], vcc_lo, v[242:243], v[244:245], v[242:243]
	v_rcp_f64_e32 v[216:217], v[214:215]
	v_fma_f64 v[218:219], -v[214:215], v[216:217], 1.0
	v_fma_f64 v[216:217], v[216:217], v[218:219], v[216:217]
	v_fma_f64 v[218:219], -v[214:215], v[216:217], 1.0
	v_fma_f64 v[216:217], v[216:217], v[218:219], v[216:217]
	v_mul_f64 v[218:219], v[220:221], v[216:217]
	v_fma_f64 v[214:215], -v[214:215], v[218:219], v[220:221]
	v_div_fmas_f64 v[214:215], v[214:215], v[216:217], v[218:219]
	v_div_fixup_f64 v[214:215], v[214:215], v[244:245], v[242:243]
	v_fma_f64 v[216:217], v[242:243], v[214:215], v[244:245]
	v_div_scale_f64 v[218:219], null, v[216:217], v[216:217], 1.0
	v_rcp_f64_e32 v[220:221], v[218:219]
	v_fma_f64 v[222:223], -v[218:219], v[220:221], 1.0
	v_fma_f64 v[220:221], v[220:221], v[222:223], v[220:221]
	v_fma_f64 v[222:223], -v[218:219], v[220:221], 1.0
	v_fma_f64 v[220:221], v[220:221], v[222:223], v[220:221]
	v_div_scale_f64 v[222:223], vcc_lo, 1.0, v[216:217], 1.0
	v_mul_f64 v[224:225], v[222:223], v[220:221]
	v_fma_f64 v[218:219], -v[218:219], v[224:225], v[222:223]
	v_div_fmas_f64 v[218:219], v[218:219], v[220:221], v[224:225]
	v_div_fixup_f64 v[244:245], v[218:219], v[216:217], 1.0
	v_mul_f64 v[242:243], v[214:215], v[244:245]
	v_xor_b32_e32 v245, 0x80000000, v245
.LBB118_682:
	s_andn2_saveexec_b32 s1, s1
	s_cbranch_execz .LBB118_684
; %bb.683:
	v_div_scale_f64 v[214:215], null, v[242:243], v[242:243], v[244:245]
	v_div_scale_f64 v[220:221], vcc_lo, v[244:245], v[242:243], v[244:245]
	v_rcp_f64_e32 v[216:217], v[214:215]
	v_fma_f64 v[218:219], -v[214:215], v[216:217], 1.0
	v_fma_f64 v[216:217], v[216:217], v[218:219], v[216:217]
	v_fma_f64 v[218:219], -v[214:215], v[216:217], 1.0
	v_fma_f64 v[216:217], v[216:217], v[218:219], v[216:217]
	v_mul_f64 v[218:219], v[220:221], v[216:217]
	v_fma_f64 v[214:215], -v[214:215], v[218:219], v[220:221]
	v_div_fmas_f64 v[214:215], v[214:215], v[216:217], v[218:219]
	v_div_fixup_f64 v[214:215], v[214:215], v[242:243], v[244:245]
	v_fma_f64 v[216:217], v[244:245], v[214:215], v[242:243]
	v_div_scale_f64 v[218:219], null, v[216:217], v[216:217], 1.0
	v_rcp_f64_e32 v[220:221], v[218:219]
	v_fma_f64 v[222:223], -v[218:219], v[220:221], 1.0
	v_fma_f64 v[220:221], v[220:221], v[222:223], v[220:221]
	v_fma_f64 v[222:223], -v[218:219], v[220:221], 1.0
	v_fma_f64 v[220:221], v[220:221], v[222:223], v[220:221]
	v_div_scale_f64 v[222:223], vcc_lo, 1.0, v[216:217], 1.0
	v_mul_f64 v[224:225], v[222:223], v[220:221]
	v_fma_f64 v[218:219], -v[218:219], v[224:225], v[222:223]
	v_div_fmas_f64 v[218:219], v[218:219], v[220:221], v[224:225]
	v_div_fixup_f64 v[242:243], v[218:219], v[216:217], 1.0
	v_mul_f64 v[244:245], v[214:215], -v[242:243]
.LBB118_684:
	s_or_b32 exec_lo, exec_lo, s1
.LBB118_685:
	s_or_b32 exec_lo, exec_lo, s0
	s_mov_b32 s0, exec_lo
	v_cmpx_ne_u32_e64 v0, v250
	s_xor_b32 s0, exec_lo, s0
	s_cbranch_execz .LBB118_691
; %bb.686:
	s_mov_b32 s1, exec_lo
	v_cmpx_eq_u32_e32 32, v0
	s_cbranch_execz .LBB118_690
; %bb.687:
	v_cmp_ne_u32_e32 vcc_lo, 32, v250
	s_xor_b32 s7, s16, -1
	s_and_b32 s9, s7, vcc_lo
	s_and_saveexec_b32 s7, s9
	s_cbranch_execz .LBB118_689
; %bb.688:
	s_clause 0x1
	buffer_load_dword v210, off, s[20:23], 0 offset:16
	buffer_load_dword v211, off, s[20:23], 0 offset:20
	v_ashrrev_i32_e32 v251, 31, v250
	v_lshlrev_b64 v[214:215], 2, v[250:251]
	s_waitcnt vmcnt(1)
	v_add_co_u32 v214, vcc_lo, v210, v214
	s_waitcnt vmcnt(0)
	v_add_co_ci_u32_e64 v215, null, v211, v215, vcc_lo
	s_clause 0x1
	global_load_dword v0, v[214:215], off
	global_load_dword v216, v[210:211], off offset:128
	s_waitcnt vmcnt(1)
	global_store_dword v[210:211], v0, off offset:128
	s_waitcnt vmcnt(0)
	global_store_dword v[214:215], v216, off
.LBB118_689:
	s_or_b32 exec_lo, exec_lo, s7
	v_mov_b32_e32 v0, v250
	v_mov_b32_e32 v253, v250
.LBB118_690:
	s_or_b32 exec_lo, exec_lo, s1
.LBB118_691:
	s_andn2_saveexec_b32 s0, s0
	s_cbranch_execz .LBB118_693
; %bb.692:
	v_mov_b32_e32 v0, 32
	ds_write2_b64 v1, v[106:107], v[108:109] offset0:66 offset1:67
	ds_write2_b64 v1, v[102:103], v[104:105] offset0:68 offset1:69
	;; [unrolled: 1-line block ×27, first 2 shown]
.LBB118_693:
	s_or_b32 exec_lo, exec_lo, s0
	s_mov_b32 s0, exec_lo
	s_waitcnt lgkmcnt(0)
	s_waitcnt_vscnt null, 0x0
	s_barrier
	buffer_gl0_inv
	v_cmpx_lt_i32_e32 32, v0
	s_cbranch_execz .LBB118_695
; %bb.694:
	v_mul_f64 v[214:215], v[244:245], v[112:113]
	v_mul_f64 v[112:113], v[242:243], v[112:113]
	ds_read2_b64 v[234:237], v1 offset0:66 offset1:67
	v_fma_f64 v[250:251], v[242:243], v[110:111], -v[214:215]
	v_fma_f64 v[112:113], v[244:245], v[110:111], v[112:113]
	s_waitcnt lgkmcnt(0)
	v_mul_f64 v[110:111], v[236:237], v[112:113]
	v_mul_f64 v[214:215], v[234:235], v[112:113]
	v_fma_f64 v[110:111], v[234:235], v[250:251], -v[110:111]
	v_fma_f64 v[214:215], v[236:237], v[250:251], v[214:215]
	ds_read2_b64 v[234:237], v1 offset0:68 offset1:69
	v_add_f64 v[106:107], v[106:107], -v[110:111]
	v_add_f64 v[108:109], v[108:109], -v[214:215]
	s_waitcnt lgkmcnt(0)
	v_mul_f64 v[110:111], v[236:237], v[112:113]
	v_mul_f64 v[214:215], v[234:235], v[112:113]
	v_fma_f64 v[110:111], v[234:235], v[250:251], -v[110:111]
	v_fma_f64 v[214:215], v[236:237], v[250:251], v[214:215]
	ds_read2_b64 v[234:237], v1 offset0:70 offset1:71
	v_add_f64 v[102:103], v[102:103], -v[110:111]
	v_add_f64 v[104:105], v[104:105], -v[214:215]
	;; [unrolled: 8-line block ×26, first 2 shown]
	s_waitcnt lgkmcnt(0)
	v_mul_f64 v[110:111], v[236:237], v[112:113]
	v_mul_f64 v[214:215], v[234:235], v[112:113]
	v_fma_f64 v[110:111], v[234:235], v[250:251], -v[110:111]
	v_fma_f64 v[214:215], v[236:237], v[250:251], v[214:215]
	v_add_f64 v[226:227], v[226:227], -v[110:111]
	v_add_f64 v[228:229], v[228:229], -v[214:215]
	v_mov_b32_e32 v110, v250
	v_mov_b32_e32 v111, v251
.LBB118_695:
	s_or_b32 exec_lo, exec_lo, s0
	v_lshl_add_u32 v214, v0, 4, v1
	s_barrier
	buffer_gl0_inv
	v_mov_b32_e32 v250, 33
	ds_write2_b64 v214, v[106:107], v[108:109] offset1:1
	s_waitcnt lgkmcnt(0)
	s_barrier
	buffer_gl0_inv
	ds_read2_b64 v[242:245], v1 offset0:66 offset1:67
	s_cmp_lt_i32 s8, 35
	s_cbranch_scc1 .LBB118_698
; %bb.696:
	v_add3_u32 v247, v246, 0, 0x220
	v_mov_b32_e32 v250, 33
	s_mov_b32 s0, 34
	s_inst_prefetch 0x1
	.p2align	6
.LBB118_697:                            ; =>This Inner Loop Header: Depth=1
	s_waitcnt lgkmcnt(0)
	v_cmp_gt_f64_e32 vcc_lo, 0, v[242:243]
	v_xor_b32_e32 v214, 0x80000000, v243
	ds_read2_b64 v[234:237], v247 offset1:1
	v_xor_b32_e32 v216, 0x80000000, v245
	v_add_nc_u32_e32 v247, 16, v247
	s_waitcnt lgkmcnt(0)
	v_xor_b32_e32 v218, 0x80000000, v237
	v_cndmask_b32_e32 v215, v243, v214, vcc_lo
	v_cmp_gt_f64_e32 vcc_lo, 0, v[244:245]
	v_mov_b32_e32 v214, v242
	v_cndmask_b32_e32 v217, v245, v216, vcc_lo
	v_cmp_gt_f64_e32 vcc_lo, 0, v[234:235]
	v_mov_b32_e32 v216, v244
	v_add_f64 v[214:215], v[214:215], v[216:217]
	v_xor_b32_e32 v216, 0x80000000, v235
	v_cndmask_b32_e32 v217, v235, v216, vcc_lo
	v_cmp_gt_f64_e32 vcc_lo, 0, v[236:237]
	v_mov_b32_e32 v216, v234
	v_cndmask_b32_e32 v219, v237, v218, vcc_lo
	v_mov_b32_e32 v218, v236
	v_add_f64 v[216:217], v[216:217], v[218:219]
	v_cmp_lt_f64_e32 vcc_lo, v[214:215], v[216:217]
	v_cndmask_b32_e32 v243, v243, v235, vcc_lo
	v_cndmask_b32_e32 v242, v242, v234, vcc_lo
	v_cndmask_b32_e32 v245, v245, v237, vcc_lo
	v_cndmask_b32_e32 v244, v244, v236, vcc_lo
	v_cndmask_b32_e64 v250, v250, s0, vcc_lo
	s_add_i32 s0, s0, 1
	s_cmp_lg_u32 s8, s0
	s_cbranch_scc1 .LBB118_697
.LBB118_698:
	s_inst_prefetch 0x2
	s_waitcnt lgkmcnt(0)
	v_cmp_eq_f64_e32 vcc_lo, 0, v[242:243]
	v_cmp_eq_f64_e64 s0, 0, v[244:245]
	s_and_b32 s0, vcc_lo, s0
	s_and_saveexec_b32 s1, s0
	s_xor_b32 s0, exec_lo, s1
; %bb.699:
	v_cmp_ne_u32_e32 vcc_lo, 0, v255
	v_cndmask_b32_e32 v255, 34, v255, vcc_lo
; %bb.700:
	s_andn2_saveexec_b32 s0, s0
	s_cbranch_execz .LBB118_706
; %bb.701:
	v_cmp_ngt_f64_e64 s1, |v[242:243]|, |v[244:245]|
	s_and_saveexec_b32 s7, s1
	s_xor_b32 s1, exec_lo, s7
	s_cbranch_execz .LBB118_703
; %bb.702:
	v_div_scale_f64 v[214:215], null, v[244:245], v[244:245], v[242:243]
	v_div_scale_f64 v[220:221], vcc_lo, v[242:243], v[244:245], v[242:243]
	v_rcp_f64_e32 v[216:217], v[214:215]
	v_fma_f64 v[218:219], -v[214:215], v[216:217], 1.0
	v_fma_f64 v[216:217], v[216:217], v[218:219], v[216:217]
	v_fma_f64 v[218:219], -v[214:215], v[216:217], 1.0
	v_fma_f64 v[216:217], v[216:217], v[218:219], v[216:217]
	v_mul_f64 v[218:219], v[220:221], v[216:217]
	v_fma_f64 v[214:215], -v[214:215], v[218:219], v[220:221]
	v_div_fmas_f64 v[214:215], v[214:215], v[216:217], v[218:219]
	v_div_fixup_f64 v[214:215], v[214:215], v[244:245], v[242:243]
	v_fma_f64 v[216:217], v[242:243], v[214:215], v[244:245]
	v_div_scale_f64 v[218:219], null, v[216:217], v[216:217], 1.0
	v_rcp_f64_e32 v[220:221], v[218:219]
	v_fma_f64 v[222:223], -v[218:219], v[220:221], 1.0
	v_fma_f64 v[220:221], v[220:221], v[222:223], v[220:221]
	v_fma_f64 v[222:223], -v[218:219], v[220:221], 1.0
	v_fma_f64 v[220:221], v[220:221], v[222:223], v[220:221]
	v_div_scale_f64 v[222:223], vcc_lo, 1.0, v[216:217], 1.0
	v_mul_f64 v[224:225], v[222:223], v[220:221]
	v_fma_f64 v[218:219], -v[218:219], v[224:225], v[222:223]
	v_div_fmas_f64 v[218:219], v[218:219], v[220:221], v[224:225]
	v_div_fixup_f64 v[244:245], v[218:219], v[216:217], 1.0
	v_mul_f64 v[242:243], v[214:215], v[244:245]
	v_xor_b32_e32 v245, 0x80000000, v245
.LBB118_703:
	s_andn2_saveexec_b32 s1, s1
	s_cbranch_execz .LBB118_705
; %bb.704:
	v_div_scale_f64 v[214:215], null, v[242:243], v[242:243], v[244:245]
	v_div_scale_f64 v[220:221], vcc_lo, v[244:245], v[242:243], v[244:245]
	v_rcp_f64_e32 v[216:217], v[214:215]
	v_fma_f64 v[218:219], -v[214:215], v[216:217], 1.0
	v_fma_f64 v[216:217], v[216:217], v[218:219], v[216:217]
	v_fma_f64 v[218:219], -v[214:215], v[216:217], 1.0
	v_fma_f64 v[216:217], v[216:217], v[218:219], v[216:217]
	v_mul_f64 v[218:219], v[220:221], v[216:217]
	v_fma_f64 v[214:215], -v[214:215], v[218:219], v[220:221]
	v_div_fmas_f64 v[214:215], v[214:215], v[216:217], v[218:219]
	v_div_fixup_f64 v[214:215], v[214:215], v[242:243], v[244:245]
	v_fma_f64 v[216:217], v[244:245], v[214:215], v[242:243]
	v_div_scale_f64 v[218:219], null, v[216:217], v[216:217], 1.0
	v_rcp_f64_e32 v[220:221], v[218:219]
	v_fma_f64 v[222:223], -v[218:219], v[220:221], 1.0
	v_fma_f64 v[220:221], v[220:221], v[222:223], v[220:221]
	v_fma_f64 v[222:223], -v[218:219], v[220:221], 1.0
	v_fma_f64 v[220:221], v[220:221], v[222:223], v[220:221]
	v_div_scale_f64 v[222:223], vcc_lo, 1.0, v[216:217], 1.0
	v_mul_f64 v[224:225], v[222:223], v[220:221]
	v_fma_f64 v[218:219], -v[218:219], v[224:225], v[222:223]
	v_div_fmas_f64 v[218:219], v[218:219], v[220:221], v[224:225]
	v_div_fixup_f64 v[242:243], v[218:219], v[216:217], 1.0
	v_mul_f64 v[244:245], v[214:215], -v[242:243]
.LBB118_705:
	s_or_b32 exec_lo, exec_lo, s1
.LBB118_706:
	s_or_b32 exec_lo, exec_lo, s0
	s_mov_b32 s0, exec_lo
	v_cmpx_ne_u32_e64 v0, v250
	s_xor_b32 s0, exec_lo, s0
	s_cbranch_execz .LBB118_712
; %bb.707:
	s_mov_b32 s1, exec_lo
	v_cmpx_eq_u32_e32 33, v0
	s_cbranch_execz .LBB118_711
; %bb.708:
	v_cmp_ne_u32_e32 vcc_lo, 33, v250
	s_xor_b32 s7, s16, -1
	s_and_b32 s9, s7, vcc_lo
	s_and_saveexec_b32 s7, s9
	s_cbranch_execz .LBB118_710
; %bb.709:
	s_clause 0x1
	buffer_load_dword v210, off, s[20:23], 0 offset:16
	buffer_load_dword v211, off, s[20:23], 0 offset:20
	v_ashrrev_i32_e32 v251, 31, v250
	v_lshlrev_b64 v[214:215], 2, v[250:251]
	s_waitcnt vmcnt(1)
	v_add_co_u32 v214, vcc_lo, v210, v214
	s_waitcnt vmcnt(0)
	v_add_co_ci_u32_e64 v215, null, v211, v215, vcc_lo
	s_clause 0x1
	global_load_dword v0, v[214:215], off
	global_load_dword v216, v[210:211], off offset:132
	s_waitcnt vmcnt(1)
	global_store_dword v[210:211], v0, off offset:132
	s_waitcnt vmcnt(0)
	global_store_dword v[214:215], v216, off
.LBB118_710:
	s_or_b32 exec_lo, exec_lo, s7
	v_mov_b32_e32 v0, v250
	v_mov_b32_e32 v253, v250
.LBB118_711:
	s_or_b32 exec_lo, exec_lo, s1
.LBB118_712:
	s_andn2_saveexec_b32 s0, s0
	s_cbranch_execz .LBB118_714
; %bb.713:
	v_mov_b32_e32 v0, 33
	ds_write2_b64 v1, v[102:103], v[104:105] offset0:68 offset1:69
	ds_write2_b64 v1, v[98:99], v[100:101] offset0:70 offset1:71
	;; [unrolled: 1-line block ×26, first 2 shown]
.LBB118_714:
	s_or_b32 exec_lo, exec_lo, s0
	s_mov_b32 s0, exec_lo
	s_waitcnt lgkmcnt(0)
	s_waitcnt_vscnt null, 0x0
	s_barrier
	buffer_gl0_inv
	v_cmpx_lt_i32_e32 33, v0
	s_cbranch_execz .LBB118_716
; %bb.715:
	v_mul_f64 v[214:215], v[244:245], v[108:109]
	v_mul_f64 v[108:109], v[242:243], v[108:109]
	ds_read2_b64 v[234:237], v1 offset0:68 offset1:69
	v_fma_f64 v[250:251], v[242:243], v[106:107], -v[214:215]
	v_fma_f64 v[108:109], v[244:245], v[106:107], v[108:109]
	s_waitcnt lgkmcnt(0)
	v_mul_f64 v[106:107], v[236:237], v[108:109]
	v_mul_f64 v[214:215], v[234:235], v[108:109]
	v_fma_f64 v[106:107], v[234:235], v[250:251], -v[106:107]
	v_fma_f64 v[214:215], v[236:237], v[250:251], v[214:215]
	ds_read2_b64 v[234:237], v1 offset0:70 offset1:71
	v_add_f64 v[102:103], v[102:103], -v[106:107]
	v_add_f64 v[104:105], v[104:105], -v[214:215]
	s_waitcnt lgkmcnt(0)
	v_mul_f64 v[106:107], v[236:237], v[108:109]
	v_mul_f64 v[214:215], v[234:235], v[108:109]
	v_fma_f64 v[106:107], v[234:235], v[250:251], -v[106:107]
	v_fma_f64 v[214:215], v[236:237], v[250:251], v[214:215]
	ds_read2_b64 v[234:237], v1 offset0:72 offset1:73
	v_add_f64 v[98:99], v[98:99], -v[106:107]
	v_add_f64 v[100:101], v[100:101], -v[214:215]
	s_waitcnt lgkmcnt(0)
	v_mul_f64 v[106:107], v[236:237], v[108:109]
	v_mul_f64 v[214:215], v[234:235], v[108:109]
	v_fma_f64 v[106:107], v[234:235], v[250:251], -v[106:107]
	v_fma_f64 v[214:215], v[236:237], v[250:251], v[214:215]
	ds_read2_b64 v[234:237], v1 offset0:74 offset1:75
	v_add_f64 v[94:95], v[94:95], -v[106:107]
	v_add_f64 v[96:97], v[96:97], -v[214:215]
	s_waitcnt lgkmcnt(0)
	v_mul_f64 v[106:107], v[236:237], v[108:109]
	v_mul_f64 v[214:215], v[234:235], v[108:109]
	v_fma_f64 v[106:107], v[234:235], v[250:251], -v[106:107]
	v_fma_f64 v[214:215], v[236:237], v[250:251], v[214:215]
	ds_read2_b64 v[234:237], v1 offset0:76 offset1:77
	v_add_f64 v[90:91], v[90:91], -v[106:107]
	v_add_f64 v[92:93], v[92:93], -v[214:215]
	s_waitcnt lgkmcnt(0)
	v_mul_f64 v[106:107], v[236:237], v[108:109]
	v_mul_f64 v[214:215], v[234:235], v[108:109]
	v_fma_f64 v[106:107], v[234:235], v[250:251], -v[106:107]
	v_fma_f64 v[214:215], v[236:237], v[250:251], v[214:215]
	ds_read2_b64 v[234:237], v1 offset0:78 offset1:79
	v_add_f64 v[86:87], v[86:87], -v[106:107]
	v_add_f64 v[88:89], v[88:89], -v[214:215]
	s_waitcnt lgkmcnt(0)
	v_mul_f64 v[106:107], v[236:237], v[108:109]
	v_mul_f64 v[214:215], v[234:235], v[108:109]
	v_fma_f64 v[106:107], v[234:235], v[250:251], -v[106:107]
	v_fma_f64 v[214:215], v[236:237], v[250:251], v[214:215]
	ds_read2_b64 v[234:237], v1 offset0:80 offset1:81
	v_add_f64 v[82:83], v[82:83], -v[106:107]
	v_add_f64 v[84:85], v[84:85], -v[214:215]
	s_waitcnt lgkmcnt(0)
	v_mul_f64 v[106:107], v[236:237], v[108:109]
	v_mul_f64 v[214:215], v[234:235], v[108:109]
	v_fma_f64 v[106:107], v[234:235], v[250:251], -v[106:107]
	v_fma_f64 v[214:215], v[236:237], v[250:251], v[214:215]
	ds_read2_b64 v[234:237], v1 offset0:82 offset1:83
	v_add_f64 v[78:79], v[78:79], -v[106:107]
	v_add_f64 v[80:81], v[80:81], -v[214:215]
	s_waitcnt lgkmcnt(0)
	v_mul_f64 v[106:107], v[236:237], v[108:109]
	v_mul_f64 v[214:215], v[234:235], v[108:109]
	v_fma_f64 v[106:107], v[234:235], v[250:251], -v[106:107]
	v_fma_f64 v[214:215], v[236:237], v[250:251], v[214:215]
	ds_read2_b64 v[234:237], v1 offset0:84 offset1:85
	v_add_f64 v[74:75], v[74:75], -v[106:107]
	v_add_f64 v[76:77], v[76:77], -v[214:215]
	s_waitcnt lgkmcnt(0)
	v_mul_f64 v[106:107], v[236:237], v[108:109]
	v_mul_f64 v[214:215], v[234:235], v[108:109]
	v_fma_f64 v[106:107], v[234:235], v[250:251], -v[106:107]
	v_fma_f64 v[214:215], v[236:237], v[250:251], v[214:215]
	ds_read2_b64 v[234:237], v1 offset0:86 offset1:87
	v_add_f64 v[70:71], v[70:71], -v[106:107]
	v_add_f64 v[72:73], v[72:73], -v[214:215]
	s_waitcnt lgkmcnt(0)
	v_mul_f64 v[106:107], v[236:237], v[108:109]
	v_mul_f64 v[214:215], v[234:235], v[108:109]
	v_fma_f64 v[106:107], v[234:235], v[250:251], -v[106:107]
	v_fma_f64 v[214:215], v[236:237], v[250:251], v[214:215]
	ds_read2_b64 v[234:237], v1 offset0:88 offset1:89
	v_add_f64 v[66:67], v[66:67], -v[106:107]
	v_add_f64 v[68:69], v[68:69], -v[214:215]
	s_waitcnt lgkmcnt(0)
	v_mul_f64 v[106:107], v[236:237], v[108:109]
	v_mul_f64 v[214:215], v[234:235], v[108:109]
	v_fma_f64 v[106:107], v[234:235], v[250:251], -v[106:107]
	v_fma_f64 v[214:215], v[236:237], v[250:251], v[214:215]
	ds_read2_b64 v[234:237], v1 offset0:90 offset1:91
	v_add_f64 v[62:63], v[62:63], -v[106:107]
	v_add_f64 v[64:65], v[64:65], -v[214:215]
	s_waitcnt lgkmcnt(0)
	v_mul_f64 v[106:107], v[236:237], v[108:109]
	v_mul_f64 v[214:215], v[234:235], v[108:109]
	v_fma_f64 v[106:107], v[234:235], v[250:251], -v[106:107]
	v_fma_f64 v[214:215], v[236:237], v[250:251], v[214:215]
	ds_read2_b64 v[234:237], v1 offset0:92 offset1:93
	v_add_f64 v[58:59], v[58:59], -v[106:107]
	v_add_f64 v[60:61], v[60:61], -v[214:215]
	s_waitcnt lgkmcnt(0)
	v_mul_f64 v[106:107], v[236:237], v[108:109]
	v_mul_f64 v[214:215], v[234:235], v[108:109]
	v_fma_f64 v[106:107], v[234:235], v[250:251], -v[106:107]
	v_fma_f64 v[214:215], v[236:237], v[250:251], v[214:215]
	ds_read2_b64 v[234:237], v1 offset0:94 offset1:95
	v_add_f64 v[54:55], v[54:55], -v[106:107]
	v_add_f64 v[56:57], v[56:57], -v[214:215]
	s_waitcnt lgkmcnt(0)
	v_mul_f64 v[106:107], v[236:237], v[108:109]
	v_mul_f64 v[214:215], v[234:235], v[108:109]
	v_fma_f64 v[106:107], v[234:235], v[250:251], -v[106:107]
	v_fma_f64 v[214:215], v[236:237], v[250:251], v[214:215]
	ds_read2_b64 v[234:237], v1 offset0:96 offset1:97
	v_add_f64 v[50:51], v[50:51], -v[106:107]
	v_add_f64 v[52:53], v[52:53], -v[214:215]
	s_waitcnt lgkmcnt(0)
	v_mul_f64 v[106:107], v[236:237], v[108:109]
	v_mul_f64 v[214:215], v[234:235], v[108:109]
	v_fma_f64 v[106:107], v[234:235], v[250:251], -v[106:107]
	v_fma_f64 v[214:215], v[236:237], v[250:251], v[214:215]
	ds_read2_b64 v[234:237], v1 offset0:98 offset1:99
	v_add_f64 v[46:47], v[46:47], -v[106:107]
	v_add_f64 v[48:49], v[48:49], -v[214:215]
	s_waitcnt lgkmcnt(0)
	v_mul_f64 v[106:107], v[236:237], v[108:109]
	v_mul_f64 v[214:215], v[234:235], v[108:109]
	v_fma_f64 v[106:107], v[234:235], v[250:251], -v[106:107]
	v_fma_f64 v[214:215], v[236:237], v[250:251], v[214:215]
	ds_read2_b64 v[234:237], v1 offset0:100 offset1:101
	v_add_f64 v[42:43], v[42:43], -v[106:107]
	v_add_f64 v[44:45], v[44:45], -v[214:215]
	s_waitcnt lgkmcnt(0)
	v_mul_f64 v[106:107], v[236:237], v[108:109]
	v_mul_f64 v[214:215], v[234:235], v[108:109]
	v_fma_f64 v[106:107], v[234:235], v[250:251], -v[106:107]
	v_fma_f64 v[214:215], v[236:237], v[250:251], v[214:215]
	ds_read2_b64 v[234:237], v1 offset0:102 offset1:103
	v_add_f64 v[38:39], v[38:39], -v[106:107]
	v_add_f64 v[40:41], v[40:41], -v[214:215]
	s_waitcnt lgkmcnt(0)
	v_mul_f64 v[106:107], v[236:237], v[108:109]
	v_mul_f64 v[214:215], v[234:235], v[108:109]
	v_fma_f64 v[106:107], v[234:235], v[250:251], -v[106:107]
	v_fma_f64 v[214:215], v[236:237], v[250:251], v[214:215]
	ds_read2_b64 v[234:237], v1 offset0:104 offset1:105
	v_add_f64 v[34:35], v[34:35], -v[106:107]
	v_add_f64 v[36:37], v[36:37], -v[214:215]
	s_waitcnt lgkmcnt(0)
	v_mul_f64 v[106:107], v[236:237], v[108:109]
	v_mul_f64 v[214:215], v[234:235], v[108:109]
	v_fma_f64 v[106:107], v[234:235], v[250:251], -v[106:107]
	v_fma_f64 v[214:215], v[236:237], v[250:251], v[214:215]
	ds_read2_b64 v[234:237], v1 offset0:106 offset1:107
	v_add_f64 v[30:31], v[30:31], -v[106:107]
	v_add_f64 v[32:33], v[32:33], -v[214:215]
	s_waitcnt lgkmcnt(0)
	v_mul_f64 v[106:107], v[236:237], v[108:109]
	v_mul_f64 v[214:215], v[234:235], v[108:109]
	v_fma_f64 v[106:107], v[234:235], v[250:251], -v[106:107]
	v_fma_f64 v[214:215], v[236:237], v[250:251], v[214:215]
	ds_read2_b64 v[234:237], v1 offset0:108 offset1:109
	v_add_f64 v[26:27], v[26:27], -v[106:107]
	v_add_f64 v[28:29], v[28:29], -v[214:215]
	s_waitcnt lgkmcnt(0)
	v_mul_f64 v[106:107], v[236:237], v[108:109]
	v_mul_f64 v[214:215], v[234:235], v[108:109]
	v_fma_f64 v[106:107], v[234:235], v[250:251], -v[106:107]
	v_fma_f64 v[214:215], v[236:237], v[250:251], v[214:215]
	ds_read2_b64 v[234:237], v1 offset0:110 offset1:111
	v_add_f64 v[22:23], v[22:23], -v[106:107]
	v_add_f64 v[24:25], v[24:25], -v[214:215]
	s_waitcnt lgkmcnt(0)
	v_mul_f64 v[106:107], v[236:237], v[108:109]
	v_mul_f64 v[214:215], v[234:235], v[108:109]
	v_fma_f64 v[106:107], v[234:235], v[250:251], -v[106:107]
	v_fma_f64 v[214:215], v[236:237], v[250:251], v[214:215]
	ds_read2_b64 v[234:237], v1 offset0:112 offset1:113
	v_add_f64 v[18:19], v[18:19], -v[106:107]
	v_add_f64 v[20:21], v[20:21], -v[214:215]
	s_waitcnt lgkmcnt(0)
	v_mul_f64 v[106:107], v[236:237], v[108:109]
	v_mul_f64 v[214:215], v[234:235], v[108:109]
	v_fma_f64 v[106:107], v[234:235], v[250:251], -v[106:107]
	v_fma_f64 v[214:215], v[236:237], v[250:251], v[214:215]
	ds_read2_b64 v[234:237], v1 offset0:114 offset1:115
	v_add_f64 v[14:15], v[14:15], -v[106:107]
	v_add_f64 v[16:17], v[16:17], -v[214:215]
	s_waitcnt lgkmcnt(0)
	v_mul_f64 v[106:107], v[236:237], v[108:109]
	v_mul_f64 v[214:215], v[234:235], v[108:109]
	v_fma_f64 v[106:107], v[234:235], v[250:251], -v[106:107]
	v_fma_f64 v[214:215], v[236:237], v[250:251], v[214:215]
	ds_read2_b64 v[234:237], v1 offset0:116 offset1:117
	v_add_f64 v[10:11], v[10:11], -v[106:107]
	v_add_f64 v[12:13], v[12:13], -v[214:215]
	s_waitcnt lgkmcnt(0)
	v_mul_f64 v[106:107], v[236:237], v[108:109]
	v_mul_f64 v[214:215], v[234:235], v[108:109]
	v_fma_f64 v[106:107], v[234:235], v[250:251], -v[106:107]
	v_fma_f64 v[214:215], v[236:237], v[250:251], v[214:215]
	ds_read2_b64 v[234:237], v1 offset0:118 offset1:119
	v_add_f64 v[238:239], v[238:239], -v[106:107]
	v_add_f64 v[240:241], v[240:241], -v[214:215]
	s_waitcnt lgkmcnt(0)
	v_mul_f64 v[106:107], v[236:237], v[108:109]
	v_mul_f64 v[214:215], v[234:235], v[108:109]
	v_fma_f64 v[106:107], v[234:235], v[250:251], -v[106:107]
	v_fma_f64 v[214:215], v[236:237], v[250:251], v[214:215]
	v_add_f64 v[226:227], v[226:227], -v[106:107]
	v_add_f64 v[228:229], v[228:229], -v[214:215]
	v_mov_b32_e32 v106, v250
	v_mov_b32_e32 v107, v251
.LBB118_716:
	s_or_b32 exec_lo, exec_lo, s0
	v_lshl_add_u32 v214, v0, 4, v1
	s_barrier
	buffer_gl0_inv
	v_mov_b32_e32 v250, 34
	ds_write2_b64 v214, v[102:103], v[104:105] offset1:1
	s_waitcnt lgkmcnt(0)
	s_barrier
	buffer_gl0_inv
	ds_read2_b64 v[242:245], v1 offset0:68 offset1:69
	s_cmp_lt_i32 s8, 36
	s_cbranch_scc1 .LBB118_719
; %bb.717:
	v_add3_u32 v247, v246, 0, 0x230
	v_mov_b32_e32 v250, 34
	s_mov_b32 s0, 35
	s_inst_prefetch 0x1
	.p2align	6
.LBB118_718:                            ; =>This Inner Loop Header: Depth=1
	s_waitcnt lgkmcnt(0)
	v_cmp_gt_f64_e32 vcc_lo, 0, v[242:243]
	v_xor_b32_e32 v214, 0x80000000, v243
	ds_read2_b64 v[234:237], v247 offset1:1
	v_xor_b32_e32 v216, 0x80000000, v245
	v_add_nc_u32_e32 v247, 16, v247
	s_waitcnt lgkmcnt(0)
	v_xor_b32_e32 v218, 0x80000000, v237
	v_cndmask_b32_e32 v215, v243, v214, vcc_lo
	v_cmp_gt_f64_e32 vcc_lo, 0, v[244:245]
	v_mov_b32_e32 v214, v242
	v_cndmask_b32_e32 v217, v245, v216, vcc_lo
	v_cmp_gt_f64_e32 vcc_lo, 0, v[234:235]
	v_mov_b32_e32 v216, v244
	v_add_f64 v[214:215], v[214:215], v[216:217]
	v_xor_b32_e32 v216, 0x80000000, v235
	v_cndmask_b32_e32 v217, v235, v216, vcc_lo
	v_cmp_gt_f64_e32 vcc_lo, 0, v[236:237]
	v_mov_b32_e32 v216, v234
	v_cndmask_b32_e32 v219, v237, v218, vcc_lo
	v_mov_b32_e32 v218, v236
	v_add_f64 v[216:217], v[216:217], v[218:219]
	v_cmp_lt_f64_e32 vcc_lo, v[214:215], v[216:217]
	v_cndmask_b32_e32 v243, v243, v235, vcc_lo
	v_cndmask_b32_e32 v242, v242, v234, vcc_lo
	;; [unrolled: 1-line block ×4, first 2 shown]
	v_cndmask_b32_e64 v250, v250, s0, vcc_lo
	s_add_i32 s0, s0, 1
	s_cmp_lg_u32 s8, s0
	s_cbranch_scc1 .LBB118_718
.LBB118_719:
	s_inst_prefetch 0x2
	s_waitcnt lgkmcnt(0)
	v_cmp_eq_f64_e32 vcc_lo, 0, v[242:243]
	v_cmp_eq_f64_e64 s0, 0, v[244:245]
	s_and_b32 s0, vcc_lo, s0
	s_and_saveexec_b32 s1, s0
	s_xor_b32 s0, exec_lo, s1
; %bb.720:
	v_cmp_ne_u32_e32 vcc_lo, 0, v255
	v_cndmask_b32_e32 v255, 35, v255, vcc_lo
; %bb.721:
	s_andn2_saveexec_b32 s0, s0
	s_cbranch_execz .LBB118_727
; %bb.722:
	v_cmp_ngt_f64_e64 s1, |v[242:243]|, |v[244:245]|
	s_and_saveexec_b32 s7, s1
	s_xor_b32 s1, exec_lo, s7
	s_cbranch_execz .LBB118_724
; %bb.723:
	v_div_scale_f64 v[214:215], null, v[244:245], v[244:245], v[242:243]
	v_div_scale_f64 v[220:221], vcc_lo, v[242:243], v[244:245], v[242:243]
	v_rcp_f64_e32 v[216:217], v[214:215]
	v_fma_f64 v[218:219], -v[214:215], v[216:217], 1.0
	v_fma_f64 v[216:217], v[216:217], v[218:219], v[216:217]
	v_fma_f64 v[218:219], -v[214:215], v[216:217], 1.0
	v_fma_f64 v[216:217], v[216:217], v[218:219], v[216:217]
	v_mul_f64 v[218:219], v[220:221], v[216:217]
	v_fma_f64 v[214:215], -v[214:215], v[218:219], v[220:221]
	v_div_fmas_f64 v[214:215], v[214:215], v[216:217], v[218:219]
	v_div_fixup_f64 v[214:215], v[214:215], v[244:245], v[242:243]
	v_fma_f64 v[216:217], v[242:243], v[214:215], v[244:245]
	v_div_scale_f64 v[218:219], null, v[216:217], v[216:217], 1.0
	v_rcp_f64_e32 v[220:221], v[218:219]
	v_fma_f64 v[222:223], -v[218:219], v[220:221], 1.0
	v_fma_f64 v[220:221], v[220:221], v[222:223], v[220:221]
	v_fma_f64 v[222:223], -v[218:219], v[220:221], 1.0
	v_fma_f64 v[220:221], v[220:221], v[222:223], v[220:221]
	v_div_scale_f64 v[222:223], vcc_lo, 1.0, v[216:217], 1.0
	v_mul_f64 v[224:225], v[222:223], v[220:221]
	v_fma_f64 v[218:219], -v[218:219], v[224:225], v[222:223]
	v_div_fmas_f64 v[218:219], v[218:219], v[220:221], v[224:225]
	v_div_fixup_f64 v[244:245], v[218:219], v[216:217], 1.0
	v_mul_f64 v[242:243], v[214:215], v[244:245]
	v_xor_b32_e32 v245, 0x80000000, v245
.LBB118_724:
	s_andn2_saveexec_b32 s1, s1
	s_cbranch_execz .LBB118_726
; %bb.725:
	v_div_scale_f64 v[214:215], null, v[242:243], v[242:243], v[244:245]
	v_div_scale_f64 v[220:221], vcc_lo, v[244:245], v[242:243], v[244:245]
	v_rcp_f64_e32 v[216:217], v[214:215]
	v_fma_f64 v[218:219], -v[214:215], v[216:217], 1.0
	v_fma_f64 v[216:217], v[216:217], v[218:219], v[216:217]
	v_fma_f64 v[218:219], -v[214:215], v[216:217], 1.0
	v_fma_f64 v[216:217], v[216:217], v[218:219], v[216:217]
	v_mul_f64 v[218:219], v[220:221], v[216:217]
	v_fma_f64 v[214:215], -v[214:215], v[218:219], v[220:221]
	v_div_fmas_f64 v[214:215], v[214:215], v[216:217], v[218:219]
	v_div_fixup_f64 v[214:215], v[214:215], v[242:243], v[244:245]
	v_fma_f64 v[216:217], v[244:245], v[214:215], v[242:243]
	v_div_scale_f64 v[218:219], null, v[216:217], v[216:217], 1.0
	v_rcp_f64_e32 v[220:221], v[218:219]
	v_fma_f64 v[222:223], -v[218:219], v[220:221], 1.0
	v_fma_f64 v[220:221], v[220:221], v[222:223], v[220:221]
	v_fma_f64 v[222:223], -v[218:219], v[220:221], 1.0
	v_fma_f64 v[220:221], v[220:221], v[222:223], v[220:221]
	v_div_scale_f64 v[222:223], vcc_lo, 1.0, v[216:217], 1.0
	v_mul_f64 v[224:225], v[222:223], v[220:221]
	v_fma_f64 v[218:219], -v[218:219], v[224:225], v[222:223]
	v_div_fmas_f64 v[218:219], v[218:219], v[220:221], v[224:225]
	v_div_fixup_f64 v[242:243], v[218:219], v[216:217], 1.0
	v_mul_f64 v[244:245], v[214:215], -v[242:243]
.LBB118_726:
	s_or_b32 exec_lo, exec_lo, s1
.LBB118_727:
	s_or_b32 exec_lo, exec_lo, s0
	s_mov_b32 s0, exec_lo
	v_cmpx_ne_u32_e64 v0, v250
	s_xor_b32 s0, exec_lo, s0
	s_cbranch_execz .LBB118_733
; %bb.728:
	s_mov_b32 s1, exec_lo
	v_cmpx_eq_u32_e32 34, v0
	s_cbranch_execz .LBB118_732
; %bb.729:
	v_cmp_ne_u32_e32 vcc_lo, 34, v250
	s_xor_b32 s7, s16, -1
	s_and_b32 s9, s7, vcc_lo
	s_and_saveexec_b32 s7, s9
	s_cbranch_execz .LBB118_731
; %bb.730:
	s_clause 0x1
	buffer_load_dword v210, off, s[20:23], 0 offset:16
	buffer_load_dword v211, off, s[20:23], 0 offset:20
	v_ashrrev_i32_e32 v251, 31, v250
	v_lshlrev_b64 v[214:215], 2, v[250:251]
	s_waitcnt vmcnt(1)
	v_add_co_u32 v214, vcc_lo, v210, v214
	s_waitcnt vmcnt(0)
	v_add_co_ci_u32_e64 v215, null, v211, v215, vcc_lo
	s_clause 0x1
	global_load_dword v0, v[214:215], off
	global_load_dword v216, v[210:211], off offset:136
	s_waitcnt vmcnt(1)
	global_store_dword v[210:211], v0, off offset:136
	s_waitcnt vmcnt(0)
	global_store_dword v[214:215], v216, off
.LBB118_731:
	s_or_b32 exec_lo, exec_lo, s7
	v_mov_b32_e32 v0, v250
	v_mov_b32_e32 v253, v250
.LBB118_732:
	s_or_b32 exec_lo, exec_lo, s1
.LBB118_733:
	s_andn2_saveexec_b32 s0, s0
	s_cbranch_execz .LBB118_735
; %bb.734:
	v_mov_b32_e32 v0, 34
	ds_write2_b64 v1, v[98:99], v[100:101] offset0:70 offset1:71
	ds_write2_b64 v1, v[94:95], v[96:97] offset0:72 offset1:73
	;; [unrolled: 1-line block ×25, first 2 shown]
.LBB118_735:
	s_or_b32 exec_lo, exec_lo, s0
	s_mov_b32 s0, exec_lo
	s_waitcnt lgkmcnt(0)
	s_waitcnt_vscnt null, 0x0
	s_barrier
	buffer_gl0_inv
	v_cmpx_lt_i32_e32 34, v0
	s_cbranch_execz .LBB118_737
; %bb.736:
	v_mul_f64 v[214:215], v[244:245], v[104:105]
	v_mul_f64 v[104:105], v[242:243], v[104:105]
	ds_read2_b64 v[234:237], v1 offset0:70 offset1:71
	v_fma_f64 v[250:251], v[242:243], v[102:103], -v[214:215]
	v_fma_f64 v[104:105], v[244:245], v[102:103], v[104:105]
	s_waitcnt lgkmcnt(0)
	v_mul_f64 v[102:103], v[236:237], v[104:105]
	v_mul_f64 v[214:215], v[234:235], v[104:105]
	v_fma_f64 v[102:103], v[234:235], v[250:251], -v[102:103]
	v_fma_f64 v[214:215], v[236:237], v[250:251], v[214:215]
	ds_read2_b64 v[234:237], v1 offset0:72 offset1:73
	v_add_f64 v[98:99], v[98:99], -v[102:103]
	v_add_f64 v[100:101], v[100:101], -v[214:215]
	s_waitcnt lgkmcnt(0)
	v_mul_f64 v[102:103], v[236:237], v[104:105]
	v_mul_f64 v[214:215], v[234:235], v[104:105]
	v_fma_f64 v[102:103], v[234:235], v[250:251], -v[102:103]
	v_fma_f64 v[214:215], v[236:237], v[250:251], v[214:215]
	ds_read2_b64 v[234:237], v1 offset0:74 offset1:75
	v_add_f64 v[94:95], v[94:95], -v[102:103]
	v_add_f64 v[96:97], v[96:97], -v[214:215]
	;; [unrolled: 8-line block ×24, first 2 shown]
	s_waitcnt lgkmcnt(0)
	v_mul_f64 v[102:103], v[236:237], v[104:105]
	v_mul_f64 v[214:215], v[234:235], v[104:105]
	v_fma_f64 v[102:103], v[234:235], v[250:251], -v[102:103]
	v_fma_f64 v[214:215], v[236:237], v[250:251], v[214:215]
	v_add_f64 v[226:227], v[226:227], -v[102:103]
	v_add_f64 v[228:229], v[228:229], -v[214:215]
	v_mov_b32_e32 v102, v250
	v_mov_b32_e32 v103, v251
.LBB118_737:
	s_or_b32 exec_lo, exec_lo, s0
	v_lshl_add_u32 v214, v0, 4, v1
	s_barrier
	buffer_gl0_inv
	v_mov_b32_e32 v250, 35
	ds_write2_b64 v214, v[98:99], v[100:101] offset1:1
	s_waitcnt lgkmcnt(0)
	s_barrier
	buffer_gl0_inv
	ds_read2_b64 v[242:245], v1 offset0:70 offset1:71
	s_cmp_lt_i32 s8, 37
	s_cbranch_scc1 .LBB118_740
; %bb.738:
	v_add3_u32 v247, v246, 0, 0x240
	v_mov_b32_e32 v250, 35
	s_mov_b32 s0, 36
	s_inst_prefetch 0x1
	.p2align	6
.LBB118_739:                            ; =>This Inner Loop Header: Depth=1
	s_waitcnt lgkmcnt(0)
	v_cmp_gt_f64_e32 vcc_lo, 0, v[242:243]
	v_xor_b32_e32 v214, 0x80000000, v243
	ds_read2_b64 v[234:237], v247 offset1:1
	v_xor_b32_e32 v216, 0x80000000, v245
	v_add_nc_u32_e32 v247, 16, v247
	s_waitcnt lgkmcnt(0)
	v_xor_b32_e32 v218, 0x80000000, v237
	v_cndmask_b32_e32 v215, v243, v214, vcc_lo
	v_cmp_gt_f64_e32 vcc_lo, 0, v[244:245]
	v_mov_b32_e32 v214, v242
	v_cndmask_b32_e32 v217, v245, v216, vcc_lo
	v_cmp_gt_f64_e32 vcc_lo, 0, v[234:235]
	v_mov_b32_e32 v216, v244
	v_add_f64 v[214:215], v[214:215], v[216:217]
	v_xor_b32_e32 v216, 0x80000000, v235
	v_cndmask_b32_e32 v217, v235, v216, vcc_lo
	v_cmp_gt_f64_e32 vcc_lo, 0, v[236:237]
	v_mov_b32_e32 v216, v234
	v_cndmask_b32_e32 v219, v237, v218, vcc_lo
	v_mov_b32_e32 v218, v236
	v_add_f64 v[216:217], v[216:217], v[218:219]
	v_cmp_lt_f64_e32 vcc_lo, v[214:215], v[216:217]
	v_cndmask_b32_e32 v243, v243, v235, vcc_lo
	v_cndmask_b32_e32 v242, v242, v234, vcc_lo
	;; [unrolled: 1-line block ×4, first 2 shown]
	v_cndmask_b32_e64 v250, v250, s0, vcc_lo
	s_add_i32 s0, s0, 1
	s_cmp_lg_u32 s8, s0
	s_cbranch_scc1 .LBB118_739
.LBB118_740:
	s_inst_prefetch 0x2
	s_waitcnt lgkmcnt(0)
	v_cmp_eq_f64_e32 vcc_lo, 0, v[242:243]
	v_cmp_eq_f64_e64 s0, 0, v[244:245]
	s_and_b32 s0, vcc_lo, s0
	s_and_saveexec_b32 s1, s0
	s_xor_b32 s0, exec_lo, s1
; %bb.741:
	v_cmp_ne_u32_e32 vcc_lo, 0, v255
	v_cndmask_b32_e32 v255, 36, v255, vcc_lo
; %bb.742:
	s_andn2_saveexec_b32 s0, s0
	s_cbranch_execz .LBB118_748
; %bb.743:
	v_cmp_ngt_f64_e64 s1, |v[242:243]|, |v[244:245]|
	s_and_saveexec_b32 s7, s1
	s_xor_b32 s1, exec_lo, s7
	s_cbranch_execz .LBB118_745
; %bb.744:
	v_div_scale_f64 v[214:215], null, v[244:245], v[244:245], v[242:243]
	v_div_scale_f64 v[220:221], vcc_lo, v[242:243], v[244:245], v[242:243]
	v_rcp_f64_e32 v[216:217], v[214:215]
	v_fma_f64 v[218:219], -v[214:215], v[216:217], 1.0
	v_fma_f64 v[216:217], v[216:217], v[218:219], v[216:217]
	v_fma_f64 v[218:219], -v[214:215], v[216:217], 1.0
	v_fma_f64 v[216:217], v[216:217], v[218:219], v[216:217]
	v_mul_f64 v[218:219], v[220:221], v[216:217]
	v_fma_f64 v[214:215], -v[214:215], v[218:219], v[220:221]
	v_div_fmas_f64 v[214:215], v[214:215], v[216:217], v[218:219]
	v_div_fixup_f64 v[214:215], v[214:215], v[244:245], v[242:243]
	v_fma_f64 v[216:217], v[242:243], v[214:215], v[244:245]
	v_div_scale_f64 v[218:219], null, v[216:217], v[216:217], 1.0
	v_rcp_f64_e32 v[220:221], v[218:219]
	v_fma_f64 v[222:223], -v[218:219], v[220:221], 1.0
	v_fma_f64 v[220:221], v[220:221], v[222:223], v[220:221]
	v_fma_f64 v[222:223], -v[218:219], v[220:221], 1.0
	v_fma_f64 v[220:221], v[220:221], v[222:223], v[220:221]
	v_div_scale_f64 v[222:223], vcc_lo, 1.0, v[216:217], 1.0
	v_mul_f64 v[224:225], v[222:223], v[220:221]
	v_fma_f64 v[218:219], -v[218:219], v[224:225], v[222:223]
	v_div_fmas_f64 v[218:219], v[218:219], v[220:221], v[224:225]
	v_div_fixup_f64 v[244:245], v[218:219], v[216:217], 1.0
	v_mul_f64 v[242:243], v[214:215], v[244:245]
	v_xor_b32_e32 v245, 0x80000000, v245
.LBB118_745:
	s_andn2_saveexec_b32 s1, s1
	s_cbranch_execz .LBB118_747
; %bb.746:
	v_div_scale_f64 v[214:215], null, v[242:243], v[242:243], v[244:245]
	v_div_scale_f64 v[220:221], vcc_lo, v[244:245], v[242:243], v[244:245]
	v_rcp_f64_e32 v[216:217], v[214:215]
	v_fma_f64 v[218:219], -v[214:215], v[216:217], 1.0
	v_fma_f64 v[216:217], v[216:217], v[218:219], v[216:217]
	v_fma_f64 v[218:219], -v[214:215], v[216:217], 1.0
	v_fma_f64 v[216:217], v[216:217], v[218:219], v[216:217]
	v_mul_f64 v[218:219], v[220:221], v[216:217]
	v_fma_f64 v[214:215], -v[214:215], v[218:219], v[220:221]
	v_div_fmas_f64 v[214:215], v[214:215], v[216:217], v[218:219]
	v_div_fixup_f64 v[214:215], v[214:215], v[242:243], v[244:245]
	v_fma_f64 v[216:217], v[244:245], v[214:215], v[242:243]
	v_div_scale_f64 v[218:219], null, v[216:217], v[216:217], 1.0
	v_rcp_f64_e32 v[220:221], v[218:219]
	v_fma_f64 v[222:223], -v[218:219], v[220:221], 1.0
	v_fma_f64 v[220:221], v[220:221], v[222:223], v[220:221]
	v_fma_f64 v[222:223], -v[218:219], v[220:221], 1.0
	v_fma_f64 v[220:221], v[220:221], v[222:223], v[220:221]
	v_div_scale_f64 v[222:223], vcc_lo, 1.0, v[216:217], 1.0
	v_mul_f64 v[224:225], v[222:223], v[220:221]
	v_fma_f64 v[218:219], -v[218:219], v[224:225], v[222:223]
	v_div_fmas_f64 v[218:219], v[218:219], v[220:221], v[224:225]
	v_div_fixup_f64 v[242:243], v[218:219], v[216:217], 1.0
	v_mul_f64 v[244:245], v[214:215], -v[242:243]
.LBB118_747:
	s_or_b32 exec_lo, exec_lo, s1
.LBB118_748:
	s_or_b32 exec_lo, exec_lo, s0
	s_mov_b32 s0, exec_lo
	v_cmpx_ne_u32_e64 v0, v250
	s_xor_b32 s0, exec_lo, s0
	s_cbranch_execz .LBB118_754
; %bb.749:
	s_mov_b32 s1, exec_lo
	v_cmpx_eq_u32_e32 35, v0
	s_cbranch_execz .LBB118_753
; %bb.750:
	v_cmp_ne_u32_e32 vcc_lo, 35, v250
	s_xor_b32 s7, s16, -1
	s_and_b32 s9, s7, vcc_lo
	s_and_saveexec_b32 s7, s9
	s_cbranch_execz .LBB118_752
; %bb.751:
	s_clause 0x1
	buffer_load_dword v210, off, s[20:23], 0 offset:16
	buffer_load_dword v211, off, s[20:23], 0 offset:20
	v_ashrrev_i32_e32 v251, 31, v250
	v_lshlrev_b64 v[214:215], 2, v[250:251]
	s_waitcnt vmcnt(1)
	v_add_co_u32 v214, vcc_lo, v210, v214
	s_waitcnt vmcnt(0)
	v_add_co_ci_u32_e64 v215, null, v211, v215, vcc_lo
	s_clause 0x1
	global_load_dword v0, v[214:215], off
	global_load_dword v216, v[210:211], off offset:140
	s_waitcnt vmcnt(1)
	global_store_dword v[210:211], v0, off offset:140
	s_waitcnt vmcnt(0)
	global_store_dword v[214:215], v216, off
.LBB118_752:
	s_or_b32 exec_lo, exec_lo, s7
	v_mov_b32_e32 v0, v250
	v_mov_b32_e32 v253, v250
.LBB118_753:
	s_or_b32 exec_lo, exec_lo, s1
.LBB118_754:
	s_andn2_saveexec_b32 s0, s0
	s_cbranch_execz .LBB118_756
; %bb.755:
	v_mov_b32_e32 v0, 35
	ds_write2_b64 v1, v[94:95], v[96:97] offset0:72 offset1:73
	ds_write2_b64 v1, v[90:91], v[92:93] offset0:74 offset1:75
	ds_write2_b64 v1, v[86:87], v[88:89] offset0:76 offset1:77
	ds_write2_b64 v1, v[82:83], v[84:85] offset0:78 offset1:79
	ds_write2_b64 v1, v[78:79], v[80:81] offset0:80 offset1:81
	ds_write2_b64 v1, v[74:75], v[76:77] offset0:82 offset1:83
	ds_write2_b64 v1, v[70:71], v[72:73] offset0:84 offset1:85
	ds_write2_b64 v1, v[66:67], v[68:69] offset0:86 offset1:87
	ds_write2_b64 v1, v[62:63], v[64:65] offset0:88 offset1:89
	ds_write2_b64 v1, v[58:59], v[60:61] offset0:90 offset1:91
	ds_write2_b64 v1, v[54:55], v[56:57] offset0:92 offset1:93
	ds_write2_b64 v1, v[50:51], v[52:53] offset0:94 offset1:95
	ds_write2_b64 v1, v[46:47], v[48:49] offset0:96 offset1:97
	ds_write2_b64 v1, v[42:43], v[44:45] offset0:98 offset1:99
	ds_write2_b64 v1, v[38:39], v[40:41] offset0:100 offset1:101
	ds_write2_b64 v1, v[34:35], v[36:37] offset0:102 offset1:103
	ds_write2_b64 v1, v[30:31], v[32:33] offset0:104 offset1:105
	ds_write2_b64 v1, v[26:27], v[28:29] offset0:106 offset1:107
	ds_write2_b64 v1, v[22:23], v[24:25] offset0:108 offset1:109
	ds_write2_b64 v1, v[18:19], v[20:21] offset0:110 offset1:111
	ds_write2_b64 v1, v[14:15], v[16:17] offset0:112 offset1:113
	ds_write2_b64 v1, v[10:11], v[12:13] offset0:114 offset1:115
	ds_write2_b64 v1, v[238:239], v[240:241] offset0:116 offset1:117
	ds_write2_b64 v1, v[226:227], v[228:229] offset0:118 offset1:119
.LBB118_756:
	s_or_b32 exec_lo, exec_lo, s0
	s_mov_b32 s0, exec_lo
	s_waitcnt lgkmcnt(0)
	s_waitcnt_vscnt null, 0x0
	s_barrier
	buffer_gl0_inv
	v_cmpx_lt_i32_e32 35, v0
	s_cbranch_execz .LBB118_758
; %bb.757:
	v_mul_f64 v[214:215], v[244:245], v[100:101]
	v_mul_f64 v[100:101], v[242:243], v[100:101]
	ds_read2_b64 v[234:237], v1 offset0:72 offset1:73
	v_fma_f64 v[250:251], v[242:243], v[98:99], -v[214:215]
	v_fma_f64 v[100:101], v[244:245], v[98:99], v[100:101]
	s_waitcnt lgkmcnt(0)
	v_mul_f64 v[98:99], v[236:237], v[100:101]
	v_mul_f64 v[214:215], v[234:235], v[100:101]
	v_fma_f64 v[98:99], v[234:235], v[250:251], -v[98:99]
	v_fma_f64 v[214:215], v[236:237], v[250:251], v[214:215]
	ds_read2_b64 v[234:237], v1 offset0:74 offset1:75
	v_add_f64 v[94:95], v[94:95], -v[98:99]
	v_add_f64 v[96:97], v[96:97], -v[214:215]
	s_waitcnt lgkmcnt(0)
	v_mul_f64 v[98:99], v[236:237], v[100:101]
	v_mul_f64 v[214:215], v[234:235], v[100:101]
	v_fma_f64 v[98:99], v[234:235], v[250:251], -v[98:99]
	v_fma_f64 v[214:215], v[236:237], v[250:251], v[214:215]
	ds_read2_b64 v[234:237], v1 offset0:76 offset1:77
	v_add_f64 v[90:91], v[90:91], -v[98:99]
	v_add_f64 v[92:93], v[92:93], -v[214:215]
	;; [unrolled: 8-line block ×23, first 2 shown]
	s_waitcnt lgkmcnt(0)
	v_mul_f64 v[98:99], v[236:237], v[100:101]
	v_mul_f64 v[214:215], v[234:235], v[100:101]
	v_fma_f64 v[98:99], v[234:235], v[250:251], -v[98:99]
	v_fma_f64 v[214:215], v[236:237], v[250:251], v[214:215]
	v_add_f64 v[226:227], v[226:227], -v[98:99]
	v_add_f64 v[228:229], v[228:229], -v[214:215]
	v_mov_b32_e32 v98, v250
	v_mov_b32_e32 v99, v251
.LBB118_758:
	s_or_b32 exec_lo, exec_lo, s0
	v_lshl_add_u32 v214, v0, 4, v1
	s_barrier
	buffer_gl0_inv
	v_mov_b32_e32 v250, 36
	ds_write2_b64 v214, v[94:95], v[96:97] offset1:1
	s_waitcnt lgkmcnt(0)
	s_barrier
	buffer_gl0_inv
	ds_read2_b64 v[242:245], v1 offset0:72 offset1:73
	s_cmp_lt_i32 s8, 38
	s_cbranch_scc1 .LBB118_761
; %bb.759:
	v_add3_u32 v247, v246, 0, 0x250
	v_mov_b32_e32 v250, 36
	s_mov_b32 s0, 37
	s_inst_prefetch 0x1
	.p2align	6
.LBB118_760:                            ; =>This Inner Loop Header: Depth=1
	s_waitcnt lgkmcnt(0)
	v_cmp_gt_f64_e32 vcc_lo, 0, v[242:243]
	v_xor_b32_e32 v214, 0x80000000, v243
	ds_read2_b64 v[234:237], v247 offset1:1
	v_xor_b32_e32 v216, 0x80000000, v245
	v_add_nc_u32_e32 v247, 16, v247
	s_waitcnt lgkmcnt(0)
	v_xor_b32_e32 v218, 0x80000000, v237
	v_cndmask_b32_e32 v215, v243, v214, vcc_lo
	v_cmp_gt_f64_e32 vcc_lo, 0, v[244:245]
	v_mov_b32_e32 v214, v242
	v_cndmask_b32_e32 v217, v245, v216, vcc_lo
	v_cmp_gt_f64_e32 vcc_lo, 0, v[234:235]
	v_mov_b32_e32 v216, v244
	v_add_f64 v[214:215], v[214:215], v[216:217]
	v_xor_b32_e32 v216, 0x80000000, v235
	v_cndmask_b32_e32 v217, v235, v216, vcc_lo
	v_cmp_gt_f64_e32 vcc_lo, 0, v[236:237]
	v_mov_b32_e32 v216, v234
	v_cndmask_b32_e32 v219, v237, v218, vcc_lo
	v_mov_b32_e32 v218, v236
	v_add_f64 v[216:217], v[216:217], v[218:219]
	v_cmp_lt_f64_e32 vcc_lo, v[214:215], v[216:217]
	v_cndmask_b32_e32 v243, v243, v235, vcc_lo
	v_cndmask_b32_e32 v242, v242, v234, vcc_lo
	;; [unrolled: 1-line block ×4, first 2 shown]
	v_cndmask_b32_e64 v250, v250, s0, vcc_lo
	s_add_i32 s0, s0, 1
	s_cmp_lg_u32 s8, s0
	s_cbranch_scc1 .LBB118_760
.LBB118_761:
	s_inst_prefetch 0x2
	s_waitcnt lgkmcnt(0)
	v_cmp_eq_f64_e32 vcc_lo, 0, v[242:243]
	v_cmp_eq_f64_e64 s0, 0, v[244:245]
	s_and_b32 s0, vcc_lo, s0
	s_and_saveexec_b32 s1, s0
	s_xor_b32 s0, exec_lo, s1
; %bb.762:
	v_cmp_ne_u32_e32 vcc_lo, 0, v255
	v_cndmask_b32_e32 v255, 37, v255, vcc_lo
; %bb.763:
	s_andn2_saveexec_b32 s0, s0
	s_cbranch_execz .LBB118_769
; %bb.764:
	v_cmp_ngt_f64_e64 s1, |v[242:243]|, |v[244:245]|
	s_and_saveexec_b32 s7, s1
	s_xor_b32 s1, exec_lo, s7
	s_cbranch_execz .LBB118_766
; %bb.765:
	v_div_scale_f64 v[214:215], null, v[244:245], v[244:245], v[242:243]
	v_div_scale_f64 v[220:221], vcc_lo, v[242:243], v[244:245], v[242:243]
	v_rcp_f64_e32 v[216:217], v[214:215]
	v_fma_f64 v[218:219], -v[214:215], v[216:217], 1.0
	v_fma_f64 v[216:217], v[216:217], v[218:219], v[216:217]
	v_fma_f64 v[218:219], -v[214:215], v[216:217], 1.0
	v_fma_f64 v[216:217], v[216:217], v[218:219], v[216:217]
	v_mul_f64 v[218:219], v[220:221], v[216:217]
	v_fma_f64 v[214:215], -v[214:215], v[218:219], v[220:221]
	v_div_fmas_f64 v[214:215], v[214:215], v[216:217], v[218:219]
	v_div_fixup_f64 v[214:215], v[214:215], v[244:245], v[242:243]
	v_fma_f64 v[216:217], v[242:243], v[214:215], v[244:245]
	v_div_scale_f64 v[218:219], null, v[216:217], v[216:217], 1.0
	v_rcp_f64_e32 v[220:221], v[218:219]
	v_fma_f64 v[222:223], -v[218:219], v[220:221], 1.0
	v_fma_f64 v[220:221], v[220:221], v[222:223], v[220:221]
	v_fma_f64 v[222:223], -v[218:219], v[220:221], 1.0
	v_fma_f64 v[220:221], v[220:221], v[222:223], v[220:221]
	v_div_scale_f64 v[222:223], vcc_lo, 1.0, v[216:217], 1.0
	v_mul_f64 v[224:225], v[222:223], v[220:221]
	v_fma_f64 v[218:219], -v[218:219], v[224:225], v[222:223]
	v_div_fmas_f64 v[218:219], v[218:219], v[220:221], v[224:225]
	v_div_fixup_f64 v[244:245], v[218:219], v[216:217], 1.0
	v_mul_f64 v[242:243], v[214:215], v[244:245]
	v_xor_b32_e32 v245, 0x80000000, v245
.LBB118_766:
	s_andn2_saveexec_b32 s1, s1
	s_cbranch_execz .LBB118_768
; %bb.767:
	v_div_scale_f64 v[214:215], null, v[242:243], v[242:243], v[244:245]
	v_div_scale_f64 v[220:221], vcc_lo, v[244:245], v[242:243], v[244:245]
	v_rcp_f64_e32 v[216:217], v[214:215]
	v_fma_f64 v[218:219], -v[214:215], v[216:217], 1.0
	v_fma_f64 v[216:217], v[216:217], v[218:219], v[216:217]
	v_fma_f64 v[218:219], -v[214:215], v[216:217], 1.0
	v_fma_f64 v[216:217], v[216:217], v[218:219], v[216:217]
	v_mul_f64 v[218:219], v[220:221], v[216:217]
	v_fma_f64 v[214:215], -v[214:215], v[218:219], v[220:221]
	v_div_fmas_f64 v[214:215], v[214:215], v[216:217], v[218:219]
	v_div_fixup_f64 v[214:215], v[214:215], v[242:243], v[244:245]
	v_fma_f64 v[216:217], v[244:245], v[214:215], v[242:243]
	v_div_scale_f64 v[218:219], null, v[216:217], v[216:217], 1.0
	v_rcp_f64_e32 v[220:221], v[218:219]
	v_fma_f64 v[222:223], -v[218:219], v[220:221], 1.0
	v_fma_f64 v[220:221], v[220:221], v[222:223], v[220:221]
	v_fma_f64 v[222:223], -v[218:219], v[220:221], 1.0
	v_fma_f64 v[220:221], v[220:221], v[222:223], v[220:221]
	v_div_scale_f64 v[222:223], vcc_lo, 1.0, v[216:217], 1.0
	v_mul_f64 v[224:225], v[222:223], v[220:221]
	v_fma_f64 v[218:219], -v[218:219], v[224:225], v[222:223]
	v_div_fmas_f64 v[218:219], v[218:219], v[220:221], v[224:225]
	v_div_fixup_f64 v[242:243], v[218:219], v[216:217], 1.0
	v_mul_f64 v[244:245], v[214:215], -v[242:243]
.LBB118_768:
	s_or_b32 exec_lo, exec_lo, s1
.LBB118_769:
	s_or_b32 exec_lo, exec_lo, s0
	s_mov_b32 s0, exec_lo
	v_cmpx_ne_u32_e64 v0, v250
	s_xor_b32 s0, exec_lo, s0
	s_cbranch_execz .LBB118_775
; %bb.770:
	s_mov_b32 s1, exec_lo
	v_cmpx_eq_u32_e32 36, v0
	s_cbranch_execz .LBB118_774
; %bb.771:
	v_cmp_ne_u32_e32 vcc_lo, 36, v250
	s_xor_b32 s7, s16, -1
	s_and_b32 s9, s7, vcc_lo
	s_and_saveexec_b32 s7, s9
	s_cbranch_execz .LBB118_773
; %bb.772:
	s_clause 0x1
	buffer_load_dword v210, off, s[20:23], 0 offset:16
	buffer_load_dword v211, off, s[20:23], 0 offset:20
	v_ashrrev_i32_e32 v251, 31, v250
	v_lshlrev_b64 v[214:215], 2, v[250:251]
	s_waitcnt vmcnt(1)
	v_add_co_u32 v214, vcc_lo, v210, v214
	s_waitcnt vmcnt(0)
	v_add_co_ci_u32_e64 v215, null, v211, v215, vcc_lo
	s_clause 0x1
	global_load_dword v0, v[214:215], off
	global_load_dword v216, v[210:211], off offset:144
	s_waitcnt vmcnt(1)
	global_store_dword v[210:211], v0, off offset:144
	s_waitcnt vmcnt(0)
	global_store_dword v[214:215], v216, off
.LBB118_773:
	s_or_b32 exec_lo, exec_lo, s7
	v_mov_b32_e32 v0, v250
	v_mov_b32_e32 v253, v250
.LBB118_774:
	s_or_b32 exec_lo, exec_lo, s1
.LBB118_775:
	s_andn2_saveexec_b32 s0, s0
	s_cbranch_execz .LBB118_777
; %bb.776:
	v_mov_b32_e32 v0, 36
	ds_write2_b64 v1, v[90:91], v[92:93] offset0:74 offset1:75
	ds_write2_b64 v1, v[86:87], v[88:89] offset0:76 offset1:77
	;; [unrolled: 1-line block ×23, first 2 shown]
.LBB118_777:
	s_or_b32 exec_lo, exec_lo, s0
	s_mov_b32 s0, exec_lo
	s_waitcnt lgkmcnt(0)
	s_waitcnt_vscnt null, 0x0
	s_barrier
	buffer_gl0_inv
	v_cmpx_lt_i32_e32 36, v0
	s_cbranch_execz .LBB118_779
; %bb.778:
	v_mul_f64 v[214:215], v[244:245], v[96:97]
	v_mul_f64 v[96:97], v[242:243], v[96:97]
	ds_read2_b64 v[234:237], v1 offset0:74 offset1:75
	v_fma_f64 v[250:251], v[242:243], v[94:95], -v[214:215]
	v_fma_f64 v[96:97], v[244:245], v[94:95], v[96:97]
	s_waitcnt lgkmcnt(0)
	v_mul_f64 v[94:95], v[236:237], v[96:97]
	v_mul_f64 v[214:215], v[234:235], v[96:97]
	v_fma_f64 v[94:95], v[234:235], v[250:251], -v[94:95]
	v_fma_f64 v[214:215], v[236:237], v[250:251], v[214:215]
	ds_read2_b64 v[234:237], v1 offset0:76 offset1:77
	v_add_f64 v[90:91], v[90:91], -v[94:95]
	v_add_f64 v[92:93], v[92:93], -v[214:215]
	s_waitcnt lgkmcnt(0)
	v_mul_f64 v[94:95], v[236:237], v[96:97]
	v_mul_f64 v[214:215], v[234:235], v[96:97]
	v_fma_f64 v[94:95], v[234:235], v[250:251], -v[94:95]
	v_fma_f64 v[214:215], v[236:237], v[250:251], v[214:215]
	ds_read2_b64 v[234:237], v1 offset0:78 offset1:79
	v_add_f64 v[86:87], v[86:87], -v[94:95]
	v_add_f64 v[88:89], v[88:89], -v[214:215]
	;; [unrolled: 8-line block ×22, first 2 shown]
	s_waitcnt lgkmcnt(0)
	v_mul_f64 v[94:95], v[236:237], v[96:97]
	v_mul_f64 v[214:215], v[234:235], v[96:97]
	v_fma_f64 v[94:95], v[234:235], v[250:251], -v[94:95]
	v_fma_f64 v[214:215], v[236:237], v[250:251], v[214:215]
	v_add_f64 v[226:227], v[226:227], -v[94:95]
	v_add_f64 v[228:229], v[228:229], -v[214:215]
	v_mov_b32_e32 v94, v250
	v_mov_b32_e32 v95, v251
.LBB118_779:
	s_or_b32 exec_lo, exec_lo, s0
	v_lshl_add_u32 v214, v0, 4, v1
	s_barrier
	buffer_gl0_inv
	v_mov_b32_e32 v250, 37
	ds_write2_b64 v214, v[90:91], v[92:93] offset1:1
	s_waitcnt lgkmcnt(0)
	s_barrier
	buffer_gl0_inv
	ds_read2_b64 v[242:245], v1 offset0:74 offset1:75
	s_cmp_lt_i32 s8, 39
	s_cbranch_scc1 .LBB118_782
; %bb.780:
	v_add3_u32 v247, v246, 0, 0x260
	v_mov_b32_e32 v250, 37
	s_mov_b32 s0, 38
	s_inst_prefetch 0x1
	.p2align	6
.LBB118_781:                            ; =>This Inner Loop Header: Depth=1
	s_waitcnt lgkmcnt(0)
	v_cmp_gt_f64_e32 vcc_lo, 0, v[242:243]
	v_xor_b32_e32 v214, 0x80000000, v243
	ds_read2_b64 v[234:237], v247 offset1:1
	v_xor_b32_e32 v216, 0x80000000, v245
	v_add_nc_u32_e32 v247, 16, v247
	s_waitcnt lgkmcnt(0)
	v_xor_b32_e32 v218, 0x80000000, v237
	v_cndmask_b32_e32 v215, v243, v214, vcc_lo
	v_cmp_gt_f64_e32 vcc_lo, 0, v[244:245]
	v_mov_b32_e32 v214, v242
	v_cndmask_b32_e32 v217, v245, v216, vcc_lo
	v_cmp_gt_f64_e32 vcc_lo, 0, v[234:235]
	v_mov_b32_e32 v216, v244
	v_add_f64 v[214:215], v[214:215], v[216:217]
	v_xor_b32_e32 v216, 0x80000000, v235
	v_cndmask_b32_e32 v217, v235, v216, vcc_lo
	v_cmp_gt_f64_e32 vcc_lo, 0, v[236:237]
	v_mov_b32_e32 v216, v234
	v_cndmask_b32_e32 v219, v237, v218, vcc_lo
	v_mov_b32_e32 v218, v236
	v_add_f64 v[216:217], v[216:217], v[218:219]
	v_cmp_lt_f64_e32 vcc_lo, v[214:215], v[216:217]
	v_cndmask_b32_e32 v243, v243, v235, vcc_lo
	v_cndmask_b32_e32 v242, v242, v234, vcc_lo
	v_cndmask_b32_e32 v245, v245, v237, vcc_lo
	v_cndmask_b32_e32 v244, v244, v236, vcc_lo
	v_cndmask_b32_e64 v250, v250, s0, vcc_lo
	s_add_i32 s0, s0, 1
	s_cmp_lg_u32 s8, s0
	s_cbranch_scc1 .LBB118_781
.LBB118_782:
	s_inst_prefetch 0x2
	s_waitcnt lgkmcnt(0)
	v_cmp_eq_f64_e32 vcc_lo, 0, v[242:243]
	v_cmp_eq_f64_e64 s0, 0, v[244:245]
	s_and_b32 s0, vcc_lo, s0
	s_and_saveexec_b32 s1, s0
	s_xor_b32 s0, exec_lo, s1
; %bb.783:
	v_cmp_ne_u32_e32 vcc_lo, 0, v255
	v_cndmask_b32_e32 v255, 38, v255, vcc_lo
; %bb.784:
	s_andn2_saveexec_b32 s0, s0
	s_cbranch_execz .LBB118_790
; %bb.785:
	v_cmp_ngt_f64_e64 s1, |v[242:243]|, |v[244:245]|
	s_and_saveexec_b32 s7, s1
	s_xor_b32 s1, exec_lo, s7
	s_cbranch_execz .LBB118_787
; %bb.786:
	v_div_scale_f64 v[214:215], null, v[244:245], v[244:245], v[242:243]
	v_div_scale_f64 v[220:221], vcc_lo, v[242:243], v[244:245], v[242:243]
	v_rcp_f64_e32 v[216:217], v[214:215]
	v_fma_f64 v[218:219], -v[214:215], v[216:217], 1.0
	v_fma_f64 v[216:217], v[216:217], v[218:219], v[216:217]
	v_fma_f64 v[218:219], -v[214:215], v[216:217], 1.0
	v_fma_f64 v[216:217], v[216:217], v[218:219], v[216:217]
	v_mul_f64 v[218:219], v[220:221], v[216:217]
	v_fma_f64 v[214:215], -v[214:215], v[218:219], v[220:221]
	v_div_fmas_f64 v[214:215], v[214:215], v[216:217], v[218:219]
	v_div_fixup_f64 v[214:215], v[214:215], v[244:245], v[242:243]
	v_fma_f64 v[216:217], v[242:243], v[214:215], v[244:245]
	v_div_scale_f64 v[218:219], null, v[216:217], v[216:217], 1.0
	v_rcp_f64_e32 v[220:221], v[218:219]
	v_fma_f64 v[222:223], -v[218:219], v[220:221], 1.0
	v_fma_f64 v[220:221], v[220:221], v[222:223], v[220:221]
	v_fma_f64 v[222:223], -v[218:219], v[220:221], 1.0
	v_fma_f64 v[220:221], v[220:221], v[222:223], v[220:221]
	v_div_scale_f64 v[222:223], vcc_lo, 1.0, v[216:217], 1.0
	v_mul_f64 v[224:225], v[222:223], v[220:221]
	v_fma_f64 v[218:219], -v[218:219], v[224:225], v[222:223]
	v_div_fmas_f64 v[218:219], v[218:219], v[220:221], v[224:225]
	v_div_fixup_f64 v[244:245], v[218:219], v[216:217], 1.0
	v_mul_f64 v[242:243], v[214:215], v[244:245]
	v_xor_b32_e32 v245, 0x80000000, v245
.LBB118_787:
	s_andn2_saveexec_b32 s1, s1
	s_cbranch_execz .LBB118_789
; %bb.788:
	v_div_scale_f64 v[214:215], null, v[242:243], v[242:243], v[244:245]
	v_div_scale_f64 v[220:221], vcc_lo, v[244:245], v[242:243], v[244:245]
	v_rcp_f64_e32 v[216:217], v[214:215]
	v_fma_f64 v[218:219], -v[214:215], v[216:217], 1.0
	v_fma_f64 v[216:217], v[216:217], v[218:219], v[216:217]
	v_fma_f64 v[218:219], -v[214:215], v[216:217], 1.0
	v_fma_f64 v[216:217], v[216:217], v[218:219], v[216:217]
	v_mul_f64 v[218:219], v[220:221], v[216:217]
	v_fma_f64 v[214:215], -v[214:215], v[218:219], v[220:221]
	v_div_fmas_f64 v[214:215], v[214:215], v[216:217], v[218:219]
	v_div_fixup_f64 v[214:215], v[214:215], v[242:243], v[244:245]
	v_fma_f64 v[216:217], v[244:245], v[214:215], v[242:243]
	v_div_scale_f64 v[218:219], null, v[216:217], v[216:217], 1.0
	v_rcp_f64_e32 v[220:221], v[218:219]
	v_fma_f64 v[222:223], -v[218:219], v[220:221], 1.0
	v_fma_f64 v[220:221], v[220:221], v[222:223], v[220:221]
	v_fma_f64 v[222:223], -v[218:219], v[220:221], 1.0
	v_fma_f64 v[220:221], v[220:221], v[222:223], v[220:221]
	v_div_scale_f64 v[222:223], vcc_lo, 1.0, v[216:217], 1.0
	v_mul_f64 v[224:225], v[222:223], v[220:221]
	v_fma_f64 v[218:219], -v[218:219], v[224:225], v[222:223]
	v_div_fmas_f64 v[218:219], v[218:219], v[220:221], v[224:225]
	v_div_fixup_f64 v[242:243], v[218:219], v[216:217], 1.0
	v_mul_f64 v[244:245], v[214:215], -v[242:243]
.LBB118_789:
	s_or_b32 exec_lo, exec_lo, s1
.LBB118_790:
	s_or_b32 exec_lo, exec_lo, s0
	s_mov_b32 s0, exec_lo
	v_cmpx_ne_u32_e64 v0, v250
	s_xor_b32 s0, exec_lo, s0
	s_cbranch_execz .LBB118_796
; %bb.791:
	s_mov_b32 s1, exec_lo
	v_cmpx_eq_u32_e32 37, v0
	s_cbranch_execz .LBB118_795
; %bb.792:
	v_cmp_ne_u32_e32 vcc_lo, 37, v250
	s_xor_b32 s7, s16, -1
	s_and_b32 s9, s7, vcc_lo
	s_and_saveexec_b32 s7, s9
	s_cbranch_execz .LBB118_794
; %bb.793:
	s_clause 0x1
	buffer_load_dword v210, off, s[20:23], 0 offset:16
	buffer_load_dword v211, off, s[20:23], 0 offset:20
	v_ashrrev_i32_e32 v251, 31, v250
	v_lshlrev_b64 v[214:215], 2, v[250:251]
	s_waitcnt vmcnt(1)
	v_add_co_u32 v214, vcc_lo, v210, v214
	s_waitcnt vmcnt(0)
	v_add_co_ci_u32_e64 v215, null, v211, v215, vcc_lo
	s_clause 0x1
	global_load_dword v0, v[214:215], off
	global_load_dword v216, v[210:211], off offset:148
	s_waitcnt vmcnt(1)
	global_store_dword v[210:211], v0, off offset:148
	s_waitcnt vmcnt(0)
	global_store_dword v[214:215], v216, off
.LBB118_794:
	s_or_b32 exec_lo, exec_lo, s7
	v_mov_b32_e32 v0, v250
	v_mov_b32_e32 v253, v250
.LBB118_795:
	s_or_b32 exec_lo, exec_lo, s1
.LBB118_796:
	s_andn2_saveexec_b32 s0, s0
	s_cbranch_execz .LBB118_798
; %bb.797:
	v_mov_b32_e32 v0, 37
	ds_write2_b64 v1, v[86:87], v[88:89] offset0:76 offset1:77
	ds_write2_b64 v1, v[82:83], v[84:85] offset0:78 offset1:79
	;; [unrolled: 1-line block ×22, first 2 shown]
.LBB118_798:
	s_or_b32 exec_lo, exec_lo, s0
	s_mov_b32 s0, exec_lo
	s_waitcnt lgkmcnt(0)
	s_waitcnt_vscnt null, 0x0
	s_barrier
	buffer_gl0_inv
	v_cmpx_lt_i32_e32 37, v0
	s_cbranch_execz .LBB118_800
; %bb.799:
	v_mul_f64 v[214:215], v[244:245], v[92:93]
	v_mul_f64 v[92:93], v[242:243], v[92:93]
	ds_read2_b64 v[234:237], v1 offset0:76 offset1:77
	v_fma_f64 v[250:251], v[242:243], v[90:91], -v[214:215]
	v_fma_f64 v[92:93], v[244:245], v[90:91], v[92:93]
	s_waitcnt lgkmcnt(0)
	v_mul_f64 v[90:91], v[236:237], v[92:93]
	v_mul_f64 v[214:215], v[234:235], v[92:93]
	v_fma_f64 v[90:91], v[234:235], v[250:251], -v[90:91]
	v_fma_f64 v[214:215], v[236:237], v[250:251], v[214:215]
	ds_read2_b64 v[234:237], v1 offset0:78 offset1:79
	v_add_f64 v[86:87], v[86:87], -v[90:91]
	v_add_f64 v[88:89], v[88:89], -v[214:215]
	s_waitcnt lgkmcnt(0)
	v_mul_f64 v[90:91], v[236:237], v[92:93]
	v_mul_f64 v[214:215], v[234:235], v[92:93]
	v_fma_f64 v[90:91], v[234:235], v[250:251], -v[90:91]
	v_fma_f64 v[214:215], v[236:237], v[250:251], v[214:215]
	ds_read2_b64 v[234:237], v1 offset0:80 offset1:81
	v_add_f64 v[82:83], v[82:83], -v[90:91]
	v_add_f64 v[84:85], v[84:85], -v[214:215]
	;; [unrolled: 8-line block ×21, first 2 shown]
	s_waitcnt lgkmcnt(0)
	v_mul_f64 v[90:91], v[236:237], v[92:93]
	v_mul_f64 v[214:215], v[234:235], v[92:93]
	v_fma_f64 v[90:91], v[234:235], v[250:251], -v[90:91]
	v_fma_f64 v[214:215], v[236:237], v[250:251], v[214:215]
	v_add_f64 v[226:227], v[226:227], -v[90:91]
	v_add_f64 v[228:229], v[228:229], -v[214:215]
	v_mov_b32_e32 v90, v250
	v_mov_b32_e32 v91, v251
.LBB118_800:
	s_or_b32 exec_lo, exec_lo, s0
	v_lshl_add_u32 v214, v0, 4, v1
	s_barrier
	buffer_gl0_inv
	v_mov_b32_e32 v250, 38
	ds_write2_b64 v214, v[86:87], v[88:89] offset1:1
	s_waitcnt lgkmcnt(0)
	s_barrier
	buffer_gl0_inv
	ds_read2_b64 v[242:245], v1 offset0:76 offset1:77
	s_cmp_lt_i32 s8, 40
	s_cbranch_scc1 .LBB118_803
; %bb.801:
	v_add3_u32 v247, v246, 0, 0x270
	v_mov_b32_e32 v250, 38
	s_mov_b32 s0, 39
	s_inst_prefetch 0x1
	.p2align	6
.LBB118_802:                            ; =>This Inner Loop Header: Depth=1
	s_waitcnt lgkmcnt(0)
	v_cmp_gt_f64_e32 vcc_lo, 0, v[242:243]
	v_xor_b32_e32 v214, 0x80000000, v243
	ds_read2_b64 v[234:237], v247 offset1:1
	v_xor_b32_e32 v216, 0x80000000, v245
	v_add_nc_u32_e32 v247, 16, v247
	s_waitcnt lgkmcnt(0)
	v_xor_b32_e32 v218, 0x80000000, v237
	v_cndmask_b32_e32 v215, v243, v214, vcc_lo
	v_cmp_gt_f64_e32 vcc_lo, 0, v[244:245]
	v_mov_b32_e32 v214, v242
	v_cndmask_b32_e32 v217, v245, v216, vcc_lo
	v_cmp_gt_f64_e32 vcc_lo, 0, v[234:235]
	v_mov_b32_e32 v216, v244
	v_add_f64 v[214:215], v[214:215], v[216:217]
	v_xor_b32_e32 v216, 0x80000000, v235
	v_cndmask_b32_e32 v217, v235, v216, vcc_lo
	v_cmp_gt_f64_e32 vcc_lo, 0, v[236:237]
	v_mov_b32_e32 v216, v234
	v_cndmask_b32_e32 v219, v237, v218, vcc_lo
	v_mov_b32_e32 v218, v236
	v_add_f64 v[216:217], v[216:217], v[218:219]
	v_cmp_lt_f64_e32 vcc_lo, v[214:215], v[216:217]
	v_cndmask_b32_e32 v243, v243, v235, vcc_lo
	v_cndmask_b32_e32 v242, v242, v234, vcc_lo
	;; [unrolled: 1-line block ×4, first 2 shown]
	v_cndmask_b32_e64 v250, v250, s0, vcc_lo
	s_add_i32 s0, s0, 1
	s_cmp_lg_u32 s8, s0
	s_cbranch_scc1 .LBB118_802
.LBB118_803:
	s_inst_prefetch 0x2
	s_waitcnt lgkmcnt(0)
	v_cmp_eq_f64_e32 vcc_lo, 0, v[242:243]
	v_cmp_eq_f64_e64 s0, 0, v[244:245]
	s_and_b32 s0, vcc_lo, s0
	s_and_saveexec_b32 s1, s0
	s_xor_b32 s0, exec_lo, s1
; %bb.804:
	v_cmp_ne_u32_e32 vcc_lo, 0, v255
	v_cndmask_b32_e32 v255, 39, v255, vcc_lo
; %bb.805:
	s_andn2_saveexec_b32 s0, s0
	s_cbranch_execz .LBB118_811
; %bb.806:
	v_cmp_ngt_f64_e64 s1, |v[242:243]|, |v[244:245]|
	s_and_saveexec_b32 s7, s1
	s_xor_b32 s1, exec_lo, s7
	s_cbranch_execz .LBB118_808
; %bb.807:
	v_div_scale_f64 v[214:215], null, v[244:245], v[244:245], v[242:243]
	v_div_scale_f64 v[220:221], vcc_lo, v[242:243], v[244:245], v[242:243]
	v_rcp_f64_e32 v[216:217], v[214:215]
	v_fma_f64 v[218:219], -v[214:215], v[216:217], 1.0
	v_fma_f64 v[216:217], v[216:217], v[218:219], v[216:217]
	v_fma_f64 v[218:219], -v[214:215], v[216:217], 1.0
	v_fma_f64 v[216:217], v[216:217], v[218:219], v[216:217]
	v_mul_f64 v[218:219], v[220:221], v[216:217]
	v_fma_f64 v[214:215], -v[214:215], v[218:219], v[220:221]
	v_div_fmas_f64 v[214:215], v[214:215], v[216:217], v[218:219]
	v_div_fixup_f64 v[214:215], v[214:215], v[244:245], v[242:243]
	v_fma_f64 v[216:217], v[242:243], v[214:215], v[244:245]
	v_div_scale_f64 v[218:219], null, v[216:217], v[216:217], 1.0
	v_rcp_f64_e32 v[220:221], v[218:219]
	v_fma_f64 v[222:223], -v[218:219], v[220:221], 1.0
	v_fma_f64 v[220:221], v[220:221], v[222:223], v[220:221]
	v_fma_f64 v[222:223], -v[218:219], v[220:221], 1.0
	v_fma_f64 v[220:221], v[220:221], v[222:223], v[220:221]
	v_div_scale_f64 v[222:223], vcc_lo, 1.0, v[216:217], 1.0
	v_mul_f64 v[224:225], v[222:223], v[220:221]
	v_fma_f64 v[218:219], -v[218:219], v[224:225], v[222:223]
	v_div_fmas_f64 v[218:219], v[218:219], v[220:221], v[224:225]
	v_div_fixup_f64 v[244:245], v[218:219], v[216:217], 1.0
	v_mul_f64 v[242:243], v[214:215], v[244:245]
	v_xor_b32_e32 v245, 0x80000000, v245
.LBB118_808:
	s_andn2_saveexec_b32 s1, s1
	s_cbranch_execz .LBB118_810
; %bb.809:
	v_div_scale_f64 v[214:215], null, v[242:243], v[242:243], v[244:245]
	v_div_scale_f64 v[220:221], vcc_lo, v[244:245], v[242:243], v[244:245]
	v_rcp_f64_e32 v[216:217], v[214:215]
	v_fma_f64 v[218:219], -v[214:215], v[216:217], 1.0
	v_fma_f64 v[216:217], v[216:217], v[218:219], v[216:217]
	v_fma_f64 v[218:219], -v[214:215], v[216:217], 1.0
	v_fma_f64 v[216:217], v[216:217], v[218:219], v[216:217]
	v_mul_f64 v[218:219], v[220:221], v[216:217]
	v_fma_f64 v[214:215], -v[214:215], v[218:219], v[220:221]
	v_div_fmas_f64 v[214:215], v[214:215], v[216:217], v[218:219]
	v_div_fixup_f64 v[214:215], v[214:215], v[242:243], v[244:245]
	v_fma_f64 v[216:217], v[244:245], v[214:215], v[242:243]
	v_div_scale_f64 v[218:219], null, v[216:217], v[216:217], 1.0
	v_rcp_f64_e32 v[220:221], v[218:219]
	v_fma_f64 v[222:223], -v[218:219], v[220:221], 1.0
	v_fma_f64 v[220:221], v[220:221], v[222:223], v[220:221]
	v_fma_f64 v[222:223], -v[218:219], v[220:221], 1.0
	v_fma_f64 v[220:221], v[220:221], v[222:223], v[220:221]
	v_div_scale_f64 v[222:223], vcc_lo, 1.0, v[216:217], 1.0
	v_mul_f64 v[224:225], v[222:223], v[220:221]
	v_fma_f64 v[218:219], -v[218:219], v[224:225], v[222:223]
	v_div_fmas_f64 v[218:219], v[218:219], v[220:221], v[224:225]
	v_div_fixup_f64 v[242:243], v[218:219], v[216:217], 1.0
	v_mul_f64 v[244:245], v[214:215], -v[242:243]
.LBB118_810:
	s_or_b32 exec_lo, exec_lo, s1
.LBB118_811:
	s_or_b32 exec_lo, exec_lo, s0
	s_mov_b32 s0, exec_lo
	v_cmpx_ne_u32_e64 v0, v250
	s_xor_b32 s0, exec_lo, s0
	s_cbranch_execz .LBB118_817
; %bb.812:
	s_mov_b32 s1, exec_lo
	v_cmpx_eq_u32_e32 38, v0
	s_cbranch_execz .LBB118_816
; %bb.813:
	v_cmp_ne_u32_e32 vcc_lo, 38, v250
	s_xor_b32 s7, s16, -1
	s_and_b32 s9, s7, vcc_lo
	s_and_saveexec_b32 s7, s9
	s_cbranch_execz .LBB118_815
; %bb.814:
	s_clause 0x1
	buffer_load_dword v210, off, s[20:23], 0 offset:16
	buffer_load_dword v211, off, s[20:23], 0 offset:20
	v_ashrrev_i32_e32 v251, 31, v250
	v_lshlrev_b64 v[214:215], 2, v[250:251]
	s_waitcnt vmcnt(1)
	v_add_co_u32 v214, vcc_lo, v210, v214
	s_waitcnt vmcnt(0)
	v_add_co_ci_u32_e64 v215, null, v211, v215, vcc_lo
	s_clause 0x1
	global_load_dword v0, v[214:215], off
	global_load_dword v216, v[210:211], off offset:152
	s_waitcnt vmcnt(1)
	global_store_dword v[210:211], v0, off offset:152
	s_waitcnt vmcnt(0)
	global_store_dword v[214:215], v216, off
.LBB118_815:
	s_or_b32 exec_lo, exec_lo, s7
	v_mov_b32_e32 v0, v250
	v_mov_b32_e32 v253, v250
.LBB118_816:
	s_or_b32 exec_lo, exec_lo, s1
.LBB118_817:
	s_andn2_saveexec_b32 s0, s0
	s_cbranch_execz .LBB118_819
; %bb.818:
	v_mov_b32_e32 v0, 38
	ds_write2_b64 v1, v[82:83], v[84:85] offset0:78 offset1:79
	ds_write2_b64 v1, v[78:79], v[80:81] offset0:80 offset1:81
	;; [unrolled: 1-line block ×21, first 2 shown]
.LBB118_819:
	s_or_b32 exec_lo, exec_lo, s0
	s_mov_b32 s0, exec_lo
	s_waitcnt lgkmcnt(0)
	s_waitcnt_vscnt null, 0x0
	s_barrier
	buffer_gl0_inv
	v_cmpx_lt_i32_e32 38, v0
	s_cbranch_execz .LBB118_821
; %bb.820:
	v_mul_f64 v[214:215], v[244:245], v[88:89]
	v_mul_f64 v[88:89], v[242:243], v[88:89]
	ds_read2_b64 v[234:237], v1 offset0:78 offset1:79
	v_fma_f64 v[250:251], v[242:243], v[86:87], -v[214:215]
	v_fma_f64 v[88:89], v[244:245], v[86:87], v[88:89]
	s_waitcnt lgkmcnt(0)
	v_mul_f64 v[86:87], v[236:237], v[88:89]
	v_mul_f64 v[214:215], v[234:235], v[88:89]
	v_fma_f64 v[86:87], v[234:235], v[250:251], -v[86:87]
	v_fma_f64 v[214:215], v[236:237], v[250:251], v[214:215]
	ds_read2_b64 v[234:237], v1 offset0:80 offset1:81
	v_add_f64 v[82:83], v[82:83], -v[86:87]
	v_add_f64 v[84:85], v[84:85], -v[214:215]
	s_waitcnt lgkmcnt(0)
	v_mul_f64 v[86:87], v[236:237], v[88:89]
	v_mul_f64 v[214:215], v[234:235], v[88:89]
	v_fma_f64 v[86:87], v[234:235], v[250:251], -v[86:87]
	v_fma_f64 v[214:215], v[236:237], v[250:251], v[214:215]
	ds_read2_b64 v[234:237], v1 offset0:82 offset1:83
	v_add_f64 v[78:79], v[78:79], -v[86:87]
	v_add_f64 v[80:81], v[80:81], -v[214:215]
	;; [unrolled: 8-line block ×20, first 2 shown]
	s_waitcnt lgkmcnt(0)
	v_mul_f64 v[86:87], v[236:237], v[88:89]
	v_mul_f64 v[214:215], v[234:235], v[88:89]
	v_fma_f64 v[86:87], v[234:235], v[250:251], -v[86:87]
	v_fma_f64 v[214:215], v[236:237], v[250:251], v[214:215]
	v_add_f64 v[226:227], v[226:227], -v[86:87]
	v_add_f64 v[228:229], v[228:229], -v[214:215]
	v_mov_b32_e32 v86, v250
	v_mov_b32_e32 v87, v251
.LBB118_821:
	s_or_b32 exec_lo, exec_lo, s0
	v_lshl_add_u32 v214, v0, 4, v1
	s_barrier
	buffer_gl0_inv
	v_mov_b32_e32 v250, 39
	ds_write2_b64 v214, v[82:83], v[84:85] offset1:1
	s_waitcnt lgkmcnt(0)
	s_barrier
	buffer_gl0_inv
	ds_read2_b64 v[242:245], v1 offset0:78 offset1:79
	s_cmp_lt_i32 s8, 41
	s_cbranch_scc1 .LBB118_824
; %bb.822:
	v_add3_u32 v247, v246, 0, 0x280
	v_mov_b32_e32 v250, 39
	s_mov_b32 s0, 40
	s_inst_prefetch 0x1
	.p2align	6
.LBB118_823:                            ; =>This Inner Loop Header: Depth=1
	s_waitcnt lgkmcnt(0)
	v_cmp_gt_f64_e32 vcc_lo, 0, v[242:243]
	v_xor_b32_e32 v214, 0x80000000, v243
	ds_read2_b64 v[234:237], v247 offset1:1
	v_xor_b32_e32 v216, 0x80000000, v245
	v_add_nc_u32_e32 v247, 16, v247
	s_waitcnt lgkmcnt(0)
	v_xor_b32_e32 v218, 0x80000000, v237
	v_cndmask_b32_e32 v215, v243, v214, vcc_lo
	v_cmp_gt_f64_e32 vcc_lo, 0, v[244:245]
	v_mov_b32_e32 v214, v242
	v_cndmask_b32_e32 v217, v245, v216, vcc_lo
	v_cmp_gt_f64_e32 vcc_lo, 0, v[234:235]
	v_mov_b32_e32 v216, v244
	v_add_f64 v[214:215], v[214:215], v[216:217]
	v_xor_b32_e32 v216, 0x80000000, v235
	v_cndmask_b32_e32 v217, v235, v216, vcc_lo
	v_cmp_gt_f64_e32 vcc_lo, 0, v[236:237]
	v_mov_b32_e32 v216, v234
	v_cndmask_b32_e32 v219, v237, v218, vcc_lo
	v_mov_b32_e32 v218, v236
	v_add_f64 v[216:217], v[216:217], v[218:219]
	v_cmp_lt_f64_e32 vcc_lo, v[214:215], v[216:217]
	v_cndmask_b32_e32 v243, v243, v235, vcc_lo
	v_cndmask_b32_e32 v242, v242, v234, vcc_lo
	;; [unrolled: 1-line block ×4, first 2 shown]
	v_cndmask_b32_e64 v250, v250, s0, vcc_lo
	s_add_i32 s0, s0, 1
	s_cmp_lg_u32 s8, s0
	s_cbranch_scc1 .LBB118_823
.LBB118_824:
	s_inst_prefetch 0x2
	s_waitcnt lgkmcnt(0)
	v_cmp_eq_f64_e32 vcc_lo, 0, v[242:243]
	v_cmp_eq_f64_e64 s0, 0, v[244:245]
	s_and_b32 s0, vcc_lo, s0
	s_and_saveexec_b32 s1, s0
	s_xor_b32 s0, exec_lo, s1
; %bb.825:
	v_cmp_ne_u32_e32 vcc_lo, 0, v255
	v_cndmask_b32_e32 v255, 40, v255, vcc_lo
; %bb.826:
	s_andn2_saveexec_b32 s0, s0
	s_cbranch_execz .LBB118_832
; %bb.827:
	v_cmp_ngt_f64_e64 s1, |v[242:243]|, |v[244:245]|
	s_and_saveexec_b32 s7, s1
	s_xor_b32 s1, exec_lo, s7
	s_cbranch_execz .LBB118_829
; %bb.828:
	v_div_scale_f64 v[214:215], null, v[244:245], v[244:245], v[242:243]
	v_div_scale_f64 v[220:221], vcc_lo, v[242:243], v[244:245], v[242:243]
	v_rcp_f64_e32 v[216:217], v[214:215]
	v_fma_f64 v[218:219], -v[214:215], v[216:217], 1.0
	v_fma_f64 v[216:217], v[216:217], v[218:219], v[216:217]
	v_fma_f64 v[218:219], -v[214:215], v[216:217], 1.0
	v_fma_f64 v[216:217], v[216:217], v[218:219], v[216:217]
	v_mul_f64 v[218:219], v[220:221], v[216:217]
	v_fma_f64 v[214:215], -v[214:215], v[218:219], v[220:221]
	v_div_fmas_f64 v[214:215], v[214:215], v[216:217], v[218:219]
	v_div_fixup_f64 v[214:215], v[214:215], v[244:245], v[242:243]
	v_fma_f64 v[216:217], v[242:243], v[214:215], v[244:245]
	v_div_scale_f64 v[218:219], null, v[216:217], v[216:217], 1.0
	v_rcp_f64_e32 v[220:221], v[218:219]
	v_fma_f64 v[222:223], -v[218:219], v[220:221], 1.0
	v_fma_f64 v[220:221], v[220:221], v[222:223], v[220:221]
	v_fma_f64 v[222:223], -v[218:219], v[220:221], 1.0
	v_fma_f64 v[220:221], v[220:221], v[222:223], v[220:221]
	v_div_scale_f64 v[222:223], vcc_lo, 1.0, v[216:217], 1.0
	v_mul_f64 v[224:225], v[222:223], v[220:221]
	v_fma_f64 v[218:219], -v[218:219], v[224:225], v[222:223]
	v_div_fmas_f64 v[218:219], v[218:219], v[220:221], v[224:225]
	v_div_fixup_f64 v[244:245], v[218:219], v[216:217], 1.0
	v_mul_f64 v[242:243], v[214:215], v[244:245]
	v_xor_b32_e32 v245, 0x80000000, v245
.LBB118_829:
	s_andn2_saveexec_b32 s1, s1
	s_cbranch_execz .LBB118_831
; %bb.830:
	v_div_scale_f64 v[214:215], null, v[242:243], v[242:243], v[244:245]
	v_div_scale_f64 v[220:221], vcc_lo, v[244:245], v[242:243], v[244:245]
	v_rcp_f64_e32 v[216:217], v[214:215]
	v_fma_f64 v[218:219], -v[214:215], v[216:217], 1.0
	v_fma_f64 v[216:217], v[216:217], v[218:219], v[216:217]
	v_fma_f64 v[218:219], -v[214:215], v[216:217], 1.0
	v_fma_f64 v[216:217], v[216:217], v[218:219], v[216:217]
	v_mul_f64 v[218:219], v[220:221], v[216:217]
	v_fma_f64 v[214:215], -v[214:215], v[218:219], v[220:221]
	v_div_fmas_f64 v[214:215], v[214:215], v[216:217], v[218:219]
	v_div_fixup_f64 v[214:215], v[214:215], v[242:243], v[244:245]
	v_fma_f64 v[216:217], v[244:245], v[214:215], v[242:243]
	v_div_scale_f64 v[218:219], null, v[216:217], v[216:217], 1.0
	v_rcp_f64_e32 v[220:221], v[218:219]
	v_fma_f64 v[222:223], -v[218:219], v[220:221], 1.0
	v_fma_f64 v[220:221], v[220:221], v[222:223], v[220:221]
	v_fma_f64 v[222:223], -v[218:219], v[220:221], 1.0
	v_fma_f64 v[220:221], v[220:221], v[222:223], v[220:221]
	v_div_scale_f64 v[222:223], vcc_lo, 1.0, v[216:217], 1.0
	v_mul_f64 v[224:225], v[222:223], v[220:221]
	v_fma_f64 v[218:219], -v[218:219], v[224:225], v[222:223]
	v_div_fmas_f64 v[218:219], v[218:219], v[220:221], v[224:225]
	v_div_fixup_f64 v[242:243], v[218:219], v[216:217], 1.0
	v_mul_f64 v[244:245], v[214:215], -v[242:243]
.LBB118_831:
	s_or_b32 exec_lo, exec_lo, s1
.LBB118_832:
	s_or_b32 exec_lo, exec_lo, s0
	s_mov_b32 s0, exec_lo
	v_cmpx_ne_u32_e64 v0, v250
	s_xor_b32 s0, exec_lo, s0
	s_cbranch_execz .LBB118_838
; %bb.833:
	s_mov_b32 s1, exec_lo
	v_cmpx_eq_u32_e32 39, v0
	s_cbranch_execz .LBB118_837
; %bb.834:
	v_cmp_ne_u32_e32 vcc_lo, 39, v250
	s_xor_b32 s7, s16, -1
	s_and_b32 s9, s7, vcc_lo
	s_and_saveexec_b32 s7, s9
	s_cbranch_execz .LBB118_836
; %bb.835:
	s_clause 0x1
	buffer_load_dword v210, off, s[20:23], 0 offset:16
	buffer_load_dword v211, off, s[20:23], 0 offset:20
	v_ashrrev_i32_e32 v251, 31, v250
	v_lshlrev_b64 v[214:215], 2, v[250:251]
	s_waitcnt vmcnt(1)
	v_add_co_u32 v214, vcc_lo, v210, v214
	s_waitcnt vmcnt(0)
	v_add_co_ci_u32_e64 v215, null, v211, v215, vcc_lo
	s_clause 0x1
	global_load_dword v0, v[214:215], off
	global_load_dword v216, v[210:211], off offset:156
	s_waitcnt vmcnt(1)
	global_store_dword v[210:211], v0, off offset:156
	s_waitcnt vmcnt(0)
	global_store_dword v[214:215], v216, off
.LBB118_836:
	s_or_b32 exec_lo, exec_lo, s7
	v_mov_b32_e32 v0, v250
	v_mov_b32_e32 v253, v250
.LBB118_837:
	s_or_b32 exec_lo, exec_lo, s1
.LBB118_838:
	s_andn2_saveexec_b32 s0, s0
	s_cbranch_execz .LBB118_840
; %bb.839:
	v_mov_b32_e32 v0, 39
	ds_write2_b64 v1, v[78:79], v[80:81] offset0:80 offset1:81
	ds_write2_b64 v1, v[74:75], v[76:77] offset0:82 offset1:83
	;; [unrolled: 1-line block ×20, first 2 shown]
.LBB118_840:
	s_or_b32 exec_lo, exec_lo, s0
	s_mov_b32 s0, exec_lo
	s_waitcnt lgkmcnt(0)
	s_waitcnt_vscnt null, 0x0
	s_barrier
	buffer_gl0_inv
	v_cmpx_lt_i32_e32 39, v0
	s_cbranch_execz .LBB118_842
; %bb.841:
	v_mul_f64 v[214:215], v[244:245], v[84:85]
	v_mul_f64 v[84:85], v[242:243], v[84:85]
	ds_read2_b64 v[234:237], v1 offset0:80 offset1:81
	v_fma_f64 v[250:251], v[242:243], v[82:83], -v[214:215]
	v_fma_f64 v[84:85], v[244:245], v[82:83], v[84:85]
	s_waitcnt lgkmcnt(0)
	v_mul_f64 v[82:83], v[236:237], v[84:85]
	v_mul_f64 v[214:215], v[234:235], v[84:85]
	v_fma_f64 v[82:83], v[234:235], v[250:251], -v[82:83]
	v_fma_f64 v[214:215], v[236:237], v[250:251], v[214:215]
	ds_read2_b64 v[234:237], v1 offset0:82 offset1:83
	v_add_f64 v[78:79], v[78:79], -v[82:83]
	v_add_f64 v[80:81], v[80:81], -v[214:215]
	s_waitcnt lgkmcnt(0)
	v_mul_f64 v[82:83], v[236:237], v[84:85]
	v_mul_f64 v[214:215], v[234:235], v[84:85]
	v_fma_f64 v[82:83], v[234:235], v[250:251], -v[82:83]
	v_fma_f64 v[214:215], v[236:237], v[250:251], v[214:215]
	ds_read2_b64 v[234:237], v1 offset0:84 offset1:85
	v_add_f64 v[74:75], v[74:75], -v[82:83]
	v_add_f64 v[76:77], v[76:77], -v[214:215]
	;; [unrolled: 8-line block ×19, first 2 shown]
	s_waitcnt lgkmcnt(0)
	v_mul_f64 v[82:83], v[236:237], v[84:85]
	v_mul_f64 v[214:215], v[234:235], v[84:85]
	v_fma_f64 v[82:83], v[234:235], v[250:251], -v[82:83]
	v_fma_f64 v[214:215], v[236:237], v[250:251], v[214:215]
	v_add_f64 v[226:227], v[226:227], -v[82:83]
	v_add_f64 v[228:229], v[228:229], -v[214:215]
	v_mov_b32_e32 v82, v250
	v_mov_b32_e32 v83, v251
.LBB118_842:
	s_or_b32 exec_lo, exec_lo, s0
	v_lshl_add_u32 v214, v0, 4, v1
	s_barrier
	buffer_gl0_inv
	v_mov_b32_e32 v250, 40
	ds_write2_b64 v214, v[78:79], v[80:81] offset1:1
	s_waitcnt lgkmcnt(0)
	s_barrier
	buffer_gl0_inv
	ds_read2_b64 v[242:245], v1 offset0:80 offset1:81
	s_cmp_lt_i32 s8, 42
	s_cbranch_scc1 .LBB118_845
; %bb.843:
	v_add3_u32 v247, v246, 0, 0x290
	v_mov_b32_e32 v250, 40
	s_mov_b32 s0, 41
	s_inst_prefetch 0x1
	.p2align	6
.LBB118_844:                            ; =>This Inner Loop Header: Depth=1
	s_waitcnt lgkmcnt(0)
	v_cmp_gt_f64_e32 vcc_lo, 0, v[242:243]
	v_xor_b32_e32 v214, 0x80000000, v243
	ds_read2_b64 v[234:237], v247 offset1:1
	v_xor_b32_e32 v216, 0x80000000, v245
	v_add_nc_u32_e32 v247, 16, v247
	s_waitcnt lgkmcnt(0)
	v_xor_b32_e32 v218, 0x80000000, v237
	v_cndmask_b32_e32 v215, v243, v214, vcc_lo
	v_cmp_gt_f64_e32 vcc_lo, 0, v[244:245]
	v_mov_b32_e32 v214, v242
	v_cndmask_b32_e32 v217, v245, v216, vcc_lo
	v_cmp_gt_f64_e32 vcc_lo, 0, v[234:235]
	v_mov_b32_e32 v216, v244
	v_add_f64 v[214:215], v[214:215], v[216:217]
	v_xor_b32_e32 v216, 0x80000000, v235
	v_cndmask_b32_e32 v217, v235, v216, vcc_lo
	v_cmp_gt_f64_e32 vcc_lo, 0, v[236:237]
	v_mov_b32_e32 v216, v234
	v_cndmask_b32_e32 v219, v237, v218, vcc_lo
	v_mov_b32_e32 v218, v236
	v_add_f64 v[216:217], v[216:217], v[218:219]
	v_cmp_lt_f64_e32 vcc_lo, v[214:215], v[216:217]
	v_cndmask_b32_e32 v243, v243, v235, vcc_lo
	v_cndmask_b32_e32 v242, v242, v234, vcc_lo
	v_cndmask_b32_e32 v245, v245, v237, vcc_lo
	v_cndmask_b32_e32 v244, v244, v236, vcc_lo
	v_cndmask_b32_e64 v250, v250, s0, vcc_lo
	s_add_i32 s0, s0, 1
	s_cmp_lg_u32 s8, s0
	s_cbranch_scc1 .LBB118_844
.LBB118_845:
	s_inst_prefetch 0x2
	s_waitcnt lgkmcnt(0)
	v_cmp_eq_f64_e32 vcc_lo, 0, v[242:243]
	v_cmp_eq_f64_e64 s0, 0, v[244:245]
	s_and_b32 s0, vcc_lo, s0
	s_and_saveexec_b32 s1, s0
	s_xor_b32 s0, exec_lo, s1
; %bb.846:
	v_cmp_ne_u32_e32 vcc_lo, 0, v255
	v_cndmask_b32_e32 v255, 41, v255, vcc_lo
; %bb.847:
	s_andn2_saveexec_b32 s0, s0
	s_cbranch_execz .LBB118_853
; %bb.848:
	v_cmp_ngt_f64_e64 s1, |v[242:243]|, |v[244:245]|
	s_and_saveexec_b32 s7, s1
	s_xor_b32 s1, exec_lo, s7
	s_cbranch_execz .LBB118_850
; %bb.849:
	v_div_scale_f64 v[214:215], null, v[244:245], v[244:245], v[242:243]
	v_div_scale_f64 v[220:221], vcc_lo, v[242:243], v[244:245], v[242:243]
	v_rcp_f64_e32 v[216:217], v[214:215]
	v_fma_f64 v[218:219], -v[214:215], v[216:217], 1.0
	v_fma_f64 v[216:217], v[216:217], v[218:219], v[216:217]
	v_fma_f64 v[218:219], -v[214:215], v[216:217], 1.0
	v_fma_f64 v[216:217], v[216:217], v[218:219], v[216:217]
	v_mul_f64 v[218:219], v[220:221], v[216:217]
	v_fma_f64 v[214:215], -v[214:215], v[218:219], v[220:221]
	v_div_fmas_f64 v[214:215], v[214:215], v[216:217], v[218:219]
	v_div_fixup_f64 v[214:215], v[214:215], v[244:245], v[242:243]
	v_fma_f64 v[216:217], v[242:243], v[214:215], v[244:245]
	v_div_scale_f64 v[218:219], null, v[216:217], v[216:217], 1.0
	v_rcp_f64_e32 v[220:221], v[218:219]
	v_fma_f64 v[222:223], -v[218:219], v[220:221], 1.0
	v_fma_f64 v[220:221], v[220:221], v[222:223], v[220:221]
	v_fma_f64 v[222:223], -v[218:219], v[220:221], 1.0
	v_fma_f64 v[220:221], v[220:221], v[222:223], v[220:221]
	v_div_scale_f64 v[222:223], vcc_lo, 1.0, v[216:217], 1.0
	v_mul_f64 v[224:225], v[222:223], v[220:221]
	v_fma_f64 v[218:219], -v[218:219], v[224:225], v[222:223]
	v_div_fmas_f64 v[218:219], v[218:219], v[220:221], v[224:225]
	v_div_fixup_f64 v[244:245], v[218:219], v[216:217], 1.0
	v_mul_f64 v[242:243], v[214:215], v[244:245]
	v_xor_b32_e32 v245, 0x80000000, v245
.LBB118_850:
	s_andn2_saveexec_b32 s1, s1
	s_cbranch_execz .LBB118_852
; %bb.851:
	v_div_scale_f64 v[214:215], null, v[242:243], v[242:243], v[244:245]
	v_div_scale_f64 v[220:221], vcc_lo, v[244:245], v[242:243], v[244:245]
	v_rcp_f64_e32 v[216:217], v[214:215]
	v_fma_f64 v[218:219], -v[214:215], v[216:217], 1.0
	v_fma_f64 v[216:217], v[216:217], v[218:219], v[216:217]
	v_fma_f64 v[218:219], -v[214:215], v[216:217], 1.0
	v_fma_f64 v[216:217], v[216:217], v[218:219], v[216:217]
	v_mul_f64 v[218:219], v[220:221], v[216:217]
	v_fma_f64 v[214:215], -v[214:215], v[218:219], v[220:221]
	v_div_fmas_f64 v[214:215], v[214:215], v[216:217], v[218:219]
	v_div_fixup_f64 v[214:215], v[214:215], v[242:243], v[244:245]
	v_fma_f64 v[216:217], v[244:245], v[214:215], v[242:243]
	v_div_scale_f64 v[218:219], null, v[216:217], v[216:217], 1.0
	v_rcp_f64_e32 v[220:221], v[218:219]
	v_fma_f64 v[222:223], -v[218:219], v[220:221], 1.0
	v_fma_f64 v[220:221], v[220:221], v[222:223], v[220:221]
	v_fma_f64 v[222:223], -v[218:219], v[220:221], 1.0
	v_fma_f64 v[220:221], v[220:221], v[222:223], v[220:221]
	v_div_scale_f64 v[222:223], vcc_lo, 1.0, v[216:217], 1.0
	v_mul_f64 v[224:225], v[222:223], v[220:221]
	v_fma_f64 v[218:219], -v[218:219], v[224:225], v[222:223]
	v_div_fmas_f64 v[218:219], v[218:219], v[220:221], v[224:225]
	v_div_fixup_f64 v[242:243], v[218:219], v[216:217], 1.0
	v_mul_f64 v[244:245], v[214:215], -v[242:243]
.LBB118_852:
	s_or_b32 exec_lo, exec_lo, s1
.LBB118_853:
	s_or_b32 exec_lo, exec_lo, s0
	s_mov_b32 s0, exec_lo
	v_cmpx_ne_u32_e64 v0, v250
	s_xor_b32 s0, exec_lo, s0
	s_cbranch_execz .LBB118_859
; %bb.854:
	s_mov_b32 s1, exec_lo
	v_cmpx_eq_u32_e32 40, v0
	s_cbranch_execz .LBB118_858
; %bb.855:
	v_cmp_ne_u32_e32 vcc_lo, 40, v250
	s_xor_b32 s7, s16, -1
	s_and_b32 s9, s7, vcc_lo
	s_and_saveexec_b32 s7, s9
	s_cbranch_execz .LBB118_857
; %bb.856:
	s_clause 0x1
	buffer_load_dword v210, off, s[20:23], 0 offset:16
	buffer_load_dword v211, off, s[20:23], 0 offset:20
	v_ashrrev_i32_e32 v251, 31, v250
	v_lshlrev_b64 v[214:215], 2, v[250:251]
	s_waitcnt vmcnt(1)
	v_add_co_u32 v214, vcc_lo, v210, v214
	s_waitcnt vmcnt(0)
	v_add_co_ci_u32_e64 v215, null, v211, v215, vcc_lo
	s_clause 0x1
	global_load_dword v0, v[214:215], off
	global_load_dword v216, v[210:211], off offset:160
	s_waitcnt vmcnt(1)
	global_store_dword v[210:211], v0, off offset:160
	s_waitcnt vmcnt(0)
	global_store_dword v[214:215], v216, off
.LBB118_857:
	s_or_b32 exec_lo, exec_lo, s7
	v_mov_b32_e32 v0, v250
	v_mov_b32_e32 v253, v250
.LBB118_858:
	s_or_b32 exec_lo, exec_lo, s1
.LBB118_859:
	s_andn2_saveexec_b32 s0, s0
	s_cbranch_execz .LBB118_861
; %bb.860:
	v_mov_b32_e32 v0, 40
	ds_write2_b64 v1, v[74:75], v[76:77] offset0:82 offset1:83
	ds_write2_b64 v1, v[70:71], v[72:73] offset0:84 offset1:85
	;; [unrolled: 1-line block ×19, first 2 shown]
.LBB118_861:
	s_or_b32 exec_lo, exec_lo, s0
	s_mov_b32 s0, exec_lo
	s_waitcnt lgkmcnt(0)
	s_waitcnt_vscnt null, 0x0
	s_barrier
	buffer_gl0_inv
	v_cmpx_lt_i32_e32 40, v0
	s_cbranch_execz .LBB118_863
; %bb.862:
	v_mul_f64 v[214:215], v[244:245], v[80:81]
	v_mul_f64 v[80:81], v[242:243], v[80:81]
	ds_read2_b64 v[234:237], v1 offset0:82 offset1:83
	v_fma_f64 v[250:251], v[242:243], v[78:79], -v[214:215]
	v_fma_f64 v[80:81], v[244:245], v[78:79], v[80:81]
	s_waitcnt lgkmcnt(0)
	v_mul_f64 v[78:79], v[236:237], v[80:81]
	v_mul_f64 v[214:215], v[234:235], v[80:81]
	v_fma_f64 v[78:79], v[234:235], v[250:251], -v[78:79]
	v_fma_f64 v[214:215], v[236:237], v[250:251], v[214:215]
	ds_read2_b64 v[234:237], v1 offset0:84 offset1:85
	v_add_f64 v[74:75], v[74:75], -v[78:79]
	v_add_f64 v[76:77], v[76:77], -v[214:215]
	s_waitcnt lgkmcnt(0)
	v_mul_f64 v[78:79], v[236:237], v[80:81]
	v_mul_f64 v[214:215], v[234:235], v[80:81]
	v_fma_f64 v[78:79], v[234:235], v[250:251], -v[78:79]
	v_fma_f64 v[214:215], v[236:237], v[250:251], v[214:215]
	ds_read2_b64 v[234:237], v1 offset0:86 offset1:87
	v_add_f64 v[70:71], v[70:71], -v[78:79]
	v_add_f64 v[72:73], v[72:73], -v[214:215]
	;; [unrolled: 8-line block ×18, first 2 shown]
	s_waitcnt lgkmcnt(0)
	v_mul_f64 v[78:79], v[236:237], v[80:81]
	v_mul_f64 v[214:215], v[234:235], v[80:81]
	v_fma_f64 v[78:79], v[234:235], v[250:251], -v[78:79]
	v_fma_f64 v[214:215], v[236:237], v[250:251], v[214:215]
	v_add_f64 v[226:227], v[226:227], -v[78:79]
	v_add_f64 v[228:229], v[228:229], -v[214:215]
	v_mov_b32_e32 v78, v250
	v_mov_b32_e32 v79, v251
.LBB118_863:
	s_or_b32 exec_lo, exec_lo, s0
	v_lshl_add_u32 v214, v0, 4, v1
	s_barrier
	buffer_gl0_inv
	v_mov_b32_e32 v250, 41
	ds_write2_b64 v214, v[74:75], v[76:77] offset1:1
	s_waitcnt lgkmcnt(0)
	s_barrier
	buffer_gl0_inv
	ds_read2_b64 v[242:245], v1 offset0:82 offset1:83
	s_cmp_lt_i32 s8, 43
	s_cbranch_scc1 .LBB118_866
; %bb.864:
	v_add3_u32 v247, v246, 0, 0x2a0
	v_mov_b32_e32 v250, 41
	s_mov_b32 s0, 42
	s_inst_prefetch 0x1
	.p2align	6
.LBB118_865:                            ; =>This Inner Loop Header: Depth=1
	s_waitcnt lgkmcnt(0)
	v_cmp_gt_f64_e32 vcc_lo, 0, v[242:243]
	v_xor_b32_e32 v214, 0x80000000, v243
	ds_read2_b64 v[234:237], v247 offset1:1
	v_xor_b32_e32 v216, 0x80000000, v245
	v_add_nc_u32_e32 v247, 16, v247
	s_waitcnt lgkmcnt(0)
	v_xor_b32_e32 v218, 0x80000000, v237
	v_cndmask_b32_e32 v215, v243, v214, vcc_lo
	v_cmp_gt_f64_e32 vcc_lo, 0, v[244:245]
	v_mov_b32_e32 v214, v242
	v_cndmask_b32_e32 v217, v245, v216, vcc_lo
	v_cmp_gt_f64_e32 vcc_lo, 0, v[234:235]
	v_mov_b32_e32 v216, v244
	v_add_f64 v[214:215], v[214:215], v[216:217]
	v_xor_b32_e32 v216, 0x80000000, v235
	v_cndmask_b32_e32 v217, v235, v216, vcc_lo
	v_cmp_gt_f64_e32 vcc_lo, 0, v[236:237]
	v_mov_b32_e32 v216, v234
	v_cndmask_b32_e32 v219, v237, v218, vcc_lo
	v_mov_b32_e32 v218, v236
	v_add_f64 v[216:217], v[216:217], v[218:219]
	v_cmp_lt_f64_e32 vcc_lo, v[214:215], v[216:217]
	v_cndmask_b32_e32 v243, v243, v235, vcc_lo
	v_cndmask_b32_e32 v242, v242, v234, vcc_lo
	;; [unrolled: 1-line block ×4, first 2 shown]
	v_cndmask_b32_e64 v250, v250, s0, vcc_lo
	s_add_i32 s0, s0, 1
	s_cmp_lg_u32 s8, s0
	s_cbranch_scc1 .LBB118_865
.LBB118_866:
	s_inst_prefetch 0x2
	s_waitcnt lgkmcnt(0)
	v_cmp_eq_f64_e32 vcc_lo, 0, v[242:243]
	v_cmp_eq_f64_e64 s0, 0, v[244:245]
	s_and_b32 s0, vcc_lo, s0
	s_and_saveexec_b32 s1, s0
	s_xor_b32 s0, exec_lo, s1
; %bb.867:
	v_cmp_ne_u32_e32 vcc_lo, 0, v255
	v_cndmask_b32_e32 v255, 42, v255, vcc_lo
; %bb.868:
	s_andn2_saveexec_b32 s0, s0
	s_cbranch_execz .LBB118_874
; %bb.869:
	v_cmp_ngt_f64_e64 s1, |v[242:243]|, |v[244:245]|
	s_and_saveexec_b32 s7, s1
	s_xor_b32 s1, exec_lo, s7
	s_cbranch_execz .LBB118_871
; %bb.870:
	v_div_scale_f64 v[214:215], null, v[244:245], v[244:245], v[242:243]
	v_div_scale_f64 v[220:221], vcc_lo, v[242:243], v[244:245], v[242:243]
	v_rcp_f64_e32 v[216:217], v[214:215]
	v_fma_f64 v[218:219], -v[214:215], v[216:217], 1.0
	v_fma_f64 v[216:217], v[216:217], v[218:219], v[216:217]
	v_fma_f64 v[218:219], -v[214:215], v[216:217], 1.0
	v_fma_f64 v[216:217], v[216:217], v[218:219], v[216:217]
	v_mul_f64 v[218:219], v[220:221], v[216:217]
	v_fma_f64 v[214:215], -v[214:215], v[218:219], v[220:221]
	v_div_fmas_f64 v[214:215], v[214:215], v[216:217], v[218:219]
	v_div_fixup_f64 v[214:215], v[214:215], v[244:245], v[242:243]
	v_fma_f64 v[216:217], v[242:243], v[214:215], v[244:245]
	v_div_scale_f64 v[218:219], null, v[216:217], v[216:217], 1.0
	v_rcp_f64_e32 v[220:221], v[218:219]
	v_fma_f64 v[222:223], -v[218:219], v[220:221], 1.0
	v_fma_f64 v[220:221], v[220:221], v[222:223], v[220:221]
	v_fma_f64 v[222:223], -v[218:219], v[220:221], 1.0
	v_fma_f64 v[220:221], v[220:221], v[222:223], v[220:221]
	v_div_scale_f64 v[222:223], vcc_lo, 1.0, v[216:217], 1.0
	v_mul_f64 v[224:225], v[222:223], v[220:221]
	v_fma_f64 v[218:219], -v[218:219], v[224:225], v[222:223]
	v_div_fmas_f64 v[218:219], v[218:219], v[220:221], v[224:225]
	v_div_fixup_f64 v[244:245], v[218:219], v[216:217], 1.0
	v_mul_f64 v[242:243], v[214:215], v[244:245]
	v_xor_b32_e32 v245, 0x80000000, v245
.LBB118_871:
	s_andn2_saveexec_b32 s1, s1
	s_cbranch_execz .LBB118_873
; %bb.872:
	v_div_scale_f64 v[214:215], null, v[242:243], v[242:243], v[244:245]
	v_div_scale_f64 v[220:221], vcc_lo, v[244:245], v[242:243], v[244:245]
	v_rcp_f64_e32 v[216:217], v[214:215]
	v_fma_f64 v[218:219], -v[214:215], v[216:217], 1.0
	v_fma_f64 v[216:217], v[216:217], v[218:219], v[216:217]
	v_fma_f64 v[218:219], -v[214:215], v[216:217], 1.0
	v_fma_f64 v[216:217], v[216:217], v[218:219], v[216:217]
	v_mul_f64 v[218:219], v[220:221], v[216:217]
	v_fma_f64 v[214:215], -v[214:215], v[218:219], v[220:221]
	v_div_fmas_f64 v[214:215], v[214:215], v[216:217], v[218:219]
	v_div_fixup_f64 v[214:215], v[214:215], v[242:243], v[244:245]
	v_fma_f64 v[216:217], v[244:245], v[214:215], v[242:243]
	v_div_scale_f64 v[218:219], null, v[216:217], v[216:217], 1.0
	v_rcp_f64_e32 v[220:221], v[218:219]
	v_fma_f64 v[222:223], -v[218:219], v[220:221], 1.0
	v_fma_f64 v[220:221], v[220:221], v[222:223], v[220:221]
	v_fma_f64 v[222:223], -v[218:219], v[220:221], 1.0
	v_fma_f64 v[220:221], v[220:221], v[222:223], v[220:221]
	v_div_scale_f64 v[222:223], vcc_lo, 1.0, v[216:217], 1.0
	v_mul_f64 v[224:225], v[222:223], v[220:221]
	v_fma_f64 v[218:219], -v[218:219], v[224:225], v[222:223]
	v_div_fmas_f64 v[218:219], v[218:219], v[220:221], v[224:225]
	v_div_fixup_f64 v[242:243], v[218:219], v[216:217], 1.0
	v_mul_f64 v[244:245], v[214:215], -v[242:243]
.LBB118_873:
	s_or_b32 exec_lo, exec_lo, s1
.LBB118_874:
	s_or_b32 exec_lo, exec_lo, s0
	s_mov_b32 s0, exec_lo
	v_cmpx_ne_u32_e64 v0, v250
	s_xor_b32 s0, exec_lo, s0
	s_cbranch_execz .LBB118_880
; %bb.875:
	s_mov_b32 s1, exec_lo
	v_cmpx_eq_u32_e32 41, v0
	s_cbranch_execz .LBB118_879
; %bb.876:
	v_cmp_ne_u32_e32 vcc_lo, 41, v250
	s_xor_b32 s7, s16, -1
	s_and_b32 s9, s7, vcc_lo
	s_and_saveexec_b32 s7, s9
	s_cbranch_execz .LBB118_878
; %bb.877:
	s_clause 0x1
	buffer_load_dword v210, off, s[20:23], 0 offset:16
	buffer_load_dword v211, off, s[20:23], 0 offset:20
	v_ashrrev_i32_e32 v251, 31, v250
	v_lshlrev_b64 v[214:215], 2, v[250:251]
	s_waitcnt vmcnt(1)
	v_add_co_u32 v214, vcc_lo, v210, v214
	s_waitcnt vmcnt(0)
	v_add_co_ci_u32_e64 v215, null, v211, v215, vcc_lo
	s_clause 0x1
	global_load_dword v0, v[214:215], off
	global_load_dword v216, v[210:211], off offset:164
	s_waitcnt vmcnt(1)
	global_store_dword v[210:211], v0, off offset:164
	s_waitcnt vmcnt(0)
	global_store_dword v[214:215], v216, off
.LBB118_878:
	s_or_b32 exec_lo, exec_lo, s7
	v_mov_b32_e32 v0, v250
	v_mov_b32_e32 v253, v250
.LBB118_879:
	s_or_b32 exec_lo, exec_lo, s1
.LBB118_880:
	s_andn2_saveexec_b32 s0, s0
	s_cbranch_execz .LBB118_882
; %bb.881:
	v_mov_b32_e32 v0, 41
	ds_write2_b64 v1, v[70:71], v[72:73] offset0:84 offset1:85
	ds_write2_b64 v1, v[66:67], v[68:69] offset0:86 offset1:87
	;; [unrolled: 1-line block ×18, first 2 shown]
.LBB118_882:
	s_or_b32 exec_lo, exec_lo, s0
	s_mov_b32 s0, exec_lo
	s_waitcnt lgkmcnt(0)
	s_waitcnt_vscnt null, 0x0
	s_barrier
	buffer_gl0_inv
	v_cmpx_lt_i32_e32 41, v0
	s_cbranch_execz .LBB118_884
; %bb.883:
	v_mul_f64 v[214:215], v[244:245], v[76:77]
	v_mul_f64 v[76:77], v[242:243], v[76:77]
	ds_read2_b64 v[234:237], v1 offset0:84 offset1:85
	v_fma_f64 v[250:251], v[242:243], v[74:75], -v[214:215]
	v_fma_f64 v[76:77], v[244:245], v[74:75], v[76:77]
	s_waitcnt lgkmcnt(0)
	v_mul_f64 v[74:75], v[236:237], v[76:77]
	v_mul_f64 v[214:215], v[234:235], v[76:77]
	v_fma_f64 v[74:75], v[234:235], v[250:251], -v[74:75]
	v_fma_f64 v[214:215], v[236:237], v[250:251], v[214:215]
	ds_read2_b64 v[234:237], v1 offset0:86 offset1:87
	v_add_f64 v[70:71], v[70:71], -v[74:75]
	v_add_f64 v[72:73], v[72:73], -v[214:215]
	s_waitcnt lgkmcnt(0)
	v_mul_f64 v[74:75], v[236:237], v[76:77]
	v_mul_f64 v[214:215], v[234:235], v[76:77]
	v_fma_f64 v[74:75], v[234:235], v[250:251], -v[74:75]
	v_fma_f64 v[214:215], v[236:237], v[250:251], v[214:215]
	ds_read2_b64 v[234:237], v1 offset0:88 offset1:89
	v_add_f64 v[66:67], v[66:67], -v[74:75]
	v_add_f64 v[68:69], v[68:69], -v[214:215]
	;; [unrolled: 8-line block ×17, first 2 shown]
	s_waitcnt lgkmcnt(0)
	v_mul_f64 v[74:75], v[236:237], v[76:77]
	v_mul_f64 v[214:215], v[234:235], v[76:77]
	v_fma_f64 v[74:75], v[234:235], v[250:251], -v[74:75]
	v_fma_f64 v[214:215], v[236:237], v[250:251], v[214:215]
	v_add_f64 v[226:227], v[226:227], -v[74:75]
	v_add_f64 v[228:229], v[228:229], -v[214:215]
	v_mov_b32_e32 v74, v250
	v_mov_b32_e32 v75, v251
.LBB118_884:
	s_or_b32 exec_lo, exec_lo, s0
	v_lshl_add_u32 v214, v0, 4, v1
	s_barrier
	buffer_gl0_inv
	v_mov_b32_e32 v250, 42
	ds_write2_b64 v214, v[70:71], v[72:73] offset1:1
	s_waitcnt lgkmcnt(0)
	s_barrier
	buffer_gl0_inv
	ds_read2_b64 v[242:245], v1 offset0:84 offset1:85
	s_cmp_lt_i32 s8, 44
	s_cbranch_scc1 .LBB118_887
; %bb.885:
	v_add3_u32 v247, v246, 0, 0x2b0
	v_mov_b32_e32 v250, 42
	s_mov_b32 s0, 43
	s_inst_prefetch 0x1
	.p2align	6
.LBB118_886:                            ; =>This Inner Loop Header: Depth=1
	s_waitcnt lgkmcnt(0)
	v_cmp_gt_f64_e32 vcc_lo, 0, v[242:243]
	v_xor_b32_e32 v214, 0x80000000, v243
	ds_read2_b64 v[234:237], v247 offset1:1
	v_xor_b32_e32 v216, 0x80000000, v245
	v_add_nc_u32_e32 v247, 16, v247
	s_waitcnt lgkmcnt(0)
	v_xor_b32_e32 v218, 0x80000000, v237
	v_cndmask_b32_e32 v215, v243, v214, vcc_lo
	v_cmp_gt_f64_e32 vcc_lo, 0, v[244:245]
	v_mov_b32_e32 v214, v242
	v_cndmask_b32_e32 v217, v245, v216, vcc_lo
	v_cmp_gt_f64_e32 vcc_lo, 0, v[234:235]
	v_mov_b32_e32 v216, v244
	v_add_f64 v[214:215], v[214:215], v[216:217]
	v_xor_b32_e32 v216, 0x80000000, v235
	v_cndmask_b32_e32 v217, v235, v216, vcc_lo
	v_cmp_gt_f64_e32 vcc_lo, 0, v[236:237]
	v_mov_b32_e32 v216, v234
	v_cndmask_b32_e32 v219, v237, v218, vcc_lo
	v_mov_b32_e32 v218, v236
	v_add_f64 v[216:217], v[216:217], v[218:219]
	v_cmp_lt_f64_e32 vcc_lo, v[214:215], v[216:217]
	v_cndmask_b32_e32 v243, v243, v235, vcc_lo
	v_cndmask_b32_e32 v242, v242, v234, vcc_lo
	;; [unrolled: 1-line block ×4, first 2 shown]
	v_cndmask_b32_e64 v250, v250, s0, vcc_lo
	s_add_i32 s0, s0, 1
	s_cmp_lg_u32 s8, s0
	s_cbranch_scc1 .LBB118_886
.LBB118_887:
	s_inst_prefetch 0x2
	s_waitcnt lgkmcnt(0)
	v_cmp_eq_f64_e32 vcc_lo, 0, v[242:243]
	v_cmp_eq_f64_e64 s0, 0, v[244:245]
	s_and_b32 s0, vcc_lo, s0
	s_and_saveexec_b32 s1, s0
	s_xor_b32 s0, exec_lo, s1
; %bb.888:
	v_cmp_ne_u32_e32 vcc_lo, 0, v255
	v_cndmask_b32_e32 v255, 43, v255, vcc_lo
; %bb.889:
	s_andn2_saveexec_b32 s0, s0
	s_cbranch_execz .LBB118_895
; %bb.890:
	v_cmp_ngt_f64_e64 s1, |v[242:243]|, |v[244:245]|
	s_and_saveexec_b32 s7, s1
	s_xor_b32 s1, exec_lo, s7
	s_cbranch_execz .LBB118_892
; %bb.891:
	v_div_scale_f64 v[214:215], null, v[244:245], v[244:245], v[242:243]
	v_div_scale_f64 v[220:221], vcc_lo, v[242:243], v[244:245], v[242:243]
	v_rcp_f64_e32 v[216:217], v[214:215]
	v_fma_f64 v[218:219], -v[214:215], v[216:217], 1.0
	v_fma_f64 v[216:217], v[216:217], v[218:219], v[216:217]
	v_fma_f64 v[218:219], -v[214:215], v[216:217], 1.0
	v_fma_f64 v[216:217], v[216:217], v[218:219], v[216:217]
	v_mul_f64 v[218:219], v[220:221], v[216:217]
	v_fma_f64 v[214:215], -v[214:215], v[218:219], v[220:221]
	v_div_fmas_f64 v[214:215], v[214:215], v[216:217], v[218:219]
	v_div_fixup_f64 v[214:215], v[214:215], v[244:245], v[242:243]
	v_fma_f64 v[216:217], v[242:243], v[214:215], v[244:245]
	v_div_scale_f64 v[218:219], null, v[216:217], v[216:217], 1.0
	v_rcp_f64_e32 v[220:221], v[218:219]
	v_fma_f64 v[222:223], -v[218:219], v[220:221], 1.0
	v_fma_f64 v[220:221], v[220:221], v[222:223], v[220:221]
	v_fma_f64 v[222:223], -v[218:219], v[220:221], 1.0
	v_fma_f64 v[220:221], v[220:221], v[222:223], v[220:221]
	v_div_scale_f64 v[222:223], vcc_lo, 1.0, v[216:217], 1.0
	v_mul_f64 v[224:225], v[222:223], v[220:221]
	v_fma_f64 v[218:219], -v[218:219], v[224:225], v[222:223]
	v_div_fmas_f64 v[218:219], v[218:219], v[220:221], v[224:225]
	v_div_fixup_f64 v[244:245], v[218:219], v[216:217], 1.0
	v_mul_f64 v[242:243], v[214:215], v[244:245]
	v_xor_b32_e32 v245, 0x80000000, v245
.LBB118_892:
	s_andn2_saveexec_b32 s1, s1
	s_cbranch_execz .LBB118_894
; %bb.893:
	v_div_scale_f64 v[214:215], null, v[242:243], v[242:243], v[244:245]
	v_div_scale_f64 v[220:221], vcc_lo, v[244:245], v[242:243], v[244:245]
	v_rcp_f64_e32 v[216:217], v[214:215]
	v_fma_f64 v[218:219], -v[214:215], v[216:217], 1.0
	v_fma_f64 v[216:217], v[216:217], v[218:219], v[216:217]
	v_fma_f64 v[218:219], -v[214:215], v[216:217], 1.0
	v_fma_f64 v[216:217], v[216:217], v[218:219], v[216:217]
	v_mul_f64 v[218:219], v[220:221], v[216:217]
	v_fma_f64 v[214:215], -v[214:215], v[218:219], v[220:221]
	v_div_fmas_f64 v[214:215], v[214:215], v[216:217], v[218:219]
	v_div_fixup_f64 v[214:215], v[214:215], v[242:243], v[244:245]
	v_fma_f64 v[216:217], v[244:245], v[214:215], v[242:243]
	v_div_scale_f64 v[218:219], null, v[216:217], v[216:217], 1.0
	v_rcp_f64_e32 v[220:221], v[218:219]
	v_fma_f64 v[222:223], -v[218:219], v[220:221], 1.0
	v_fma_f64 v[220:221], v[220:221], v[222:223], v[220:221]
	v_fma_f64 v[222:223], -v[218:219], v[220:221], 1.0
	v_fma_f64 v[220:221], v[220:221], v[222:223], v[220:221]
	v_div_scale_f64 v[222:223], vcc_lo, 1.0, v[216:217], 1.0
	v_mul_f64 v[224:225], v[222:223], v[220:221]
	v_fma_f64 v[218:219], -v[218:219], v[224:225], v[222:223]
	v_div_fmas_f64 v[218:219], v[218:219], v[220:221], v[224:225]
	v_div_fixup_f64 v[242:243], v[218:219], v[216:217], 1.0
	v_mul_f64 v[244:245], v[214:215], -v[242:243]
.LBB118_894:
	s_or_b32 exec_lo, exec_lo, s1
.LBB118_895:
	s_or_b32 exec_lo, exec_lo, s0
	s_mov_b32 s0, exec_lo
	v_cmpx_ne_u32_e64 v0, v250
	s_xor_b32 s0, exec_lo, s0
	s_cbranch_execz .LBB118_901
; %bb.896:
	s_mov_b32 s1, exec_lo
	v_cmpx_eq_u32_e32 42, v0
	s_cbranch_execz .LBB118_900
; %bb.897:
	v_cmp_ne_u32_e32 vcc_lo, 42, v250
	s_xor_b32 s7, s16, -1
	s_and_b32 s9, s7, vcc_lo
	s_and_saveexec_b32 s7, s9
	s_cbranch_execz .LBB118_899
; %bb.898:
	s_clause 0x1
	buffer_load_dword v210, off, s[20:23], 0 offset:16
	buffer_load_dword v211, off, s[20:23], 0 offset:20
	v_ashrrev_i32_e32 v251, 31, v250
	v_lshlrev_b64 v[214:215], 2, v[250:251]
	s_waitcnt vmcnt(1)
	v_add_co_u32 v214, vcc_lo, v210, v214
	s_waitcnt vmcnt(0)
	v_add_co_ci_u32_e64 v215, null, v211, v215, vcc_lo
	s_clause 0x1
	global_load_dword v0, v[214:215], off
	global_load_dword v216, v[210:211], off offset:168
	s_waitcnt vmcnt(1)
	global_store_dword v[210:211], v0, off offset:168
	s_waitcnt vmcnt(0)
	global_store_dword v[214:215], v216, off
.LBB118_899:
	s_or_b32 exec_lo, exec_lo, s7
	v_mov_b32_e32 v0, v250
	v_mov_b32_e32 v253, v250
.LBB118_900:
	s_or_b32 exec_lo, exec_lo, s1
.LBB118_901:
	s_andn2_saveexec_b32 s0, s0
	s_cbranch_execz .LBB118_903
; %bb.902:
	v_mov_b32_e32 v0, 42
	ds_write2_b64 v1, v[66:67], v[68:69] offset0:86 offset1:87
	ds_write2_b64 v1, v[62:63], v[64:65] offset0:88 offset1:89
	;; [unrolled: 1-line block ×17, first 2 shown]
.LBB118_903:
	s_or_b32 exec_lo, exec_lo, s0
	s_mov_b32 s0, exec_lo
	s_waitcnt lgkmcnt(0)
	s_waitcnt_vscnt null, 0x0
	s_barrier
	buffer_gl0_inv
	v_cmpx_lt_i32_e32 42, v0
	s_cbranch_execz .LBB118_905
; %bb.904:
	v_mul_f64 v[214:215], v[244:245], v[72:73]
	v_mul_f64 v[72:73], v[242:243], v[72:73]
	ds_read2_b64 v[234:237], v1 offset0:86 offset1:87
	v_fma_f64 v[250:251], v[242:243], v[70:71], -v[214:215]
	v_fma_f64 v[72:73], v[244:245], v[70:71], v[72:73]
	s_waitcnt lgkmcnt(0)
	v_mul_f64 v[70:71], v[236:237], v[72:73]
	v_mul_f64 v[214:215], v[234:235], v[72:73]
	v_fma_f64 v[70:71], v[234:235], v[250:251], -v[70:71]
	v_fma_f64 v[214:215], v[236:237], v[250:251], v[214:215]
	ds_read2_b64 v[234:237], v1 offset0:88 offset1:89
	v_add_f64 v[66:67], v[66:67], -v[70:71]
	v_add_f64 v[68:69], v[68:69], -v[214:215]
	s_waitcnt lgkmcnt(0)
	v_mul_f64 v[70:71], v[236:237], v[72:73]
	v_mul_f64 v[214:215], v[234:235], v[72:73]
	v_fma_f64 v[70:71], v[234:235], v[250:251], -v[70:71]
	v_fma_f64 v[214:215], v[236:237], v[250:251], v[214:215]
	ds_read2_b64 v[234:237], v1 offset0:90 offset1:91
	v_add_f64 v[62:63], v[62:63], -v[70:71]
	v_add_f64 v[64:65], v[64:65], -v[214:215]
	;; [unrolled: 8-line block ×16, first 2 shown]
	s_waitcnt lgkmcnt(0)
	v_mul_f64 v[70:71], v[236:237], v[72:73]
	v_mul_f64 v[214:215], v[234:235], v[72:73]
	v_fma_f64 v[70:71], v[234:235], v[250:251], -v[70:71]
	v_fma_f64 v[214:215], v[236:237], v[250:251], v[214:215]
	v_add_f64 v[226:227], v[226:227], -v[70:71]
	v_add_f64 v[228:229], v[228:229], -v[214:215]
	v_mov_b32_e32 v70, v250
	v_mov_b32_e32 v71, v251
.LBB118_905:
	s_or_b32 exec_lo, exec_lo, s0
	v_lshl_add_u32 v214, v0, 4, v1
	s_barrier
	buffer_gl0_inv
	v_mov_b32_e32 v250, 43
	ds_write2_b64 v214, v[66:67], v[68:69] offset1:1
	s_waitcnt lgkmcnt(0)
	s_barrier
	buffer_gl0_inv
	ds_read2_b64 v[242:245], v1 offset0:86 offset1:87
	s_cmp_lt_i32 s8, 45
	s_cbranch_scc1 .LBB118_908
; %bb.906:
	v_add3_u32 v247, v246, 0, 0x2c0
	v_mov_b32_e32 v250, 43
	s_mov_b32 s0, 44
	s_inst_prefetch 0x1
	.p2align	6
.LBB118_907:                            ; =>This Inner Loop Header: Depth=1
	s_waitcnt lgkmcnt(0)
	v_cmp_gt_f64_e32 vcc_lo, 0, v[242:243]
	v_xor_b32_e32 v214, 0x80000000, v243
	ds_read2_b64 v[234:237], v247 offset1:1
	v_xor_b32_e32 v216, 0x80000000, v245
	v_add_nc_u32_e32 v247, 16, v247
	s_waitcnt lgkmcnt(0)
	v_xor_b32_e32 v218, 0x80000000, v237
	v_cndmask_b32_e32 v215, v243, v214, vcc_lo
	v_cmp_gt_f64_e32 vcc_lo, 0, v[244:245]
	v_mov_b32_e32 v214, v242
	v_cndmask_b32_e32 v217, v245, v216, vcc_lo
	v_cmp_gt_f64_e32 vcc_lo, 0, v[234:235]
	v_mov_b32_e32 v216, v244
	v_add_f64 v[214:215], v[214:215], v[216:217]
	v_xor_b32_e32 v216, 0x80000000, v235
	v_cndmask_b32_e32 v217, v235, v216, vcc_lo
	v_cmp_gt_f64_e32 vcc_lo, 0, v[236:237]
	v_mov_b32_e32 v216, v234
	v_cndmask_b32_e32 v219, v237, v218, vcc_lo
	v_mov_b32_e32 v218, v236
	v_add_f64 v[216:217], v[216:217], v[218:219]
	v_cmp_lt_f64_e32 vcc_lo, v[214:215], v[216:217]
	v_cndmask_b32_e32 v243, v243, v235, vcc_lo
	v_cndmask_b32_e32 v242, v242, v234, vcc_lo
	;; [unrolled: 1-line block ×4, first 2 shown]
	v_cndmask_b32_e64 v250, v250, s0, vcc_lo
	s_add_i32 s0, s0, 1
	s_cmp_lg_u32 s8, s0
	s_cbranch_scc1 .LBB118_907
.LBB118_908:
	s_inst_prefetch 0x2
	s_waitcnt lgkmcnt(0)
	v_cmp_eq_f64_e32 vcc_lo, 0, v[242:243]
	v_cmp_eq_f64_e64 s0, 0, v[244:245]
	s_and_b32 s0, vcc_lo, s0
	s_and_saveexec_b32 s1, s0
	s_xor_b32 s0, exec_lo, s1
; %bb.909:
	v_cmp_ne_u32_e32 vcc_lo, 0, v255
	v_cndmask_b32_e32 v255, 44, v255, vcc_lo
; %bb.910:
	s_andn2_saveexec_b32 s0, s0
	s_cbranch_execz .LBB118_916
; %bb.911:
	v_cmp_ngt_f64_e64 s1, |v[242:243]|, |v[244:245]|
	s_and_saveexec_b32 s7, s1
	s_xor_b32 s1, exec_lo, s7
	s_cbranch_execz .LBB118_913
; %bb.912:
	v_div_scale_f64 v[214:215], null, v[244:245], v[244:245], v[242:243]
	v_div_scale_f64 v[220:221], vcc_lo, v[242:243], v[244:245], v[242:243]
	v_rcp_f64_e32 v[216:217], v[214:215]
	v_fma_f64 v[218:219], -v[214:215], v[216:217], 1.0
	v_fma_f64 v[216:217], v[216:217], v[218:219], v[216:217]
	v_fma_f64 v[218:219], -v[214:215], v[216:217], 1.0
	v_fma_f64 v[216:217], v[216:217], v[218:219], v[216:217]
	v_mul_f64 v[218:219], v[220:221], v[216:217]
	v_fma_f64 v[214:215], -v[214:215], v[218:219], v[220:221]
	v_div_fmas_f64 v[214:215], v[214:215], v[216:217], v[218:219]
	v_div_fixup_f64 v[214:215], v[214:215], v[244:245], v[242:243]
	v_fma_f64 v[216:217], v[242:243], v[214:215], v[244:245]
	v_div_scale_f64 v[218:219], null, v[216:217], v[216:217], 1.0
	v_rcp_f64_e32 v[220:221], v[218:219]
	v_fma_f64 v[222:223], -v[218:219], v[220:221], 1.0
	v_fma_f64 v[220:221], v[220:221], v[222:223], v[220:221]
	v_fma_f64 v[222:223], -v[218:219], v[220:221], 1.0
	v_fma_f64 v[220:221], v[220:221], v[222:223], v[220:221]
	v_div_scale_f64 v[222:223], vcc_lo, 1.0, v[216:217], 1.0
	v_mul_f64 v[224:225], v[222:223], v[220:221]
	v_fma_f64 v[218:219], -v[218:219], v[224:225], v[222:223]
	v_div_fmas_f64 v[218:219], v[218:219], v[220:221], v[224:225]
	v_div_fixup_f64 v[244:245], v[218:219], v[216:217], 1.0
	v_mul_f64 v[242:243], v[214:215], v[244:245]
	v_xor_b32_e32 v245, 0x80000000, v245
.LBB118_913:
	s_andn2_saveexec_b32 s1, s1
	s_cbranch_execz .LBB118_915
; %bb.914:
	v_div_scale_f64 v[214:215], null, v[242:243], v[242:243], v[244:245]
	v_div_scale_f64 v[220:221], vcc_lo, v[244:245], v[242:243], v[244:245]
	v_rcp_f64_e32 v[216:217], v[214:215]
	v_fma_f64 v[218:219], -v[214:215], v[216:217], 1.0
	v_fma_f64 v[216:217], v[216:217], v[218:219], v[216:217]
	v_fma_f64 v[218:219], -v[214:215], v[216:217], 1.0
	v_fma_f64 v[216:217], v[216:217], v[218:219], v[216:217]
	v_mul_f64 v[218:219], v[220:221], v[216:217]
	v_fma_f64 v[214:215], -v[214:215], v[218:219], v[220:221]
	v_div_fmas_f64 v[214:215], v[214:215], v[216:217], v[218:219]
	v_div_fixup_f64 v[214:215], v[214:215], v[242:243], v[244:245]
	v_fma_f64 v[216:217], v[244:245], v[214:215], v[242:243]
	v_div_scale_f64 v[218:219], null, v[216:217], v[216:217], 1.0
	v_rcp_f64_e32 v[220:221], v[218:219]
	v_fma_f64 v[222:223], -v[218:219], v[220:221], 1.0
	v_fma_f64 v[220:221], v[220:221], v[222:223], v[220:221]
	v_fma_f64 v[222:223], -v[218:219], v[220:221], 1.0
	v_fma_f64 v[220:221], v[220:221], v[222:223], v[220:221]
	v_div_scale_f64 v[222:223], vcc_lo, 1.0, v[216:217], 1.0
	v_mul_f64 v[224:225], v[222:223], v[220:221]
	v_fma_f64 v[218:219], -v[218:219], v[224:225], v[222:223]
	v_div_fmas_f64 v[218:219], v[218:219], v[220:221], v[224:225]
	v_div_fixup_f64 v[242:243], v[218:219], v[216:217], 1.0
	v_mul_f64 v[244:245], v[214:215], -v[242:243]
.LBB118_915:
	s_or_b32 exec_lo, exec_lo, s1
.LBB118_916:
	s_or_b32 exec_lo, exec_lo, s0
	s_mov_b32 s0, exec_lo
	v_cmpx_ne_u32_e64 v0, v250
	s_xor_b32 s0, exec_lo, s0
	s_cbranch_execz .LBB118_922
; %bb.917:
	s_mov_b32 s1, exec_lo
	v_cmpx_eq_u32_e32 43, v0
	s_cbranch_execz .LBB118_921
; %bb.918:
	v_cmp_ne_u32_e32 vcc_lo, 43, v250
	s_xor_b32 s7, s16, -1
	s_and_b32 s9, s7, vcc_lo
	s_and_saveexec_b32 s7, s9
	s_cbranch_execz .LBB118_920
; %bb.919:
	s_clause 0x1
	buffer_load_dword v210, off, s[20:23], 0 offset:16
	buffer_load_dword v211, off, s[20:23], 0 offset:20
	v_ashrrev_i32_e32 v251, 31, v250
	v_lshlrev_b64 v[214:215], 2, v[250:251]
	s_waitcnt vmcnt(1)
	v_add_co_u32 v214, vcc_lo, v210, v214
	s_waitcnt vmcnt(0)
	v_add_co_ci_u32_e64 v215, null, v211, v215, vcc_lo
	s_clause 0x1
	global_load_dword v0, v[214:215], off
	global_load_dword v216, v[210:211], off offset:172
	s_waitcnt vmcnt(1)
	global_store_dword v[210:211], v0, off offset:172
	s_waitcnt vmcnt(0)
	global_store_dword v[214:215], v216, off
.LBB118_920:
	s_or_b32 exec_lo, exec_lo, s7
	v_mov_b32_e32 v0, v250
	v_mov_b32_e32 v253, v250
.LBB118_921:
	s_or_b32 exec_lo, exec_lo, s1
.LBB118_922:
	s_andn2_saveexec_b32 s0, s0
	s_cbranch_execz .LBB118_924
; %bb.923:
	v_mov_b32_e32 v0, 43
	ds_write2_b64 v1, v[62:63], v[64:65] offset0:88 offset1:89
	ds_write2_b64 v1, v[58:59], v[60:61] offset0:90 offset1:91
	;; [unrolled: 1-line block ×16, first 2 shown]
.LBB118_924:
	s_or_b32 exec_lo, exec_lo, s0
	s_mov_b32 s0, exec_lo
	s_waitcnt lgkmcnt(0)
	s_waitcnt_vscnt null, 0x0
	s_barrier
	buffer_gl0_inv
	v_cmpx_lt_i32_e32 43, v0
	s_cbranch_execz .LBB118_926
; %bb.925:
	v_mul_f64 v[214:215], v[242:243], v[68:69]
	v_mul_f64 v[68:69], v[244:245], v[68:69]
	ds_read2_b64 v[234:237], v1 offset0:88 offset1:89
	v_fma_f64 v[250:251], v[244:245], v[66:67], v[214:215]
	v_fma_f64 v[66:67], v[242:243], v[66:67], -v[68:69]
	s_waitcnt lgkmcnt(0)
	v_mul_f64 v[68:69], v[236:237], v[250:251]
	v_mul_f64 v[214:215], v[234:235], v[250:251]
	v_fma_f64 v[68:69], v[234:235], v[66:67], -v[68:69]
	v_fma_f64 v[214:215], v[236:237], v[66:67], v[214:215]
	ds_read2_b64 v[234:237], v1 offset0:90 offset1:91
	v_add_f64 v[62:63], v[62:63], -v[68:69]
	v_add_f64 v[64:65], v[64:65], -v[214:215]
	s_waitcnt lgkmcnt(0)
	v_mul_f64 v[68:69], v[236:237], v[250:251]
	v_mul_f64 v[214:215], v[234:235], v[250:251]
	v_fma_f64 v[68:69], v[234:235], v[66:67], -v[68:69]
	v_fma_f64 v[214:215], v[236:237], v[66:67], v[214:215]
	ds_read2_b64 v[234:237], v1 offset0:92 offset1:93
	v_add_f64 v[58:59], v[58:59], -v[68:69]
	v_add_f64 v[60:61], v[60:61], -v[214:215]
	;; [unrolled: 8-line block ×15, first 2 shown]
	s_waitcnt lgkmcnt(0)
	v_mul_f64 v[68:69], v[236:237], v[250:251]
	v_mul_f64 v[214:215], v[234:235], v[250:251]
	v_fma_f64 v[68:69], v[234:235], v[66:67], -v[68:69]
	v_fma_f64 v[214:215], v[236:237], v[66:67], v[214:215]
	v_add_f64 v[226:227], v[226:227], -v[68:69]
	v_add_f64 v[228:229], v[228:229], -v[214:215]
	v_mov_b32_e32 v68, v250
	v_mov_b32_e32 v69, v251
.LBB118_926:
	s_or_b32 exec_lo, exec_lo, s0
	v_lshl_add_u32 v214, v0, 4, v1
	s_barrier
	buffer_gl0_inv
	v_mov_b32_e32 v250, 44
	ds_write2_b64 v214, v[62:63], v[64:65] offset1:1
	s_waitcnt lgkmcnt(0)
	s_barrier
	buffer_gl0_inv
	ds_read2_b64 v[242:245], v1 offset0:88 offset1:89
	s_cmp_lt_i32 s8, 46
	s_cbranch_scc1 .LBB118_929
; %bb.927:
	v_add3_u32 v247, v246, 0, 0x2d0
	v_mov_b32_e32 v250, 44
	s_mov_b32 s0, 45
	s_inst_prefetch 0x1
	.p2align	6
.LBB118_928:                            ; =>This Inner Loop Header: Depth=1
	s_waitcnt lgkmcnt(0)
	v_cmp_gt_f64_e32 vcc_lo, 0, v[242:243]
	v_xor_b32_e32 v214, 0x80000000, v243
	ds_read2_b64 v[234:237], v247 offset1:1
	v_xor_b32_e32 v216, 0x80000000, v245
	v_add_nc_u32_e32 v247, 16, v247
	s_waitcnt lgkmcnt(0)
	v_xor_b32_e32 v218, 0x80000000, v237
	v_cndmask_b32_e32 v215, v243, v214, vcc_lo
	v_cmp_gt_f64_e32 vcc_lo, 0, v[244:245]
	v_mov_b32_e32 v214, v242
	v_cndmask_b32_e32 v217, v245, v216, vcc_lo
	v_cmp_gt_f64_e32 vcc_lo, 0, v[234:235]
	v_mov_b32_e32 v216, v244
	v_add_f64 v[214:215], v[214:215], v[216:217]
	v_xor_b32_e32 v216, 0x80000000, v235
	v_cndmask_b32_e32 v217, v235, v216, vcc_lo
	v_cmp_gt_f64_e32 vcc_lo, 0, v[236:237]
	v_mov_b32_e32 v216, v234
	v_cndmask_b32_e32 v219, v237, v218, vcc_lo
	v_mov_b32_e32 v218, v236
	v_add_f64 v[216:217], v[216:217], v[218:219]
	v_cmp_lt_f64_e32 vcc_lo, v[214:215], v[216:217]
	v_cndmask_b32_e32 v243, v243, v235, vcc_lo
	v_cndmask_b32_e32 v242, v242, v234, vcc_lo
	;; [unrolled: 1-line block ×4, first 2 shown]
	v_cndmask_b32_e64 v250, v250, s0, vcc_lo
	s_add_i32 s0, s0, 1
	s_cmp_lg_u32 s8, s0
	s_cbranch_scc1 .LBB118_928
.LBB118_929:
	s_inst_prefetch 0x2
	s_waitcnt lgkmcnt(0)
	v_cmp_eq_f64_e32 vcc_lo, 0, v[242:243]
	v_cmp_eq_f64_e64 s0, 0, v[244:245]
	s_and_b32 s0, vcc_lo, s0
	s_and_saveexec_b32 s1, s0
	s_xor_b32 s0, exec_lo, s1
; %bb.930:
	v_cmp_ne_u32_e32 vcc_lo, 0, v255
	v_cndmask_b32_e32 v255, 45, v255, vcc_lo
; %bb.931:
	s_andn2_saveexec_b32 s0, s0
	s_cbranch_execz .LBB118_937
; %bb.932:
	v_cmp_ngt_f64_e64 s1, |v[242:243]|, |v[244:245]|
	s_and_saveexec_b32 s7, s1
	s_xor_b32 s1, exec_lo, s7
	s_cbranch_execz .LBB118_934
; %bb.933:
	v_div_scale_f64 v[214:215], null, v[244:245], v[244:245], v[242:243]
	v_div_scale_f64 v[220:221], vcc_lo, v[242:243], v[244:245], v[242:243]
	v_rcp_f64_e32 v[216:217], v[214:215]
	v_fma_f64 v[218:219], -v[214:215], v[216:217], 1.0
	v_fma_f64 v[216:217], v[216:217], v[218:219], v[216:217]
	v_fma_f64 v[218:219], -v[214:215], v[216:217], 1.0
	v_fma_f64 v[216:217], v[216:217], v[218:219], v[216:217]
	v_mul_f64 v[218:219], v[220:221], v[216:217]
	v_fma_f64 v[214:215], -v[214:215], v[218:219], v[220:221]
	v_div_fmas_f64 v[214:215], v[214:215], v[216:217], v[218:219]
	v_div_fixup_f64 v[214:215], v[214:215], v[244:245], v[242:243]
	v_fma_f64 v[216:217], v[242:243], v[214:215], v[244:245]
	v_div_scale_f64 v[218:219], null, v[216:217], v[216:217], 1.0
	v_rcp_f64_e32 v[220:221], v[218:219]
	v_fma_f64 v[222:223], -v[218:219], v[220:221], 1.0
	v_fma_f64 v[220:221], v[220:221], v[222:223], v[220:221]
	v_fma_f64 v[222:223], -v[218:219], v[220:221], 1.0
	v_fma_f64 v[220:221], v[220:221], v[222:223], v[220:221]
	v_div_scale_f64 v[222:223], vcc_lo, 1.0, v[216:217], 1.0
	v_mul_f64 v[224:225], v[222:223], v[220:221]
	v_fma_f64 v[218:219], -v[218:219], v[224:225], v[222:223]
	v_div_fmas_f64 v[218:219], v[218:219], v[220:221], v[224:225]
	v_div_fixup_f64 v[244:245], v[218:219], v[216:217], 1.0
	v_mul_f64 v[242:243], v[214:215], v[244:245]
	v_xor_b32_e32 v245, 0x80000000, v245
.LBB118_934:
	s_andn2_saveexec_b32 s1, s1
	s_cbranch_execz .LBB118_936
; %bb.935:
	v_div_scale_f64 v[214:215], null, v[242:243], v[242:243], v[244:245]
	v_div_scale_f64 v[220:221], vcc_lo, v[244:245], v[242:243], v[244:245]
	v_rcp_f64_e32 v[216:217], v[214:215]
	v_fma_f64 v[218:219], -v[214:215], v[216:217], 1.0
	v_fma_f64 v[216:217], v[216:217], v[218:219], v[216:217]
	v_fma_f64 v[218:219], -v[214:215], v[216:217], 1.0
	v_fma_f64 v[216:217], v[216:217], v[218:219], v[216:217]
	v_mul_f64 v[218:219], v[220:221], v[216:217]
	v_fma_f64 v[214:215], -v[214:215], v[218:219], v[220:221]
	v_div_fmas_f64 v[214:215], v[214:215], v[216:217], v[218:219]
	v_div_fixup_f64 v[214:215], v[214:215], v[242:243], v[244:245]
	v_fma_f64 v[216:217], v[244:245], v[214:215], v[242:243]
	v_div_scale_f64 v[218:219], null, v[216:217], v[216:217], 1.0
	v_rcp_f64_e32 v[220:221], v[218:219]
	v_fma_f64 v[222:223], -v[218:219], v[220:221], 1.0
	v_fma_f64 v[220:221], v[220:221], v[222:223], v[220:221]
	v_fma_f64 v[222:223], -v[218:219], v[220:221], 1.0
	v_fma_f64 v[220:221], v[220:221], v[222:223], v[220:221]
	v_div_scale_f64 v[222:223], vcc_lo, 1.0, v[216:217], 1.0
	v_mul_f64 v[224:225], v[222:223], v[220:221]
	v_fma_f64 v[218:219], -v[218:219], v[224:225], v[222:223]
	v_div_fmas_f64 v[218:219], v[218:219], v[220:221], v[224:225]
	v_div_fixup_f64 v[242:243], v[218:219], v[216:217], 1.0
	v_mul_f64 v[244:245], v[214:215], -v[242:243]
.LBB118_936:
	s_or_b32 exec_lo, exec_lo, s1
.LBB118_937:
	s_or_b32 exec_lo, exec_lo, s0
	s_mov_b32 s0, exec_lo
	v_cmpx_ne_u32_e64 v0, v250
	s_xor_b32 s0, exec_lo, s0
	s_cbranch_execz .LBB118_943
; %bb.938:
	s_mov_b32 s1, exec_lo
	v_cmpx_eq_u32_e32 44, v0
	s_cbranch_execz .LBB118_942
; %bb.939:
	v_cmp_ne_u32_e32 vcc_lo, 44, v250
	s_xor_b32 s7, s16, -1
	s_and_b32 s9, s7, vcc_lo
	s_and_saveexec_b32 s7, s9
	s_cbranch_execz .LBB118_941
; %bb.940:
	s_clause 0x1
	buffer_load_dword v210, off, s[20:23], 0 offset:16
	buffer_load_dword v211, off, s[20:23], 0 offset:20
	v_ashrrev_i32_e32 v251, 31, v250
	v_lshlrev_b64 v[214:215], 2, v[250:251]
	s_waitcnt vmcnt(1)
	v_add_co_u32 v214, vcc_lo, v210, v214
	s_waitcnt vmcnt(0)
	v_add_co_ci_u32_e64 v215, null, v211, v215, vcc_lo
	s_clause 0x1
	global_load_dword v0, v[214:215], off
	global_load_dword v216, v[210:211], off offset:176
	s_waitcnt vmcnt(1)
	global_store_dword v[210:211], v0, off offset:176
	s_waitcnt vmcnt(0)
	global_store_dword v[214:215], v216, off
.LBB118_941:
	s_or_b32 exec_lo, exec_lo, s7
	v_mov_b32_e32 v0, v250
	v_mov_b32_e32 v253, v250
.LBB118_942:
	s_or_b32 exec_lo, exec_lo, s1
.LBB118_943:
	s_andn2_saveexec_b32 s0, s0
	s_cbranch_execz .LBB118_945
; %bb.944:
	v_mov_b32_e32 v0, 44
	ds_write2_b64 v1, v[58:59], v[60:61] offset0:90 offset1:91
	ds_write2_b64 v1, v[54:55], v[56:57] offset0:92 offset1:93
	;; [unrolled: 1-line block ×15, first 2 shown]
.LBB118_945:
	s_or_b32 exec_lo, exec_lo, s0
	s_mov_b32 s0, exec_lo
	s_waitcnt lgkmcnt(0)
	s_waitcnt_vscnt null, 0x0
	s_barrier
	buffer_gl0_inv
	v_cmpx_lt_i32_e32 44, v0
	s_cbranch_execz .LBB118_947
; %bb.946:
	v_mul_f64 v[214:215], v[242:243], v[64:65]
	v_mul_f64 v[64:65], v[244:245], v[64:65]
	ds_read2_b64 v[234:237], v1 offset0:90 offset1:91
	v_fma_f64 v[250:251], v[244:245], v[62:63], v[214:215]
	v_fma_f64 v[62:63], v[242:243], v[62:63], -v[64:65]
	s_waitcnt lgkmcnt(0)
	v_mul_f64 v[64:65], v[236:237], v[250:251]
	v_mul_f64 v[214:215], v[234:235], v[250:251]
	v_fma_f64 v[64:65], v[234:235], v[62:63], -v[64:65]
	v_fma_f64 v[214:215], v[236:237], v[62:63], v[214:215]
	ds_read2_b64 v[234:237], v1 offset0:92 offset1:93
	v_add_f64 v[58:59], v[58:59], -v[64:65]
	v_add_f64 v[60:61], v[60:61], -v[214:215]
	s_waitcnt lgkmcnt(0)
	v_mul_f64 v[64:65], v[236:237], v[250:251]
	v_mul_f64 v[214:215], v[234:235], v[250:251]
	v_fma_f64 v[64:65], v[234:235], v[62:63], -v[64:65]
	v_fma_f64 v[214:215], v[236:237], v[62:63], v[214:215]
	ds_read2_b64 v[234:237], v1 offset0:94 offset1:95
	v_add_f64 v[54:55], v[54:55], -v[64:65]
	v_add_f64 v[56:57], v[56:57], -v[214:215]
	;; [unrolled: 8-line block ×14, first 2 shown]
	s_waitcnt lgkmcnt(0)
	v_mul_f64 v[64:65], v[236:237], v[250:251]
	v_mul_f64 v[214:215], v[234:235], v[250:251]
	v_fma_f64 v[64:65], v[234:235], v[62:63], -v[64:65]
	v_fma_f64 v[214:215], v[236:237], v[62:63], v[214:215]
	v_add_f64 v[226:227], v[226:227], -v[64:65]
	v_add_f64 v[228:229], v[228:229], -v[214:215]
	v_mov_b32_e32 v64, v250
	v_mov_b32_e32 v65, v251
.LBB118_947:
	s_or_b32 exec_lo, exec_lo, s0
	v_lshl_add_u32 v214, v0, 4, v1
	s_barrier
	buffer_gl0_inv
	v_mov_b32_e32 v250, 45
	ds_write2_b64 v214, v[58:59], v[60:61] offset1:1
	s_waitcnt lgkmcnt(0)
	s_barrier
	buffer_gl0_inv
	ds_read2_b64 v[242:245], v1 offset0:90 offset1:91
	s_cmp_lt_i32 s8, 47
	s_cbranch_scc1 .LBB118_950
; %bb.948:
	v_add3_u32 v247, v246, 0, 0x2e0
	v_mov_b32_e32 v250, 45
	s_mov_b32 s0, 46
	s_inst_prefetch 0x1
	.p2align	6
.LBB118_949:                            ; =>This Inner Loop Header: Depth=1
	s_waitcnt lgkmcnt(0)
	v_cmp_gt_f64_e32 vcc_lo, 0, v[242:243]
	v_xor_b32_e32 v214, 0x80000000, v243
	ds_read2_b64 v[234:237], v247 offset1:1
	v_xor_b32_e32 v216, 0x80000000, v245
	v_add_nc_u32_e32 v247, 16, v247
	s_waitcnt lgkmcnt(0)
	v_xor_b32_e32 v218, 0x80000000, v237
	v_cndmask_b32_e32 v215, v243, v214, vcc_lo
	v_cmp_gt_f64_e32 vcc_lo, 0, v[244:245]
	v_mov_b32_e32 v214, v242
	v_cndmask_b32_e32 v217, v245, v216, vcc_lo
	v_cmp_gt_f64_e32 vcc_lo, 0, v[234:235]
	v_mov_b32_e32 v216, v244
	v_add_f64 v[214:215], v[214:215], v[216:217]
	v_xor_b32_e32 v216, 0x80000000, v235
	v_cndmask_b32_e32 v217, v235, v216, vcc_lo
	v_cmp_gt_f64_e32 vcc_lo, 0, v[236:237]
	v_mov_b32_e32 v216, v234
	v_cndmask_b32_e32 v219, v237, v218, vcc_lo
	v_mov_b32_e32 v218, v236
	v_add_f64 v[216:217], v[216:217], v[218:219]
	v_cmp_lt_f64_e32 vcc_lo, v[214:215], v[216:217]
	v_cndmask_b32_e32 v243, v243, v235, vcc_lo
	v_cndmask_b32_e32 v242, v242, v234, vcc_lo
	;; [unrolled: 1-line block ×4, first 2 shown]
	v_cndmask_b32_e64 v250, v250, s0, vcc_lo
	s_add_i32 s0, s0, 1
	s_cmp_lg_u32 s8, s0
	s_cbranch_scc1 .LBB118_949
.LBB118_950:
	s_inst_prefetch 0x2
	s_waitcnt lgkmcnt(0)
	v_cmp_eq_f64_e32 vcc_lo, 0, v[242:243]
	v_cmp_eq_f64_e64 s0, 0, v[244:245]
	s_and_b32 s0, vcc_lo, s0
	s_and_saveexec_b32 s1, s0
	s_xor_b32 s0, exec_lo, s1
; %bb.951:
	v_cmp_ne_u32_e32 vcc_lo, 0, v255
	v_cndmask_b32_e32 v255, 46, v255, vcc_lo
; %bb.952:
	s_andn2_saveexec_b32 s0, s0
	s_cbranch_execz .LBB118_958
; %bb.953:
	v_cmp_ngt_f64_e64 s1, |v[242:243]|, |v[244:245]|
	s_and_saveexec_b32 s7, s1
	s_xor_b32 s1, exec_lo, s7
	s_cbranch_execz .LBB118_955
; %bb.954:
	v_div_scale_f64 v[214:215], null, v[244:245], v[244:245], v[242:243]
	v_div_scale_f64 v[220:221], vcc_lo, v[242:243], v[244:245], v[242:243]
	v_rcp_f64_e32 v[216:217], v[214:215]
	v_fma_f64 v[218:219], -v[214:215], v[216:217], 1.0
	v_fma_f64 v[216:217], v[216:217], v[218:219], v[216:217]
	v_fma_f64 v[218:219], -v[214:215], v[216:217], 1.0
	v_fma_f64 v[216:217], v[216:217], v[218:219], v[216:217]
	v_mul_f64 v[218:219], v[220:221], v[216:217]
	v_fma_f64 v[214:215], -v[214:215], v[218:219], v[220:221]
	v_div_fmas_f64 v[214:215], v[214:215], v[216:217], v[218:219]
	v_div_fixup_f64 v[214:215], v[214:215], v[244:245], v[242:243]
	v_fma_f64 v[216:217], v[242:243], v[214:215], v[244:245]
	v_div_scale_f64 v[218:219], null, v[216:217], v[216:217], 1.0
	v_rcp_f64_e32 v[220:221], v[218:219]
	v_fma_f64 v[222:223], -v[218:219], v[220:221], 1.0
	v_fma_f64 v[220:221], v[220:221], v[222:223], v[220:221]
	v_fma_f64 v[222:223], -v[218:219], v[220:221], 1.0
	v_fma_f64 v[220:221], v[220:221], v[222:223], v[220:221]
	v_div_scale_f64 v[222:223], vcc_lo, 1.0, v[216:217], 1.0
	v_mul_f64 v[224:225], v[222:223], v[220:221]
	v_fma_f64 v[218:219], -v[218:219], v[224:225], v[222:223]
	v_div_fmas_f64 v[218:219], v[218:219], v[220:221], v[224:225]
	v_div_fixup_f64 v[244:245], v[218:219], v[216:217], 1.0
	v_mul_f64 v[242:243], v[214:215], v[244:245]
	v_xor_b32_e32 v245, 0x80000000, v245
.LBB118_955:
	s_andn2_saveexec_b32 s1, s1
	s_cbranch_execz .LBB118_957
; %bb.956:
	v_div_scale_f64 v[214:215], null, v[242:243], v[242:243], v[244:245]
	v_div_scale_f64 v[220:221], vcc_lo, v[244:245], v[242:243], v[244:245]
	v_rcp_f64_e32 v[216:217], v[214:215]
	v_fma_f64 v[218:219], -v[214:215], v[216:217], 1.0
	v_fma_f64 v[216:217], v[216:217], v[218:219], v[216:217]
	v_fma_f64 v[218:219], -v[214:215], v[216:217], 1.0
	v_fma_f64 v[216:217], v[216:217], v[218:219], v[216:217]
	v_mul_f64 v[218:219], v[220:221], v[216:217]
	v_fma_f64 v[214:215], -v[214:215], v[218:219], v[220:221]
	v_div_fmas_f64 v[214:215], v[214:215], v[216:217], v[218:219]
	v_div_fixup_f64 v[214:215], v[214:215], v[242:243], v[244:245]
	v_fma_f64 v[216:217], v[244:245], v[214:215], v[242:243]
	v_div_scale_f64 v[218:219], null, v[216:217], v[216:217], 1.0
	v_rcp_f64_e32 v[220:221], v[218:219]
	v_fma_f64 v[222:223], -v[218:219], v[220:221], 1.0
	v_fma_f64 v[220:221], v[220:221], v[222:223], v[220:221]
	v_fma_f64 v[222:223], -v[218:219], v[220:221], 1.0
	v_fma_f64 v[220:221], v[220:221], v[222:223], v[220:221]
	v_div_scale_f64 v[222:223], vcc_lo, 1.0, v[216:217], 1.0
	v_mul_f64 v[224:225], v[222:223], v[220:221]
	v_fma_f64 v[218:219], -v[218:219], v[224:225], v[222:223]
	v_div_fmas_f64 v[218:219], v[218:219], v[220:221], v[224:225]
	v_div_fixup_f64 v[242:243], v[218:219], v[216:217], 1.0
	v_mul_f64 v[244:245], v[214:215], -v[242:243]
.LBB118_957:
	s_or_b32 exec_lo, exec_lo, s1
.LBB118_958:
	s_or_b32 exec_lo, exec_lo, s0
	s_mov_b32 s0, exec_lo
	v_cmpx_ne_u32_e64 v0, v250
	s_xor_b32 s0, exec_lo, s0
	s_cbranch_execz .LBB118_964
; %bb.959:
	s_mov_b32 s1, exec_lo
	v_cmpx_eq_u32_e32 45, v0
	s_cbranch_execz .LBB118_963
; %bb.960:
	v_cmp_ne_u32_e32 vcc_lo, 45, v250
	s_xor_b32 s7, s16, -1
	s_and_b32 s9, s7, vcc_lo
	s_and_saveexec_b32 s7, s9
	s_cbranch_execz .LBB118_962
; %bb.961:
	s_clause 0x1
	buffer_load_dword v210, off, s[20:23], 0 offset:16
	buffer_load_dword v211, off, s[20:23], 0 offset:20
	v_ashrrev_i32_e32 v251, 31, v250
	v_lshlrev_b64 v[214:215], 2, v[250:251]
	s_waitcnt vmcnt(1)
	v_add_co_u32 v214, vcc_lo, v210, v214
	s_waitcnt vmcnt(0)
	v_add_co_ci_u32_e64 v215, null, v211, v215, vcc_lo
	s_clause 0x1
	global_load_dword v0, v[214:215], off
	global_load_dword v216, v[210:211], off offset:180
	s_waitcnt vmcnt(1)
	global_store_dword v[210:211], v0, off offset:180
	s_waitcnt vmcnt(0)
	global_store_dword v[214:215], v216, off
.LBB118_962:
	s_or_b32 exec_lo, exec_lo, s7
	v_mov_b32_e32 v0, v250
	v_mov_b32_e32 v253, v250
.LBB118_963:
	s_or_b32 exec_lo, exec_lo, s1
.LBB118_964:
	s_andn2_saveexec_b32 s0, s0
	s_cbranch_execz .LBB118_966
; %bb.965:
	v_mov_b32_e32 v0, 45
	ds_write2_b64 v1, v[54:55], v[56:57] offset0:92 offset1:93
	ds_write2_b64 v1, v[50:51], v[52:53] offset0:94 offset1:95
	;; [unrolled: 1-line block ×14, first 2 shown]
.LBB118_966:
	s_or_b32 exec_lo, exec_lo, s0
	s_mov_b32 s0, exec_lo
	s_waitcnt lgkmcnt(0)
	s_waitcnt_vscnt null, 0x0
	s_barrier
	buffer_gl0_inv
	v_cmpx_lt_i32_e32 45, v0
	s_cbranch_execz .LBB118_968
; %bb.967:
	v_mul_f64 v[214:215], v[242:243], v[60:61]
	v_mul_f64 v[60:61], v[244:245], v[60:61]
	ds_read2_b64 v[234:237], v1 offset0:92 offset1:93
	v_fma_f64 v[250:251], v[244:245], v[58:59], v[214:215]
	v_fma_f64 v[58:59], v[242:243], v[58:59], -v[60:61]
	s_waitcnt lgkmcnt(0)
	v_mul_f64 v[60:61], v[236:237], v[250:251]
	v_mul_f64 v[214:215], v[234:235], v[250:251]
	v_fma_f64 v[60:61], v[234:235], v[58:59], -v[60:61]
	v_fma_f64 v[214:215], v[236:237], v[58:59], v[214:215]
	ds_read2_b64 v[234:237], v1 offset0:94 offset1:95
	v_add_f64 v[54:55], v[54:55], -v[60:61]
	v_add_f64 v[56:57], v[56:57], -v[214:215]
	s_waitcnt lgkmcnt(0)
	v_mul_f64 v[60:61], v[236:237], v[250:251]
	v_mul_f64 v[214:215], v[234:235], v[250:251]
	v_fma_f64 v[60:61], v[234:235], v[58:59], -v[60:61]
	v_fma_f64 v[214:215], v[236:237], v[58:59], v[214:215]
	ds_read2_b64 v[234:237], v1 offset0:96 offset1:97
	v_add_f64 v[50:51], v[50:51], -v[60:61]
	v_add_f64 v[52:53], v[52:53], -v[214:215]
	;; [unrolled: 8-line block ×13, first 2 shown]
	s_waitcnt lgkmcnt(0)
	v_mul_f64 v[60:61], v[236:237], v[250:251]
	v_mul_f64 v[214:215], v[234:235], v[250:251]
	v_fma_f64 v[60:61], v[234:235], v[58:59], -v[60:61]
	v_fma_f64 v[214:215], v[236:237], v[58:59], v[214:215]
	v_add_f64 v[226:227], v[226:227], -v[60:61]
	v_add_f64 v[228:229], v[228:229], -v[214:215]
	v_mov_b32_e32 v60, v250
	v_mov_b32_e32 v61, v251
.LBB118_968:
	s_or_b32 exec_lo, exec_lo, s0
	v_lshl_add_u32 v214, v0, 4, v1
	s_barrier
	buffer_gl0_inv
	v_mov_b32_e32 v250, 46
	ds_write2_b64 v214, v[54:55], v[56:57] offset1:1
	s_waitcnt lgkmcnt(0)
	s_barrier
	buffer_gl0_inv
	ds_read2_b64 v[242:245], v1 offset0:92 offset1:93
	s_cmp_lt_i32 s8, 48
	s_cbranch_scc1 .LBB118_971
; %bb.969:
	v_add3_u32 v247, v246, 0, 0x2f0
	v_mov_b32_e32 v250, 46
	s_mov_b32 s0, 47
	s_inst_prefetch 0x1
	.p2align	6
.LBB118_970:                            ; =>This Inner Loop Header: Depth=1
	s_waitcnt lgkmcnt(0)
	v_cmp_gt_f64_e32 vcc_lo, 0, v[242:243]
	v_xor_b32_e32 v214, 0x80000000, v243
	ds_read2_b64 v[234:237], v247 offset1:1
	v_xor_b32_e32 v216, 0x80000000, v245
	v_add_nc_u32_e32 v247, 16, v247
	s_waitcnt lgkmcnt(0)
	v_xor_b32_e32 v218, 0x80000000, v237
	v_cndmask_b32_e32 v215, v243, v214, vcc_lo
	v_cmp_gt_f64_e32 vcc_lo, 0, v[244:245]
	v_mov_b32_e32 v214, v242
	v_cndmask_b32_e32 v217, v245, v216, vcc_lo
	v_cmp_gt_f64_e32 vcc_lo, 0, v[234:235]
	v_mov_b32_e32 v216, v244
	v_add_f64 v[214:215], v[214:215], v[216:217]
	v_xor_b32_e32 v216, 0x80000000, v235
	v_cndmask_b32_e32 v217, v235, v216, vcc_lo
	v_cmp_gt_f64_e32 vcc_lo, 0, v[236:237]
	v_mov_b32_e32 v216, v234
	v_cndmask_b32_e32 v219, v237, v218, vcc_lo
	v_mov_b32_e32 v218, v236
	v_add_f64 v[216:217], v[216:217], v[218:219]
	v_cmp_lt_f64_e32 vcc_lo, v[214:215], v[216:217]
	v_cndmask_b32_e32 v243, v243, v235, vcc_lo
	v_cndmask_b32_e32 v242, v242, v234, vcc_lo
	;; [unrolled: 1-line block ×4, first 2 shown]
	v_cndmask_b32_e64 v250, v250, s0, vcc_lo
	s_add_i32 s0, s0, 1
	s_cmp_lg_u32 s8, s0
	s_cbranch_scc1 .LBB118_970
.LBB118_971:
	s_inst_prefetch 0x2
	s_waitcnt lgkmcnt(0)
	v_cmp_eq_f64_e32 vcc_lo, 0, v[242:243]
	v_cmp_eq_f64_e64 s0, 0, v[244:245]
	s_and_b32 s0, vcc_lo, s0
	s_and_saveexec_b32 s1, s0
	s_xor_b32 s0, exec_lo, s1
; %bb.972:
	v_cmp_ne_u32_e32 vcc_lo, 0, v255
	v_cndmask_b32_e32 v255, 47, v255, vcc_lo
; %bb.973:
	s_andn2_saveexec_b32 s0, s0
	s_cbranch_execz .LBB118_979
; %bb.974:
	v_cmp_ngt_f64_e64 s1, |v[242:243]|, |v[244:245]|
	s_and_saveexec_b32 s7, s1
	s_xor_b32 s1, exec_lo, s7
	s_cbranch_execz .LBB118_976
; %bb.975:
	v_div_scale_f64 v[214:215], null, v[244:245], v[244:245], v[242:243]
	v_div_scale_f64 v[220:221], vcc_lo, v[242:243], v[244:245], v[242:243]
	v_rcp_f64_e32 v[216:217], v[214:215]
	v_fma_f64 v[218:219], -v[214:215], v[216:217], 1.0
	v_fma_f64 v[216:217], v[216:217], v[218:219], v[216:217]
	v_fma_f64 v[218:219], -v[214:215], v[216:217], 1.0
	v_fma_f64 v[216:217], v[216:217], v[218:219], v[216:217]
	v_mul_f64 v[218:219], v[220:221], v[216:217]
	v_fma_f64 v[214:215], -v[214:215], v[218:219], v[220:221]
	v_div_fmas_f64 v[214:215], v[214:215], v[216:217], v[218:219]
	v_div_fixup_f64 v[214:215], v[214:215], v[244:245], v[242:243]
	v_fma_f64 v[216:217], v[242:243], v[214:215], v[244:245]
	v_div_scale_f64 v[218:219], null, v[216:217], v[216:217], 1.0
	v_rcp_f64_e32 v[220:221], v[218:219]
	v_fma_f64 v[222:223], -v[218:219], v[220:221], 1.0
	v_fma_f64 v[220:221], v[220:221], v[222:223], v[220:221]
	v_fma_f64 v[222:223], -v[218:219], v[220:221], 1.0
	v_fma_f64 v[220:221], v[220:221], v[222:223], v[220:221]
	v_div_scale_f64 v[222:223], vcc_lo, 1.0, v[216:217], 1.0
	v_mul_f64 v[224:225], v[222:223], v[220:221]
	v_fma_f64 v[218:219], -v[218:219], v[224:225], v[222:223]
	v_div_fmas_f64 v[218:219], v[218:219], v[220:221], v[224:225]
	v_div_fixup_f64 v[244:245], v[218:219], v[216:217], 1.0
	v_mul_f64 v[242:243], v[214:215], v[244:245]
	v_xor_b32_e32 v245, 0x80000000, v245
.LBB118_976:
	s_andn2_saveexec_b32 s1, s1
	s_cbranch_execz .LBB118_978
; %bb.977:
	v_div_scale_f64 v[214:215], null, v[242:243], v[242:243], v[244:245]
	v_div_scale_f64 v[220:221], vcc_lo, v[244:245], v[242:243], v[244:245]
	v_rcp_f64_e32 v[216:217], v[214:215]
	v_fma_f64 v[218:219], -v[214:215], v[216:217], 1.0
	v_fma_f64 v[216:217], v[216:217], v[218:219], v[216:217]
	v_fma_f64 v[218:219], -v[214:215], v[216:217], 1.0
	v_fma_f64 v[216:217], v[216:217], v[218:219], v[216:217]
	v_mul_f64 v[218:219], v[220:221], v[216:217]
	v_fma_f64 v[214:215], -v[214:215], v[218:219], v[220:221]
	v_div_fmas_f64 v[214:215], v[214:215], v[216:217], v[218:219]
	v_div_fixup_f64 v[214:215], v[214:215], v[242:243], v[244:245]
	v_fma_f64 v[216:217], v[244:245], v[214:215], v[242:243]
	v_div_scale_f64 v[218:219], null, v[216:217], v[216:217], 1.0
	v_rcp_f64_e32 v[220:221], v[218:219]
	v_fma_f64 v[222:223], -v[218:219], v[220:221], 1.0
	v_fma_f64 v[220:221], v[220:221], v[222:223], v[220:221]
	v_fma_f64 v[222:223], -v[218:219], v[220:221], 1.0
	v_fma_f64 v[220:221], v[220:221], v[222:223], v[220:221]
	v_div_scale_f64 v[222:223], vcc_lo, 1.0, v[216:217], 1.0
	v_mul_f64 v[224:225], v[222:223], v[220:221]
	v_fma_f64 v[218:219], -v[218:219], v[224:225], v[222:223]
	v_div_fmas_f64 v[218:219], v[218:219], v[220:221], v[224:225]
	v_div_fixup_f64 v[242:243], v[218:219], v[216:217], 1.0
	v_mul_f64 v[244:245], v[214:215], -v[242:243]
.LBB118_978:
	s_or_b32 exec_lo, exec_lo, s1
.LBB118_979:
	s_or_b32 exec_lo, exec_lo, s0
	s_mov_b32 s0, exec_lo
	v_cmpx_ne_u32_e64 v0, v250
	s_xor_b32 s0, exec_lo, s0
	s_cbranch_execz .LBB118_985
; %bb.980:
	s_mov_b32 s1, exec_lo
	v_cmpx_eq_u32_e32 46, v0
	s_cbranch_execz .LBB118_984
; %bb.981:
	v_cmp_ne_u32_e32 vcc_lo, 46, v250
	s_xor_b32 s7, s16, -1
	s_and_b32 s9, s7, vcc_lo
	s_and_saveexec_b32 s7, s9
	s_cbranch_execz .LBB118_983
; %bb.982:
	s_clause 0x1
	buffer_load_dword v210, off, s[20:23], 0 offset:16
	buffer_load_dword v211, off, s[20:23], 0 offset:20
	v_ashrrev_i32_e32 v251, 31, v250
	v_lshlrev_b64 v[214:215], 2, v[250:251]
	s_waitcnt vmcnt(1)
	v_add_co_u32 v214, vcc_lo, v210, v214
	s_waitcnt vmcnt(0)
	v_add_co_ci_u32_e64 v215, null, v211, v215, vcc_lo
	s_clause 0x1
	global_load_dword v0, v[214:215], off
	global_load_dword v216, v[210:211], off offset:184
	s_waitcnt vmcnt(1)
	global_store_dword v[210:211], v0, off offset:184
	s_waitcnt vmcnt(0)
	global_store_dword v[214:215], v216, off
.LBB118_983:
	s_or_b32 exec_lo, exec_lo, s7
	v_mov_b32_e32 v0, v250
	v_mov_b32_e32 v253, v250
.LBB118_984:
	s_or_b32 exec_lo, exec_lo, s1
.LBB118_985:
	s_andn2_saveexec_b32 s0, s0
	s_cbranch_execz .LBB118_987
; %bb.986:
	v_mov_b32_e32 v0, 46
	ds_write2_b64 v1, v[50:51], v[52:53] offset0:94 offset1:95
	ds_write2_b64 v1, v[46:47], v[48:49] offset0:96 offset1:97
	ds_write2_b64 v1, v[42:43], v[44:45] offset0:98 offset1:99
	ds_write2_b64 v1, v[38:39], v[40:41] offset0:100 offset1:101
	ds_write2_b64 v1, v[34:35], v[36:37] offset0:102 offset1:103
	ds_write2_b64 v1, v[30:31], v[32:33] offset0:104 offset1:105
	ds_write2_b64 v1, v[26:27], v[28:29] offset0:106 offset1:107
	ds_write2_b64 v1, v[22:23], v[24:25] offset0:108 offset1:109
	ds_write2_b64 v1, v[18:19], v[20:21] offset0:110 offset1:111
	ds_write2_b64 v1, v[14:15], v[16:17] offset0:112 offset1:113
	ds_write2_b64 v1, v[10:11], v[12:13] offset0:114 offset1:115
	ds_write2_b64 v1, v[238:239], v[240:241] offset0:116 offset1:117
	ds_write2_b64 v1, v[226:227], v[228:229] offset0:118 offset1:119
.LBB118_987:
	s_or_b32 exec_lo, exec_lo, s0
	s_mov_b32 s0, exec_lo
	s_waitcnt lgkmcnt(0)
	s_waitcnt_vscnt null, 0x0
	s_barrier
	buffer_gl0_inv
	v_cmpx_lt_i32_e32 46, v0
	s_cbranch_execz .LBB118_989
; %bb.988:
	v_mul_f64 v[214:215], v[242:243], v[56:57]
	v_mul_f64 v[56:57], v[244:245], v[56:57]
	ds_read2_b64 v[234:237], v1 offset0:94 offset1:95
	v_fma_f64 v[214:215], v[244:245], v[54:55], v[214:215]
	v_fma_f64 v[54:55], v[242:243], v[54:55], -v[56:57]
	s_waitcnt lgkmcnt(0)
	v_mul_f64 v[56:57], v[236:237], v[214:215]
	v_mul_f64 v[216:217], v[234:235], v[214:215]
	v_fma_f64 v[56:57], v[234:235], v[54:55], -v[56:57]
	v_fma_f64 v[216:217], v[236:237], v[54:55], v[216:217]
	ds_read2_b64 v[234:237], v1 offset0:96 offset1:97
	v_add_f64 v[50:51], v[50:51], -v[56:57]
	v_add_f64 v[52:53], v[52:53], -v[216:217]
	s_waitcnt lgkmcnt(0)
	v_mul_f64 v[56:57], v[236:237], v[214:215]
	v_mul_f64 v[216:217], v[234:235], v[214:215]
	v_fma_f64 v[56:57], v[234:235], v[54:55], -v[56:57]
	v_fma_f64 v[216:217], v[236:237], v[54:55], v[216:217]
	ds_read2_b64 v[234:237], v1 offset0:98 offset1:99
	v_add_f64 v[46:47], v[46:47], -v[56:57]
	v_add_f64 v[48:49], v[48:49], -v[216:217]
	;; [unrolled: 8-line block ×12, first 2 shown]
	s_waitcnt lgkmcnt(0)
	v_mul_f64 v[56:57], v[236:237], v[214:215]
	v_mul_f64 v[216:217], v[234:235], v[214:215]
	v_fma_f64 v[56:57], v[234:235], v[54:55], -v[56:57]
	v_fma_f64 v[216:217], v[236:237], v[54:55], v[216:217]
	v_add_f64 v[226:227], v[226:227], -v[56:57]
	v_add_f64 v[228:229], v[228:229], -v[216:217]
	v_mov_b32_e32 v56, v214
	v_mov_b32_e32 v57, v215
.LBB118_989:
	s_or_b32 exec_lo, exec_lo, s0
	v_lshl_add_u32 v214, v0, 4, v1
	s_barrier
	buffer_gl0_inv
	v_mov_b32_e32 v250, 47
	ds_write2_b64 v214, v[50:51], v[52:53] offset1:1
	s_waitcnt lgkmcnt(0)
	s_barrier
	buffer_gl0_inv
	ds_read2_b64 v[242:245], v1 offset0:94 offset1:95
	s_cmp_lt_i32 s8, 49
	s_cbranch_scc1 .LBB118_992
; %bb.990:
	v_add3_u32 v247, v246, 0, 0x300
	v_mov_b32_e32 v250, 47
	s_mov_b32 s0, 48
	s_inst_prefetch 0x1
	.p2align	6
.LBB118_991:                            ; =>This Inner Loop Header: Depth=1
	s_waitcnt lgkmcnt(0)
	v_cmp_gt_f64_e32 vcc_lo, 0, v[242:243]
	v_xor_b32_e32 v214, 0x80000000, v243
	ds_read2_b64 v[234:237], v247 offset1:1
	v_xor_b32_e32 v216, 0x80000000, v245
	v_add_nc_u32_e32 v247, 16, v247
	s_waitcnt lgkmcnt(0)
	v_xor_b32_e32 v218, 0x80000000, v237
	v_cndmask_b32_e32 v215, v243, v214, vcc_lo
	v_cmp_gt_f64_e32 vcc_lo, 0, v[244:245]
	v_mov_b32_e32 v214, v242
	v_cndmask_b32_e32 v217, v245, v216, vcc_lo
	v_cmp_gt_f64_e32 vcc_lo, 0, v[234:235]
	v_mov_b32_e32 v216, v244
	v_add_f64 v[214:215], v[214:215], v[216:217]
	v_xor_b32_e32 v216, 0x80000000, v235
	v_cndmask_b32_e32 v217, v235, v216, vcc_lo
	v_cmp_gt_f64_e32 vcc_lo, 0, v[236:237]
	v_mov_b32_e32 v216, v234
	v_cndmask_b32_e32 v219, v237, v218, vcc_lo
	v_mov_b32_e32 v218, v236
	v_add_f64 v[216:217], v[216:217], v[218:219]
	v_cmp_lt_f64_e32 vcc_lo, v[214:215], v[216:217]
	v_cndmask_b32_e32 v243, v243, v235, vcc_lo
	v_cndmask_b32_e32 v242, v242, v234, vcc_lo
	;; [unrolled: 1-line block ×4, first 2 shown]
	v_cndmask_b32_e64 v250, v250, s0, vcc_lo
	s_add_i32 s0, s0, 1
	s_cmp_lg_u32 s8, s0
	s_cbranch_scc1 .LBB118_991
.LBB118_992:
	s_inst_prefetch 0x2
	s_waitcnt lgkmcnt(0)
	v_cmp_eq_f64_e32 vcc_lo, 0, v[242:243]
	v_cmp_eq_f64_e64 s0, 0, v[244:245]
	s_and_b32 s0, vcc_lo, s0
	s_and_saveexec_b32 s1, s0
	s_xor_b32 s0, exec_lo, s1
; %bb.993:
	v_cmp_ne_u32_e32 vcc_lo, 0, v255
	v_cndmask_b32_e32 v255, 48, v255, vcc_lo
; %bb.994:
	s_andn2_saveexec_b32 s0, s0
	s_cbranch_execz .LBB118_1000
; %bb.995:
	v_cmp_ngt_f64_e64 s1, |v[242:243]|, |v[244:245]|
	s_and_saveexec_b32 s7, s1
	s_xor_b32 s1, exec_lo, s7
	s_cbranch_execz .LBB118_997
; %bb.996:
	v_div_scale_f64 v[214:215], null, v[244:245], v[244:245], v[242:243]
	v_div_scale_f64 v[220:221], vcc_lo, v[242:243], v[244:245], v[242:243]
	v_rcp_f64_e32 v[216:217], v[214:215]
	v_fma_f64 v[218:219], -v[214:215], v[216:217], 1.0
	v_fma_f64 v[216:217], v[216:217], v[218:219], v[216:217]
	v_fma_f64 v[218:219], -v[214:215], v[216:217], 1.0
	v_fma_f64 v[216:217], v[216:217], v[218:219], v[216:217]
	v_mul_f64 v[218:219], v[220:221], v[216:217]
	v_fma_f64 v[214:215], -v[214:215], v[218:219], v[220:221]
	v_div_fmas_f64 v[214:215], v[214:215], v[216:217], v[218:219]
	v_div_fixup_f64 v[214:215], v[214:215], v[244:245], v[242:243]
	v_fma_f64 v[216:217], v[242:243], v[214:215], v[244:245]
	v_div_scale_f64 v[218:219], null, v[216:217], v[216:217], 1.0
	v_rcp_f64_e32 v[220:221], v[218:219]
	v_fma_f64 v[222:223], -v[218:219], v[220:221], 1.0
	v_fma_f64 v[220:221], v[220:221], v[222:223], v[220:221]
	v_fma_f64 v[222:223], -v[218:219], v[220:221], 1.0
	v_fma_f64 v[220:221], v[220:221], v[222:223], v[220:221]
	v_div_scale_f64 v[222:223], vcc_lo, 1.0, v[216:217], 1.0
	v_mul_f64 v[224:225], v[222:223], v[220:221]
	v_fma_f64 v[218:219], -v[218:219], v[224:225], v[222:223]
	v_div_fmas_f64 v[218:219], v[218:219], v[220:221], v[224:225]
	v_div_fixup_f64 v[244:245], v[218:219], v[216:217], 1.0
	v_mul_f64 v[242:243], v[214:215], v[244:245]
	v_xor_b32_e32 v245, 0x80000000, v245
.LBB118_997:
	s_andn2_saveexec_b32 s1, s1
	s_cbranch_execz .LBB118_999
; %bb.998:
	v_div_scale_f64 v[214:215], null, v[242:243], v[242:243], v[244:245]
	v_div_scale_f64 v[220:221], vcc_lo, v[244:245], v[242:243], v[244:245]
	v_rcp_f64_e32 v[216:217], v[214:215]
	v_fma_f64 v[218:219], -v[214:215], v[216:217], 1.0
	v_fma_f64 v[216:217], v[216:217], v[218:219], v[216:217]
	v_fma_f64 v[218:219], -v[214:215], v[216:217], 1.0
	v_fma_f64 v[216:217], v[216:217], v[218:219], v[216:217]
	v_mul_f64 v[218:219], v[220:221], v[216:217]
	v_fma_f64 v[214:215], -v[214:215], v[218:219], v[220:221]
	v_div_fmas_f64 v[214:215], v[214:215], v[216:217], v[218:219]
	v_div_fixup_f64 v[214:215], v[214:215], v[242:243], v[244:245]
	v_fma_f64 v[216:217], v[244:245], v[214:215], v[242:243]
	v_div_scale_f64 v[218:219], null, v[216:217], v[216:217], 1.0
	v_rcp_f64_e32 v[220:221], v[218:219]
	v_fma_f64 v[222:223], -v[218:219], v[220:221], 1.0
	v_fma_f64 v[220:221], v[220:221], v[222:223], v[220:221]
	v_fma_f64 v[222:223], -v[218:219], v[220:221], 1.0
	v_fma_f64 v[220:221], v[220:221], v[222:223], v[220:221]
	v_div_scale_f64 v[222:223], vcc_lo, 1.0, v[216:217], 1.0
	v_mul_f64 v[224:225], v[222:223], v[220:221]
	v_fma_f64 v[218:219], -v[218:219], v[224:225], v[222:223]
	v_div_fmas_f64 v[218:219], v[218:219], v[220:221], v[224:225]
	v_div_fixup_f64 v[242:243], v[218:219], v[216:217], 1.0
	v_mul_f64 v[244:245], v[214:215], -v[242:243]
.LBB118_999:
	s_or_b32 exec_lo, exec_lo, s1
.LBB118_1000:
	s_or_b32 exec_lo, exec_lo, s0
	s_mov_b32 s0, exec_lo
	v_cmpx_ne_u32_e64 v0, v250
	s_xor_b32 s0, exec_lo, s0
	s_cbranch_execz .LBB118_1006
; %bb.1001:
	s_mov_b32 s1, exec_lo
	v_cmpx_eq_u32_e32 47, v0
	s_cbranch_execz .LBB118_1005
; %bb.1002:
	v_cmp_ne_u32_e32 vcc_lo, 47, v250
	s_xor_b32 s7, s16, -1
	s_and_b32 s9, s7, vcc_lo
	s_and_saveexec_b32 s7, s9
	s_cbranch_execz .LBB118_1004
; %bb.1003:
	s_clause 0x1
	buffer_load_dword v210, off, s[20:23], 0 offset:16
	buffer_load_dword v211, off, s[20:23], 0 offset:20
	v_ashrrev_i32_e32 v251, 31, v250
	v_lshlrev_b64 v[214:215], 2, v[250:251]
	s_waitcnt vmcnt(1)
	v_add_co_u32 v214, vcc_lo, v210, v214
	s_waitcnt vmcnt(0)
	v_add_co_ci_u32_e64 v215, null, v211, v215, vcc_lo
	s_clause 0x1
	global_load_dword v0, v[214:215], off
	global_load_dword v216, v[210:211], off offset:188
	s_waitcnt vmcnt(1)
	global_store_dword v[210:211], v0, off offset:188
	s_waitcnt vmcnt(0)
	global_store_dword v[214:215], v216, off
.LBB118_1004:
	s_or_b32 exec_lo, exec_lo, s7
	v_mov_b32_e32 v0, v250
	v_mov_b32_e32 v253, v250
.LBB118_1005:
	s_or_b32 exec_lo, exec_lo, s1
.LBB118_1006:
	s_andn2_saveexec_b32 s0, s0
	s_cbranch_execz .LBB118_1008
; %bb.1007:
	v_mov_b32_e32 v0, 47
	ds_write2_b64 v1, v[46:47], v[48:49] offset0:96 offset1:97
	ds_write2_b64 v1, v[42:43], v[44:45] offset0:98 offset1:99
	;; [unrolled: 1-line block ×12, first 2 shown]
.LBB118_1008:
	s_or_b32 exec_lo, exec_lo, s0
	s_mov_b32 s0, exec_lo
	s_waitcnt lgkmcnt(0)
	s_waitcnt_vscnt null, 0x0
	s_barrier
	buffer_gl0_inv
	v_cmpx_lt_i32_e32 47, v0
	s_cbranch_execz .LBB118_1010
; %bb.1009:
	v_mul_f64 v[214:215], v[242:243], v[52:53]
	v_mul_f64 v[52:53], v[244:245], v[52:53]
	ds_read2_b64 v[234:237], v1 offset0:96 offset1:97
	v_fma_f64 v[214:215], v[244:245], v[50:51], v[214:215]
	v_fma_f64 v[50:51], v[242:243], v[50:51], -v[52:53]
	s_waitcnt lgkmcnt(0)
	v_mul_f64 v[52:53], v[236:237], v[214:215]
	v_mul_f64 v[216:217], v[234:235], v[214:215]
	v_fma_f64 v[52:53], v[234:235], v[50:51], -v[52:53]
	v_fma_f64 v[216:217], v[236:237], v[50:51], v[216:217]
	ds_read2_b64 v[234:237], v1 offset0:98 offset1:99
	v_add_f64 v[46:47], v[46:47], -v[52:53]
	v_add_f64 v[48:49], v[48:49], -v[216:217]
	s_waitcnt lgkmcnt(0)
	v_mul_f64 v[52:53], v[236:237], v[214:215]
	v_mul_f64 v[216:217], v[234:235], v[214:215]
	v_fma_f64 v[52:53], v[234:235], v[50:51], -v[52:53]
	v_fma_f64 v[216:217], v[236:237], v[50:51], v[216:217]
	ds_read2_b64 v[234:237], v1 offset0:100 offset1:101
	v_add_f64 v[42:43], v[42:43], -v[52:53]
	v_add_f64 v[44:45], v[44:45], -v[216:217]
	;; [unrolled: 8-line block ×11, first 2 shown]
	s_waitcnt lgkmcnt(0)
	v_mul_f64 v[52:53], v[236:237], v[214:215]
	v_mul_f64 v[216:217], v[234:235], v[214:215]
	v_fma_f64 v[52:53], v[234:235], v[50:51], -v[52:53]
	v_fma_f64 v[216:217], v[236:237], v[50:51], v[216:217]
	v_add_f64 v[226:227], v[226:227], -v[52:53]
	v_add_f64 v[228:229], v[228:229], -v[216:217]
	v_mov_b32_e32 v52, v214
	v_mov_b32_e32 v53, v215
.LBB118_1010:
	s_or_b32 exec_lo, exec_lo, s0
	v_lshl_add_u32 v214, v0, 4, v1
	s_barrier
	buffer_gl0_inv
	v_mov_b32_e32 v250, 48
	ds_write2_b64 v214, v[46:47], v[48:49] offset1:1
	s_waitcnt lgkmcnt(0)
	s_barrier
	buffer_gl0_inv
	ds_read2_b64 v[242:245], v1 offset0:96 offset1:97
	s_cmp_lt_i32 s8, 50
	s_cbranch_scc1 .LBB118_1013
; %bb.1011:
	v_add3_u32 v247, v246, 0, 0x310
	v_mov_b32_e32 v250, 48
	s_mov_b32 s0, 49
	s_inst_prefetch 0x1
	.p2align	6
.LBB118_1012:                           ; =>This Inner Loop Header: Depth=1
	s_waitcnt lgkmcnt(0)
	v_cmp_gt_f64_e32 vcc_lo, 0, v[242:243]
	v_xor_b32_e32 v214, 0x80000000, v243
	ds_read2_b64 v[234:237], v247 offset1:1
	v_xor_b32_e32 v216, 0x80000000, v245
	v_add_nc_u32_e32 v247, 16, v247
	s_waitcnt lgkmcnt(0)
	v_xor_b32_e32 v218, 0x80000000, v237
	v_cndmask_b32_e32 v215, v243, v214, vcc_lo
	v_cmp_gt_f64_e32 vcc_lo, 0, v[244:245]
	v_mov_b32_e32 v214, v242
	v_cndmask_b32_e32 v217, v245, v216, vcc_lo
	v_cmp_gt_f64_e32 vcc_lo, 0, v[234:235]
	v_mov_b32_e32 v216, v244
	v_add_f64 v[214:215], v[214:215], v[216:217]
	v_xor_b32_e32 v216, 0x80000000, v235
	v_cndmask_b32_e32 v217, v235, v216, vcc_lo
	v_cmp_gt_f64_e32 vcc_lo, 0, v[236:237]
	v_mov_b32_e32 v216, v234
	v_cndmask_b32_e32 v219, v237, v218, vcc_lo
	v_mov_b32_e32 v218, v236
	v_add_f64 v[216:217], v[216:217], v[218:219]
	v_cmp_lt_f64_e32 vcc_lo, v[214:215], v[216:217]
	v_cndmask_b32_e32 v243, v243, v235, vcc_lo
	v_cndmask_b32_e32 v242, v242, v234, vcc_lo
	v_cndmask_b32_e32 v245, v245, v237, vcc_lo
	v_cndmask_b32_e32 v244, v244, v236, vcc_lo
	v_cndmask_b32_e64 v250, v250, s0, vcc_lo
	s_add_i32 s0, s0, 1
	s_cmp_lg_u32 s8, s0
	s_cbranch_scc1 .LBB118_1012
.LBB118_1013:
	s_inst_prefetch 0x2
	s_waitcnt lgkmcnt(0)
	v_cmp_eq_f64_e32 vcc_lo, 0, v[242:243]
	v_cmp_eq_f64_e64 s0, 0, v[244:245]
	s_and_b32 s0, vcc_lo, s0
	s_and_saveexec_b32 s1, s0
	s_xor_b32 s0, exec_lo, s1
; %bb.1014:
	v_cmp_ne_u32_e32 vcc_lo, 0, v255
	v_cndmask_b32_e32 v255, 49, v255, vcc_lo
; %bb.1015:
	s_andn2_saveexec_b32 s0, s0
	s_cbranch_execz .LBB118_1021
; %bb.1016:
	v_cmp_ngt_f64_e64 s1, |v[242:243]|, |v[244:245]|
	s_and_saveexec_b32 s7, s1
	s_xor_b32 s1, exec_lo, s7
	s_cbranch_execz .LBB118_1018
; %bb.1017:
	v_div_scale_f64 v[214:215], null, v[244:245], v[244:245], v[242:243]
	v_div_scale_f64 v[220:221], vcc_lo, v[242:243], v[244:245], v[242:243]
	v_rcp_f64_e32 v[216:217], v[214:215]
	v_fma_f64 v[218:219], -v[214:215], v[216:217], 1.0
	v_fma_f64 v[216:217], v[216:217], v[218:219], v[216:217]
	v_fma_f64 v[218:219], -v[214:215], v[216:217], 1.0
	v_fma_f64 v[216:217], v[216:217], v[218:219], v[216:217]
	v_mul_f64 v[218:219], v[220:221], v[216:217]
	v_fma_f64 v[214:215], -v[214:215], v[218:219], v[220:221]
	v_div_fmas_f64 v[214:215], v[214:215], v[216:217], v[218:219]
	v_div_fixup_f64 v[214:215], v[214:215], v[244:245], v[242:243]
	v_fma_f64 v[216:217], v[242:243], v[214:215], v[244:245]
	v_div_scale_f64 v[218:219], null, v[216:217], v[216:217], 1.0
	v_rcp_f64_e32 v[220:221], v[218:219]
	v_fma_f64 v[222:223], -v[218:219], v[220:221], 1.0
	v_fma_f64 v[220:221], v[220:221], v[222:223], v[220:221]
	v_fma_f64 v[222:223], -v[218:219], v[220:221], 1.0
	v_fma_f64 v[220:221], v[220:221], v[222:223], v[220:221]
	v_div_scale_f64 v[222:223], vcc_lo, 1.0, v[216:217], 1.0
	v_mul_f64 v[224:225], v[222:223], v[220:221]
	v_fma_f64 v[218:219], -v[218:219], v[224:225], v[222:223]
	v_div_fmas_f64 v[218:219], v[218:219], v[220:221], v[224:225]
	v_div_fixup_f64 v[244:245], v[218:219], v[216:217], 1.0
	v_mul_f64 v[242:243], v[214:215], v[244:245]
	v_xor_b32_e32 v245, 0x80000000, v245
.LBB118_1018:
	s_andn2_saveexec_b32 s1, s1
	s_cbranch_execz .LBB118_1020
; %bb.1019:
	v_div_scale_f64 v[214:215], null, v[242:243], v[242:243], v[244:245]
	v_div_scale_f64 v[220:221], vcc_lo, v[244:245], v[242:243], v[244:245]
	v_rcp_f64_e32 v[216:217], v[214:215]
	v_fma_f64 v[218:219], -v[214:215], v[216:217], 1.0
	v_fma_f64 v[216:217], v[216:217], v[218:219], v[216:217]
	v_fma_f64 v[218:219], -v[214:215], v[216:217], 1.0
	v_fma_f64 v[216:217], v[216:217], v[218:219], v[216:217]
	v_mul_f64 v[218:219], v[220:221], v[216:217]
	v_fma_f64 v[214:215], -v[214:215], v[218:219], v[220:221]
	v_div_fmas_f64 v[214:215], v[214:215], v[216:217], v[218:219]
	v_div_fixup_f64 v[214:215], v[214:215], v[242:243], v[244:245]
	v_fma_f64 v[216:217], v[244:245], v[214:215], v[242:243]
	v_div_scale_f64 v[218:219], null, v[216:217], v[216:217], 1.0
	v_rcp_f64_e32 v[220:221], v[218:219]
	v_fma_f64 v[222:223], -v[218:219], v[220:221], 1.0
	v_fma_f64 v[220:221], v[220:221], v[222:223], v[220:221]
	v_fma_f64 v[222:223], -v[218:219], v[220:221], 1.0
	v_fma_f64 v[220:221], v[220:221], v[222:223], v[220:221]
	v_div_scale_f64 v[222:223], vcc_lo, 1.0, v[216:217], 1.0
	v_mul_f64 v[224:225], v[222:223], v[220:221]
	v_fma_f64 v[218:219], -v[218:219], v[224:225], v[222:223]
	v_div_fmas_f64 v[218:219], v[218:219], v[220:221], v[224:225]
	v_div_fixup_f64 v[242:243], v[218:219], v[216:217], 1.0
	v_mul_f64 v[244:245], v[214:215], -v[242:243]
.LBB118_1020:
	s_or_b32 exec_lo, exec_lo, s1
.LBB118_1021:
	s_or_b32 exec_lo, exec_lo, s0
	s_mov_b32 s0, exec_lo
	v_cmpx_ne_u32_e64 v0, v250
	s_xor_b32 s0, exec_lo, s0
	s_cbranch_execz .LBB118_1027
; %bb.1022:
	s_mov_b32 s1, exec_lo
	v_cmpx_eq_u32_e32 48, v0
	s_cbranch_execz .LBB118_1026
; %bb.1023:
	v_cmp_ne_u32_e32 vcc_lo, 48, v250
	s_xor_b32 s7, s16, -1
	s_and_b32 s9, s7, vcc_lo
	s_and_saveexec_b32 s7, s9
	s_cbranch_execz .LBB118_1025
; %bb.1024:
	s_clause 0x1
	buffer_load_dword v210, off, s[20:23], 0 offset:16
	buffer_load_dword v211, off, s[20:23], 0 offset:20
	v_ashrrev_i32_e32 v251, 31, v250
	v_lshlrev_b64 v[214:215], 2, v[250:251]
	s_waitcnt vmcnt(1)
	v_add_co_u32 v214, vcc_lo, v210, v214
	s_waitcnt vmcnt(0)
	v_add_co_ci_u32_e64 v215, null, v211, v215, vcc_lo
	s_clause 0x1
	global_load_dword v0, v[214:215], off
	global_load_dword v216, v[210:211], off offset:192
	s_waitcnt vmcnt(1)
	global_store_dword v[210:211], v0, off offset:192
	s_waitcnt vmcnt(0)
	global_store_dword v[214:215], v216, off
.LBB118_1025:
	s_or_b32 exec_lo, exec_lo, s7
	v_mov_b32_e32 v0, v250
	v_mov_b32_e32 v253, v250
.LBB118_1026:
	s_or_b32 exec_lo, exec_lo, s1
.LBB118_1027:
	s_andn2_saveexec_b32 s0, s0
	s_cbranch_execz .LBB118_1029
; %bb.1028:
	v_mov_b32_e32 v0, 48
	ds_write2_b64 v1, v[42:43], v[44:45] offset0:98 offset1:99
	ds_write2_b64 v1, v[38:39], v[40:41] offset0:100 offset1:101
	;; [unrolled: 1-line block ×11, first 2 shown]
.LBB118_1029:
	s_or_b32 exec_lo, exec_lo, s0
	s_mov_b32 s0, exec_lo
	s_waitcnt lgkmcnt(0)
	s_waitcnt_vscnt null, 0x0
	s_barrier
	buffer_gl0_inv
	v_cmpx_lt_i32_e32 48, v0
	s_cbranch_execz .LBB118_1031
; %bb.1030:
	v_mul_f64 v[214:215], v[242:243], v[48:49]
	v_mul_f64 v[48:49], v[244:245], v[48:49]
	ds_read2_b64 v[234:237], v1 offset0:98 offset1:99
	v_fma_f64 v[214:215], v[244:245], v[46:47], v[214:215]
	v_fma_f64 v[46:47], v[242:243], v[46:47], -v[48:49]
	s_waitcnt lgkmcnt(0)
	v_mul_f64 v[48:49], v[236:237], v[214:215]
	v_mul_f64 v[216:217], v[234:235], v[214:215]
	v_fma_f64 v[48:49], v[234:235], v[46:47], -v[48:49]
	v_fma_f64 v[216:217], v[236:237], v[46:47], v[216:217]
	ds_read2_b64 v[234:237], v1 offset0:100 offset1:101
	v_add_f64 v[42:43], v[42:43], -v[48:49]
	v_add_f64 v[44:45], v[44:45], -v[216:217]
	s_waitcnt lgkmcnt(0)
	v_mul_f64 v[48:49], v[236:237], v[214:215]
	v_mul_f64 v[216:217], v[234:235], v[214:215]
	v_fma_f64 v[48:49], v[234:235], v[46:47], -v[48:49]
	v_fma_f64 v[216:217], v[236:237], v[46:47], v[216:217]
	ds_read2_b64 v[234:237], v1 offset0:102 offset1:103
	v_add_f64 v[38:39], v[38:39], -v[48:49]
	v_add_f64 v[40:41], v[40:41], -v[216:217]
	s_waitcnt lgkmcnt(0)
	v_mul_f64 v[48:49], v[236:237], v[214:215]
	v_mul_f64 v[216:217], v[234:235], v[214:215]
	v_fma_f64 v[48:49], v[234:235], v[46:47], -v[48:49]
	v_fma_f64 v[216:217], v[236:237], v[46:47], v[216:217]
	ds_read2_b64 v[234:237], v1 offset0:104 offset1:105
	v_add_f64 v[34:35], v[34:35], -v[48:49]
	v_add_f64 v[36:37], v[36:37], -v[216:217]
	s_waitcnt lgkmcnt(0)
	v_mul_f64 v[48:49], v[236:237], v[214:215]
	v_mul_f64 v[216:217], v[234:235], v[214:215]
	v_fma_f64 v[48:49], v[234:235], v[46:47], -v[48:49]
	v_fma_f64 v[216:217], v[236:237], v[46:47], v[216:217]
	ds_read2_b64 v[234:237], v1 offset0:106 offset1:107
	v_add_f64 v[30:31], v[30:31], -v[48:49]
	v_add_f64 v[32:33], v[32:33], -v[216:217]
	s_waitcnt lgkmcnt(0)
	v_mul_f64 v[48:49], v[236:237], v[214:215]
	v_mul_f64 v[216:217], v[234:235], v[214:215]
	v_fma_f64 v[48:49], v[234:235], v[46:47], -v[48:49]
	v_fma_f64 v[216:217], v[236:237], v[46:47], v[216:217]
	ds_read2_b64 v[234:237], v1 offset0:108 offset1:109
	v_add_f64 v[26:27], v[26:27], -v[48:49]
	v_add_f64 v[28:29], v[28:29], -v[216:217]
	s_waitcnt lgkmcnt(0)
	v_mul_f64 v[48:49], v[236:237], v[214:215]
	v_mul_f64 v[216:217], v[234:235], v[214:215]
	v_fma_f64 v[48:49], v[234:235], v[46:47], -v[48:49]
	v_fma_f64 v[216:217], v[236:237], v[46:47], v[216:217]
	ds_read2_b64 v[234:237], v1 offset0:110 offset1:111
	v_add_f64 v[22:23], v[22:23], -v[48:49]
	v_add_f64 v[24:25], v[24:25], -v[216:217]
	s_waitcnt lgkmcnt(0)
	v_mul_f64 v[48:49], v[236:237], v[214:215]
	v_mul_f64 v[216:217], v[234:235], v[214:215]
	v_fma_f64 v[48:49], v[234:235], v[46:47], -v[48:49]
	v_fma_f64 v[216:217], v[236:237], v[46:47], v[216:217]
	ds_read2_b64 v[234:237], v1 offset0:112 offset1:113
	v_add_f64 v[18:19], v[18:19], -v[48:49]
	v_add_f64 v[20:21], v[20:21], -v[216:217]
	s_waitcnt lgkmcnt(0)
	v_mul_f64 v[48:49], v[236:237], v[214:215]
	v_mul_f64 v[216:217], v[234:235], v[214:215]
	v_fma_f64 v[48:49], v[234:235], v[46:47], -v[48:49]
	v_fma_f64 v[216:217], v[236:237], v[46:47], v[216:217]
	ds_read2_b64 v[234:237], v1 offset0:114 offset1:115
	v_add_f64 v[14:15], v[14:15], -v[48:49]
	v_add_f64 v[16:17], v[16:17], -v[216:217]
	s_waitcnt lgkmcnt(0)
	v_mul_f64 v[48:49], v[236:237], v[214:215]
	v_mul_f64 v[216:217], v[234:235], v[214:215]
	v_fma_f64 v[48:49], v[234:235], v[46:47], -v[48:49]
	v_fma_f64 v[216:217], v[236:237], v[46:47], v[216:217]
	ds_read2_b64 v[234:237], v1 offset0:116 offset1:117
	v_add_f64 v[10:11], v[10:11], -v[48:49]
	v_add_f64 v[12:13], v[12:13], -v[216:217]
	s_waitcnt lgkmcnt(0)
	v_mul_f64 v[48:49], v[236:237], v[214:215]
	v_mul_f64 v[216:217], v[234:235], v[214:215]
	v_fma_f64 v[48:49], v[234:235], v[46:47], -v[48:49]
	v_fma_f64 v[216:217], v[236:237], v[46:47], v[216:217]
	ds_read2_b64 v[234:237], v1 offset0:118 offset1:119
	v_add_f64 v[238:239], v[238:239], -v[48:49]
	v_add_f64 v[240:241], v[240:241], -v[216:217]
	s_waitcnt lgkmcnt(0)
	v_mul_f64 v[48:49], v[236:237], v[214:215]
	v_mul_f64 v[216:217], v[234:235], v[214:215]
	v_fma_f64 v[48:49], v[234:235], v[46:47], -v[48:49]
	v_fma_f64 v[216:217], v[236:237], v[46:47], v[216:217]
	v_add_f64 v[226:227], v[226:227], -v[48:49]
	v_add_f64 v[228:229], v[228:229], -v[216:217]
	v_mov_b32_e32 v48, v214
	v_mov_b32_e32 v49, v215
.LBB118_1031:
	s_or_b32 exec_lo, exec_lo, s0
	v_lshl_add_u32 v214, v0, 4, v1
	s_barrier
	buffer_gl0_inv
	v_mov_b32_e32 v250, 49
	ds_write2_b64 v214, v[42:43], v[44:45] offset1:1
	s_waitcnt lgkmcnt(0)
	s_barrier
	buffer_gl0_inv
	ds_read2_b64 v[242:245], v1 offset0:98 offset1:99
	s_cmp_lt_i32 s8, 51
	s_cbranch_scc1 .LBB118_1034
; %bb.1032:
	v_add3_u32 v247, v246, 0, 0x320
	v_mov_b32_e32 v250, 49
	s_mov_b32 s0, 50
	s_inst_prefetch 0x1
	.p2align	6
.LBB118_1033:                           ; =>This Inner Loop Header: Depth=1
	s_waitcnt lgkmcnt(0)
	v_cmp_gt_f64_e32 vcc_lo, 0, v[242:243]
	v_xor_b32_e32 v214, 0x80000000, v243
	ds_read2_b64 v[234:237], v247 offset1:1
	v_xor_b32_e32 v216, 0x80000000, v245
	v_add_nc_u32_e32 v247, 16, v247
	s_waitcnt lgkmcnt(0)
	v_xor_b32_e32 v218, 0x80000000, v237
	v_cndmask_b32_e32 v215, v243, v214, vcc_lo
	v_cmp_gt_f64_e32 vcc_lo, 0, v[244:245]
	v_mov_b32_e32 v214, v242
	v_cndmask_b32_e32 v217, v245, v216, vcc_lo
	v_cmp_gt_f64_e32 vcc_lo, 0, v[234:235]
	v_mov_b32_e32 v216, v244
	v_add_f64 v[214:215], v[214:215], v[216:217]
	v_xor_b32_e32 v216, 0x80000000, v235
	v_cndmask_b32_e32 v217, v235, v216, vcc_lo
	v_cmp_gt_f64_e32 vcc_lo, 0, v[236:237]
	v_mov_b32_e32 v216, v234
	v_cndmask_b32_e32 v219, v237, v218, vcc_lo
	v_mov_b32_e32 v218, v236
	v_add_f64 v[216:217], v[216:217], v[218:219]
	v_cmp_lt_f64_e32 vcc_lo, v[214:215], v[216:217]
	v_cndmask_b32_e32 v243, v243, v235, vcc_lo
	v_cndmask_b32_e32 v242, v242, v234, vcc_lo
	;; [unrolled: 1-line block ×4, first 2 shown]
	v_cndmask_b32_e64 v250, v250, s0, vcc_lo
	s_add_i32 s0, s0, 1
	s_cmp_lg_u32 s8, s0
	s_cbranch_scc1 .LBB118_1033
.LBB118_1034:
	s_inst_prefetch 0x2
	s_waitcnt lgkmcnt(0)
	v_cmp_eq_f64_e32 vcc_lo, 0, v[242:243]
	v_cmp_eq_f64_e64 s0, 0, v[244:245]
	s_and_b32 s0, vcc_lo, s0
	s_and_saveexec_b32 s1, s0
	s_xor_b32 s0, exec_lo, s1
; %bb.1035:
	v_cmp_ne_u32_e32 vcc_lo, 0, v255
	v_cndmask_b32_e32 v255, 50, v255, vcc_lo
; %bb.1036:
	s_andn2_saveexec_b32 s0, s0
	s_cbranch_execz .LBB118_1042
; %bb.1037:
	v_cmp_ngt_f64_e64 s1, |v[242:243]|, |v[244:245]|
	s_and_saveexec_b32 s7, s1
	s_xor_b32 s1, exec_lo, s7
	s_cbranch_execz .LBB118_1039
; %bb.1038:
	v_div_scale_f64 v[214:215], null, v[244:245], v[244:245], v[242:243]
	v_div_scale_f64 v[220:221], vcc_lo, v[242:243], v[244:245], v[242:243]
	v_rcp_f64_e32 v[216:217], v[214:215]
	v_fma_f64 v[218:219], -v[214:215], v[216:217], 1.0
	v_fma_f64 v[216:217], v[216:217], v[218:219], v[216:217]
	v_fma_f64 v[218:219], -v[214:215], v[216:217], 1.0
	v_fma_f64 v[216:217], v[216:217], v[218:219], v[216:217]
	v_mul_f64 v[218:219], v[220:221], v[216:217]
	v_fma_f64 v[214:215], -v[214:215], v[218:219], v[220:221]
	v_div_fmas_f64 v[214:215], v[214:215], v[216:217], v[218:219]
	v_div_fixup_f64 v[214:215], v[214:215], v[244:245], v[242:243]
	v_fma_f64 v[216:217], v[242:243], v[214:215], v[244:245]
	v_div_scale_f64 v[218:219], null, v[216:217], v[216:217], 1.0
	v_rcp_f64_e32 v[220:221], v[218:219]
	v_fma_f64 v[222:223], -v[218:219], v[220:221], 1.0
	v_fma_f64 v[220:221], v[220:221], v[222:223], v[220:221]
	v_fma_f64 v[222:223], -v[218:219], v[220:221], 1.0
	v_fma_f64 v[220:221], v[220:221], v[222:223], v[220:221]
	v_div_scale_f64 v[222:223], vcc_lo, 1.0, v[216:217], 1.0
	v_mul_f64 v[224:225], v[222:223], v[220:221]
	v_fma_f64 v[218:219], -v[218:219], v[224:225], v[222:223]
	v_div_fmas_f64 v[218:219], v[218:219], v[220:221], v[224:225]
	v_div_fixup_f64 v[244:245], v[218:219], v[216:217], 1.0
	v_mul_f64 v[242:243], v[214:215], v[244:245]
	v_xor_b32_e32 v245, 0x80000000, v245
.LBB118_1039:
	s_andn2_saveexec_b32 s1, s1
	s_cbranch_execz .LBB118_1041
; %bb.1040:
	v_div_scale_f64 v[214:215], null, v[242:243], v[242:243], v[244:245]
	v_div_scale_f64 v[220:221], vcc_lo, v[244:245], v[242:243], v[244:245]
	v_rcp_f64_e32 v[216:217], v[214:215]
	v_fma_f64 v[218:219], -v[214:215], v[216:217], 1.0
	v_fma_f64 v[216:217], v[216:217], v[218:219], v[216:217]
	v_fma_f64 v[218:219], -v[214:215], v[216:217], 1.0
	v_fma_f64 v[216:217], v[216:217], v[218:219], v[216:217]
	v_mul_f64 v[218:219], v[220:221], v[216:217]
	v_fma_f64 v[214:215], -v[214:215], v[218:219], v[220:221]
	v_div_fmas_f64 v[214:215], v[214:215], v[216:217], v[218:219]
	v_div_fixup_f64 v[214:215], v[214:215], v[242:243], v[244:245]
	v_fma_f64 v[216:217], v[244:245], v[214:215], v[242:243]
	v_div_scale_f64 v[218:219], null, v[216:217], v[216:217], 1.0
	v_rcp_f64_e32 v[220:221], v[218:219]
	v_fma_f64 v[222:223], -v[218:219], v[220:221], 1.0
	v_fma_f64 v[220:221], v[220:221], v[222:223], v[220:221]
	v_fma_f64 v[222:223], -v[218:219], v[220:221], 1.0
	v_fma_f64 v[220:221], v[220:221], v[222:223], v[220:221]
	v_div_scale_f64 v[222:223], vcc_lo, 1.0, v[216:217], 1.0
	v_mul_f64 v[224:225], v[222:223], v[220:221]
	v_fma_f64 v[218:219], -v[218:219], v[224:225], v[222:223]
	v_div_fmas_f64 v[218:219], v[218:219], v[220:221], v[224:225]
	v_div_fixup_f64 v[242:243], v[218:219], v[216:217], 1.0
	v_mul_f64 v[244:245], v[214:215], -v[242:243]
.LBB118_1041:
	s_or_b32 exec_lo, exec_lo, s1
.LBB118_1042:
	s_or_b32 exec_lo, exec_lo, s0
	s_mov_b32 s0, exec_lo
	v_cmpx_ne_u32_e64 v0, v250
	s_xor_b32 s0, exec_lo, s0
	s_cbranch_execz .LBB118_1048
; %bb.1043:
	s_mov_b32 s1, exec_lo
	v_cmpx_eq_u32_e32 49, v0
	s_cbranch_execz .LBB118_1047
; %bb.1044:
	v_cmp_ne_u32_e32 vcc_lo, 49, v250
	s_xor_b32 s7, s16, -1
	s_and_b32 s9, s7, vcc_lo
	s_and_saveexec_b32 s7, s9
	s_cbranch_execz .LBB118_1046
; %bb.1045:
	s_clause 0x1
	buffer_load_dword v210, off, s[20:23], 0 offset:16
	buffer_load_dword v211, off, s[20:23], 0 offset:20
	v_ashrrev_i32_e32 v251, 31, v250
	v_lshlrev_b64 v[214:215], 2, v[250:251]
	s_waitcnt vmcnt(1)
	v_add_co_u32 v214, vcc_lo, v210, v214
	s_waitcnt vmcnt(0)
	v_add_co_ci_u32_e64 v215, null, v211, v215, vcc_lo
	s_clause 0x1
	global_load_dword v0, v[214:215], off
	global_load_dword v216, v[210:211], off offset:196
	s_waitcnt vmcnt(1)
	global_store_dword v[210:211], v0, off offset:196
	s_waitcnt vmcnt(0)
	global_store_dword v[214:215], v216, off
.LBB118_1046:
	s_or_b32 exec_lo, exec_lo, s7
	v_mov_b32_e32 v0, v250
	v_mov_b32_e32 v253, v250
.LBB118_1047:
	s_or_b32 exec_lo, exec_lo, s1
.LBB118_1048:
	s_andn2_saveexec_b32 s0, s0
	s_cbranch_execz .LBB118_1050
; %bb.1049:
	v_mov_b32_e32 v0, 49
	ds_write2_b64 v1, v[38:39], v[40:41] offset0:100 offset1:101
	ds_write2_b64 v1, v[34:35], v[36:37] offset0:102 offset1:103
	;; [unrolled: 1-line block ×10, first 2 shown]
.LBB118_1050:
	s_or_b32 exec_lo, exec_lo, s0
	s_mov_b32 s0, exec_lo
	s_waitcnt lgkmcnt(0)
	s_waitcnt_vscnt null, 0x0
	s_barrier
	buffer_gl0_inv
	v_cmpx_lt_i32_e32 49, v0
	s_cbranch_execz .LBB118_1052
; %bb.1051:
	v_mul_f64 v[214:215], v[242:243], v[44:45]
	v_mul_f64 v[44:45], v[244:245], v[44:45]
	ds_read2_b64 v[234:237], v1 offset0:100 offset1:101
	v_fma_f64 v[214:215], v[244:245], v[42:43], v[214:215]
	v_fma_f64 v[42:43], v[242:243], v[42:43], -v[44:45]
	s_waitcnt lgkmcnt(0)
	v_mul_f64 v[44:45], v[236:237], v[214:215]
	v_mul_f64 v[216:217], v[234:235], v[214:215]
	v_fma_f64 v[44:45], v[234:235], v[42:43], -v[44:45]
	v_fma_f64 v[216:217], v[236:237], v[42:43], v[216:217]
	ds_read2_b64 v[234:237], v1 offset0:102 offset1:103
	v_add_f64 v[38:39], v[38:39], -v[44:45]
	v_add_f64 v[40:41], v[40:41], -v[216:217]
	s_waitcnt lgkmcnt(0)
	v_mul_f64 v[44:45], v[236:237], v[214:215]
	v_mul_f64 v[216:217], v[234:235], v[214:215]
	v_fma_f64 v[44:45], v[234:235], v[42:43], -v[44:45]
	v_fma_f64 v[216:217], v[236:237], v[42:43], v[216:217]
	ds_read2_b64 v[234:237], v1 offset0:104 offset1:105
	v_add_f64 v[34:35], v[34:35], -v[44:45]
	v_add_f64 v[36:37], v[36:37], -v[216:217]
	;; [unrolled: 8-line block ×9, first 2 shown]
	s_waitcnt lgkmcnt(0)
	v_mul_f64 v[44:45], v[236:237], v[214:215]
	v_mul_f64 v[216:217], v[234:235], v[214:215]
	v_fma_f64 v[44:45], v[234:235], v[42:43], -v[44:45]
	v_fma_f64 v[216:217], v[236:237], v[42:43], v[216:217]
	v_add_f64 v[226:227], v[226:227], -v[44:45]
	v_add_f64 v[228:229], v[228:229], -v[216:217]
	v_mov_b32_e32 v44, v214
	v_mov_b32_e32 v45, v215
.LBB118_1052:
	s_or_b32 exec_lo, exec_lo, s0
	v_lshl_add_u32 v214, v0, 4, v1
	s_barrier
	buffer_gl0_inv
	v_mov_b32_e32 v250, 50
	ds_write2_b64 v214, v[38:39], v[40:41] offset1:1
	s_waitcnt lgkmcnt(0)
	s_barrier
	buffer_gl0_inv
	ds_read2_b64 v[242:245], v1 offset0:100 offset1:101
	s_cmp_lt_i32 s8, 52
	s_cbranch_scc1 .LBB118_1055
; %bb.1053:
	v_add3_u32 v247, v246, 0, 0x330
	v_mov_b32_e32 v250, 50
	s_mov_b32 s0, 51
	s_inst_prefetch 0x1
	.p2align	6
.LBB118_1054:                           ; =>This Inner Loop Header: Depth=1
	s_waitcnt lgkmcnt(0)
	v_cmp_gt_f64_e32 vcc_lo, 0, v[242:243]
	v_xor_b32_e32 v214, 0x80000000, v243
	ds_read2_b64 v[234:237], v247 offset1:1
	v_xor_b32_e32 v216, 0x80000000, v245
	v_add_nc_u32_e32 v247, 16, v247
	s_waitcnt lgkmcnt(0)
	v_xor_b32_e32 v218, 0x80000000, v237
	v_cndmask_b32_e32 v215, v243, v214, vcc_lo
	v_cmp_gt_f64_e32 vcc_lo, 0, v[244:245]
	v_mov_b32_e32 v214, v242
	v_cndmask_b32_e32 v217, v245, v216, vcc_lo
	v_cmp_gt_f64_e32 vcc_lo, 0, v[234:235]
	v_mov_b32_e32 v216, v244
	v_add_f64 v[214:215], v[214:215], v[216:217]
	v_xor_b32_e32 v216, 0x80000000, v235
	v_cndmask_b32_e32 v217, v235, v216, vcc_lo
	v_cmp_gt_f64_e32 vcc_lo, 0, v[236:237]
	v_mov_b32_e32 v216, v234
	v_cndmask_b32_e32 v219, v237, v218, vcc_lo
	v_mov_b32_e32 v218, v236
	v_add_f64 v[216:217], v[216:217], v[218:219]
	v_cmp_lt_f64_e32 vcc_lo, v[214:215], v[216:217]
	v_cndmask_b32_e32 v243, v243, v235, vcc_lo
	v_cndmask_b32_e32 v242, v242, v234, vcc_lo
	;; [unrolled: 1-line block ×4, first 2 shown]
	v_cndmask_b32_e64 v250, v250, s0, vcc_lo
	s_add_i32 s0, s0, 1
	s_cmp_lg_u32 s8, s0
	s_cbranch_scc1 .LBB118_1054
.LBB118_1055:
	s_inst_prefetch 0x2
	s_waitcnt lgkmcnt(0)
	v_cmp_eq_f64_e32 vcc_lo, 0, v[242:243]
	v_cmp_eq_f64_e64 s0, 0, v[244:245]
	s_and_b32 s0, vcc_lo, s0
	s_and_saveexec_b32 s1, s0
	s_xor_b32 s0, exec_lo, s1
; %bb.1056:
	v_cmp_ne_u32_e32 vcc_lo, 0, v255
	v_cndmask_b32_e32 v255, 51, v255, vcc_lo
; %bb.1057:
	s_andn2_saveexec_b32 s0, s0
	s_cbranch_execz .LBB118_1063
; %bb.1058:
	v_cmp_ngt_f64_e64 s1, |v[242:243]|, |v[244:245]|
	s_and_saveexec_b32 s7, s1
	s_xor_b32 s1, exec_lo, s7
	s_cbranch_execz .LBB118_1060
; %bb.1059:
	v_div_scale_f64 v[214:215], null, v[244:245], v[244:245], v[242:243]
	v_div_scale_f64 v[220:221], vcc_lo, v[242:243], v[244:245], v[242:243]
	v_rcp_f64_e32 v[216:217], v[214:215]
	v_fma_f64 v[218:219], -v[214:215], v[216:217], 1.0
	v_fma_f64 v[216:217], v[216:217], v[218:219], v[216:217]
	v_fma_f64 v[218:219], -v[214:215], v[216:217], 1.0
	v_fma_f64 v[216:217], v[216:217], v[218:219], v[216:217]
	v_mul_f64 v[218:219], v[220:221], v[216:217]
	v_fma_f64 v[214:215], -v[214:215], v[218:219], v[220:221]
	v_div_fmas_f64 v[214:215], v[214:215], v[216:217], v[218:219]
	v_div_fixup_f64 v[214:215], v[214:215], v[244:245], v[242:243]
	v_fma_f64 v[216:217], v[242:243], v[214:215], v[244:245]
	v_div_scale_f64 v[218:219], null, v[216:217], v[216:217], 1.0
	v_rcp_f64_e32 v[220:221], v[218:219]
	v_fma_f64 v[222:223], -v[218:219], v[220:221], 1.0
	v_fma_f64 v[220:221], v[220:221], v[222:223], v[220:221]
	v_fma_f64 v[222:223], -v[218:219], v[220:221], 1.0
	v_fma_f64 v[220:221], v[220:221], v[222:223], v[220:221]
	v_div_scale_f64 v[222:223], vcc_lo, 1.0, v[216:217], 1.0
	v_mul_f64 v[224:225], v[222:223], v[220:221]
	v_fma_f64 v[218:219], -v[218:219], v[224:225], v[222:223]
	v_div_fmas_f64 v[218:219], v[218:219], v[220:221], v[224:225]
	v_div_fixup_f64 v[244:245], v[218:219], v[216:217], 1.0
	v_mul_f64 v[242:243], v[214:215], v[244:245]
	v_xor_b32_e32 v245, 0x80000000, v245
.LBB118_1060:
	s_andn2_saveexec_b32 s1, s1
	s_cbranch_execz .LBB118_1062
; %bb.1061:
	v_div_scale_f64 v[214:215], null, v[242:243], v[242:243], v[244:245]
	v_div_scale_f64 v[220:221], vcc_lo, v[244:245], v[242:243], v[244:245]
	v_rcp_f64_e32 v[216:217], v[214:215]
	v_fma_f64 v[218:219], -v[214:215], v[216:217], 1.0
	v_fma_f64 v[216:217], v[216:217], v[218:219], v[216:217]
	v_fma_f64 v[218:219], -v[214:215], v[216:217], 1.0
	v_fma_f64 v[216:217], v[216:217], v[218:219], v[216:217]
	v_mul_f64 v[218:219], v[220:221], v[216:217]
	v_fma_f64 v[214:215], -v[214:215], v[218:219], v[220:221]
	v_div_fmas_f64 v[214:215], v[214:215], v[216:217], v[218:219]
	v_div_fixup_f64 v[214:215], v[214:215], v[242:243], v[244:245]
	v_fma_f64 v[216:217], v[244:245], v[214:215], v[242:243]
	v_div_scale_f64 v[218:219], null, v[216:217], v[216:217], 1.0
	v_rcp_f64_e32 v[220:221], v[218:219]
	v_fma_f64 v[222:223], -v[218:219], v[220:221], 1.0
	v_fma_f64 v[220:221], v[220:221], v[222:223], v[220:221]
	v_fma_f64 v[222:223], -v[218:219], v[220:221], 1.0
	v_fma_f64 v[220:221], v[220:221], v[222:223], v[220:221]
	v_div_scale_f64 v[222:223], vcc_lo, 1.0, v[216:217], 1.0
	v_mul_f64 v[224:225], v[222:223], v[220:221]
	v_fma_f64 v[218:219], -v[218:219], v[224:225], v[222:223]
	v_div_fmas_f64 v[218:219], v[218:219], v[220:221], v[224:225]
	v_div_fixup_f64 v[242:243], v[218:219], v[216:217], 1.0
	v_mul_f64 v[244:245], v[214:215], -v[242:243]
.LBB118_1062:
	s_or_b32 exec_lo, exec_lo, s1
.LBB118_1063:
	s_or_b32 exec_lo, exec_lo, s0
	s_mov_b32 s0, exec_lo
	v_cmpx_ne_u32_e64 v0, v250
	s_xor_b32 s0, exec_lo, s0
	s_cbranch_execz .LBB118_1069
; %bb.1064:
	s_mov_b32 s1, exec_lo
	v_cmpx_eq_u32_e32 50, v0
	s_cbranch_execz .LBB118_1068
; %bb.1065:
	v_cmp_ne_u32_e32 vcc_lo, 50, v250
	s_xor_b32 s7, s16, -1
	s_and_b32 s9, s7, vcc_lo
	s_and_saveexec_b32 s7, s9
	s_cbranch_execz .LBB118_1067
; %bb.1066:
	s_clause 0x1
	buffer_load_dword v210, off, s[20:23], 0 offset:16
	buffer_load_dword v211, off, s[20:23], 0 offset:20
	v_ashrrev_i32_e32 v251, 31, v250
	v_lshlrev_b64 v[214:215], 2, v[250:251]
	s_waitcnt vmcnt(1)
	v_add_co_u32 v214, vcc_lo, v210, v214
	s_waitcnt vmcnt(0)
	v_add_co_ci_u32_e64 v215, null, v211, v215, vcc_lo
	s_clause 0x1
	global_load_dword v0, v[214:215], off
	global_load_dword v216, v[210:211], off offset:200
	s_waitcnt vmcnt(1)
	global_store_dword v[210:211], v0, off offset:200
	s_waitcnt vmcnt(0)
	global_store_dword v[214:215], v216, off
.LBB118_1067:
	s_or_b32 exec_lo, exec_lo, s7
	v_mov_b32_e32 v0, v250
	v_mov_b32_e32 v253, v250
.LBB118_1068:
	s_or_b32 exec_lo, exec_lo, s1
.LBB118_1069:
	s_andn2_saveexec_b32 s0, s0
	s_cbranch_execz .LBB118_1071
; %bb.1070:
	v_mov_b32_e32 v0, 50
	ds_write2_b64 v1, v[34:35], v[36:37] offset0:102 offset1:103
	ds_write2_b64 v1, v[30:31], v[32:33] offset0:104 offset1:105
	;; [unrolled: 1-line block ×9, first 2 shown]
.LBB118_1071:
	s_or_b32 exec_lo, exec_lo, s0
	s_mov_b32 s0, exec_lo
	s_waitcnt lgkmcnt(0)
	s_waitcnt_vscnt null, 0x0
	s_barrier
	buffer_gl0_inv
	v_cmpx_lt_i32_e32 50, v0
	s_cbranch_execz .LBB118_1073
; %bb.1072:
	v_mul_f64 v[214:215], v[242:243], v[40:41]
	v_mul_f64 v[40:41], v[244:245], v[40:41]
	ds_read2_b64 v[234:237], v1 offset0:102 offset1:103
	v_fma_f64 v[214:215], v[244:245], v[38:39], v[214:215]
	v_fma_f64 v[38:39], v[242:243], v[38:39], -v[40:41]
	s_waitcnt lgkmcnt(0)
	v_mul_f64 v[40:41], v[236:237], v[214:215]
	v_mul_f64 v[216:217], v[234:235], v[214:215]
	v_fma_f64 v[40:41], v[234:235], v[38:39], -v[40:41]
	v_fma_f64 v[216:217], v[236:237], v[38:39], v[216:217]
	ds_read2_b64 v[234:237], v1 offset0:104 offset1:105
	v_add_f64 v[34:35], v[34:35], -v[40:41]
	v_add_f64 v[36:37], v[36:37], -v[216:217]
	s_waitcnt lgkmcnt(0)
	v_mul_f64 v[40:41], v[236:237], v[214:215]
	v_mul_f64 v[216:217], v[234:235], v[214:215]
	v_fma_f64 v[40:41], v[234:235], v[38:39], -v[40:41]
	v_fma_f64 v[216:217], v[236:237], v[38:39], v[216:217]
	ds_read2_b64 v[234:237], v1 offset0:106 offset1:107
	v_add_f64 v[30:31], v[30:31], -v[40:41]
	v_add_f64 v[32:33], v[32:33], -v[216:217]
	;; [unrolled: 8-line block ×8, first 2 shown]
	s_waitcnt lgkmcnt(0)
	v_mul_f64 v[40:41], v[236:237], v[214:215]
	v_mul_f64 v[216:217], v[234:235], v[214:215]
	v_fma_f64 v[40:41], v[234:235], v[38:39], -v[40:41]
	v_fma_f64 v[216:217], v[236:237], v[38:39], v[216:217]
	v_add_f64 v[226:227], v[226:227], -v[40:41]
	v_add_f64 v[228:229], v[228:229], -v[216:217]
	v_mov_b32_e32 v40, v214
	v_mov_b32_e32 v41, v215
.LBB118_1073:
	s_or_b32 exec_lo, exec_lo, s0
	v_lshl_add_u32 v214, v0, 4, v1
	s_barrier
	buffer_gl0_inv
	v_mov_b32_e32 v250, 51
	ds_write2_b64 v214, v[34:35], v[36:37] offset1:1
	s_waitcnt lgkmcnt(0)
	s_barrier
	buffer_gl0_inv
	ds_read2_b64 v[242:245], v1 offset0:102 offset1:103
	s_cmp_lt_i32 s8, 53
	s_cbranch_scc1 .LBB118_1076
; %bb.1074:
	v_add3_u32 v247, v246, 0, 0x340
	v_mov_b32_e32 v250, 51
	s_mov_b32 s0, 52
	s_inst_prefetch 0x1
	.p2align	6
.LBB118_1075:                           ; =>This Inner Loop Header: Depth=1
	s_waitcnt lgkmcnt(0)
	v_cmp_gt_f64_e32 vcc_lo, 0, v[242:243]
	v_xor_b32_e32 v214, 0x80000000, v243
	ds_read2_b64 v[234:237], v247 offset1:1
	v_xor_b32_e32 v216, 0x80000000, v245
	v_add_nc_u32_e32 v247, 16, v247
	s_waitcnt lgkmcnt(0)
	v_xor_b32_e32 v218, 0x80000000, v237
	v_cndmask_b32_e32 v215, v243, v214, vcc_lo
	v_cmp_gt_f64_e32 vcc_lo, 0, v[244:245]
	v_mov_b32_e32 v214, v242
	v_cndmask_b32_e32 v217, v245, v216, vcc_lo
	v_cmp_gt_f64_e32 vcc_lo, 0, v[234:235]
	v_mov_b32_e32 v216, v244
	v_add_f64 v[214:215], v[214:215], v[216:217]
	v_xor_b32_e32 v216, 0x80000000, v235
	v_cndmask_b32_e32 v217, v235, v216, vcc_lo
	v_cmp_gt_f64_e32 vcc_lo, 0, v[236:237]
	v_mov_b32_e32 v216, v234
	v_cndmask_b32_e32 v219, v237, v218, vcc_lo
	v_mov_b32_e32 v218, v236
	v_add_f64 v[216:217], v[216:217], v[218:219]
	v_cmp_lt_f64_e32 vcc_lo, v[214:215], v[216:217]
	v_cndmask_b32_e32 v243, v243, v235, vcc_lo
	v_cndmask_b32_e32 v242, v242, v234, vcc_lo
	;; [unrolled: 1-line block ×4, first 2 shown]
	v_cndmask_b32_e64 v250, v250, s0, vcc_lo
	s_add_i32 s0, s0, 1
	s_cmp_lg_u32 s8, s0
	s_cbranch_scc1 .LBB118_1075
.LBB118_1076:
	s_inst_prefetch 0x2
	s_waitcnt lgkmcnt(0)
	v_cmp_eq_f64_e32 vcc_lo, 0, v[242:243]
	v_cmp_eq_f64_e64 s0, 0, v[244:245]
	s_and_b32 s0, vcc_lo, s0
	s_and_saveexec_b32 s1, s0
	s_xor_b32 s0, exec_lo, s1
; %bb.1077:
	v_cmp_ne_u32_e32 vcc_lo, 0, v255
	v_cndmask_b32_e32 v255, 52, v255, vcc_lo
; %bb.1078:
	s_andn2_saveexec_b32 s0, s0
	s_cbranch_execz .LBB118_1084
; %bb.1079:
	v_cmp_ngt_f64_e64 s1, |v[242:243]|, |v[244:245]|
	s_and_saveexec_b32 s7, s1
	s_xor_b32 s1, exec_lo, s7
	s_cbranch_execz .LBB118_1081
; %bb.1080:
	v_div_scale_f64 v[214:215], null, v[244:245], v[244:245], v[242:243]
	v_div_scale_f64 v[220:221], vcc_lo, v[242:243], v[244:245], v[242:243]
	v_rcp_f64_e32 v[216:217], v[214:215]
	v_fma_f64 v[218:219], -v[214:215], v[216:217], 1.0
	v_fma_f64 v[216:217], v[216:217], v[218:219], v[216:217]
	v_fma_f64 v[218:219], -v[214:215], v[216:217], 1.0
	v_fma_f64 v[216:217], v[216:217], v[218:219], v[216:217]
	v_mul_f64 v[218:219], v[220:221], v[216:217]
	v_fma_f64 v[214:215], -v[214:215], v[218:219], v[220:221]
	v_div_fmas_f64 v[214:215], v[214:215], v[216:217], v[218:219]
	v_div_fixup_f64 v[214:215], v[214:215], v[244:245], v[242:243]
	v_fma_f64 v[216:217], v[242:243], v[214:215], v[244:245]
	v_div_scale_f64 v[218:219], null, v[216:217], v[216:217], 1.0
	v_rcp_f64_e32 v[220:221], v[218:219]
	v_fma_f64 v[222:223], -v[218:219], v[220:221], 1.0
	v_fma_f64 v[220:221], v[220:221], v[222:223], v[220:221]
	v_fma_f64 v[222:223], -v[218:219], v[220:221], 1.0
	v_fma_f64 v[220:221], v[220:221], v[222:223], v[220:221]
	v_div_scale_f64 v[222:223], vcc_lo, 1.0, v[216:217], 1.0
	v_mul_f64 v[224:225], v[222:223], v[220:221]
	v_fma_f64 v[218:219], -v[218:219], v[224:225], v[222:223]
	v_div_fmas_f64 v[218:219], v[218:219], v[220:221], v[224:225]
	v_div_fixup_f64 v[244:245], v[218:219], v[216:217], 1.0
	v_mul_f64 v[242:243], v[214:215], v[244:245]
	v_xor_b32_e32 v245, 0x80000000, v245
.LBB118_1081:
	s_andn2_saveexec_b32 s1, s1
	s_cbranch_execz .LBB118_1083
; %bb.1082:
	v_div_scale_f64 v[214:215], null, v[242:243], v[242:243], v[244:245]
	v_div_scale_f64 v[220:221], vcc_lo, v[244:245], v[242:243], v[244:245]
	v_rcp_f64_e32 v[216:217], v[214:215]
	v_fma_f64 v[218:219], -v[214:215], v[216:217], 1.0
	v_fma_f64 v[216:217], v[216:217], v[218:219], v[216:217]
	v_fma_f64 v[218:219], -v[214:215], v[216:217], 1.0
	v_fma_f64 v[216:217], v[216:217], v[218:219], v[216:217]
	v_mul_f64 v[218:219], v[220:221], v[216:217]
	v_fma_f64 v[214:215], -v[214:215], v[218:219], v[220:221]
	v_div_fmas_f64 v[214:215], v[214:215], v[216:217], v[218:219]
	v_div_fixup_f64 v[214:215], v[214:215], v[242:243], v[244:245]
	v_fma_f64 v[216:217], v[244:245], v[214:215], v[242:243]
	v_div_scale_f64 v[218:219], null, v[216:217], v[216:217], 1.0
	v_rcp_f64_e32 v[220:221], v[218:219]
	v_fma_f64 v[222:223], -v[218:219], v[220:221], 1.0
	v_fma_f64 v[220:221], v[220:221], v[222:223], v[220:221]
	v_fma_f64 v[222:223], -v[218:219], v[220:221], 1.0
	v_fma_f64 v[220:221], v[220:221], v[222:223], v[220:221]
	v_div_scale_f64 v[222:223], vcc_lo, 1.0, v[216:217], 1.0
	v_mul_f64 v[224:225], v[222:223], v[220:221]
	v_fma_f64 v[218:219], -v[218:219], v[224:225], v[222:223]
	v_div_fmas_f64 v[218:219], v[218:219], v[220:221], v[224:225]
	v_div_fixup_f64 v[242:243], v[218:219], v[216:217], 1.0
	v_mul_f64 v[244:245], v[214:215], -v[242:243]
.LBB118_1083:
	s_or_b32 exec_lo, exec_lo, s1
.LBB118_1084:
	s_or_b32 exec_lo, exec_lo, s0
	s_mov_b32 s0, exec_lo
	v_cmpx_ne_u32_e64 v0, v250
	s_xor_b32 s0, exec_lo, s0
	s_cbranch_execz .LBB118_1090
; %bb.1085:
	s_mov_b32 s1, exec_lo
	v_cmpx_eq_u32_e32 51, v0
	s_cbranch_execz .LBB118_1089
; %bb.1086:
	v_cmp_ne_u32_e32 vcc_lo, 51, v250
	s_xor_b32 s7, s16, -1
	s_and_b32 s9, s7, vcc_lo
	s_and_saveexec_b32 s7, s9
	s_cbranch_execz .LBB118_1088
; %bb.1087:
	s_clause 0x1
	buffer_load_dword v210, off, s[20:23], 0 offset:16
	buffer_load_dword v211, off, s[20:23], 0 offset:20
	v_ashrrev_i32_e32 v251, 31, v250
	v_lshlrev_b64 v[214:215], 2, v[250:251]
	s_waitcnt vmcnt(1)
	v_add_co_u32 v214, vcc_lo, v210, v214
	s_waitcnt vmcnt(0)
	v_add_co_ci_u32_e64 v215, null, v211, v215, vcc_lo
	s_clause 0x1
	global_load_dword v0, v[214:215], off
	global_load_dword v216, v[210:211], off offset:204
	s_waitcnt vmcnt(1)
	global_store_dword v[210:211], v0, off offset:204
	s_waitcnt vmcnt(0)
	global_store_dword v[214:215], v216, off
.LBB118_1088:
	s_or_b32 exec_lo, exec_lo, s7
	v_mov_b32_e32 v0, v250
	v_mov_b32_e32 v253, v250
.LBB118_1089:
	s_or_b32 exec_lo, exec_lo, s1
.LBB118_1090:
	s_andn2_saveexec_b32 s0, s0
	s_cbranch_execz .LBB118_1092
; %bb.1091:
	v_mov_b32_e32 v0, 51
	ds_write2_b64 v1, v[30:31], v[32:33] offset0:104 offset1:105
	ds_write2_b64 v1, v[26:27], v[28:29] offset0:106 offset1:107
	;; [unrolled: 1-line block ×8, first 2 shown]
.LBB118_1092:
	s_or_b32 exec_lo, exec_lo, s0
	s_mov_b32 s0, exec_lo
	s_waitcnt lgkmcnt(0)
	s_waitcnt_vscnt null, 0x0
	s_barrier
	buffer_gl0_inv
	v_cmpx_lt_i32_e32 51, v0
	s_cbranch_execz .LBB118_1094
; %bb.1093:
	v_mul_f64 v[214:215], v[242:243], v[36:37]
	v_mul_f64 v[36:37], v[244:245], v[36:37]
	ds_read2_b64 v[234:237], v1 offset0:104 offset1:105
	v_fma_f64 v[214:215], v[244:245], v[34:35], v[214:215]
	v_fma_f64 v[34:35], v[242:243], v[34:35], -v[36:37]
	s_waitcnt lgkmcnt(0)
	v_mul_f64 v[36:37], v[236:237], v[214:215]
	v_mul_f64 v[216:217], v[234:235], v[214:215]
	v_fma_f64 v[36:37], v[234:235], v[34:35], -v[36:37]
	v_fma_f64 v[216:217], v[236:237], v[34:35], v[216:217]
	ds_read2_b64 v[234:237], v1 offset0:106 offset1:107
	v_add_f64 v[30:31], v[30:31], -v[36:37]
	v_add_f64 v[32:33], v[32:33], -v[216:217]
	s_waitcnt lgkmcnt(0)
	v_mul_f64 v[36:37], v[236:237], v[214:215]
	v_mul_f64 v[216:217], v[234:235], v[214:215]
	v_fma_f64 v[36:37], v[234:235], v[34:35], -v[36:37]
	v_fma_f64 v[216:217], v[236:237], v[34:35], v[216:217]
	ds_read2_b64 v[234:237], v1 offset0:108 offset1:109
	v_add_f64 v[26:27], v[26:27], -v[36:37]
	v_add_f64 v[28:29], v[28:29], -v[216:217]
	;; [unrolled: 8-line block ×7, first 2 shown]
	s_waitcnt lgkmcnt(0)
	v_mul_f64 v[36:37], v[236:237], v[214:215]
	v_mul_f64 v[216:217], v[234:235], v[214:215]
	v_fma_f64 v[36:37], v[234:235], v[34:35], -v[36:37]
	v_fma_f64 v[216:217], v[236:237], v[34:35], v[216:217]
	v_add_f64 v[226:227], v[226:227], -v[36:37]
	v_add_f64 v[228:229], v[228:229], -v[216:217]
	v_mov_b32_e32 v36, v214
	v_mov_b32_e32 v37, v215
.LBB118_1094:
	s_or_b32 exec_lo, exec_lo, s0
	v_lshl_add_u32 v214, v0, 4, v1
	s_barrier
	buffer_gl0_inv
	v_mov_b32_e32 v250, 52
	ds_write2_b64 v214, v[30:31], v[32:33] offset1:1
	s_waitcnt lgkmcnt(0)
	s_barrier
	buffer_gl0_inv
	ds_read2_b64 v[242:245], v1 offset0:104 offset1:105
	s_cmp_lt_i32 s8, 54
	s_cbranch_scc1 .LBB118_1097
; %bb.1095:
	v_add3_u32 v247, v246, 0, 0x350
	v_mov_b32_e32 v250, 52
	s_mov_b32 s0, 53
	s_inst_prefetch 0x1
	.p2align	6
.LBB118_1096:                           ; =>This Inner Loop Header: Depth=1
	s_waitcnt lgkmcnt(0)
	v_cmp_gt_f64_e32 vcc_lo, 0, v[242:243]
	v_xor_b32_e32 v214, 0x80000000, v243
	ds_read2_b64 v[234:237], v247 offset1:1
	v_xor_b32_e32 v216, 0x80000000, v245
	v_add_nc_u32_e32 v247, 16, v247
	s_waitcnt lgkmcnt(0)
	v_xor_b32_e32 v218, 0x80000000, v237
	v_cndmask_b32_e32 v215, v243, v214, vcc_lo
	v_cmp_gt_f64_e32 vcc_lo, 0, v[244:245]
	v_mov_b32_e32 v214, v242
	v_cndmask_b32_e32 v217, v245, v216, vcc_lo
	v_cmp_gt_f64_e32 vcc_lo, 0, v[234:235]
	v_mov_b32_e32 v216, v244
	v_add_f64 v[214:215], v[214:215], v[216:217]
	v_xor_b32_e32 v216, 0x80000000, v235
	v_cndmask_b32_e32 v217, v235, v216, vcc_lo
	v_cmp_gt_f64_e32 vcc_lo, 0, v[236:237]
	v_mov_b32_e32 v216, v234
	v_cndmask_b32_e32 v219, v237, v218, vcc_lo
	v_mov_b32_e32 v218, v236
	v_add_f64 v[216:217], v[216:217], v[218:219]
	v_cmp_lt_f64_e32 vcc_lo, v[214:215], v[216:217]
	v_cndmask_b32_e32 v243, v243, v235, vcc_lo
	v_cndmask_b32_e32 v242, v242, v234, vcc_lo
	;; [unrolled: 1-line block ×4, first 2 shown]
	v_cndmask_b32_e64 v250, v250, s0, vcc_lo
	s_add_i32 s0, s0, 1
	s_cmp_lg_u32 s8, s0
	s_cbranch_scc1 .LBB118_1096
.LBB118_1097:
	s_inst_prefetch 0x2
	s_waitcnt lgkmcnt(0)
	v_cmp_eq_f64_e32 vcc_lo, 0, v[242:243]
	v_cmp_eq_f64_e64 s0, 0, v[244:245]
	s_and_b32 s0, vcc_lo, s0
	s_and_saveexec_b32 s1, s0
	s_xor_b32 s0, exec_lo, s1
; %bb.1098:
	v_cmp_ne_u32_e32 vcc_lo, 0, v255
	v_cndmask_b32_e32 v255, 53, v255, vcc_lo
; %bb.1099:
	s_andn2_saveexec_b32 s0, s0
	s_cbranch_execz .LBB118_1105
; %bb.1100:
	v_cmp_ngt_f64_e64 s1, |v[242:243]|, |v[244:245]|
	s_and_saveexec_b32 s7, s1
	s_xor_b32 s1, exec_lo, s7
	s_cbranch_execz .LBB118_1102
; %bb.1101:
	v_div_scale_f64 v[214:215], null, v[244:245], v[244:245], v[242:243]
	v_div_scale_f64 v[220:221], vcc_lo, v[242:243], v[244:245], v[242:243]
	v_rcp_f64_e32 v[216:217], v[214:215]
	v_fma_f64 v[218:219], -v[214:215], v[216:217], 1.0
	v_fma_f64 v[216:217], v[216:217], v[218:219], v[216:217]
	v_fma_f64 v[218:219], -v[214:215], v[216:217], 1.0
	v_fma_f64 v[216:217], v[216:217], v[218:219], v[216:217]
	v_mul_f64 v[218:219], v[220:221], v[216:217]
	v_fma_f64 v[214:215], -v[214:215], v[218:219], v[220:221]
	v_div_fmas_f64 v[214:215], v[214:215], v[216:217], v[218:219]
	v_div_fixup_f64 v[214:215], v[214:215], v[244:245], v[242:243]
	v_fma_f64 v[216:217], v[242:243], v[214:215], v[244:245]
	v_div_scale_f64 v[218:219], null, v[216:217], v[216:217], 1.0
	v_rcp_f64_e32 v[220:221], v[218:219]
	v_fma_f64 v[222:223], -v[218:219], v[220:221], 1.0
	v_fma_f64 v[220:221], v[220:221], v[222:223], v[220:221]
	v_fma_f64 v[222:223], -v[218:219], v[220:221], 1.0
	v_fma_f64 v[220:221], v[220:221], v[222:223], v[220:221]
	v_div_scale_f64 v[222:223], vcc_lo, 1.0, v[216:217], 1.0
	v_mul_f64 v[224:225], v[222:223], v[220:221]
	v_fma_f64 v[218:219], -v[218:219], v[224:225], v[222:223]
	v_div_fmas_f64 v[218:219], v[218:219], v[220:221], v[224:225]
	v_div_fixup_f64 v[244:245], v[218:219], v[216:217], 1.0
	v_mul_f64 v[242:243], v[214:215], v[244:245]
	v_xor_b32_e32 v245, 0x80000000, v245
.LBB118_1102:
	s_andn2_saveexec_b32 s1, s1
	s_cbranch_execz .LBB118_1104
; %bb.1103:
	v_div_scale_f64 v[214:215], null, v[242:243], v[242:243], v[244:245]
	v_div_scale_f64 v[220:221], vcc_lo, v[244:245], v[242:243], v[244:245]
	v_rcp_f64_e32 v[216:217], v[214:215]
	v_fma_f64 v[218:219], -v[214:215], v[216:217], 1.0
	v_fma_f64 v[216:217], v[216:217], v[218:219], v[216:217]
	v_fma_f64 v[218:219], -v[214:215], v[216:217], 1.0
	v_fma_f64 v[216:217], v[216:217], v[218:219], v[216:217]
	v_mul_f64 v[218:219], v[220:221], v[216:217]
	v_fma_f64 v[214:215], -v[214:215], v[218:219], v[220:221]
	v_div_fmas_f64 v[214:215], v[214:215], v[216:217], v[218:219]
	v_div_fixup_f64 v[214:215], v[214:215], v[242:243], v[244:245]
	v_fma_f64 v[216:217], v[244:245], v[214:215], v[242:243]
	v_div_scale_f64 v[218:219], null, v[216:217], v[216:217], 1.0
	v_rcp_f64_e32 v[220:221], v[218:219]
	v_fma_f64 v[222:223], -v[218:219], v[220:221], 1.0
	v_fma_f64 v[220:221], v[220:221], v[222:223], v[220:221]
	v_fma_f64 v[222:223], -v[218:219], v[220:221], 1.0
	v_fma_f64 v[220:221], v[220:221], v[222:223], v[220:221]
	v_div_scale_f64 v[222:223], vcc_lo, 1.0, v[216:217], 1.0
	v_mul_f64 v[224:225], v[222:223], v[220:221]
	v_fma_f64 v[218:219], -v[218:219], v[224:225], v[222:223]
	v_div_fmas_f64 v[218:219], v[218:219], v[220:221], v[224:225]
	v_div_fixup_f64 v[242:243], v[218:219], v[216:217], 1.0
	v_mul_f64 v[244:245], v[214:215], -v[242:243]
.LBB118_1104:
	s_or_b32 exec_lo, exec_lo, s1
.LBB118_1105:
	s_or_b32 exec_lo, exec_lo, s0
	s_mov_b32 s0, exec_lo
	v_cmpx_ne_u32_e64 v0, v250
	s_xor_b32 s0, exec_lo, s0
	s_cbranch_execz .LBB118_1111
; %bb.1106:
	s_mov_b32 s1, exec_lo
	v_cmpx_eq_u32_e32 52, v0
	s_cbranch_execz .LBB118_1110
; %bb.1107:
	v_cmp_ne_u32_e32 vcc_lo, 52, v250
	s_xor_b32 s7, s16, -1
	s_and_b32 s9, s7, vcc_lo
	s_and_saveexec_b32 s7, s9
	s_cbranch_execz .LBB118_1109
; %bb.1108:
	s_clause 0x1
	buffer_load_dword v210, off, s[20:23], 0 offset:16
	buffer_load_dword v211, off, s[20:23], 0 offset:20
	v_ashrrev_i32_e32 v251, 31, v250
	v_lshlrev_b64 v[214:215], 2, v[250:251]
	s_waitcnt vmcnt(1)
	v_add_co_u32 v214, vcc_lo, v210, v214
	s_waitcnt vmcnt(0)
	v_add_co_ci_u32_e64 v215, null, v211, v215, vcc_lo
	s_clause 0x1
	global_load_dword v0, v[214:215], off
	global_load_dword v216, v[210:211], off offset:208
	s_waitcnt vmcnt(1)
	global_store_dword v[210:211], v0, off offset:208
	s_waitcnt vmcnt(0)
	global_store_dword v[214:215], v216, off
.LBB118_1109:
	s_or_b32 exec_lo, exec_lo, s7
	v_mov_b32_e32 v0, v250
	v_mov_b32_e32 v253, v250
.LBB118_1110:
	s_or_b32 exec_lo, exec_lo, s1
.LBB118_1111:
	s_andn2_saveexec_b32 s0, s0
	s_cbranch_execz .LBB118_1113
; %bb.1112:
	v_mov_b32_e32 v0, 52
	ds_write2_b64 v1, v[26:27], v[28:29] offset0:106 offset1:107
	ds_write2_b64 v1, v[22:23], v[24:25] offset0:108 offset1:109
	;; [unrolled: 1-line block ×7, first 2 shown]
.LBB118_1113:
	s_or_b32 exec_lo, exec_lo, s0
	s_mov_b32 s0, exec_lo
	s_waitcnt lgkmcnt(0)
	s_waitcnt_vscnt null, 0x0
	s_barrier
	buffer_gl0_inv
	v_cmpx_lt_i32_e32 52, v0
	s_cbranch_execz .LBB118_1115
; %bb.1114:
	v_mul_f64 v[214:215], v[242:243], v[32:33]
	v_mul_f64 v[32:33], v[244:245], v[32:33]
	ds_read2_b64 v[234:237], v1 offset0:106 offset1:107
	v_fma_f64 v[214:215], v[244:245], v[30:31], v[214:215]
	v_fma_f64 v[30:31], v[242:243], v[30:31], -v[32:33]
	s_waitcnt lgkmcnt(0)
	v_mul_f64 v[32:33], v[236:237], v[214:215]
	v_mul_f64 v[216:217], v[234:235], v[214:215]
	v_fma_f64 v[32:33], v[234:235], v[30:31], -v[32:33]
	v_fma_f64 v[216:217], v[236:237], v[30:31], v[216:217]
	ds_read2_b64 v[234:237], v1 offset0:108 offset1:109
	v_add_f64 v[26:27], v[26:27], -v[32:33]
	v_add_f64 v[28:29], v[28:29], -v[216:217]
	s_waitcnt lgkmcnt(0)
	v_mul_f64 v[32:33], v[236:237], v[214:215]
	v_mul_f64 v[216:217], v[234:235], v[214:215]
	v_fma_f64 v[32:33], v[234:235], v[30:31], -v[32:33]
	v_fma_f64 v[216:217], v[236:237], v[30:31], v[216:217]
	ds_read2_b64 v[234:237], v1 offset0:110 offset1:111
	v_add_f64 v[22:23], v[22:23], -v[32:33]
	v_add_f64 v[24:25], v[24:25], -v[216:217]
	;; [unrolled: 8-line block ×6, first 2 shown]
	s_waitcnt lgkmcnt(0)
	v_mul_f64 v[32:33], v[236:237], v[214:215]
	v_mul_f64 v[216:217], v[234:235], v[214:215]
	v_fma_f64 v[32:33], v[234:235], v[30:31], -v[32:33]
	v_fma_f64 v[216:217], v[236:237], v[30:31], v[216:217]
	v_add_f64 v[226:227], v[226:227], -v[32:33]
	v_add_f64 v[228:229], v[228:229], -v[216:217]
	v_mov_b32_e32 v32, v214
	v_mov_b32_e32 v33, v215
.LBB118_1115:
	s_or_b32 exec_lo, exec_lo, s0
	v_lshl_add_u32 v214, v0, 4, v1
	s_barrier
	buffer_gl0_inv
	v_mov_b32_e32 v250, 53
	ds_write2_b64 v214, v[26:27], v[28:29] offset1:1
	s_waitcnt lgkmcnt(0)
	s_barrier
	buffer_gl0_inv
	ds_read2_b64 v[242:245], v1 offset0:106 offset1:107
	s_cmp_lt_i32 s8, 55
	s_cbranch_scc1 .LBB118_1118
; %bb.1116:
	v_add3_u32 v247, v246, 0, 0x360
	v_mov_b32_e32 v250, 53
	s_mov_b32 s0, 54
	s_inst_prefetch 0x1
	.p2align	6
.LBB118_1117:                           ; =>This Inner Loop Header: Depth=1
	s_waitcnt lgkmcnt(0)
	v_cmp_gt_f64_e32 vcc_lo, 0, v[242:243]
	v_xor_b32_e32 v214, 0x80000000, v243
	ds_read2_b64 v[234:237], v247 offset1:1
	v_xor_b32_e32 v216, 0x80000000, v245
	v_add_nc_u32_e32 v247, 16, v247
	s_waitcnt lgkmcnt(0)
	v_xor_b32_e32 v218, 0x80000000, v237
	v_cndmask_b32_e32 v215, v243, v214, vcc_lo
	v_cmp_gt_f64_e32 vcc_lo, 0, v[244:245]
	v_mov_b32_e32 v214, v242
	v_cndmask_b32_e32 v217, v245, v216, vcc_lo
	v_cmp_gt_f64_e32 vcc_lo, 0, v[234:235]
	v_mov_b32_e32 v216, v244
	v_add_f64 v[214:215], v[214:215], v[216:217]
	v_xor_b32_e32 v216, 0x80000000, v235
	v_cndmask_b32_e32 v217, v235, v216, vcc_lo
	v_cmp_gt_f64_e32 vcc_lo, 0, v[236:237]
	v_mov_b32_e32 v216, v234
	v_cndmask_b32_e32 v219, v237, v218, vcc_lo
	v_mov_b32_e32 v218, v236
	v_add_f64 v[216:217], v[216:217], v[218:219]
	v_cmp_lt_f64_e32 vcc_lo, v[214:215], v[216:217]
	v_cndmask_b32_e32 v243, v243, v235, vcc_lo
	v_cndmask_b32_e32 v242, v242, v234, vcc_lo
	;; [unrolled: 1-line block ×4, first 2 shown]
	v_cndmask_b32_e64 v250, v250, s0, vcc_lo
	s_add_i32 s0, s0, 1
	s_cmp_lg_u32 s8, s0
	s_cbranch_scc1 .LBB118_1117
.LBB118_1118:
	s_inst_prefetch 0x2
	s_waitcnt lgkmcnt(0)
	v_cmp_eq_f64_e32 vcc_lo, 0, v[242:243]
	v_cmp_eq_f64_e64 s0, 0, v[244:245]
	s_and_b32 s0, vcc_lo, s0
	s_and_saveexec_b32 s1, s0
	s_xor_b32 s0, exec_lo, s1
; %bb.1119:
	v_cmp_ne_u32_e32 vcc_lo, 0, v255
	v_cndmask_b32_e32 v255, 54, v255, vcc_lo
; %bb.1120:
	s_andn2_saveexec_b32 s0, s0
	s_cbranch_execz .LBB118_1126
; %bb.1121:
	v_cmp_ngt_f64_e64 s1, |v[242:243]|, |v[244:245]|
	s_and_saveexec_b32 s7, s1
	s_xor_b32 s1, exec_lo, s7
	s_cbranch_execz .LBB118_1123
; %bb.1122:
	v_div_scale_f64 v[214:215], null, v[244:245], v[244:245], v[242:243]
	v_div_scale_f64 v[220:221], vcc_lo, v[242:243], v[244:245], v[242:243]
	v_rcp_f64_e32 v[216:217], v[214:215]
	v_fma_f64 v[218:219], -v[214:215], v[216:217], 1.0
	v_fma_f64 v[216:217], v[216:217], v[218:219], v[216:217]
	v_fma_f64 v[218:219], -v[214:215], v[216:217], 1.0
	v_fma_f64 v[216:217], v[216:217], v[218:219], v[216:217]
	v_mul_f64 v[218:219], v[220:221], v[216:217]
	v_fma_f64 v[214:215], -v[214:215], v[218:219], v[220:221]
	v_div_fmas_f64 v[214:215], v[214:215], v[216:217], v[218:219]
	v_div_fixup_f64 v[214:215], v[214:215], v[244:245], v[242:243]
	v_fma_f64 v[216:217], v[242:243], v[214:215], v[244:245]
	v_div_scale_f64 v[218:219], null, v[216:217], v[216:217], 1.0
	v_rcp_f64_e32 v[220:221], v[218:219]
	v_fma_f64 v[222:223], -v[218:219], v[220:221], 1.0
	v_fma_f64 v[220:221], v[220:221], v[222:223], v[220:221]
	v_fma_f64 v[222:223], -v[218:219], v[220:221], 1.0
	v_fma_f64 v[220:221], v[220:221], v[222:223], v[220:221]
	v_div_scale_f64 v[222:223], vcc_lo, 1.0, v[216:217], 1.0
	v_mul_f64 v[224:225], v[222:223], v[220:221]
	v_fma_f64 v[218:219], -v[218:219], v[224:225], v[222:223]
	v_div_fmas_f64 v[218:219], v[218:219], v[220:221], v[224:225]
	v_div_fixup_f64 v[244:245], v[218:219], v[216:217], 1.0
	v_mul_f64 v[242:243], v[214:215], v[244:245]
	v_xor_b32_e32 v245, 0x80000000, v245
.LBB118_1123:
	s_andn2_saveexec_b32 s1, s1
	s_cbranch_execz .LBB118_1125
; %bb.1124:
	v_div_scale_f64 v[214:215], null, v[242:243], v[242:243], v[244:245]
	v_div_scale_f64 v[220:221], vcc_lo, v[244:245], v[242:243], v[244:245]
	v_rcp_f64_e32 v[216:217], v[214:215]
	v_fma_f64 v[218:219], -v[214:215], v[216:217], 1.0
	v_fma_f64 v[216:217], v[216:217], v[218:219], v[216:217]
	v_fma_f64 v[218:219], -v[214:215], v[216:217], 1.0
	v_fma_f64 v[216:217], v[216:217], v[218:219], v[216:217]
	v_mul_f64 v[218:219], v[220:221], v[216:217]
	v_fma_f64 v[214:215], -v[214:215], v[218:219], v[220:221]
	v_div_fmas_f64 v[214:215], v[214:215], v[216:217], v[218:219]
	v_div_fixup_f64 v[214:215], v[214:215], v[242:243], v[244:245]
	v_fma_f64 v[216:217], v[244:245], v[214:215], v[242:243]
	v_div_scale_f64 v[218:219], null, v[216:217], v[216:217], 1.0
	v_rcp_f64_e32 v[220:221], v[218:219]
	v_fma_f64 v[222:223], -v[218:219], v[220:221], 1.0
	v_fma_f64 v[220:221], v[220:221], v[222:223], v[220:221]
	v_fma_f64 v[222:223], -v[218:219], v[220:221], 1.0
	v_fma_f64 v[220:221], v[220:221], v[222:223], v[220:221]
	v_div_scale_f64 v[222:223], vcc_lo, 1.0, v[216:217], 1.0
	v_mul_f64 v[224:225], v[222:223], v[220:221]
	v_fma_f64 v[218:219], -v[218:219], v[224:225], v[222:223]
	v_div_fmas_f64 v[218:219], v[218:219], v[220:221], v[224:225]
	v_div_fixup_f64 v[242:243], v[218:219], v[216:217], 1.0
	v_mul_f64 v[244:245], v[214:215], -v[242:243]
.LBB118_1125:
	s_or_b32 exec_lo, exec_lo, s1
.LBB118_1126:
	s_or_b32 exec_lo, exec_lo, s0
	s_mov_b32 s0, exec_lo
	v_cmpx_ne_u32_e64 v0, v250
	s_xor_b32 s0, exec_lo, s0
	s_cbranch_execz .LBB118_1132
; %bb.1127:
	s_mov_b32 s1, exec_lo
	v_cmpx_eq_u32_e32 53, v0
	s_cbranch_execz .LBB118_1131
; %bb.1128:
	v_cmp_ne_u32_e32 vcc_lo, 53, v250
	s_xor_b32 s7, s16, -1
	s_and_b32 s9, s7, vcc_lo
	s_and_saveexec_b32 s7, s9
	s_cbranch_execz .LBB118_1130
; %bb.1129:
	s_clause 0x1
	buffer_load_dword v210, off, s[20:23], 0 offset:16
	buffer_load_dword v211, off, s[20:23], 0 offset:20
	v_ashrrev_i32_e32 v251, 31, v250
	v_lshlrev_b64 v[214:215], 2, v[250:251]
	s_waitcnt vmcnt(1)
	v_add_co_u32 v214, vcc_lo, v210, v214
	s_waitcnt vmcnt(0)
	v_add_co_ci_u32_e64 v215, null, v211, v215, vcc_lo
	s_clause 0x1
	global_load_dword v0, v[214:215], off
	global_load_dword v216, v[210:211], off offset:212
	s_waitcnt vmcnt(1)
	global_store_dword v[210:211], v0, off offset:212
	s_waitcnt vmcnt(0)
	global_store_dword v[214:215], v216, off
.LBB118_1130:
	s_or_b32 exec_lo, exec_lo, s7
	v_mov_b32_e32 v0, v250
	v_mov_b32_e32 v253, v250
.LBB118_1131:
	s_or_b32 exec_lo, exec_lo, s1
.LBB118_1132:
	s_andn2_saveexec_b32 s0, s0
	s_cbranch_execz .LBB118_1134
; %bb.1133:
	v_mov_b32_e32 v0, 53
	ds_write2_b64 v1, v[22:23], v[24:25] offset0:108 offset1:109
	ds_write2_b64 v1, v[18:19], v[20:21] offset0:110 offset1:111
	;; [unrolled: 1-line block ×6, first 2 shown]
.LBB118_1134:
	s_or_b32 exec_lo, exec_lo, s0
	s_mov_b32 s0, exec_lo
	s_waitcnt lgkmcnt(0)
	s_waitcnt_vscnt null, 0x0
	s_barrier
	buffer_gl0_inv
	v_cmpx_lt_i32_e32 53, v0
	s_cbranch_execz .LBB118_1136
; %bb.1135:
	v_mul_f64 v[214:215], v[242:243], v[28:29]
	v_mul_f64 v[28:29], v[244:245], v[28:29]
	ds_read2_b64 v[234:237], v1 offset0:108 offset1:109
	v_fma_f64 v[214:215], v[244:245], v[26:27], v[214:215]
	v_fma_f64 v[26:27], v[242:243], v[26:27], -v[28:29]
	s_waitcnt lgkmcnt(0)
	v_mul_f64 v[28:29], v[236:237], v[214:215]
	v_mul_f64 v[216:217], v[234:235], v[214:215]
	v_fma_f64 v[28:29], v[234:235], v[26:27], -v[28:29]
	v_fma_f64 v[216:217], v[236:237], v[26:27], v[216:217]
	ds_read2_b64 v[234:237], v1 offset0:110 offset1:111
	v_add_f64 v[22:23], v[22:23], -v[28:29]
	v_add_f64 v[24:25], v[24:25], -v[216:217]
	s_waitcnt lgkmcnt(0)
	v_mul_f64 v[28:29], v[236:237], v[214:215]
	v_mul_f64 v[216:217], v[234:235], v[214:215]
	v_fma_f64 v[28:29], v[234:235], v[26:27], -v[28:29]
	v_fma_f64 v[216:217], v[236:237], v[26:27], v[216:217]
	ds_read2_b64 v[234:237], v1 offset0:112 offset1:113
	v_add_f64 v[18:19], v[18:19], -v[28:29]
	v_add_f64 v[20:21], v[20:21], -v[216:217]
	;; [unrolled: 8-line block ×5, first 2 shown]
	s_waitcnt lgkmcnt(0)
	v_mul_f64 v[28:29], v[236:237], v[214:215]
	v_mul_f64 v[216:217], v[234:235], v[214:215]
	v_fma_f64 v[28:29], v[234:235], v[26:27], -v[28:29]
	v_fma_f64 v[216:217], v[236:237], v[26:27], v[216:217]
	v_add_f64 v[226:227], v[226:227], -v[28:29]
	v_add_f64 v[228:229], v[228:229], -v[216:217]
	v_mov_b32_e32 v28, v214
	v_mov_b32_e32 v29, v215
.LBB118_1136:
	s_or_b32 exec_lo, exec_lo, s0
	v_lshl_add_u32 v214, v0, 4, v1
	s_barrier
	buffer_gl0_inv
	v_mov_b32_e32 v250, 54
	ds_write2_b64 v214, v[22:23], v[24:25] offset1:1
	s_waitcnt lgkmcnt(0)
	s_barrier
	buffer_gl0_inv
	ds_read2_b64 v[242:245], v1 offset0:108 offset1:109
	s_cmp_lt_i32 s8, 56
	s_cbranch_scc1 .LBB118_1139
; %bb.1137:
	v_add3_u32 v247, v246, 0, 0x370
	v_mov_b32_e32 v250, 54
	s_mov_b32 s0, 55
	s_inst_prefetch 0x1
	.p2align	6
.LBB118_1138:                           ; =>This Inner Loop Header: Depth=1
	s_waitcnt lgkmcnt(0)
	v_cmp_gt_f64_e32 vcc_lo, 0, v[242:243]
	v_xor_b32_e32 v214, 0x80000000, v243
	ds_read2_b64 v[234:237], v247 offset1:1
	v_xor_b32_e32 v216, 0x80000000, v245
	v_add_nc_u32_e32 v247, 16, v247
	s_waitcnt lgkmcnt(0)
	v_xor_b32_e32 v218, 0x80000000, v237
	v_cndmask_b32_e32 v215, v243, v214, vcc_lo
	v_cmp_gt_f64_e32 vcc_lo, 0, v[244:245]
	v_mov_b32_e32 v214, v242
	v_cndmask_b32_e32 v217, v245, v216, vcc_lo
	v_cmp_gt_f64_e32 vcc_lo, 0, v[234:235]
	v_mov_b32_e32 v216, v244
	v_add_f64 v[214:215], v[214:215], v[216:217]
	v_xor_b32_e32 v216, 0x80000000, v235
	v_cndmask_b32_e32 v217, v235, v216, vcc_lo
	v_cmp_gt_f64_e32 vcc_lo, 0, v[236:237]
	v_mov_b32_e32 v216, v234
	v_cndmask_b32_e32 v219, v237, v218, vcc_lo
	v_mov_b32_e32 v218, v236
	v_add_f64 v[216:217], v[216:217], v[218:219]
	v_cmp_lt_f64_e32 vcc_lo, v[214:215], v[216:217]
	v_cndmask_b32_e32 v243, v243, v235, vcc_lo
	v_cndmask_b32_e32 v242, v242, v234, vcc_lo
	;; [unrolled: 1-line block ×4, first 2 shown]
	v_cndmask_b32_e64 v250, v250, s0, vcc_lo
	s_add_i32 s0, s0, 1
	s_cmp_lg_u32 s8, s0
	s_cbranch_scc1 .LBB118_1138
.LBB118_1139:
	s_inst_prefetch 0x2
	s_waitcnt lgkmcnt(0)
	v_cmp_eq_f64_e32 vcc_lo, 0, v[242:243]
	v_cmp_eq_f64_e64 s0, 0, v[244:245]
	s_and_b32 s0, vcc_lo, s0
	s_and_saveexec_b32 s1, s0
	s_xor_b32 s0, exec_lo, s1
; %bb.1140:
	v_cmp_ne_u32_e32 vcc_lo, 0, v255
	v_cndmask_b32_e32 v255, 55, v255, vcc_lo
; %bb.1141:
	s_andn2_saveexec_b32 s0, s0
	s_cbranch_execz .LBB118_1147
; %bb.1142:
	v_cmp_ngt_f64_e64 s1, |v[242:243]|, |v[244:245]|
	s_and_saveexec_b32 s7, s1
	s_xor_b32 s1, exec_lo, s7
	s_cbranch_execz .LBB118_1144
; %bb.1143:
	v_div_scale_f64 v[214:215], null, v[244:245], v[244:245], v[242:243]
	v_div_scale_f64 v[220:221], vcc_lo, v[242:243], v[244:245], v[242:243]
	v_rcp_f64_e32 v[216:217], v[214:215]
	v_fma_f64 v[218:219], -v[214:215], v[216:217], 1.0
	v_fma_f64 v[216:217], v[216:217], v[218:219], v[216:217]
	v_fma_f64 v[218:219], -v[214:215], v[216:217], 1.0
	v_fma_f64 v[216:217], v[216:217], v[218:219], v[216:217]
	v_mul_f64 v[218:219], v[220:221], v[216:217]
	v_fma_f64 v[214:215], -v[214:215], v[218:219], v[220:221]
	v_div_fmas_f64 v[214:215], v[214:215], v[216:217], v[218:219]
	v_div_fixup_f64 v[214:215], v[214:215], v[244:245], v[242:243]
	v_fma_f64 v[216:217], v[242:243], v[214:215], v[244:245]
	v_div_scale_f64 v[218:219], null, v[216:217], v[216:217], 1.0
	v_rcp_f64_e32 v[220:221], v[218:219]
	v_fma_f64 v[222:223], -v[218:219], v[220:221], 1.0
	v_fma_f64 v[220:221], v[220:221], v[222:223], v[220:221]
	v_fma_f64 v[222:223], -v[218:219], v[220:221], 1.0
	v_fma_f64 v[220:221], v[220:221], v[222:223], v[220:221]
	v_div_scale_f64 v[222:223], vcc_lo, 1.0, v[216:217], 1.0
	v_mul_f64 v[224:225], v[222:223], v[220:221]
	v_fma_f64 v[218:219], -v[218:219], v[224:225], v[222:223]
	v_div_fmas_f64 v[218:219], v[218:219], v[220:221], v[224:225]
	v_div_fixup_f64 v[244:245], v[218:219], v[216:217], 1.0
	v_mul_f64 v[242:243], v[214:215], v[244:245]
	v_xor_b32_e32 v245, 0x80000000, v245
.LBB118_1144:
	s_andn2_saveexec_b32 s1, s1
	s_cbranch_execz .LBB118_1146
; %bb.1145:
	v_div_scale_f64 v[214:215], null, v[242:243], v[242:243], v[244:245]
	v_div_scale_f64 v[220:221], vcc_lo, v[244:245], v[242:243], v[244:245]
	v_rcp_f64_e32 v[216:217], v[214:215]
	v_fma_f64 v[218:219], -v[214:215], v[216:217], 1.0
	v_fma_f64 v[216:217], v[216:217], v[218:219], v[216:217]
	v_fma_f64 v[218:219], -v[214:215], v[216:217], 1.0
	v_fma_f64 v[216:217], v[216:217], v[218:219], v[216:217]
	v_mul_f64 v[218:219], v[220:221], v[216:217]
	v_fma_f64 v[214:215], -v[214:215], v[218:219], v[220:221]
	v_div_fmas_f64 v[214:215], v[214:215], v[216:217], v[218:219]
	v_div_fixup_f64 v[214:215], v[214:215], v[242:243], v[244:245]
	v_fma_f64 v[216:217], v[244:245], v[214:215], v[242:243]
	v_div_scale_f64 v[218:219], null, v[216:217], v[216:217], 1.0
	v_rcp_f64_e32 v[220:221], v[218:219]
	v_fma_f64 v[222:223], -v[218:219], v[220:221], 1.0
	v_fma_f64 v[220:221], v[220:221], v[222:223], v[220:221]
	v_fma_f64 v[222:223], -v[218:219], v[220:221], 1.0
	v_fma_f64 v[220:221], v[220:221], v[222:223], v[220:221]
	v_div_scale_f64 v[222:223], vcc_lo, 1.0, v[216:217], 1.0
	v_mul_f64 v[224:225], v[222:223], v[220:221]
	v_fma_f64 v[218:219], -v[218:219], v[224:225], v[222:223]
	v_div_fmas_f64 v[218:219], v[218:219], v[220:221], v[224:225]
	v_div_fixup_f64 v[242:243], v[218:219], v[216:217], 1.0
	v_mul_f64 v[244:245], v[214:215], -v[242:243]
.LBB118_1146:
	s_or_b32 exec_lo, exec_lo, s1
.LBB118_1147:
	s_or_b32 exec_lo, exec_lo, s0
	s_mov_b32 s0, exec_lo
	v_cmpx_ne_u32_e64 v0, v250
	s_xor_b32 s0, exec_lo, s0
	s_cbranch_execz .LBB118_1153
; %bb.1148:
	s_mov_b32 s1, exec_lo
	v_cmpx_eq_u32_e32 54, v0
	s_cbranch_execz .LBB118_1152
; %bb.1149:
	v_cmp_ne_u32_e32 vcc_lo, 54, v250
	s_xor_b32 s7, s16, -1
	s_and_b32 s9, s7, vcc_lo
	s_and_saveexec_b32 s7, s9
	s_cbranch_execz .LBB118_1151
; %bb.1150:
	s_clause 0x1
	buffer_load_dword v210, off, s[20:23], 0 offset:16
	buffer_load_dword v211, off, s[20:23], 0 offset:20
	v_ashrrev_i32_e32 v251, 31, v250
	v_lshlrev_b64 v[214:215], 2, v[250:251]
	s_waitcnt vmcnt(1)
	v_add_co_u32 v214, vcc_lo, v210, v214
	s_waitcnt vmcnt(0)
	v_add_co_ci_u32_e64 v215, null, v211, v215, vcc_lo
	s_clause 0x1
	global_load_dword v0, v[214:215], off
	global_load_dword v216, v[210:211], off offset:216
	s_waitcnt vmcnt(1)
	global_store_dword v[210:211], v0, off offset:216
	s_waitcnt vmcnt(0)
	global_store_dword v[214:215], v216, off
.LBB118_1151:
	s_or_b32 exec_lo, exec_lo, s7
	v_mov_b32_e32 v0, v250
	v_mov_b32_e32 v253, v250
.LBB118_1152:
	s_or_b32 exec_lo, exec_lo, s1
.LBB118_1153:
	s_andn2_saveexec_b32 s0, s0
	s_cbranch_execz .LBB118_1155
; %bb.1154:
	v_mov_b32_e32 v0, 54
	ds_write2_b64 v1, v[18:19], v[20:21] offset0:110 offset1:111
	ds_write2_b64 v1, v[14:15], v[16:17] offset0:112 offset1:113
	;; [unrolled: 1-line block ×5, first 2 shown]
.LBB118_1155:
	s_or_b32 exec_lo, exec_lo, s0
	s_mov_b32 s0, exec_lo
	s_waitcnt lgkmcnt(0)
	s_waitcnt_vscnt null, 0x0
	s_barrier
	buffer_gl0_inv
	v_cmpx_lt_i32_e32 54, v0
	s_cbranch_execz .LBB118_1157
; %bb.1156:
	v_mul_f64 v[214:215], v[242:243], v[24:25]
	v_mul_f64 v[24:25], v[244:245], v[24:25]
	ds_read2_b64 v[234:237], v1 offset0:110 offset1:111
	v_fma_f64 v[214:215], v[244:245], v[22:23], v[214:215]
	v_fma_f64 v[22:23], v[242:243], v[22:23], -v[24:25]
	s_waitcnt lgkmcnt(0)
	v_mul_f64 v[24:25], v[236:237], v[214:215]
	v_mul_f64 v[216:217], v[234:235], v[214:215]
	v_fma_f64 v[24:25], v[234:235], v[22:23], -v[24:25]
	v_fma_f64 v[216:217], v[236:237], v[22:23], v[216:217]
	ds_read2_b64 v[234:237], v1 offset0:112 offset1:113
	v_add_f64 v[18:19], v[18:19], -v[24:25]
	v_add_f64 v[20:21], v[20:21], -v[216:217]
	s_waitcnt lgkmcnt(0)
	v_mul_f64 v[24:25], v[236:237], v[214:215]
	v_mul_f64 v[216:217], v[234:235], v[214:215]
	v_fma_f64 v[24:25], v[234:235], v[22:23], -v[24:25]
	v_fma_f64 v[216:217], v[236:237], v[22:23], v[216:217]
	ds_read2_b64 v[234:237], v1 offset0:114 offset1:115
	v_add_f64 v[14:15], v[14:15], -v[24:25]
	v_add_f64 v[16:17], v[16:17], -v[216:217]
	;; [unrolled: 8-line block ×4, first 2 shown]
	s_waitcnt lgkmcnt(0)
	v_mul_f64 v[24:25], v[236:237], v[214:215]
	v_mul_f64 v[216:217], v[234:235], v[214:215]
	v_fma_f64 v[24:25], v[234:235], v[22:23], -v[24:25]
	v_fma_f64 v[216:217], v[236:237], v[22:23], v[216:217]
	v_add_f64 v[226:227], v[226:227], -v[24:25]
	v_add_f64 v[228:229], v[228:229], -v[216:217]
	v_mov_b32_e32 v24, v214
	v_mov_b32_e32 v25, v215
.LBB118_1157:
	s_or_b32 exec_lo, exec_lo, s0
	v_lshl_add_u32 v214, v0, 4, v1
	s_barrier
	buffer_gl0_inv
	v_mov_b32_e32 v250, 55
	ds_write2_b64 v214, v[18:19], v[20:21] offset1:1
	s_waitcnt lgkmcnt(0)
	s_barrier
	buffer_gl0_inv
	ds_read2_b64 v[242:245], v1 offset0:110 offset1:111
	s_cmp_lt_i32 s8, 57
	s_cbranch_scc1 .LBB118_1160
; %bb.1158:
	v_add3_u32 v247, v246, 0, 0x380
	v_mov_b32_e32 v250, 55
	s_mov_b32 s0, 56
	s_inst_prefetch 0x1
	.p2align	6
.LBB118_1159:                           ; =>This Inner Loop Header: Depth=1
	s_waitcnt lgkmcnt(0)
	v_cmp_gt_f64_e32 vcc_lo, 0, v[242:243]
	v_xor_b32_e32 v214, 0x80000000, v243
	ds_read2_b64 v[234:237], v247 offset1:1
	v_xor_b32_e32 v216, 0x80000000, v245
	v_add_nc_u32_e32 v247, 16, v247
	s_waitcnt lgkmcnt(0)
	v_xor_b32_e32 v218, 0x80000000, v237
	v_cndmask_b32_e32 v215, v243, v214, vcc_lo
	v_cmp_gt_f64_e32 vcc_lo, 0, v[244:245]
	v_mov_b32_e32 v214, v242
	v_cndmask_b32_e32 v217, v245, v216, vcc_lo
	v_cmp_gt_f64_e32 vcc_lo, 0, v[234:235]
	v_mov_b32_e32 v216, v244
	v_add_f64 v[214:215], v[214:215], v[216:217]
	v_xor_b32_e32 v216, 0x80000000, v235
	v_cndmask_b32_e32 v217, v235, v216, vcc_lo
	v_cmp_gt_f64_e32 vcc_lo, 0, v[236:237]
	v_mov_b32_e32 v216, v234
	v_cndmask_b32_e32 v219, v237, v218, vcc_lo
	v_mov_b32_e32 v218, v236
	v_add_f64 v[216:217], v[216:217], v[218:219]
	v_cmp_lt_f64_e32 vcc_lo, v[214:215], v[216:217]
	v_cndmask_b32_e32 v243, v243, v235, vcc_lo
	v_cndmask_b32_e32 v242, v242, v234, vcc_lo
	;; [unrolled: 1-line block ×4, first 2 shown]
	v_cndmask_b32_e64 v250, v250, s0, vcc_lo
	s_add_i32 s0, s0, 1
	s_cmp_lg_u32 s8, s0
	s_cbranch_scc1 .LBB118_1159
.LBB118_1160:
	s_inst_prefetch 0x2
	s_waitcnt lgkmcnt(0)
	v_cmp_eq_f64_e32 vcc_lo, 0, v[242:243]
	v_cmp_eq_f64_e64 s0, 0, v[244:245]
	s_and_b32 s0, vcc_lo, s0
	s_and_saveexec_b32 s1, s0
	s_xor_b32 s0, exec_lo, s1
; %bb.1161:
	v_cmp_ne_u32_e32 vcc_lo, 0, v255
	v_cndmask_b32_e32 v255, 56, v255, vcc_lo
; %bb.1162:
	s_andn2_saveexec_b32 s0, s0
	s_cbranch_execz .LBB118_1168
; %bb.1163:
	v_cmp_ngt_f64_e64 s1, |v[242:243]|, |v[244:245]|
	s_and_saveexec_b32 s7, s1
	s_xor_b32 s1, exec_lo, s7
	s_cbranch_execz .LBB118_1165
; %bb.1164:
	v_div_scale_f64 v[214:215], null, v[244:245], v[244:245], v[242:243]
	v_div_scale_f64 v[220:221], vcc_lo, v[242:243], v[244:245], v[242:243]
	v_rcp_f64_e32 v[216:217], v[214:215]
	v_fma_f64 v[218:219], -v[214:215], v[216:217], 1.0
	v_fma_f64 v[216:217], v[216:217], v[218:219], v[216:217]
	v_fma_f64 v[218:219], -v[214:215], v[216:217], 1.0
	v_fma_f64 v[216:217], v[216:217], v[218:219], v[216:217]
	v_mul_f64 v[218:219], v[220:221], v[216:217]
	v_fma_f64 v[214:215], -v[214:215], v[218:219], v[220:221]
	v_div_fmas_f64 v[214:215], v[214:215], v[216:217], v[218:219]
	v_div_fixup_f64 v[214:215], v[214:215], v[244:245], v[242:243]
	v_fma_f64 v[216:217], v[242:243], v[214:215], v[244:245]
	v_div_scale_f64 v[218:219], null, v[216:217], v[216:217], 1.0
	v_rcp_f64_e32 v[220:221], v[218:219]
	v_fma_f64 v[222:223], -v[218:219], v[220:221], 1.0
	v_fma_f64 v[220:221], v[220:221], v[222:223], v[220:221]
	v_fma_f64 v[222:223], -v[218:219], v[220:221], 1.0
	v_fma_f64 v[220:221], v[220:221], v[222:223], v[220:221]
	v_div_scale_f64 v[222:223], vcc_lo, 1.0, v[216:217], 1.0
	v_mul_f64 v[224:225], v[222:223], v[220:221]
	v_fma_f64 v[218:219], -v[218:219], v[224:225], v[222:223]
	v_div_fmas_f64 v[218:219], v[218:219], v[220:221], v[224:225]
	v_div_fixup_f64 v[244:245], v[218:219], v[216:217], 1.0
	v_mul_f64 v[242:243], v[214:215], v[244:245]
	v_xor_b32_e32 v245, 0x80000000, v245
.LBB118_1165:
	s_andn2_saveexec_b32 s1, s1
	s_cbranch_execz .LBB118_1167
; %bb.1166:
	v_div_scale_f64 v[214:215], null, v[242:243], v[242:243], v[244:245]
	v_div_scale_f64 v[220:221], vcc_lo, v[244:245], v[242:243], v[244:245]
	v_rcp_f64_e32 v[216:217], v[214:215]
	v_fma_f64 v[218:219], -v[214:215], v[216:217], 1.0
	v_fma_f64 v[216:217], v[216:217], v[218:219], v[216:217]
	v_fma_f64 v[218:219], -v[214:215], v[216:217], 1.0
	v_fma_f64 v[216:217], v[216:217], v[218:219], v[216:217]
	v_mul_f64 v[218:219], v[220:221], v[216:217]
	v_fma_f64 v[214:215], -v[214:215], v[218:219], v[220:221]
	v_div_fmas_f64 v[214:215], v[214:215], v[216:217], v[218:219]
	v_div_fixup_f64 v[214:215], v[214:215], v[242:243], v[244:245]
	v_fma_f64 v[216:217], v[244:245], v[214:215], v[242:243]
	v_div_scale_f64 v[218:219], null, v[216:217], v[216:217], 1.0
	v_rcp_f64_e32 v[220:221], v[218:219]
	v_fma_f64 v[222:223], -v[218:219], v[220:221], 1.0
	v_fma_f64 v[220:221], v[220:221], v[222:223], v[220:221]
	v_fma_f64 v[222:223], -v[218:219], v[220:221], 1.0
	v_fma_f64 v[220:221], v[220:221], v[222:223], v[220:221]
	v_div_scale_f64 v[222:223], vcc_lo, 1.0, v[216:217], 1.0
	v_mul_f64 v[224:225], v[222:223], v[220:221]
	v_fma_f64 v[218:219], -v[218:219], v[224:225], v[222:223]
	v_div_fmas_f64 v[218:219], v[218:219], v[220:221], v[224:225]
	v_div_fixup_f64 v[242:243], v[218:219], v[216:217], 1.0
	v_mul_f64 v[244:245], v[214:215], -v[242:243]
.LBB118_1167:
	s_or_b32 exec_lo, exec_lo, s1
.LBB118_1168:
	s_or_b32 exec_lo, exec_lo, s0
	s_mov_b32 s0, exec_lo
	v_cmpx_ne_u32_e64 v0, v250
	s_xor_b32 s0, exec_lo, s0
	s_cbranch_execz .LBB118_1174
; %bb.1169:
	s_mov_b32 s1, exec_lo
	v_cmpx_eq_u32_e32 55, v0
	s_cbranch_execz .LBB118_1173
; %bb.1170:
	v_cmp_ne_u32_e32 vcc_lo, 55, v250
	s_xor_b32 s7, s16, -1
	s_and_b32 s9, s7, vcc_lo
	s_and_saveexec_b32 s7, s9
	s_cbranch_execz .LBB118_1172
; %bb.1171:
	s_clause 0x1
	buffer_load_dword v210, off, s[20:23], 0 offset:16
	buffer_load_dword v211, off, s[20:23], 0 offset:20
	v_ashrrev_i32_e32 v251, 31, v250
	v_lshlrev_b64 v[214:215], 2, v[250:251]
	s_waitcnt vmcnt(1)
	v_add_co_u32 v214, vcc_lo, v210, v214
	s_waitcnt vmcnt(0)
	v_add_co_ci_u32_e64 v215, null, v211, v215, vcc_lo
	s_clause 0x1
	global_load_dword v0, v[214:215], off
	global_load_dword v216, v[210:211], off offset:220
	s_waitcnt vmcnt(1)
	global_store_dword v[210:211], v0, off offset:220
	s_waitcnt vmcnt(0)
	global_store_dword v[214:215], v216, off
.LBB118_1172:
	s_or_b32 exec_lo, exec_lo, s7
	v_mov_b32_e32 v0, v250
	v_mov_b32_e32 v253, v250
.LBB118_1173:
	s_or_b32 exec_lo, exec_lo, s1
.LBB118_1174:
	s_andn2_saveexec_b32 s0, s0
	s_cbranch_execz .LBB118_1176
; %bb.1175:
	v_mov_b32_e32 v0, 55
	ds_write2_b64 v1, v[14:15], v[16:17] offset0:112 offset1:113
	ds_write2_b64 v1, v[10:11], v[12:13] offset0:114 offset1:115
	;; [unrolled: 1-line block ×4, first 2 shown]
.LBB118_1176:
	s_or_b32 exec_lo, exec_lo, s0
	s_mov_b32 s0, exec_lo
	s_waitcnt lgkmcnt(0)
	s_waitcnt_vscnt null, 0x0
	s_barrier
	buffer_gl0_inv
	v_cmpx_lt_i32_e32 55, v0
	s_cbranch_execz .LBB118_1178
; %bb.1177:
	v_mul_f64 v[214:215], v[242:243], v[20:21]
	v_mul_f64 v[20:21], v[244:245], v[20:21]
	ds_read2_b64 v[234:237], v1 offset0:112 offset1:113
	v_fma_f64 v[214:215], v[244:245], v[18:19], v[214:215]
	v_fma_f64 v[18:19], v[242:243], v[18:19], -v[20:21]
	s_waitcnt lgkmcnt(0)
	v_mul_f64 v[20:21], v[236:237], v[214:215]
	v_mul_f64 v[216:217], v[234:235], v[214:215]
	v_fma_f64 v[20:21], v[234:235], v[18:19], -v[20:21]
	v_fma_f64 v[216:217], v[236:237], v[18:19], v[216:217]
	ds_read2_b64 v[234:237], v1 offset0:114 offset1:115
	v_add_f64 v[14:15], v[14:15], -v[20:21]
	v_add_f64 v[16:17], v[16:17], -v[216:217]
	s_waitcnt lgkmcnt(0)
	v_mul_f64 v[20:21], v[236:237], v[214:215]
	v_mul_f64 v[216:217], v[234:235], v[214:215]
	v_fma_f64 v[20:21], v[234:235], v[18:19], -v[20:21]
	v_fma_f64 v[216:217], v[236:237], v[18:19], v[216:217]
	ds_read2_b64 v[234:237], v1 offset0:116 offset1:117
	v_add_f64 v[10:11], v[10:11], -v[20:21]
	v_add_f64 v[12:13], v[12:13], -v[216:217]
	;; [unrolled: 8-line block ×3, first 2 shown]
	s_waitcnt lgkmcnt(0)
	v_mul_f64 v[20:21], v[236:237], v[214:215]
	v_mul_f64 v[216:217], v[234:235], v[214:215]
	v_fma_f64 v[20:21], v[234:235], v[18:19], -v[20:21]
	v_fma_f64 v[216:217], v[236:237], v[18:19], v[216:217]
	v_add_f64 v[226:227], v[226:227], -v[20:21]
	v_add_f64 v[228:229], v[228:229], -v[216:217]
	v_mov_b32_e32 v20, v214
	v_mov_b32_e32 v21, v215
.LBB118_1178:
	s_or_b32 exec_lo, exec_lo, s0
	v_lshl_add_u32 v214, v0, 4, v1
	s_barrier
	buffer_gl0_inv
	v_mov_b32_e32 v250, 56
	ds_write2_b64 v214, v[14:15], v[16:17] offset1:1
	s_waitcnt lgkmcnt(0)
	s_barrier
	buffer_gl0_inv
	ds_read2_b64 v[242:245], v1 offset0:112 offset1:113
	s_cmp_lt_i32 s8, 58
	s_cbranch_scc1 .LBB118_1181
; %bb.1179:
	v_add3_u32 v247, v246, 0, 0x390
	v_mov_b32_e32 v250, 56
	s_mov_b32 s0, 57
	s_inst_prefetch 0x1
	.p2align	6
.LBB118_1180:                           ; =>This Inner Loop Header: Depth=1
	s_waitcnt lgkmcnt(0)
	v_cmp_gt_f64_e32 vcc_lo, 0, v[242:243]
	v_xor_b32_e32 v214, 0x80000000, v243
	ds_read2_b64 v[234:237], v247 offset1:1
	v_xor_b32_e32 v216, 0x80000000, v245
	v_add_nc_u32_e32 v247, 16, v247
	s_waitcnt lgkmcnt(0)
	v_xor_b32_e32 v218, 0x80000000, v237
	v_cndmask_b32_e32 v215, v243, v214, vcc_lo
	v_cmp_gt_f64_e32 vcc_lo, 0, v[244:245]
	v_mov_b32_e32 v214, v242
	v_cndmask_b32_e32 v217, v245, v216, vcc_lo
	v_cmp_gt_f64_e32 vcc_lo, 0, v[234:235]
	v_mov_b32_e32 v216, v244
	v_add_f64 v[214:215], v[214:215], v[216:217]
	v_xor_b32_e32 v216, 0x80000000, v235
	v_cndmask_b32_e32 v217, v235, v216, vcc_lo
	v_cmp_gt_f64_e32 vcc_lo, 0, v[236:237]
	v_mov_b32_e32 v216, v234
	v_cndmask_b32_e32 v219, v237, v218, vcc_lo
	v_mov_b32_e32 v218, v236
	v_add_f64 v[216:217], v[216:217], v[218:219]
	v_cmp_lt_f64_e32 vcc_lo, v[214:215], v[216:217]
	v_cndmask_b32_e32 v243, v243, v235, vcc_lo
	v_cndmask_b32_e32 v242, v242, v234, vcc_lo
	;; [unrolled: 1-line block ×4, first 2 shown]
	v_cndmask_b32_e64 v250, v250, s0, vcc_lo
	s_add_i32 s0, s0, 1
	s_cmp_lg_u32 s8, s0
	s_cbranch_scc1 .LBB118_1180
.LBB118_1181:
	s_inst_prefetch 0x2
	s_waitcnt lgkmcnt(0)
	v_cmp_eq_f64_e32 vcc_lo, 0, v[242:243]
	v_cmp_eq_f64_e64 s0, 0, v[244:245]
	s_and_b32 s0, vcc_lo, s0
	s_and_saveexec_b32 s1, s0
	s_xor_b32 s0, exec_lo, s1
; %bb.1182:
	v_cmp_ne_u32_e32 vcc_lo, 0, v255
	v_cndmask_b32_e32 v255, 57, v255, vcc_lo
; %bb.1183:
	s_andn2_saveexec_b32 s0, s0
	s_cbranch_execz .LBB118_1189
; %bb.1184:
	v_cmp_ngt_f64_e64 s1, |v[242:243]|, |v[244:245]|
	s_and_saveexec_b32 s7, s1
	s_xor_b32 s1, exec_lo, s7
	s_cbranch_execz .LBB118_1186
; %bb.1185:
	v_div_scale_f64 v[214:215], null, v[244:245], v[244:245], v[242:243]
	v_div_scale_f64 v[220:221], vcc_lo, v[242:243], v[244:245], v[242:243]
	v_rcp_f64_e32 v[216:217], v[214:215]
	v_fma_f64 v[218:219], -v[214:215], v[216:217], 1.0
	v_fma_f64 v[216:217], v[216:217], v[218:219], v[216:217]
	v_fma_f64 v[218:219], -v[214:215], v[216:217], 1.0
	v_fma_f64 v[216:217], v[216:217], v[218:219], v[216:217]
	v_mul_f64 v[218:219], v[220:221], v[216:217]
	v_fma_f64 v[214:215], -v[214:215], v[218:219], v[220:221]
	v_div_fmas_f64 v[214:215], v[214:215], v[216:217], v[218:219]
	v_div_fixup_f64 v[214:215], v[214:215], v[244:245], v[242:243]
	v_fma_f64 v[216:217], v[242:243], v[214:215], v[244:245]
	v_div_scale_f64 v[218:219], null, v[216:217], v[216:217], 1.0
	v_rcp_f64_e32 v[220:221], v[218:219]
	v_fma_f64 v[222:223], -v[218:219], v[220:221], 1.0
	v_fma_f64 v[220:221], v[220:221], v[222:223], v[220:221]
	v_fma_f64 v[222:223], -v[218:219], v[220:221], 1.0
	v_fma_f64 v[220:221], v[220:221], v[222:223], v[220:221]
	v_div_scale_f64 v[222:223], vcc_lo, 1.0, v[216:217], 1.0
	v_mul_f64 v[224:225], v[222:223], v[220:221]
	v_fma_f64 v[218:219], -v[218:219], v[224:225], v[222:223]
	v_div_fmas_f64 v[218:219], v[218:219], v[220:221], v[224:225]
	v_div_fixup_f64 v[244:245], v[218:219], v[216:217], 1.0
	v_mul_f64 v[242:243], v[214:215], v[244:245]
	v_xor_b32_e32 v245, 0x80000000, v245
.LBB118_1186:
	s_andn2_saveexec_b32 s1, s1
	s_cbranch_execz .LBB118_1188
; %bb.1187:
	v_div_scale_f64 v[214:215], null, v[242:243], v[242:243], v[244:245]
	v_div_scale_f64 v[220:221], vcc_lo, v[244:245], v[242:243], v[244:245]
	v_rcp_f64_e32 v[216:217], v[214:215]
	v_fma_f64 v[218:219], -v[214:215], v[216:217], 1.0
	v_fma_f64 v[216:217], v[216:217], v[218:219], v[216:217]
	v_fma_f64 v[218:219], -v[214:215], v[216:217], 1.0
	v_fma_f64 v[216:217], v[216:217], v[218:219], v[216:217]
	v_mul_f64 v[218:219], v[220:221], v[216:217]
	v_fma_f64 v[214:215], -v[214:215], v[218:219], v[220:221]
	v_div_fmas_f64 v[214:215], v[214:215], v[216:217], v[218:219]
	v_div_fixup_f64 v[214:215], v[214:215], v[242:243], v[244:245]
	v_fma_f64 v[216:217], v[244:245], v[214:215], v[242:243]
	v_div_scale_f64 v[218:219], null, v[216:217], v[216:217], 1.0
	v_rcp_f64_e32 v[220:221], v[218:219]
	v_fma_f64 v[222:223], -v[218:219], v[220:221], 1.0
	v_fma_f64 v[220:221], v[220:221], v[222:223], v[220:221]
	v_fma_f64 v[222:223], -v[218:219], v[220:221], 1.0
	v_fma_f64 v[220:221], v[220:221], v[222:223], v[220:221]
	v_div_scale_f64 v[222:223], vcc_lo, 1.0, v[216:217], 1.0
	v_mul_f64 v[224:225], v[222:223], v[220:221]
	v_fma_f64 v[218:219], -v[218:219], v[224:225], v[222:223]
	v_div_fmas_f64 v[218:219], v[218:219], v[220:221], v[224:225]
	v_div_fixup_f64 v[242:243], v[218:219], v[216:217], 1.0
	v_mul_f64 v[244:245], v[214:215], -v[242:243]
.LBB118_1188:
	s_or_b32 exec_lo, exec_lo, s1
.LBB118_1189:
	s_or_b32 exec_lo, exec_lo, s0
	s_mov_b32 s0, exec_lo
	v_cmpx_ne_u32_e64 v0, v250
	s_xor_b32 s0, exec_lo, s0
	s_cbranch_execz .LBB118_1195
; %bb.1190:
	s_mov_b32 s1, exec_lo
	v_cmpx_eq_u32_e32 56, v0
	s_cbranch_execz .LBB118_1194
; %bb.1191:
	v_cmp_ne_u32_e32 vcc_lo, 56, v250
	s_xor_b32 s7, s16, -1
	s_and_b32 s9, s7, vcc_lo
	s_and_saveexec_b32 s7, s9
	s_cbranch_execz .LBB118_1193
; %bb.1192:
	s_clause 0x1
	buffer_load_dword v210, off, s[20:23], 0 offset:16
	buffer_load_dword v211, off, s[20:23], 0 offset:20
	v_ashrrev_i32_e32 v251, 31, v250
	v_lshlrev_b64 v[214:215], 2, v[250:251]
	s_waitcnt vmcnt(1)
	v_add_co_u32 v214, vcc_lo, v210, v214
	s_waitcnt vmcnt(0)
	v_add_co_ci_u32_e64 v215, null, v211, v215, vcc_lo
	s_clause 0x1
	global_load_dword v0, v[214:215], off
	global_load_dword v216, v[210:211], off offset:224
	s_waitcnt vmcnt(1)
	global_store_dword v[210:211], v0, off offset:224
	s_waitcnt vmcnt(0)
	global_store_dword v[214:215], v216, off
.LBB118_1193:
	s_or_b32 exec_lo, exec_lo, s7
	v_mov_b32_e32 v0, v250
	v_mov_b32_e32 v253, v250
.LBB118_1194:
	s_or_b32 exec_lo, exec_lo, s1
.LBB118_1195:
	s_andn2_saveexec_b32 s0, s0
	s_cbranch_execz .LBB118_1197
; %bb.1196:
	v_mov_b32_e32 v0, 56
	ds_write2_b64 v1, v[10:11], v[12:13] offset0:114 offset1:115
	ds_write2_b64 v1, v[238:239], v[240:241] offset0:116 offset1:117
	;; [unrolled: 1-line block ×3, first 2 shown]
.LBB118_1197:
	s_or_b32 exec_lo, exec_lo, s0
	s_mov_b32 s0, exec_lo
	s_waitcnt lgkmcnt(0)
	s_waitcnt_vscnt null, 0x0
	s_barrier
	buffer_gl0_inv
	v_cmpx_lt_i32_e32 56, v0
	s_cbranch_execz .LBB118_1199
; %bb.1198:
	v_mul_f64 v[214:215], v[242:243], v[16:17]
	v_mul_f64 v[16:17], v[244:245], v[16:17]
	ds_read2_b64 v[234:237], v1 offset0:114 offset1:115
	v_fma_f64 v[214:215], v[244:245], v[14:15], v[214:215]
	v_fma_f64 v[14:15], v[242:243], v[14:15], -v[16:17]
	s_waitcnt lgkmcnt(0)
	v_mul_f64 v[16:17], v[236:237], v[214:215]
	v_mul_f64 v[216:217], v[234:235], v[214:215]
	v_fma_f64 v[16:17], v[234:235], v[14:15], -v[16:17]
	v_fma_f64 v[216:217], v[236:237], v[14:15], v[216:217]
	ds_read2_b64 v[234:237], v1 offset0:116 offset1:117
	v_add_f64 v[10:11], v[10:11], -v[16:17]
	v_add_f64 v[12:13], v[12:13], -v[216:217]
	s_waitcnt lgkmcnt(0)
	v_mul_f64 v[16:17], v[236:237], v[214:215]
	v_mul_f64 v[216:217], v[234:235], v[214:215]
	v_fma_f64 v[16:17], v[234:235], v[14:15], -v[16:17]
	v_fma_f64 v[216:217], v[236:237], v[14:15], v[216:217]
	ds_read2_b64 v[234:237], v1 offset0:118 offset1:119
	v_add_f64 v[238:239], v[238:239], -v[16:17]
	v_add_f64 v[240:241], v[240:241], -v[216:217]
	s_waitcnt lgkmcnt(0)
	v_mul_f64 v[16:17], v[236:237], v[214:215]
	v_mul_f64 v[216:217], v[234:235], v[214:215]
	v_fma_f64 v[16:17], v[234:235], v[14:15], -v[16:17]
	v_fma_f64 v[216:217], v[236:237], v[14:15], v[216:217]
	v_add_f64 v[226:227], v[226:227], -v[16:17]
	v_add_f64 v[228:229], v[228:229], -v[216:217]
	v_mov_b32_e32 v16, v214
	v_mov_b32_e32 v17, v215
.LBB118_1199:
	s_or_b32 exec_lo, exec_lo, s0
	v_lshl_add_u32 v214, v0, 4, v1
	s_barrier
	buffer_gl0_inv
	v_mov_b32_e32 v250, 57
	ds_write2_b64 v214, v[10:11], v[12:13] offset1:1
	s_waitcnt lgkmcnt(0)
	s_barrier
	buffer_gl0_inv
	ds_read2_b64 v[242:245], v1 offset0:114 offset1:115
	s_cmp_lt_i32 s8, 59
	s_cbranch_scc1 .LBB118_1202
; %bb.1200:
	v_add3_u32 v247, v246, 0, 0x3a0
	v_mov_b32_e32 v250, 57
	s_mov_b32 s0, 58
	s_inst_prefetch 0x1
	.p2align	6
.LBB118_1201:                           ; =>This Inner Loop Header: Depth=1
	s_waitcnt lgkmcnt(0)
	v_cmp_gt_f64_e32 vcc_lo, 0, v[242:243]
	v_xor_b32_e32 v214, 0x80000000, v243
	ds_read2_b64 v[234:237], v247 offset1:1
	v_xor_b32_e32 v216, 0x80000000, v245
	v_add_nc_u32_e32 v247, 16, v247
	s_waitcnt lgkmcnt(0)
	v_xor_b32_e32 v218, 0x80000000, v237
	v_cndmask_b32_e32 v215, v243, v214, vcc_lo
	v_cmp_gt_f64_e32 vcc_lo, 0, v[244:245]
	v_mov_b32_e32 v214, v242
	v_cndmask_b32_e32 v217, v245, v216, vcc_lo
	v_cmp_gt_f64_e32 vcc_lo, 0, v[234:235]
	v_mov_b32_e32 v216, v244
	v_add_f64 v[214:215], v[214:215], v[216:217]
	v_xor_b32_e32 v216, 0x80000000, v235
	v_cndmask_b32_e32 v217, v235, v216, vcc_lo
	v_cmp_gt_f64_e32 vcc_lo, 0, v[236:237]
	v_mov_b32_e32 v216, v234
	v_cndmask_b32_e32 v219, v237, v218, vcc_lo
	v_mov_b32_e32 v218, v236
	v_add_f64 v[216:217], v[216:217], v[218:219]
	v_cmp_lt_f64_e32 vcc_lo, v[214:215], v[216:217]
	v_cndmask_b32_e32 v243, v243, v235, vcc_lo
	v_cndmask_b32_e32 v242, v242, v234, vcc_lo
	;; [unrolled: 1-line block ×4, first 2 shown]
	v_cndmask_b32_e64 v250, v250, s0, vcc_lo
	s_add_i32 s0, s0, 1
	s_cmp_lg_u32 s8, s0
	s_cbranch_scc1 .LBB118_1201
.LBB118_1202:
	s_inst_prefetch 0x2
	s_waitcnt lgkmcnt(0)
	v_cmp_eq_f64_e32 vcc_lo, 0, v[242:243]
	v_cmp_eq_f64_e64 s0, 0, v[244:245]
	s_and_b32 s0, vcc_lo, s0
	s_and_saveexec_b32 s1, s0
	s_xor_b32 s0, exec_lo, s1
; %bb.1203:
	v_cmp_ne_u32_e32 vcc_lo, 0, v255
	v_cndmask_b32_e32 v255, 58, v255, vcc_lo
; %bb.1204:
	s_andn2_saveexec_b32 s0, s0
	s_cbranch_execz .LBB118_1210
; %bb.1205:
	v_cmp_ngt_f64_e64 s1, |v[242:243]|, |v[244:245]|
	s_and_saveexec_b32 s7, s1
	s_xor_b32 s1, exec_lo, s7
	s_cbranch_execz .LBB118_1207
; %bb.1206:
	v_div_scale_f64 v[214:215], null, v[244:245], v[244:245], v[242:243]
	v_div_scale_f64 v[220:221], vcc_lo, v[242:243], v[244:245], v[242:243]
	v_rcp_f64_e32 v[216:217], v[214:215]
	v_fma_f64 v[218:219], -v[214:215], v[216:217], 1.0
	v_fma_f64 v[216:217], v[216:217], v[218:219], v[216:217]
	v_fma_f64 v[218:219], -v[214:215], v[216:217], 1.0
	v_fma_f64 v[216:217], v[216:217], v[218:219], v[216:217]
	v_mul_f64 v[218:219], v[220:221], v[216:217]
	v_fma_f64 v[214:215], -v[214:215], v[218:219], v[220:221]
	v_div_fmas_f64 v[214:215], v[214:215], v[216:217], v[218:219]
	v_div_fixup_f64 v[214:215], v[214:215], v[244:245], v[242:243]
	v_fma_f64 v[216:217], v[242:243], v[214:215], v[244:245]
	v_div_scale_f64 v[218:219], null, v[216:217], v[216:217], 1.0
	v_rcp_f64_e32 v[220:221], v[218:219]
	v_fma_f64 v[222:223], -v[218:219], v[220:221], 1.0
	v_fma_f64 v[220:221], v[220:221], v[222:223], v[220:221]
	v_fma_f64 v[222:223], -v[218:219], v[220:221], 1.0
	v_fma_f64 v[220:221], v[220:221], v[222:223], v[220:221]
	v_div_scale_f64 v[222:223], vcc_lo, 1.0, v[216:217], 1.0
	v_mul_f64 v[224:225], v[222:223], v[220:221]
	v_fma_f64 v[218:219], -v[218:219], v[224:225], v[222:223]
	v_div_fmas_f64 v[218:219], v[218:219], v[220:221], v[224:225]
	v_div_fixup_f64 v[244:245], v[218:219], v[216:217], 1.0
	v_mul_f64 v[242:243], v[214:215], v[244:245]
	v_xor_b32_e32 v245, 0x80000000, v245
.LBB118_1207:
	s_andn2_saveexec_b32 s1, s1
	s_cbranch_execz .LBB118_1209
; %bb.1208:
	v_div_scale_f64 v[214:215], null, v[242:243], v[242:243], v[244:245]
	v_div_scale_f64 v[220:221], vcc_lo, v[244:245], v[242:243], v[244:245]
	v_rcp_f64_e32 v[216:217], v[214:215]
	v_fma_f64 v[218:219], -v[214:215], v[216:217], 1.0
	v_fma_f64 v[216:217], v[216:217], v[218:219], v[216:217]
	v_fma_f64 v[218:219], -v[214:215], v[216:217], 1.0
	v_fma_f64 v[216:217], v[216:217], v[218:219], v[216:217]
	v_mul_f64 v[218:219], v[220:221], v[216:217]
	v_fma_f64 v[214:215], -v[214:215], v[218:219], v[220:221]
	v_div_fmas_f64 v[214:215], v[214:215], v[216:217], v[218:219]
	v_div_fixup_f64 v[214:215], v[214:215], v[242:243], v[244:245]
	v_fma_f64 v[216:217], v[244:245], v[214:215], v[242:243]
	v_div_scale_f64 v[218:219], null, v[216:217], v[216:217], 1.0
	v_rcp_f64_e32 v[220:221], v[218:219]
	v_fma_f64 v[222:223], -v[218:219], v[220:221], 1.0
	v_fma_f64 v[220:221], v[220:221], v[222:223], v[220:221]
	v_fma_f64 v[222:223], -v[218:219], v[220:221], 1.0
	v_fma_f64 v[220:221], v[220:221], v[222:223], v[220:221]
	v_div_scale_f64 v[222:223], vcc_lo, 1.0, v[216:217], 1.0
	v_mul_f64 v[224:225], v[222:223], v[220:221]
	v_fma_f64 v[218:219], -v[218:219], v[224:225], v[222:223]
	v_div_fmas_f64 v[218:219], v[218:219], v[220:221], v[224:225]
	v_div_fixup_f64 v[242:243], v[218:219], v[216:217], 1.0
	v_mul_f64 v[244:245], v[214:215], -v[242:243]
.LBB118_1209:
	s_or_b32 exec_lo, exec_lo, s1
.LBB118_1210:
	s_or_b32 exec_lo, exec_lo, s0
	s_mov_b32 s0, exec_lo
	v_cmpx_ne_u32_e64 v0, v250
	s_xor_b32 s0, exec_lo, s0
	s_cbranch_execz .LBB118_1216
; %bb.1211:
	s_mov_b32 s1, exec_lo
	v_cmpx_eq_u32_e32 57, v0
	s_cbranch_execz .LBB118_1215
; %bb.1212:
	v_cmp_ne_u32_e32 vcc_lo, 57, v250
	s_xor_b32 s7, s16, -1
	s_and_b32 s9, s7, vcc_lo
	s_and_saveexec_b32 s7, s9
	s_cbranch_execz .LBB118_1214
; %bb.1213:
	s_clause 0x1
	buffer_load_dword v210, off, s[20:23], 0 offset:16
	buffer_load_dword v211, off, s[20:23], 0 offset:20
	v_ashrrev_i32_e32 v251, 31, v250
	v_lshlrev_b64 v[214:215], 2, v[250:251]
	s_waitcnt vmcnt(1)
	v_add_co_u32 v214, vcc_lo, v210, v214
	s_waitcnt vmcnt(0)
	v_add_co_ci_u32_e64 v215, null, v211, v215, vcc_lo
	s_clause 0x1
	global_load_dword v0, v[214:215], off
	global_load_dword v216, v[210:211], off offset:228
	s_waitcnt vmcnt(1)
	global_store_dword v[210:211], v0, off offset:228
	s_waitcnt vmcnt(0)
	global_store_dword v[214:215], v216, off
.LBB118_1214:
	s_or_b32 exec_lo, exec_lo, s7
	v_mov_b32_e32 v0, v250
	v_mov_b32_e32 v253, v250
.LBB118_1215:
	s_or_b32 exec_lo, exec_lo, s1
.LBB118_1216:
	s_andn2_saveexec_b32 s0, s0
	s_cbranch_execz .LBB118_1218
; %bb.1217:
	v_mov_b32_e32 v0, 57
	ds_write2_b64 v1, v[238:239], v[240:241] offset0:116 offset1:117
	ds_write2_b64 v1, v[226:227], v[228:229] offset0:118 offset1:119
.LBB118_1218:
	s_or_b32 exec_lo, exec_lo, s0
	s_mov_b32 s0, exec_lo
	s_waitcnt lgkmcnt(0)
	s_waitcnt_vscnt null, 0x0
	s_barrier
	buffer_gl0_inv
	v_cmpx_lt_i32_e32 57, v0
	s_cbranch_execz .LBB118_1220
; %bb.1219:
	v_mul_f64 v[214:215], v[242:243], v[12:13]
	v_mul_f64 v[12:13], v[244:245], v[12:13]
	ds_read2_b64 v[234:237], v1 offset0:116 offset1:117
	v_fma_f64 v[214:215], v[244:245], v[10:11], v[214:215]
	v_fma_f64 v[10:11], v[242:243], v[10:11], -v[12:13]
	s_waitcnt lgkmcnt(0)
	v_mul_f64 v[12:13], v[236:237], v[214:215]
	v_mul_f64 v[216:217], v[234:235], v[214:215]
	v_fma_f64 v[12:13], v[234:235], v[10:11], -v[12:13]
	v_fma_f64 v[216:217], v[236:237], v[10:11], v[216:217]
	ds_read2_b64 v[234:237], v1 offset0:118 offset1:119
	v_add_f64 v[238:239], v[238:239], -v[12:13]
	v_add_f64 v[240:241], v[240:241], -v[216:217]
	s_waitcnt lgkmcnt(0)
	v_mul_f64 v[12:13], v[236:237], v[214:215]
	v_mul_f64 v[216:217], v[234:235], v[214:215]
	v_fma_f64 v[12:13], v[234:235], v[10:11], -v[12:13]
	v_fma_f64 v[216:217], v[236:237], v[10:11], v[216:217]
	v_add_f64 v[226:227], v[226:227], -v[12:13]
	v_add_f64 v[228:229], v[228:229], -v[216:217]
	v_mov_b32_e32 v12, v214
	v_mov_b32_e32 v13, v215
.LBB118_1220:
	s_or_b32 exec_lo, exec_lo, s0
	v_lshl_add_u32 v214, v0, 4, v1
	s_barrier
	buffer_gl0_inv
	v_mov_b32_e32 v250, 58
	ds_write2_b64 v214, v[238:239], v[240:241] offset1:1
	s_waitcnt lgkmcnt(0)
	s_barrier
	buffer_gl0_inv
	ds_read2_b64 v[242:245], v1 offset0:116 offset1:117
	s_cmp_lt_i32 s8, 60
	s_cbranch_scc1 .LBB118_1223
; %bb.1221:
	v_add3_u32 v247, v246, 0, 0x3b0
	v_mov_b32_e32 v250, 58
	s_mov_b32 s0, 59
	s_inst_prefetch 0x1
	.p2align	6
.LBB118_1222:                           ; =>This Inner Loop Header: Depth=1
	s_waitcnt lgkmcnt(0)
	v_cmp_gt_f64_e32 vcc_lo, 0, v[242:243]
	v_xor_b32_e32 v214, 0x80000000, v243
	ds_read2_b64 v[234:237], v247 offset1:1
	v_xor_b32_e32 v216, 0x80000000, v245
	v_add_nc_u32_e32 v247, 16, v247
	s_waitcnt lgkmcnt(0)
	v_xor_b32_e32 v218, 0x80000000, v237
	v_cndmask_b32_e32 v215, v243, v214, vcc_lo
	v_cmp_gt_f64_e32 vcc_lo, 0, v[244:245]
	v_mov_b32_e32 v214, v242
	v_cndmask_b32_e32 v217, v245, v216, vcc_lo
	v_cmp_gt_f64_e32 vcc_lo, 0, v[234:235]
	v_mov_b32_e32 v216, v244
	v_add_f64 v[214:215], v[214:215], v[216:217]
	v_xor_b32_e32 v216, 0x80000000, v235
	v_cndmask_b32_e32 v217, v235, v216, vcc_lo
	v_cmp_gt_f64_e32 vcc_lo, 0, v[236:237]
	v_mov_b32_e32 v216, v234
	v_cndmask_b32_e32 v219, v237, v218, vcc_lo
	v_mov_b32_e32 v218, v236
	v_add_f64 v[216:217], v[216:217], v[218:219]
	v_cmp_lt_f64_e32 vcc_lo, v[214:215], v[216:217]
	v_cndmask_b32_e32 v243, v243, v235, vcc_lo
	v_cndmask_b32_e32 v242, v242, v234, vcc_lo
	;; [unrolled: 1-line block ×4, first 2 shown]
	v_cndmask_b32_e64 v250, v250, s0, vcc_lo
	s_add_i32 s0, s0, 1
	s_cmp_lg_u32 s8, s0
	s_cbranch_scc1 .LBB118_1222
.LBB118_1223:
	s_inst_prefetch 0x2
	s_waitcnt lgkmcnt(0)
	v_cmp_eq_f64_e32 vcc_lo, 0, v[242:243]
	v_cmp_eq_f64_e64 s0, 0, v[244:245]
	s_and_b32 s0, vcc_lo, s0
	s_and_saveexec_b32 s1, s0
	s_xor_b32 s0, exec_lo, s1
; %bb.1224:
	v_cmp_ne_u32_e32 vcc_lo, 0, v255
	v_cndmask_b32_e32 v255, 59, v255, vcc_lo
; %bb.1225:
	s_andn2_saveexec_b32 s0, s0
	s_cbranch_execz .LBB118_1231
; %bb.1226:
	v_cmp_ngt_f64_e64 s1, |v[242:243]|, |v[244:245]|
	s_and_saveexec_b32 s7, s1
	s_xor_b32 s1, exec_lo, s7
	s_cbranch_execz .LBB118_1228
; %bb.1227:
	v_div_scale_f64 v[214:215], null, v[244:245], v[244:245], v[242:243]
	v_div_scale_f64 v[220:221], vcc_lo, v[242:243], v[244:245], v[242:243]
	v_rcp_f64_e32 v[216:217], v[214:215]
	v_fma_f64 v[218:219], -v[214:215], v[216:217], 1.0
	v_fma_f64 v[216:217], v[216:217], v[218:219], v[216:217]
	v_fma_f64 v[218:219], -v[214:215], v[216:217], 1.0
	v_fma_f64 v[216:217], v[216:217], v[218:219], v[216:217]
	v_mul_f64 v[218:219], v[220:221], v[216:217]
	v_fma_f64 v[214:215], -v[214:215], v[218:219], v[220:221]
	v_div_fmas_f64 v[214:215], v[214:215], v[216:217], v[218:219]
	v_div_fixup_f64 v[214:215], v[214:215], v[244:245], v[242:243]
	v_fma_f64 v[216:217], v[242:243], v[214:215], v[244:245]
	v_div_scale_f64 v[218:219], null, v[216:217], v[216:217], 1.0
	v_rcp_f64_e32 v[220:221], v[218:219]
	v_fma_f64 v[222:223], -v[218:219], v[220:221], 1.0
	v_fma_f64 v[220:221], v[220:221], v[222:223], v[220:221]
	v_fma_f64 v[222:223], -v[218:219], v[220:221], 1.0
	v_fma_f64 v[220:221], v[220:221], v[222:223], v[220:221]
	v_div_scale_f64 v[222:223], vcc_lo, 1.0, v[216:217], 1.0
	v_mul_f64 v[224:225], v[222:223], v[220:221]
	v_fma_f64 v[218:219], -v[218:219], v[224:225], v[222:223]
	v_div_fmas_f64 v[218:219], v[218:219], v[220:221], v[224:225]
	v_div_fixup_f64 v[244:245], v[218:219], v[216:217], 1.0
	v_mul_f64 v[242:243], v[214:215], v[244:245]
	v_xor_b32_e32 v245, 0x80000000, v245
.LBB118_1228:
	s_andn2_saveexec_b32 s1, s1
	s_cbranch_execz .LBB118_1230
; %bb.1229:
	v_div_scale_f64 v[214:215], null, v[242:243], v[242:243], v[244:245]
	v_div_scale_f64 v[220:221], vcc_lo, v[244:245], v[242:243], v[244:245]
	v_rcp_f64_e32 v[216:217], v[214:215]
	v_fma_f64 v[218:219], -v[214:215], v[216:217], 1.0
	v_fma_f64 v[216:217], v[216:217], v[218:219], v[216:217]
	v_fma_f64 v[218:219], -v[214:215], v[216:217], 1.0
	v_fma_f64 v[216:217], v[216:217], v[218:219], v[216:217]
	v_mul_f64 v[218:219], v[220:221], v[216:217]
	v_fma_f64 v[214:215], -v[214:215], v[218:219], v[220:221]
	v_div_fmas_f64 v[214:215], v[214:215], v[216:217], v[218:219]
	v_div_fixup_f64 v[214:215], v[214:215], v[242:243], v[244:245]
	v_fma_f64 v[216:217], v[244:245], v[214:215], v[242:243]
	v_div_scale_f64 v[218:219], null, v[216:217], v[216:217], 1.0
	v_rcp_f64_e32 v[220:221], v[218:219]
	v_fma_f64 v[222:223], -v[218:219], v[220:221], 1.0
	v_fma_f64 v[220:221], v[220:221], v[222:223], v[220:221]
	v_fma_f64 v[222:223], -v[218:219], v[220:221], 1.0
	v_fma_f64 v[220:221], v[220:221], v[222:223], v[220:221]
	v_div_scale_f64 v[222:223], vcc_lo, 1.0, v[216:217], 1.0
	v_mul_f64 v[224:225], v[222:223], v[220:221]
	v_fma_f64 v[218:219], -v[218:219], v[224:225], v[222:223]
	v_div_fmas_f64 v[218:219], v[218:219], v[220:221], v[224:225]
	v_div_fixup_f64 v[242:243], v[218:219], v[216:217], 1.0
	v_mul_f64 v[244:245], v[214:215], -v[242:243]
.LBB118_1230:
	s_or_b32 exec_lo, exec_lo, s1
.LBB118_1231:
	s_or_b32 exec_lo, exec_lo, s0
	s_mov_b32 s0, exec_lo
	v_cmpx_ne_u32_e64 v0, v250
	s_xor_b32 s0, exec_lo, s0
	s_cbranch_execz .LBB118_1237
; %bb.1232:
	s_mov_b32 s1, exec_lo
	v_cmpx_eq_u32_e32 58, v0
	s_cbranch_execz .LBB118_1236
; %bb.1233:
	v_cmp_ne_u32_e32 vcc_lo, 58, v250
	s_xor_b32 s7, s16, -1
	s_and_b32 s9, s7, vcc_lo
	s_and_saveexec_b32 s7, s9
	s_cbranch_execz .LBB118_1235
; %bb.1234:
	s_clause 0x1
	buffer_load_dword v210, off, s[20:23], 0 offset:16
	buffer_load_dword v211, off, s[20:23], 0 offset:20
	v_ashrrev_i32_e32 v251, 31, v250
	v_lshlrev_b64 v[214:215], 2, v[250:251]
	s_waitcnt vmcnt(1)
	v_add_co_u32 v214, vcc_lo, v210, v214
	s_waitcnt vmcnt(0)
	v_add_co_ci_u32_e64 v215, null, v211, v215, vcc_lo
	s_clause 0x1
	global_load_dword v0, v[214:215], off
	global_load_dword v216, v[210:211], off offset:232
	s_waitcnt vmcnt(1)
	global_store_dword v[210:211], v0, off offset:232
	s_waitcnt vmcnt(0)
	global_store_dword v[214:215], v216, off
.LBB118_1235:
	s_or_b32 exec_lo, exec_lo, s7
	v_mov_b32_e32 v0, v250
	v_mov_b32_e32 v253, v250
.LBB118_1236:
	s_or_b32 exec_lo, exec_lo, s1
.LBB118_1237:
	s_andn2_saveexec_b32 s0, s0
; %bb.1238:
	v_mov_b32_e32 v0, 58
	ds_write2_b64 v1, v[226:227], v[228:229] offset0:118 offset1:119
; %bb.1239:
	s_or_b32 exec_lo, exec_lo, s0
	s_mov_b32 s0, exec_lo
	s_waitcnt lgkmcnt(0)
	s_waitcnt_vscnt null, 0x0
	s_barrier
	buffer_gl0_inv
	v_cmpx_lt_i32_e32 58, v0
	s_cbranch_execz .LBB118_1241
; %bb.1240:
	v_mul_f64 v[214:215], v[242:243], v[240:241]
	v_mov_b32_e32 v213, v5
	v_mov_b32_e32 v212, v4
	;; [unrolled: 1-line block ×8, first 2 shown]
	v_mul_f64 v[8:9], v[244:245], v[240:241]
	ds_read2_b64 v[234:237], v1 offset0:118 offset1:119
	v_fma_f64 v[214:215], v[244:245], v[238:239], v[214:215]
	v_fma_f64 v[238:239], v[242:243], v[238:239], -v[8:9]
	s_waitcnt lgkmcnt(0)
	v_mul_f64 v[8:9], v[236:237], v[214:215]
	v_mul_f64 v[216:217], v[234:235], v[214:215]
	v_mov_b32_e32 v241, v215
	v_mov_b32_e32 v240, v214
	v_fma_f64 v[8:9], v[234:235], v[238:239], -v[8:9]
	v_fma_f64 v[216:217], v[236:237], v[238:239], v[216:217]
	v_add_f64 v[226:227], v[226:227], -v[8:9]
	v_add_f64 v[228:229], v[228:229], -v[216:217]
	v_mov_b32_e32 v9, v5
	v_mov_b32_e32 v8, v4
	;; [unrolled: 1-line block ×8, first 2 shown]
.LBB118_1241:
	s_or_b32 exec_lo, exec_lo, s0
	v_lshl_add_u32 v214, v0, 4, v1
	s_barrier
	buffer_gl0_inv
	v_mov_b32_e32 v250, 59
	ds_write2_b64 v214, v[226:227], v[228:229] offset1:1
	s_waitcnt lgkmcnt(0)
	s_barrier
	buffer_gl0_inv
	ds_read2_b64 v[242:245], v1 offset0:118 offset1:119
	s_cmp_lt_i32 s8, 61
	s_cbranch_scc1 .LBB118_1244
; %bb.1242:
	v_add3_u32 v1, v246, 0, 0x3c0
	v_mov_b32_e32 v250, 59
	s_mov_b32 s0, 60
	s_inst_prefetch 0x1
	.p2align	6
.LBB118_1243:                           ; =>This Inner Loop Header: Depth=1
	s_waitcnt lgkmcnt(0)
	v_cmp_gt_f64_e32 vcc_lo, 0, v[242:243]
	v_xor_b32_e32 v214, 0x80000000, v243
	ds_read2_b64 v[234:237], v1 offset1:1
	v_xor_b32_e32 v216, 0x80000000, v245
	v_add_nc_u32_e32 v1, 16, v1
	s_waitcnt lgkmcnt(0)
	v_xor_b32_e32 v218, 0x80000000, v237
	v_cndmask_b32_e32 v215, v243, v214, vcc_lo
	v_cmp_gt_f64_e32 vcc_lo, 0, v[244:245]
	v_mov_b32_e32 v214, v242
	v_cndmask_b32_e32 v217, v245, v216, vcc_lo
	v_cmp_gt_f64_e32 vcc_lo, 0, v[234:235]
	v_mov_b32_e32 v216, v244
	v_add_f64 v[214:215], v[214:215], v[216:217]
	v_xor_b32_e32 v216, 0x80000000, v235
	v_cndmask_b32_e32 v217, v235, v216, vcc_lo
	v_cmp_gt_f64_e32 vcc_lo, 0, v[236:237]
	v_mov_b32_e32 v216, v234
	v_cndmask_b32_e32 v219, v237, v218, vcc_lo
	v_mov_b32_e32 v218, v236
	v_add_f64 v[216:217], v[216:217], v[218:219]
	v_cmp_lt_f64_e32 vcc_lo, v[214:215], v[216:217]
	v_cndmask_b32_e32 v243, v243, v235, vcc_lo
	v_cndmask_b32_e32 v242, v242, v234, vcc_lo
	;; [unrolled: 1-line block ×4, first 2 shown]
	v_cndmask_b32_e64 v250, v250, s0, vcc_lo
	s_add_i32 s0, s0, 1
	s_cmp_lg_u32 s8, s0
	s_cbranch_scc1 .LBB118_1243
.LBB118_1244:
	s_inst_prefetch 0x2
	s_waitcnt lgkmcnt(0)
	v_cmp_eq_f64_e32 vcc_lo, 0, v[242:243]
	v_cmp_eq_f64_e64 s0, 0, v[244:245]
	s_and_b32 s0, vcc_lo, s0
	s_and_saveexec_b32 s1, s0
	s_xor_b32 s0, exec_lo, s1
; %bb.1245:
	v_cmp_ne_u32_e32 vcc_lo, 0, v255
	v_cndmask_b32_e32 v255, 60, v255, vcc_lo
; %bb.1246:
	s_andn2_saveexec_b32 s0, s0
	s_cbranch_execz .LBB118_1252
; %bb.1247:
	v_cmp_ngt_f64_e64 s1, |v[242:243]|, |v[244:245]|
	s_and_saveexec_b32 s7, s1
	s_xor_b32 s1, exec_lo, s7
	s_cbranch_execz .LBB118_1249
; %bb.1248:
	v_div_scale_f64 v[214:215], null, v[244:245], v[244:245], v[242:243]
	v_div_scale_f64 v[220:221], vcc_lo, v[242:243], v[244:245], v[242:243]
	v_rcp_f64_e32 v[216:217], v[214:215]
	v_fma_f64 v[218:219], -v[214:215], v[216:217], 1.0
	v_fma_f64 v[216:217], v[216:217], v[218:219], v[216:217]
	v_fma_f64 v[218:219], -v[214:215], v[216:217], 1.0
	v_fma_f64 v[216:217], v[216:217], v[218:219], v[216:217]
	v_mul_f64 v[218:219], v[220:221], v[216:217]
	v_fma_f64 v[214:215], -v[214:215], v[218:219], v[220:221]
	v_div_fmas_f64 v[214:215], v[214:215], v[216:217], v[218:219]
	v_div_fixup_f64 v[214:215], v[214:215], v[244:245], v[242:243]
	v_fma_f64 v[216:217], v[242:243], v[214:215], v[244:245]
	v_div_scale_f64 v[218:219], null, v[216:217], v[216:217], 1.0
	v_rcp_f64_e32 v[220:221], v[218:219]
	v_fma_f64 v[222:223], -v[218:219], v[220:221], 1.0
	v_fma_f64 v[220:221], v[220:221], v[222:223], v[220:221]
	v_fma_f64 v[222:223], -v[218:219], v[220:221], 1.0
	v_fma_f64 v[220:221], v[220:221], v[222:223], v[220:221]
	v_div_scale_f64 v[222:223], vcc_lo, 1.0, v[216:217], 1.0
	v_mul_f64 v[224:225], v[222:223], v[220:221]
	v_fma_f64 v[218:219], -v[218:219], v[224:225], v[222:223]
	v_div_fmas_f64 v[218:219], v[218:219], v[220:221], v[224:225]
	v_div_fixup_f64 v[244:245], v[218:219], v[216:217], 1.0
	v_mul_f64 v[242:243], v[214:215], v[244:245]
	v_xor_b32_e32 v245, 0x80000000, v245
.LBB118_1249:
	s_andn2_saveexec_b32 s1, s1
	s_cbranch_execz .LBB118_1251
; %bb.1250:
	v_div_scale_f64 v[214:215], null, v[242:243], v[242:243], v[244:245]
	v_div_scale_f64 v[220:221], vcc_lo, v[244:245], v[242:243], v[244:245]
	v_rcp_f64_e32 v[216:217], v[214:215]
	v_fma_f64 v[218:219], -v[214:215], v[216:217], 1.0
	v_fma_f64 v[216:217], v[216:217], v[218:219], v[216:217]
	v_fma_f64 v[218:219], -v[214:215], v[216:217], 1.0
	v_fma_f64 v[216:217], v[216:217], v[218:219], v[216:217]
	v_mul_f64 v[218:219], v[220:221], v[216:217]
	v_fma_f64 v[214:215], -v[214:215], v[218:219], v[220:221]
	v_div_fmas_f64 v[214:215], v[214:215], v[216:217], v[218:219]
	v_div_fixup_f64 v[214:215], v[214:215], v[242:243], v[244:245]
	v_fma_f64 v[216:217], v[244:245], v[214:215], v[242:243]
	v_div_scale_f64 v[218:219], null, v[216:217], v[216:217], 1.0
	v_rcp_f64_e32 v[220:221], v[218:219]
	v_fma_f64 v[222:223], -v[218:219], v[220:221], 1.0
	v_fma_f64 v[220:221], v[220:221], v[222:223], v[220:221]
	v_fma_f64 v[222:223], -v[218:219], v[220:221], 1.0
	v_fma_f64 v[220:221], v[220:221], v[222:223], v[220:221]
	v_div_scale_f64 v[222:223], vcc_lo, 1.0, v[216:217], 1.0
	v_mul_f64 v[224:225], v[222:223], v[220:221]
	v_fma_f64 v[218:219], -v[218:219], v[224:225], v[222:223]
	v_div_fmas_f64 v[218:219], v[218:219], v[220:221], v[224:225]
	v_div_fixup_f64 v[242:243], v[218:219], v[216:217], 1.0
	v_mul_f64 v[244:245], v[214:215], -v[242:243]
.LBB118_1251:
	s_or_b32 exec_lo, exec_lo, s1
.LBB118_1252:
	s_or_b32 exec_lo, exec_lo, s0
	v_mov_b32_e32 v251, 59
	s_mov_b32 s0, exec_lo
	v_cmpx_ne_u32_e64 v0, v250
	s_cbranch_execz .LBB118_1258
; %bb.1253:
	s_mov_b32 s1, exec_lo
	v_cmpx_eq_u32_e32 59, v0
	s_cbranch_execz .LBB118_1257
; %bb.1254:
	v_cmp_ne_u32_e32 vcc_lo, 59, v250
	s_xor_b32 s7, s16, -1
	s_and_b32 s8, s7, vcc_lo
	s_and_saveexec_b32 s7, s8
	s_cbranch_execz .LBB118_1256
; %bb.1255:
	s_clause 0x1
	buffer_load_dword v210, off, s[20:23], 0 offset:16
	buffer_load_dword v211, off, s[20:23], 0 offset:20
	v_ashrrev_i32_e32 v251, 31, v250
	v_lshlrev_b64 v[0:1], 2, v[250:251]
	s_waitcnt vmcnt(1)
	v_add_co_u32 v0, vcc_lo, v210, v0
	s_waitcnt vmcnt(0)
	v_add_co_ci_u32_e64 v1, null, v211, v1, vcc_lo
	s_clause 0x1
	global_load_dword v214, v[0:1], off
	global_load_dword v215, v[210:211], off offset:236
	s_waitcnt vmcnt(1)
	global_store_dword v[210:211], v214, off offset:236
	s_waitcnt vmcnt(0)
	global_store_dword v[0:1], v215, off
.LBB118_1256:
	s_or_b32 exec_lo, exec_lo, s7
	v_mov_b32_e32 v0, v250
	v_mov_b32_e32 v253, v250
.LBB118_1257:
	s_or_b32 exec_lo, exec_lo, s1
	v_mov_b32_e32 v251, v0
.LBB118_1258:
	s_or_b32 exec_lo, exec_lo, s0
	s_mov_b32 s0, exec_lo
	s_waitcnt_vscnt null, 0x0
	s_barrier
	buffer_gl0_inv
	v_cmpx_lt_i32_e32 59, v251
	s_cbranch_execz .LBB118_1260
; %bb.1259:
	v_mul_f64 v[0:1], v[244:245], v[228:229]
	v_mov_b32_e32 v213, v5
	v_mov_b32_e32 v212, v4
	;; [unrolled: 1-line block ×4, first 2 shown]
	v_mul_f64 v[4:5], v[242:243], v[228:229]
	v_fma_f64 v[0:1], v[242:243], v[226:227], -v[0:1]
	v_fma_f64 v[228:229], v[244:245], v[226:227], v[4:5]
	v_mov_b32_e32 v2, v210
	v_mov_b32_e32 v3, v211
	;; [unrolled: 1-line block ×6, first 2 shown]
.LBB118_1260:
	s_or_b32 exec_lo, exec_lo, s0
	v_ashrrev_i32_e32 v252, 31, v251
	s_mov_b32 s0, exec_lo
	s_barrier
	buffer_gl0_inv
	v_cmpx_gt_i32_e32 60, v251
	s_cbranch_execz .LBB118_1262
; %bb.1261:
	v_mul_lo_u32 v214, s15, v248
	v_mul_lo_u32 v215, s14, v249
	v_mad_u64_u32 v[0:1], null, s14, v248, 0
	s_lshl_b64 s[8:9], s[12:13], 2
	v_add3_u32 v1, v1, v215, v214
	v_lshlrev_b64 v[0:1], 2, v[0:1]
	v_add_co_u32 v214, vcc_lo, s10, v0
	v_add_co_ci_u32_e64 v215, null, s11, v1, vcc_lo
	v_lshlrev_b64 v[0:1], 2, v[251:252]
	v_add_co_u32 v214, vcc_lo, v214, s8
	v_add_co_ci_u32_e64 v215, null, s9, v215, vcc_lo
	v_add_co_u32 v0, vcc_lo, v214, v0
	v_add_co_ci_u32_e64 v1, null, v215, v1, vcc_lo
	v_add3_u32 v214, v253, s17, 1
	global_store_dword v[0:1], v214, off
.LBB118_1262:
	s_or_b32 exec_lo, exec_lo, s0
	s_mov_b32 s1, exec_lo
	v_cmpx_eq_u32_e32 0, v251
	s_cbranch_execz .LBB118_1265
; %bb.1263:
	v_lshlrev_b64 v[0:1], 2, v[248:249]
	v_cmp_ne_u32_e64 s0, 0, v255
	v_add_co_u32 v0, vcc_lo, s4, v0
	v_add_co_ci_u32_e64 v1, null, s5, v1, vcc_lo
	global_load_dword v214, v[0:1], off
	s_waitcnt vmcnt(0)
	v_cmp_eq_u32_e32 vcc_lo, 0, v214
	s_and_b32 s0, vcc_lo, s0
	s_and_b32 exec_lo, exec_lo, s0
	s_cbranch_execz .LBB118_1265
; %bb.1264:
	v_add_nc_u32_e32 v214, s17, v255
	global_store_dword v[0:1], v214, off
.LBB118_1265:
	s_or_b32 exec_lo, exec_lo, s1
	s_clause 0x5
	buffer_load_dword v222, off, s[20:23], 0 offset:88
	buffer_load_dword v223, off, s[20:23], 0 offset:92
	;; [unrolled: 1-line block ×6, first 2 shown]
	v_lshlrev_b64 v[214:215], 4, v[251:252]
	v_add3_u32 v0, s6, s6, v251
	v_ashrrev_i32_e32 v1, 31, v0
	v_add_nc_u32_e32 v216, s6, v0
	v_lshlrev_b64 v[0:1], 4, v[0:1]
	v_add_nc_u32_e32 v218, s6, v216
	v_ashrrev_i32_e32 v217, 31, v216
	v_ashrrev_i32_e32 v219, 31, v218
	s_waitcnt vmcnt(5)
	v_add_co_u32 v214, vcc_lo, v222, v214
	s_waitcnt vmcnt(4)
	v_add_co_ci_u32_e64 v215, null, v223, v215, vcc_lo
	v_add_co_u32 v0, vcc_lo, v222, v0
	v_add_co_ci_u32_e64 v1, null, v223, v1, vcc_lo
	s_waitcnt vmcnt(0)
	global_store_dwordx4 v[214:215], v[210:213], off
	s_clause 0x3
	buffer_load_dword v210, off, s[20:23], 0 offset:56
	buffer_load_dword v211, off, s[20:23], 0 offset:60
	;; [unrolled: 1-line block ×4, first 2 shown]
	v_add_co_u32 v220, vcc_lo, v214, s2
	v_add_co_ci_u32_e64 v221, null, s3, v215, vcc_lo
	v_lshlrev_b64 v[214:215], 4, v[216:217]
	v_add_nc_u32_e32 v216, s6, v218
	v_ashrrev_i32_e32 v217, 31, v216
	v_add_co_u32 v214, vcc_lo, v222, v214
	v_add_co_ci_u32_e64 v215, null, v223, v215, vcc_lo
	s_waitcnt vmcnt(0)
	global_store_dwordx4 v[220:221], v[210:213], off
	s_clause 0x3
	buffer_load_dword v210, off, s[20:23], 0 offset:40
	buffer_load_dword v211, off, s[20:23], 0 offset:44
	;; [unrolled: 1-line block ×4, first 2 shown]
	s_waitcnt vmcnt(0)
	global_store_dwordx4 v[0:1], v[210:213], off
	s_clause 0x3
	buffer_load_dword v210, off, s[20:23], 0 offset:24
	buffer_load_dword v211, off, s[20:23], 0 offset:28
	;; [unrolled: 1-line block ×4, first 2 shown]
	v_lshlrev_b64 v[0:1], 4, v[218:219]
	v_add_nc_u32_e32 v218, s6, v216
	v_lshlrev_b64 v[216:217], 4, v[216:217]
	v_add_co_u32 v0, vcc_lo, v222, v0
	v_add_co_ci_u32_e64 v1, null, v223, v1, vcc_lo
	v_ashrrev_i32_e32 v219, 31, v218
	v_add_nc_u32_e32 v220, s6, v218
	s_waitcnt vmcnt(0)
	global_store_dwordx4 v[214:215], v[210:213], off
	global_store_dwordx4 v[0:1], v[2:5], off
	v_add_co_u32 v214, vcc_lo, v222, v216
	v_add_co_ci_u32_e64 v215, null, v223, v217, vcc_lo
	v_lshlrev_b64 v[0:1], 4, v[218:219]
	v_ashrrev_i32_e32 v221, 31, v220
	v_add_nc_u32_e32 v218, s6, v220
	global_store_dwordx4 v[214:215], v[6:9], off
	s_clause 0x3
	buffer_load_dword v2, off, s[20:23], 0
	buffer_load_dword v3, off, s[20:23], 0 offset:4
	buffer_load_dword v4, off, s[20:23], 0 offset:8
	;; [unrolled: 1-line block ×3, first 2 shown]
	v_lshlrev_b64 v[216:217], 4, v[220:221]
	v_ashrrev_i32_e32 v219, 31, v218
	v_add_nc_u32_e32 v220, s6, v218
	v_add_co_u32 v0, vcc_lo, v222, v0
	v_add_co_ci_u32_e64 v1, null, v223, v1, vcc_lo
	v_lshlrev_b64 v[214:215], 4, v[218:219]
	v_add_co_u32 v216, vcc_lo, v222, v216
	v_add_nc_u32_e32 v210, s6, v220
	v_ashrrev_i32_e32 v221, 31, v220
	v_add_co_ci_u32_e64 v217, null, v223, v217, vcc_lo
	v_add_co_u32 v212, vcc_lo, v222, v214
	v_add_nc_u32_e32 v214, s6, v210
	v_ashrrev_i32_e32 v211, 31, v210
	v_add_co_ci_u32_e64 v213, null, v223, v215, vcc_lo
	s_waitcnt vmcnt(0)
	global_store_dwordx4 v[0:1], v[2:5], off
	global_store_dwordx4 v[216:217], v[230:233], off
	v_lshlrev_b64 v[0:1], 4, v[220:221]
	v_add_nc_u32_e32 v216, s6, v214
	v_ashrrev_i32_e32 v215, 31, v214
	v_lshlrev_b64 v[210:211], 4, v[210:211]
	v_add_co_u32 v0, vcc_lo, v222, v0
	v_add_co_ci_u32_e64 v1, null, v223, v1, vcc_lo
	v_ashrrev_i32_e32 v217, 31, v216
	global_store_dwordx4 v[212:213], v[206:209], off
	global_store_dwordx4 v[0:1], v[202:205], off
	v_lshlrev_b64 v[0:1], 4, v[214:215]
	v_add_co_u32 v202, vcc_lo, v222, v210
	v_lshlrev_b64 v[204:205], 4, v[216:217]
	v_add_nc_u32_e32 v206, s6, v216
	v_add_co_ci_u32_e64 v203, null, v223, v211, vcc_lo
	v_add_co_u32 v0, vcc_lo, v222, v0
	v_add_co_ci_u32_e64 v1, null, v223, v1, vcc_lo
	v_add_co_u32 v204, vcc_lo, v222, v204
	v_add_nc_u32_e32 v208, s6, v206
	v_add_co_ci_u32_e64 v205, null, v223, v205, vcc_lo
	v_ashrrev_i32_e32 v207, 31, v206
	global_store_dwordx4 v[202:203], v[198:201], off
	global_store_dwordx4 v[0:1], v[194:197], off
	global_store_dwordx4 v[204:205], v[190:193], off
	v_add_nc_u32_e32 v190, s6, v208
	v_ashrrev_i32_e32 v209, 31, v208
	v_lshlrev_b64 v[198:199], 4, v[206:207]
	v_add_nc_u32_e32 v194, s6, v190
	v_lshlrev_b64 v[0:1], 4, v[208:209]
	v_ashrrev_i32_e32 v191, 31, v190
	v_add_co_u32 v192, vcc_lo, v222, v198
	v_add_nc_u32_e32 v196, s6, v194
	v_add_co_ci_u32_e64 v193, null, v223, v199, vcc_lo
	v_add_co_u32 v0, vcc_lo, v222, v0
	v_ashrrev_i32_e32 v195, 31, v194
	v_add_co_ci_u32_e64 v1, null, v223, v1, vcc_lo
	v_ashrrev_i32_e32 v197, 31, v196
	v_lshlrev_b64 v[190:191], 4, v[190:191]
	global_store_dwordx4 v[192:193], v[186:189], off
	global_store_dwordx4 v[0:1], v[182:185], off
	v_lshlrev_b64 v[0:1], 4, v[194:195]
	v_add_nc_u32_e32 v186, s6, v196
	v_lshlrev_b64 v[184:185], 4, v[196:197]
	v_add_co_u32 v182, vcc_lo, v222, v190
	v_add_co_ci_u32_e64 v183, null, v223, v191, vcc_lo
	v_add_co_u32 v0, vcc_lo, v222, v0
	v_add_co_ci_u32_e64 v1, null, v223, v1, vcc_lo
	v_add_co_u32 v184, vcc_lo, v222, v184
	v_add_nc_u32_e32 v188, s6, v186
	v_add_co_ci_u32_e64 v185, null, v223, v185, vcc_lo
	v_ashrrev_i32_e32 v187, 31, v186
	global_store_dwordx4 v[182:183], v[178:181], off
	global_store_dwordx4 v[0:1], v[174:177], off
	global_store_dwordx4 v[184:185], v[170:173], off
	v_add_nc_u32_e32 v170, s6, v188
	v_ashrrev_i32_e32 v189, 31, v188
	v_lshlrev_b64 v[178:179], 4, v[186:187]
	v_add_nc_u32_e32 v174, s6, v170
	v_lshlrev_b64 v[0:1], 4, v[188:189]
	v_ashrrev_i32_e32 v171, 31, v170
	v_add_co_u32 v172, vcc_lo, v222, v178
	v_add_nc_u32_e32 v176, s6, v174
	v_add_co_ci_u32_e64 v173, null, v223, v179, vcc_lo
	v_add_co_u32 v0, vcc_lo, v222, v0
	v_ashrrev_i32_e32 v175, 31, v174
	v_add_co_ci_u32_e64 v1, null, v223, v1, vcc_lo
	v_ashrrev_i32_e32 v177, 31, v176
	v_lshlrev_b64 v[170:171], 4, v[170:171]
	global_store_dwordx4 v[172:173], v[166:169], off
	global_store_dwordx4 v[0:1], v[162:165], off
	v_lshlrev_b64 v[0:1], 4, v[174:175]
	v_add_nc_u32_e32 v166, s6, v176
	v_lshlrev_b64 v[164:165], 4, v[176:177]
	v_add_co_u32 v162, vcc_lo, v222, v170
	;; [unrolled: 30-line block ×8, first 2 shown]
	v_add_co_ci_u32_e64 v43, null, v223, v51, vcc_lo
	v_add_co_u32 v0, vcc_lo, v222, v0
	v_add_nc_u32_e32 v48, s6, v46
	v_add_co_ci_u32_e64 v1, null, v223, v1, vcc_lo
	v_add_co_u32 v44, vcc_lo, v222, v44
	v_ashrrev_i32_e32 v47, 31, v46
	v_add_co_ci_u32_e64 v45, null, v223, v45, vcc_lo
	v_ashrrev_i32_e32 v49, 31, v48
	global_store_dwordx4 v[42:43], v[38:41], off
	v_lshlrev_b64 v[38:39], 4, v[46:47]
	global_store_dwordx4 v[0:1], v[34:37], off
	global_store_dwordx4 v[44:45], v[30:33], off
	v_add_nc_u32_e32 v30, s6, v48
	v_lshlrev_b64 v[0:1], 4, v[48:49]
	v_add_co_u32 v32, vcc_lo, v222, v38
	v_add_nc_u32_e32 v34, s6, v30
	v_add_co_ci_u32_e64 v33, null, v223, v39, vcc_lo
	v_add_co_u32 v0, vcc_lo, v222, v0
	v_add_co_ci_u32_e64 v1, null, v223, v1, vcc_lo
	v_add_nc_u32_e32 v36, s6, v34
	v_ashrrev_i32_e32 v31, 31, v30
	global_store_dwordx4 v[32:33], v[26:29], off
	global_store_dwordx4 v[0:1], v[22:25], off
	v_ashrrev_i32_e32 v35, 31, v34
	v_add_nc_u32_e32 v22, s6, v36
	v_lshlrev_b64 v[26:27], 4, v[30:31]
	v_ashrrev_i32_e32 v37, 31, v36
	v_lshlrev_b64 v[0:1], 4, v[34:35]
	v_add_nc_u32_e32 v28, s6, v22
	v_ashrrev_i32_e32 v23, 31, v22
	v_add_co_u32 v24, vcc_lo, v222, v26
	v_add_co_ci_u32_e64 v25, null, v223, v27, vcc_lo
	v_ashrrev_i32_e32 v29, 31, v28
	v_lshlrev_b64 v[26:27], 4, v[36:37]
	v_lshlrev_b64 v[22:23], 4, v[22:23]
	v_add_co_u32 v0, vcc_lo, v222, v0
	v_lshlrev_b64 v[28:29], 4, v[28:29]
	v_add_co_ci_u32_e64 v1, null, v223, v1, vcc_lo
	v_add_co_u32 v26, vcc_lo, v222, v26
	v_add_co_ci_u32_e64 v27, null, v223, v27, vcc_lo
	v_add_co_u32 v22, vcc_lo, v222, v22
	;; [unrolled: 2-line block ×3, first 2 shown]
	v_add_co_ci_u32_e64 v29, null, v223, v29, vcc_lo
	global_store_dwordx4 v[24:25], v[18:21], off
	global_store_dwordx4 v[0:1], v[14:17], off
	;; [unrolled: 1-line block ×5, first 2 shown]
.LBB118_1266:
	s_endpgm
	.section	.rodata,"a",@progbits
	.p2align	6, 0x0
	.amdhsa_kernel _ZN9rocsolver6v33100L18getf2_small_kernelILi60E19rocblas_complex_numIdEiiPS3_EEvT1_T3_lS5_lPS5_llPT2_S5_S5_S7_l
		.amdhsa_group_segment_fixed_size 0
		.amdhsa_private_segment_fixed_size 128
		.amdhsa_kernarg_size 352
		.amdhsa_user_sgpr_count 6
		.amdhsa_user_sgpr_private_segment_buffer 1
		.amdhsa_user_sgpr_dispatch_ptr 0
		.amdhsa_user_sgpr_queue_ptr 0
		.amdhsa_user_sgpr_kernarg_segment_ptr 1
		.amdhsa_user_sgpr_dispatch_id 0
		.amdhsa_user_sgpr_flat_scratch_init 0
		.amdhsa_user_sgpr_private_segment_size 0
		.amdhsa_wavefront_size32 1
		.amdhsa_uses_dynamic_stack 0
		.amdhsa_system_sgpr_private_segment_wavefront_offset 1
		.amdhsa_system_sgpr_workgroup_id_x 1
		.amdhsa_system_sgpr_workgroup_id_y 1
		.amdhsa_system_sgpr_workgroup_id_z 0
		.amdhsa_system_sgpr_workgroup_info 0
		.amdhsa_system_vgpr_workitem_id 1
		.amdhsa_next_free_vgpr 256
		.amdhsa_next_free_sgpr 24
		.amdhsa_reserve_vcc 1
		.amdhsa_reserve_flat_scratch 0
		.amdhsa_float_round_mode_32 0
		.amdhsa_float_round_mode_16_64 0
		.amdhsa_float_denorm_mode_32 3
		.amdhsa_float_denorm_mode_16_64 3
		.amdhsa_dx10_clamp 1
		.amdhsa_ieee_mode 1
		.amdhsa_fp16_overflow 0
		.amdhsa_workgroup_processor_mode 1
		.amdhsa_memory_ordered 1
		.amdhsa_forward_progress 1
		.amdhsa_shared_vgpr_count 0
		.amdhsa_exception_fp_ieee_invalid_op 0
		.amdhsa_exception_fp_denorm_src 0
		.amdhsa_exception_fp_ieee_div_zero 0
		.amdhsa_exception_fp_ieee_overflow 0
		.amdhsa_exception_fp_ieee_underflow 0
		.amdhsa_exception_fp_ieee_inexact 0
		.amdhsa_exception_int_div_zero 0
	.end_amdhsa_kernel
	.section	.text._ZN9rocsolver6v33100L18getf2_small_kernelILi60E19rocblas_complex_numIdEiiPS3_EEvT1_T3_lS5_lPS5_llPT2_S5_S5_S7_l,"axG",@progbits,_ZN9rocsolver6v33100L18getf2_small_kernelILi60E19rocblas_complex_numIdEiiPS3_EEvT1_T3_lS5_lPS5_llPT2_S5_S5_S7_l,comdat
.Lfunc_end118:
	.size	_ZN9rocsolver6v33100L18getf2_small_kernelILi60E19rocblas_complex_numIdEiiPS3_EEvT1_T3_lS5_lPS5_llPT2_S5_S5_S7_l, .Lfunc_end118-_ZN9rocsolver6v33100L18getf2_small_kernelILi60E19rocblas_complex_numIdEiiPS3_EEvT1_T3_lS5_lPS5_llPT2_S5_S5_S7_l
                                        ; -- End function
	.set _ZN9rocsolver6v33100L18getf2_small_kernelILi60E19rocblas_complex_numIdEiiPS3_EEvT1_T3_lS5_lPS5_llPT2_S5_S5_S7_l.num_vgpr, 256
	.set _ZN9rocsolver6v33100L18getf2_small_kernelILi60E19rocblas_complex_numIdEiiPS3_EEvT1_T3_lS5_lPS5_llPT2_S5_S5_S7_l.num_agpr, 0
	.set _ZN9rocsolver6v33100L18getf2_small_kernelILi60E19rocblas_complex_numIdEiiPS3_EEvT1_T3_lS5_lPS5_llPT2_S5_S5_S7_l.numbered_sgpr, 24
	.set _ZN9rocsolver6v33100L18getf2_small_kernelILi60E19rocblas_complex_numIdEiiPS3_EEvT1_T3_lS5_lPS5_llPT2_S5_S5_S7_l.num_named_barrier, 0
	.set _ZN9rocsolver6v33100L18getf2_small_kernelILi60E19rocblas_complex_numIdEiiPS3_EEvT1_T3_lS5_lPS5_llPT2_S5_S5_S7_l.private_seg_size, 128
	.set _ZN9rocsolver6v33100L18getf2_small_kernelILi60E19rocblas_complex_numIdEiiPS3_EEvT1_T3_lS5_lPS5_llPT2_S5_S5_S7_l.uses_vcc, 1
	.set _ZN9rocsolver6v33100L18getf2_small_kernelILi60E19rocblas_complex_numIdEiiPS3_EEvT1_T3_lS5_lPS5_llPT2_S5_S5_S7_l.uses_flat_scratch, 0
	.set _ZN9rocsolver6v33100L18getf2_small_kernelILi60E19rocblas_complex_numIdEiiPS3_EEvT1_T3_lS5_lPS5_llPT2_S5_S5_S7_l.has_dyn_sized_stack, 0
	.set _ZN9rocsolver6v33100L18getf2_small_kernelILi60E19rocblas_complex_numIdEiiPS3_EEvT1_T3_lS5_lPS5_llPT2_S5_S5_S7_l.has_recursion, 0
	.set _ZN9rocsolver6v33100L18getf2_small_kernelILi60E19rocblas_complex_numIdEiiPS3_EEvT1_T3_lS5_lPS5_llPT2_S5_S5_S7_l.has_indirect_call, 0
	.section	.AMDGPU.csdata,"",@progbits
; Kernel info:
; codeLenInByte = 188060
; TotalNumSgprs: 26
; NumVgprs: 256
; ScratchSize: 128
; MemoryBound: 0
; FloatMode: 240
; IeeeMode: 1
; LDSByteSize: 0 bytes/workgroup (compile time only)
; SGPRBlocks: 0
; VGPRBlocks: 31
; NumSGPRsForWavesPerEU: 26
; NumVGPRsForWavesPerEU: 256
; Occupancy: 4
; WaveLimiterHint : 0
; COMPUTE_PGM_RSRC2:SCRATCH_EN: 1
; COMPUTE_PGM_RSRC2:USER_SGPR: 6
; COMPUTE_PGM_RSRC2:TRAP_HANDLER: 0
; COMPUTE_PGM_RSRC2:TGID_X_EN: 1
; COMPUTE_PGM_RSRC2:TGID_Y_EN: 1
; COMPUTE_PGM_RSRC2:TGID_Z_EN: 0
; COMPUTE_PGM_RSRC2:TIDIG_COMP_CNT: 1
	.section	.text._ZN9rocsolver6v33100L23getf2_npvt_small_kernelILi60E19rocblas_complex_numIdEiiPS3_EEvT1_T3_lS5_lPT2_S5_S5_,"axG",@progbits,_ZN9rocsolver6v33100L23getf2_npvt_small_kernelILi60E19rocblas_complex_numIdEiiPS3_EEvT1_T3_lS5_lPT2_S5_S5_,comdat
	.globl	_ZN9rocsolver6v33100L23getf2_npvt_small_kernelILi60E19rocblas_complex_numIdEiiPS3_EEvT1_T3_lS5_lPT2_S5_S5_ ; -- Begin function _ZN9rocsolver6v33100L23getf2_npvt_small_kernelILi60E19rocblas_complex_numIdEiiPS3_EEvT1_T3_lS5_lPT2_S5_S5_
	.p2align	8
	.type	_ZN9rocsolver6v33100L23getf2_npvt_small_kernelILi60E19rocblas_complex_numIdEiiPS3_EEvT1_T3_lS5_lPT2_S5_S5_,@function
_ZN9rocsolver6v33100L23getf2_npvt_small_kernelILi60E19rocblas_complex_numIdEiiPS3_EEvT1_T3_lS5_lPT2_S5_S5_: ; @_ZN9rocsolver6v33100L23getf2_npvt_small_kernelILi60E19rocblas_complex_numIdEiiPS3_EEvT1_T3_lS5_lPT2_S5_S5_
; %bb.0:
	s_mov_b64 s[18:19], s[2:3]
	s_mov_b64 s[16:17], s[0:1]
	s_clause 0x1
	s_load_dword s0, s[4:5], 0x44
	s_load_dwordx2 s[12:13], s[4:5], 0x30
	s_add_u32 s16, s16, s8
	s_addc_u32 s17, s17, 0
	s_waitcnt lgkmcnt(0)
	s_lshr_b32 s14, s0, 16
	s_mov_b32 s0, exec_lo
	v_mad_u64_u32 v[199:200], null, s7, s14, v[1:2]
	v_cmpx_gt_i32_e64 s12, v199
	s_cbranch_execnz .LBB119_1
; %bb.546:
	s_getpc_b64 s[20:21]
.Lpost_getpc21:
	s_add_u32 s20, s20, (.LBB119_545-.Lpost_getpc21)&4294967295
	s_addc_u32 s21, s21, (.LBB119_545-.Lpost_getpc21)>>32
	s_setpc_b64 s[20:21]
.LBB119_1:
	s_clause 0x2
	s_load_dwordx4 s[8:11], s[4:5], 0x20
	s_load_dword s6, s[4:5], 0x18
	s_load_dwordx4 s[0:3], s[4:5], 0x8
	v_ashrrev_i32_e32 v200, 31, v199
	v_mad_u32_u24 v253, 0x3c0, v1, 0
	v_lshlrev_b32_e32 v1, 4, v1
	s_mulk_i32 s14, 0x3c0
	v_add3_u32 v255, 0, s14, v1
	s_waitcnt lgkmcnt(0)
	v_mul_lo_u32 v5, s9, v199
	v_mul_lo_u32 v7, s8, v200
	v_mad_u64_u32 v[2:3], null, s8, v199, 0
	v_add3_u32 v4, s6, s6, v0
	s_lshl_b64 s[2:3], s[2:3], 4
	s_ashr_i32 s7, s6, 31
	v_add_nc_u32_e32 v6, s6, v4
	v_add3_u32 v3, v3, v7, v5
	v_ashrrev_i32_e32 v5, 31, v4
	v_add_nc_u32_e32 v8, s6, v6
	v_lshlrev_b64 v[2:3], 4, v[2:3]
	v_ashrrev_i32_e32 v7, 31, v6
	v_lshlrev_b64 v[4:5], 4, v[4:5]
	v_add_nc_u32_e32 v10, s6, v8
	v_ashrrev_i32_e32 v9, 31, v8
	v_add_co_u32 v2, vcc_lo, s0, v2
	v_add_co_ci_u32_e64 v3, null, s1, v3, vcc_lo
	v_add_nc_u32_e32 v12, s6, v10
	v_add_co_u32 v2, vcc_lo, v2, s2
	v_lshlrev_b64 v[6:7], 4, v[6:7]
	v_ashrrev_i32_e32 v11, 31, v10
	v_add_co_ci_u32_e64 v3, null, s3, v3, vcc_lo
	v_add_nc_u32_e32 v14, s6, v12
	v_lshlrev_b64 v[8:9], 4, v[8:9]
	v_ashrrev_i32_e32 v13, 31, v12
	v_add_co_u32 v82, vcc_lo, v2, v4
	v_lshlrev_b64 v[10:11], 4, v[10:11]
	v_add_co_ci_u32_e64 v83, null, v3, v5, vcc_lo
	v_add_co_u32 v16, vcc_lo, v2, v6
	v_add_nc_u32_e32 v6, s6, v14
	v_lshlrev_b64 v[4:5], 4, v[12:13]
	v_ashrrev_i32_e32 v15, 31, v14
	v_add_co_ci_u32_e64 v17, null, v3, v7, vcc_lo
	v_add_co_u32 v207, vcc_lo, v2, v8
	v_add_co_ci_u32_e64 v208, null, v3, v9, vcc_lo
	v_add_co_u32 v84, vcc_lo, v2, v10
	v_ashrrev_i32_e32 v7, 31, v6
	v_add_nc_u32_e32 v10, s6, v6
	v_lshlrev_b64 v[8:9], 4, v[14:15]
	v_add_co_ci_u32_e64 v85, null, v3, v11, vcc_lo
	v_add_co_u32 v12, vcc_lo, v2, v4
	v_add_co_ci_u32_e64 v13, null, v3, v5, vcc_lo
	v_lshlrev_b64 v[4:5], 4, v[6:7]
	v_ashrrev_i32_e32 v11, 31, v10
	v_add_nc_u32_e32 v6, s6, v10
	v_add_co_u32 v197, vcc_lo, v2, v8
	v_add_co_ci_u32_e64 v198, null, v3, v9, vcc_lo
	v_lshlrev_b64 v[8:9], 4, v[10:11]
	v_ashrrev_i32_e32 v7, 31, v6
	v_add_nc_u32_e32 v10, s6, v6
	;; [unrolled: 5-line block ×49, first 2 shown]
	v_add_co_u32 v233, vcc_lo, v2, v8
	v_add_co_ci_u32_e64 v234, null, v3, v9, vcc_lo
	v_lshlrev_b64 v[8:9], 4, v[10:11]
	v_add_nc_u32_e32 v10, s6, v6
	v_ashrrev_i32_e32 v7, 31, v6
	v_add_co_u32 v239, vcc_lo, v2, v4
	v_add_co_ci_u32_e64 v240, null, v3, v5, vcc_lo
	v_ashrrev_i32_e32 v11, 31, v10
	v_lshlrev_b64 v[4:5], 4, v[6:7]
	v_add_co_u32 v8, vcc_lo, v2, v8
	v_add_co_ci_u32_e64 v9, null, v3, v9, vcc_lo
	v_lshlrev_b64 v[6:7], 4, v[10:11]
	v_add_co_u32 v235, vcc_lo, v2, v4
	v_lshlrev_b32_e32 v4, 4, v0
	v_add_co_ci_u32_e64 v236, null, v3, v5, vcc_lo
	v_add_co_u32 v237, vcc_lo, v2, v6
	v_add_co_ci_u32_e64 v238, null, v3, v7, vcc_lo
	v_add_co_u32 v2, vcc_lo, v2, v4
	v_add_co_ci_u32_e64 v3, null, 0, v3, vcc_lo
	s_lshl_b64 s[0:1], s[6:7], 4
	v_add_co_u32 v4, vcc_lo, v2, s0
	v_add_co_ci_u32_e64 v5, null, s1, v3, vcc_lo
	buffer_store_dword v2, off, s[16:19], 0 offset:576 ; 4-byte Folded Spill
	buffer_store_dword v3, off, s[16:19], 0 offset:580 ; 4-byte Folded Spill
	v_cmp_ne_u32_e64 s1, 0, v0
	v_cmp_eq_u32_e64 s0, 0, v0
	global_load_dwordx4 v[86:89], v[2:3], off
	s_waitcnt vmcnt(0)
	buffer_store_dword v86, off, s[16:19], 0 offset:96 ; 4-byte Folded Spill
	buffer_store_dword v87, off, s[16:19], 0 offset:100 ; 4-byte Folded Spill
	buffer_store_dword v88, off, s[16:19], 0 offset:104 ; 4-byte Folded Spill
	buffer_store_dword v89, off, s[16:19], 0 offset:108 ; 4-byte Folded Spill
	buffer_store_dword v4, off, s[16:19], 0 offset:584 ; 4-byte Folded Spill
	buffer_store_dword v5, off, s[16:19], 0 offset:588 ; 4-byte Folded Spill
	global_load_dwordx4 v[1:4], v[4:5], off
	s_waitcnt vmcnt(0)
	buffer_store_dword v1, off, s[16:19], 0 offset:80 ; 4-byte Folded Spill
	buffer_store_dword v2, off, s[16:19], 0 offset:84 ; 4-byte Folded Spill
	buffer_store_dword v3, off, s[16:19], 0 offset:88 ; 4-byte Folded Spill
	buffer_store_dword v4, off, s[16:19], 0 offset:92 ; 4-byte Folded Spill
	buffer_store_dword v82, off, s[16:19], 0 offset:552 ; 4-byte Folded Spill
	buffer_store_dword v83, off, s[16:19], 0 offset:556 ; 4-byte Folded Spill
	;; [unrolled: 8-line block ×3, first 2 shown]
	global_load_dwordx4 v[1:4], v[16:17], off
	s_waitcnt vmcnt(0)
	buffer_store_dword v1, off, s[16:19], 0 offset:48 ; 4-byte Folded Spill
	buffer_store_dword v2, off, s[16:19], 0 offset:52 ; 4-byte Folded Spill
	;; [unrolled: 1-line block ×4, first 2 shown]
	global_load_dwordx4 v[1:4], v[207:208], off
	s_waitcnt vmcnt(0)
	buffer_store_dword v1, off, s[16:19], 0 offset:32 ; 4-byte Folded Spill
	buffer_store_dword v2, off, s[16:19], 0 offset:36 ; 4-byte Folded Spill
	;; [unrolled: 1-line block ×6, first 2 shown]
	global_load_dwordx4 v[1:4], v[84:85], off
	s_waitcnt vmcnt(0)
	buffer_store_dword v1, off, s[16:19], 0 offset:16 ; 4-byte Folded Spill
	buffer_store_dword v2, off, s[16:19], 0 offset:20 ; 4-byte Folded Spill
	buffer_store_dword v3, off, s[16:19], 0 offset:24 ; 4-byte Folded Spill
	buffer_store_dword v4, off, s[16:19], 0 offset:28 ; 4-byte Folded Spill
	buffer_store_dword v12, off, s[16:19], 0 offset:120 ; 4-byte Folded Spill
	buffer_store_dword v13, off, s[16:19], 0 offset:124 ; 4-byte Folded Spill
	s_clause 0x1
	global_load_dwordx4 v[201:204], v[12:13], off
	global_load_dwordx4 v[1:4], v[197:198], off
	s_waitcnt vmcnt(0)
	buffer_store_dword v1, off, s[16:19], 0 ; 4-byte Folded Spill
	buffer_store_dword v2, off, s[16:19], 0 offset:4 ; 4-byte Folded Spill
	buffer_store_dword v3, off, s[16:19], 0 offset:8 ; 4-byte Folded Spill
	;; [unrolled: 1-line block ×5, first 2 shown]
	global_load_dwordx4 v[105:108], v[14:15], off
	buffer_store_dword v18, off, s[16:19], 0 offset:136 ; 4-byte Folded Spill
	buffer_store_dword v19, off, s[16:19], 0 offset:140 ; 4-byte Folded Spill
	global_load_dwordx4 v[241:244], v[18:19], off
	buffer_store_dword v20, off, s[16:19], 0 offset:144 ; 4-byte Folded Spill
	buffer_store_dword v21, off, s[16:19], 0 offset:148 ; 4-byte Folded Spill
	;; [unrolled: 3-line block ×37, first 2 shown]
	s_waitcnt vmcnt(33)
	v_mov_b32_e32 v212, v4
	v_mov_b32_e32 v211, v3
	;; [unrolled: 1-line block ×4, first 2 shown]
	global_load_dwordx4 v[57:60], v[213:214], off
	buffer_store_dword v215, off, s[16:19], 0 offset:424 ; 4-byte Folded Spill
	buffer_store_dword v216, off, s[16:19], 0 offset:428 ; 4-byte Folded Spill
	global_load_dwordx4 v[53:56], v[215:216], off
	buffer_store_dword v217, off, s[16:19], 0 offset:432 ; 4-byte Folded Spill
	buffer_store_dword v218, off, s[16:19], 0 offset:436 ; 4-byte Folded Spill
	;; [unrolled: 3-line block ×14, first 2 shown]
	global_load_dwordx4 v[1:4], v[237:238], off
	v_mov_b32_e32 v240, v108
	v_mov_b32_e32 v239, v107
	v_mov_b32_e32 v238, v106
	v_mov_b32_e32 v237, v105
	s_waitcnt vmcnt(26)
	v_mov_b32_e32 v108, v104
	v_mov_b32_e32 v107, v103
	v_mov_b32_e32 v106, v102
	v_mov_b32_e32 v105, v101
	s_waitcnt vmcnt(25)
	;; [unrolled: 5-line block ×7, first 2 shown]
	v_mov_b32_e32 v81, v245
	v_mov_b32_e32 v82, v246
	;; [unrolled: 1-line block ×4, first 2 shown]
	s_and_saveexec_b32 s3, s0
	s_cbranch_execz .LBB119_8
; %bb.2:
	s_clause 0x3
	buffer_load_dword v193, off, s[16:19], 0 offset:96
	buffer_load_dword v194, off, s[16:19], 0 offset:100
	;; [unrolled: 1-line block ×4, first 2 shown]
	s_waitcnt vmcnt(0)
	ds_write2_b64 v255, v[193:194], v[195:196] offset1:1
	s_clause 0x3
	buffer_load_dword v193, off, s[16:19], 0 offset:80
	buffer_load_dword v194, off, s[16:19], 0 offset:84
	buffer_load_dword v195, off, s[16:19], 0 offset:88
	buffer_load_dword v196, off, s[16:19], 0 offset:92
	s_waitcnt vmcnt(0)
	ds_write2_b64 v253, v[193:194], v[195:196] offset0:2 offset1:3
	s_clause 0x3
	buffer_load_dword v193, off, s[16:19], 0 offset:64
	buffer_load_dword v194, off, s[16:19], 0 offset:68
	buffer_load_dword v195, off, s[16:19], 0 offset:72
	buffer_load_dword v196, off, s[16:19], 0 offset:76
	s_waitcnt vmcnt(0)
	ds_write2_b64 v253, v[193:194], v[195:196] offset0:4 offset1:5
	;; [unrolled: 7-line block ×5, first 2 shown]
	ds_write2_b64 v253, v[201:202], v[203:204] offset0:12 offset1:13
	s_clause 0x3
	buffer_load_dword v193, off, s[16:19], 0
	buffer_load_dword v194, off, s[16:19], 0 offset:4
	buffer_load_dword v195, off, s[16:19], 0 offset:8
	;; [unrolled: 1-line block ×3, first 2 shown]
	s_waitcnt vmcnt(0)
	ds_write2_b64 v253, v[193:194], v[195:196] offset0:14 offset1:15
	ds_write2_b64 v253, v[237:238], v[239:240] offset0:16 offset1:17
	ds_write2_b64 v253, v[241:242], v[243:244] offset0:18 offset1:19
	ds_write2_b64 v253, v[249:250], v[251:252] offset0:20 offset1:21
	ds_write2_b64 v253, v[209:210], v[211:212] offset0:22 offset1:23
	ds_write2_b64 v253, v[189:190], v[191:192] offset0:24 offset1:25
	ds_write2_b64 v253, v[185:186], v[187:188] offset0:26 offset1:27
	ds_write2_b64 v253, v[181:182], v[183:184] offset0:28 offset1:29
	ds_write2_b64 v253, v[177:178], v[179:180] offset0:30 offset1:31
	ds_write2_b64 v253, v[173:174], v[175:176] offset0:32 offset1:33
	ds_write2_b64 v253, v[169:170], v[171:172] offset0:34 offset1:35
	ds_write2_b64 v253, v[165:166], v[167:168] offset0:36 offset1:37
	ds_write2_b64 v253, v[161:162], v[163:164] offset0:38 offset1:39
	ds_write2_b64 v253, v[157:158], v[159:160] offset0:40 offset1:41
	ds_write2_b64 v253, v[153:154], v[155:156] offset0:42 offset1:43
	ds_write2_b64 v253, v[149:150], v[151:152] offset0:44 offset1:45
	ds_write2_b64 v253, v[145:146], v[147:148] offset0:46 offset1:47
	ds_write2_b64 v253, v[141:142], v[143:144] offset0:48 offset1:49
	ds_write2_b64 v253, v[137:138], v[139:140] offset0:50 offset1:51
	ds_write2_b64 v253, v[133:134], v[135:136] offset0:52 offset1:53
	ds_write2_b64 v253, v[129:130], v[131:132] offset0:54 offset1:55
	ds_write2_b64 v253, v[125:126], v[127:128] offset0:56 offset1:57
	ds_write2_b64 v253, v[121:122], v[123:124] offset0:58 offset1:59
	ds_write2_b64 v253, v[117:118], v[119:120] offset0:60 offset1:61
	ds_write2_b64 v253, v[113:114], v[115:116] offset0:62 offset1:63
	ds_write2_b64 v253, v[109:110], v[111:112] offset0:64 offset1:65
	ds_write2_b64 v253, v[105:106], v[107:108] offset0:66 offset1:67
	ds_write2_b64 v253, v[101:102], v[103:104] offset0:68 offset1:69
	ds_write2_b64 v253, v[97:98], v[99:100] offset0:70 offset1:71
	ds_write2_b64 v253, v[93:94], v[95:96] offset0:72 offset1:73
	ds_write2_b64 v253, v[89:90], v[91:92] offset0:74 offset1:75
	ds_write2_b64 v253, v[85:86], v[87:88] offset0:76 offset1:77
	ds_write2_b64 v253, v[81:82], v[83:84] offset0:78 offset1:79
	ds_write2_b64 v253, v[77:78], v[79:80] offset0:80 offset1:81
	ds_write2_b64 v253, v[73:74], v[75:76] offset0:82 offset1:83
	ds_write2_b64 v253, v[69:70], v[71:72] offset0:84 offset1:85
	ds_write2_b64 v253, v[65:66], v[67:68] offset0:86 offset1:87
	ds_write2_b64 v253, v[61:62], v[63:64] offset0:88 offset1:89
	ds_write2_b64 v253, v[57:58], v[59:60] offset0:90 offset1:91
	ds_write2_b64 v253, v[53:54], v[55:56] offset0:92 offset1:93
	ds_write2_b64 v253, v[49:50], v[51:52] offset0:94 offset1:95
	ds_write2_b64 v253, v[45:46], v[47:48] offset0:96 offset1:97
	ds_write2_b64 v253, v[41:42], v[43:44] offset0:98 offset1:99
	ds_write2_b64 v253, v[37:38], v[39:40] offset0:100 offset1:101
	ds_write2_b64 v253, v[33:34], v[35:36] offset0:102 offset1:103
	ds_write2_b64 v253, v[29:30], v[31:32] offset0:104 offset1:105
	ds_write2_b64 v253, v[25:26], v[27:28] offset0:106 offset1:107
	ds_write2_b64 v253, v[21:22], v[23:24] offset0:108 offset1:109
	ds_write2_b64 v253, v[17:18], v[19:20] offset0:110 offset1:111
	ds_write2_b64 v253, v[13:14], v[15:16] offset0:112 offset1:113
	ds_write2_b64 v253, v[9:10], v[11:12] offset0:114 offset1:115
	ds_write2_b64 v253, v[5:6], v[7:8] offset0:116 offset1:117
	ds_write2_b64 v253, v[1:2], v[3:4] offset0:118 offset1:119
	ds_read2_b64 v[213:216], v255 offset1:1
	s_waitcnt lgkmcnt(0)
	v_cmp_neq_f64_e32 vcc_lo, 0, v[213:214]
	v_cmp_neq_f64_e64 s2, 0, v[215:216]
	s_or_b32 s2, vcc_lo, s2
	s_and_b32 exec_lo, exec_lo, s2
	s_cbranch_execz .LBB119_8
; %bb.3:
	v_cmp_ngt_f64_e64 s2, |v[213:214]|, |v[215:216]|
                                        ; implicit-def: $vgpr217_vgpr218
	s_and_saveexec_b32 s4, s2
	s_xor_b32 s2, exec_lo, s4
                                        ; implicit-def: $vgpr219_vgpr220
	s_cbranch_execz .LBB119_5
; %bb.4:
	v_div_scale_f64 v[217:218], null, v[215:216], v[215:216], v[213:214]
	v_div_scale_f64 v[223:224], vcc_lo, v[213:214], v[215:216], v[213:214]
	v_rcp_f64_e32 v[219:220], v[217:218]
	v_fma_f64 v[221:222], -v[217:218], v[219:220], 1.0
	v_fma_f64 v[219:220], v[219:220], v[221:222], v[219:220]
	v_fma_f64 v[221:222], -v[217:218], v[219:220], 1.0
	v_fma_f64 v[219:220], v[219:220], v[221:222], v[219:220]
	v_mul_f64 v[221:222], v[223:224], v[219:220]
	v_fma_f64 v[217:218], -v[217:218], v[221:222], v[223:224]
	v_div_fmas_f64 v[217:218], v[217:218], v[219:220], v[221:222]
	v_div_fixup_f64 v[217:218], v[217:218], v[215:216], v[213:214]
	v_fma_f64 v[213:214], v[213:214], v[217:218], v[215:216]
	v_div_scale_f64 v[215:216], null, v[213:214], v[213:214], 1.0
	v_rcp_f64_e32 v[219:220], v[215:216]
	v_fma_f64 v[221:222], -v[215:216], v[219:220], 1.0
	v_fma_f64 v[219:220], v[219:220], v[221:222], v[219:220]
	v_fma_f64 v[221:222], -v[215:216], v[219:220], 1.0
	v_fma_f64 v[219:220], v[219:220], v[221:222], v[219:220]
	v_div_scale_f64 v[221:222], vcc_lo, 1.0, v[213:214], 1.0
	v_mul_f64 v[223:224], v[221:222], v[219:220]
	v_fma_f64 v[215:216], -v[215:216], v[223:224], v[221:222]
	v_div_fmas_f64 v[215:216], v[215:216], v[219:220], v[223:224]
	v_div_fixup_f64 v[219:220], v[215:216], v[213:214], 1.0
                                        ; implicit-def: $vgpr213_vgpr214
	v_mul_f64 v[217:218], v[217:218], v[219:220]
	v_xor_b32_e32 v220, 0x80000000, v220
.LBB119_5:
	s_andn2_saveexec_b32 s2, s2
	s_cbranch_execz .LBB119_7
; %bb.6:
	v_div_scale_f64 v[217:218], null, v[213:214], v[213:214], v[215:216]
	v_div_scale_f64 v[223:224], vcc_lo, v[215:216], v[213:214], v[215:216]
	v_rcp_f64_e32 v[219:220], v[217:218]
	v_fma_f64 v[221:222], -v[217:218], v[219:220], 1.0
	v_fma_f64 v[219:220], v[219:220], v[221:222], v[219:220]
	v_fma_f64 v[221:222], -v[217:218], v[219:220], 1.0
	v_fma_f64 v[219:220], v[219:220], v[221:222], v[219:220]
	v_mul_f64 v[221:222], v[223:224], v[219:220]
	v_fma_f64 v[217:218], -v[217:218], v[221:222], v[223:224]
	v_div_fmas_f64 v[217:218], v[217:218], v[219:220], v[221:222]
	v_div_fixup_f64 v[219:220], v[217:218], v[213:214], v[215:216]
	v_fma_f64 v[213:214], v[215:216], v[219:220], v[213:214]
	v_div_scale_f64 v[215:216], null, v[213:214], v[213:214], 1.0
	v_rcp_f64_e32 v[217:218], v[215:216]
	v_fma_f64 v[221:222], -v[215:216], v[217:218], 1.0
	v_fma_f64 v[217:218], v[217:218], v[221:222], v[217:218]
	v_fma_f64 v[221:222], -v[215:216], v[217:218], 1.0
	v_fma_f64 v[217:218], v[217:218], v[221:222], v[217:218]
	v_div_scale_f64 v[221:222], vcc_lo, 1.0, v[213:214], 1.0
	v_mul_f64 v[223:224], v[221:222], v[217:218]
	v_fma_f64 v[215:216], -v[215:216], v[223:224], v[221:222]
	v_div_fmas_f64 v[215:216], v[215:216], v[217:218], v[223:224]
	v_div_fixup_f64 v[217:218], v[215:216], v[213:214], 1.0
	v_mul_f64 v[219:220], v[219:220], -v[217:218]
.LBB119_7:
	s_or_b32 exec_lo, exec_lo, s2
	ds_write2_b64 v255, v[217:218], v[219:220] offset1:1
.LBB119_8:
	s_or_b32 exec_lo, exec_lo, s3
	s_waitcnt vmcnt(0) lgkmcnt(0)
	s_waitcnt_vscnt null, 0x0
	s_barrier
	buffer_gl0_inv
	ds_read2_b64 v[193:196], v255 offset1:1
	s_waitcnt lgkmcnt(0)
	buffer_store_dword v193, off, s[16:19], 0 offset:592 ; 4-byte Folded Spill
	buffer_store_dword v194, off, s[16:19], 0 offset:596 ; 4-byte Folded Spill
	;; [unrolled: 1-line block ×4, first 2 shown]
	s_and_saveexec_b32 s2, s1
	s_cbranch_execz .LBB119_10
; %bb.9:
	s_clause 0x7
	buffer_load_dword v219, off, s[16:19], 0 offset:96
	buffer_load_dword v220, off, s[16:19], 0 offset:100
	;; [unrolled: 1-line block ×8, first 2 shown]
	s_waitcnt vmcnt(2)
	v_mul_f64 v[215:216], v[193:194], v[221:222]
	s_waitcnt vmcnt(0)
	v_mul_f64 v[213:214], v[195:196], v[221:222]
	v_fma_f64 v[221:222], v[195:196], v[219:220], v[215:216]
	ds_read2_b64 v[215:218], v253 offset0:2 offset1:3
	v_fma_f64 v[213:214], v[193:194], v[219:220], -v[213:214]
	s_clause 0x3
	buffer_load_dword v193, off, s[16:19], 0 offset:80
	buffer_load_dword v194, off, s[16:19], 0 offset:84
	buffer_load_dword v195, off, s[16:19], 0 offset:88
	buffer_load_dword v196, off, s[16:19], 0 offset:92
	s_waitcnt lgkmcnt(0)
	v_mul_f64 v[219:220], v[217:218], v[221:222]
	v_fma_f64 v[219:220], v[215:216], v[213:214], -v[219:220]
	v_mul_f64 v[215:216], v[215:216], v[221:222]
	v_fma_f64 v[215:216], v[217:218], v[213:214], v[215:216]
	s_waitcnt vmcnt(2)
	v_add_f64 v[193:194], v[193:194], -v[219:220]
	s_waitcnt vmcnt(0)
	v_add_f64 v[195:196], v[195:196], -v[215:216]
	buffer_store_dword v193, off, s[16:19], 0 offset:80 ; 4-byte Folded Spill
	buffer_store_dword v194, off, s[16:19], 0 offset:84 ; 4-byte Folded Spill
	buffer_store_dword v195, off, s[16:19], 0 offset:88 ; 4-byte Folded Spill
	buffer_store_dword v196, off, s[16:19], 0 offset:92 ; 4-byte Folded Spill
	ds_read2_b64 v[215:218], v253 offset0:4 offset1:5
	s_clause 0x3
	buffer_load_dword v193, off, s[16:19], 0 offset:64
	buffer_load_dword v194, off, s[16:19], 0 offset:68
	buffer_load_dword v195, off, s[16:19], 0 offset:72
	buffer_load_dword v196, off, s[16:19], 0 offset:76
	s_waitcnt lgkmcnt(0)
	v_mul_f64 v[219:220], v[217:218], v[221:222]
	v_fma_f64 v[219:220], v[215:216], v[213:214], -v[219:220]
	v_mul_f64 v[215:216], v[215:216], v[221:222]
	v_fma_f64 v[215:216], v[217:218], v[213:214], v[215:216]
	s_waitcnt vmcnt(2)
	v_add_f64 v[193:194], v[193:194], -v[219:220]
	s_waitcnt vmcnt(0)
	v_add_f64 v[195:196], v[195:196], -v[215:216]
	buffer_store_dword v193, off, s[16:19], 0 offset:64 ; 4-byte Folded Spill
	buffer_store_dword v194, off, s[16:19], 0 offset:68 ; 4-byte Folded Spill
	buffer_store_dword v195, off, s[16:19], 0 offset:72 ; 4-byte Folded Spill
	buffer_store_dword v196, off, s[16:19], 0 offset:76 ; 4-byte Folded Spill
	ds_read2_b64 v[215:218], v253 offset0:6 offset1:7
	;; [unrolled: 19-line block ×5, first 2 shown]
	s_waitcnt lgkmcnt(0)
	v_mul_f64 v[219:220], v[217:218], v[221:222]
	v_fma_f64 v[219:220], v[215:216], v[213:214], -v[219:220]
	v_mul_f64 v[215:216], v[215:216], v[221:222]
	v_add_f64 v[201:202], v[201:202], -v[219:220]
	v_fma_f64 v[215:216], v[217:218], v[213:214], v[215:216]
	v_add_f64 v[203:204], v[203:204], -v[215:216]
	ds_read2_b64 v[215:218], v253 offset0:14 offset1:15
	s_clause 0x3
	buffer_load_dword v193, off, s[16:19], 0
	buffer_load_dword v194, off, s[16:19], 0 offset:4
	buffer_load_dword v195, off, s[16:19], 0 offset:8
	;; [unrolled: 1-line block ×3, first 2 shown]
	s_waitcnt lgkmcnt(0)
	v_mul_f64 v[219:220], v[217:218], v[221:222]
	v_fma_f64 v[219:220], v[215:216], v[213:214], -v[219:220]
	v_mul_f64 v[215:216], v[215:216], v[221:222]
	v_fma_f64 v[215:216], v[217:218], v[213:214], v[215:216]
	s_waitcnt vmcnt(2)
	v_add_f64 v[193:194], v[193:194], -v[219:220]
	s_waitcnt vmcnt(0)
	v_add_f64 v[195:196], v[195:196], -v[215:216]
	buffer_store_dword v193, off, s[16:19], 0 ; 4-byte Folded Spill
	buffer_store_dword v194, off, s[16:19], 0 offset:4 ; 4-byte Folded Spill
	buffer_store_dword v195, off, s[16:19], 0 offset:8 ; 4-byte Folded Spill
	buffer_store_dword v196, off, s[16:19], 0 offset:12 ; 4-byte Folded Spill
	ds_read2_b64 v[215:218], v253 offset0:16 offset1:17
	s_waitcnt lgkmcnt(0)
	v_mul_f64 v[219:220], v[217:218], v[221:222]
	v_fma_f64 v[219:220], v[215:216], v[213:214], -v[219:220]
	v_mul_f64 v[215:216], v[215:216], v[221:222]
	v_add_f64 v[237:238], v[237:238], -v[219:220]
	v_fma_f64 v[215:216], v[217:218], v[213:214], v[215:216]
	v_add_f64 v[239:240], v[239:240], -v[215:216]
	ds_read2_b64 v[215:218], v253 offset0:18 offset1:19
	s_waitcnt lgkmcnt(0)
	v_mul_f64 v[219:220], v[217:218], v[221:222]
	v_fma_f64 v[219:220], v[215:216], v[213:214], -v[219:220]
	v_mul_f64 v[215:216], v[215:216], v[221:222]
	v_add_f64 v[241:242], v[241:242], -v[219:220]
	v_fma_f64 v[215:216], v[217:218], v[213:214], v[215:216]
	v_add_f64 v[243:244], v[243:244], -v[215:216]
	;; [unrolled: 8-line block ×51, first 2 shown]
	ds_read2_b64 v[215:218], v253 offset0:118 offset1:119
	s_waitcnt lgkmcnt(0)
	v_mul_f64 v[219:220], v[217:218], v[221:222]
	v_fma_f64 v[219:220], v[215:216], v[213:214], -v[219:220]
	v_mul_f64 v[215:216], v[215:216], v[221:222]
	v_add_f64 v[1:2], v[1:2], -v[219:220]
	v_fma_f64 v[215:216], v[217:218], v[213:214], v[215:216]
	v_mov_b32_e32 v220, v214
	v_mov_b32_e32 v219, v213
	buffer_store_dword v219, off, s[16:19], 0 offset:96 ; 4-byte Folded Spill
	buffer_store_dword v220, off, s[16:19], 0 offset:100 ; 4-byte Folded Spill
	;; [unrolled: 1-line block ×4, first 2 shown]
	v_add_f64 v[3:4], v[3:4], -v[215:216]
.LBB119_10:
	s_or_b32 exec_lo, exec_lo, s2
	s_mov_b32 s2, exec_lo
	s_waitcnt_vscnt null, 0x0
	s_barrier
	buffer_gl0_inv
	v_cmpx_eq_u32_e32 1, v0
	s_cbranch_execz .LBB119_17
; %bb.11:
	s_clause 0x3
	buffer_load_dword v193, off, s[16:19], 0 offset:80
	buffer_load_dword v194, off, s[16:19], 0 offset:84
	;; [unrolled: 1-line block ×4, first 2 shown]
	s_waitcnt vmcnt(0)
	ds_write2_b64 v255, v[193:194], v[195:196] offset1:1
	s_clause 0x3
	buffer_load_dword v193, off, s[16:19], 0 offset:64
	buffer_load_dword v194, off, s[16:19], 0 offset:68
	buffer_load_dword v195, off, s[16:19], 0 offset:72
	buffer_load_dword v196, off, s[16:19], 0 offset:76
	s_waitcnt vmcnt(0)
	ds_write2_b64 v253, v[193:194], v[195:196] offset0:4 offset1:5
	s_clause 0x3
	buffer_load_dword v193, off, s[16:19], 0 offset:48
	buffer_load_dword v194, off, s[16:19], 0 offset:52
	buffer_load_dword v195, off, s[16:19], 0 offset:56
	buffer_load_dword v196, off, s[16:19], 0 offset:60
	s_waitcnt vmcnt(0)
	ds_write2_b64 v253, v[193:194], v[195:196] offset0:6 offset1:7
	;; [unrolled: 7-line block ×4, first 2 shown]
	ds_write2_b64 v253, v[201:202], v[203:204] offset0:12 offset1:13
	s_clause 0x3
	buffer_load_dword v193, off, s[16:19], 0
	buffer_load_dword v194, off, s[16:19], 0 offset:4
	buffer_load_dword v195, off, s[16:19], 0 offset:8
	;; [unrolled: 1-line block ×3, first 2 shown]
	s_waitcnt vmcnt(0)
	ds_write2_b64 v253, v[193:194], v[195:196] offset0:14 offset1:15
	ds_write2_b64 v253, v[237:238], v[239:240] offset0:16 offset1:17
	;; [unrolled: 1-line block ×53, first 2 shown]
	ds_read2_b64 v[213:216], v255 offset1:1
	s_waitcnt lgkmcnt(0)
	v_cmp_neq_f64_e32 vcc_lo, 0, v[213:214]
	v_cmp_neq_f64_e64 s1, 0, v[215:216]
	s_or_b32 s1, vcc_lo, s1
	s_and_b32 exec_lo, exec_lo, s1
	s_cbranch_execz .LBB119_17
; %bb.12:
	v_cmp_ngt_f64_e64 s1, |v[213:214]|, |v[215:216]|
                                        ; implicit-def: $vgpr217_vgpr218
	s_and_saveexec_b32 s3, s1
	s_xor_b32 s1, exec_lo, s3
                                        ; implicit-def: $vgpr219_vgpr220
	s_cbranch_execz .LBB119_14
; %bb.13:
	v_div_scale_f64 v[217:218], null, v[215:216], v[215:216], v[213:214]
	v_div_scale_f64 v[223:224], vcc_lo, v[213:214], v[215:216], v[213:214]
	v_rcp_f64_e32 v[219:220], v[217:218]
	v_fma_f64 v[221:222], -v[217:218], v[219:220], 1.0
	v_fma_f64 v[219:220], v[219:220], v[221:222], v[219:220]
	v_fma_f64 v[221:222], -v[217:218], v[219:220], 1.0
	v_fma_f64 v[219:220], v[219:220], v[221:222], v[219:220]
	v_mul_f64 v[221:222], v[223:224], v[219:220]
	v_fma_f64 v[217:218], -v[217:218], v[221:222], v[223:224]
	v_div_fmas_f64 v[217:218], v[217:218], v[219:220], v[221:222]
	v_div_fixup_f64 v[217:218], v[217:218], v[215:216], v[213:214]
	v_fma_f64 v[213:214], v[213:214], v[217:218], v[215:216]
	v_div_scale_f64 v[215:216], null, v[213:214], v[213:214], 1.0
	v_rcp_f64_e32 v[219:220], v[215:216]
	v_fma_f64 v[221:222], -v[215:216], v[219:220], 1.0
	v_fma_f64 v[219:220], v[219:220], v[221:222], v[219:220]
	v_fma_f64 v[221:222], -v[215:216], v[219:220], 1.0
	v_fma_f64 v[219:220], v[219:220], v[221:222], v[219:220]
	v_div_scale_f64 v[221:222], vcc_lo, 1.0, v[213:214], 1.0
	v_mul_f64 v[223:224], v[221:222], v[219:220]
	v_fma_f64 v[215:216], -v[215:216], v[223:224], v[221:222]
	v_div_fmas_f64 v[215:216], v[215:216], v[219:220], v[223:224]
	v_div_fixup_f64 v[219:220], v[215:216], v[213:214], 1.0
                                        ; implicit-def: $vgpr213_vgpr214
	v_mul_f64 v[217:218], v[217:218], v[219:220]
	v_xor_b32_e32 v220, 0x80000000, v220
.LBB119_14:
	s_andn2_saveexec_b32 s1, s1
	s_cbranch_execz .LBB119_16
; %bb.15:
	v_div_scale_f64 v[217:218], null, v[213:214], v[213:214], v[215:216]
	v_div_scale_f64 v[223:224], vcc_lo, v[215:216], v[213:214], v[215:216]
	v_rcp_f64_e32 v[219:220], v[217:218]
	v_fma_f64 v[221:222], -v[217:218], v[219:220], 1.0
	v_fma_f64 v[219:220], v[219:220], v[221:222], v[219:220]
	v_fma_f64 v[221:222], -v[217:218], v[219:220], 1.0
	v_fma_f64 v[219:220], v[219:220], v[221:222], v[219:220]
	v_mul_f64 v[221:222], v[223:224], v[219:220]
	v_fma_f64 v[217:218], -v[217:218], v[221:222], v[223:224]
	v_div_fmas_f64 v[217:218], v[217:218], v[219:220], v[221:222]
	v_div_fixup_f64 v[219:220], v[217:218], v[213:214], v[215:216]
	v_fma_f64 v[213:214], v[215:216], v[219:220], v[213:214]
	v_div_scale_f64 v[215:216], null, v[213:214], v[213:214], 1.0
	v_rcp_f64_e32 v[217:218], v[215:216]
	v_fma_f64 v[221:222], -v[215:216], v[217:218], 1.0
	v_fma_f64 v[217:218], v[217:218], v[221:222], v[217:218]
	v_fma_f64 v[221:222], -v[215:216], v[217:218], 1.0
	v_fma_f64 v[217:218], v[217:218], v[221:222], v[217:218]
	v_div_scale_f64 v[221:222], vcc_lo, 1.0, v[213:214], 1.0
	v_mul_f64 v[223:224], v[221:222], v[217:218]
	v_fma_f64 v[215:216], -v[215:216], v[223:224], v[221:222]
	v_div_fmas_f64 v[215:216], v[215:216], v[217:218], v[223:224]
	v_div_fixup_f64 v[217:218], v[215:216], v[213:214], 1.0
	v_mul_f64 v[219:220], v[219:220], -v[217:218]
.LBB119_16:
	s_or_b32 exec_lo, exec_lo, s1
	ds_write2_b64 v255, v[217:218], v[219:220] offset1:1
.LBB119_17:
	s_or_b32 exec_lo, exec_lo, s2
	s_waitcnt lgkmcnt(0)
	s_barrier
	buffer_gl0_inv
	ds_read2_b64 v[193:196], v255 offset1:1
	s_mov_b32 s1, exec_lo
	s_waitcnt lgkmcnt(0)
	buffer_store_dword v193, off, s[16:19], 0 offset:608 ; 4-byte Folded Spill
	buffer_store_dword v194, off, s[16:19], 0 offset:612 ; 4-byte Folded Spill
	;; [unrolled: 1-line block ×4, first 2 shown]
	v_cmpx_lt_u32_e32 1, v0
	s_cbranch_execz .LBB119_19
; %bb.18:
	s_clause 0x7
	buffer_load_dword v219, off, s[16:19], 0 offset:80
	buffer_load_dword v220, off, s[16:19], 0 offset:84
	;; [unrolled: 1-line block ×8, first 2 shown]
	s_waitcnt vmcnt(2)
	v_mul_f64 v[215:216], v[193:194], v[221:222]
	s_waitcnt vmcnt(0)
	v_mul_f64 v[213:214], v[195:196], v[221:222]
	v_fma_f64 v[221:222], v[195:196], v[219:220], v[215:216]
	ds_read2_b64 v[215:218], v253 offset0:4 offset1:5
	v_fma_f64 v[213:214], v[193:194], v[219:220], -v[213:214]
	s_clause 0x3
	buffer_load_dword v193, off, s[16:19], 0 offset:64
	buffer_load_dword v194, off, s[16:19], 0 offset:68
	buffer_load_dword v195, off, s[16:19], 0 offset:72
	buffer_load_dword v196, off, s[16:19], 0 offset:76
	s_waitcnt lgkmcnt(0)
	v_mul_f64 v[219:220], v[217:218], v[221:222]
	v_fma_f64 v[219:220], v[215:216], v[213:214], -v[219:220]
	v_mul_f64 v[215:216], v[215:216], v[221:222]
	v_fma_f64 v[215:216], v[217:218], v[213:214], v[215:216]
	s_waitcnt vmcnt(2)
	v_add_f64 v[193:194], v[193:194], -v[219:220]
	s_waitcnt vmcnt(0)
	v_add_f64 v[195:196], v[195:196], -v[215:216]
	buffer_store_dword v193, off, s[16:19], 0 offset:64 ; 4-byte Folded Spill
	buffer_store_dword v194, off, s[16:19], 0 offset:68 ; 4-byte Folded Spill
	buffer_store_dword v195, off, s[16:19], 0 offset:72 ; 4-byte Folded Spill
	buffer_store_dword v196, off, s[16:19], 0 offset:76 ; 4-byte Folded Spill
	ds_read2_b64 v[215:218], v253 offset0:6 offset1:7
	s_clause 0x3
	buffer_load_dword v193, off, s[16:19], 0 offset:48
	buffer_load_dword v194, off, s[16:19], 0 offset:52
	buffer_load_dword v195, off, s[16:19], 0 offset:56
	buffer_load_dword v196, off, s[16:19], 0 offset:60
	s_waitcnt lgkmcnt(0)
	v_mul_f64 v[219:220], v[217:218], v[221:222]
	v_fma_f64 v[219:220], v[215:216], v[213:214], -v[219:220]
	v_mul_f64 v[215:216], v[215:216], v[221:222]
	v_fma_f64 v[215:216], v[217:218], v[213:214], v[215:216]
	s_waitcnt vmcnt(2)
	v_add_f64 v[193:194], v[193:194], -v[219:220]
	s_waitcnt vmcnt(0)
	v_add_f64 v[195:196], v[195:196], -v[215:216]
	buffer_store_dword v193, off, s[16:19], 0 offset:48 ; 4-byte Folded Spill
	buffer_store_dword v194, off, s[16:19], 0 offset:52 ; 4-byte Folded Spill
	buffer_store_dword v195, off, s[16:19], 0 offset:56 ; 4-byte Folded Spill
	buffer_store_dword v196, off, s[16:19], 0 offset:60 ; 4-byte Folded Spill
	ds_read2_b64 v[215:218], v253 offset0:8 offset1:9
	;; [unrolled: 19-line block ×4, first 2 shown]
	s_waitcnt lgkmcnt(0)
	v_mul_f64 v[219:220], v[217:218], v[221:222]
	v_fma_f64 v[219:220], v[215:216], v[213:214], -v[219:220]
	v_mul_f64 v[215:216], v[215:216], v[221:222]
	v_add_f64 v[201:202], v[201:202], -v[219:220]
	v_fma_f64 v[215:216], v[217:218], v[213:214], v[215:216]
	v_add_f64 v[203:204], v[203:204], -v[215:216]
	ds_read2_b64 v[215:218], v253 offset0:14 offset1:15
	s_clause 0x3
	buffer_load_dword v193, off, s[16:19], 0
	buffer_load_dword v194, off, s[16:19], 0 offset:4
	buffer_load_dword v195, off, s[16:19], 0 offset:8
	;; [unrolled: 1-line block ×3, first 2 shown]
	s_waitcnt lgkmcnt(0)
	v_mul_f64 v[219:220], v[217:218], v[221:222]
	v_fma_f64 v[219:220], v[215:216], v[213:214], -v[219:220]
	v_mul_f64 v[215:216], v[215:216], v[221:222]
	v_fma_f64 v[215:216], v[217:218], v[213:214], v[215:216]
	s_waitcnt vmcnt(2)
	v_add_f64 v[193:194], v[193:194], -v[219:220]
	s_waitcnt vmcnt(0)
	v_add_f64 v[195:196], v[195:196], -v[215:216]
	buffer_store_dword v193, off, s[16:19], 0 ; 4-byte Folded Spill
	buffer_store_dword v194, off, s[16:19], 0 offset:4 ; 4-byte Folded Spill
	buffer_store_dword v195, off, s[16:19], 0 offset:8 ; 4-byte Folded Spill
	;; [unrolled: 1-line block ×3, first 2 shown]
	ds_read2_b64 v[215:218], v253 offset0:16 offset1:17
	s_waitcnt lgkmcnt(0)
	v_mul_f64 v[219:220], v[217:218], v[221:222]
	v_fma_f64 v[219:220], v[215:216], v[213:214], -v[219:220]
	v_mul_f64 v[215:216], v[215:216], v[221:222]
	v_add_f64 v[237:238], v[237:238], -v[219:220]
	v_fma_f64 v[215:216], v[217:218], v[213:214], v[215:216]
	v_add_f64 v[239:240], v[239:240], -v[215:216]
	ds_read2_b64 v[215:218], v253 offset0:18 offset1:19
	s_waitcnt lgkmcnt(0)
	v_mul_f64 v[219:220], v[217:218], v[221:222]
	v_fma_f64 v[219:220], v[215:216], v[213:214], -v[219:220]
	v_mul_f64 v[215:216], v[215:216], v[221:222]
	v_add_f64 v[241:242], v[241:242], -v[219:220]
	v_fma_f64 v[215:216], v[217:218], v[213:214], v[215:216]
	v_add_f64 v[243:244], v[243:244], -v[215:216]
	;; [unrolled: 8-line block ×51, first 2 shown]
	ds_read2_b64 v[215:218], v253 offset0:118 offset1:119
	s_waitcnt lgkmcnt(0)
	v_mul_f64 v[219:220], v[217:218], v[221:222]
	v_fma_f64 v[219:220], v[215:216], v[213:214], -v[219:220]
	v_mul_f64 v[215:216], v[215:216], v[221:222]
	v_add_f64 v[1:2], v[1:2], -v[219:220]
	v_fma_f64 v[215:216], v[217:218], v[213:214], v[215:216]
	v_mov_b32_e32 v220, v214
	v_mov_b32_e32 v219, v213
	buffer_store_dword v219, off, s[16:19], 0 offset:80 ; 4-byte Folded Spill
	buffer_store_dword v220, off, s[16:19], 0 offset:84 ; 4-byte Folded Spill
	;; [unrolled: 1-line block ×4, first 2 shown]
	v_add_f64 v[3:4], v[3:4], -v[215:216]
.LBB119_19:
	s_or_b32 exec_lo, exec_lo, s1
	s_mov_b32 s2, exec_lo
	s_waitcnt_vscnt null, 0x0
	s_barrier
	buffer_gl0_inv
	v_cmpx_eq_u32_e32 2, v0
	s_cbranch_execz .LBB119_26
; %bb.20:
	s_clause 0x3
	buffer_load_dword v193, off, s[16:19], 0 offset:64
	buffer_load_dword v194, off, s[16:19], 0 offset:68
	;; [unrolled: 1-line block ×4, first 2 shown]
	s_waitcnt vmcnt(0)
	ds_write2_b64 v255, v[193:194], v[195:196] offset1:1
	s_clause 0x3
	buffer_load_dword v193, off, s[16:19], 0 offset:48
	buffer_load_dword v194, off, s[16:19], 0 offset:52
	buffer_load_dword v195, off, s[16:19], 0 offset:56
	buffer_load_dword v196, off, s[16:19], 0 offset:60
	s_waitcnt vmcnt(0)
	ds_write2_b64 v253, v[193:194], v[195:196] offset0:6 offset1:7
	s_clause 0x3
	buffer_load_dword v193, off, s[16:19], 0 offset:32
	buffer_load_dword v194, off, s[16:19], 0 offset:36
	buffer_load_dword v195, off, s[16:19], 0 offset:40
	buffer_load_dword v196, off, s[16:19], 0 offset:44
	s_waitcnt vmcnt(0)
	ds_write2_b64 v253, v[193:194], v[195:196] offset0:8 offset1:9
	s_clause 0x3
	buffer_load_dword v193, off, s[16:19], 0 offset:16
	buffer_load_dword v194, off, s[16:19], 0 offset:20
	buffer_load_dword v195, off, s[16:19], 0 offset:24
	buffer_load_dword v196, off, s[16:19], 0 offset:28
	s_waitcnt vmcnt(0)
	ds_write2_b64 v253, v[193:194], v[195:196] offset0:10 offset1:11
	ds_write2_b64 v253, v[201:202], v[203:204] offset0:12 offset1:13
	s_clause 0x3
	buffer_load_dword v193, off, s[16:19], 0
	buffer_load_dword v194, off, s[16:19], 0 offset:4
	buffer_load_dword v195, off, s[16:19], 0 offset:8
	;; [unrolled: 1-line block ×3, first 2 shown]
	s_waitcnt vmcnt(0)
	ds_write2_b64 v253, v[193:194], v[195:196] offset0:14 offset1:15
	ds_write2_b64 v253, v[237:238], v[239:240] offset0:16 offset1:17
	;; [unrolled: 1-line block ×53, first 2 shown]
	ds_read2_b64 v[213:216], v255 offset1:1
	s_waitcnt lgkmcnt(0)
	v_cmp_neq_f64_e32 vcc_lo, 0, v[213:214]
	v_cmp_neq_f64_e64 s1, 0, v[215:216]
	s_or_b32 s1, vcc_lo, s1
	s_and_b32 exec_lo, exec_lo, s1
	s_cbranch_execz .LBB119_26
; %bb.21:
	v_cmp_ngt_f64_e64 s1, |v[213:214]|, |v[215:216]|
                                        ; implicit-def: $vgpr217_vgpr218
	s_and_saveexec_b32 s3, s1
	s_xor_b32 s1, exec_lo, s3
                                        ; implicit-def: $vgpr219_vgpr220
	s_cbranch_execz .LBB119_23
; %bb.22:
	v_div_scale_f64 v[217:218], null, v[215:216], v[215:216], v[213:214]
	v_div_scale_f64 v[223:224], vcc_lo, v[213:214], v[215:216], v[213:214]
	v_rcp_f64_e32 v[219:220], v[217:218]
	v_fma_f64 v[221:222], -v[217:218], v[219:220], 1.0
	v_fma_f64 v[219:220], v[219:220], v[221:222], v[219:220]
	v_fma_f64 v[221:222], -v[217:218], v[219:220], 1.0
	v_fma_f64 v[219:220], v[219:220], v[221:222], v[219:220]
	v_mul_f64 v[221:222], v[223:224], v[219:220]
	v_fma_f64 v[217:218], -v[217:218], v[221:222], v[223:224]
	v_div_fmas_f64 v[217:218], v[217:218], v[219:220], v[221:222]
	v_div_fixup_f64 v[217:218], v[217:218], v[215:216], v[213:214]
	v_fma_f64 v[213:214], v[213:214], v[217:218], v[215:216]
	v_div_scale_f64 v[215:216], null, v[213:214], v[213:214], 1.0
	v_rcp_f64_e32 v[219:220], v[215:216]
	v_fma_f64 v[221:222], -v[215:216], v[219:220], 1.0
	v_fma_f64 v[219:220], v[219:220], v[221:222], v[219:220]
	v_fma_f64 v[221:222], -v[215:216], v[219:220], 1.0
	v_fma_f64 v[219:220], v[219:220], v[221:222], v[219:220]
	v_div_scale_f64 v[221:222], vcc_lo, 1.0, v[213:214], 1.0
	v_mul_f64 v[223:224], v[221:222], v[219:220]
	v_fma_f64 v[215:216], -v[215:216], v[223:224], v[221:222]
	v_div_fmas_f64 v[215:216], v[215:216], v[219:220], v[223:224]
	v_div_fixup_f64 v[219:220], v[215:216], v[213:214], 1.0
                                        ; implicit-def: $vgpr213_vgpr214
	v_mul_f64 v[217:218], v[217:218], v[219:220]
	v_xor_b32_e32 v220, 0x80000000, v220
.LBB119_23:
	s_andn2_saveexec_b32 s1, s1
	s_cbranch_execz .LBB119_25
; %bb.24:
	v_div_scale_f64 v[217:218], null, v[213:214], v[213:214], v[215:216]
	v_div_scale_f64 v[223:224], vcc_lo, v[215:216], v[213:214], v[215:216]
	v_rcp_f64_e32 v[219:220], v[217:218]
	v_fma_f64 v[221:222], -v[217:218], v[219:220], 1.0
	v_fma_f64 v[219:220], v[219:220], v[221:222], v[219:220]
	v_fma_f64 v[221:222], -v[217:218], v[219:220], 1.0
	v_fma_f64 v[219:220], v[219:220], v[221:222], v[219:220]
	v_mul_f64 v[221:222], v[223:224], v[219:220]
	v_fma_f64 v[217:218], -v[217:218], v[221:222], v[223:224]
	v_div_fmas_f64 v[217:218], v[217:218], v[219:220], v[221:222]
	v_div_fixup_f64 v[219:220], v[217:218], v[213:214], v[215:216]
	v_fma_f64 v[213:214], v[215:216], v[219:220], v[213:214]
	v_div_scale_f64 v[215:216], null, v[213:214], v[213:214], 1.0
	v_rcp_f64_e32 v[217:218], v[215:216]
	v_fma_f64 v[221:222], -v[215:216], v[217:218], 1.0
	v_fma_f64 v[217:218], v[217:218], v[221:222], v[217:218]
	v_fma_f64 v[221:222], -v[215:216], v[217:218], 1.0
	v_fma_f64 v[217:218], v[217:218], v[221:222], v[217:218]
	v_div_scale_f64 v[221:222], vcc_lo, 1.0, v[213:214], 1.0
	v_mul_f64 v[223:224], v[221:222], v[217:218]
	v_fma_f64 v[215:216], -v[215:216], v[223:224], v[221:222]
	v_div_fmas_f64 v[215:216], v[215:216], v[217:218], v[223:224]
	v_div_fixup_f64 v[217:218], v[215:216], v[213:214], 1.0
	v_mul_f64 v[219:220], v[219:220], -v[217:218]
.LBB119_25:
	s_or_b32 exec_lo, exec_lo, s1
	ds_write2_b64 v255, v[217:218], v[219:220] offset1:1
.LBB119_26:
	s_or_b32 exec_lo, exec_lo, s2
	s_waitcnt lgkmcnt(0)
	s_barrier
	buffer_gl0_inv
	ds_read2_b64 v[193:196], v255 offset1:1
	s_mov_b32 s1, exec_lo
	s_waitcnt lgkmcnt(0)
	buffer_store_dword v193, off, s[16:19], 0 offset:624 ; 4-byte Folded Spill
	buffer_store_dword v194, off, s[16:19], 0 offset:628 ; 4-byte Folded Spill
	;; [unrolled: 1-line block ×4, first 2 shown]
	v_cmpx_lt_u32_e32 2, v0
	s_cbranch_execz .LBB119_28
; %bb.27:
	s_clause 0x7
	buffer_load_dword v219, off, s[16:19], 0 offset:64
	buffer_load_dword v220, off, s[16:19], 0 offset:68
	;; [unrolled: 1-line block ×8, first 2 shown]
	s_waitcnt vmcnt(2)
	v_mul_f64 v[215:216], v[193:194], v[221:222]
	s_waitcnt vmcnt(0)
	v_mul_f64 v[213:214], v[195:196], v[221:222]
	v_fma_f64 v[221:222], v[195:196], v[219:220], v[215:216]
	ds_read2_b64 v[215:218], v253 offset0:6 offset1:7
	v_fma_f64 v[213:214], v[193:194], v[219:220], -v[213:214]
	s_clause 0x3
	buffer_load_dword v193, off, s[16:19], 0 offset:48
	buffer_load_dword v194, off, s[16:19], 0 offset:52
	buffer_load_dword v195, off, s[16:19], 0 offset:56
	buffer_load_dword v196, off, s[16:19], 0 offset:60
	s_waitcnt lgkmcnt(0)
	v_mul_f64 v[219:220], v[217:218], v[221:222]
	v_fma_f64 v[219:220], v[215:216], v[213:214], -v[219:220]
	v_mul_f64 v[215:216], v[215:216], v[221:222]
	v_fma_f64 v[215:216], v[217:218], v[213:214], v[215:216]
	s_waitcnt vmcnt(2)
	v_add_f64 v[193:194], v[193:194], -v[219:220]
	s_waitcnt vmcnt(0)
	v_add_f64 v[195:196], v[195:196], -v[215:216]
	buffer_store_dword v193, off, s[16:19], 0 offset:48 ; 4-byte Folded Spill
	buffer_store_dword v194, off, s[16:19], 0 offset:52 ; 4-byte Folded Spill
	buffer_store_dword v195, off, s[16:19], 0 offset:56 ; 4-byte Folded Spill
	buffer_store_dword v196, off, s[16:19], 0 offset:60 ; 4-byte Folded Spill
	ds_read2_b64 v[215:218], v253 offset0:8 offset1:9
	s_clause 0x3
	buffer_load_dword v193, off, s[16:19], 0 offset:32
	buffer_load_dword v194, off, s[16:19], 0 offset:36
	buffer_load_dword v195, off, s[16:19], 0 offset:40
	buffer_load_dword v196, off, s[16:19], 0 offset:44
	s_waitcnt lgkmcnt(0)
	v_mul_f64 v[219:220], v[217:218], v[221:222]
	v_fma_f64 v[219:220], v[215:216], v[213:214], -v[219:220]
	v_mul_f64 v[215:216], v[215:216], v[221:222]
	v_fma_f64 v[215:216], v[217:218], v[213:214], v[215:216]
	s_waitcnt vmcnt(2)
	v_add_f64 v[193:194], v[193:194], -v[219:220]
	s_waitcnt vmcnt(0)
	v_add_f64 v[195:196], v[195:196], -v[215:216]
	buffer_store_dword v193, off, s[16:19], 0 offset:32 ; 4-byte Folded Spill
	buffer_store_dword v194, off, s[16:19], 0 offset:36 ; 4-byte Folded Spill
	buffer_store_dword v195, off, s[16:19], 0 offset:40 ; 4-byte Folded Spill
	buffer_store_dword v196, off, s[16:19], 0 offset:44 ; 4-byte Folded Spill
	ds_read2_b64 v[215:218], v253 offset0:10 offset1:11
	;; [unrolled: 19-line block ×3, first 2 shown]
	s_waitcnt lgkmcnt(0)
	v_mul_f64 v[219:220], v[217:218], v[221:222]
	v_fma_f64 v[219:220], v[215:216], v[213:214], -v[219:220]
	v_mul_f64 v[215:216], v[215:216], v[221:222]
	v_add_f64 v[201:202], v[201:202], -v[219:220]
	v_fma_f64 v[215:216], v[217:218], v[213:214], v[215:216]
	v_add_f64 v[203:204], v[203:204], -v[215:216]
	ds_read2_b64 v[215:218], v253 offset0:14 offset1:15
	s_clause 0x3
	buffer_load_dword v193, off, s[16:19], 0
	buffer_load_dword v194, off, s[16:19], 0 offset:4
	buffer_load_dword v195, off, s[16:19], 0 offset:8
	;; [unrolled: 1-line block ×3, first 2 shown]
	s_waitcnt lgkmcnt(0)
	v_mul_f64 v[219:220], v[217:218], v[221:222]
	v_fma_f64 v[219:220], v[215:216], v[213:214], -v[219:220]
	v_mul_f64 v[215:216], v[215:216], v[221:222]
	v_fma_f64 v[215:216], v[217:218], v[213:214], v[215:216]
	s_waitcnt vmcnt(2)
	v_add_f64 v[193:194], v[193:194], -v[219:220]
	s_waitcnt vmcnt(0)
	v_add_f64 v[195:196], v[195:196], -v[215:216]
	buffer_store_dword v193, off, s[16:19], 0 ; 4-byte Folded Spill
	buffer_store_dword v194, off, s[16:19], 0 offset:4 ; 4-byte Folded Spill
	buffer_store_dword v195, off, s[16:19], 0 offset:8 ; 4-byte Folded Spill
	;; [unrolled: 1-line block ×3, first 2 shown]
	ds_read2_b64 v[215:218], v253 offset0:16 offset1:17
	s_waitcnt lgkmcnt(0)
	v_mul_f64 v[219:220], v[217:218], v[221:222]
	v_fma_f64 v[219:220], v[215:216], v[213:214], -v[219:220]
	v_mul_f64 v[215:216], v[215:216], v[221:222]
	v_add_f64 v[237:238], v[237:238], -v[219:220]
	v_fma_f64 v[215:216], v[217:218], v[213:214], v[215:216]
	v_add_f64 v[239:240], v[239:240], -v[215:216]
	ds_read2_b64 v[215:218], v253 offset0:18 offset1:19
	s_waitcnt lgkmcnt(0)
	v_mul_f64 v[219:220], v[217:218], v[221:222]
	v_fma_f64 v[219:220], v[215:216], v[213:214], -v[219:220]
	v_mul_f64 v[215:216], v[215:216], v[221:222]
	v_add_f64 v[241:242], v[241:242], -v[219:220]
	v_fma_f64 v[215:216], v[217:218], v[213:214], v[215:216]
	v_add_f64 v[243:244], v[243:244], -v[215:216]
	ds_read2_b64 v[215:218], v253 offset0:20 offset1:21
	s_waitcnt lgkmcnt(0)
	v_mul_f64 v[219:220], v[217:218], v[221:222]
	v_fma_f64 v[219:220], v[215:216], v[213:214], -v[219:220]
	v_mul_f64 v[215:216], v[215:216], v[221:222]
	v_add_f64 v[249:250], v[249:250], -v[219:220]
	v_fma_f64 v[215:216], v[217:218], v[213:214], v[215:216]
	v_add_f64 v[251:252], v[251:252], -v[215:216]
	ds_read2_b64 v[215:218], v253 offset0:22 offset1:23
	s_waitcnt lgkmcnt(0)
	v_mul_f64 v[219:220], v[217:218], v[221:222]
	v_fma_f64 v[219:220], v[215:216], v[213:214], -v[219:220]
	v_mul_f64 v[215:216], v[215:216], v[221:222]
	v_add_f64 v[209:210], v[209:210], -v[219:220]
	v_fma_f64 v[215:216], v[217:218], v[213:214], v[215:216]
	v_add_f64 v[211:212], v[211:212], -v[215:216]
	ds_read2_b64 v[215:218], v253 offset0:24 offset1:25
	s_waitcnt lgkmcnt(0)
	v_mul_f64 v[219:220], v[217:218], v[221:222]
	v_fma_f64 v[219:220], v[215:216], v[213:214], -v[219:220]
	v_mul_f64 v[215:216], v[215:216], v[221:222]
	v_add_f64 v[189:190], v[189:190], -v[219:220]
	v_fma_f64 v[215:216], v[217:218], v[213:214], v[215:216]
	v_add_f64 v[191:192], v[191:192], -v[215:216]
	ds_read2_b64 v[215:218], v253 offset0:26 offset1:27
	s_waitcnt lgkmcnt(0)
	v_mul_f64 v[219:220], v[217:218], v[221:222]
	v_fma_f64 v[219:220], v[215:216], v[213:214], -v[219:220]
	v_mul_f64 v[215:216], v[215:216], v[221:222]
	v_add_f64 v[185:186], v[185:186], -v[219:220]
	v_fma_f64 v[215:216], v[217:218], v[213:214], v[215:216]
	v_add_f64 v[187:188], v[187:188], -v[215:216]
	ds_read2_b64 v[215:218], v253 offset0:28 offset1:29
	s_waitcnt lgkmcnt(0)
	v_mul_f64 v[219:220], v[217:218], v[221:222]
	v_fma_f64 v[219:220], v[215:216], v[213:214], -v[219:220]
	v_mul_f64 v[215:216], v[215:216], v[221:222]
	v_add_f64 v[181:182], v[181:182], -v[219:220]
	v_fma_f64 v[215:216], v[217:218], v[213:214], v[215:216]
	v_add_f64 v[183:184], v[183:184], -v[215:216]
	ds_read2_b64 v[215:218], v253 offset0:30 offset1:31
	s_waitcnt lgkmcnt(0)
	v_mul_f64 v[219:220], v[217:218], v[221:222]
	v_fma_f64 v[219:220], v[215:216], v[213:214], -v[219:220]
	v_mul_f64 v[215:216], v[215:216], v[221:222]
	v_add_f64 v[177:178], v[177:178], -v[219:220]
	v_fma_f64 v[215:216], v[217:218], v[213:214], v[215:216]
	v_add_f64 v[179:180], v[179:180], -v[215:216]
	ds_read2_b64 v[215:218], v253 offset0:32 offset1:33
	s_waitcnt lgkmcnt(0)
	v_mul_f64 v[219:220], v[217:218], v[221:222]
	v_fma_f64 v[219:220], v[215:216], v[213:214], -v[219:220]
	v_mul_f64 v[215:216], v[215:216], v[221:222]
	v_add_f64 v[173:174], v[173:174], -v[219:220]
	v_fma_f64 v[215:216], v[217:218], v[213:214], v[215:216]
	v_add_f64 v[175:176], v[175:176], -v[215:216]
	ds_read2_b64 v[215:218], v253 offset0:34 offset1:35
	s_waitcnt lgkmcnt(0)
	v_mul_f64 v[219:220], v[217:218], v[221:222]
	v_fma_f64 v[219:220], v[215:216], v[213:214], -v[219:220]
	v_mul_f64 v[215:216], v[215:216], v[221:222]
	v_add_f64 v[169:170], v[169:170], -v[219:220]
	v_fma_f64 v[215:216], v[217:218], v[213:214], v[215:216]
	v_add_f64 v[171:172], v[171:172], -v[215:216]
	ds_read2_b64 v[215:218], v253 offset0:36 offset1:37
	s_waitcnt lgkmcnt(0)
	v_mul_f64 v[219:220], v[217:218], v[221:222]
	v_fma_f64 v[219:220], v[215:216], v[213:214], -v[219:220]
	v_mul_f64 v[215:216], v[215:216], v[221:222]
	v_add_f64 v[165:166], v[165:166], -v[219:220]
	v_fma_f64 v[215:216], v[217:218], v[213:214], v[215:216]
	v_add_f64 v[167:168], v[167:168], -v[215:216]
	ds_read2_b64 v[215:218], v253 offset0:38 offset1:39
	s_waitcnt lgkmcnt(0)
	v_mul_f64 v[219:220], v[217:218], v[221:222]
	v_fma_f64 v[219:220], v[215:216], v[213:214], -v[219:220]
	v_mul_f64 v[215:216], v[215:216], v[221:222]
	v_add_f64 v[161:162], v[161:162], -v[219:220]
	v_fma_f64 v[215:216], v[217:218], v[213:214], v[215:216]
	v_add_f64 v[163:164], v[163:164], -v[215:216]
	ds_read2_b64 v[215:218], v253 offset0:40 offset1:41
	s_waitcnt lgkmcnt(0)
	v_mul_f64 v[219:220], v[217:218], v[221:222]
	v_fma_f64 v[219:220], v[215:216], v[213:214], -v[219:220]
	v_mul_f64 v[215:216], v[215:216], v[221:222]
	v_add_f64 v[157:158], v[157:158], -v[219:220]
	v_fma_f64 v[215:216], v[217:218], v[213:214], v[215:216]
	v_add_f64 v[159:160], v[159:160], -v[215:216]
	ds_read2_b64 v[215:218], v253 offset0:42 offset1:43
	s_waitcnt lgkmcnt(0)
	v_mul_f64 v[219:220], v[217:218], v[221:222]
	v_fma_f64 v[219:220], v[215:216], v[213:214], -v[219:220]
	v_mul_f64 v[215:216], v[215:216], v[221:222]
	v_add_f64 v[153:154], v[153:154], -v[219:220]
	v_fma_f64 v[215:216], v[217:218], v[213:214], v[215:216]
	v_add_f64 v[155:156], v[155:156], -v[215:216]
	ds_read2_b64 v[215:218], v253 offset0:44 offset1:45
	s_waitcnt lgkmcnt(0)
	v_mul_f64 v[219:220], v[217:218], v[221:222]
	v_fma_f64 v[219:220], v[215:216], v[213:214], -v[219:220]
	v_mul_f64 v[215:216], v[215:216], v[221:222]
	v_add_f64 v[149:150], v[149:150], -v[219:220]
	v_fma_f64 v[215:216], v[217:218], v[213:214], v[215:216]
	v_add_f64 v[151:152], v[151:152], -v[215:216]
	ds_read2_b64 v[215:218], v253 offset0:46 offset1:47
	s_waitcnt lgkmcnt(0)
	v_mul_f64 v[219:220], v[217:218], v[221:222]
	v_fma_f64 v[219:220], v[215:216], v[213:214], -v[219:220]
	v_mul_f64 v[215:216], v[215:216], v[221:222]
	v_add_f64 v[145:146], v[145:146], -v[219:220]
	v_fma_f64 v[215:216], v[217:218], v[213:214], v[215:216]
	v_add_f64 v[147:148], v[147:148], -v[215:216]
	ds_read2_b64 v[215:218], v253 offset0:48 offset1:49
	s_waitcnt lgkmcnt(0)
	v_mul_f64 v[219:220], v[217:218], v[221:222]
	v_fma_f64 v[219:220], v[215:216], v[213:214], -v[219:220]
	v_mul_f64 v[215:216], v[215:216], v[221:222]
	v_add_f64 v[141:142], v[141:142], -v[219:220]
	v_fma_f64 v[215:216], v[217:218], v[213:214], v[215:216]
	v_add_f64 v[143:144], v[143:144], -v[215:216]
	ds_read2_b64 v[215:218], v253 offset0:50 offset1:51
	s_waitcnt lgkmcnt(0)
	v_mul_f64 v[219:220], v[217:218], v[221:222]
	v_fma_f64 v[219:220], v[215:216], v[213:214], -v[219:220]
	v_mul_f64 v[215:216], v[215:216], v[221:222]
	v_add_f64 v[137:138], v[137:138], -v[219:220]
	v_fma_f64 v[215:216], v[217:218], v[213:214], v[215:216]
	v_add_f64 v[139:140], v[139:140], -v[215:216]
	ds_read2_b64 v[215:218], v253 offset0:52 offset1:53
	s_waitcnt lgkmcnt(0)
	v_mul_f64 v[219:220], v[217:218], v[221:222]
	v_fma_f64 v[219:220], v[215:216], v[213:214], -v[219:220]
	v_mul_f64 v[215:216], v[215:216], v[221:222]
	v_add_f64 v[133:134], v[133:134], -v[219:220]
	v_fma_f64 v[215:216], v[217:218], v[213:214], v[215:216]
	v_add_f64 v[135:136], v[135:136], -v[215:216]
	ds_read2_b64 v[215:218], v253 offset0:54 offset1:55
	s_waitcnt lgkmcnt(0)
	v_mul_f64 v[219:220], v[217:218], v[221:222]
	v_fma_f64 v[219:220], v[215:216], v[213:214], -v[219:220]
	v_mul_f64 v[215:216], v[215:216], v[221:222]
	v_add_f64 v[129:130], v[129:130], -v[219:220]
	v_fma_f64 v[215:216], v[217:218], v[213:214], v[215:216]
	v_add_f64 v[131:132], v[131:132], -v[215:216]
	ds_read2_b64 v[215:218], v253 offset0:56 offset1:57
	s_waitcnt lgkmcnt(0)
	v_mul_f64 v[219:220], v[217:218], v[221:222]
	v_fma_f64 v[219:220], v[215:216], v[213:214], -v[219:220]
	v_mul_f64 v[215:216], v[215:216], v[221:222]
	v_add_f64 v[125:126], v[125:126], -v[219:220]
	v_fma_f64 v[215:216], v[217:218], v[213:214], v[215:216]
	v_add_f64 v[127:128], v[127:128], -v[215:216]
	ds_read2_b64 v[215:218], v253 offset0:58 offset1:59
	s_waitcnt lgkmcnt(0)
	v_mul_f64 v[219:220], v[217:218], v[221:222]
	v_fma_f64 v[219:220], v[215:216], v[213:214], -v[219:220]
	v_mul_f64 v[215:216], v[215:216], v[221:222]
	v_add_f64 v[121:122], v[121:122], -v[219:220]
	v_fma_f64 v[215:216], v[217:218], v[213:214], v[215:216]
	v_add_f64 v[123:124], v[123:124], -v[215:216]
	ds_read2_b64 v[215:218], v253 offset0:60 offset1:61
	s_waitcnt lgkmcnt(0)
	v_mul_f64 v[219:220], v[217:218], v[221:222]
	v_fma_f64 v[219:220], v[215:216], v[213:214], -v[219:220]
	v_mul_f64 v[215:216], v[215:216], v[221:222]
	v_add_f64 v[117:118], v[117:118], -v[219:220]
	v_fma_f64 v[215:216], v[217:218], v[213:214], v[215:216]
	v_add_f64 v[119:120], v[119:120], -v[215:216]
	ds_read2_b64 v[215:218], v253 offset0:62 offset1:63
	s_waitcnt lgkmcnt(0)
	v_mul_f64 v[219:220], v[217:218], v[221:222]
	v_fma_f64 v[219:220], v[215:216], v[213:214], -v[219:220]
	v_mul_f64 v[215:216], v[215:216], v[221:222]
	v_add_f64 v[113:114], v[113:114], -v[219:220]
	v_fma_f64 v[215:216], v[217:218], v[213:214], v[215:216]
	v_add_f64 v[115:116], v[115:116], -v[215:216]
	ds_read2_b64 v[215:218], v253 offset0:64 offset1:65
	s_waitcnt lgkmcnt(0)
	v_mul_f64 v[219:220], v[217:218], v[221:222]
	v_fma_f64 v[219:220], v[215:216], v[213:214], -v[219:220]
	v_mul_f64 v[215:216], v[215:216], v[221:222]
	v_add_f64 v[109:110], v[109:110], -v[219:220]
	v_fma_f64 v[215:216], v[217:218], v[213:214], v[215:216]
	v_add_f64 v[111:112], v[111:112], -v[215:216]
	ds_read2_b64 v[215:218], v253 offset0:66 offset1:67
	s_waitcnt lgkmcnt(0)
	v_mul_f64 v[219:220], v[217:218], v[221:222]
	v_fma_f64 v[219:220], v[215:216], v[213:214], -v[219:220]
	v_mul_f64 v[215:216], v[215:216], v[221:222]
	v_add_f64 v[105:106], v[105:106], -v[219:220]
	v_fma_f64 v[215:216], v[217:218], v[213:214], v[215:216]
	v_add_f64 v[107:108], v[107:108], -v[215:216]
	ds_read2_b64 v[215:218], v253 offset0:68 offset1:69
	s_waitcnt lgkmcnt(0)
	v_mul_f64 v[219:220], v[217:218], v[221:222]
	v_fma_f64 v[219:220], v[215:216], v[213:214], -v[219:220]
	v_mul_f64 v[215:216], v[215:216], v[221:222]
	v_add_f64 v[101:102], v[101:102], -v[219:220]
	v_fma_f64 v[215:216], v[217:218], v[213:214], v[215:216]
	v_add_f64 v[103:104], v[103:104], -v[215:216]
	ds_read2_b64 v[215:218], v253 offset0:70 offset1:71
	s_waitcnt lgkmcnt(0)
	v_mul_f64 v[219:220], v[217:218], v[221:222]
	v_fma_f64 v[219:220], v[215:216], v[213:214], -v[219:220]
	v_mul_f64 v[215:216], v[215:216], v[221:222]
	v_add_f64 v[97:98], v[97:98], -v[219:220]
	v_fma_f64 v[215:216], v[217:218], v[213:214], v[215:216]
	v_add_f64 v[99:100], v[99:100], -v[215:216]
	ds_read2_b64 v[215:218], v253 offset0:72 offset1:73
	s_waitcnt lgkmcnt(0)
	v_mul_f64 v[219:220], v[217:218], v[221:222]
	v_fma_f64 v[219:220], v[215:216], v[213:214], -v[219:220]
	v_mul_f64 v[215:216], v[215:216], v[221:222]
	v_add_f64 v[93:94], v[93:94], -v[219:220]
	v_fma_f64 v[215:216], v[217:218], v[213:214], v[215:216]
	v_add_f64 v[95:96], v[95:96], -v[215:216]
	ds_read2_b64 v[215:218], v253 offset0:74 offset1:75
	s_waitcnt lgkmcnt(0)
	v_mul_f64 v[219:220], v[217:218], v[221:222]
	v_fma_f64 v[219:220], v[215:216], v[213:214], -v[219:220]
	v_mul_f64 v[215:216], v[215:216], v[221:222]
	v_add_f64 v[89:90], v[89:90], -v[219:220]
	v_fma_f64 v[215:216], v[217:218], v[213:214], v[215:216]
	v_add_f64 v[91:92], v[91:92], -v[215:216]
	ds_read2_b64 v[215:218], v253 offset0:76 offset1:77
	s_waitcnt lgkmcnt(0)
	v_mul_f64 v[219:220], v[217:218], v[221:222]
	v_fma_f64 v[219:220], v[215:216], v[213:214], -v[219:220]
	v_mul_f64 v[215:216], v[215:216], v[221:222]
	v_add_f64 v[85:86], v[85:86], -v[219:220]
	v_fma_f64 v[215:216], v[217:218], v[213:214], v[215:216]
	v_add_f64 v[87:88], v[87:88], -v[215:216]
	ds_read2_b64 v[215:218], v253 offset0:78 offset1:79
	s_waitcnt lgkmcnt(0)
	v_mul_f64 v[219:220], v[217:218], v[221:222]
	v_fma_f64 v[219:220], v[215:216], v[213:214], -v[219:220]
	v_mul_f64 v[215:216], v[215:216], v[221:222]
	v_add_f64 v[81:82], v[81:82], -v[219:220]
	v_fma_f64 v[215:216], v[217:218], v[213:214], v[215:216]
	v_add_f64 v[83:84], v[83:84], -v[215:216]
	ds_read2_b64 v[215:218], v253 offset0:80 offset1:81
	s_waitcnt lgkmcnt(0)
	v_mul_f64 v[219:220], v[217:218], v[221:222]
	v_fma_f64 v[219:220], v[215:216], v[213:214], -v[219:220]
	v_mul_f64 v[215:216], v[215:216], v[221:222]
	v_add_f64 v[77:78], v[77:78], -v[219:220]
	v_fma_f64 v[215:216], v[217:218], v[213:214], v[215:216]
	v_add_f64 v[79:80], v[79:80], -v[215:216]
	ds_read2_b64 v[215:218], v253 offset0:82 offset1:83
	s_waitcnt lgkmcnt(0)
	v_mul_f64 v[219:220], v[217:218], v[221:222]
	v_fma_f64 v[219:220], v[215:216], v[213:214], -v[219:220]
	v_mul_f64 v[215:216], v[215:216], v[221:222]
	v_add_f64 v[73:74], v[73:74], -v[219:220]
	v_fma_f64 v[215:216], v[217:218], v[213:214], v[215:216]
	v_add_f64 v[75:76], v[75:76], -v[215:216]
	ds_read2_b64 v[215:218], v253 offset0:84 offset1:85
	s_waitcnt lgkmcnt(0)
	v_mul_f64 v[219:220], v[217:218], v[221:222]
	v_fma_f64 v[219:220], v[215:216], v[213:214], -v[219:220]
	v_mul_f64 v[215:216], v[215:216], v[221:222]
	v_add_f64 v[69:70], v[69:70], -v[219:220]
	v_fma_f64 v[215:216], v[217:218], v[213:214], v[215:216]
	v_add_f64 v[71:72], v[71:72], -v[215:216]
	ds_read2_b64 v[215:218], v253 offset0:86 offset1:87
	s_waitcnt lgkmcnt(0)
	v_mul_f64 v[219:220], v[217:218], v[221:222]
	v_fma_f64 v[219:220], v[215:216], v[213:214], -v[219:220]
	v_mul_f64 v[215:216], v[215:216], v[221:222]
	v_add_f64 v[65:66], v[65:66], -v[219:220]
	v_fma_f64 v[215:216], v[217:218], v[213:214], v[215:216]
	v_add_f64 v[67:68], v[67:68], -v[215:216]
	ds_read2_b64 v[215:218], v253 offset0:88 offset1:89
	s_waitcnt lgkmcnt(0)
	v_mul_f64 v[219:220], v[217:218], v[221:222]
	v_fma_f64 v[219:220], v[215:216], v[213:214], -v[219:220]
	v_mul_f64 v[215:216], v[215:216], v[221:222]
	v_add_f64 v[61:62], v[61:62], -v[219:220]
	v_fma_f64 v[215:216], v[217:218], v[213:214], v[215:216]
	v_add_f64 v[63:64], v[63:64], -v[215:216]
	ds_read2_b64 v[215:218], v253 offset0:90 offset1:91
	s_waitcnt lgkmcnt(0)
	v_mul_f64 v[219:220], v[217:218], v[221:222]
	v_fma_f64 v[219:220], v[215:216], v[213:214], -v[219:220]
	v_mul_f64 v[215:216], v[215:216], v[221:222]
	v_add_f64 v[57:58], v[57:58], -v[219:220]
	v_fma_f64 v[215:216], v[217:218], v[213:214], v[215:216]
	v_add_f64 v[59:60], v[59:60], -v[215:216]
	ds_read2_b64 v[215:218], v253 offset0:92 offset1:93
	s_waitcnt lgkmcnt(0)
	v_mul_f64 v[219:220], v[217:218], v[221:222]
	v_fma_f64 v[219:220], v[215:216], v[213:214], -v[219:220]
	v_mul_f64 v[215:216], v[215:216], v[221:222]
	v_add_f64 v[53:54], v[53:54], -v[219:220]
	v_fma_f64 v[215:216], v[217:218], v[213:214], v[215:216]
	v_add_f64 v[55:56], v[55:56], -v[215:216]
	ds_read2_b64 v[215:218], v253 offset0:94 offset1:95
	s_waitcnt lgkmcnt(0)
	v_mul_f64 v[219:220], v[217:218], v[221:222]
	v_fma_f64 v[219:220], v[215:216], v[213:214], -v[219:220]
	v_mul_f64 v[215:216], v[215:216], v[221:222]
	v_add_f64 v[49:50], v[49:50], -v[219:220]
	v_fma_f64 v[215:216], v[217:218], v[213:214], v[215:216]
	v_add_f64 v[51:52], v[51:52], -v[215:216]
	ds_read2_b64 v[215:218], v253 offset0:96 offset1:97
	s_waitcnt lgkmcnt(0)
	v_mul_f64 v[219:220], v[217:218], v[221:222]
	v_fma_f64 v[219:220], v[215:216], v[213:214], -v[219:220]
	v_mul_f64 v[215:216], v[215:216], v[221:222]
	v_add_f64 v[45:46], v[45:46], -v[219:220]
	v_fma_f64 v[215:216], v[217:218], v[213:214], v[215:216]
	v_add_f64 v[47:48], v[47:48], -v[215:216]
	ds_read2_b64 v[215:218], v253 offset0:98 offset1:99
	s_waitcnt lgkmcnt(0)
	v_mul_f64 v[219:220], v[217:218], v[221:222]
	v_fma_f64 v[219:220], v[215:216], v[213:214], -v[219:220]
	v_mul_f64 v[215:216], v[215:216], v[221:222]
	v_add_f64 v[41:42], v[41:42], -v[219:220]
	v_fma_f64 v[215:216], v[217:218], v[213:214], v[215:216]
	v_add_f64 v[43:44], v[43:44], -v[215:216]
	ds_read2_b64 v[215:218], v253 offset0:100 offset1:101
	s_waitcnt lgkmcnt(0)
	v_mul_f64 v[219:220], v[217:218], v[221:222]
	v_fma_f64 v[219:220], v[215:216], v[213:214], -v[219:220]
	v_mul_f64 v[215:216], v[215:216], v[221:222]
	v_add_f64 v[37:38], v[37:38], -v[219:220]
	v_fma_f64 v[215:216], v[217:218], v[213:214], v[215:216]
	v_add_f64 v[39:40], v[39:40], -v[215:216]
	ds_read2_b64 v[215:218], v253 offset0:102 offset1:103
	s_waitcnt lgkmcnt(0)
	v_mul_f64 v[219:220], v[217:218], v[221:222]
	v_fma_f64 v[219:220], v[215:216], v[213:214], -v[219:220]
	v_mul_f64 v[215:216], v[215:216], v[221:222]
	v_add_f64 v[33:34], v[33:34], -v[219:220]
	v_fma_f64 v[215:216], v[217:218], v[213:214], v[215:216]
	v_add_f64 v[35:36], v[35:36], -v[215:216]
	ds_read2_b64 v[215:218], v253 offset0:104 offset1:105
	s_waitcnt lgkmcnt(0)
	v_mul_f64 v[219:220], v[217:218], v[221:222]
	v_fma_f64 v[219:220], v[215:216], v[213:214], -v[219:220]
	v_mul_f64 v[215:216], v[215:216], v[221:222]
	v_add_f64 v[29:30], v[29:30], -v[219:220]
	v_fma_f64 v[215:216], v[217:218], v[213:214], v[215:216]
	v_add_f64 v[31:32], v[31:32], -v[215:216]
	ds_read2_b64 v[215:218], v253 offset0:106 offset1:107
	s_waitcnt lgkmcnt(0)
	v_mul_f64 v[219:220], v[217:218], v[221:222]
	v_fma_f64 v[219:220], v[215:216], v[213:214], -v[219:220]
	v_mul_f64 v[215:216], v[215:216], v[221:222]
	v_add_f64 v[25:26], v[25:26], -v[219:220]
	v_fma_f64 v[215:216], v[217:218], v[213:214], v[215:216]
	v_add_f64 v[27:28], v[27:28], -v[215:216]
	ds_read2_b64 v[215:218], v253 offset0:108 offset1:109
	s_waitcnt lgkmcnt(0)
	v_mul_f64 v[219:220], v[217:218], v[221:222]
	v_fma_f64 v[219:220], v[215:216], v[213:214], -v[219:220]
	v_mul_f64 v[215:216], v[215:216], v[221:222]
	v_add_f64 v[21:22], v[21:22], -v[219:220]
	v_fma_f64 v[215:216], v[217:218], v[213:214], v[215:216]
	v_add_f64 v[23:24], v[23:24], -v[215:216]
	ds_read2_b64 v[215:218], v253 offset0:110 offset1:111
	s_waitcnt lgkmcnt(0)
	v_mul_f64 v[219:220], v[217:218], v[221:222]
	v_fma_f64 v[219:220], v[215:216], v[213:214], -v[219:220]
	v_mul_f64 v[215:216], v[215:216], v[221:222]
	v_add_f64 v[17:18], v[17:18], -v[219:220]
	v_fma_f64 v[215:216], v[217:218], v[213:214], v[215:216]
	v_add_f64 v[19:20], v[19:20], -v[215:216]
	ds_read2_b64 v[215:218], v253 offset0:112 offset1:113
	s_waitcnt lgkmcnt(0)
	v_mul_f64 v[219:220], v[217:218], v[221:222]
	v_fma_f64 v[219:220], v[215:216], v[213:214], -v[219:220]
	v_mul_f64 v[215:216], v[215:216], v[221:222]
	v_add_f64 v[13:14], v[13:14], -v[219:220]
	v_fma_f64 v[215:216], v[217:218], v[213:214], v[215:216]
	v_add_f64 v[15:16], v[15:16], -v[215:216]
	ds_read2_b64 v[215:218], v253 offset0:114 offset1:115
	s_waitcnt lgkmcnt(0)
	v_mul_f64 v[219:220], v[217:218], v[221:222]
	v_fma_f64 v[219:220], v[215:216], v[213:214], -v[219:220]
	v_mul_f64 v[215:216], v[215:216], v[221:222]
	v_add_f64 v[9:10], v[9:10], -v[219:220]
	v_fma_f64 v[215:216], v[217:218], v[213:214], v[215:216]
	v_add_f64 v[11:12], v[11:12], -v[215:216]
	ds_read2_b64 v[215:218], v253 offset0:116 offset1:117
	s_waitcnt lgkmcnt(0)
	v_mul_f64 v[219:220], v[217:218], v[221:222]
	v_fma_f64 v[219:220], v[215:216], v[213:214], -v[219:220]
	v_mul_f64 v[215:216], v[215:216], v[221:222]
	v_add_f64 v[5:6], v[5:6], -v[219:220]
	v_fma_f64 v[215:216], v[217:218], v[213:214], v[215:216]
	v_add_f64 v[7:8], v[7:8], -v[215:216]
	ds_read2_b64 v[215:218], v253 offset0:118 offset1:119
	s_waitcnt lgkmcnt(0)
	v_mul_f64 v[219:220], v[217:218], v[221:222]
	v_fma_f64 v[219:220], v[215:216], v[213:214], -v[219:220]
	v_mul_f64 v[215:216], v[215:216], v[221:222]
	v_add_f64 v[1:2], v[1:2], -v[219:220]
	v_fma_f64 v[215:216], v[217:218], v[213:214], v[215:216]
	v_mov_b32_e32 v220, v214
	v_mov_b32_e32 v219, v213
	buffer_store_dword v219, off, s[16:19], 0 offset:64 ; 4-byte Folded Spill
	buffer_store_dword v220, off, s[16:19], 0 offset:68 ; 4-byte Folded Spill
	;; [unrolled: 1-line block ×4, first 2 shown]
	v_add_f64 v[3:4], v[3:4], -v[215:216]
.LBB119_28:
	s_or_b32 exec_lo, exec_lo, s1
	s_mov_b32 s2, exec_lo
	s_waitcnt_vscnt null, 0x0
	s_barrier
	buffer_gl0_inv
	v_cmpx_eq_u32_e32 3, v0
	s_cbranch_execz .LBB119_35
; %bb.29:
	s_clause 0x3
	buffer_load_dword v193, off, s[16:19], 0 offset:48
	buffer_load_dword v194, off, s[16:19], 0 offset:52
	;; [unrolled: 1-line block ×4, first 2 shown]
	s_waitcnt vmcnt(0)
	ds_write2_b64 v255, v[193:194], v[195:196] offset1:1
	s_clause 0x3
	buffer_load_dword v193, off, s[16:19], 0 offset:32
	buffer_load_dword v194, off, s[16:19], 0 offset:36
	;; [unrolled: 1-line block ×4, first 2 shown]
	s_waitcnt vmcnt(0)
	ds_write2_b64 v253, v[193:194], v[195:196] offset0:8 offset1:9
	s_clause 0x3
	buffer_load_dword v193, off, s[16:19], 0 offset:16
	buffer_load_dword v194, off, s[16:19], 0 offset:20
	;; [unrolled: 1-line block ×4, first 2 shown]
	s_waitcnt vmcnt(0)
	ds_write2_b64 v253, v[193:194], v[195:196] offset0:10 offset1:11
	ds_write2_b64 v253, v[201:202], v[203:204] offset0:12 offset1:13
	s_clause 0x3
	buffer_load_dword v193, off, s[16:19], 0
	buffer_load_dword v194, off, s[16:19], 0 offset:4
	buffer_load_dword v195, off, s[16:19], 0 offset:8
	;; [unrolled: 1-line block ×3, first 2 shown]
	s_waitcnt vmcnt(0)
	ds_write2_b64 v253, v[193:194], v[195:196] offset0:14 offset1:15
	ds_write2_b64 v253, v[237:238], v[239:240] offset0:16 offset1:17
	;; [unrolled: 1-line block ×53, first 2 shown]
	ds_read2_b64 v[213:216], v255 offset1:1
	s_waitcnt lgkmcnt(0)
	v_cmp_neq_f64_e32 vcc_lo, 0, v[213:214]
	v_cmp_neq_f64_e64 s1, 0, v[215:216]
	s_or_b32 s1, vcc_lo, s1
	s_and_b32 exec_lo, exec_lo, s1
	s_cbranch_execz .LBB119_35
; %bb.30:
	v_cmp_ngt_f64_e64 s1, |v[213:214]|, |v[215:216]|
                                        ; implicit-def: $vgpr217_vgpr218
	s_and_saveexec_b32 s3, s1
	s_xor_b32 s1, exec_lo, s3
                                        ; implicit-def: $vgpr219_vgpr220
	s_cbranch_execz .LBB119_32
; %bb.31:
	v_div_scale_f64 v[217:218], null, v[215:216], v[215:216], v[213:214]
	v_div_scale_f64 v[223:224], vcc_lo, v[213:214], v[215:216], v[213:214]
	v_rcp_f64_e32 v[219:220], v[217:218]
	v_fma_f64 v[221:222], -v[217:218], v[219:220], 1.0
	v_fma_f64 v[219:220], v[219:220], v[221:222], v[219:220]
	v_fma_f64 v[221:222], -v[217:218], v[219:220], 1.0
	v_fma_f64 v[219:220], v[219:220], v[221:222], v[219:220]
	v_mul_f64 v[221:222], v[223:224], v[219:220]
	v_fma_f64 v[217:218], -v[217:218], v[221:222], v[223:224]
	v_div_fmas_f64 v[217:218], v[217:218], v[219:220], v[221:222]
	v_div_fixup_f64 v[217:218], v[217:218], v[215:216], v[213:214]
	v_fma_f64 v[213:214], v[213:214], v[217:218], v[215:216]
	v_div_scale_f64 v[215:216], null, v[213:214], v[213:214], 1.0
	v_rcp_f64_e32 v[219:220], v[215:216]
	v_fma_f64 v[221:222], -v[215:216], v[219:220], 1.0
	v_fma_f64 v[219:220], v[219:220], v[221:222], v[219:220]
	v_fma_f64 v[221:222], -v[215:216], v[219:220], 1.0
	v_fma_f64 v[219:220], v[219:220], v[221:222], v[219:220]
	v_div_scale_f64 v[221:222], vcc_lo, 1.0, v[213:214], 1.0
	v_mul_f64 v[223:224], v[221:222], v[219:220]
	v_fma_f64 v[215:216], -v[215:216], v[223:224], v[221:222]
	v_div_fmas_f64 v[215:216], v[215:216], v[219:220], v[223:224]
	v_div_fixup_f64 v[219:220], v[215:216], v[213:214], 1.0
                                        ; implicit-def: $vgpr213_vgpr214
	v_mul_f64 v[217:218], v[217:218], v[219:220]
	v_xor_b32_e32 v220, 0x80000000, v220
.LBB119_32:
	s_andn2_saveexec_b32 s1, s1
	s_cbranch_execz .LBB119_34
; %bb.33:
	v_div_scale_f64 v[217:218], null, v[213:214], v[213:214], v[215:216]
	v_div_scale_f64 v[223:224], vcc_lo, v[215:216], v[213:214], v[215:216]
	v_rcp_f64_e32 v[219:220], v[217:218]
	v_fma_f64 v[221:222], -v[217:218], v[219:220], 1.0
	v_fma_f64 v[219:220], v[219:220], v[221:222], v[219:220]
	v_fma_f64 v[221:222], -v[217:218], v[219:220], 1.0
	v_fma_f64 v[219:220], v[219:220], v[221:222], v[219:220]
	v_mul_f64 v[221:222], v[223:224], v[219:220]
	v_fma_f64 v[217:218], -v[217:218], v[221:222], v[223:224]
	v_div_fmas_f64 v[217:218], v[217:218], v[219:220], v[221:222]
	v_div_fixup_f64 v[219:220], v[217:218], v[213:214], v[215:216]
	v_fma_f64 v[213:214], v[215:216], v[219:220], v[213:214]
	v_div_scale_f64 v[215:216], null, v[213:214], v[213:214], 1.0
	v_rcp_f64_e32 v[217:218], v[215:216]
	v_fma_f64 v[221:222], -v[215:216], v[217:218], 1.0
	v_fma_f64 v[217:218], v[217:218], v[221:222], v[217:218]
	v_fma_f64 v[221:222], -v[215:216], v[217:218], 1.0
	v_fma_f64 v[217:218], v[217:218], v[221:222], v[217:218]
	v_div_scale_f64 v[221:222], vcc_lo, 1.0, v[213:214], 1.0
	v_mul_f64 v[223:224], v[221:222], v[217:218]
	v_fma_f64 v[215:216], -v[215:216], v[223:224], v[221:222]
	v_div_fmas_f64 v[215:216], v[215:216], v[217:218], v[223:224]
	v_div_fixup_f64 v[217:218], v[215:216], v[213:214], 1.0
	v_mul_f64 v[219:220], v[219:220], -v[217:218]
.LBB119_34:
	s_or_b32 exec_lo, exec_lo, s1
	ds_write2_b64 v255, v[217:218], v[219:220] offset1:1
.LBB119_35:
	s_or_b32 exec_lo, exec_lo, s2
	s_waitcnt lgkmcnt(0)
	s_barrier
	buffer_gl0_inv
	ds_read2_b64 v[193:196], v255 offset1:1
	s_mov_b32 s1, exec_lo
	s_waitcnt lgkmcnt(0)
	buffer_store_dword v193, off, s[16:19], 0 offset:640 ; 4-byte Folded Spill
	buffer_store_dword v194, off, s[16:19], 0 offset:644 ; 4-byte Folded Spill
	;; [unrolled: 1-line block ×4, first 2 shown]
	v_cmpx_lt_u32_e32 3, v0
	s_cbranch_execz .LBB119_37
; %bb.36:
	s_clause 0x7
	buffer_load_dword v219, off, s[16:19], 0 offset:48
	buffer_load_dword v220, off, s[16:19], 0 offset:52
	;; [unrolled: 1-line block ×8, first 2 shown]
	s_waitcnt vmcnt(2)
	v_mul_f64 v[215:216], v[193:194], v[221:222]
	s_waitcnt vmcnt(0)
	v_mul_f64 v[213:214], v[195:196], v[221:222]
	v_fma_f64 v[221:222], v[195:196], v[219:220], v[215:216]
	ds_read2_b64 v[215:218], v253 offset0:8 offset1:9
	v_fma_f64 v[213:214], v[193:194], v[219:220], -v[213:214]
	s_clause 0x3
	buffer_load_dword v193, off, s[16:19], 0 offset:32
	buffer_load_dword v194, off, s[16:19], 0 offset:36
	;; [unrolled: 1-line block ×4, first 2 shown]
	s_waitcnt lgkmcnt(0)
	v_mul_f64 v[219:220], v[217:218], v[221:222]
	v_fma_f64 v[219:220], v[215:216], v[213:214], -v[219:220]
	v_mul_f64 v[215:216], v[215:216], v[221:222]
	v_fma_f64 v[215:216], v[217:218], v[213:214], v[215:216]
	s_waitcnt vmcnt(2)
	v_add_f64 v[193:194], v[193:194], -v[219:220]
	s_waitcnt vmcnt(0)
	v_add_f64 v[195:196], v[195:196], -v[215:216]
	buffer_store_dword v193, off, s[16:19], 0 offset:32 ; 4-byte Folded Spill
	buffer_store_dword v194, off, s[16:19], 0 offset:36 ; 4-byte Folded Spill
	;; [unrolled: 1-line block ×4, first 2 shown]
	ds_read2_b64 v[215:218], v253 offset0:10 offset1:11
	s_clause 0x3
	buffer_load_dword v193, off, s[16:19], 0 offset:16
	buffer_load_dword v194, off, s[16:19], 0 offset:20
	;; [unrolled: 1-line block ×4, first 2 shown]
	s_waitcnt lgkmcnt(0)
	v_mul_f64 v[219:220], v[217:218], v[221:222]
	v_fma_f64 v[219:220], v[215:216], v[213:214], -v[219:220]
	v_mul_f64 v[215:216], v[215:216], v[221:222]
	v_fma_f64 v[215:216], v[217:218], v[213:214], v[215:216]
	s_waitcnt vmcnt(2)
	v_add_f64 v[193:194], v[193:194], -v[219:220]
	s_waitcnt vmcnt(0)
	v_add_f64 v[195:196], v[195:196], -v[215:216]
	buffer_store_dword v193, off, s[16:19], 0 offset:16 ; 4-byte Folded Spill
	buffer_store_dword v194, off, s[16:19], 0 offset:20 ; 4-byte Folded Spill
	;; [unrolled: 1-line block ×4, first 2 shown]
	ds_read2_b64 v[215:218], v253 offset0:12 offset1:13
	s_waitcnt lgkmcnt(0)
	v_mul_f64 v[219:220], v[217:218], v[221:222]
	v_fma_f64 v[219:220], v[215:216], v[213:214], -v[219:220]
	v_mul_f64 v[215:216], v[215:216], v[221:222]
	v_add_f64 v[201:202], v[201:202], -v[219:220]
	v_fma_f64 v[215:216], v[217:218], v[213:214], v[215:216]
	v_add_f64 v[203:204], v[203:204], -v[215:216]
	ds_read2_b64 v[215:218], v253 offset0:14 offset1:15
	s_clause 0x3
	buffer_load_dword v193, off, s[16:19], 0
	buffer_load_dword v194, off, s[16:19], 0 offset:4
	buffer_load_dword v195, off, s[16:19], 0 offset:8
	buffer_load_dword v196, off, s[16:19], 0 offset:12
	s_waitcnt lgkmcnt(0)
	v_mul_f64 v[219:220], v[217:218], v[221:222]
	v_fma_f64 v[219:220], v[215:216], v[213:214], -v[219:220]
	v_mul_f64 v[215:216], v[215:216], v[221:222]
	v_fma_f64 v[215:216], v[217:218], v[213:214], v[215:216]
	s_waitcnt vmcnt(2)
	v_add_f64 v[193:194], v[193:194], -v[219:220]
	s_waitcnt vmcnt(0)
	v_add_f64 v[195:196], v[195:196], -v[215:216]
	buffer_store_dword v193, off, s[16:19], 0 ; 4-byte Folded Spill
	buffer_store_dword v194, off, s[16:19], 0 offset:4 ; 4-byte Folded Spill
	buffer_store_dword v195, off, s[16:19], 0 offset:8 ; 4-byte Folded Spill
	;; [unrolled: 1-line block ×3, first 2 shown]
	ds_read2_b64 v[215:218], v253 offset0:16 offset1:17
	s_waitcnt lgkmcnt(0)
	v_mul_f64 v[219:220], v[217:218], v[221:222]
	v_fma_f64 v[219:220], v[215:216], v[213:214], -v[219:220]
	v_mul_f64 v[215:216], v[215:216], v[221:222]
	v_add_f64 v[237:238], v[237:238], -v[219:220]
	v_fma_f64 v[215:216], v[217:218], v[213:214], v[215:216]
	v_add_f64 v[239:240], v[239:240], -v[215:216]
	ds_read2_b64 v[215:218], v253 offset0:18 offset1:19
	s_waitcnt lgkmcnt(0)
	v_mul_f64 v[219:220], v[217:218], v[221:222]
	v_fma_f64 v[219:220], v[215:216], v[213:214], -v[219:220]
	v_mul_f64 v[215:216], v[215:216], v[221:222]
	v_add_f64 v[241:242], v[241:242], -v[219:220]
	v_fma_f64 v[215:216], v[217:218], v[213:214], v[215:216]
	v_add_f64 v[243:244], v[243:244], -v[215:216]
	;; [unrolled: 8-line block ×51, first 2 shown]
	ds_read2_b64 v[215:218], v253 offset0:118 offset1:119
	s_waitcnt lgkmcnt(0)
	v_mul_f64 v[219:220], v[217:218], v[221:222]
	v_fma_f64 v[219:220], v[215:216], v[213:214], -v[219:220]
	v_mul_f64 v[215:216], v[215:216], v[221:222]
	v_add_f64 v[1:2], v[1:2], -v[219:220]
	v_fma_f64 v[215:216], v[217:218], v[213:214], v[215:216]
	v_mov_b32_e32 v220, v214
	v_mov_b32_e32 v219, v213
	buffer_store_dword v219, off, s[16:19], 0 offset:48 ; 4-byte Folded Spill
	buffer_store_dword v220, off, s[16:19], 0 offset:52 ; 4-byte Folded Spill
	;; [unrolled: 1-line block ×4, first 2 shown]
	v_add_f64 v[3:4], v[3:4], -v[215:216]
.LBB119_37:
	s_or_b32 exec_lo, exec_lo, s1
	s_mov_b32 s2, exec_lo
	s_waitcnt_vscnt null, 0x0
	s_barrier
	buffer_gl0_inv
	v_cmpx_eq_u32_e32 4, v0
	s_cbranch_execz .LBB119_44
; %bb.38:
	s_clause 0x3
	buffer_load_dword v193, off, s[16:19], 0 offset:32
	buffer_load_dword v194, off, s[16:19], 0 offset:36
	buffer_load_dword v195, off, s[16:19], 0 offset:40
	buffer_load_dword v196, off, s[16:19], 0 offset:44
	s_waitcnt vmcnt(0)
	ds_write2_b64 v255, v[193:194], v[195:196] offset1:1
	s_clause 0x3
	buffer_load_dword v193, off, s[16:19], 0 offset:16
	buffer_load_dword v194, off, s[16:19], 0 offset:20
	;; [unrolled: 1-line block ×4, first 2 shown]
	s_waitcnt vmcnt(0)
	ds_write2_b64 v253, v[193:194], v[195:196] offset0:10 offset1:11
	ds_write2_b64 v253, v[201:202], v[203:204] offset0:12 offset1:13
	s_clause 0x3
	buffer_load_dword v193, off, s[16:19], 0
	buffer_load_dword v194, off, s[16:19], 0 offset:4
	buffer_load_dword v195, off, s[16:19], 0 offset:8
	;; [unrolled: 1-line block ×3, first 2 shown]
	s_waitcnt vmcnt(0)
	ds_write2_b64 v253, v[193:194], v[195:196] offset0:14 offset1:15
	ds_write2_b64 v253, v[237:238], v[239:240] offset0:16 offset1:17
	;; [unrolled: 1-line block ×53, first 2 shown]
	ds_read2_b64 v[213:216], v255 offset1:1
	s_waitcnt lgkmcnt(0)
	v_cmp_neq_f64_e32 vcc_lo, 0, v[213:214]
	v_cmp_neq_f64_e64 s1, 0, v[215:216]
	s_or_b32 s1, vcc_lo, s1
	s_and_b32 exec_lo, exec_lo, s1
	s_cbranch_execz .LBB119_44
; %bb.39:
	v_cmp_ngt_f64_e64 s1, |v[213:214]|, |v[215:216]|
                                        ; implicit-def: $vgpr217_vgpr218
	s_and_saveexec_b32 s3, s1
	s_xor_b32 s1, exec_lo, s3
                                        ; implicit-def: $vgpr219_vgpr220
	s_cbranch_execz .LBB119_41
; %bb.40:
	v_div_scale_f64 v[217:218], null, v[215:216], v[215:216], v[213:214]
	v_div_scale_f64 v[223:224], vcc_lo, v[213:214], v[215:216], v[213:214]
	v_rcp_f64_e32 v[219:220], v[217:218]
	v_fma_f64 v[221:222], -v[217:218], v[219:220], 1.0
	v_fma_f64 v[219:220], v[219:220], v[221:222], v[219:220]
	v_fma_f64 v[221:222], -v[217:218], v[219:220], 1.0
	v_fma_f64 v[219:220], v[219:220], v[221:222], v[219:220]
	v_mul_f64 v[221:222], v[223:224], v[219:220]
	v_fma_f64 v[217:218], -v[217:218], v[221:222], v[223:224]
	v_div_fmas_f64 v[217:218], v[217:218], v[219:220], v[221:222]
	v_div_fixup_f64 v[217:218], v[217:218], v[215:216], v[213:214]
	v_fma_f64 v[213:214], v[213:214], v[217:218], v[215:216]
	v_div_scale_f64 v[215:216], null, v[213:214], v[213:214], 1.0
	v_rcp_f64_e32 v[219:220], v[215:216]
	v_fma_f64 v[221:222], -v[215:216], v[219:220], 1.0
	v_fma_f64 v[219:220], v[219:220], v[221:222], v[219:220]
	v_fma_f64 v[221:222], -v[215:216], v[219:220], 1.0
	v_fma_f64 v[219:220], v[219:220], v[221:222], v[219:220]
	v_div_scale_f64 v[221:222], vcc_lo, 1.0, v[213:214], 1.0
	v_mul_f64 v[223:224], v[221:222], v[219:220]
	v_fma_f64 v[215:216], -v[215:216], v[223:224], v[221:222]
	v_div_fmas_f64 v[215:216], v[215:216], v[219:220], v[223:224]
	v_div_fixup_f64 v[219:220], v[215:216], v[213:214], 1.0
                                        ; implicit-def: $vgpr213_vgpr214
	v_mul_f64 v[217:218], v[217:218], v[219:220]
	v_xor_b32_e32 v220, 0x80000000, v220
.LBB119_41:
	s_andn2_saveexec_b32 s1, s1
	s_cbranch_execz .LBB119_43
; %bb.42:
	v_div_scale_f64 v[217:218], null, v[213:214], v[213:214], v[215:216]
	v_div_scale_f64 v[223:224], vcc_lo, v[215:216], v[213:214], v[215:216]
	v_rcp_f64_e32 v[219:220], v[217:218]
	v_fma_f64 v[221:222], -v[217:218], v[219:220], 1.0
	v_fma_f64 v[219:220], v[219:220], v[221:222], v[219:220]
	v_fma_f64 v[221:222], -v[217:218], v[219:220], 1.0
	v_fma_f64 v[219:220], v[219:220], v[221:222], v[219:220]
	v_mul_f64 v[221:222], v[223:224], v[219:220]
	v_fma_f64 v[217:218], -v[217:218], v[221:222], v[223:224]
	v_div_fmas_f64 v[217:218], v[217:218], v[219:220], v[221:222]
	v_div_fixup_f64 v[219:220], v[217:218], v[213:214], v[215:216]
	v_fma_f64 v[213:214], v[215:216], v[219:220], v[213:214]
	v_div_scale_f64 v[215:216], null, v[213:214], v[213:214], 1.0
	v_rcp_f64_e32 v[217:218], v[215:216]
	v_fma_f64 v[221:222], -v[215:216], v[217:218], 1.0
	v_fma_f64 v[217:218], v[217:218], v[221:222], v[217:218]
	v_fma_f64 v[221:222], -v[215:216], v[217:218], 1.0
	v_fma_f64 v[217:218], v[217:218], v[221:222], v[217:218]
	v_div_scale_f64 v[221:222], vcc_lo, 1.0, v[213:214], 1.0
	v_mul_f64 v[223:224], v[221:222], v[217:218]
	v_fma_f64 v[215:216], -v[215:216], v[223:224], v[221:222]
	v_div_fmas_f64 v[215:216], v[215:216], v[217:218], v[223:224]
	v_div_fixup_f64 v[217:218], v[215:216], v[213:214], 1.0
	v_mul_f64 v[219:220], v[219:220], -v[217:218]
.LBB119_43:
	s_or_b32 exec_lo, exec_lo, s1
	ds_write2_b64 v255, v[217:218], v[219:220] offset1:1
.LBB119_44:
	s_or_b32 exec_lo, exec_lo, s2
	s_waitcnt lgkmcnt(0)
	s_barrier
	buffer_gl0_inv
	ds_read2_b64 v[193:196], v255 offset1:1
	s_mov_b32 s1, exec_lo
	s_waitcnt lgkmcnt(0)
	buffer_store_dword v193, off, s[16:19], 0 offset:656 ; 4-byte Folded Spill
	buffer_store_dword v194, off, s[16:19], 0 offset:660 ; 4-byte Folded Spill
	;; [unrolled: 1-line block ×4, first 2 shown]
	v_cmpx_lt_u32_e32 4, v0
	s_cbranch_execz .LBB119_46
; %bb.45:
	s_clause 0x7
	buffer_load_dword v219, off, s[16:19], 0 offset:32
	buffer_load_dword v220, off, s[16:19], 0 offset:36
	;; [unrolled: 1-line block ×8, first 2 shown]
	s_waitcnt vmcnt(2)
	v_mul_f64 v[215:216], v[193:194], v[221:222]
	s_waitcnt vmcnt(0)
	v_mul_f64 v[213:214], v[195:196], v[221:222]
	v_fma_f64 v[221:222], v[195:196], v[219:220], v[215:216]
	ds_read2_b64 v[215:218], v253 offset0:10 offset1:11
	v_fma_f64 v[213:214], v[193:194], v[219:220], -v[213:214]
	s_clause 0x3
	buffer_load_dword v193, off, s[16:19], 0 offset:16
	buffer_load_dword v194, off, s[16:19], 0 offset:20
	;; [unrolled: 1-line block ×4, first 2 shown]
	s_waitcnt lgkmcnt(0)
	v_mul_f64 v[219:220], v[217:218], v[221:222]
	v_fma_f64 v[219:220], v[215:216], v[213:214], -v[219:220]
	v_mul_f64 v[215:216], v[215:216], v[221:222]
	v_fma_f64 v[215:216], v[217:218], v[213:214], v[215:216]
	s_waitcnt vmcnt(2)
	v_add_f64 v[193:194], v[193:194], -v[219:220]
	s_waitcnt vmcnt(0)
	v_add_f64 v[195:196], v[195:196], -v[215:216]
	buffer_store_dword v193, off, s[16:19], 0 offset:16 ; 4-byte Folded Spill
	buffer_store_dword v194, off, s[16:19], 0 offset:20 ; 4-byte Folded Spill
	;; [unrolled: 1-line block ×4, first 2 shown]
	ds_read2_b64 v[215:218], v253 offset0:12 offset1:13
	s_waitcnt lgkmcnt(0)
	v_mul_f64 v[219:220], v[217:218], v[221:222]
	v_fma_f64 v[219:220], v[215:216], v[213:214], -v[219:220]
	v_mul_f64 v[215:216], v[215:216], v[221:222]
	v_add_f64 v[201:202], v[201:202], -v[219:220]
	v_fma_f64 v[215:216], v[217:218], v[213:214], v[215:216]
	v_add_f64 v[203:204], v[203:204], -v[215:216]
	ds_read2_b64 v[215:218], v253 offset0:14 offset1:15
	s_clause 0x3
	buffer_load_dword v193, off, s[16:19], 0
	buffer_load_dword v194, off, s[16:19], 0 offset:4
	buffer_load_dword v195, off, s[16:19], 0 offset:8
	;; [unrolled: 1-line block ×3, first 2 shown]
	s_waitcnt lgkmcnt(0)
	v_mul_f64 v[219:220], v[217:218], v[221:222]
	v_fma_f64 v[219:220], v[215:216], v[213:214], -v[219:220]
	v_mul_f64 v[215:216], v[215:216], v[221:222]
	v_fma_f64 v[215:216], v[217:218], v[213:214], v[215:216]
	s_waitcnt vmcnt(2)
	v_add_f64 v[193:194], v[193:194], -v[219:220]
	s_waitcnt vmcnt(0)
	v_add_f64 v[195:196], v[195:196], -v[215:216]
	buffer_store_dword v193, off, s[16:19], 0 ; 4-byte Folded Spill
	buffer_store_dword v194, off, s[16:19], 0 offset:4 ; 4-byte Folded Spill
	buffer_store_dword v195, off, s[16:19], 0 offset:8 ; 4-byte Folded Spill
	;; [unrolled: 1-line block ×3, first 2 shown]
	ds_read2_b64 v[215:218], v253 offset0:16 offset1:17
	s_waitcnt lgkmcnt(0)
	v_mul_f64 v[219:220], v[217:218], v[221:222]
	v_fma_f64 v[219:220], v[215:216], v[213:214], -v[219:220]
	v_mul_f64 v[215:216], v[215:216], v[221:222]
	v_add_f64 v[237:238], v[237:238], -v[219:220]
	v_fma_f64 v[215:216], v[217:218], v[213:214], v[215:216]
	v_add_f64 v[239:240], v[239:240], -v[215:216]
	ds_read2_b64 v[215:218], v253 offset0:18 offset1:19
	s_waitcnt lgkmcnt(0)
	v_mul_f64 v[219:220], v[217:218], v[221:222]
	v_fma_f64 v[219:220], v[215:216], v[213:214], -v[219:220]
	v_mul_f64 v[215:216], v[215:216], v[221:222]
	v_add_f64 v[241:242], v[241:242], -v[219:220]
	v_fma_f64 v[215:216], v[217:218], v[213:214], v[215:216]
	v_add_f64 v[243:244], v[243:244], -v[215:216]
	;; [unrolled: 8-line block ×51, first 2 shown]
	ds_read2_b64 v[215:218], v253 offset0:118 offset1:119
	s_waitcnt lgkmcnt(0)
	v_mul_f64 v[219:220], v[217:218], v[221:222]
	v_fma_f64 v[219:220], v[215:216], v[213:214], -v[219:220]
	v_mul_f64 v[215:216], v[215:216], v[221:222]
	v_add_f64 v[1:2], v[1:2], -v[219:220]
	v_fma_f64 v[215:216], v[217:218], v[213:214], v[215:216]
	v_mov_b32_e32 v220, v214
	v_mov_b32_e32 v219, v213
	buffer_store_dword v219, off, s[16:19], 0 offset:32 ; 4-byte Folded Spill
	buffer_store_dword v220, off, s[16:19], 0 offset:36 ; 4-byte Folded Spill
	;; [unrolled: 1-line block ×4, first 2 shown]
	v_add_f64 v[3:4], v[3:4], -v[215:216]
.LBB119_46:
	s_or_b32 exec_lo, exec_lo, s1
	s_mov_b32 s2, exec_lo
	s_waitcnt_vscnt null, 0x0
	s_barrier
	buffer_gl0_inv
	v_cmpx_eq_u32_e32 5, v0
	s_cbranch_execz .LBB119_53
; %bb.47:
	s_clause 0x3
	buffer_load_dword v193, off, s[16:19], 0 offset:16
	buffer_load_dword v194, off, s[16:19], 0 offset:20
	;; [unrolled: 1-line block ×4, first 2 shown]
	s_waitcnt vmcnt(0)
	ds_write2_b64 v255, v[193:194], v[195:196] offset1:1
	ds_write2_b64 v253, v[201:202], v[203:204] offset0:12 offset1:13
	s_clause 0x3
	buffer_load_dword v193, off, s[16:19], 0
	buffer_load_dword v194, off, s[16:19], 0 offset:4
	buffer_load_dword v195, off, s[16:19], 0 offset:8
	;; [unrolled: 1-line block ×3, first 2 shown]
	s_waitcnt vmcnt(0)
	ds_write2_b64 v253, v[193:194], v[195:196] offset0:14 offset1:15
	ds_write2_b64 v253, v[237:238], v[239:240] offset0:16 offset1:17
	;; [unrolled: 1-line block ×53, first 2 shown]
	ds_read2_b64 v[213:216], v255 offset1:1
	s_waitcnt lgkmcnt(0)
	v_cmp_neq_f64_e32 vcc_lo, 0, v[213:214]
	v_cmp_neq_f64_e64 s1, 0, v[215:216]
	s_or_b32 s1, vcc_lo, s1
	s_and_b32 exec_lo, exec_lo, s1
	s_cbranch_execz .LBB119_53
; %bb.48:
	v_cmp_ngt_f64_e64 s1, |v[213:214]|, |v[215:216]|
                                        ; implicit-def: $vgpr217_vgpr218
	s_and_saveexec_b32 s3, s1
	s_xor_b32 s1, exec_lo, s3
                                        ; implicit-def: $vgpr219_vgpr220
	s_cbranch_execz .LBB119_50
; %bb.49:
	v_div_scale_f64 v[217:218], null, v[215:216], v[215:216], v[213:214]
	v_div_scale_f64 v[223:224], vcc_lo, v[213:214], v[215:216], v[213:214]
	v_rcp_f64_e32 v[219:220], v[217:218]
	v_fma_f64 v[221:222], -v[217:218], v[219:220], 1.0
	v_fma_f64 v[219:220], v[219:220], v[221:222], v[219:220]
	v_fma_f64 v[221:222], -v[217:218], v[219:220], 1.0
	v_fma_f64 v[219:220], v[219:220], v[221:222], v[219:220]
	v_mul_f64 v[221:222], v[223:224], v[219:220]
	v_fma_f64 v[217:218], -v[217:218], v[221:222], v[223:224]
	v_div_fmas_f64 v[217:218], v[217:218], v[219:220], v[221:222]
	v_div_fixup_f64 v[217:218], v[217:218], v[215:216], v[213:214]
	v_fma_f64 v[213:214], v[213:214], v[217:218], v[215:216]
	v_div_scale_f64 v[215:216], null, v[213:214], v[213:214], 1.0
	v_rcp_f64_e32 v[219:220], v[215:216]
	v_fma_f64 v[221:222], -v[215:216], v[219:220], 1.0
	v_fma_f64 v[219:220], v[219:220], v[221:222], v[219:220]
	v_fma_f64 v[221:222], -v[215:216], v[219:220], 1.0
	v_fma_f64 v[219:220], v[219:220], v[221:222], v[219:220]
	v_div_scale_f64 v[221:222], vcc_lo, 1.0, v[213:214], 1.0
	v_mul_f64 v[223:224], v[221:222], v[219:220]
	v_fma_f64 v[215:216], -v[215:216], v[223:224], v[221:222]
	v_div_fmas_f64 v[215:216], v[215:216], v[219:220], v[223:224]
	v_div_fixup_f64 v[219:220], v[215:216], v[213:214], 1.0
                                        ; implicit-def: $vgpr213_vgpr214
	v_mul_f64 v[217:218], v[217:218], v[219:220]
	v_xor_b32_e32 v220, 0x80000000, v220
.LBB119_50:
	s_andn2_saveexec_b32 s1, s1
	s_cbranch_execz .LBB119_52
; %bb.51:
	v_div_scale_f64 v[217:218], null, v[213:214], v[213:214], v[215:216]
	v_div_scale_f64 v[223:224], vcc_lo, v[215:216], v[213:214], v[215:216]
	v_rcp_f64_e32 v[219:220], v[217:218]
	v_fma_f64 v[221:222], -v[217:218], v[219:220], 1.0
	v_fma_f64 v[219:220], v[219:220], v[221:222], v[219:220]
	v_fma_f64 v[221:222], -v[217:218], v[219:220], 1.0
	v_fma_f64 v[219:220], v[219:220], v[221:222], v[219:220]
	v_mul_f64 v[221:222], v[223:224], v[219:220]
	v_fma_f64 v[217:218], -v[217:218], v[221:222], v[223:224]
	v_div_fmas_f64 v[217:218], v[217:218], v[219:220], v[221:222]
	v_div_fixup_f64 v[219:220], v[217:218], v[213:214], v[215:216]
	v_fma_f64 v[213:214], v[215:216], v[219:220], v[213:214]
	v_div_scale_f64 v[215:216], null, v[213:214], v[213:214], 1.0
	v_rcp_f64_e32 v[217:218], v[215:216]
	v_fma_f64 v[221:222], -v[215:216], v[217:218], 1.0
	v_fma_f64 v[217:218], v[217:218], v[221:222], v[217:218]
	v_fma_f64 v[221:222], -v[215:216], v[217:218], 1.0
	v_fma_f64 v[217:218], v[217:218], v[221:222], v[217:218]
	v_div_scale_f64 v[221:222], vcc_lo, 1.0, v[213:214], 1.0
	v_mul_f64 v[223:224], v[221:222], v[217:218]
	v_fma_f64 v[215:216], -v[215:216], v[223:224], v[221:222]
	v_div_fmas_f64 v[215:216], v[215:216], v[217:218], v[223:224]
	v_div_fixup_f64 v[217:218], v[215:216], v[213:214], 1.0
	v_mul_f64 v[219:220], v[219:220], -v[217:218]
.LBB119_52:
	s_or_b32 exec_lo, exec_lo, s1
	ds_write2_b64 v255, v[217:218], v[219:220] offset1:1
.LBB119_53:
	s_or_b32 exec_lo, exec_lo, s2
	s_waitcnt lgkmcnt(0)
	s_barrier
	buffer_gl0_inv
	ds_read2_b64 v[193:196], v255 offset1:1
	s_mov_b32 s1, exec_lo
	s_waitcnt lgkmcnt(0)
	buffer_store_dword v193, off, s[16:19], 0 offset:672 ; 4-byte Folded Spill
	buffer_store_dword v194, off, s[16:19], 0 offset:676 ; 4-byte Folded Spill
	;; [unrolled: 1-line block ×4, first 2 shown]
	v_cmpx_lt_u32_e32 5, v0
	s_cbranch_execz .LBB119_55
; %bb.54:
	s_clause 0x7
	buffer_load_dword v219, off, s[16:19], 0 offset:16
	buffer_load_dword v220, off, s[16:19], 0 offset:20
	;; [unrolled: 1-line block ×8, first 2 shown]
	s_waitcnt vmcnt(2)
	v_mul_f64 v[215:216], v[193:194], v[221:222]
	s_waitcnt vmcnt(0)
	v_mul_f64 v[213:214], v[195:196], v[221:222]
	v_fma_f64 v[221:222], v[195:196], v[219:220], v[215:216]
	ds_read2_b64 v[215:218], v253 offset0:12 offset1:13
	v_fma_f64 v[213:214], v[193:194], v[219:220], -v[213:214]
	s_waitcnt lgkmcnt(0)
	v_mul_f64 v[219:220], v[217:218], v[221:222]
	v_fma_f64 v[219:220], v[215:216], v[213:214], -v[219:220]
	v_mul_f64 v[215:216], v[215:216], v[221:222]
	v_add_f64 v[201:202], v[201:202], -v[219:220]
	v_fma_f64 v[215:216], v[217:218], v[213:214], v[215:216]
	v_add_f64 v[203:204], v[203:204], -v[215:216]
	ds_read2_b64 v[215:218], v253 offset0:14 offset1:15
	s_clause 0x3
	buffer_load_dword v193, off, s[16:19], 0
	buffer_load_dword v194, off, s[16:19], 0 offset:4
	buffer_load_dword v195, off, s[16:19], 0 offset:8
	;; [unrolled: 1-line block ×3, first 2 shown]
	s_waitcnt lgkmcnt(0)
	v_mul_f64 v[219:220], v[217:218], v[221:222]
	v_fma_f64 v[219:220], v[215:216], v[213:214], -v[219:220]
	v_mul_f64 v[215:216], v[215:216], v[221:222]
	v_fma_f64 v[215:216], v[217:218], v[213:214], v[215:216]
	s_waitcnt vmcnt(2)
	v_add_f64 v[193:194], v[193:194], -v[219:220]
	s_waitcnt vmcnt(0)
	v_add_f64 v[195:196], v[195:196], -v[215:216]
	buffer_store_dword v193, off, s[16:19], 0 ; 4-byte Folded Spill
	buffer_store_dword v194, off, s[16:19], 0 offset:4 ; 4-byte Folded Spill
	buffer_store_dword v195, off, s[16:19], 0 offset:8 ; 4-byte Folded Spill
	;; [unrolled: 1-line block ×3, first 2 shown]
	ds_read2_b64 v[215:218], v253 offset0:16 offset1:17
	s_waitcnt lgkmcnt(0)
	v_mul_f64 v[219:220], v[217:218], v[221:222]
	v_fma_f64 v[219:220], v[215:216], v[213:214], -v[219:220]
	v_mul_f64 v[215:216], v[215:216], v[221:222]
	v_add_f64 v[237:238], v[237:238], -v[219:220]
	v_fma_f64 v[215:216], v[217:218], v[213:214], v[215:216]
	v_add_f64 v[239:240], v[239:240], -v[215:216]
	ds_read2_b64 v[215:218], v253 offset0:18 offset1:19
	s_waitcnt lgkmcnt(0)
	v_mul_f64 v[219:220], v[217:218], v[221:222]
	v_fma_f64 v[219:220], v[215:216], v[213:214], -v[219:220]
	v_mul_f64 v[215:216], v[215:216], v[221:222]
	v_add_f64 v[241:242], v[241:242], -v[219:220]
	v_fma_f64 v[215:216], v[217:218], v[213:214], v[215:216]
	v_add_f64 v[243:244], v[243:244], -v[215:216]
	;; [unrolled: 8-line block ×51, first 2 shown]
	ds_read2_b64 v[215:218], v253 offset0:118 offset1:119
	s_waitcnt lgkmcnt(0)
	v_mul_f64 v[219:220], v[217:218], v[221:222]
	v_fma_f64 v[219:220], v[215:216], v[213:214], -v[219:220]
	v_mul_f64 v[215:216], v[215:216], v[221:222]
	v_add_f64 v[1:2], v[1:2], -v[219:220]
	v_fma_f64 v[215:216], v[217:218], v[213:214], v[215:216]
	v_mov_b32_e32 v220, v214
	v_mov_b32_e32 v219, v213
	buffer_store_dword v219, off, s[16:19], 0 offset:16 ; 4-byte Folded Spill
	buffer_store_dword v220, off, s[16:19], 0 offset:20 ; 4-byte Folded Spill
	buffer_store_dword v221, off, s[16:19], 0 offset:24 ; 4-byte Folded Spill
	buffer_store_dword v222, off, s[16:19], 0 offset:28 ; 4-byte Folded Spill
	v_add_f64 v[3:4], v[3:4], -v[215:216]
.LBB119_55:
	s_or_b32 exec_lo, exec_lo, s1
	s_mov_b32 s2, exec_lo
	s_waitcnt_vscnt null, 0x0
	s_barrier
	buffer_gl0_inv
	v_cmpx_eq_u32_e32 6, v0
	s_cbranch_execz .LBB119_62
; %bb.56:
	ds_write2_b64 v255, v[201:202], v[203:204] offset1:1
	s_clause 0x3
	buffer_load_dword v193, off, s[16:19], 0
	buffer_load_dword v194, off, s[16:19], 0 offset:4
	buffer_load_dword v195, off, s[16:19], 0 offset:8
	buffer_load_dword v196, off, s[16:19], 0 offset:12
	s_waitcnt vmcnt(0)
	ds_write2_b64 v253, v[193:194], v[195:196] offset0:14 offset1:15
	ds_write2_b64 v253, v[237:238], v[239:240] offset0:16 offset1:17
	;; [unrolled: 1-line block ×53, first 2 shown]
	ds_read2_b64 v[213:216], v255 offset1:1
	s_waitcnt lgkmcnt(0)
	v_cmp_neq_f64_e32 vcc_lo, 0, v[213:214]
	v_cmp_neq_f64_e64 s1, 0, v[215:216]
	s_or_b32 s1, vcc_lo, s1
	s_and_b32 exec_lo, exec_lo, s1
	s_cbranch_execz .LBB119_62
; %bb.57:
	v_cmp_ngt_f64_e64 s1, |v[213:214]|, |v[215:216]|
                                        ; implicit-def: $vgpr217_vgpr218
	s_and_saveexec_b32 s3, s1
	s_xor_b32 s1, exec_lo, s3
                                        ; implicit-def: $vgpr219_vgpr220
	s_cbranch_execz .LBB119_59
; %bb.58:
	v_div_scale_f64 v[217:218], null, v[215:216], v[215:216], v[213:214]
	v_div_scale_f64 v[223:224], vcc_lo, v[213:214], v[215:216], v[213:214]
	v_rcp_f64_e32 v[219:220], v[217:218]
	v_fma_f64 v[221:222], -v[217:218], v[219:220], 1.0
	v_fma_f64 v[219:220], v[219:220], v[221:222], v[219:220]
	v_fma_f64 v[221:222], -v[217:218], v[219:220], 1.0
	v_fma_f64 v[219:220], v[219:220], v[221:222], v[219:220]
	v_mul_f64 v[221:222], v[223:224], v[219:220]
	v_fma_f64 v[217:218], -v[217:218], v[221:222], v[223:224]
	v_div_fmas_f64 v[217:218], v[217:218], v[219:220], v[221:222]
	v_div_fixup_f64 v[217:218], v[217:218], v[215:216], v[213:214]
	v_fma_f64 v[213:214], v[213:214], v[217:218], v[215:216]
	v_div_scale_f64 v[215:216], null, v[213:214], v[213:214], 1.0
	v_rcp_f64_e32 v[219:220], v[215:216]
	v_fma_f64 v[221:222], -v[215:216], v[219:220], 1.0
	v_fma_f64 v[219:220], v[219:220], v[221:222], v[219:220]
	v_fma_f64 v[221:222], -v[215:216], v[219:220], 1.0
	v_fma_f64 v[219:220], v[219:220], v[221:222], v[219:220]
	v_div_scale_f64 v[221:222], vcc_lo, 1.0, v[213:214], 1.0
	v_mul_f64 v[223:224], v[221:222], v[219:220]
	v_fma_f64 v[215:216], -v[215:216], v[223:224], v[221:222]
	v_div_fmas_f64 v[215:216], v[215:216], v[219:220], v[223:224]
	v_div_fixup_f64 v[219:220], v[215:216], v[213:214], 1.0
                                        ; implicit-def: $vgpr213_vgpr214
	v_mul_f64 v[217:218], v[217:218], v[219:220]
	v_xor_b32_e32 v220, 0x80000000, v220
.LBB119_59:
	s_andn2_saveexec_b32 s1, s1
	s_cbranch_execz .LBB119_61
; %bb.60:
	v_div_scale_f64 v[217:218], null, v[213:214], v[213:214], v[215:216]
	v_div_scale_f64 v[223:224], vcc_lo, v[215:216], v[213:214], v[215:216]
	v_rcp_f64_e32 v[219:220], v[217:218]
	v_fma_f64 v[221:222], -v[217:218], v[219:220], 1.0
	v_fma_f64 v[219:220], v[219:220], v[221:222], v[219:220]
	v_fma_f64 v[221:222], -v[217:218], v[219:220], 1.0
	v_fma_f64 v[219:220], v[219:220], v[221:222], v[219:220]
	v_mul_f64 v[221:222], v[223:224], v[219:220]
	v_fma_f64 v[217:218], -v[217:218], v[221:222], v[223:224]
	v_div_fmas_f64 v[217:218], v[217:218], v[219:220], v[221:222]
	v_div_fixup_f64 v[219:220], v[217:218], v[213:214], v[215:216]
	v_fma_f64 v[213:214], v[215:216], v[219:220], v[213:214]
	v_div_scale_f64 v[215:216], null, v[213:214], v[213:214], 1.0
	v_rcp_f64_e32 v[217:218], v[215:216]
	v_fma_f64 v[221:222], -v[215:216], v[217:218], 1.0
	v_fma_f64 v[217:218], v[217:218], v[221:222], v[217:218]
	v_fma_f64 v[221:222], -v[215:216], v[217:218], 1.0
	v_fma_f64 v[217:218], v[217:218], v[221:222], v[217:218]
	v_div_scale_f64 v[221:222], vcc_lo, 1.0, v[213:214], 1.0
	v_mul_f64 v[223:224], v[221:222], v[217:218]
	v_fma_f64 v[215:216], -v[215:216], v[223:224], v[221:222]
	v_div_fmas_f64 v[215:216], v[215:216], v[217:218], v[223:224]
	v_div_fixup_f64 v[217:218], v[215:216], v[213:214], 1.0
	v_mul_f64 v[219:220], v[219:220], -v[217:218]
.LBB119_61:
	s_or_b32 exec_lo, exec_lo, s1
	ds_write2_b64 v255, v[217:218], v[219:220] offset1:1
.LBB119_62:
	s_or_b32 exec_lo, exec_lo, s2
	s_waitcnt lgkmcnt(0)
	s_barrier
	buffer_gl0_inv
	ds_read2_b64 v[193:196], v255 offset1:1
	s_mov_b32 s1, exec_lo
	s_waitcnt lgkmcnt(0)
	buffer_store_dword v193, off, s[16:19], 0 offset:688 ; 4-byte Folded Spill
	buffer_store_dword v194, off, s[16:19], 0 offset:692 ; 4-byte Folded Spill
	;; [unrolled: 1-line block ×4, first 2 shown]
	v_cmpx_lt_u32_e32 6, v0
	s_cbranch_execz .LBB119_64
; %bb.63:
	s_clause 0x3
	buffer_load_dword v193, off, s[16:19], 0 offset:688
	buffer_load_dword v194, off, s[16:19], 0 offset:692
	;; [unrolled: 1-line block ×4, first 2 shown]
	s_waitcnt vmcnt(2)
	v_mul_f64 v[215:216], v[193:194], v[203:204]
	s_waitcnt vmcnt(0)
	v_mul_f64 v[213:214], v[195:196], v[203:204]
	v_fma_f64 v[203:204], v[195:196], v[201:202], v[215:216]
	ds_read2_b64 v[215:218], v253 offset0:14 offset1:15
	v_fma_f64 v[213:214], v[193:194], v[201:202], -v[213:214]
	s_clause 0x3
	buffer_load_dword v193, off, s[16:19], 0
	buffer_load_dword v194, off, s[16:19], 0 offset:4
	buffer_load_dword v195, off, s[16:19], 0 offset:8
	;; [unrolled: 1-line block ×3, first 2 shown]
	s_waitcnt lgkmcnt(0)
	v_mul_f64 v[219:220], v[217:218], v[203:204]
	v_mov_b32_e32 v201, v213
	v_mov_b32_e32 v202, v214
	v_fma_f64 v[219:220], v[215:216], v[213:214], -v[219:220]
	v_mul_f64 v[215:216], v[215:216], v[203:204]
	v_fma_f64 v[215:216], v[217:218], v[213:214], v[215:216]
	s_waitcnt vmcnt(2)
	v_add_f64 v[193:194], v[193:194], -v[219:220]
	s_waitcnt vmcnt(0)
	v_add_f64 v[195:196], v[195:196], -v[215:216]
	buffer_store_dword v193, off, s[16:19], 0 ; 4-byte Folded Spill
	buffer_store_dword v194, off, s[16:19], 0 offset:4 ; 4-byte Folded Spill
	buffer_store_dword v195, off, s[16:19], 0 offset:8 ; 4-byte Folded Spill
	;; [unrolled: 1-line block ×3, first 2 shown]
	ds_read2_b64 v[215:218], v253 offset0:16 offset1:17
	s_waitcnt lgkmcnt(0)
	v_mul_f64 v[219:220], v[217:218], v[203:204]
	v_fma_f64 v[219:220], v[215:216], v[213:214], -v[219:220]
	v_mul_f64 v[215:216], v[215:216], v[203:204]
	v_add_f64 v[237:238], v[237:238], -v[219:220]
	v_fma_f64 v[215:216], v[217:218], v[213:214], v[215:216]
	v_add_f64 v[239:240], v[239:240], -v[215:216]
	ds_read2_b64 v[215:218], v253 offset0:18 offset1:19
	s_waitcnt lgkmcnt(0)
	v_mul_f64 v[219:220], v[217:218], v[203:204]
	v_fma_f64 v[219:220], v[215:216], v[213:214], -v[219:220]
	v_mul_f64 v[215:216], v[215:216], v[203:204]
	v_add_f64 v[241:242], v[241:242], -v[219:220]
	v_fma_f64 v[215:216], v[217:218], v[213:214], v[215:216]
	v_add_f64 v[243:244], v[243:244], -v[215:216]
	;; [unrolled: 8-line block ×52, first 2 shown]
.LBB119_64:
	s_or_b32 exec_lo, exec_lo, s1
	s_mov_b32 s2, exec_lo
	s_waitcnt_vscnt null, 0x0
	s_barrier
	buffer_gl0_inv
	v_cmpx_eq_u32_e32 7, v0
	s_cbranch_execz .LBB119_71
; %bb.65:
	s_clause 0x3
	buffer_load_dword v193, off, s[16:19], 0
	buffer_load_dword v194, off, s[16:19], 0 offset:4
	buffer_load_dword v195, off, s[16:19], 0 offset:8
	;; [unrolled: 1-line block ×3, first 2 shown]
	s_waitcnt vmcnt(0)
	ds_write2_b64 v255, v[193:194], v[195:196] offset1:1
	ds_write2_b64 v253, v[237:238], v[239:240] offset0:16 offset1:17
	ds_write2_b64 v253, v[241:242], v[243:244] offset0:18 offset1:19
	;; [unrolled: 1-line block ×52, first 2 shown]
	ds_read2_b64 v[213:216], v255 offset1:1
	s_waitcnt lgkmcnt(0)
	v_cmp_neq_f64_e32 vcc_lo, 0, v[213:214]
	v_cmp_neq_f64_e64 s1, 0, v[215:216]
	s_or_b32 s1, vcc_lo, s1
	s_and_b32 exec_lo, exec_lo, s1
	s_cbranch_execz .LBB119_71
; %bb.66:
	v_cmp_ngt_f64_e64 s1, |v[213:214]|, |v[215:216]|
                                        ; implicit-def: $vgpr217_vgpr218
	s_and_saveexec_b32 s3, s1
	s_xor_b32 s1, exec_lo, s3
                                        ; implicit-def: $vgpr219_vgpr220
	s_cbranch_execz .LBB119_68
; %bb.67:
	v_div_scale_f64 v[217:218], null, v[215:216], v[215:216], v[213:214]
	v_div_scale_f64 v[223:224], vcc_lo, v[213:214], v[215:216], v[213:214]
	v_rcp_f64_e32 v[219:220], v[217:218]
	v_fma_f64 v[221:222], -v[217:218], v[219:220], 1.0
	v_fma_f64 v[219:220], v[219:220], v[221:222], v[219:220]
	v_fma_f64 v[221:222], -v[217:218], v[219:220], 1.0
	v_fma_f64 v[219:220], v[219:220], v[221:222], v[219:220]
	v_mul_f64 v[221:222], v[223:224], v[219:220]
	v_fma_f64 v[217:218], -v[217:218], v[221:222], v[223:224]
	v_div_fmas_f64 v[217:218], v[217:218], v[219:220], v[221:222]
	v_div_fixup_f64 v[217:218], v[217:218], v[215:216], v[213:214]
	v_fma_f64 v[213:214], v[213:214], v[217:218], v[215:216]
	v_div_scale_f64 v[215:216], null, v[213:214], v[213:214], 1.0
	v_rcp_f64_e32 v[219:220], v[215:216]
	v_fma_f64 v[221:222], -v[215:216], v[219:220], 1.0
	v_fma_f64 v[219:220], v[219:220], v[221:222], v[219:220]
	v_fma_f64 v[221:222], -v[215:216], v[219:220], 1.0
	v_fma_f64 v[219:220], v[219:220], v[221:222], v[219:220]
	v_div_scale_f64 v[221:222], vcc_lo, 1.0, v[213:214], 1.0
	v_mul_f64 v[223:224], v[221:222], v[219:220]
	v_fma_f64 v[215:216], -v[215:216], v[223:224], v[221:222]
	v_div_fmas_f64 v[215:216], v[215:216], v[219:220], v[223:224]
	v_div_fixup_f64 v[219:220], v[215:216], v[213:214], 1.0
                                        ; implicit-def: $vgpr213_vgpr214
	v_mul_f64 v[217:218], v[217:218], v[219:220]
	v_xor_b32_e32 v220, 0x80000000, v220
.LBB119_68:
	s_andn2_saveexec_b32 s1, s1
	s_cbranch_execz .LBB119_70
; %bb.69:
	v_div_scale_f64 v[217:218], null, v[213:214], v[213:214], v[215:216]
	v_div_scale_f64 v[223:224], vcc_lo, v[215:216], v[213:214], v[215:216]
	v_rcp_f64_e32 v[219:220], v[217:218]
	v_fma_f64 v[221:222], -v[217:218], v[219:220], 1.0
	v_fma_f64 v[219:220], v[219:220], v[221:222], v[219:220]
	v_fma_f64 v[221:222], -v[217:218], v[219:220], 1.0
	v_fma_f64 v[219:220], v[219:220], v[221:222], v[219:220]
	v_mul_f64 v[221:222], v[223:224], v[219:220]
	v_fma_f64 v[217:218], -v[217:218], v[221:222], v[223:224]
	v_div_fmas_f64 v[217:218], v[217:218], v[219:220], v[221:222]
	v_div_fixup_f64 v[219:220], v[217:218], v[213:214], v[215:216]
	v_fma_f64 v[213:214], v[215:216], v[219:220], v[213:214]
	v_div_scale_f64 v[215:216], null, v[213:214], v[213:214], 1.0
	v_rcp_f64_e32 v[217:218], v[215:216]
	v_fma_f64 v[221:222], -v[215:216], v[217:218], 1.0
	v_fma_f64 v[217:218], v[217:218], v[221:222], v[217:218]
	v_fma_f64 v[221:222], -v[215:216], v[217:218], 1.0
	v_fma_f64 v[217:218], v[217:218], v[221:222], v[217:218]
	v_div_scale_f64 v[221:222], vcc_lo, 1.0, v[213:214], 1.0
	v_mul_f64 v[223:224], v[221:222], v[217:218]
	v_fma_f64 v[215:216], -v[215:216], v[223:224], v[221:222]
	v_div_fmas_f64 v[215:216], v[215:216], v[217:218], v[223:224]
	v_div_fixup_f64 v[217:218], v[215:216], v[213:214], 1.0
	v_mul_f64 v[219:220], v[219:220], -v[217:218]
.LBB119_70:
	s_or_b32 exec_lo, exec_lo, s1
	ds_write2_b64 v255, v[217:218], v[219:220] offset1:1
.LBB119_71:
	s_or_b32 exec_lo, exec_lo, s2
	s_waitcnt lgkmcnt(0)
	s_barrier
	buffer_gl0_inv
	ds_read2_b64 v[193:196], v255 offset1:1
	s_mov_b32 s1, exec_lo
	s_waitcnt lgkmcnt(0)
	buffer_store_dword v193, off, s[16:19], 0 offset:704 ; 4-byte Folded Spill
	buffer_store_dword v194, off, s[16:19], 0 offset:708 ; 4-byte Folded Spill
	;; [unrolled: 1-line block ×4, first 2 shown]
	v_cmpx_lt_u32_e32 7, v0
	s_cbranch_execz .LBB119_73
; %bb.72:
	s_clause 0x7
	buffer_load_dword v193, off, s[16:19], 0
	buffer_load_dword v194, off, s[16:19], 0 offset:4
	buffer_load_dword v195, off, s[16:19], 0 offset:8
	;; [unrolled: 1-line block ×7, first 2 shown]
	v_mov_b32_e32 v222, v212
	v_mov_b32_e32 v221, v211
	;; [unrolled: 1-line block ×4, first 2 shown]
	s_waitcnt vmcnt(2)
	v_mul_f64 v[211:212], v[215:216], v[195:196]
	s_waitcnt vmcnt(0)
	v_mul_f64 v[213:214], v[217:218], v[195:196]
	v_fma_f64 v[195:196], v[217:218], v[193:194], v[211:212]
	v_fma_f64 v[213:214], v[215:216], v[193:194], -v[213:214]
	ds_read2_b64 v[215:218], v253 offset0:16 offset1:17
	s_waitcnt lgkmcnt(0)
	v_mul_f64 v[209:210], v[217:218], v[195:196]
	v_mov_b32_e32 v193, v213
	v_mov_b32_e32 v194, v214
	v_fma_f64 v[209:210], v[215:216], v[213:214], -v[209:210]
	v_mul_f64 v[215:216], v[215:216], v[195:196]
	v_add_f64 v[237:238], v[237:238], -v[209:210]
	v_fma_f64 v[215:216], v[217:218], v[213:214], v[215:216]
	v_add_f64 v[239:240], v[239:240], -v[215:216]
	ds_read2_b64 v[215:218], v253 offset0:18 offset1:19
	s_waitcnt lgkmcnt(0)
	v_mul_f64 v[209:210], v[217:218], v[195:196]
	v_fma_f64 v[209:210], v[215:216], v[213:214], -v[209:210]
	v_mul_f64 v[215:216], v[215:216], v[195:196]
	v_add_f64 v[241:242], v[241:242], -v[209:210]
	v_fma_f64 v[215:216], v[217:218], v[213:214], v[215:216]
	v_add_f64 v[243:244], v[243:244], -v[215:216]
	ds_read2_b64 v[215:218], v253 offset0:20 offset1:21
	s_waitcnt lgkmcnt(0)
	v_mul_f64 v[209:210], v[217:218], v[195:196]
	;; [unrolled: 8-line block ×51, first 2 shown]
	v_fma_f64 v[209:210], v[215:216], v[213:214], -v[209:210]
	v_mul_f64 v[215:216], v[215:216], v[195:196]
	buffer_store_dword v193, off, s[16:19], 0 ; 4-byte Folded Spill
	buffer_store_dword v194, off, s[16:19], 0 offset:4 ; 4-byte Folded Spill
	buffer_store_dword v195, off, s[16:19], 0 offset:8 ; 4-byte Folded Spill
	;; [unrolled: 1-line block ×3, first 2 shown]
	v_add_f64 v[1:2], v[1:2], -v[209:210]
	v_fma_f64 v[215:216], v[217:218], v[213:214], v[215:216]
	v_mov_b32_e32 v209, v219
	v_mov_b32_e32 v210, v220
	;; [unrolled: 1-line block ×4, first 2 shown]
	v_add_f64 v[3:4], v[3:4], -v[215:216]
.LBB119_73:
	s_or_b32 exec_lo, exec_lo, s1
	s_mov_b32 s2, exec_lo
	s_waitcnt_vscnt null, 0x0
	s_barrier
	buffer_gl0_inv
	v_cmpx_eq_u32_e32 8, v0
	s_cbranch_execz .LBB119_80
; %bb.74:
	ds_write2_b64 v255, v[237:238], v[239:240] offset1:1
	ds_write2_b64 v253, v[241:242], v[243:244] offset0:18 offset1:19
	ds_write2_b64 v253, v[249:250], v[251:252] offset0:20 offset1:21
	;; [unrolled: 1-line block ×51, first 2 shown]
	ds_read2_b64 v[213:216], v255 offset1:1
	s_waitcnt lgkmcnt(0)
	v_cmp_neq_f64_e32 vcc_lo, 0, v[213:214]
	v_cmp_neq_f64_e64 s1, 0, v[215:216]
	s_or_b32 s1, vcc_lo, s1
	s_and_b32 exec_lo, exec_lo, s1
	s_cbranch_execz .LBB119_80
; %bb.75:
	v_cmp_ngt_f64_e64 s1, |v[213:214]|, |v[215:216]|
                                        ; implicit-def: $vgpr217_vgpr218
	s_and_saveexec_b32 s3, s1
	s_xor_b32 s1, exec_lo, s3
                                        ; implicit-def: $vgpr219_vgpr220
	s_cbranch_execz .LBB119_77
; %bb.76:
	v_div_scale_f64 v[217:218], null, v[215:216], v[215:216], v[213:214]
	v_div_scale_f64 v[223:224], vcc_lo, v[213:214], v[215:216], v[213:214]
	v_rcp_f64_e32 v[219:220], v[217:218]
	v_fma_f64 v[221:222], -v[217:218], v[219:220], 1.0
	v_fma_f64 v[219:220], v[219:220], v[221:222], v[219:220]
	v_fma_f64 v[221:222], -v[217:218], v[219:220], 1.0
	v_fma_f64 v[219:220], v[219:220], v[221:222], v[219:220]
	v_mul_f64 v[221:222], v[223:224], v[219:220]
	v_fma_f64 v[217:218], -v[217:218], v[221:222], v[223:224]
	v_div_fmas_f64 v[217:218], v[217:218], v[219:220], v[221:222]
	v_div_fixup_f64 v[217:218], v[217:218], v[215:216], v[213:214]
	v_fma_f64 v[213:214], v[213:214], v[217:218], v[215:216]
	v_div_scale_f64 v[215:216], null, v[213:214], v[213:214], 1.0
	v_rcp_f64_e32 v[219:220], v[215:216]
	v_fma_f64 v[221:222], -v[215:216], v[219:220], 1.0
	v_fma_f64 v[219:220], v[219:220], v[221:222], v[219:220]
	v_fma_f64 v[221:222], -v[215:216], v[219:220], 1.0
	v_fma_f64 v[219:220], v[219:220], v[221:222], v[219:220]
	v_div_scale_f64 v[221:222], vcc_lo, 1.0, v[213:214], 1.0
	v_mul_f64 v[223:224], v[221:222], v[219:220]
	v_fma_f64 v[215:216], -v[215:216], v[223:224], v[221:222]
	v_div_fmas_f64 v[215:216], v[215:216], v[219:220], v[223:224]
	v_div_fixup_f64 v[219:220], v[215:216], v[213:214], 1.0
                                        ; implicit-def: $vgpr213_vgpr214
	v_mul_f64 v[217:218], v[217:218], v[219:220]
	v_xor_b32_e32 v220, 0x80000000, v220
.LBB119_77:
	s_andn2_saveexec_b32 s1, s1
	s_cbranch_execz .LBB119_79
; %bb.78:
	v_div_scale_f64 v[217:218], null, v[213:214], v[213:214], v[215:216]
	v_div_scale_f64 v[223:224], vcc_lo, v[215:216], v[213:214], v[215:216]
	v_rcp_f64_e32 v[219:220], v[217:218]
	v_fma_f64 v[221:222], -v[217:218], v[219:220], 1.0
	v_fma_f64 v[219:220], v[219:220], v[221:222], v[219:220]
	v_fma_f64 v[221:222], -v[217:218], v[219:220], 1.0
	v_fma_f64 v[219:220], v[219:220], v[221:222], v[219:220]
	v_mul_f64 v[221:222], v[223:224], v[219:220]
	v_fma_f64 v[217:218], -v[217:218], v[221:222], v[223:224]
	v_div_fmas_f64 v[217:218], v[217:218], v[219:220], v[221:222]
	v_div_fixup_f64 v[219:220], v[217:218], v[213:214], v[215:216]
	v_fma_f64 v[213:214], v[215:216], v[219:220], v[213:214]
	v_div_scale_f64 v[215:216], null, v[213:214], v[213:214], 1.0
	v_rcp_f64_e32 v[217:218], v[215:216]
	v_fma_f64 v[221:222], -v[215:216], v[217:218], 1.0
	v_fma_f64 v[217:218], v[217:218], v[221:222], v[217:218]
	v_fma_f64 v[221:222], -v[215:216], v[217:218], 1.0
	v_fma_f64 v[217:218], v[217:218], v[221:222], v[217:218]
	v_div_scale_f64 v[221:222], vcc_lo, 1.0, v[213:214], 1.0
	v_mul_f64 v[223:224], v[221:222], v[217:218]
	v_fma_f64 v[215:216], -v[215:216], v[223:224], v[221:222]
	v_div_fmas_f64 v[215:216], v[215:216], v[217:218], v[223:224]
	v_div_fixup_f64 v[217:218], v[215:216], v[213:214], 1.0
	v_mul_f64 v[219:220], v[219:220], -v[217:218]
.LBB119_79:
	s_or_b32 exec_lo, exec_lo, s1
	ds_write2_b64 v255, v[217:218], v[219:220] offset1:1
.LBB119_80:
	s_or_b32 exec_lo, exec_lo, s2
	s_waitcnt lgkmcnt(0)
	s_barrier
	buffer_gl0_inv
	ds_read2_b64 v[193:196], v255 offset1:1
	s_mov_b32 s1, exec_lo
	s_waitcnt lgkmcnt(0)
	buffer_store_dword v193, off, s[16:19], 0 offset:720 ; 4-byte Folded Spill
	buffer_store_dword v194, off, s[16:19], 0 offset:724 ; 4-byte Folded Spill
	;; [unrolled: 1-line block ×4, first 2 shown]
	v_cmpx_lt_u32_e32 8, v0
	s_cbranch_execz .LBB119_82
; %bb.81:
	s_clause 0x3
	buffer_load_dword v193, off, s[16:19], 0 offset:720
	buffer_load_dword v194, off, s[16:19], 0 offset:724
	;; [unrolled: 1-line block ×4, first 2 shown]
	v_mov_b32_e32 v205, v207
	v_mov_b32_e32 v206, v208
	ds_read2_b64 v[215:218], v253 offset0:18 offset1:19
	s_waitcnt vmcnt(2)
	v_mul_f64 v[207:208], v[193:194], v[239:240]
	s_waitcnt vmcnt(0)
	v_mul_f64 v[213:214], v[195:196], v[239:240]
	v_fma_f64 v[239:240], v[195:196], v[237:238], v[207:208]
	v_mov_b32_e32 v208, v206
	v_fma_f64 v[213:214], v[193:194], v[237:238], -v[213:214]
	v_mov_b32_e32 v207, v205
	s_waitcnt lgkmcnt(0)
	v_mul_f64 v[205:206], v[217:218], v[239:240]
	v_mov_b32_e32 v238, v214
	v_mov_b32_e32 v237, v213
	v_fma_f64 v[205:206], v[215:216], v[213:214], -v[205:206]
	v_mul_f64 v[215:216], v[215:216], v[239:240]
	v_add_f64 v[241:242], v[241:242], -v[205:206]
	v_fma_f64 v[215:216], v[217:218], v[213:214], v[215:216]
	v_add_f64 v[243:244], v[243:244], -v[215:216]
	ds_read2_b64 v[215:218], v253 offset0:20 offset1:21
	s_waitcnt lgkmcnt(0)
	v_mul_f64 v[205:206], v[217:218], v[239:240]
	v_fma_f64 v[205:206], v[215:216], v[213:214], -v[205:206]
	v_mul_f64 v[215:216], v[215:216], v[239:240]
	v_add_f64 v[249:250], v[249:250], -v[205:206]
	v_fma_f64 v[215:216], v[217:218], v[213:214], v[215:216]
	v_add_f64 v[251:252], v[251:252], -v[215:216]
	ds_read2_b64 v[215:218], v253 offset0:22 offset1:23
	s_waitcnt lgkmcnt(0)
	v_mul_f64 v[205:206], v[217:218], v[239:240]
	;; [unrolled: 8-line block ×50, first 2 shown]
	v_fma_f64 v[205:206], v[215:216], v[213:214], -v[205:206]
	v_mul_f64 v[215:216], v[215:216], v[239:240]
	v_add_f64 v[1:2], v[1:2], -v[205:206]
	v_fma_f64 v[215:216], v[217:218], v[213:214], v[215:216]
	v_add_f64 v[3:4], v[3:4], -v[215:216]
.LBB119_82:
	s_or_b32 exec_lo, exec_lo, s1
	s_mov_b32 s2, exec_lo
	s_waitcnt_vscnt null, 0x0
	s_barrier
	buffer_gl0_inv
	v_cmpx_eq_u32_e32 9, v0
	s_cbranch_execz .LBB119_89
; %bb.83:
	ds_write2_b64 v255, v[241:242], v[243:244] offset1:1
	ds_write2_b64 v253, v[249:250], v[251:252] offset0:20 offset1:21
	ds_write2_b64 v253, v[209:210], v[211:212] offset0:22 offset1:23
	;; [unrolled: 1-line block ×50, first 2 shown]
	ds_read2_b64 v[213:216], v255 offset1:1
	s_waitcnt lgkmcnt(0)
	v_cmp_neq_f64_e32 vcc_lo, 0, v[213:214]
	v_cmp_neq_f64_e64 s1, 0, v[215:216]
	s_or_b32 s1, vcc_lo, s1
	s_and_b32 exec_lo, exec_lo, s1
	s_cbranch_execz .LBB119_89
; %bb.84:
	v_cmp_ngt_f64_e64 s1, |v[213:214]|, |v[215:216]|
                                        ; implicit-def: $vgpr217_vgpr218
	s_and_saveexec_b32 s3, s1
	s_xor_b32 s1, exec_lo, s3
                                        ; implicit-def: $vgpr219_vgpr220
	s_cbranch_execz .LBB119_86
; %bb.85:
	v_div_scale_f64 v[217:218], null, v[215:216], v[215:216], v[213:214]
	v_div_scale_f64 v[223:224], vcc_lo, v[213:214], v[215:216], v[213:214]
	v_rcp_f64_e32 v[219:220], v[217:218]
	v_fma_f64 v[221:222], -v[217:218], v[219:220], 1.0
	v_fma_f64 v[219:220], v[219:220], v[221:222], v[219:220]
	v_fma_f64 v[221:222], -v[217:218], v[219:220], 1.0
	v_fma_f64 v[219:220], v[219:220], v[221:222], v[219:220]
	v_mul_f64 v[221:222], v[223:224], v[219:220]
	v_fma_f64 v[217:218], -v[217:218], v[221:222], v[223:224]
	v_div_fmas_f64 v[217:218], v[217:218], v[219:220], v[221:222]
	v_div_fixup_f64 v[217:218], v[217:218], v[215:216], v[213:214]
	v_fma_f64 v[213:214], v[213:214], v[217:218], v[215:216]
	v_div_scale_f64 v[215:216], null, v[213:214], v[213:214], 1.0
	v_rcp_f64_e32 v[219:220], v[215:216]
	v_fma_f64 v[221:222], -v[215:216], v[219:220], 1.0
	v_fma_f64 v[219:220], v[219:220], v[221:222], v[219:220]
	v_fma_f64 v[221:222], -v[215:216], v[219:220], 1.0
	v_fma_f64 v[219:220], v[219:220], v[221:222], v[219:220]
	v_div_scale_f64 v[221:222], vcc_lo, 1.0, v[213:214], 1.0
	v_mul_f64 v[223:224], v[221:222], v[219:220]
	v_fma_f64 v[215:216], -v[215:216], v[223:224], v[221:222]
	v_div_fmas_f64 v[215:216], v[215:216], v[219:220], v[223:224]
	v_div_fixup_f64 v[219:220], v[215:216], v[213:214], 1.0
                                        ; implicit-def: $vgpr213_vgpr214
	v_mul_f64 v[217:218], v[217:218], v[219:220]
	v_xor_b32_e32 v220, 0x80000000, v220
.LBB119_86:
	s_andn2_saveexec_b32 s1, s1
	s_cbranch_execz .LBB119_88
; %bb.87:
	v_div_scale_f64 v[217:218], null, v[213:214], v[213:214], v[215:216]
	v_div_scale_f64 v[223:224], vcc_lo, v[215:216], v[213:214], v[215:216]
	v_rcp_f64_e32 v[219:220], v[217:218]
	v_fma_f64 v[221:222], -v[217:218], v[219:220], 1.0
	v_fma_f64 v[219:220], v[219:220], v[221:222], v[219:220]
	v_fma_f64 v[221:222], -v[217:218], v[219:220], 1.0
	v_fma_f64 v[219:220], v[219:220], v[221:222], v[219:220]
	v_mul_f64 v[221:222], v[223:224], v[219:220]
	v_fma_f64 v[217:218], -v[217:218], v[221:222], v[223:224]
	v_div_fmas_f64 v[217:218], v[217:218], v[219:220], v[221:222]
	v_div_fixup_f64 v[219:220], v[217:218], v[213:214], v[215:216]
	v_fma_f64 v[213:214], v[215:216], v[219:220], v[213:214]
	v_div_scale_f64 v[215:216], null, v[213:214], v[213:214], 1.0
	v_rcp_f64_e32 v[217:218], v[215:216]
	v_fma_f64 v[221:222], -v[215:216], v[217:218], 1.0
	v_fma_f64 v[217:218], v[217:218], v[221:222], v[217:218]
	v_fma_f64 v[221:222], -v[215:216], v[217:218], 1.0
	v_fma_f64 v[217:218], v[217:218], v[221:222], v[217:218]
	v_div_scale_f64 v[221:222], vcc_lo, 1.0, v[213:214], 1.0
	v_mul_f64 v[223:224], v[221:222], v[217:218]
	v_fma_f64 v[215:216], -v[215:216], v[223:224], v[221:222]
	v_div_fmas_f64 v[215:216], v[215:216], v[217:218], v[223:224]
	v_div_fixup_f64 v[217:218], v[215:216], v[213:214], 1.0
	v_mul_f64 v[219:220], v[219:220], -v[217:218]
.LBB119_88:
	s_or_b32 exec_lo, exec_lo, s1
	ds_write2_b64 v255, v[217:218], v[219:220] offset1:1
.LBB119_89:
	s_or_b32 exec_lo, exec_lo, s2
	s_waitcnt lgkmcnt(0)
	s_barrier
	buffer_gl0_inv
	ds_read2_b64 v[193:196], v255 offset1:1
	v_cmp_lt_u32_e32 vcc_lo, 9, v0
	s_waitcnt lgkmcnt(0)
	buffer_store_dword v193, off, s[16:19], 0 offset:736 ; 4-byte Folded Spill
	buffer_store_dword v194, off, s[16:19], 0 offset:740 ; 4-byte Folded Spill
	;; [unrolled: 1-line block ×4, first 2 shown]
	s_mov_b32 s1, exec_lo
	s_and_b32 s2, s1, vcc_lo
	buffer_store_dword v201, off, s[16:19], 0 offset:560 ; 4-byte Folded Spill
	buffer_store_dword v202, off, s[16:19], 0 offset:564 ; 4-byte Folded Spill
	;; [unrolled: 1-line block ×4, first 2 shown]
	s_mov_b32 exec_lo, s2
	s_cbranch_execz .LBB119_91
; %bb.90:
	s_clause 0x3
	buffer_load_dword v193, off, s[16:19], 0 offset:736
	buffer_load_dword v194, off, s[16:19], 0 offset:740
	;; [unrolled: 1-line block ×4, first 2 shown]
	ds_read2_b64 v[215:218], v253 offset0:20 offset1:21
	s_waitcnt vmcnt(2)
	v_mul_f64 v[203:204], v[193:194], v[243:244]
	s_waitcnt vmcnt(0)
	v_mul_f64 v[213:214], v[195:196], v[243:244]
	v_fma_f64 v[243:244], v[195:196], v[241:242], v[203:204]
	v_fma_f64 v[213:214], v[193:194], v[241:242], -v[213:214]
	s_waitcnt lgkmcnt(0)
	v_mul_f64 v[201:202], v[217:218], v[243:244]
	v_mov_b32_e32 v242, v214
	v_mov_b32_e32 v241, v213
	v_fma_f64 v[201:202], v[215:216], v[213:214], -v[201:202]
	v_mul_f64 v[215:216], v[215:216], v[243:244]
	v_add_f64 v[249:250], v[249:250], -v[201:202]
	v_fma_f64 v[215:216], v[217:218], v[213:214], v[215:216]
	v_add_f64 v[251:252], v[251:252], -v[215:216]
	ds_read2_b64 v[215:218], v253 offset0:22 offset1:23
	s_waitcnt lgkmcnt(0)
	v_mul_f64 v[201:202], v[217:218], v[243:244]
	v_fma_f64 v[201:202], v[215:216], v[213:214], -v[201:202]
	v_mul_f64 v[215:216], v[215:216], v[243:244]
	v_add_f64 v[209:210], v[209:210], -v[201:202]
	v_fma_f64 v[215:216], v[217:218], v[213:214], v[215:216]
	v_add_f64 v[211:212], v[211:212], -v[215:216]
	ds_read2_b64 v[215:218], v253 offset0:24 offset1:25
	s_waitcnt lgkmcnt(0)
	v_mul_f64 v[201:202], v[217:218], v[243:244]
	;; [unrolled: 8-line block ×49, first 2 shown]
	v_fma_f64 v[201:202], v[215:216], v[213:214], -v[201:202]
	v_mul_f64 v[215:216], v[215:216], v[243:244]
	v_add_f64 v[1:2], v[1:2], -v[201:202]
	v_fma_f64 v[215:216], v[217:218], v[213:214], v[215:216]
	v_add_f64 v[3:4], v[3:4], -v[215:216]
.LBB119_91:
	s_or_b32 exec_lo, exec_lo, s1
	s_mov_b32 s2, exec_lo
	s_waitcnt_vscnt null, 0x0
	s_barrier
	buffer_gl0_inv
	v_cmpx_eq_u32_e32 10, v0
	s_cbranch_execz .LBB119_98
; %bb.92:
	ds_write2_b64 v255, v[249:250], v[251:252] offset1:1
	ds_write2_b64 v253, v[209:210], v[211:212] offset0:22 offset1:23
	ds_write2_b64 v253, v[189:190], v[191:192] offset0:24 offset1:25
	;; [unrolled: 1-line block ×49, first 2 shown]
	ds_read2_b64 v[213:216], v255 offset1:1
	s_waitcnt lgkmcnt(0)
	v_cmp_neq_f64_e32 vcc_lo, 0, v[213:214]
	v_cmp_neq_f64_e64 s1, 0, v[215:216]
	s_or_b32 s1, vcc_lo, s1
	s_and_b32 exec_lo, exec_lo, s1
	s_cbranch_execz .LBB119_98
; %bb.93:
	v_cmp_ngt_f64_e64 s1, |v[213:214]|, |v[215:216]|
                                        ; implicit-def: $vgpr217_vgpr218
	s_and_saveexec_b32 s3, s1
	s_xor_b32 s1, exec_lo, s3
                                        ; implicit-def: $vgpr219_vgpr220
	s_cbranch_execz .LBB119_95
; %bb.94:
	v_div_scale_f64 v[217:218], null, v[215:216], v[215:216], v[213:214]
	v_div_scale_f64 v[223:224], vcc_lo, v[213:214], v[215:216], v[213:214]
	v_rcp_f64_e32 v[219:220], v[217:218]
	v_fma_f64 v[221:222], -v[217:218], v[219:220], 1.0
	v_fma_f64 v[219:220], v[219:220], v[221:222], v[219:220]
	v_fma_f64 v[221:222], -v[217:218], v[219:220], 1.0
	v_fma_f64 v[219:220], v[219:220], v[221:222], v[219:220]
	v_mul_f64 v[221:222], v[223:224], v[219:220]
	v_fma_f64 v[217:218], -v[217:218], v[221:222], v[223:224]
	v_div_fmas_f64 v[217:218], v[217:218], v[219:220], v[221:222]
	v_div_fixup_f64 v[217:218], v[217:218], v[215:216], v[213:214]
	v_fma_f64 v[213:214], v[213:214], v[217:218], v[215:216]
	v_div_scale_f64 v[215:216], null, v[213:214], v[213:214], 1.0
	v_rcp_f64_e32 v[219:220], v[215:216]
	v_fma_f64 v[221:222], -v[215:216], v[219:220], 1.0
	v_fma_f64 v[219:220], v[219:220], v[221:222], v[219:220]
	v_fma_f64 v[221:222], -v[215:216], v[219:220], 1.0
	v_fma_f64 v[219:220], v[219:220], v[221:222], v[219:220]
	v_div_scale_f64 v[221:222], vcc_lo, 1.0, v[213:214], 1.0
	v_mul_f64 v[223:224], v[221:222], v[219:220]
	v_fma_f64 v[215:216], -v[215:216], v[223:224], v[221:222]
	v_div_fmas_f64 v[215:216], v[215:216], v[219:220], v[223:224]
	v_div_fixup_f64 v[219:220], v[215:216], v[213:214], 1.0
                                        ; implicit-def: $vgpr213_vgpr214
	v_mul_f64 v[217:218], v[217:218], v[219:220]
	v_xor_b32_e32 v220, 0x80000000, v220
.LBB119_95:
	s_andn2_saveexec_b32 s1, s1
	s_cbranch_execz .LBB119_97
; %bb.96:
	v_div_scale_f64 v[217:218], null, v[213:214], v[213:214], v[215:216]
	v_div_scale_f64 v[223:224], vcc_lo, v[215:216], v[213:214], v[215:216]
	v_rcp_f64_e32 v[219:220], v[217:218]
	v_fma_f64 v[221:222], -v[217:218], v[219:220], 1.0
	v_fma_f64 v[219:220], v[219:220], v[221:222], v[219:220]
	v_fma_f64 v[221:222], -v[217:218], v[219:220], 1.0
	v_fma_f64 v[219:220], v[219:220], v[221:222], v[219:220]
	v_mul_f64 v[221:222], v[223:224], v[219:220]
	v_fma_f64 v[217:218], -v[217:218], v[221:222], v[223:224]
	v_div_fmas_f64 v[217:218], v[217:218], v[219:220], v[221:222]
	v_div_fixup_f64 v[219:220], v[217:218], v[213:214], v[215:216]
	v_fma_f64 v[213:214], v[215:216], v[219:220], v[213:214]
	v_div_scale_f64 v[215:216], null, v[213:214], v[213:214], 1.0
	v_rcp_f64_e32 v[217:218], v[215:216]
	v_fma_f64 v[221:222], -v[215:216], v[217:218], 1.0
	v_fma_f64 v[217:218], v[217:218], v[221:222], v[217:218]
	v_fma_f64 v[221:222], -v[215:216], v[217:218], 1.0
	v_fma_f64 v[217:218], v[217:218], v[221:222], v[217:218]
	v_div_scale_f64 v[221:222], vcc_lo, 1.0, v[213:214], 1.0
	v_mul_f64 v[223:224], v[221:222], v[217:218]
	v_fma_f64 v[215:216], -v[215:216], v[223:224], v[221:222]
	v_div_fmas_f64 v[215:216], v[215:216], v[217:218], v[223:224]
	v_div_fixup_f64 v[217:218], v[215:216], v[213:214], 1.0
	v_mul_f64 v[219:220], v[219:220], -v[217:218]
.LBB119_97:
	s_or_b32 exec_lo, exec_lo, s1
	ds_write2_b64 v255, v[217:218], v[219:220] offset1:1
.LBB119_98:
	s_or_b32 exec_lo, exec_lo, s2
	s_waitcnt lgkmcnt(0)
	s_barrier
	buffer_gl0_inv
	ds_read2_b64 v[201:204], v255 offset1:1
	s_mov_b32 s1, exec_lo
	v_cmpx_lt_u32_e32 10, v0
	s_cbranch_execz .LBB119_100
; %bb.99:
	v_mov_b32_e32 v206, v198
	v_mov_b32_e32 v205, v197
	;; [unrolled: 1-line block ×4, first 2 shown]
	s_waitcnt lgkmcnt(0)
	v_mul_f64 v[199:200], v[201:202], v[251:252]
	v_mul_f64 v[213:214], v[203:204], v[251:252]
	ds_read2_b64 v[215:218], v253 offset0:22 offset1:23
	v_fma_f64 v[251:252], v[203:204], v[249:250], v[199:200]
	v_mov_b32_e32 v200, v198
	v_fma_f64 v[213:214], v[201:202], v[249:250], -v[213:214]
	v_mov_b32_e32 v199, v197
	s_waitcnt lgkmcnt(0)
	v_mul_f64 v[197:198], v[217:218], v[251:252]
	v_mov_b32_e32 v250, v214
	v_mov_b32_e32 v249, v213
	v_fma_f64 v[197:198], v[215:216], v[213:214], -v[197:198]
	v_mul_f64 v[215:216], v[215:216], v[251:252]
	v_add_f64 v[209:210], v[209:210], -v[197:198]
	v_fma_f64 v[215:216], v[217:218], v[213:214], v[215:216]
	v_add_f64 v[211:212], v[211:212], -v[215:216]
	ds_read2_b64 v[215:218], v253 offset0:24 offset1:25
	s_waitcnt lgkmcnt(0)
	v_mul_f64 v[197:198], v[217:218], v[251:252]
	v_fma_f64 v[197:198], v[215:216], v[213:214], -v[197:198]
	v_mul_f64 v[215:216], v[215:216], v[251:252]
	v_add_f64 v[189:190], v[189:190], -v[197:198]
	v_fma_f64 v[215:216], v[217:218], v[213:214], v[215:216]
	v_add_f64 v[191:192], v[191:192], -v[215:216]
	ds_read2_b64 v[215:218], v253 offset0:26 offset1:27
	s_waitcnt lgkmcnt(0)
	v_mul_f64 v[197:198], v[217:218], v[251:252]
	v_fma_f64 v[197:198], v[215:216], v[213:214], -v[197:198]
	v_mul_f64 v[215:216], v[215:216], v[251:252]
	v_add_f64 v[185:186], v[185:186], -v[197:198]
	v_fma_f64 v[215:216], v[217:218], v[213:214], v[215:216]
	v_add_f64 v[187:188], v[187:188], -v[215:216]
	ds_read2_b64 v[215:218], v253 offset0:28 offset1:29
	s_waitcnt lgkmcnt(0)
	v_mul_f64 v[197:198], v[217:218], v[251:252]
	v_fma_f64 v[197:198], v[215:216], v[213:214], -v[197:198]
	v_mul_f64 v[215:216], v[215:216], v[251:252]
	v_add_f64 v[181:182], v[181:182], -v[197:198]
	v_fma_f64 v[215:216], v[217:218], v[213:214], v[215:216]
	v_add_f64 v[183:184], v[183:184], -v[215:216]
	ds_read2_b64 v[215:218], v253 offset0:30 offset1:31
	s_waitcnt lgkmcnt(0)
	v_mul_f64 v[197:198], v[217:218], v[251:252]
	v_fma_f64 v[197:198], v[215:216], v[213:214], -v[197:198]
	v_mul_f64 v[215:216], v[215:216], v[251:252]
	v_add_f64 v[177:178], v[177:178], -v[197:198]
	v_fma_f64 v[215:216], v[217:218], v[213:214], v[215:216]
	v_add_f64 v[179:180], v[179:180], -v[215:216]
	ds_read2_b64 v[215:218], v253 offset0:32 offset1:33
	s_waitcnt lgkmcnt(0)
	v_mul_f64 v[197:198], v[217:218], v[251:252]
	v_fma_f64 v[197:198], v[215:216], v[213:214], -v[197:198]
	v_mul_f64 v[215:216], v[215:216], v[251:252]
	v_add_f64 v[173:174], v[173:174], -v[197:198]
	v_fma_f64 v[215:216], v[217:218], v[213:214], v[215:216]
	v_add_f64 v[175:176], v[175:176], -v[215:216]
	ds_read2_b64 v[215:218], v253 offset0:34 offset1:35
	s_waitcnt lgkmcnt(0)
	v_mul_f64 v[197:198], v[217:218], v[251:252]
	v_fma_f64 v[197:198], v[215:216], v[213:214], -v[197:198]
	v_mul_f64 v[215:216], v[215:216], v[251:252]
	v_add_f64 v[169:170], v[169:170], -v[197:198]
	v_fma_f64 v[215:216], v[217:218], v[213:214], v[215:216]
	v_add_f64 v[171:172], v[171:172], -v[215:216]
	ds_read2_b64 v[215:218], v253 offset0:36 offset1:37
	s_waitcnt lgkmcnt(0)
	v_mul_f64 v[197:198], v[217:218], v[251:252]
	v_fma_f64 v[197:198], v[215:216], v[213:214], -v[197:198]
	v_mul_f64 v[215:216], v[215:216], v[251:252]
	v_add_f64 v[165:166], v[165:166], -v[197:198]
	v_fma_f64 v[215:216], v[217:218], v[213:214], v[215:216]
	v_add_f64 v[167:168], v[167:168], -v[215:216]
	ds_read2_b64 v[215:218], v253 offset0:38 offset1:39
	s_waitcnt lgkmcnt(0)
	v_mul_f64 v[197:198], v[217:218], v[251:252]
	v_fma_f64 v[197:198], v[215:216], v[213:214], -v[197:198]
	v_mul_f64 v[215:216], v[215:216], v[251:252]
	v_add_f64 v[161:162], v[161:162], -v[197:198]
	v_fma_f64 v[215:216], v[217:218], v[213:214], v[215:216]
	v_add_f64 v[163:164], v[163:164], -v[215:216]
	ds_read2_b64 v[215:218], v253 offset0:40 offset1:41
	s_waitcnt lgkmcnt(0)
	v_mul_f64 v[197:198], v[217:218], v[251:252]
	v_fma_f64 v[197:198], v[215:216], v[213:214], -v[197:198]
	v_mul_f64 v[215:216], v[215:216], v[251:252]
	v_add_f64 v[157:158], v[157:158], -v[197:198]
	v_fma_f64 v[215:216], v[217:218], v[213:214], v[215:216]
	v_add_f64 v[159:160], v[159:160], -v[215:216]
	ds_read2_b64 v[215:218], v253 offset0:42 offset1:43
	s_waitcnt lgkmcnt(0)
	v_mul_f64 v[197:198], v[217:218], v[251:252]
	v_fma_f64 v[197:198], v[215:216], v[213:214], -v[197:198]
	v_mul_f64 v[215:216], v[215:216], v[251:252]
	v_add_f64 v[153:154], v[153:154], -v[197:198]
	v_fma_f64 v[215:216], v[217:218], v[213:214], v[215:216]
	v_add_f64 v[155:156], v[155:156], -v[215:216]
	ds_read2_b64 v[215:218], v253 offset0:44 offset1:45
	s_waitcnt lgkmcnt(0)
	v_mul_f64 v[197:198], v[217:218], v[251:252]
	v_fma_f64 v[197:198], v[215:216], v[213:214], -v[197:198]
	v_mul_f64 v[215:216], v[215:216], v[251:252]
	v_add_f64 v[149:150], v[149:150], -v[197:198]
	v_fma_f64 v[215:216], v[217:218], v[213:214], v[215:216]
	v_add_f64 v[151:152], v[151:152], -v[215:216]
	ds_read2_b64 v[215:218], v253 offset0:46 offset1:47
	s_waitcnt lgkmcnt(0)
	v_mul_f64 v[197:198], v[217:218], v[251:252]
	v_fma_f64 v[197:198], v[215:216], v[213:214], -v[197:198]
	v_mul_f64 v[215:216], v[215:216], v[251:252]
	v_add_f64 v[145:146], v[145:146], -v[197:198]
	v_fma_f64 v[215:216], v[217:218], v[213:214], v[215:216]
	v_add_f64 v[147:148], v[147:148], -v[215:216]
	ds_read2_b64 v[215:218], v253 offset0:48 offset1:49
	s_waitcnt lgkmcnt(0)
	v_mul_f64 v[197:198], v[217:218], v[251:252]
	v_fma_f64 v[197:198], v[215:216], v[213:214], -v[197:198]
	v_mul_f64 v[215:216], v[215:216], v[251:252]
	v_add_f64 v[141:142], v[141:142], -v[197:198]
	v_fma_f64 v[215:216], v[217:218], v[213:214], v[215:216]
	v_add_f64 v[143:144], v[143:144], -v[215:216]
	ds_read2_b64 v[215:218], v253 offset0:50 offset1:51
	s_waitcnt lgkmcnt(0)
	v_mul_f64 v[197:198], v[217:218], v[251:252]
	v_fma_f64 v[197:198], v[215:216], v[213:214], -v[197:198]
	v_mul_f64 v[215:216], v[215:216], v[251:252]
	v_add_f64 v[137:138], v[137:138], -v[197:198]
	v_fma_f64 v[215:216], v[217:218], v[213:214], v[215:216]
	v_add_f64 v[139:140], v[139:140], -v[215:216]
	ds_read2_b64 v[215:218], v253 offset0:52 offset1:53
	s_waitcnt lgkmcnt(0)
	v_mul_f64 v[197:198], v[217:218], v[251:252]
	v_fma_f64 v[197:198], v[215:216], v[213:214], -v[197:198]
	v_mul_f64 v[215:216], v[215:216], v[251:252]
	v_add_f64 v[133:134], v[133:134], -v[197:198]
	v_fma_f64 v[215:216], v[217:218], v[213:214], v[215:216]
	v_add_f64 v[135:136], v[135:136], -v[215:216]
	ds_read2_b64 v[215:218], v253 offset0:54 offset1:55
	s_waitcnt lgkmcnt(0)
	v_mul_f64 v[197:198], v[217:218], v[251:252]
	v_fma_f64 v[197:198], v[215:216], v[213:214], -v[197:198]
	v_mul_f64 v[215:216], v[215:216], v[251:252]
	v_add_f64 v[129:130], v[129:130], -v[197:198]
	v_fma_f64 v[215:216], v[217:218], v[213:214], v[215:216]
	v_add_f64 v[131:132], v[131:132], -v[215:216]
	ds_read2_b64 v[215:218], v253 offset0:56 offset1:57
	s_waitcnt lgkmcnt(0)
	v_mul_f64 v[197:198], v[217:218], v[251:252]
	v_fma_f64 v[197:198], v[215:216], v[213:214], -v[197:198]
	v_mul_f64 v[215:216], v[215:216], v[251:252]
	v_add_f64 v[125:126], v[125:126], -v[197:198]
	v_fma_f64 v[215:216], v[217:218], v[213:214], v[215:216]
	v_add_f64 v[127:128], v[127:128], -v[215:216]
	ds_read2_b64 v[215:218], v253 offset0:58 offset1:59
	s_waitcnt lgkmcnt(0)
	v_mul_f64 v[197:198], v[217:218], v[251:252]
	v_fma_f64 v[197:198], v[215:216], v[213:214], -v[197:198]
	v_mul_f64 v[215:216], v[215:216], v[251:252]
	v_add_f64 v[121:122], v[121:122], -v[197:198]
	v_fma_f64 v[215:216], v[217:218], v[213:214], v[215:216]
	v_add_f64 v[123:124], v[123:124], -v[215:216]
	ds_read2_b64 v[215:218], v253 offset0:60 offset1:61
	s_waitcnt lgkmcnt(0)
	v_mul_f64 v[197:198], v[217:218], v[251:252]
	v_fma_f64 v[197:198], v[215:216], v[213:214], -v[197:198]
	v_mul_f64 v[215:216], v[215:216], v[251:252]
	v_add_f64 v[117:118], v[117:118], -v[197:198]
	v_fma_f64 v[215:216], v[217:218], v[213:214], v[215:216]
	v_add_f64 v[119:120], v[119:120], -v[215:216]
	ds_read2_b64 v[215:218], v253 offset0:62 offset1:63
	s_waitcnt lgkmcnt(0)
	v_mul_f64 v[197:198], v[217:218], v[251:252]
	v_fma_f64 v[197:198], v[215:216], v[213:214], -v[197:198]
	v_mul_f64 v[215:216], v[215:216], v[251:252]
	v_add_f64 v[113:114], v[113:114], -v[197:198]
	v_fma_f64 v[215:216], v[217:218], v[213:214], v[215:216]
	v_add_f64 v[115:116], v[115:116], -v[215:216]
	ds_read2_b64 v[215:218], v253 offset0:64 offset1:65
	s_waitcnt lgkmcnt(0)
	v_mul_f64 v[197:198], v[217:218], v[251:252]
	v_fma_f64 v[197:198], v[215:216], v[213:214], -v[197:198]
	v_mul_f64 v[215:216], v[215:216], v[251:252]
	v_add_f64 v[109:110], v[109:110], -v[197:198]
	v_fma_f64 v[215:216], v[217:218], v[213:214], v[215:216]
	v_add_f64 v[111:112], v[111:112], -v[215:216]
	ds_read2_b64 v[215:218], v253 offset0:66 offset1:67
	s_waitcnt lgkmcnt(0)
	v_mul_f64 v[197:198], v[217:218], v[251:252]
	v_fma_f64 v[197:198], v[215:216], v[213:214], -v[197:198]
	v_mul_f64 v[215:216], v[215:216], v[251:252]
	v_add_f64 v[105:106], v[105:106], -v[197:198]
	v_fma_f64 v[215:216], v[217:218], v[213:214], v[215:216]
	v_add_f64 v[107:108], v[107:108], -v[215:216]
	ds_read2_b64 v[215:218], v253 offset0:68 offset1:69
	s_waitcnt lgkmcnt(0)
	v_mul_f64 v[197:198], v[217:218], v[251:252]
	v_fma_f64 v[197:198], v[215:216], v[213:214], -v[197:198]
	v_mul_f64 v[215:216], v[215:216], v[251:252]
	v_add_f64 v[101:102], v[101:102], -v[197:198]
	v_fma_f64 v[215:216], v[217:218], v[213:214], v[215:216]
	v_add_f64 v[103:104], v[103:104], -v[215:216]
	ds_read2_b64 v[215:218], v253 offset0:70 offset1:71
	s_waitcnt lgkmcnt(0)
	v_mul_f64 v[197:198], v[217:218], v[251:252]
	v_fma_f64 v[197:198], v[215:216], v[213:214], -v[197:198]
	v_mul_f64 v[215:216], v[215:216], v[251:252]
	v_add_f64 v[97:98], v[97:98], -v[197:198]
	v_fma_f64 v[215:216], v[217:218], v[213:214], v[215:216]
	v_add_f64 v[99:100], v[99:100], -v[215:216]
	ds_read2_b64 v[215:218], v253 offset0:72 offset1:73
	s_waitcnt lgkmcnt(0)
	v_mul_f64 v[197:198], v[217:218], v[251:252]
	v_fma_f64 v[197:198], v[215:216], v[213:214], -v[197:198]
	v_mul_f64 v[215:216], v[215:216], v[251:252]
	v_add_f64 v[93:94], v[93:94], -v[197:198]
	v_fma_f64 v[215:216], v[217:218], v[213:214], v[215:216]
	v_add_f64 v[95:96], v[95:96], -v[215:216]
	ds_read2_b64 v[215:218], v253 offset0:74 offset1:75
	s_waitcnt lgkmcnt(0)
	v_mul_f64 v[197:198], v[217:218], v[251:252]
	v_fma_f64 v[197:198], v[215:216], v[213:214], -v[197:198]
	v_mul_f64 v[215:216], v[215:216], v[251:252]
	v_add_f64 v[89:90], v[89:90], -v[197:198]
	v_fma_f64 v[215:216], v[217:218], v[213:214], v[215:216]
	v_add_f64 v[91:92], v[91:92], -v[215:216]
	ds_read2_b64 v[215:218], v253 offset0:76 offset1:77
	s_waitcnt lgkmcnt(0)
	v_mul_f64 v[197:198], v[217:218], v[251:252]
	v_fma_f64 v[197:198], v[215:216], v[213:214], -v[197:198]
	v_mul_f64 v[215:216], v[215:216], v[251:252]
	v_add_f64 v[85:86], v[85:86], -v[197:198]
	v_fma_f64 v[215:216], v[217:218], v[213:214], v[215:216]
	v_add_f64 v[87:88], v[87:88], -v[215:216]
	ds_read2_b64 v[215:218], v253 offset0:78 offset1:79
	s_waitcnt lgkmcnt(0)
	v_mul_f64 v[197:198], v[217:218], v[251:252]
	v_fma_f64 v[197:198], v[215:216], v[213:214], -v[197:198]
	v_mul_f64 v[215:216], v[215:216], v[251:252]
	v_add_f64 v[81:82], v[81:82], -v[197:198]
	v_fma_f64 v[215:216], v[217:218], v[213:214], v[215:216]
	v_add_f64 v[83:84], v[83:84], -v[215:216]
	ds_read2_b64 v[215:218], v253 offset0:80 offset1:81
	s_waitcnt lgkmcnt(0)
	v_mul_f64 v[197:198], v[217:218], v[251:252]
	v_fma_f64 v[197:198], v[215:216], v[213:214], -v[197:198]
	v_mul_f64 v[215:216], v[215:216], v[251:252]
	v_add_f64 v[77:78], v[77:78], -v[197:198]
	v_fma_f64 v[215:216], v[217:218], v[213:214], v[215:216]
	v_add_f64 v[79:80], v[79:80], -v[215:216]
	ds_read2_b64 v[215:218], v253 offset0:82 offset1:83
	s_waitcnt lgkmcnt(0)
	v_mul_f64 v[197:198], v[217:218], v[251:252]
	v_fma_f64 v[197:198], v[215:216], v[213:214], -v[197:198]
	v_mul_f64 v[215:216], v[215:216], v[251:252]
	v_add_f64 v[73:74], v[73:74], -v[197:198]
	v_fma_f64 v[215:216], v[217:218], v[213:214], v[215:216]
	v_add_f64 v[75:76], v[75:76], -v[215:216]
	ds_read2_b64 v[215:218], v253 offset0:84 offset1:85
	s_waitcnt lgkmcnt(0)
	v_mul_f64 v[197:198], v[217:218], v[251:252]
	v_fma_f64 v[197:198], v[215:216], v[213:214], -v[197:198]
	v_mul_f64 v[215:216], v[215:216], v[251:252]
	v_add_f64 v[69:70], v[69:70], -v[197:198]
	v_fma_f64 v[215:216], v[217:218], v[213:214], v[215:216]
	v_add_f64 v[71:72], v[71:72], -v[215:216]
	ds_read2_b64 v[215:218], v253 offset0:86 offset1:87
	s_waitcnt lgkmcnt(0)
	v_mul_f64 v[197:198], v[217:218], v[251:252]
	v_fma_f64 v[197:198], v[215:216], v[213:214], -v[197:198]
	v_mul_f64 v[215:216], v[215:216], v[251:252]
	v_add_f64 v[65:66], v[65:66], -v[197:198]
	v_fma_f64 v[215:216], v[217:218], v[213:214], v[215:216]
	v_add_f64 v[67:68], v[67:68], -v[215:216]
	ds_read2_b64 v[215:218], v253 offset0:88 offset1:89
	s_waitcnt lgkmcnt(0)
	v_mul_f64 v[197:198], v[217:218], v[251:252]
	v_fma_f64 v[197:198], v[215:216], v[213:214], -v[197:198]
	v_mul_f64 v[215:216], v[215:216], v[251:252]
	v_add_f64 v[61:62], v[61:62], -v[197:198]
	v_fma_f64 v[215:216], v[217:218], v[213:214], v[215:216]
	v_add_f64 v[63:64], v[63:64], -v[215:216]
	ds_read2_b64 v[215:218], v253 offset0:90 offset1:91
	s_waitcnt lgkmcnt(0)
	v_mul_f64 v[197:198], v[217:218], v[251:252]
	v_fma_f64 v[197:198], v[215:216], v[213:214], -v[197:198]
	v_mul_f64 v[215:216], v[215:216], v[251:252]
	v_add_f64 v[57:58], v[57:58], -v[197:198]
	v_fma_f64 v[215:216], v[217:218], v[213:214], v[215:216]
	v_add_f64 v[59:60], v[59:60], -v[215:216]
	ds_read2_b64 v[215:218], v253 offset0:92 offset1:93
	s_waitcnt lgkmcnt(0)
	v_mul_f64 v[197:198], v[217:218], v[251:252]
	v_fma_f64 v[197:198], v[215:216], v[213:214], -v[197:198]
	v_mul_f64 v[215:216], v[215:216], v[251:252]
	v_add_f64 v[53:54], v[53:54], -v[197:198]
	v_fma_f64 v[215:216], v[217:218], v[213:214], v[215:216]
	v_add_f64 v[55:56], v[55:56], -v[215:216]
	ds_read2_b64 v[215:218], v253 offset0:94 offset1:95
	s_waitcnt lgkmcnt(0)
	v_mul_f64 v[197:198], v[217:218], v[251:252]
	v_fma_f64 v[197:198], v[215:216], v[213:214], -v[197:198]
	v_mul_f64 v[215:216], v[215:216], v[251:252]
	v_add_f64 v[49:50], v[49:50], -v[197:198]
	v_fma_f64 v[215:216], v[217:218], v[213:214], v[215:216]
	v_add_f64 v[51:52], v[51:52], -v[215:216]
	ds_read2_b64 v[215:218], v253 offset0:96 offset1:97
	s_waitcnt lgkmcnt(0)
	v_mul_f64 v[197:198], v[217:218], v[251:252]
	v_fma_f64 v[197:198], v[215:216], v[213:214], -v[197:198]
	v_mul_f64 v[215:216], v[215:216], v[251:252]
	v_add_f64 v[45:46], v[45:46], -v[197:198]
	v_fma_f64 v[215:216], v[217:218], v[213:214], v[215:216]
	v_add_f64 v[47:48], v[47:48], -v[215:216]
	ds_read2_b64 v[215:218], v253 offset0:98 offset1:99
	s_waitcnt lgkmcnt(0)
	v_mul_f64 v[197:198], v[217:218], v[251:252]
	v_fma_f64 v[197:198], v[215:216], v[213:214], -v[197:198]
	v_mul_f64 v[215:216], v[215:216], v[251:252]
	v_add_f64 v[41:42], v[41:42], -v[197:198]
	v_fma_f64 v[215:216], v[217:218], v[213:214], v[215:216]
	v_add_f64 v[43:44], v[43:44], -v[215:216]
	ds_read2_b64 v[215:218], v253 offset0:100 offset1:101
	s_waitcnt lgkmcnt(0)
	v_mul_f64 v[197:198], v[217:218], v[251:252]
	v_fma_f64 v[197:198], v[215:216], v[213:214], -v[197:198]
	v_mul_f64 v[215:216], v[215:216], v[251:252]
	v_add_f64 v[37:38], v[37:38], -v[197:198]
	v_fma_f64 v[215:216], v[217:218], v[213:214], v[215:216]
	v_add_f64 v[39:40], v[39:40], -v[215:216]
	ds_read2_b64 v[215:218], v253 offset0:102 offset1:103
	s_waitcnt lgkmcnt(0)
	v_mul_f64 v[197:198], v[217:218], v[251:252]
	v_fma_f64 v[197:198], v[215:216], v[213:214], -v[197:198]
	v_mul_f64 v[215:216], v[215:216], v[251:252]
	v_add_f64 v[33:34], v[33:34], -v[197:198]
	v_fma_f64 v[215:216], v[217:218], v[213:214], v[215:216]
	v_add_f64 v[35:36], v[35:36], -v[215:216]
	ds_read2_b64 v[215:218], v253 offset0:104 offset1:105
	s_waitcnt lgkmcnt(0)
	v_mul_f64 v[197:198], v[217:218], v[251:252]
	v_fma_f64 v[197:198], v[215:216], v[213:214], -v[197:198]
	v_mul_f64 v[215:216], v[215:216], v[251:252]
	v_add_f64 v[29:30], v[29:30], -v[197:198]
	v_fma_f64 v[215:216], v[217:218], v[213:214], v[215:216]
	v_add_f64 v[31:32], v[31:32], -v[215:216]
	ds_read2_b64 v[215:218], v253 offset0:106 offset1:107
	s_waitcnt lgkmcnt(0)
	v_mul_f64 v[197:198], v[217:218], v[251:252]
	v_fma_f64 v[197:198], v[215:216], v[213:214], -v[197:198]
	v_mul_f64 v[215:216], v[215:216], v[251:252]
	v_add_f64 v[25:26], v[25:26], -v[197:198]
	v_fma_f64 v[215:216], v[217:218], v[213:214], v[215:216]
	v_add_f64 v[27:28], v[27:28], -v[215:216]
	ds_read2_b64 v[215:218], v253 offset0:108 offset1:109
	s_waitcnt lgkmcnt(0)
	v_mul_f64 v[197:198], v[217:218], v[251:252]
	v_fma_f64 v[197:198], v[215:216], v[213:214], -v[197:198]
	v_mul_f64 v[215:216], v[215:216], v[251:252]
	v_add_f64 v[21:22], v[21:22], -v[197:198]
	v_fma_f64 v[215:216], v[217:218], v[213:214], v[215:216]
	v_add_f64 v[23:24], v[23:24], -v[215:216]
	ds_read2_b64 v[215:218], v253 offset0:110 offset1:111
	s_waitcnt lgkmcnt(0)
	v_mul_f64 v[197:198], v[217:218], v[251:252]
	v_fma_f64 v[197:198], v[215:216], v[213:214], -v[197:198]
	v_mul_f64 v[215:216], v[215:216], v[251:252]
	v_add_f64 v[17:18], v[17:18], -v[197:198]
	v_fma_f64 v[215:216], v[217:218], v[213:214], v[215:216]
	v_add_f64 v[19:20], v[19:20], -v[215:216]
	ds_read2_b64 v[215:218], v253 offset0:112 offset1:113
	s_waitcnt lgkmcnt(0)
	v_mul_f64 v[197:198], v[217:218], v[251:252]
	v_fma_f64 v[197:198], v[215:216], v[213:214], -v[197:198]
	v_mul_f64 v[215:216], v[215:216], v[251:252]
	v_add_f64 v[13:14], v[13:14], -v[197:198]
	v_fma_f64 v[215:216], v[217:218], v[213:214], v[215:216]
	v_add_f64 v[15:16], v[15:16], -v[215:216]
	ds_read2_b64 v[215:218], v253 offset0:114 offset1:115
	s_waitcnt lgkmcnt(0)
	v_mul_f64 v[197:198], v[217:218], v[251:252]
	v_fma_f64 v[197:198], v[215:216], v[213:214], -v[197:198]
	v_mul_f64 v[215:216], v[215:216], v[251:252]
	v_add_f64 v[9:10], v[9:10], -v[197:198]
	v_fma_f64 v[215:216], v[217:218], v[213:214], v[215:216]
	v_add_f64 v[11:12], v[11:12], -v[215:216]
	ds_read2_b64 v[215:218], v253 offset0:116 offset1:117
	s_waitcnt lgkmcnt(0)
	v_mul_f64 v[197:198], v[217:218], v[251:252]
	v_fma_f64 v[197:198], v[215:216], v[213:214], -v[197:198]
	v_mul_f64 v[215:216], v[215:216], v[251:252]
	v_add_f64 v[5:6], v[5:6], -v[197:198]
	v_fma_f64 v[215:216], v[217:218], v[213:214], v[215:216]
	v_add_f64 v[7:8], v[7:8], -v[215:216]
	ds_read2_b64 v[215:218], v253 offset0:118 offset1:119
	s_waitcnt lgkmcnt(0)
	v_mul_f64 v[197:198], v[217:218], v[251:252]
	v_fma_f64 v[197:198], v[215:216], v[213:214], -v[197:198]
	v_mul_f64 v[215:216], v[215:216], v[251:252]
	v_add_f64 v[1:2], v[1:2], -v[197:198]
	v_fma_f64 v[215:216], v[217:218], v[213:214], v[215:216]
	v_mov_b32_e32 v197, v205
	v_mov_b32_e32 v198, v206
	v_add_f64 v[3:4], v[3:4], -v[215:216]
.LBB119_100:
	s_or_b32 exec_lo, exec_lo, s1
	s_mov_b32 s2, exec_lo
	s_waitcnt lgkmcnt(0)
	s_barrier
	buffer_gl0_inv
	v_cmpx_eq_u32_e32 11, v0
	s_cbranch_execz .LBB119_107
; %bb.101:
	ds_write2_b64 v255, v[209:210], v[211:212] offset1:1
	ds_write2_b64 v253, v[189:190], v[191:192] offset0:24 offset1:25
	ds_write2_b64 v253, v[185:186], v[187:188] offset0:26 offset1:27
	;; [unrolled: 1-line block ×48, first 2 shown]
	ds_read2_b64 v[213:216], v255 offset1:1
	s_waitcnt lgkmcnt(0)
	v_cmp_neq_f64_e32 vcc_lo, 0, v[213:214]
	v_cmp_neq_f64_e64 s1, 0, v[215:216]
	s_or_b32 s1, vcc_lo, s1
	s_and_b32 exec_lo, exec_lo, s1
	s_cbranch_execz .LBB119_107
; %bb.102:
	v_cmp_ngt_f64_e64 s1, |v[213:214]|, |v[215:216]|
                                        ; implicit-def: $vgpr217_vgpr218
	s_and_saveexec_b32 s3, s1
	s_xor_b32 s1, exec_lo, s3
                                        ; implicit-def: $vgpr219_vgpr220
	s_cbranch_execz .LBB119_104
; %bb.103:
	v_div_scale_f64 v[217:218], null, v[215:216], v[215:216], v[213:214]
	v_div_scale_f64 v[223:224], vcc_lo, v[213:214], v[215:216], v[213:214]
	v_rcp_f64_e32 v[219:220], v[217:218]
	v_fma_f64 v[221:222], -v[217:218], v[219:220], 1.0
	v_fma_f64 v[219:220], v[219:220], v[221:222], v[219:220]
	v_fma_f64 v[221:222], -v[217:218], v[219:220], 1.0
	v_fma_f64 v[219:220], v[219:220], v[221:222], v[219:220]
	v_mul_f64 v[221:222], v[223:224], v[219:220]
	v_fma_f64 v[217:218], -v[217:218], v[221:222], v[223:224]
	v_div_fmas_f64 v[217:218], v[217:218], v[219:220], v[221:222]
	v_div_fixup_f64 v[217:218], v[217:218], v[215:216], v[213:214]
	v_fma_f64 v[213:214], v[213:214], v[217:218], v[215:216]
	v_div_scale_f64 v[215:216], null, v[213:214], v[213:214], 1.0
	v_rcp_f64_e32 v[219:220], v[215:216]
	v_fma_f64 v[221:222], -v[215:216], v[219:220], 1.0
	v_fma_f64 v[219:220], v[219:220], v[221:222], v[219:220]
	v_fma_f64 v[221:222], -v[215:216], v[219:220], 1.0
	v_fma_f64 v[219:220], v[219:220], v[221:222], v[219:220]
	v_div_scale_f64 v[221:222], vcc_lo, 1.0, v[213:214], 1.0
	v_mul_f64 v[223:224], v[221:222], v[219:220]
	v_fma_f64 v[215:216], -v[215:216], v[223:224], v[221:222]
	v_div_fmas_f64 v[215:216], v[215:216], v[219:220], v[223:224]
	v_div_fixup_f64 v[219:220], v[215:216], v[213:214], 1.0
                                        ; implicit-def: $vgpr213_vgpr214
	v_mul_f64 v[217:218], v[217:218], v[219:220]
	v_xor_b32_e32 v220, 0x80000000, v220
.LBB119_104:
	s_andn2_saveexec_b32 s1, s1
	s_cbranch_execz .LBB119_106
; %bb.105:
	v_div_scale_f64 v[217:218], null, v[213:214], v[213:214], v[215:216]
	v_div_scale_f64 v[223:224], vcc_lo, v[215:216], v[213:214], v[215:216]
	v_rcp_f64_e32 v[219:220], v[217:218]
	v_fma_f64 v[221:222], -v[217:218], v[219:220], 1.0
	v_fma_f64 v[219:220], v[219:220], v[221:222], v[219:220]
	v_fma_f64 v[221:222], -v[217:218], v[219:220], 1.0
	v_fma_f64 v[219:220], v[219:220], v[221:222], v[219:220]
	v_mul_f64 v[221:222], v[223:224], v[219:220]
	v_fma_f64 v[217:218], -v[217:218], v[221:222], v[223:224]
	v_div_fmas_f64 v[217:218], v[217:218], v[219:220], v[221:222]
	v_div_fixup_f64 v[219:220], v[217:218], v[213:214], v[215:216]
	v_fma_f64 v[213:214], v[215:216], v[219:220], v[213:214]
	v_div_scale_f64 v[215:216], null, v[213:214], v[213:214], 1.0
	v_rcp_f64_e32 v[217:218], v[215:216]
	v_fma_f64 v[221:222], -v[215:216], v[217:218], 1.0
	v_fma_f64 v[217:218], v[217:218], v[221:222], v[217:218]
	v_fma_f64 v[221:222], -v[215:216], v[217:218], 1.0
	v_fma_f64 v[217:218], v[217:218], v[221:222], v[217:218]
	v_div_scale_f64 v[221:222], vcc_lo, 1.0, v[213:214], 1.0
	v_mul_f64 v[223:224], v[221:222], v[217:218]
	v_fma_f64 v[215:216], -v[215:216], v[223:224], v[221:222]
	v_div_fmas_f64 v[215:216], v[215:216], v[217:218], v[223:224]
	v_div_fixup_f64 v[217:218], v[215:216], v[213:214], 1.0
	v_mul_f64 v[219:220], v[219:220], -v[217:218]
.LBB119_106:
	s_or_b32 exec_lo, exec_lo, s1
	ds_write2_b64 v255, v[217:218], v[219:220] offset1:1
.LBB119_107:
	s_or_b32 exec_lo, exec_lo, s2
	s_waitcnt lgkmcnt(0)
	s_barrier
	buffer_gl0_inv
	ds_read2_b64 v[193:196], v255 offset1:1
	s_mov_b32 s1, exec_lo
	s_waitcnt lgkmcnt(0)
	buffer_store_dword v193, off, s[16:19], 0 offset:752 ; 4-byte Folded Spill
	buffer_store_dword v194, off, s[16:19], 0 offset:756 ; 4-byte Folded Spill
	;; [unrolled: 1-line block ×4, first 2 shown]
	v_cmpx_lt_u32_e32 11, v0
	s_cbranch_execz .LBB119_109
; %bb.108:
	s_clause 0x3
	buffer_load_dword v215, off, s[16:19], 0 offset:752
	buffer_load_dword v216, off, s[16:19], 0 offset:756
	;; [unrolled: 1-line block ×4, first 2 shown]
	s_waitcnt vmcnt(2)
	v_mul_f64 v[195:196], v[215:216], v[211:212]
	s_waitcnt vmcnt(0)
	v_mul_f64 v[213:214], v[217:218], v[211:212]
	v_fma_f64 v[211:212], v[217:218], v[209:210], v[195:196]
	v_fma_f64 v[213:214], v[215:216], v[209:210], -v[213:214]
	ds_read2_b64 v[215:218], v253 offset0:24 offset1:25
	s_waitcnt lgkmcnt(0)
	v_mul_f64 v[193:194], v[217:218], v[211:212]
	v_mov_b32_e32 v209, v213
	v_mov_b32_e32 v210, v214
	v_fma_f64 v[193:194], v[215:216], v[213:214], -v[193:194]
	v_mul_f64 v[215:216], v[215:216], v[211:212]
	v_add_f64 v[189:190], v[189:190], -v[193:194]
	v_fma_f64 v[215:216], v[217:218], v[213:214], v[215:216]
	v_add_f64 v[191:192], v[191:192], -v[215:216]
	ds_read2_b64 v[215:218], v253 offset0:26 offset1:27
	s_waitcnt lgkmcnt(0)
	v_mul_f64 v[193:194], v[217:218], v[211:212]
	v_fma_f64 v[193:194], v[215:216], v[213:214], -v[193:194]
	v_mul_f64 v[215:216], v[215:216], v[211:212]
	v_add_f64 v[185:186], v[185:186], -v[193:194]
	v_fma_f64 v[215:216], v[217:218], v[213:214], v[215:216]
	v_add_f64 v[187:188], v[187:188], -v[215:216]
	ds_read2_b64 v[215:218], v253 offset0:28 offset1:29
	s_waitcnt lgkmcnt(0)
	v_mul_f64 v[193:194], v[217:218], v[211:212]
	;; [unrolled: 8-line block ×47, first 2 shown]
	v_fma_f64 v[193:194], v[215:216], v[213:214], -v[193:194]
	v_mul_f64 v[215:216], v[215:216], v[211:212]
	v_add_f64 v[1:2], v[1:2], -v[193:194]
	v_fma_f64 v[215:216], v[217:218], v[213:214], v[215:216]
	v_add_f64 v[3:4], v[3:4], -v[215:216]
.LBB119_109:
	s_or_b32 exec_lo, exec_lo, s1
	s_mov_b32 s2, exec_lo
	s_waitcnt_vscnt null, 0x0
	s_barrier
	buffer_gl0_inv
	v_cmpx_eq_u32_e32 12, v0
	s_cbranch_execz .LBB119_116
; %bb.110:
	ds_write2_b64 v255, v[189:190], v[191:192] offset1:1
	ds_write2_b64 v253, v[185:186], v[187:188] offset0:26 offset1:27
	ds_write2_b64 v253, v[181:182], v[183:184] offset0:28 offset1:29
	;; [unrolled: 1-line block ×47, first 2 shown]
	ds_read2_b64 v[213:216], v255 offset1:1
	s_waitcnt lgkmcnt(0)
	v_cmp_neq_f64_e32 vcc_lo, 0, v[213:214]
	v_cmp_neq_f64_e64 s1, 0, v[215:216]
	s_or_b32 s1, vcc_lo, s1
	s_and_b32 exec_lo, exec_lo, s1
	s_cbranch_execz .LBB119_116
; %bb.111:
	v_cmp_ngt_f64_e64 s1, |v[213:214]|, |v[215:216]|
                                        ; implicit-def: $vgpr217_vgpr218
	s_and_saveexec_b32 s3, s1
	s_xor_b32 s1, exec_lo, s3
                                        ; implicit-def: $vgpr219_vgpr220
	s_cbranch_execz .LBB119_113
; %bb.112:
	v_div_scale_f64 v[217:218], null, v[215:216], v[215:216], v[213:214]
	v_div_scale_f64 v[223:224], vcc_lo, v[213:214], v[215:216], v[213:214]
	v_rcp_f64_e32 v[219:220], v[217:218]
	v_fma_f64 v[221:222], -v[217:218], v[219:220], 1.0
	v_fma_f64 v[219:220], v[219:220], v[221:222], v[219:220]
	v_fma_f64 v[221:222], -v[217:218], v[219:220], 1.0
	v_fma_f64 v[219:220], v[219:220], v[221:222], v[219:220]
	v_mul_f64 v[221:222], v[223:224], v[219:220]
	v_fma_f64 v[217:218], -v[217:218], v[221:222], v[223:224]
	v_div_fmas_f64 v[217:218], v[217:218], v[219:220], v[221:222]
	v_div_fixup_f64 v[217:218], v[217:218], v[215:216], v[213:214]
	v_fma_f64 v[213:214], v[213:214], v[217:218], v[215:216]
	v_div_scale_f64 v[215:216], null, v[213:214], v[213:214], 1.0
	v_rcp_f64_e32 v[219:220], v[215:216]
	v_fma_f64 v[221:222], -v[215:216], v[219:220], 1.0
	v_fma_f64 v[219:220], v[219:220], v[221:222], v[219:220]
	v_fma_f64 v[221:222], -v[215:216], v[219:220], 1.0
	v_fma_f64 v[219:220], v[219:220], v[221:222], v[219:220]
	v_div_scale_f64 v[221:222], vcc_lo, 1.0, v[213:214], 1.0
	v_mul_f64 v[223:224], v[221:222], v[219:220]
	v_fma_f64 v[215:216], -v[215:216], v[223:224], v[221:222]
	v_div_fmas_f64 v[215:216], v[215:216], v[219:220], v[223:224]
	v_div_fixup_f64 v[219:220], v[215:216], v[213:214], 1.0
                                        ; implicit-def: $vgpr213_vgpr214
	v_mul_f64 v[217:218], v[217:218], v[219:220]
	v_xor_b32_e32 v220, 0x80000000, v220
.LBB119_113:
	s_andn2_saveexec_b32 s1, s1
	s_cbranch_execz .LBB119_115
; %bb.114:
	v_div_scale_f64 v[217:218], null, v[213:214], v[213:214], v[215:216]
	v_div_scale_f64 v[223:224], vcc_lo, v[215:216], v[213:214], v[215:216]
	v_rcp_f64_e32 v[219:220], v[217:218]
	v_fma_f64 v[221:222], -v[217:218], v[219:220], 1.0
	v_fma_f64 v[219:220], v[219:220], v[221:222], v[219:220]
	v_fma_f64 v[221:222], -v[217:218], v[219:220], 1.0
	v_fma_f64 v[219:220], v[219:220], v[221:222], v[219:220]
	v_mul_f64 v[221:222], v[223:224], v[219:220]
	v_fma_f64 v[217:218], -v[217:218], v[221:222], v[223:224]
	v_div_fmas_f64 v[217:218], v[217:218], v[219:220], v[221:222]
	v_div_fixup_f64 v[219:220], v[217:218], v[213:214], v[215:216]
	v_fma_f64 v[213:214], v[215:216], v[219:220], v[213:214]
	v_div_scale_f64 v[215:216], null, v[213:214], v[213:214], 1.0
	v_rcp_f64_e32 v[217:218], v[215:216]
	v_fma_f64 v[221:222], -v[215:216], v[217:218], 1.0
	v_fma_f64 v[217:218], v[217:218], v[221:222], v[217:218]
	v_fma_f64 v[221:222], -v[215:216], v[217:218], 1.0
	v_fma_f64 v[217:218], v[217:218], v[221:222], v[217:218]
	v_div_scale_f64 v[221:222], vcc_lo, 1.0, v[213:214], 1.0
	v_mul_f64 v[223:224], v[221:222], v[217:218]
	v_fma_f64 v[215:216], -v[215:216], v[223:224], v[221:222]
	v_div_fmas_f64 v[215:216], v[215:216], v[217:218], v[223:224]
	v_div_fixup_f64 v[217:218], v[215:216], v[213:214], 1.0
	v_mul_f64 v[219:220], v[219:220], -v[217:218]
.LBB119_115:
	s_or_b32 exec_lo, exec_lo, s1
	ds_write2_b64 v255, v[217:218], v[219:220] offset1:1
.LBB119_116:
	s_or_b32 exec_lo, exec_lo, s2
	s_waitcnt lgkmcnt(0)
	s_barrier
	buffer_gl0_inv
	ds_read2_b64 v[193:196], v255 offset1:1
	s_mov_b32 s1, exec_lo
	s_waitcnt lgkmcnt(0)
	buffer_store_dword v193, off, s[16:19], 0 offset:768 ; 4-byte Folded Spill
	buffer_store_dword v194, off, s[16:19], 0 offset:772 ; 4-byte Folded Spill
	;; [unrolled: 1-line block ×4, first 2 shown]
	v_cmpx_lt_u32_e32 12, v0
	s_cbranch_execz .LBB119_118
; %bb.117:
	s_clause 0x3
	buffer_load_dword v193, off, s[16:19], 0 offset:768
	buffer_load_dword v194, off, s[16:19], 0 offset:772
	;; [unrolled: 1-line block ×4, first 2 shown]
	ds_read2_b64 v[215:218], v253 offset0:26 offset1:27
	s_waitcnt vmcnt(0)
	v_mul_f64 v[213:214], v[195:196], v[191:192]
	v_mul_f64 v[191:192], v[193:194], v[191:192]
	v_fma_f64 v[213:214], v[193:194], v[189:190], -v[213:214]
	v_fma_f64 v[191:192], v[195:196], v[189:190], v[191:192]
	s_waitcnt lgkmcnt(0)
	v_mul_f64 v[189:190], v[217:218], v[191:192]
	v_fma_f64 v[189:190], v[215:216], v[213:214], -v[189:190]
	v_mul_f64 v[215:216], v[215:216], v[191:192]
	v_add_f64 v[185:186], v[185:186], -v[189:190]
	v_fma_f64 v[215:216], v[217:218], v[213:214], v[215:216]
	v_add_f64 v[187:188], v[187:188], -v[215:216]
	ds_read2_b64 v[215:218], v253 offset0:28 offset1:29
	s_waitcnt lgkmcnt(0)
	v_mul_f64 v[189:190], v[217:218], v[191:192]
	v_fma_f64 v[189:190], v[215:216], v[213:214], -v[189:190]
	v_mul_f64 v[215:216], v[215:216], v[191:192]
	v_add_f64 v[181:182], v[181:182], -v[189:190]
	v_fma_f64 v[215:216], v[217:218], v[213:214], v[215:216]
	v_add_f64 v[183:184], v[183:184], -v[215:216]
	ds_read2_b64 v[215:218], v253 offset0:30 offset1:31
	s_waitcnt lgkmcnt(0)
	v_mul_f64 v[189:190], v[217:218], v[191:192]
	v_fma_f64 v[189:190], v[215:216], v[213:214], -v[189:190]
	v_mul_f64 v[215:216], v[215:216], v[191:192]
	v_add_f64 v[177:178], v[177:178], -v[189:190]
	v_fma_f64 v[215:216], v[217:218], v[213:214], v[215:216]
	v_add_f64 v[179:180], v[179:180], -v[215:216]
	ds_read2_b64 v[215:218], v253 offset0:32 offset1:33
	s_waitcnt lgkmcnt(0)
	v_mul_f64 v[189:190], v[217:218], v[191:192]
	v_fma_f64 v[189:190], v[215:216], v[213:214], -v[189:190]
	v_mul_f64 v[215:216], v[215:216], v[191:192]
	v_add_f64 v[173:174], v[173:174], -v[189:190]
	v_fma_f64 v[215:216], v[217:218], v[213:214], v[215:216]
	v_add_f64 v[175:176], v[175:176], -v[215:216]
	ds_read2_b64 v[215:218], v253 offset0:34 offset1:35
	s_waitcnt lgkmcnt(0)
	v_mul_f64 v[189:190], v[217:218], v[191:192]
	v_fma_f64 v[189:190], v[215:216], v[213:214], -v[189:190]
	v_mul_f64 v[215:216], v[215:216], v[191:192]
	v_add_f64 v[169:170], v[169:170], -v[189:190]
	v_fma_f64 v[215:216], v[217:218], v[213:214], v[215:216]
	v_add_f64 v[171:172], v[171:172], -v[215:216]
	ds_read2_b64 v[215:218], v253 offset0:36 offset1:37
	s_waitcnt lgkmcnt(0)
	v_mul_f64 v[189:190], v[217:218], v[191:192]
	v_fma_f64 v[189:190], v[215:216], v[213:214], -v[189:190]
	v_mul_f64 v[215:216], v[215:216], v[191:192]
	v_add_f64 v[165:166], v[165:166], -v[189:190]
	v_fma_f64 v[215:216], v[217:218], v[213:214], v[215:216]
	v_add_f64 v[167:168], v[167:168], -v[215:216]
	ds_read2_b64 v[215:218], v253 offset0:38 offset1:39
	s_waitcnt lgkmcnt(0)
	v_mul_f64 v[189:190], v[217:218], v[191:192]
	v_fma_f64 v[189:190], v[215:216], v[213:214], -v[189:190]
	v_mul_f64 v[215:216], v[215:216], v[191:192]
	v_add_f64 v[161:162], v[161:162], -v[189:190]
	v_fma_f64 v[215:216], v[217:218], v[213:214], v[215:216]
	v_add_f64 v[163:164], v[163:164], -v[215:216]
	ds_read2_b64 v[215:218], v253 offset0:40 offset1:41
	s_waitcnt lgkmcnt(0)
	v_mul_f64 v[189:190], v[217:218], v[191:192]
	v_fma_f64 v[189:190], v[215:216], v[213:214], -v[189:190]
	v_mul_f64 v[215:216], v[215:216], v[191:192]
	v_add_f64 v[157:158], v[157:158], -v[189:190]
	v_fma_f64 v[215:216], v[217:218], v[213:214], v[215:216]
	v_add_f64 v[159:160], v[159:160], -v[215:216]
	ds_read2_b64 v[215:218], v253 offset0:42 offset1:43
	s_waitcnt lgkmcnt(0)
	v_mul_f64 v[189:190], v[217:218], v[191:192]
	v_fma_f64 v[189:190], v[215:216], v[213:214], -v[189:190]
	v_mul_f64 v[215:216], v[215:216], v[191:192]
	v_add_f64 v[153:154], v[153:154], -v[189:190]
	v_fma_f64 v[215:216], v[217:218], v[213:214], v[215:216]
	v_add_f64 v[155:156], v[155:156], -v[215:216]
	ds_read2_b64 v[215:218], v253 offset0:44 offset1:45
	s_waitcnt lgkmcnt(0)
	v_mul_f64 v[189:190], v[217:218], v[191:192]
	v_fma_f64 v[189:190], v[215:216], v[213:214], -v[189:190]
	v_mul_f64 v[215:216], v[215:216], v[191:192]
	v_add_f64 v[149:150], v[149:150], -v[189:190]
	v_fma_f64 v[215:216], v[217:218], v[213:214], v[215:216]
	v_add_f64 v[151:152], v[151:152], -v[215:216]
	ds_read2_b64 v[215:218], v253 offset0:46 offset1:47
	s_waitcnt lgkmcnt(0)
	v_mul_f64 v[189:190], v[217:218], v[191:192]
	v_fma_f64 v[189:190], v[215:216], v[213:214], -v[189:190]
	v_mul_f64 v[215:216], v[215:216], v[191:192]
	v_add_f64 v[145:146], v[145:146], -v[189:190]
	v_fma_f64 v[215:216], v[217:218], v[213:214], v[215:216]
	v_add_f64 v[147:148], v[147:148], -v[215:216]
	ds_read2_b64 v[215:218], v253 offset0:48 offset1:49
	s_waitcnt lgkmcnt(0)
	v_mul_f64 v[189:190], v[217:218], v[191:192]
	v_fma_f64 v[189:190], v[215:216], v[213:214], -v[189:190]
	v_mul_f64 v[215:216], v[215:216], v[191:192]
	v_add_f64 v[141:142], v[141:142], -v[189:190]
	v_fma_f64 v[215:216], v[217:218], v[213:214], v[215:216]
	v_add_f64 v[143:144], v[143:144], -v[215:216]
	ds_read2_b64 v[215:218], v253 offset0:50 offset1:51
	s_waitcnt lgkmcnt(0)
	v_mul_f64 v[189:190], v[217:218], v[191:192]
	v_fma_f64 v[189:190], v[215:216], v[213:214], -v[189:190]
	v_mul_f64 v[215:216], v[215:216], v[191:192]
	v_add_f64 v[137:138], v[137:138], -v[189:190]
	v_fma_f64 v[215:216], v[217:218], v[213:214], v[215:216]
	v_add_f64 v[139:140], v[139:140], -v[215:216]
	ds_read2_b64 v[215:218], v253 offset0:52 offset1:53
	s_waitcnt lgkmcnt(0)
	v_mul_f64 v[189:190], v[217:218], v[191:192]
	v_fma_f64 v[189:190], v[215:216], v[213:214], -v[189:190]
	v_mul_f64 v[215:216], v[215:216], v[191:192]
	v_add_f64 v[133:134], v[133:134], -v[189:190]
	v_fma_f64 v[215:216], v[217:218], v[213:214], v[215:216]
	v_add_f64 v[135:136], v[135:136], -v[215:216]
	ds_read2_b64 v[215:218], v253 offset0:54 offset1:55
	s_waitcnt lgkmcnt(0)
	v_mul_f64 v[189:190], v[217:218], v[191:192]
	v_fma_f64 v[189:190], v[215:216], v[213:214], -v[189:190]
	v_mul_f64 v[215:216], v[215:216], v[191:192]
	v_add_f64 v[129:130], v[129:130], -v[189:190]
	v_fma_f64 v[215:216], v[217:218], v[213:214], v[215:216]
	v_add_f64 v[131:132], v[131:132], -v[215:216]
	ds_read2_b64 v[215:218], v253 offset0:56 offset1:57
	s_waitcnt lgkmcnt(0)
	v_mul_f64 v[189:190], v[217:218], v[191:192]
	v_fma_f64 v[189:190], v[215:216], v[213:214], -v[189:190]
	v_mul_f64 v[215:216], v[215:216], v[191:192]
	v_add_f64 v[125:126], v[125:126], -v[189:190]
	v_fma_f64 v[215:216], v[217:218], v[213:214], v[215:216]
	v_add_f64 v[127:128], v[127:128], -v[215:216]
	ds_read2_b64 v[215:218], v253 offset0:58 offset1:59
	s_waitcnt lgkmcnt(0)
	v_mul_f64 v[189:190], v[217:218], v[191:192]
	v_fma_f64 v[189:190], v[215:216], v[213:214], -v[189:190]
	v_mul_f64 v[215:216], v[215:216], v[191:192]
	v_add_f64 v[121:122], v[121:122], -v[189:190]
	v_fma_f64 v[215:216], v[217:218], v[213:214], v[215:216]
	v_add_f64 v[123:124], v[123:124], -v[215:216]
	ds_read2_b64 v[215:218], v253 offset0:60 offset1:61
	s_waitcnt lgkmcnt(0)
	v_mul_f64 v[189:190], v[217:218], v[191:192]
	v_fma_f64 v[189:190], v[215:216], v[213:214], -v[189:190]
	v_mul_f64 v[215:216], v[215:216], v[191:192]
	v_add_f64 v[117:118], v[117:118], -v[189:190]
	v_fma_f64 v[215:216], v[217:218], v[213:214], v[215:216]
	v_add_f64 v[119:120], v[119:120], -v[215:216]
	ds_read2_b64 v[215:218], v253 offset0:62 offset1:63
	s_waitcnt lgkmcnt(0)
	v_mul_f64 v[189:190], v[217:218], v[191:192]
	v_fma_f64 v[189:190], v[215:216], v[213:214], -v[189:190]
	v_mul_f64 v[215:216], v[215:216], v[191:192]
	v_add_f64 v[113:114], v[113:114], -v[189:190]
	v_fma_f64 v[215:216], v[217:218], v[213:214], v[215:216]
	v_add_f64 v[115:116], v[115:116], -v[215:216]
	ds_read2_b64 v[215:218], v253 offset0:64 offset1:65
	s_waitcnt lgkmcnt(0)
	v_mul_f64 v[189:190], v[217:218], v[191:192]
	v_fma_f64 v[189:190], v[215:216], v[213:214], -v[189:190]
	v_mul_f64 v[215:216], v[215:216], v[191:192]
	v_add_f64 v[109:110], v[109:110], -v[189:190]
	v_fma_f64 v[215:216], v[217:218], v[213:214], v[215:216]
	v_add_f64 v[111:112], v[111:112], -v[215:216]
	ds_read2_b64 v[215:218], v253 offset0:66 offset1:67
	s_waitcnt lgkmcnt(0)
	v_mul_f64 v[189:190], v[217:218], v[191:192]
	v_fma_f64 v[189:190], v[215:216], v[213:214], -v[189:190]
	v_mul_f64 v[215:216], v[215:216], v[191:192]
	v_add_f64 v[105:106], v[105:106], -v[189:190]
	v_fma_f64 v[215:216], v[217:218], v[213:214], v[215:216]
	v_add_f64 v[107:108], v[107:108], -v[215:216]
	ds_read2_b64 v[215:218], v253 offset0:68 offset1:69
	s_waitcnt lgkmcnt(0)
	v_mul_f64 v[189:190], v[217:218], v[191:192]
	v_fma_f64 v[189:190], v[215:216], v[213:214], -v[189:190]
	v_mul_f64 v[215:216], v[215:216], v[191:192]
	v_add_f64 v[101:102], v[101:102], -v[189:190]
	v_fma_f64 v[215:216], v[217:218], v[213:214], v[215:216]
	v_add_f64 v[103:104], v[103:104], -v[215:216]
	ds_read2_b64 v[215:218], v253 offset0:70 offset1:71
	s_waitcnt lgkmcnt(0)
	v_mul_f64 v[189:190], v[217:218], v[191:192]
	v_fma_f64 v[189:190], v[215:216], v[213:214], -v[189:190]
	v_mul_f64 v[215:216], v[215:216], v[191:192]
	v_add_f64 v[97:98], v[97:98], -v[189:190]
	v_fma_f64 v[215:216], v[217:218], v[213:214], v[215:216]
	v_add_f64 v[99:100], v[99:100], -v[215:216]
	ds_read2_b64 v[215:218], v253 offset0:72 offset1:73
	s_waitcnt lgkmcnt(0)
	v_mul_f64 v[189:190], v[217:218], v[191:192]
	v_fma_f64 v[189:190], v[215:216], v[213:214], -v[189:190]
	v_mul_f64 v[215:216], v[215:216], v[191:192]
	v_add_f64 v[93:94], v[93:94], -v[189:190]
	v_fma_f64 v[215:216], v[217:218], v[213:214], v[215:216]
	v_add_f64 v[95:96], v[95:96], -v[215:216]
	ds_read2_b64 v[215:218], v253 offset0:74 offset1:75
	s_waitcnt lgkmcnt(0)
	v_mul_f64 v[189:190], v[217:218], v[191:192]
	v_fma_f64 v[189:190], v[215:216], v[213:214], -v[189:190]
	v_mul_f64 v[215:216], v[215:216], v[191:192]
	v_add_f64 v[89:90], v[89:90], -v[189:190]
	v_fma_f64 v[215:216], v[217:218], v[213:214], v[215:216]
	v_add_f64 v[91:92], v[91:92], -v[215:216]
	ds_read2_b64 v[215:218], v253 offset0:76 offset1:77
	s_waitcnt lgkmcnt(0)
	v_mul_f64 v[189:190], v[217:218], v[191:192]
	v_fma_f64 v[189:190], v[215:216], v[213:214], -v[189:190]
	v_mul_f64 v[215:216], v[215:216], v[191:192]
	v_add_f64 v[85:86], v[85:86], -v[189:190]
	v_fma_f64 v[215:216], v[217:218], v[213:214], v[215:216]
	v_add_f64 v[87:88], v[87:88], -v[215:216]
	ds_read2_b64 v[215:218], v253 offset0:78 offset1:79
	s_waitcnt lgkmcnt(0)
	v_mul_f64 v[189:190], v[217:218], v[191:192]
	v_fma_f64 v[189:190], v[215:216], v[213:214], -v[189:190]
	v_mul_f64 v[215:216], v[215:216], v[191:192]
	v_add_f64 v[81:82], v[81:82], -v[189:190]
	v_fma_f64 v[215:216], v[217:218], v[213:214], v[215:216]
	v_add_f64 v[83:84], v[83:84], -v[215:216]
	ds_read2_b64 v[215:218], v253 offset0:80 offset1:81
	s_waitcnt lgkmcnt(0)
	v_mul_f64 v[189:190], v[217:218], v[191:192]
	v_fma_f64 v[189:190], v[215:216], v[213:214], -v[189:190]
	v_mul_f64 v[215:216], v[215:216], v[191:192]
	v_add_f64 v[77:78], v[77:78], -v[189:190]
	v_fma_f64 v[215:216], v[217:218], v[213:214], v[215:216]
	v_add_f64 v[79:80], v[79:80], -v[215:216]
	ds_read2_b64 v[215:218], v253 offset0:82 offset1:83
	s_waitcnt lgkmcnt(0)
	v_mul_f64 v[189:190], v[217:218], v[191:192]
	v_fma_f64 v[189:190], v[215:216], v[213:214], -v[189:190]
	v_mul_f64 v[215:216], v[215:216], v[191:192]
	v_add_f64 v[73:74], v[73:74], -v[189:190]
	v_fma_f64 v[215:216], v[217:218], v[213:214], v[215:216]
	v_add_f64 v[75:76], v[75:76], -v[215:216]
	ds_read2_b64 v[215:218], v253 offset0:84 offset1:85
	s_waitcnt lgkmcnt(0)
	v_mul_f64 v[189:190], v[217:218], v[191:192]
	v_fma_f64 v[189:190], v[215:216], v[213:214], -v[189:190]
	v_mul_f64 v[215:216], v[215:216], v[191:192]
	v_add_f64 v[69:70], v[69:70], -v[189:190]
	v_fma_f64 v[215:216], v[217:218], v[213:214], v[215:216]
	v_add_f64 v[71:72], v[71:72], -v[215:216]
	ds_read2_b64 v[215:218], v253 offset0:86 offset1:87
	s_waitcnt lgkmcnt(0)
	v_mul_f64 v[189:190], v[217:218], v[191:192]
	v_fma_f64 v[189:190], v[215:216], v[213:214], -v[189:190]
	v_mul_f64 v[215:216], v[215:216], v[191:192]
	v_add_f64 v[65:66], v[65:66], -v[189:190]
	v_fma_f64 v[215:216], v[217:218], v[213:214], v[215:216]
	v_add_f64 v[67:68], v[67:68], -v[215:216]
	ds_read2_b64 v[215:218], v253 offset0:88 offset1:89
	s_waitcnt lgkmcnt(0)
	v_mul_f64 v[189:190], v[217:218], v[191:192]
	v_fma_f64 v[189:190], v[215:216], v[213:214], -v[189:190]
	v_mul_f64 v[215:216], v[215:216], v[191:192]
	v_add_f64 v[61:62], v[61:62], -v[189:190]
	v_fma_f64 v[215:216], v[217:218], v[213:214], v[215:216]
	v_add_f64 v[63:64], v[63:64], -v[215:216]
	ds_read2_b64 v[215:218], v253 offset0:90 offset1:91
	s_waitcnt lgkmcnt(0)
	v_mul_f64 v[189:190], v[217:218], v[191:192]
	v_fma_f64 v[189:190], v[215:216], v[213:214], -v[189:190]
	v_mul_f64 v[215:216], v[215:216], v[191:192]
	v_add_f64 v[57:58], v[57:58], -v[189:190]
	v_fma_f64 v[215:216], v[217:218], v[213:214], v[215:216]
	v_add_f64 v[59:60], v[59:60], -v[215:216]
	ds_read2_b64 v[215:218], v253 offset0:92 offset1:93
	s_waitcnt lgkmcnt(0)
	v_mul_f64 v[189:190], v[217:218], v[191:192]
	v_fma_f64 v[189:190], v[215:216], v[213:214], -v[189:190]
	v_mul_f64 v[215:216], v[215:216], v[191:192]
	v_add_f64 v[53:54], v[53:54], -v[189:190]
	v_fma_f64 v[215:216], v[217:218], v[213:214], v[215:216]
	v_add_f64 v[55:56], v[55:56], -v[215:216]
	ds_read2_b64 v[215:218], v253 offset0:94 offset1:95
	s_waitcnt lgkmcnt(0)
	v_mul_f64 v[189:190], v[217:218], v[191:192]
	v_fma_f64 v[189:190], v[215:216], v[213:214], -v[189:190]
	v_mul_f64 v[215:216], v[215:216], v[191:192]
	v_add_f64 v[49:50], v[49:50], -v[189:190]
	v_fma_f64 v[215:216], v[217:218], v[213:214], v[215:216]
	v_add_f64 v[51:52], v[51:52], -v[215:216]
	ds_read2_b64 v[215:218], v253 offset0:96 offset1:97
	s_waitcnt lgkmcnt(0)
	v_mul_f64 v[189:190], v[217:218], v[191:192]
	v_fma_f64 v[189:190], v[215:216], v[213:214], -v[189:190]
	v_mul_f64 v[215:216], v[215:216], v[191:192]
	v_add_f64 v[45:46], v[45:46], -v[189:190]
	v_fma_f64 v[215:216], v[217:218], v[213:214], v[215:216]
	v_add_f64 v[47:48], v[47:48], -v[215:216]
	ds_read2_b64 v[215:218], v253 offset0:98 offset1:99
	s_waitcnt lgkmcnt(0)
	v_mul_f64 v[189:190], v[217:218], v[191:192]
	v_fma_f64 v[189:190], v[215:216], v[213:214], -v[189:190]
	v_mul_f64 v[215:216], v[215:216], v[191:192]
	v_add_f64 v[41:42], v[41:42], -v[189:190]
	v_fma_f64 v[215:216], v[217:218], v[213:214], v[215:216]
	v_add_f64 v[43:44], v[43:44], -v[215:216]
	ds_read2_b64 v[215:218], v253 offset0:100 offset1:101
	s_waitcnt lgkmcnt(0)
	v_mul_f64 v[189:190], v[217:218], v[191:192]
	v_fma_f64 v[189:190], v[215:216], v[213:214], -v[189:190]
	v_mul_f64 v[215:216], v[215:216], v[191:192]
	v_add_f64 v[37:38], v[37:38], -v[189:190]
	v_fma_f64 v[215:216], v[217:218], v[213:214], v[215:216]
	v_add_f64 v[39:40], v[39:40], -v[215:216]
	ds_read2_b64 v[215:218], v253 offset0:102 offset1:103
	s_waitcnt lgkmcnt(0)
	v_mul_f64 v[189:190], v[217:218], v[191:192]
	v_fma_f64 v[189:190], v[215:216], v[213:214], -v[189:190]
	v_mul_f64 v[215:216], v[215:216], v[191:192]
	v_add_f64 v[33:34], v[33:34], -v[189:190]
	v_fma_f64 v[215:216], v[217:218], v[213:214], v[215:216]
	v_add_f64 v[35:36], v[35:36], -v[215:216]
	ds_read2_b64 v[215:218], v253 offset0:104 offset1:105
	s_waitcnt lgkmcnt(0)
	v_mul_f64 v[189:190], v[217:218], v[191:192]
	v_fma_f64 v[189:190], v[215:216], v[213:214], -v[189:190]
	v_mul_f64 v[215:216], v[215:216], v[191:192]
	v_add_f64 v[29:30], v[29:30], -v[189:190]
	v_fma_f64 v[215:216], v[217:218], v[213:214], v[215:216]
	v_add_f64 v[31:32], v[31:32], -v[215:216]
	ds_read2_b64 v[215:218], v253 offset0:106 offset1:107
	s_waitcnt lgkmcnt(0)
	v_mul_f64 v[189:190], v[217:218], v[191:192]
	v_fma_f64 v[189:190], v[215:216], v[213:214], -v[189:190]
	v_mul_f64 v[215:216], v[215:216], v[191:192]
	v_add_f64 v[25:26], v[25:26], -v[189:190]
	v_fma_f64 v[215:216], v[217:218], v[213:214], v[215:216]
	v_add_f64 v[27:28], v[27:28], -v[215:216]
	ds_read2_b64 v[215:218], v253 offset0:108 offset1:109
	s_waitcnt lgkmcnt(0)
	v_mul_f64 v[189:190], v[217:218], v[191:192]
	v_fma_f64 v[189:190], v[215:216], v[213:214], -v[189:190]
	v_mul_f64 v[215:216], v[215:216], v[191:192]
	v_add_f64 v[21:22], v[21:22], -v[189:190]
	v_fma_f64 v[215:216], v[217:218], v[213:214], v[215:216]
	v_add_f64 v[23:24], v[23:24], -v[215:216]
	ds_read2_b64 v[215:218], v253 offset0:110 offset1:111
	s_waitcnt lgkmcnt(0)
	v_mul_f64 v[189:190], v[217:218], v[191:192]
	v_fma_f64 v[189:190], v[215:216], v[213:214], -v[189:190]
	v_mul_f64 v[215:216], v[215:216], v[191:192]
	v_add_f64 v[17:18], v[17:18], -v[189:190]
	v_fma_f64 v[215:216], v[217:218], v[213:214], v[215:216]
	v_add_f64 v[19:20], v[19:20], -v[215:216]
	ds_read2_b64 v[215:218], v253 offset0:112 offset1:113
	s_waitcnt lgkmcnt(0)
	v_mul_f64 v[189:190], v[217:218], v[191:192]
	v_fma_f64 v[189:190], v[215:216], v[213:214], -v[189:190]
	v_mul_f64 v[215:216], v[215:216], v[191:192]
	v_add_f64 v[13:14], v[13:14], -v[189:190]
	v_fma_f64 v[215:216], v[217:218], v[213:214], v[215:216]
	v_add_f64 v[15:16], v[15:16], -v[215:216]
	ds_read2_b64 v[215:218], v253 offset0:114 offset1:115
	s_waitcnt lgkmcnt(0)
	v_mul_f64 v[189:190], v[217:218], v[191:192]
	v_fma_f64 v[189:190], v[215:216], v[213:214], -v[189:190]
	v_mul_f64 v[215:216], v[215:216], v[191:192]
	v_add_f64 v[9:10], v[9:10], -v[189:190]
	v_fma_f64 v[215:216], v[217:218], v[213:214], v[215:216]
	v_add_f64 v[11:12], v[11:12], -v[215:216]
	ds_read2_b64 v[215:218], v253 offset0:116 offset1:117
	s_waitcnt lgkmcnt(0)
	v_mul_f64 v[189:190], v[217:218], v[191:192]
	v_fma_f64 v[189:190], v[215:216], v[213:214], -v[189:190]
	v_mul_f64 v[215:216], v[215:216], v[191:192]
	v_add_f64 v[5:6], v[5:6], -v[189:190]
	v_fma_f64 v[215:216], v[217:218], v[213:214], v[215:216]
	v_add_f64 v[7:8], v[7:8], -v[215:216]
	ds_read2_b64 v[215:218], v253 offset0:118 offset1:119
	s_waitcnt lgkmcnt(0)
	v_mul_f64 v[189:190], v[217:218], v[191:192]
	v_fma_f64 v[189:190], v[215:216], v[213:214], -v[189:190]
	v_mul_f64 v[215:216], v[215:216], v[191:192]
	v_add_f64 v[1:2], v[1:2], -v[189:190]
	v_fma_f64 v[215:216], v[217:218], v[213:214], v[215:216]
	v_mov_b32_e32 v189, v213
	v_mov_b32_e32 v190, v214
	v_add_f64 v[3:4], v[3:4], -v[215:216]
.LBB119_118:
	s_or_b32 exec_lo, exec_lo, s1
	s_mov_b32 s2, exec_lo
	s_waitcnt_vscnt null, 0x0
	s_barrier
	buffer_gl0_inv
	v_cmpx_eq_u32_e32 13, v0
	s_cbranch_execz .LBB119_125
; %bb.119:
	ds_write2_b64 v255, v[185:186], v[187:188] offset1:1
	ds_write2_b64 v253, v[181:182], v[183:184] offset0:28 offset1:29
	ds_write2_b64 v253, v[177:178], v[179:180] offset0:30 offset1:31
	;; [unrolled: 1-line block ×46, first 2 shown]
	ds_read2_b64 v[213:216], v255 offset1:1
	s_waitcnt lgkmcnt(0)
	v_cmp_neq_f64_e32 vcc_lo, 0, v[213:214]
	v_cmp_neq_f64_e64 s1, 0, v[215:216]
	s_or_b32 s1, vcc_lo, s1
	s_and_b32 exec_lo, exec_lo, s1
	s_cbranch_execz .LBB119_125
; %bb.120:
	v_cmp_ngt_f64_e64 s1, |v[213:214]|, |v[215:216]|
                                        ; implicit-def: $vgpr217_vgpr218
	s_and_saveexec_b32 s3, s1
	s_xor_b32 s1, exec_lo, s3
                                        ; implicit-def: $vgpr219_vgpr220
	s_cbranch_execz .LBB119_122
; %bb.121:
	v_div_scale_f64 v[217:218], null, v[215:216], v[215:216], v[213:214]
	v_div_scale_f64 v[223:224], vcc_lo, v[213:214], v[215:216], v[213:214]
	v_rcp_f64_e32 v[219:220], v[217:218]
	v_fma_f64 v[221:222], -v[217:218], v[219:220], 1.0
	v_fma_f64 v[219:220], v[219:220], v[221:222], v[219:220]
	v_fma_f64 v[221:222], -v[217:218], v[219:220], 1.0
	v_fma_f64 v[219:220], v[219:220], v[221:222], v[219:220]
	v_mul_f64 v[221:222], v[223:224], v[219:220]
	v_fma_f64 v[217:218], -v[217:218], v[221:222], v[223:224]
	v_div_fmas_f64 v[217:218], v[217:218], v[219:220], v[221:222]
	v_div_fixup_f64 v[217:218], v[217:218], v[215:216], v[213:214]
	v_fma_f64 v[213:214], v[213:214], v[217:218], v[215:216]
	v_div_scale_f64 v[215:216], null, v[213:214], v[213:214], 1.0
	v_rcp_f64_e32 v[219:220], v[215:216]
	v_fma_f64 v[221:222], -v[215:216], v[219:220], 1.0
	v_fma_f64 v[219:220], v[219:220], v[221:222], v[219:220]
	v_fma_f64 v[221:222], -v[215:216], v[219:220], 1.0
	v_fma_f64 v[219:220], v[219:220], v[221:222], v[219:220]
	v_div_scale_f64 v[221:222], vcc_lo, 1.0, v[213:214], 1.0
	v_mul_f64 v[223:224], v[221:222], v[219:220]
	v_fma_f64 v[215:216], -v[215:216], v[223:224], v[221:222]
	v_div_fmas_f64 v[215:216], v[215:216], v[219:220], v[223:224]
	v_div_fixup_f64 v[219:220], v[215:216], v[213:214], 1.0
                                        ; implicit-def: $vgpr213_vgpr214
	v_mul_f64 v[217:218], v[217:218], v[219:220]
	v_xor_b32_e32 v220, 0x80000000, v220
.LBB119_122:
	s_andn2_saveexec_b32 s1, s1
	s_cbranch_execz .LBB119_124
; %bb.123:
	v_div_scale_f64 v[217:218], null, v[213:214], v[213:214], v[215:216]
	v_div_scale_f64 v[223:224], vcc_lo, v[215:216], v[213:214], v[215:216]
	v_rcp_f64_e32 v[219:220], v[217:218]
	v_fma_f64 v[221:222], -v[217:218], v[219:220], 1.0
	v_fma_f64 v[219:220], v[219:220], v[221:222], v[219:220]
	v_fma_f64 v[221:222], -v[217:218], v[219:220], 1.0
	v_fma_f64 v[219:220], v[219:220], v[221:222], v[219:220]
	v_mul_f64 v[221:222], v[223:224], v[219:220]
	v_fma_f64 v[217:218], -v[217:218], v[221:222], v[223:224]
	v_div_fmas_f64 v[217:218], v[217:218], v[219:220], v[221:222]
	v_div_fixup_f64 v[219:220], v[217:218], v[213:214], v[215:216]
	v_fma_f64 v[213:214], v[215:216], v[219:220], v[213:214]
	v_div_scale_f64 v[215:216], null, v[213:214], v[213:214], 1.0
	v_rcp_f64_e32 v[217:218], v[215:216]
	v_fma_f64 v[221:222], -v[215:216], v[217:218], 1.0
	v_fma_f64 v[217:218], v[217:218], v[221:222], v[217:218]
	v_fma_f64 v[221:222], -v[215:216], v[217:218], 1.0
	v_fma_f64 v[217:218], v[217:218], v[221:222], v[217:218]
	v_div_scale_f64 v[221:222], vcc_lo, 1.0, v[213:214], 1.0
	v_mul_f64 v[223:224], v[221:222], v[217:218]
	v_fma_f64 v[215:216], -v[215:216], v[223:224], v[221:222]
	v_div_fmas_f64 v[215:216], v[215:216], v[217:218], v[223:224]
	v_div_fixup_f64 v[217:218], v[215:216], v[213:214], 1.0
	v_mul_f64 v[219:220], v[219:220], -v[217:218]
.LBB119_124:
	s_or_b32 exec_lo, exec_lo, s1
	ds_write2_b64 v255, v[217:218], v[219:220] offset1:1
.LBB119_125:
	s_or_b32 exec_lo, exec_lo, s2
	s_waitcnt lgkmcnt(0)
	s_barrier
	buffer_gl0_inv
	ds_read2_b64 v[193:196], v255 offset1:1
	s_mov_b32 s1, exec_lo
	s_waitcnt lgkmcnt(0)
	buffer_store_dword v193, off, s[16:19], 0 offset:784 ; 4-byte Folded Spill
	buffer_store_dword v194, off, s[16:19], 0 offset:788 ; 4-byte Folded Spill
	;; [unrolled: 1-line block ×4, first 2 shown]
	v_cmpx_lt_u32_e32 13, v0
	s_cbranch_execz .LBB119_127
; %bb.126:
	s_clause 0x3
	buffer_load_dword v193, off, s[16:19], 0 offset:784
	buffer_load_dword v194, off, s[16:19], 0 offset:788
	;; [unrolled: 1-line block ×4, first 2 shown]
	ds_read2_b64 v[215:218], v253 offset0:28 offset1:29
	s_waitcnt vmcnt(0)
	v_mul_f64 v[213:214], v[195:196], v[187:188]
	v_mul_f64 v[187:188], v[193:194], v[187:188]
	v_fma_f64 v[213:214], v[193:194], v[185:186], -v[213:214]
	v_fma_f64 v[187:188], v[195:196], v[185:186], v[187:188]
	s_waitcnt lgkmcnt(0)
	v_mul_f64 v[185:186], v[217:218], v[187:188]
	v_fma_f64 v[185:186], v[215:216], v[213:214], -v[185:186]
	v_mul_f64 v[215:216], v[215:216], v[187:188]
	v_add_f64 v[181:182], v[181:182], -v[185:186]
	v_fma_f64 v[215:216], v[217:218], v[213:214], v[215:216]
	v_add_f64 v[183:184], v[183:184], -v[215:216]
	ds_read2_b64 v[215:218], v253 offset0:30 offset1:31
	s_waitcnt lgkmcnt(0)
	v_mul_f64 v[185:186], v[217:218], v[187:188]
	v_fma_f64 v[185:186], v[215:216], v[213:214], -v[185:186]
	v_mul_f64 v[215:216], v[215:216], v[187:188]
	v_add_f64 v[177:178], v[177:178], -v[185:186]
	v_fma_f64 v[215:216], v[217:218], v[213:214], v[215:216]
	v_add_f64 v[179:180], v[179:180], -v[215:216]
	ds_read2_b64 v[215:218], v253 offset0:32 offset1:33
	;; [unrolled: 8-line block ×45, first 2 shown]
	s_waitcnt lgkmcnt(0)
	v_mul_f64 v[185:186], v[217:218], v[187:188]
	v_fma_f64 v[185:186], v[215:216], v[213:214], -v[185:186]
	v_mul_f64 v[215:216], v[215:216], v[187:188]
	v_add_f64 v[1:2], v[1:2], -v[185:186]
	v_fma_f64 v[215:216], v[217:218], v[213:214], v[215:216]
	v_mov_b32_e32 v185, v213
	v_mov_b32_e32 v186, v214
	v_add_f64 v[3:4], v[3:4], -v[215:216]
.LBB119_127:
	s_or_b32 exec_lo, exec_lo, s1
	s_mov_b32 s2, exec_lo
	s_waitcnt_vscnt null, 0x0
	s_barrier
	buffer_gl0_inv
	v_cmpx_eq_u32_e32 14, v0
	s_cbranch_execz .LBB119_134
; %bb.128:
	ds_write2_b64 v255, v[181:182], v[183:184] offset1:1
	ds_write2_b64 v253, v[177:178], v[179:180] offset0:30 offset1:31
	ds_write2_b64 v253, v[173:174], v[175:176] offset0:32 offset1:33
	;; [unrolled: 1-line block ×45, first 2 shown]
	ds_read2_b64 v[213:216], v255 offset1:1
	s_waitcnt lgkmcnt(0)
	v_cmp_neq_f64_e32 vcc_lo, 0, v[213:214]
	v_cmp_neq_f64_e64 s1, 0, v[215:216]
	s_or_b32 s1, vcc_lo, s1
	s_and_b32 exec_lo, exec_lo, s1
	s_cbranch_execz .LBB119_134
; %bb.129:
	v_cmp_ngt_f64_e64 s1, |v[213:214]|, |v[215:216]|
                                        ; implicit-def: $vgpr217_vgpr218
	s_and_saveexec_b32 s3, s1
	s_xor_b32 s1, exec_lo, s3
                                        ; implicit-def: $vgpr219_vgpr220
	s_cbranch_execz .LBB119_131
; %bb.130:
	v_div_scale_f64 v[217:218], null, v[215:216], v[215:216], v[213:214]
	v_div_scale_f64 v[223:224], vcc_lo, v[213:214], v[215:216], v[213:214]
	v_rcp_f64_e32 v[219:220], v[217:218]
	v_fma_f64 v[221:222], -v[217:218], v[219:220], 1.0
	v_fma_f64 v[219:220], v[219:220], v[221:222], v[219:220]
	v_fma_f64 v[221:222], -v[217:218], v[219:220], 1.0
	v_fma_f64 v[219:220], v[219:220], v[221:222], v[219:220]
	v_mul_f64 v[221:222], v[223:224], v[219:220]
	v_fma_f64 v[217:218], -v[217:218], v[221:222], v[223:224]
	v_div_fmas_f64 v[217:218], v[217:218], v[219:220], v[221:222]
	v_div_fixup_f64 v[217:218], v[217:218], v[215:216], v[213:214]
	v_fma_f64 v[213:214], v[213:214], v[217:218], v[215:216]
	v_div_scale_f64 v[215:216], null, v[213:214], v[213:214], 1.0
	v_rcp_f64_e32 v[219:220], v[215:216]
	v_fma_f64 v[221:222], -v[215:216], v[219:220], 1.0
	v_fma_f64 v[219:220], v[219:220], v[221:222], v[219:220]
	v_fma_f64 v[221:222], -v[215:216], v[219:220], 1.0
	v_fma_f64 v[219:220], v[219:220], v[221:222], v[219:220]
	v_div_scale_f64 v[221:222], vcc_lo, 1.0, v[213:214], 1.0
	v_mul_f64 v[223:224], v[221:222], v[219:220]
	v_fma_f64 v[215:216], -v[215:216], v[223:224], v[221:222]
	v_div_fmas_f64 v[215:216], v[215:216], v[219:220], v[223:224]
	v_div_fixup_f64 v[219:220], v[215:216], v[213:214], 1.0
                                        ; implicit-def: $vgpr213_vgpr214
	v_mul_f64 v[217:218], v[217:218], v[219:220]
	v_xor_b32_e32 v220, 0x80000000, v220
.LBB119_131:
	s_andn2_saveexec_b32 s1, s1
	s_cbranch_execz .LBB119_133
; %bb.132:
	v_div_scale_f64 v[217:218], null, v[213:214], v[213:214], v[215:216]
	v_div_scale_f64 v[223:224], vcc_lo, v[215:216], v[213:214], v[215:216]
	v_rcp_f64_e32 v[219:220], v[217:218]
	v_fma_f64 v[221:222], -v[217:218], v[219:220], 1.0
	v_fma_f64 v[219:220], v[219:220], v[221:222], v[219:220]
	v_fma_f64 v[221:222], -v[217:218], v[219:220], 1.0
	v_fma_f64 v[219:220], v[219:220], v[221:222], v[219:220]
	v_mul_f64 v[221:222], v[223:224], v[219:220]
	v_fma_f64 v[217:218], -v[217:218], v[221:222], v[223:224]
	v_div_fmas_f64 v[217:218], v[217:218], v[219:220], v[221:222]
	v_div_fixup_f64 v[219:220], v[217:218], v[213:214], v[215:216]
	v_fma_f64 v[213:214], v[215:216], v[219:220], v[213:214]
	v_div_scale_f64 v[215:216], null, v[213:214], v[213:214], 1.0
	v_rcp_f64_e32 v[217:218], v[215:216]
	v_fma_f64 v[221:222], -v[215:216], v[217:218], 1.0
	v_fma_f64 v[217:218], v[217:218], v[221:222], v[217:218]
	v_fma_f64 v[221:222], -v[215:216], v[217:218], 1.0
	v_fma_f64 v[217:218], v[217:218], v[221:222], v[217:218]
	v_div_scale_f64 v[221:222], vcc_lo, 1.0, v[213:214], 1.0
	v_mul_f64 v[223:224], v[221:222], v[217:218]
	v_fma_f64 v[215:216], -v[215:216], v[223:224], v[221:222]
	v_div_fmas_f64 v[215:216], v[215:216], v[217:218], v[223:224]
	v_div_fixup_f64 v[217:218], v[215:216], v[213:214], 1.0
	v_mul_f64 v[219:220], v[219:220], -v[217:218]
.LBB119_133:
	s_or_b32 exec_lo, exec_lo, s1
	ds_write2_b64 v255, v[217:218], v[219:220] offset1:1
.LBB119_134:
	s_or_b32 exec_lo, exec_lo, s2
	s_waitcnt lgkmcnt(0)
	s_barrier
	buffer_gl0_inv
	ds_read2_b64 v[193:196], v255 offset1:1
	s_mov_b32 s1, exec_lo
	s_waitcnt lgkmcnt(0)
	buffer_store_dword v193, off, s[16:19], 0 offset:800 ; 4-byte Folded Spill
	buffer_store_dword v194, off, s[16:19], 0 offset:804 ; 4-byte Folded Spill
	buffer_store_dword v195, off, s[16:19], 0 offset:808 ; 4-byte Folded Spill
	buffer_store_dword v196, off, s[16:19], 0 offset:812 ; 4-byte Folded Spill
	v_cmpx_lt_u32_e32 14, v0
	s_cbranch_execz .LBB119_136
; %bb.135:
	s_clause 0x3
	buffer_load_dword v193, off, s[16:19], 0 offset:800
	buffer_load_dword v194, off, s[16:19], 0 offset:804
	;; [unrolled: 1-line block ×4, first 2 shown]
	ds_read2_b64 v[215:218], v253 offset0:30 offset1:31
	s_waitcnt vmcnt(0)
	v_mul_f64 v[213:214], v[195:196], v[183:184]
	v_mul_f64 v[183:184], v[193:194], v[183:184]
	v_fma_f64 v[213:214], v[193:194], v[181:182], -v[213:214]
	v_fma_f64 v[183:184], v[195:196], v[181:182], v[183:184]
	s_waitcnt lgkmcnt(0)
	v_mul_f64 v[181:182], v[217:218], v[183:184]
	v_fma_f64 v[181:182], v[215:216], v[213:214], -v[181:182]
	v_mul_f64 v[215:216], v[215:216], v[183:184]
	v_add_f64 v[177:178], v[177:178], -v[181:182]
	v_fma_f64 v[215:216], v[217:218], v[213:214], v[215:216]
	v_add_f64 v[179:180], v[179:180], -v[215:216]
	ds_read2_b64 v[215:218], v253 offset0:32 offset1:33
	s_waitcnt lgkmcnt(0)
	v_mul_f64 v[181:182], v[217:218], v[183:184]
	v_fma_f64 v[181:182], v[215:216], v[213:214], -v[181:182]
	v_mul_f64 v[215:216], v[215:216], v[183:184]
	v_add_f64 v[173:174], v[173:174], -v[181:182]
	v_fma_f64 v[215:216], v[217:218], v[213:214], v[215:216]
	v_add_f64 v[175:176], v[175:176], -v[215:216]
	ds_read2_b64 v[215:218], v253 offset0:34 offset1:35
	;; [unrolled: 8-line block ×44, first 2 shown]
	s_waitcnt lgkmcnt(0)
	v_mul_f64 v[181:182], v[217:218], v[183:184]
	v_fma_f64 v[181:182], v[215:216], v[213:214], -v[181:182]
	v_mul_f64 v[215:216], v[215:216], v[183:184]
	v_add_f64 v[1:2], v[1:2], -v[181:182]
	v_fma_f64 v[215:216], v[217:218], v[213:214], v[215:216]
	v_mov_b32_e32 v181, v213
	v_mov_b32_e32 v182, v214
	v_add_f64 v[3:4], v[3:4], -v[215:216]
.LBB119_136:
	s_or_b32 exec_lo, exec_lo, s1
	s_mov_b32 s2, exec_lo
	s_waitcnt_vscnt null, 0x0
	s_barrier
	buffer_gl0_inv
	v_cmpx_eq_u32_e32 15, v0
	s_cbranch_execz .LBB119_143
; %bb.137:
	ds_write2_b64 v255, v[177:178], v[179:180] offset1:1
	ds_write2_b64 v253, v[173:174], v[175:176] offset0:32 offset1:33
	ds_write2_b64 v253, v[169:170], v[171:172] offset0:34 offset1:35
	;; [unrolled: 1-line block ×44, first 2 shown]
	ds_read2_b64 v[213:216], v255 offset1:1
	s_waitcnt lgkmcnt(0)
	v_cmp_neq_f64_e32 vcc_lo, 0, v[213:214]
	v_cmp_neq_f64_e64 s1, 0, v[215:216]
	s_or_b32 s1, vcc_lo, s1
	s_and_b32 exec_lo, exec_lo, s1
	s_cbranch_execz .LBB119_143
; %bb.138:
	v_cmp_ngt_f64_e64 s1, |v[213:214]|, |v[215:216]|
                                        ; implicit-def: $vgpr217_vgpr218
	s_and_saveexec_b32 s3, s1
	s_xor_b32 s1, exec_lo, s3
                                        ; implicit-def: $vgpr219_vgpr220
	s_cbranch_execz .LBB119_140
; %bb.139:
	v_div_scale_f64 v[217:218], null, v[215:216], v[215:216], v[213:214]
	v_div_scale_f64 v[223:224], vcc_lo, v[213:214], v[215:216], v[213:214]
	v_rcp_f64_e32 v[219:220], v[217:218]
	v_fma_f64 v[221:222], -v[217:218], v[219:220], 1.0
	v_fma_f64 v[219:220], v[219:220], v[221:222], v[219:220]
	v_fma_f64 v[221:222], -v[217:218], v[219:220], 1.0
	v_fma_f64 v[219:220], v[219:220], v[221:222], v[219:220]
	v_mul_f64 v[221:222], v[223:224], v[219:220]
	v_fma_f64 v[217:218], -v[217:218], v[221:222], v[223:224]
	v_div_fmas_f64 v[217:218], v[217:218], v[219:220], v[221:222]
	v_div_fixup_f64 v[217:218], v[217:218], v[215:216], v[213:214]
	v_fma_f64 v[213:214], v[213:214], v[217:218], v[215:216]
	v_div_scale_f64 v[215:216], null, v[213:214], v[213:214], 1.0
	v_rcp_f64_e32 v[219:220], v[215:216]
	v_fma_f64 v[221:222], -v[215:216], v[219:220], 1.0
	v_fma_f64 v[219:220], v[219:220], v[221:222], v[219:220]
	v_fma_f64 v[221:222], -v[215:216], v[219:220], 1.0
	v_fma_f64 v[219:220], v[219:220], v[221:222], v[219:220]
	v_div_scale_f64 v[221:222], vcc_lo, 1.0, v[213:214], 1.0
	v_mul_f64 v[223:224], v[221:222], v[219:220]
	v_fma_f64 v[215:216], -v[215:216], v[223:224], v[221:222]
	v_div_fmas_f64 v[215:216], v[215:216], v[219:220], v[223:224]
	v_div_fixup_f64 v[219:220], v[215:216], v[213:214], 1.0
                                        ; implicit-def: $vgpr213_vgpr214
	v_mul_f64 v[217:218], v[217:218], v[219:220]
	v_xor_b32_e32 v220, 0x80000000, v220
.LBB119_140:
	s_andn2_saveexec_b32 s1, s1
	s_cbranch_execz .LBB119_142
; %bb.141:
	v_div_scale_f64 v[217:218], null, v[213:214], v[213:214], v[215:216]
	v_div_scale_f64 v[223:224], vcc_lo, v[215:216], v[213:214], v[215:216]
	v_rcp_f64_e32 v[219:220], v[217:218]
	v_fma_f64 v[221:222], -v[217:218], v[219:220], 1.0
	v_fma_f64 v[219:220], v[219:220], v[221:222], v[219:220]
	v_fma_f64 v[221:222], -v[217:218], v[219:220], 1.0
	v_fma_f64 v[219:220], v[219:220], v[221:222], v[219:220]
	v_mul_f64 v[221:222], v[223:224], v[219:220]
	v_fma_f64 v[217:218], -v[217:218], v[221:222], v[223:224]
	v_div_fmas_f64 v[217:218], v[217:218], v[219:220], v[221:222]
	v_div_fixup_f64 v[219:220], v[217:218], v[213:214], v[215:216]
	v_fma_f64 v[213:214], v[215:216], v[219:220], v[213:214]
	v_div_scale_f64 v[215:216], null, v[213:214], v[213:214], 1.0
	v_rcp_f64_e32 v[217:218], v[215:216]
	v_fma_f64 v[221:222], -v[215:216], v[217:218], 1.0
	v_fma_f64 v[217:218], v[217:218], v[221:222], v[217:218]
	v_fma_f64 v[221:222], -v[215:216], v[217:218], 1.0
	v_fma_f64 v[217:218], v[217:218], v[221:222], v[217:218]
	v_div_scale_f64 v[221:222], vcc_lo, 1.0, v[213:214], 1.0
	v_mul_f64 v[223:224], v[221:222], v[217:218]
	v_fma_f64 v[215:216], -v[215:216], v[223:224], v[221:222]
	v_div_fmas_f64 v[215:216], v[215:216], v[217:218], v[223:224]
	v_div_fixup_f64 v[217:218], v[215:216], v[213:214], 1.0
	v_mul_f64 v[219:220], v[219:220], -v[217:218]
.LBB119_142:
	s_or_b32 exec_lo, exec_lo, s1
	ds_write2_b64 v255, v[217:218], v[219:220] offset1:1
.LBB119_143:
	s_or_b32 exec_lo, exec_lo, s2
	s_waitcnt lgkmcnt(0)
	s_barrier
	buffer_gl0_inv
	ds_read2_b64 v[193:196], v255 offset1:1
	s_mov_b32 s1, exec_lo
	s_waitcnt lgkmcnt(0)
	buffer_store_dword v193, off, s[16:19], 0 offset:816 ; 4-byte Folded Spill
	buffer_store_dword v194, off, s[16:19], 0 offset:820 ; 4-byte Folded Spill
	;; [unrolled: 1-line block ×4, first 2 shown]
	v_cmpx_lt_u32_e32 15, v0
	s_cbranch_execz .LBB119_145
; %bb.144:
	s_clause 0x3
	buffer_load_dword v193, off, s[16:19], 0 offset:816
	buffer_load_dword v194, off, s[16:19], 0 offset:820
	;; [unrolled: 1-line block ×4, first 2 shown]
	ds_read2_b64 v[215:218], v253 offset0:32 offset1:33
	s_waitcnt vmcnt(0)
	v_mul_f64 v[213:214], v[195:196], v[179:180]
	v_mul_f64 v[179:180], v[193:194], v[179:180]
	v_fma_f64 v[213:214], v[193:194], v[177:178], -v[213:214]
	v_fma_f64 v[179:180], v[195:196], v[177:178], v[179:180]
	s_waitcnt lgkmcnt(0)
	v_mul_f64 v[177:178], v[217:218], v[179:180]
	v_fma_f64 v[177:178], v[215:216], v[213:214], -v[177:178]
	v_mul_f64 v[215:216], v[215:216], v[179:180]
	v_add_f64 v[173:174], v[173:174], -v[177:178]
	v_fma_f64 v[215:216], v[217:218], v[213:214], v[215:216]
	v_add_f64 v[175:176], v[175:176], -v[215:216]
	ds_read2_b64 v[215:218], v253 offset0:34 offset1:35
	s_waitcnt lgkmcnt(0)
	v_mul_f64 v[177:178], v[217:218], v[179:180]
	v_fma_f64 v[177:178], v[215:216], v[213:214], -v[177:178]
	v_mul_f64 v[215:216], v[215:216], v[179:180]
	v_add_f64 v[169:170], v[169:170], -v[177:178]
	v_fma_f64 v[215:216], v[217:218], v[213:214], v[215:216]
	v_add_f64 v[171:172], v[171:172], -v[215:216]
	ds_read2_b64 v[215:218], v253 offset0:36 offset1:37
	;; [unrolled: 8-line block ×43, first 2 shown]
	s_waitcnt lgkmcnt(0)
	v_mul_f64 v[177:178], v[217:218], v[179:180]
	v_fma_f64 v[177:178], v[215:216], v[213:214], -v[177:178]
	v_mul_f64 v[215:216], v[215:216], v[179:180]
	v_add_f64 v[1:2], v[1:2], -v[177:178]
	v_fma_f64 v[215:216], v[217:218], v[213:214], v[215:216]
	v_mov_b32_e32 v177, v213
	v_mov_b32_e32 v178, v214
	v_add_f64 v[3:4], v[3:4], -v[215:216]
.LBB119_145:
	s_or_b32 exec_lo, exec_lo, s1
	s_mov_b32 s2, exec_lo
	s_waitcnt_vscnt null, 0x0
	s_barrier
	buffer_gl0_inv
	v_cmpx_eq_u32_e32 16, v0
	s_cbranch_execz .LBB119_152
; %bb.146:
	ds_write2_b64 v255, v[173:174], v[175:176] offset1:1
	ds_write2_b64 v253, v[169:170], v[171:172] offset0:34 offset1:35
	ds_write2_b64 v253, v[165:166], v[167:168] offset0:36 offset1:37
	;; [unrolled: 1-line block ×43, first 2 shown]
	ds_read2_b64 v[213:216], v255 offset1:1
	s_waitcnt lgkmcnt(0)
	v_cmp_neq_f64_e32 vcc_lo, 0, v[213:214]
	v_cmp_neq_f64_e64 s1, 0, v[215:216]
	s_or_b32 s1, vcc_lo, s1
	s_and_b32 exec_lo, exec_lo, s1
	s_cbranch_execz .LBB119_152
; %bb.147:
	v_cmp_ngt_f64_e64 s1, |v[213:214]|, |v[215:216]|
                                        ; implicit-def: $vgpr217_vgpr218
	s_and_saveexec_b32 s3, s1
	s_xor_b32 s1, exec_lo, s3
                                        ; implicit-def: $vgpr219_vgpr220
	s_cbranch_execz .LBB119_149
; %bb.148:
	v_div_scale_f64 v[217:218], null, v[215:216], v[215:216], v[213:214]
	v_div_scale_f64 v[223:224], vcc_lo, v[213:214], v[215:216], v[213:214]
	v_rcp_f64_e32 v[219:220], v[217:218]
	v_fma_f64 v[221:222], -v[217:218], v[219:220], 1.0
	v_fma_f64 v[219:220], v[219:220], v[221:222], v[219:220]
	v_fma_f64 v[221:222], -v[217:218], v[219:220], 1.0
	v_fma_f64 v[219:220], v[219:220], v[221:222], v[219:220]
	v_mul_f64 v[221:222], v[223:224], v[219:220]
	v_fma_f64 v[217:218], -v[217:218], v[221:222], v[223:224]
	v_div_fmas_f64 v[217:218], v[217:218], v[219:220], v[221:222]
	v_div_fixup_f64 v[217:218], v[217:218], v[215:216], v[213:214]
	v_fma_f64 v[213:214], v[213:214], v[217:218], v[215:216]
	v_div_scale_f64 v[215:216], null, v[213:214], v[213:214], 1.0
	v_rcp_f64_e32 v[219:220], v[215:216]
	v_fma_f64 v[221:222], -v[215:216], v[219:220], 1.0
	v_fma_f64 v[219:220], v[219:220], v[221:222], v[219:220]
	v_fma_f64 v[221:222], -v[215:216], v[219:220], 1.0
	v_fma_f64 v[219:220], v[219:220], v[221:222], v[219:220]
	v_div_scale_f64 v[221:222], vcc_lo, 1.0, v[213:214], 1.0
	v_mul_f64 v[223:224], v[221:222], v[219:220]
	v_fma_f64 v[215:216], -v[215:216], v[223:224], v[221:222]
	v_div_fmas_f64 v[215:216], v[215:216], v[219:220], v[223:224]
	v_div_fixup_f64 v[219:220], v[215:216], v[213:214], 1.0
                                        ; implicit-def: $vgpr213_vgpr214
	v_mul_f64 v[217:218], v[217:218], v[219:220]
	v_xor_b32_e32 v220, 0x80000000, v220
.LBB119_149:
	s_andn2_saveexec_b32 s1, s1
	s_cbranch_execz .LBB119_151
; %bb.150:
	v_div_scale_f64 v[217:218], null, v[213:214], v[213:214], v[215:216]
	v_div_scale_f64 v[223:224], vcc_lo, v[215:216], v[213:214], v[215:216]
	v_rcp_f64_e32 v[219:220], v[217:218]
	v_fma_f64 v[221:222], -v[217:218], v[219:220], 1.0
	v_fma_f64 v[219:220], v[219:220], v[221:222], v[219:220]
	v_fma_f64 v[221:222], -v[217:218], v[219:220], 1.0
	v_fma_f64 v[219:220], v[219:220], v[221:222], v[219:220]
	v_mul_f64 v[221:222], v[223:224], v[219:220]
	v_fma_f64 v[217:218], -v[217:218], v[221:222], v[223:224]
	v_div_fmas_f64 v[217:218], v[217:218], v[219:220], v[221:222]
	v_div_fixup_f64 v[219:220], v[217:218], v[213:214], v[215:216]
	v_fma_f64 v[213:214], v[215:216], v[219:220], v[213:214]
	v_div_scale_f64 v[215:216], null, v[213:214], v[213:214], 1.0
	v_rcp_f64_e32 v[217:218], v[215:216]
	v_fma_f64 v[221:222], -v[215:216], v[217:218], 1.0
	v_fma_f64 v[217:218], v[217:218], v[221:222], v[217:218]
	v_fma_f64 v[221:222], -v[215:216], v[217:218], 1.0
	v_fma_f64 v[217:218], v[217:218], v[221:222], v[217:218]
	v_div_scale_f64 v[221:222], vcc_lo, 1.0, v[213:214], 1.0
	v_mul_f64 v[223:224], v[221:222], v[217:218]
	v_fma_f64 v[215:216], -v[215:216], v[223:224], v[221:222]
	v_div_fmas_f64 v[215:216], v[215:216], v[217:218], v[223:224]
	v_div_fixup_f64 v[217:218], v[215:216], v[213:214], 1.0
	v_mul_f64 v[219:220], v[219:220], -v[217:218]
.LBB119_151:
	s_or_b32 exec_lo, exec_lo, s1
	ds_write2_b64 v255, v[217:218], v[219:220] offset1:1
.LBB119_152:
	s_or_b32 exec_lo, exec_lo, s2
	s_waitcnt lgkmcnt(0)
	s_barrier
	buffer_gl0_inv
	ds_read2_b64 v[193:196], v255 offset1:1
	s_mov_b32 s1, exec_lo
	s_waitcnt lgkmcnt(0)
	buffer_store_dword v193, off, s[16:19], 0 offset:832 ; 4-byte Folded Spill
	buffer_store_dword v194, off, s[16:19], 0 offset:836 ; 4-byte Folded Spill
	;; [unrolled: 1-line block ×4, first 2 shown]
	v_cmpx_lt_u32_e32 16, v0
	s_cbranch_execz .LBB119_154
; %bb.153:
	s_clause 0x3
	buffer_load_dword v193, off, s[16:19], 0 offset:832
	buffer_load_dword v194, off, s[16:19], 0 offset:836
	;; [unrolled: 1-line block ×4, first 2 shown]
	ds_read2_b64 v[215:218], v253 offset0:34 offset1:35
	s_waitcnt vmcnt(0)
	v_mul_f64 v[213:214], v[195:196], v[175:176]
	v_mul_f64 v[175:176], v[193:194], v[175:176]
	v_fma_f64 v[213:214], v[193:194], v[173:174], -v[213:214]
	v_fma_f64 v[175:176], v[195:196], v[173:174], v[175:176]
	s_waitcnt lgkmcnt(0)
	v_mul_f64 v[173:174], v[217:218], v[175:176]
	v_fma_f64 v[173:174], v[215:216], v[213:214], -v[173:174]
	v_mul_f64 v[215:216], v[215:216], v[175:176]
	v_add_f64 v[169:170], v[169:170], -v[173:174]
	v_fma_f64 v[215:216], v[217:218], v[213:214], v[215:216]
	v_add_f64 v[171:172], v[171:172], -v[215:216]
	ds_read2_b64 v[215:218], v253 offset0:36 offset1:37
	s_waitcnt lgkmcnt(0)
	v_mul_f64 v[173:174], v[217:218], v[175:176]
	v_fma_f64 v[173:174], v[215:216], v[213:214], -v[173:174]
	v_mul_f64 v[215:216], v[215:216], v[175:176]
	v_add_f64 v[165:166], v[165:166], -v[173:174]
	v_fma_f64 v[215:216], v[217:218], v[213:214], v[215:216]
	v_add_f64 v[167:168], v[167:168], -v[215:216]
	ds_read2_b64 v[215:218], v253 offset0:38 offset1:39
	;; [unrolled: 8-line block ×42, first 2 shown]
	s_waitcnt lgkmcnt(0)
	v_mul_f64 v[173:174], v[217:218], v[175:176]
	v_fma_f64 v[173:174], v[215:216], v[213:214], -v[173:174]
	v_mul_f64 v[215:216], v[215:216], v[175:176]
	v_add_f64 v[1:2], v[1:2], -v[173:174]
	v_fma_f64 v[215:216], v[217:218], v[213:214], v[215:216]
	v_mov_b32_e32 v173, v213
	v_mov_b32_e32 v174, v214
	v_add_f64 v[3:4], v[3:4], -v[215:216]
.LBB119_154:
	s_or_b32 exec_lo, exec_lo, s1
	s_mov_b32 s2, exec_lo
	s_waitcnt_vscnt null, 0x0
	s_barrier
	buffer_gl0_inv
	v_cmpx_eq_u32_e32 17, v0
	s_cbranch_execz .LBB119_161
; %bb.155:
	ds_write2_b64 v255, v[169:170], v[171:172] offset1:1
	ds_write2_b64 v253, v[165:166], v[167:168] offset0:36 offset1:37
	ds_write2_b64 v253, v[161:162], v[163:164] offset0:38 offset1:39
	;; [unrolled: 1-line block ×42, first 2 shown]
	ds_read2_b64 v[213:216], v255 offset1:1
	s_waitcnt lgkmcnt(0)
	v_cmp_neq_f64_e32 vcc_lo, 0, v[213:214]
	v_cmp_neq_f64_e64 s1, 0, v[215:216]
	s_or_b32 s1, vcc_lo, s1
	s_and_b32 exec_lo, exec_lo, s1
	s_cbranch_execz .LBB119_161
; %bb.156:
	v_cmp_ngt_f64_e64 s1, |v[213:214]|, |v[215:216]|
                                        ; implicit-def: $vgpr217_vgpr218
	s_and_saveexec_b32 s3, s1
	s_xor_b32 s1, exec_lo, s3
                                        ; implicit-def: $vgpr219_vgpr220
	s_cbranch_execz .LBB119_158
; %bb.157:
	v_div_scale_f64 v[217:218], null, v[215:216], v[215:216], v[213:214]
	v_div_scale_f64 v[223:224], vcc_lo, v[213:214], v[215:216], v[213:214]
	v_rcp_f64_e32 v[219:220], v[217:218]
	v_fma_f64 v[221:222], -v[217:218], v[219:220], 1.0
	v_fma_f64 v[219:220], v[219:220], v[221:222], v[219:220]
	v_fma_f64 v[221:222], -v[217:218], v[219:220], 1.0
	v_fma_f64 v[219:220], v[219:220], v[221:222], v[219:220]
	v_mul_f64 v[221:222], v[223:224], v[219:220]
	v_fma_f64 v[217:218], -v[217:218], v[221:222], v[223:224]
	v_div_fmas_f64 v[217:218], v[217:218], v[219:220], v[221:222]
	v_div_fixup_f64 v[217:218], v[217:218], v[215:216], v[213:214]
	v_fma_f64 v[213:214], v[213:214], v[217:218], v[215:216]
	v_div_scale_f64 v[215:216], null, v[213:214], v[213:214], 1.0
	v_rcp_f64_e32 v[219:220], v[215:216]
	v_fma_f64 v[221:222], -v[215:216], v[219:220], 1.0
	v_fma_f64 v[219:220], v[219:220], v[221:222], v[219:220]
	v_fma_f64 v[221:222], -v[215:216], v[219:220], 1.0
	v_fma_f64 v[219:220], v[219:220], v[221:222], v[219:220]
	v_div_scale_f64 v[221:222], vcc_lo, 1.0, v[213:214], 1.0
	v_mul_f64 v[223:224], v[221:222], v[219:220]
	v_fma_f64 v[215:216], -v[215:216], v[223:224], v[221:222]
	v_div_fmas_f64 v[215:216], v[215:216], v[219:220], v[223:224]
	v_div_fixup_f64 v[219:220], v[215:216], v[213:214], 1.0
                                        ; implicit-def: $vgpr213_vgpr214
	v_mul_f64 v[217:218], v[217:218], v[219:220]
	v_xor_b32_e32 v220, 0x80000000, v220
.LBB119_158:
	s_andn2_saveexec_b32 s1, s1
	s_cbranch_execz .LBB119_160
; %bb.159:
	v_div_scale_f64 v[217:218], null, v[213:214], v[213:214], v[215:216]
	v_div_scale_f64 v[223:224], vcc_lo, v[215:216], v[213:214], v[215:216]
	v_rcp_f64_e32 v[219:220], v[217:218]
	v_fma_f64 v[221:222], -v[217:218], v[219:220], 1.0
	v_fma_f64 v[219:220], v[219:220], v[221:222], v[219:220]
	v_fma_f64 v[221:222], -v[217:218], v[219:220], 1.0
	v_fma_f64 v[219:220], v[219:220], v[221:222], v[219:220]
	v_mul_f64 v[221:222], v[223:224], v[219:220]
	v_fma_f64 v[217:218], -v[217:218], v[221:222], v[223:224]
	v_div_fmas_f64 v[217:218], v[217:218], v[219:220], v[221:222]
	v_div_fixup_f64 v[219:220], v[217:218], v[213:214], v[215:216]
	v_fma_f64 v[213:214], v[215:216], v[219:220], v[213:214]
	v_div_scale_f64 v[215:216], null, v[213:214], v[213:214], 1.0
	v_rcp_f64_e32 v[217:218], v[215:216]
	v_fma_f64 v[221:222], -v[215:216], v[217:218], 1.0
	v_fma_f64 v[217:218], v[217:218], v[221:222], v[217:218]
	v_fma_f64 v[221:222], -v[215:216], v[217:218], 1.0
	v_fma_f64 v[217:218], v[217:218], v[221:222], v[217:218]
	v_div_scale_f64 v[221:222], vcc_lo, 1.0, v[213:214], 1.0
	v_mul_f64 v[223:224], v[221:222], v[217:218]
	v_fma_f64 v[215:216], -v[215:216], v[223:224], v[221:222]
	v_div_fmas_f64 v[215:216], v[215:216], v[217:218], v[223:224]
	v_div_fixup_f64 v[217:218], v[215:216], v[213:214], 1.0
	v_mul_f64 v[219:220], v[219:220], -v[217:218]
.LBB119_160:
	s_or_b32 exec_lo, exec_lo, s1
	ds_write2_b64 v255, v[217:218], v[219:220] offset1:1
.LBB119_161:
	s_or_b32 exec_lo, exec_lo, s2
	s_waitcnt lgkmcnt(0)
	s_barrier
	buffer_gl0_inv
	ds_read2_b64 v[193:196], v255 offset1:1
	s_mov_b32 s1, exec_lo
	s_waitcnt lgkmcnt(0)
	buffer_store_dword v193, off, s[16:19], 0 offset:848 ; 4-byte Folded Spill
	buffer_store_dword v194, off, s[16:19], 0 offset:852 ; 4-byte Folded Spill
	;; [unrolled: 1-line block ×4, first 2 shown]
	v_cmpx_lt_u32_e32 17, v0
	s_cbranch_execz .LBB119_163
; %bb.162:
	s_clause 0x3
	buffer_load_dword v193, off, s[16:19], 0 offset:848
	buffer_load_dword v194, off, s[16:19], 0 offset:852
	;; [unrolled: 1-line block ×4, first 2 shown]
	ds_read2_b64 v[215:218], v253 offset0:36 offset1:37
	s_waitcnt vmcnt(0)
	v_mul_f64 v[213:214], v[195:196], v[171:172]
	v_mul_f64 v[171:172], v[193:194], v[171:172]
	v_fma_f64 v[213:214], v[193:194], v[169:170], -v[213:214]
	v_fma_f64 v[171:172], v[195:196], v[169:170], v[171:172]
	s_waitcnt lgkmcnt(0)
	v_mul_f64 v[169:170], v[217:218], v[171:172]
	v_fma_f64 v[169:170], v[215:216], v[213:214], -v[169:170]
	v_mul_f64 v[215:216], v[215:216], v[171:172]
	v_add_f64 v[165:166], v[165:166], -v[169:170]
	v_fma_f64 v[215:216], v[217:218], v[213:214], v[215:216]
	v_add_f64 v[167:168], v[167:168], -v[215:216]
	ds_read2_b64 v[215:218], v253 offset0:38 offset1:39
	s_waitcnt lgkmcnt(0)
	v_mul_f64 v[169:170], v[217:218], v[171:172]
	v_fma_f64 v[169:170], v[215:216], v[213:214], -v[169:170]
	v_mul_f64 v[215:216], v[215:216], v[171:172]
	v_add_f64 v[161:162], v[161:162], -v[169:170]
	v_fma_f64 v[215:216], v[217:218], v[213:214], v[215:216]
	v_add_f64 v[163:164], v[163:164], -v[215:216]
	ds_read2_b64 v[215:218], v253 offset0:40 offset1:41
	;; [unrolled: 8-line block ×41, first 2 shown]
	s_waitcnt lgkmcnt(0)
	v_mul_f64 v[169:170], v[217:218], v[171:172]
	v_fma_f64 v[169:170], v[215:216], v[213:214], -v[169:170]
	v_mul_f64 v[215:216], v[215:216], v[171:172]
	v_add_f64 v[1:2], v[1:2], -v[169:170]
	v_fma_f64 v[215:216], v[217:218], v[213:214], v[215:216]
	v_mov_b32_e32 v169, v213
	v_mov_b32_e32 v170, v214
	v_add_f64 v[3:4], v[3:4], -v[215:216]
.LBB119_163:
	s_or_b32 exec_lo, exec_lo, s1
	s_mov_b32 s2, exec_lo
	s_waitcnt_vscnt null, 0x0
	s_barrier
	buffer_gl0_inv
	v_cmpx_eq_u32_e32 18, v0
	s_cbranch_execz .LBB119_170
; %bb.164:
	ds_write2_b64 v255, v[165:166], v[167:168] offset1:1
	ds_write2_b64 v253, v[161:162], v[163:164] offset0:38 offset1:39
	ds_write2_b64 v253, v[157:158], v[159:160] offset0:40 offset1:41
	ds_write2_b64 v253, v[153:154], v[155:156] offset0:42 offset1:43
	ds_write2_b64 v253, v[149:150], v[151:152] offset0:44 offset1:45
	ds_write2_b64 v253, v[145:146], v[147:148] offset0:46 offset1:47
	ds_write2_b64 v253, v[141:142], v[143:144] offset0:48 offset1:49
	ds_write2_b64 v253, v[137:138], v[139:140] offset0:50 offset1:51
	ds_write2_b64 v253, v[133:134], v[135:136] offset0:52 offset1:53
	ds_write2_b64 v253, v[129:130], v[131:132] offset0:54 offset1:55
	ds_write2_b64 v253, v[125:126], v[127:128] offset0:56 offset1:57
	ds_write2_b64 v253, v[121:122], v[123:124] offset0:58 offset1:59
	ds_write2_b64 v253, v[117:118], v[119:120] offset0:60 offset1:61
	ds_write2_b64 v253, v[113:114], v[115:116] offset0:62 offset1:63
	ds_write2_b64 v253, v[109:110], v[111:112] offset0:64 offset1:65
	ds_write2_b64 v253, v[105:106], v[107:108] offset0:66 offset1:67
	ds_write2_b64 v253, v[101:102], v[103:104] offset0:68 offset1:69
	ds_write2_b64 v253, v[97:98], v[99:100] offset0:70 offset1:71
	ds_write2_b64 v253, v[93:94], v[95:96] offset0:72 offset1:73
	ds_write2_b64 v253, v[89:90], v[91:92] offset0:74 offset1:75
	ds_write2_b64 v253, v[85:86], v[87:88] offset0:76 offset1:77
	ds_write2_b64 v253, v[81:82], v[83:84] offset0:78 offset1:79
	ds_write2_b64 v253, v[77:78], v[79:80] offset0:80 offset1:81
	ds_write2_b64 v253, v[73:74], v[75:76] offset0:82 offset1:83
	ds_write2_b64 v253, v[69:70], v[71:72] offset0:84 offset1:85
	ds_write2_b64 v253, v[65:66], v[67:68] offset0:86 offset1:87
	ds_write2_b64 v253, v[61:62], v[63:64] offset0:88 offset1:89
	ds_write2_b64 v253, v[57:58], v[59:60] offset0:90 offset1:91
	ds_write2_b64 v253, v[53:54], v[55:56] offset0:92 offset1:93
	ds_write2_b64 v253, v[49:50], v[51:52] offset0:94 offset1:95
	ds_write2_b64 v253, v[45:46], v[47:48] offset0:96 offset1:97
	ds_write2_b64 v253, v[41:42], v[43:44] offset0:98 offset1:99
	ds_write2_b64 v253, v[37:38], v[39:40] offset0:100 offset1:101
	ds_write2_b64 v253, v[33:34], v[35:36] offset0:102 offset1:103
	ds_write2_b64 v253, v[29:30], v[31:32] offset0:104 offset1:105
	ds_write2_b64 v253, v[25:26], v[27:28] offset0:106 offset1:107
	ds_write2_b64 v253, v[21:22], v[23:24] offset0:108 offset1:109
	ds_write2_b64 v253, v[17:18], v[19:20] offset0:110 offset1:111
	ds_write2_b64 v253, v[13:14], v[15:16] offset0:112 offset1:113
	ds_write2_b64 v253, v[9:10], v[11:12] offset0:114 offset1:115
	ds_write2_b64 v253, v[5:6], v[7:8] offset0:116 offset1:117
	ds_write2_b64 v253, v[1:2], v[3:4] offset0:118 offset1:119
	ds_read2_b64 v[213:216], v255 offset1:1
	s_waitcnt lgkmcnt(0)
	v_cmp_neq_f64_e32 vcc_lo, 0, v[213:214]
	v_cmp_neq_f64_e64 s1, 0, v[215:216]
	s_or_b32 s1, vcc_lo, s1
	s_and_b32 exec_lo, exec_lo, s1
	s_cbranch_execz .LBB119_170
; %bb.165:
	v_cmp_ngt_f64_e64 s1, |v[213:214]|, |v[215:216]|
                                        ; implicit-def: $vgpr217_vgpr218
	s_and_saveexec_b32 s3, s1
	s_xor_b32 s1, exec_lo, s3
                                        ; implicit-def: $vgpr219_vgpr220
	s_cbranch_execz .LBB119_167
; %bb.166:
	v_div_scale_f64 v[217:218], null, v[215:216], v[215:216], v[213:214]
	v_div_scale_f64 v[223:224], vcc_lo, v[213:214], v[215:216], v[213:214]
	v_rcp_f64_e32 v[219:220], v[217:218]
	v_fma_f64 v[221:222], -v[217:218], v[219:220], 1.0
	v_fma_f64 v[219:220], v[219:220], v[221:222], v[219:220]
	v_fma_f64 v[221:222], -v[217:218], v[219:220], 1.0
	v_fma_f64 v[219:220], v[219:220], v[221:222], v[219:220]
	v_mul_f64 v[221:222], v[223:224], v[219:220]
	v_fma_f64 v[217:218], -v[217:218], v[221:222], v[223:224]
	v_div_fmas_f64 v[217:218], v[217:218], v[219:220], v[221:222]
	v_div_fixup_f64 v[217:218], v[217:218], v[215:216], v[213:214]
	v_fma_f64 v[213:214], v[213:214], v[217:218], v[215:216]
	v_div_scale_f64 v[215:216], null, v[213:214], v[213:214], 1.0
	v_rcp_f64_e32 v[219:220], v[215:216]
	v_fma_f64 v[221:222], -v[215:216], v[219:220], 1.0
	v_fma_f64 v[219:220], v[219:220], v[221:222], v[219:220]
	v_fma_f64 v[221:222], -v[215:216], v[219:220], 1.0
	v_fma_f64 v[219:220], v[219:220], v[221:222], v[219:220]
	v_div_scale_f64 v[221:222], vcc_lo, 1.0, v[213:214], 1.0
	v_mul_f64 v[223:224], v[221:222], v[219:220]
	v_fma_f64 v[215:216], -v[215:216], v[223:224], v[221:222]
	v_div_fmas_f64 v[215:216], v[215:216], v[219:220], v[223:224]
	v_div_fixup_f64 v[219:220], v[215:216], v[213:214], 1.0
                                        ; implicit-def: $vgpr213_vgpr214
	v_mul_f64 v[217:218], v[217:218], v[219:220]
	v_xor_b32_e32 v220, 0x80000000, v220
.LBB119_167:
	s_andn2_saveexec_b32 s1, s1
	s_cbranch_execz .LBB119_169
; %bb.168:
	v_div_scale_f64 v[217:218], null, v[213:214], v[213:214], v[215:216]
	v_div_scale_f64 v[223:224], vcc_lo, v[215:216], v[213:214], v[215:216]
	v_rcp_f64_e32 v[219:220], v[217:218]
	v_fma_f64 v[221:222], -v[217:218], v[219:220], 1.0
	v_fma_f64 v[219:220], v[219:220], v[221:222], v[219:220]
	v_fma_f64 v[221:222], -v[217:218], v[219:220], 1.0
	v_fma_f64 v[219:220], v[219:220], v[221:222], v[219:220]
	v_mul_f64 v[221:222], v[223:224], v[219:220]
	v_fma_f64 v[217:218], -v[217:218], v[221:222], v[223:224]
	v_div_fmas_f64 v[217:218], v[217:218], v[219:220], v[221:222]
	v_div_fixup_f64 v[219:220], v[217:218], v[213:214], v[215:216]
	v_fma_f64 v[213:214], v[215:216], v[219:220], v[213:214]
	v_div_scale_f64 v[215:216], null, v[213:214], v[213:214], 1.0
	v_rcp_f64_e32 v[217:218], v[215:216]
	v_fma_f64 v[221:222], -v[215:216], v[217:218], 1.0
	v_fma_f64 v[217:218], v[217:218], v[221:222], v[217:218]
	v_fma_f64 v[221:222], -v[215:216], v[217:218], 1.0
	v_fma_f64 v[217:218], v[217:218], v[221:222], v[217:218]
	v_div_scale_f64 v[221:222], vcc_lo, 1.0, v[213:214], 1.0
	v_mul_f64 v[223:224], v[221:222], v[217:218]
	v_fma_f64 v[215:216], -v[215:216], v[223:224], v[221:222]
	v_div_fmas_f64 v[215:216], v[215:216], v[217:218], v[223:224]
	v_div_fixup_f64 v[217:218], v[215:216], v[213:214], 1.0
	v_mul_f64 v[219:220], v[219:220], -v[217:218]
.LBB119_169:
	s_or_b32 exec_lo, exec_lo, s1
	ds_write2_b64 v255, v[217:218], v[219:220] offset1:1
.LBB119_170:
	s_or_b32 exec_lo, exec_lo, s2
	s_waitcnt lgkmcnt(0)
	s_barrier
	buffer_gl0_inv
	ds_read2_b64 v[193:196], v255 offset1:1
	s_mov_b32 s1, exec_lo
	s_waitcnt lgkmcnt(0)
	buffer_store_dword v193, off, s[16:19], 0 offset:864 ; 4-byte Folded Spill
	buffer_store_dword v194, off, s[16:19], 0 offset:868 ; 4-byte Folded Spill
	;; [unrolled: 1-line block ×4, first 2 shown]
	v_cmpx_lt_u32_e32 18, v0
	s_cbranch_execz .LBB119_172
; %bb.171:
	s_clause 0x3
	buffer_load_dword v193, off, s[16:19], 0 offset:864
	buffer_load_dword v194, off, s[16:19], 0 offset:868
	;; [unrolled: 1-line block ×4, first 2 shown]
	ds_read2_b64 v[215:218], v253 offset0:38 offset1:39
	s_waitcnt vmcnt(0)
	v_mul_f64 v[213:214], v[195:196], v[167:168]
	v_mul_f64 v[167:168], v[193:194], v[167:168]
	v_fma_f64 v[213:214], v[193:194], v[165:166], -v[213:214]
	v_fma_f64 v[167:168], v[195:196], v[165:166], v[167:168]
	s_waitcnt lgkmcnt(0)
	v_mul_f64 v[165:166], v[217:218], v[167:168]
	v_fma_f64 v[165:166], v[215:216], v[213:214], -v[165:166]
	v_mul_f64 v[215:216], v[215:216], v[167:168]
	v_add_f64 v[161:162], v[161:162], -v[165:166]
	v_fma_f64 v[215:216], v[217:218], v[213:214], v[215:216]
	v_add_f64 v[163:164], v[163:164], -v[215:216]
	ds_read2_b64 v[215:218], v253 offset0:40 offset1:41
	s_waitcnt lgkmcnt(0)
	v_mul_f64 v[165:166], v[217:218], v[167:168]
	v_fma_f64 v[165:166], v[215:216], v[213:214], -v[165:166]
	v_mul_f64 v[215:216], v[215:216], v[167:168]
	v_add_f64 v[157:158], v[157:158], -v[165:166]
	v_fma_f64 v[215:216], v[217:218], v[213:214], v[215:216]
	v_add_f64 v[159:160], v[159:160], -v[215:216]
	ds_read2_b64 v[215:218], v253 offset0:42 offset1:43
	;; [unrolled: 8-line block ×40, first 2 shown]
	s_waitcnt lgkmcnt(0)
	v_mul_f64 v[165:166], v[217:218], v[167:168]
	v_fma_f64 v[165:166], v[215:216], v[213:214], -v[165:166]
	v_mul_f64 v[215:216], v[215:216], v[167:168]
	v_add_f64 v[1:2], v[1:2], -v[165:166]
	v_fma_f64 v[215:216], v[217:218], v[213:214], v[215:216]
	v_mov_b32_e32 v165, v213
	v_mov_b32_e32 v166, v214
	v_add_f64 v[3:4], v[3:4], -v[215:216]
.LBB119_172:
	s_or_b32 exec_lo, exec_lo, s1
	s_mov_b32 s2, exec_lo
	s_waitcnt_vscnt null, 0x0
	s_barrier
	buffer_gl0_inv
	v_cmpx_eq_u32_e32 19, v0
	s_cbranch_execz .LBB119_179
; %bb.173:
	ds_write2_b64 v255, v[161:162], v[163:164] offset1:1
	ds_write2_b64 v253, v[157:158], v[159:160] offset0:40 offset1:41
	ds_write2_b64 v253, v[153:154], v[155:156] offset0:42 offset1:43
	;; [unrolled: 1-line block ×40, first 2 shown]
	ds_read2_b64 v[213:216], v255 offset1:1
	s_waitcnt lgkmcnt(0)
	v_cmp_neq_f64_e32 vcc_lo, 0, v[213:214]
	v_cmp_neq_f64_e64 s1, 0, v[215:216]
	s_or_b32 s1, vcc_lo, s1
	s_and_b32 exec_lo, exec_lo, s1
	s_cbranch_execz .LBB119_179
; %bb.174:
	v_cmp_ngt_f64_e64 s1, |v[213:214]|, |v[215:216]|
                                        ; implicit-def: $vgpr217_vgpr218
	s_and_saveexec_b32 s3, s1
	s_xor_b32 s1, exec_lo, s3
                                        ; implicit-def: $vgpr219_vgpr220
	s_cbranch_execz .LBB119_176
; %bb.175:
	v_div_scale_f64 v[217:218], null, v[215:216], v[215:216], v[213:214]
	v_div_scale_f64 v[223:224], vcc_lo, v[213:214], v[215:216], v[213:214]
	v_rcp_f64_e32 v[219:220], v[217:218]
	v_fma_f64 v[221:222], -v[217:218], v[219:220], 1.0
	v_fma_f64 v[219:220], v[219:220], v[221:222], v[219:220]
	v_fma_f64 v[221:222], -v[217:218], v[219:220], 1.0
	v_fma_f64 v[219:220], v[219:220], v[221:222], v[219:220]
	v_mul_f64 v[221:222], v[223:224], v[219:220]
	v_fma_f64 v[217:218], -v[217:218], v[221:222], v[223:224]
	v_div_fmas_f64 v[217:218], v[217:218], v[219:220], v[221:222]
	v_div_fixup_f64 v[217:218], v[217:218], v[215:216], v[213:214]
	v_fma_f64 v[213:214], v[213:214], v[217:218], v[215:216]
	v_div_scale_f64 v[215:216], null, v[213:214], v[213:214], 1.0
	v_rcp_f64_e32 v[219:220], v[215:216]
	v_fma_f64 v[221:222], -v[215:216], v[219:220], 1.0
	v_fma_f64 v[219:220], v[219:220], v[221:222], v[219:220]
	v_fma_f64 v[221:222], -v[215:216], v[219:220], 1.0
	v_fma_f64 v[219:220], v[219:220], v[221:222], v[219:220]
	v_div_scale_f64 v[221:222], vcc_lo, 1.0, v[213:214], 1.0
	v_mul_f64 v[223:224], v[221:222], v[219:220]
	v_fma_f64 v[215:216], -v[215:216], v[223:224], v[221:222]
	v_div_fmas_f64 v[215:216], v[215:216], v[219:220], v[223:224]
	v_div_fixup_f64 v[219:220], v[215:216], v[213:214], 1.0
                                        ; implicit-def: $vgpr213_vgpr214
	v_mul_f64 v[217:218], v[217:218], v[219:220]
	v_xor_b32_e32 v220, 0x80000000, v220
.LBB119_176:
	s_andn2_saveexec_b32 s1, s1
	s_cbranch_execz .LBB119_178
; %bb.177:
	v_div_scale_f64 v[217:218], null, v[213:214], v[213:214], v[215:216]
	v_div_scale_f64 v[223:224], vcc_lo, v[215:216], v[213:214], v[215:216]
	v_rcp_f64_e32 v[219:220], v[217:218]
	v_fma_f64 v[221:222], -v[217:218], v[219:220], 1.0
	v_fma_f64 v[219:220], v[219:220], v[221:222], v[219:220]
	v_fma_f64 v[221:222], -v[217:218], v[219:220], 1.0
	v_fma_f64 v[219:220], v[219:220], v[221:222], v[219:220]
	v_mul_f64 v[221:222], v[223:224], v[219:220]
	v_fma_f64 v[217:218], -v[217:218], v[221:222], v[223:224]
	v_div_fmas_f64 v[217:218], v[217:218], v[219:220], v[221:222]
	v_div_fixup_f64 v[219:220], v[217:218], v[213:214], v[215:216]
	v_fma_f64 v[213:214], v[215:216], v[219:220], v[213:214]
	v_div_scale_f64 v[215:216], null, v[213:214], v[213:214], 1.0
	v_rcp_f64_e32 v[217:218], v[215:216]
	v_fma_f64 v[221:222], -v[215:216], v[217:218], 1.0
	v_fma_f64 v[217:218], v[217:218], v[221:222], v[217:218]
	v_fma_f64 v[221:222], -v[215:216], v[217:218], 1.0
	v_fma_f64 v[217:218], v[217:218], v[221:222], v[217:218]
	v_div_scale_f64 v[221:222], vcc_lo, 1.0, v[213:214], 1.0
	v_mul_f64 v[223:224], v[221:222], v[217:218]
	v_fma_f64 v[215:216], -v[215:216], v[223:224], v[221:222]
	v_div_fmas_f64 v[215:216], v[215:216], v[217:218], v[223:224]
	v_div_fixup_f64 v[217:218], v[215:216], v[213:214], 1.0
	v_mul_f64 v[219:220], v[219:220], -v[217:218]
.LBB119_178:
	s_or_b32 exec_lo, exec_lo, s1
	ds_write2_b64 v255, v[217:218], v[219:220] offset1:1
.LBB119_179:
	s_or_b32 exec_lo, exec_lo, s2
	s_waitcnt lgkmcnt(0)
	s_barrier
	buffer_gl0_inv
	ds_read2_b64 v[193:196], v255 offset1:1
	s_mov_b32 s1, exec_lo
	s_waitcnt lgkmcnt(0)
	buffer_store_dword v193, off, s[16:19], 0 offset:880 ; 4-byte Folded Spill
	buffer_store_dword v194, off, s[16:19], 0 offset:884 ; 4-byte Folded Spill
	;; [unrolled: 1-line block ×4, first 2 shown]
	v_cmpx_lt_u32_e32 19, v0
	s_cbranch_execz .LBB119_181
; %bb.180:
	s_clause 0x3
	buffer_load_dword v193, off, s[16:19], 0 offset:880
	buffer_load_dword v194, off, s[16:19], 0 offset:884
	;; [unrolled: 1-line block ×4, first 2 shown]
	ds_read2_b64 v[215:218], v253 offset0:40 offset1:41
	s_waitcnt vmcnt(0)
	v_mul_f64 v[213:214], v[195:196], v[163:164]
	v_mul_f64 v[163:164], v[193:194], v[163:164]
	v_fma_f64 v[213:214], v[193:194], v[161:162], -v[213:214]
	v_fma_f64 v[163:164], v[195:196], v[161:162], v[163:164]
	s_waitcnt lgkmcnt(0)
	v_mul_f64 v[161:162], v[217:218], v[163:164]
	v_fma_f64 v[161:162], v[215:216], v[213:214], -v[161:162]
	v_mul_f64 v[215:216], v[215:216], v[163:164]
	v_add_f64 v[157:158], v[157:158], -v[161:162]
	v_fma_f64 v[215:216], v[217:218], v[213:214], v[215:216]
	v_add_f64 v[159:160], v[159:160], -v[215:216]
	ds_read2_b64 v[215:218], v253 offset0:42 offset1:43
	s_waitcnt lgkmcnt(0)
	v_mul_f64 v[161:162], v[217:218], v[163:164]
	v_fma_f64 v[161:162], v[215:216], v[213:214], -v[161:162]
	v_mul_f64 v[215:216], v[215:216], v[163:164]
	v_add_f64 v[153:154], v[153:154], -v[161:162]
	v_fma_f64 v[215:216], v[217:218], v[213:214], v[215:216]
	v_add_f64 v[155:156], v[155:156], -v[215:216]
	ds_read2_b64 v[215:218], v253 offset0:44 offset1:45
	;; [unrolled: 8-line block ×39, first 2 shown]
	s_waitcnt lgkmcnt(0)
	v_mul_f64 v[161:162], v[217:218], v[163:164]
	v_fma_f64 v[161:162], v[215:216], v[213:214], -v[161:162]
	v_mul_f64 v[215:216], v[215:216], v[163:164]
	v_add_f64 v[1:2], v[1:2], -v[161:162]
	v_fma_f64 v[215:216], v[217:218], v[213:214], v[215:216]
	v_mov_b32_e32 v161, v213
	v_mov_b32_e32 v162, v214
	v_add_f64 v[3:4], v[3:4], -v[215:216]
.LBB119_181:
	s_or_b32 exec_lo, exec_lo, s1
	s_mov_b32 s2, exec_lo
	s_waitcnt_vscnt null, 0x0
	s_barrier
	buffer_gl0_inv
	v_cmpx_eq_u32_e32 20, v0
	s_cbranch_execz .LBB119_188
; %bb.182:
	ds_write2_b64 v255, v[157:158], v[159:160] offset1:1
	ds_write2_b64 v253, v[153:154], v[155:156] offset0:42 offset1:43
	ds_write2_b64 v253, v[149:150], v[151:152] offset0:44 offset1:45
	;; [unrolled: 1-line block ×39, first 2 shown]
	ds_read2_b64 v[213:216], v255 offset1:1
	s_waitcnt lgkmcnt(0)
	v_cmp_neq_f64_e32 vcc_lo, 0, v[213:214]
	v_cmp_neq_f64_e64 s1, 0, v[215:216]
	s_or_b32 s1, vcc_lo, s1
	s_and_b32 exec_lo, exec_lo, s1
	s_cbranch_execz .LBB119_188
; %bb.183:
	v_cmp_ngt_f64_e64 s1, |v[213:214]|, |v[215:216]|
                                        ; implicit-def: $vgpr217_vgpr218
	s_and_saveexec_b32 s3, s1
	s_xor_b32 s1, exec_lo, s3
                                        ; implicit-def: $vgpr219_vgpr220
	s_cbranch_execz .LBB119_185
; %bb.184:
	v_div_scale_f64 v[217:218], null, v[215:216], v[215:216], v[213:214]
	v_div_scale_f64 v[223:224], vcc_lo, v[213:214], v[215:216], v[213:214]
	v_rcp_f64_e32 v[219:220], v[217:218]
	v_fma_f64 v[221:222], -v[217:218], v[219:220], 1.0
	v_fma_f64 v[219:220], v[219:220], v[221:222], v[219:220]
	v_fma_f64 v[221:222], -v[217:218], v[219:220], 1.0
	v_fma_f64 v[219:220], v[219:220], v[221:222], v[219:220]
	v_mul_f64 v[221:222], v[223:224], v[219:220]
	v_fma_f64 v[217:218], -v[217:218], v[221:222], v[223:224]
	v_div_fmas_f64 v[217:218], v[217:218], v[219:220], v[221:222]
	v_div_fixup_f64 v[217:218], v[217:218], v[215:216], v[213:214]
	v_fma_f64 v[213:214], v[213:214], v[217:218], v[215:216]
	v_div_scale_f64 v[215:216], null, v[213:214], v[213:214], 1.0
	v_rcp_f64_e32 v[219:220], v[215:216]
	v_fma_f64 v[221:222], -v[215:216], v[219:220], 1.0
	v_fma_f64 v[219:220], v[219:220], v[221:222], v[219:220]
	v_fma_f64 v[221:222], -v[215:216], v[219:220], 1.0
	v_fma_f64 v[219:220], v[219:220], v[221:222], v[219:220]
	v_div_scale_f64 v[221:222], vcc_lo, 1.0, v[213:214], 1.0
	v_mul_f64 v[223:224], v[221:222], v[219:220]
	v_fma_f64 v[215:216], -v[215:216], v[223:224], v[221:222]
	v_div_fmas_f64 v[215:216], v[215:216], v[219:220], v[223:224]
	v_div_fixup_f64 v[219:220], v[215:216], v[213:214], 1.0
                                        ; implicit-def: $vgpr213_vgpr214
	v_mul_f64 v[217:218], v[217:218], v[219:220]
	v_xor_b32_e32 v220, 0x80000000, v220
.LBB119_185:
	s_andn2_saveexec_b32 s1, s1
	s_cbranch_execz .LBB119_187
; %bb.186:
	v_div_scale_f64 v[217:218], null, v[213:214], v[213:214], v[215:216]
	v_div_scale_f64 v[223:224], vcc_lo, v[215:216], v[213:214], v[215:216]
	v_rcp_f64_e32 v[219:220], v[217:218]
	v_fma_f64 v[221:222], -v[217:218], v[219:220], 1.0
	v_fma_f64 v[219:220], v[219:220], v[221:222], v[219:220]
	v_fma_f64 v[221:222], -v[217:218], v[219:220], 1.0
	v_fma_f64 v[219:220], v[219:220], v[221:222], v[219:220]
	v_mul_f64 v[221:222], v[223:224], v[219:220]
	v_fma_f64 v[217:218], -v[217:218], v[221:222], v[223:224]
	v_div_fmas_f64 v[217:218], v[217:218], v[219:220], v[221:222]
	v_div_fixup_f64 v[219:220], v[217:218], v[213:214], v[215:216]
	v_fma_f64 v[213:214], v[215:216], v[219:220], v[213:214]
	v_div_scale_f64 v[215:216], null, v[213:214], v[213:214], 1.0
	v_rcp_f64_e32 v[217:218], v[215:216]
	v_fma_f64 v[221:222], -v[215:216], v[217:218], 1.0
	v_fma_f64 v[217:218], v[217:218], v[221:222], v[217:218]
	v_fma_f64 v[221:222], -v[215:216], v[217:218], 1.0
	v_fma_f64 v[217:218], v[217:218], v[221:222], v[217:218]
	v_div_scale_f64 v[221:222], vcc_lo, 1.0, v[213:214], 1.0
	v_mul_f64 v[223:224], v[221:222], v[217:218]
	v_fma_f64 v[215:216], -v[215:216], v[223:224], v[221:222]
	v_div_fmas_f64 v[215:216], v[215:216], v[217:218], v[223:224]
	v_div_fixup_f64 v[217:218], v[215:216], v[213:214], 1.0
	v_mul_f64 v[219:220], v[219:220], -v[217:218]
.LBB119_187:
	s_or_b32 exec_lo, exec_lo, s1
	ds_write2_b64 v255, v[217:218], v[219:220] offset1:1
.LBB119_188:
	s_or_b32 exec_lo, exec_lo, s2
	s_waitcnt lgkmcnt(0)
	s_barrier
	buffer_gl0_inv
	ds_read2_b64 v[193:196], v255 offset1:1
	s_mov_b32 s1, exec_lo
	s_waitcnt lgkmcnt(0)
	buffer_store_dword v193, off, s[16:19], 0 offset:896 ; 4-byte Folded Spill
	buffer_store_dword v194, off, s[16:19], 0 offset:900 ; 4-byte Folded Spill
	;; [unrolled: 1-line block ×4, first 2 shown]
	v_cmpx_lt_u32_e32 20, v0
	s_cbranch_execz .LBB119_190
; %bb.189:
	s_clause 0x3
	buffer_load_dword v193, off, s[16:19], 0 offset:896
	buffer_load_dword v194, off, s[16:19], 0 offset:900
	;; [unrolled: 1-line block ×4, first 2 shown]
	ds_read2_b64 v[215:218], v253 offset0:42 offset1:43
	s_waitcnt vmcnt(0)
	v_mul_f64 v[213:214], v[195:196], v[159:160]
	v_mul_f64 v[159:160], v[193:194], v[159:160]
	v_fma_f64 v[213:214], v[193:194], v[157:158], -v[213:214]
	v_fma_f64 v[159:160], v[195:196], v[157:158], v[159:160]
	s_waitcnt lgkmcnt(0)
	v_mul_f64 v[157:158], v[217:218], v[159:160]
	v_fma_f64 v[157:158], v[215:216], v[213:214], -v[157:158]
	v_mul_f64 v[215:216], v[215:216], v[159:160]
	v_add_f64 v[153:154], v[153:154], -v[157:158]
	v_fma_f64 v[215:216], v[217:218], v[213:214], v[215:216]
	v_add_f64 v[155:156], v[155:156], -v[215:216]
	ds_read2_b64 v[215:218], v253 offset0:44 offset1:45
	s_waitcnt lgkmcnt(0)
	v_mul_f64 v[157:158], v[217:218], v[159:160]
	v_fma_f64 v[157:158], v[215:216], v[213:214], -v[157:158]
	v_mul_f64 v[215:216], v[215:216], v[159:160]
	v_add_f64 v[149:150], v[149:150], -v[157:158]
	v_fma_f64 v[215:216], v[217:218], v[213:214], v[215:216]
	v_add_f64 v[151:152], v[151:152], -v[215:216]
	ds_read2_b64 v[215:218], v253 offset0:46 offset1:47
	;; [unrolled: 8-line block ×38, first 2 shown]
	s_waitcnt lgkmcnt(0)
	v_mul_f64 v[157:158], v[217:218], v[159:160]
	v_fma_f64 v[157:158], v[215:216], v[213:214], -v[157:158]
	v_mul_f64 v[215:216], v[215:216], v[159:160]
	v_add_f64 v[1:2], v[1:2], -v[157:158]
	v_fma_f64 v[215:216], v[217:218], v[213:214], v[215:216]
	v_mov_b32_e32 v157, v213
	v_mov_b32_e32 v158, v214
	v_add_f64 v[3:4], v[3:4], -v[215:216]
.LBB119_190:
	s_or_b32 exec_lo, exec_lo, s1
	s_mov_b32 s2, exec_lo
	s_waitcnt_vscnt null, 0x0
	s_barrier
	buffer_gl0_inv
	v_cmpx_eq_u32_e32 21, v0
	s_cbranch_execz .LBB119_197
; %bb.191:
	ds_write2_b64 v255, v[153:154], v[155:156] offset1:1
	ds_write2_b64 v253, v[149:150], v[151:152] offset0:44 offset1:45
	ds_write2_b64 v253, v[145:146], v[147:148] offset0:46 offset1:47
	;; [unrolled: 1-line block ×38, first 2 shown]
	ds_read2_b64 v[213:216], v255 offset1:1
	s_waitcnt lgkmcnt(0)
	v_cmp_neq_f64_e32 vcc_lo, 0, v[213:214]
	v_cmp_neq_f64_e64 s1, 0, v[215:216]
	s_or_b32 s1, vcc_lo, s1
	s_and_b32 exec_lo, exec_lo, s1
	s_cbranch_execz .LBB119_197
; %bb.192:
	v_cmp_ngt_f64_e64 s1, |v[213:214]|, |v[215:216]|
                                        ; implicit-def: $vgpr217_vgpr218
	s_and_saveexec_b32 s3, s1
	s_xor_b32 s1, exec_lo, s3
                                        ; implicit-def: $vgpr219_vgpr220
	s_cbranch_execz .LBB119_194
; %bb.193:
	v_div_scale_f64 v[217:218], null, v[215:216], v[215:216], v[213:214]
	v_div_scale_f64 v[223:224], vcc_lo, v[213:214], v[215:216], v[213:214]
	v_rcp_f64_e32 v[219:220], v[217:218]
	v_fma_f64 v[221:222], -v[217:218], v[219:220], 1.0
	v_fma_f64 v[219:220], v[219:220], v[221:222], v[219:220]
	v_fma_f64 v[221:222], -v[217:218], v[219:220], 1.0
	v_fma_f64 v[219:220], v[219:220], v[221:222], v[219:220]
	v_mul_f64 v[221:222], v[223:224], v[219:220]
	v_fma_f64 v[217:218], -v[217:218], v[221:222], v[223:224]
	v_div_fmas_f64 v[217:218], v[217:218], v[219:220], v[221:222]
	v_div_fixup_f64 v[217:218], v[217:218], v[215:216], v[213:214]
	v_fma_f64 v[213:214], v[213:214], v[217:218], v[215:216]
	v_div_scale_f64 v[215:216], null, v[213:214], v[213:214], 1.0
	v_rcp_f64_e32 v[219:220], v[215:216]
	v_fma_f64 v[221:222], -v[215:216], v[219:220], 1.0
	v_fma_f64 v[219:220], v[219:220], v[221:222], v[219:220]
	v_fma_f64 v[221:222], -v[215:216], v[219:220], 1.0
	v_fma_f64 v[219:220], v[219:220], v[221:222], v[219:220]
	v_div_scale_f64 v[221:222], vcc_lo, 1.0, v[213:214], 1.0
	v_mul_f64 v[223:224], v[221:222], v[219:220]
	v_fma_f64 v[215:216], -v[215:216], v[223:224], v[221:222]
	v_div_fmas_f64 v[215:216], v[215:216], v[219:220], v[223:224]
	v_div_fixup_f64 v[219:220], v[215:216], v[213:214], 1.0
                                        ; implicit-def: $vgpr213_vgpr214
	v_mul_f64 v[217:218], v[217:218], v[219:220]
	v_xor_b32_e32 v220, 0x80000000, v220
.LBB119_194:
	s_andn2_saveexec_b32 s1, s1
	s_cbranch_execz .LBB119_196
; %bb.195:
	v_div_scale_f64 v[217:218], null, v[213:214], v[213:214], v[215:216]
	v_div_scale_f64 v[223:224], vcc_lo, v[215:216], v[213:214], v[215:216]
	v_rcp_f64_e32 v[219:220], v[217:218]
	v_fma_f64 v[221:222], -v[217:218], v[219:220], 1.0
	v_fma_f64 v[219:220], v[219:220], v[221:222], v[219:220]
	v_fma_f64 v[221:222], -v[217:218], v[219:220], 1.0
	v_fma_f64 v[219:220], v[219:220], v[221:222], v[219:220]
	v_mul_f64 v[221:222], v[223:224], v[219:220]
	v_fma_f64 v[217:218], -v[217:218], v[221:222], v[223:224]
	v_div_fmas_f64 v[217:218], v[217:218], v[219:220], v[221:222]
	v_div_fixup_f64 v[219:220], v[217:218], v[213:214], v[215:216]
	v_fma_f64 v[213:214], v[215:216], v[219:220], v[213:214]
	v_div_scale_f64 v[215:216], null, v[213:214], v[213:214], 1.0
	v_rcp_f64_e32 v[217:218], v[215:216]
	v_fma_f64 v[221:222], -v[215:216], v[217:218], 1.0
	v_fma_f64 v[217:218], v[217:218], v[221:222], v[217:218]
	v_fma_f64 v[221:222], -v[215:216], v[217:218], 1.0
	v_fma_f64 v[217:218], v[217:218], v[221:222], v[217:218]
	v_div_scale_f64 v[221:222], vcc_lo, 1.0, v[213:214], 1.0
	v_mul_f64 v[223:224], v[221:222], v[217:218]
	v_fma_f64 v[215:216], -v[215:216], v[223:224], v[221:222]
	v_div_fmas_f64 v[215:216], v[215:216], v[217:218], v[223:224]
	v_div_fixup_f64 v[217:218], v[215:216], v[213:214], 1.0
	v_mul_f64 v[219:220], v[219:220], -v[217:218]
.LBB119_196:
	s_or_b32 exec_lo, exec_lo, s1
	ds_write2_b64 v255, v[217:218], v[219:220] offset1:1
.LBB119_197:
	s_or_b32 exec_lo, exec_lo, s2
	s_waitcnt lgkmcnt(0)
	s_barrier
	buffer_gl0_inv
	ds_read2_b64 v[193:196], v255 offset1:1
	s_mov_b32 s1, exec_lo
	s_waitcnt lgkmcnt(0)
	buffer_store_dword v193, off, s[16:19], 0 offset:912 ; 4-byte Folded Spill
	buffer_store_dword v194, off, s[16:19], 0 offset:916 ; 4-byte Folded Spill
	;; [unrolled: 1-line block ×4, first 2 shown]
	v_cmpx_lt_u32_e32 21, v0
	s_cbranch_execz .LBB119_199
; %bb.198:
	s_clause 0x3
	buffer_load_dword v193, off, s[16:19], 0 offset:912
	buffer_load_dword v194, off, s[16:19], 0 offset:916
	;; [unrolled: 1-line block ×4, first 2 shown]
	ds_read2_b64 v[215:218], v253 offset0:44 offset1:45
	s_waitcnt vmcnt(0)
	v_mul_f64 v[213:214], v[195:196], v[155:156]
	v_mul_f64 v[155:156], v[193:194], v[155:156]
	v_fma_f64 v[213:214], v[193:194], v[153:154], -v[213:214]
	v_fma_f64 v[155:156], v[195:196], v[153:154], v[155:156]
	s_waitcnt lgkmcnt(0)
	v_mul_f64 v[153:154], v[217:218], v[155:156]
	v_fma_f64 v[153:154], v[215:216], v[213:214], -v[153:154]
	v_mul_f64 v[215:216], v[215:216], v[155:156]
	v_add_f64 v[149:150], v[149:150], -v[153:154]
	v_fma_f64 v[215:216], v[217:218], v[213:214], v[215:216]
	v_add_f64 v[151:152], v[151:152], -v[215:216]
	ds_read2_b64 v[215:218], v253 offset0:46 offset1:47
	s_waitcnt lgkmcnt(0)
	v_mul_f64 v[153:154], v[217:218], v[155:156]
	v_fma_f64 v[153:154], v[215:216], v[213:214], -v[153:154]
	v_mul_f64 v[215:216], v[215:216], v[155:156]
	v_add_f64 v[145:146], v[145:146], -v[153:154]
	v_fma_f64 v[215:216], v[217:218], v[213:214], v[215:216]
	v_add_f64 v[147:148], v[147:148], -v[215:216]
	ds_read2_b64 v[215:218], v253 offset0:48 offset1:49
	;; [unrolled: 8-line block ×37, first 2 shown]
	s_waitcnt lgkmcnt(0)
	v_mul_f64 v[153:154], v[217:218], v[155:156]
	v_fma_f64 v[153:154], v[215:216], v[213:214], -v[153:154]
	v_mul_f64 v[215:216], v[215:216], v[155:156]
	v_add_f64 v[1:2], v[1:2], -v[153:154]
	v_fma_f64 v[215:216], v[217:218], v[213:214], v[215:216]
	v_mov_b32_e32 v153, v213
	v_mov_b32_e32 v154, v214
	v_add_f64 v[3:4], v[3:4], -v[215:216]
.LBB119_199:
	s_or_b32 exec_lo, exec_lo, s1
	s_mov_b32 s2, exec_lo
	s_waitcnt_vscnt null, 0x0
	s_barrier
	buffer_gl0_inv
	v_cmpx_eq_u32_e32 22, v0
	s_cbranch_execz .LBB119_206
; %bb.200:
	ds_write2_b64 v255, v[149:150], v[151:152] offset1:1
	ds_write2_b64 v253, v[145:146], v[147:148] offset0:46 offset1:47
	ds_write2_b64 v253, v[141:142], v[143:144] offset0:48 offset1:49
	;; [unrolled: 1-line block ×37, first 2 shown]
	ds_read2_b64 v[213:216], v255 offset1:1
	s_waitcnt lgkmcnt(0)
	v_cmp_neq_f64_e32 vcc_lo, 0, v[213:214]
	v_cmp_neq_f64_e64 s1, 0, v[215:216]
	s_or_b32 s1, vcc_lo, s1
	s_and_b32 exec_lo, exec_lo, s1
	s_cbranch_execz .LBB119_206
; %bb.201:
	v_cmp_ngt_f64_e64 s1, |v[213:214]|, |v[215:216]|
                                        ; implicit-def: $vgpr217_vgpr218
	s_and_saveexec_b32 s3, s1
	s_xor_b32 s1, exec_lo, s3
                                        ; implicit-def: $vgpr219_vgpr220
	s_cbranch_execz .LBB119_203
; %bb.202:
	v_div_scale_f64 v[217:218], null, v[215:216], v[215:216], v[213:214]
	v_div_scale_f64 v[223:224], vcc_lo, v[213:214], v[215:216], v[213:214]
	v_rcp_f64_e32 v[219:220], v[217:218]
	v_fma_f64 v[221:222], -v[217:218], v[219:220], 1.0
	v_fma_f64 v[219:220], v[219:220], v[221:222], v[219:220]
	v_fma_f64 v[221:222], -v[217:218], v[219:220], 1.0
	v_fma_f64 v[219:220], v[219:220], v[221:222], v[219:220]
	v_mul_f64 v[221:222], v[223:224], v[219:220]
	v_fma_f64 v[217:218], -v[217:218], v[221:222], v[223:224]
	v_div_fmas_f64 v[217:218], v[217:218], v[219:220], v[221:222]
	v_div_fixup_f64 v[217:218], v[217:218], v[215:216], v[213:214]
	v_fma_f64 v[213:214], v[213:214], v[217:218], v[215:216]
	v_div_scale_f64 v[215:216], null, v[213:214], v[213:214], 1.0
	v_rcp_f64_e32 v[219:220], v[215:216]
	v_fma_f64 v[221:222], -v[215:216], v[219:220], 1.0
	v_fma_f64 v[219:220], v[219:220], v[221:222], v[219:220]
	v_fma_f64 v[221:222], -v[215:216], v[219:220], 1.0
	v_fma_f64 v[219:220], v[219:220], v[221:222], v[219:220]
	v_div_scale_f64 v[221:222], vcc_lo, 1.0, v[213:214], 1.0
	v_mul_f64 v[223:224], v[221:222], v[219:220]
	v_fma_f64 v[215:216], -v[215:216], v[223:224], v[221:222]
	v_div_fmas_f64 v[215:216], v[215:216], v[219:220], v[223:224]
	v_div_fixup_f64 v[219:220], v[215:216], v[213:214], 1.0
                                        ; implicit-def: $vgpr213_vgpr214
	v_mul_f64 v[217:218], v[217:218], v[219:220]
	v_xor_b32_e32 v220, 0x80000000, v220
.LBB119_203:
	s_andn2_saveexec_b32 s1, s1
	s_cbranch_execz .LBB119_205
; %bb.204:
	v_div_scale_f64 v[217:218], null, v[213:214], v[213:214], v[215:216]
	v_div_scale_f64 v[223:224], vcc_lo, v[215:216], v[213:214], v[215:216]
	v_rcp_f64_e32 v[219:220], v[217:218]
	v_fma_f64 v[221:222], -v[217:218], v[219:220], 1.0
	v_fma_f64 v[219:220], v[219:220], v[221:222], v[219:220]
	v_fma_f64 v[221:222], -v[217:218], v[219:220], 1.0
	v_fma_f64 v[219:220], v[219:220], v[221:222], v[219:220]
	v_mul_f64 v[221:222], v[223:224], v[219:220]
	v_fma_f64 v[217:218], -v[217:218], v[221:222], v[223:224]
	v_div_fmas_f64 v[217:218], v[217:218], v[219:220], v[221:222]
	v_div_fixup_f64 v[219:220], v[217:218], v[213:214], v[215:216]
	v_fma_f64 v[213:214], v[215:216], v[219:220], v[213:214]
	v_div_scale_f64 v[215:216], null, v[213:214], v[213:214], 1.0
	v_rcp_f64_e32 v[217:218], v[215:216]
	v_fma_f64 v[221:222], -v[215:216], v[217:218], 1.0
	v_fma_f64 v[217:218], v[217:218], v[221:222], v[217:218]
	v_fma_f64 v[221:222], -v[215:216], v[217:218], 1.0
	v_fma_f64 v[217:218], v[217:218], v[221:222], v[217:218]
	v_div_scale_f64 v[221:222], vcc_lo, 1.0, v[213:214], 1.0
	v_mul_f64 v[223:224], v[221:222], v[217:218]
	v_fma_f64 v[215:216], -v[215:216], v[223:224], v[221:222]
	v_div_fmas_f64 v[215:216], v[215:216], v[217:218], v[223:224]
	v_div_fixup_f64 v[217:218], v[215:216], v[213:214], 1.0
	v_mul_f64 v[219:220], v[219:220], -v[217:218]
.LBB119_205:
	s_or_b32 exec_lo, exec_lo, s1
	ds_write2_b64 v255, v[217:218], v[219:220] offset1:1
.LBB119_206:
	s_or_b32 exec_lo, exec_lo, s2
	s_waitcnt lgkmcnt(0)
	s_barrier
	buffer_gl0_inv
	ds_read2_b64 v[193:196], v255 offset1:1
	s_mov_b32 s1, exec_lo
	s_waitcnt lgkmcnt(0)
	buffer_store_dword v193, off, s[16:19], 0 offset:928 ; 4-byte Folded Spill
	buffer_store_dword v194, off, s[16:19], 0 offset:932 ; 4-byte Folded Spill
	;; [unrolled: 1-line block ×4, first 2 shown]
	v_cmpx_lt_u32_e32 22, v0
	s_cbranch_execz .LBB119_208
; %bb.207:
	s_clause 0x3
	buffer_load_dword v193, off, s[16:19], 0 offset:928
	buffer_load_dword v194, off, s[16:19], 0 offset:932
	;; [unrolled: 1-line block ×4, first 2 shown]
	ds_read2_b64 v[215:218], v253 offset0:46 offset1:47
	s_waitcnt vmcnt(0)
	v_mul_f64 v[213:214], v[195:196], v[151:152]
	v_mul_f64 v[151:152], v[193:194], v[151:152]
	v_fma_f64 v[213:214], v[193:194], v[149:150], -v[213:214]
	v_fma_f64 v[151:152], v[195:196], v[149:150], v[151:152]
	s_waitcnt lgkmcnt(0)
	v_mul_f64 v[149:150], v[217:218], v[151:152]
	v_fma_f64 v[149:150], v[215:216], v[213:214], -v[149:150]
	v_mul_f64 v[215:216], v[215:216], v[151:152]
	v_add_f64 v[145:146], v[145:146], -v[149:150]
	v_fma_f64 v[215:216], v[217:218], v[213:214], v[215:216]
	v_add_f64 v[147:148], v[147:148], -v[215:216]
	ds_read2_b64 v[215:218], v253 offset0:48 offset1:49
	s_waitcnt lgkmcnt(0)
	v_mul_f64 v[149:150], v[217:218], v[151:152]
	v_fma_f64 v[149:150], v[215:216], v[213:214], -v[149:150]
	v_mul_f64 v[215:216], v[215:216], v[151:152]
	v_add_f64 v[141:142], v[141:142], -v[149:150]
	v_fma_f64 v[215:216], v[217:218], v[213:214], v[215:216]
	v_add_f64 v[143:144], v[143:144], -v[215:216]
	ds_read2_b64 v[215:218], v253 offset0:50 offset1:51
	;; [unrolled: 8-line block ×36, first 2 shown]
	s_waitcnt lgkmcnt(0)
	v_mul_f64 v[149:150], v[217:218], v[151:152]
	v_fma_f64 v[149:150], v[215:216], v[213:214], -v[149:150]
	v_mul_f64 v[215:216], v[215:216], v[151:152]
	v_add_f64 v[1:2], v[1:2], -v[149:150]
	v_fma_f64 v[215:216], v[217:218], v[213:214], v[215:216]
	v_mov_b32_e32 v149, v213
	v_mov_b32_e32 v150, v214
	v_add_f64 v[3:4], v[3:4], -v[215:216]
.LBB119_208:
	s_or_b32 exec_lo, exec_lo, s1
	s_mov_b32 s2, exec_lo
	s_waitcnt_vscnt null, 0x0
	s_barrier
	buffer_gl0_inv
	v_cmpx_eq_u32_e32 23, v0
	s_cbranch_execz .LBB119_215
; %bb.209:
	ds_write2_b64 v255, v[145:146], v[147:148] offset1:1
	ds_write2_b64 v253, v[141:142], v[143:144] offset0:48 offset1:49
	ds_write2_b64 v253, v[137:138], v[139:140] offset0:50 offset1:51
	;; [unrolled: 1-line block ×36, first 2 shown]
	ds_read2_b64 v[213:216], v255 offset1:1
	s_waitcnt lgkmcnt(0)
	v_cmp_neq_f64_e32 vcc_lo, 0, v[213:214]
	v_cmp_neq_f64_e64 s1, 0, v[215:216]
	s_or_b32 s1, vcc_lo, s1
	s_and_b32 exec_lo, exec_lo, s1
	s_cbranch_execz .LBB119_215
; %bb.210:
	v_cmp_ngt_f64_e64 s1, |v[213:214]|, |v[215:216]|
                                        ; implicit-def: $vgpr217_vgpr218
	s_and_saveexec_b32 s3, s1
	s_xor_b32 s1, exec_lo, s3
                                        ; implicit-def: $vgpr219_vgpr220
	s_cbranch_execz .LBB119_212
; %bb.211:
	v_div_scale_f64 v[217:218], null, v[215:216], v[215:216], v[213:214]
	v_div_scale_f64 v[223:224], vcc_lo, v[213:214], v[215:216], v[213:214]
	v_rcp_f64_e32 v[219:220], v[217:218]
	v_fma_f64 v[221:222], -v[217:218], v[219:220], 1.0
	v_fma_f64 v[219:220], v[219:220], v[221:222], v[219:220]
	v_fma_f64 v[221:222], -v[217:218], v[219:220], 1.0
	v_fma_f64 v[219:220], v[219:220], v[221:222], v[219:220]
	v_mul_f64 v[221:222], v[223:224], v[219:220]
	v_fma_f64 v[217:218], -v[217:218], v[221:222], v[223:224]
	v_div_fmas_f64 v[217:218], v[217:218], v[219:220], v[221:222]
	v_div_fixup_f64 v[217:218], v[217:218], v[215:216], v[213:214]
	v_fma_f64 v[213:214], v[213:214], v[217:218], v[215:216]
	v_div_scale_f64 v[215:216], null, v[213:214], v[213:214], 1.0
	v_rcp_f64_e32 v[219:220], v[215:216]
	v_fma_f64 v[221:222], -v[215:216], v[219:220], 1.0
	v_fma_f64 v[219:220], v[219:220], v[221:222], v[219:220]
	v_fma_f64 v[221:222], -v[215:216], v[219:220], 1.0
	v_fma_f64 v[219:220], v[219:220], v[221:222], v[219:220]
	v_div_scale_f64 v[221:222], vcc_lo, 1.0, v[213:214], 1.0
	v_mul_f64 v[223:224], v[221:222], v[219:220]
	v_fma_f64 v[215:216], -v[215:216], v[223:224], v[221:222]
	v_div_fmas_f64 v[215:216], v[215:216], v[219:220], v[223:224]
	v_div_fixup_f64 v[219:220], v[215:216], v[213:214], 1.0
                                        ; implicit-def: $vgpr213_vgpr214
	v_mul_f64 v[217:218], v[217:218], v[219:220]
	v_xor_b32_e32 v220, 0x80000000, v220
.LBB119_212:
	s_andn2_saveexec_b32 s1, s1
	s_cbranch_execz .LBB119_214
; %bb.213:
	v_div_scale_f64 v[217:218], null, v[213:214], v[213:214], v[215:216]
	v_div_scale_f64 v[223:224], vcc_lo, v[215:216], v[213:214], v[215:216]
	v_rcp_f64_e32 v[219:220], v[217:218]
	v_fma_f64 v[221:222], -v[217:218], v[219:220], 1.0
	v_fma_f64 v[219:220], v[219:220], v[221:222], v[219:220]
	v_fma_f64 v[221:222], -v[217:218], v[219:220], 1.0
	v_fma_f64 v[219:220], v[219:220], v[221:222], v[219:220]
	v_mul_f64 v[221:222], v[223:224], v[219:220]
	v_fma_f64 v[217:218], -v[217:218], v[221:222], v[223:224]
	v_div_fmas_f64 v[217:218], v[217:218], v[219:220], v[221:222]
	v_div_fixup_f64 v[219:220], v[217:218], v[213:214], v[215:216]
	v_fma_f64 v[213:214], v[215:216], v[219:220], v[213:214]
	v_div_scale_f64 v[215:216], null, v[213:214], v[213:214], 1.0
	v_rcp_f64_e32 v[217:218], v[215:216]
	v_fma_f64 v[221:222], -v[215:216], v[217:218], 1.0
	v_fma_f64 v[217:218], v[217:218], v[221:222], v[217:218]
	v_fma_f64 v[221:222], -v[215:216], v[217:218], 1.0
	v_fma_f64 v[217:218], v[217:218], v[221:222], v[217:218]
	v_div_scale_f64 v[221:222], vcc_lo, 1.0, v[213:214], 1.0
	v_mul_f64 v[223:224], v[221:222], v[217:218]
	v_fma_f64 v[215:216], -v[215:216], v[223:224], v[221:222]
	v_div_fmas_f64 v[215:216], v[215:216], v[217:218], v[223:224]
	v_div_fixup_f64 v[217:218], v[215:216], v[213:214], 1.0
	v_mul_f64 v[219:220], v[219:220], -v[217:218]
.LBB119_214:
	s_or_b32 exec_lo, exec_lo, s1
	ds_write2_b64 v255, v[217:218], v[219:220] offset1:1
.LBB119_215:
	s_or_b32 exec_lo, exec_lo, s2
	s_waitcnt lgkmcnt(0)
	s_barrier
	buffer_gl0_inv
	ds_read2_b64 v[193:196], v255 offset1:1
	s_mov_b32 s1, exec_lo
	s_waitcnt lgkmcnt(0)
	buffer_store_dword v193, off, s[16:19], 0 offset:944 ; 4-byte Folded Spill
	buffer_store_dword v194, off, s[16:19], 0 offset:948 ; 4-byte Folded Spill
	;; [unrolled: 1-line block ×4, first 2 shown]
	v_cmpx_lt_u32_e32 23, v0
	s_cbranch_execz .LBB119_217
; %bb.216:
	s_clause 0x3
	buffer_load_dword v193, off, s[16:19], 0 offset:944
	buffer_load_dword v194, off, s[16:19], 0 offset:948
	;; [unrolled: 1-line block ×4, first 2 shown]
	ds_read2_b64 v[215:218], v253 offset0:48 offset1:49
	s_waitcnt vmcnt(0)
	v_mul_f64 v[213:214], v[195:196], v[147:148]
	v_mul_f64 v[147:148], v[193:194], v[147:148]
	v_fma_f64 v[213:214], v[193:194], v[145:146], -v[213:214]
	v_fma_f64 v[147:148], v[195:196], v[145:146], v[147:148]
	s_waitcnt lgkmcnt(0)
	v_mul_f64 v[145:146], v[217:218], v[147:148]
	v_fma_f64 v[145:146], v[215:216], v[213:214], -v[145:146]
	v_mul_f64 v[215:216], v[215:216], v[147:148]
	v_add_f64 v[141:142], v[141:142], -v[145:146]
	v_fma_f64 v[215:216], v[217:218], v[213:214], v[215:216]
	v_add_f64 v[143:144], v[143:144], -v[215:216]
	ds_read2_b64 v[215:218], v253 offset0:50 offset1:51
	s_waitcnt lgkmcnt(0)
	v_mul_f64 v[145:146], v[217:218], v[147:148]
	v_fma_f64 v[145:146], v[215:216], v[213:214], -v[145:146]
	v_mul_f64 v[215:216], v[215:216], v[147:148]
	v_add_f64 v[137:138], v[137:138], -v[145:146]
	v_fma_f64 v[215:216], v[217:218], v[213:214], v[215:216]
	v_add_f64 v[139:140], v[139:140], -v[215:216]
	ds_read2_b64 v[215:218], v253 offset0:52 offset1:53
	;; [unrolled: 8-line block ×35, first 2 shown]
	s_waitcnt lgkmcnt(0)
	v_mul_f64 v[145:146], v[217:218], v[147:148]
	v_fma_f64 v[145:146], v[215:216], v[213:214], -v[145:146]
	v_mul_f64 v[215:216], v[215:216], v[147:148]
	v_add_f64 v[1:2], v[1:2], -v[145:146]
	v_fma_f64 v[215:216], v[217:218], v[213:214], v[215:216]
	v_mov_b32_e32 v145, v213
	v_mov_b32_e32 v146, v214
	v_add_f64 v[3:4], v[3:4], -v[215:216]
.LBB119_217:
	s_or_b32 exec_lo, exec_lo, s1
	s_mov_b32 s2, exec_lo
	s_waitcnt_vscnt null, 0x0
	s_barrier
	buffer_gl0_inv
	v_cmpx_eq_u32_e32 24, v0
	s_cbranch_execz .LBB119_224
; %bb.218:
	ds_write2_b64 v255, v[141:142], v[143:144] offset1:1
	ds_write2_b64 v253, v[137:138], v[139:140] offset0:50 offset1:51
	ds_write2_b64 v253, v[133:134], v[135:136] offset0:52 offset1:53
	;; [unrolled: 1-line block ×35, first 2 shown]
	ds_read2_b64 v[213:216], v255 offset1:1
	s_waitcnt lgkmcnt(0)
	v_cmp_neq_f64_e32 vcc_lo, 0, v[213:214]
	v_cmp_neq_f64_e64 s1, 0, v[215:216]
	s_or_b32 s1, vcc_lo, s1
	s_and_b32 exec_lo, exec_lo, s1
	s_cbranch_execz .LBB119_224
; %bb.219:
	v_cmp_ngt_f64_e64 s1, |v[213:214]|, |v[215:216]|
                                        ; implicit-def: $vgpr217_vgpr218
	s_and_saveexec_b32 s3, s1
	s_xor_b32 s1, exec_lo, s3
                                        ; implicit-def: $vgpr219_vgpr220
	s_cbranch_execz .LBB119_221
; %bb.220:
	v_div_scale_f64 v[217:218], null, v[215:216], v[215:216], v[213:214]
	v_div_scale_f64 v[223:224], vcc_lo, v[213:214], v[215:216], v[213:214]
	v_rcp_f64_e32 v[219:220], v[217:218]
	v_fma_f64 v[221:222], -v[217:218], v[219:220], 1.0
	v_fma_f64 v[219:220], v[219:220], v[221:222], v[219:220]
	v_fma_f64 v[221:222], -v[217:218], v[219:220], 1.0
	v_fma_f64 v[219:220], v[219:220], v[221:222], v[219:220]
	v_mul_f64 v[221:222], v[223:224], v[219:220]
	v_fma_f64 v[217:218], -v[217:218], v[221:222], v[223:224]
	v_div_fmas_f64 v[217:218], v[217:218], v[219:220], v[221:222]
	v_div_fixup_f64 v[217:218], v[217:218], v[215:216], v[213:214]
	v_fma_f64 v[213:214], v[213:214], v[217:218], v[215:216]
	v_div_scale_f64 v[215:216], null, v[213:214], v[213:214], 1.0
	v_rcp_f64_e32 v[219:220], v[215:216]
	v_fma_f64 v[221:222], -v[215:216], v[219:220], 1.0
	v_fma_f64 v[219:220], v[219:220], v[221:222], v[219:220]
	v_fma_f64 v[221:222], -v[215:216], v[219:220], 1.0
	v_fma_f64 v[219:220], v[219:220], v[221:222], v[219:220]
	v_div_scale_f64 v[221:222], vcc_lo, 1.0, v[213:214], 1.0
	v_mul_f64 v[223:224], v[221:222], v[219:220]
	v_fma_f64 v[215:216], -v[215:216], v[223:224], v[221:222]
	v_div_fmas_f64 v[215:216], v[215:216], v[219:220], v[223:224]
	v_div_fixup_f64 v[219:220], v[215:216], v[213:214], 1.0
                                        ; implicit-def: $vgpr213_vgpr214
	v_mul_f64 v[217:218], v[217:218], v[219:220]
	v_xor_b32_e32 v220, 0x80000000, v220
.LBB119_221:
	s_andn2_saveexec_b32 s1, s1
	s_cbranch_execz .LBB119_223
; %bb.222:
	v_div_scale_f64 v[217:218], null, v[213:214], v[213:214], v[215:216]
	v_div_scale_f64 v[223:224], vcc_lo, v[215:216], v[213:214], v[215:216]
	v_rcp_f64_e32 v[219:220], v[217:218]
	v_fma_f64 v[221:222], -v[217:218], v[219:220], 1.0
	v_fma_f64 v[219:220], v[219:220], v[221:222], v[219:220]
	v_fma_f64 v[221:222], -v[217:218], v[219:220], 1.0
	v_fma_f64 v[219:220], v[219:220], v[221:222], v[219:220]
	v_mul_f64 v[221:222], v[223:224], v[219:220]
	v_fma_f64 v[217:218], -v[217:218], v[221:222], v[223:224]
	v_div_fmas_f64 v[217:218], v[217:218], v[219:220], v[221:222]
	v_div_fixup_f64 v[219:220], v[217:218], v[213:214], v[215:216]
	v_fma_f64 v[213:214], v[215:216], v[219:220], v[213:214]
	v_div_scale_f64 v[215:216], null, v[213:214], v[213:214], 1.0
	v_rcp_f64_e32 v[217:218], v[215:216]
	v_fma_f64 v[221:222], -v[215:216], v[217:218], 1.0
	v_fma_f64 v[217:218], v[217:218], v[221:222], v[217:218]
	v_fma_f64 v[221:222], -v[215:216], v[217:218], 1.0
	v_fma_f64 v[217:218], v[217:218], v[221:222], v[217:218]
	v_div_scale_f64 v[221:222], vcc_lo, 1.0, v[213:214], 1.0
	v_mul_f64 v[223:224], v[221:222], v[217:218]
	v_fma_f64 v[215:216], -v[215:216], v[223:224], v[221:222]
	v_div_fmas_f64 v[215:216], v[215:216], v[217:218], v[223:224]
	v_div_fixup_f64 v[217:218], v[215:216], v[213:214], 1.0
	v_mul_f64 v[219:220], v[219:220], -v[217:218]
.LBB119_223:
	s_or_b32 exec_lo, exec_lo, s1
	ds_write2_b64 v255, v[217:218], v[219:220] offset1:1
.LBB119_224:
	s_or_b32 exec_lo, exec_lo, s2
	s_waitcnt lgkmcnt(0)
	s_barrier
	buffer_gl0_inv
	ds_read2_b64 v[193:196], v255 offset1:1
	s_mov_b32 s1, exec_lo
	s_waitcnt lgkmcnt(0)
	buffer_store_dword v193, off, s[16:19], 0 offset:960 ; 4-byte Folded Spill
	buffer_store_dword v194, off, s[16:19], 0 offset:964 ; 4-byte Folded Spill
	;; [unrolled: 1-line block ×4, first 2 shown]
	v_cmpx_lt_u32_e32 24, v0
	s_cbranch_execz .LBB119_226
; %bb.225:
	s_clause 0x3
	buffer_load_dword v193, off, s[16:19], 0 offset:960
	buffer_load_dword v194, off, s[16:19], 0 offset:964
	;; [unrolled: 1-line block ×4, first 2 shown]
	ds_read2_b64 v[215:218], v253 offset0:50 offset1:51
	s_waitcnt vmcnt(0)
	v_mul_f64 v[213:214], v[195:196], v[143:144]
	v_mul_f64 v[143:144], v[193:194], v[143:144]
	v_fma_f64 v[213:214], v[193:194], v[141:142], -v[213:214]
	v_fma_f64 v[143:144], v[195:196], v[141:142], v[143:144]
	s_waitcnt lgkmcnt(0)
	v_mul_f64 v[141:142], v[217:218], v[143:144]
	v_fma_f64 v[141:142], v[215:216], v[213:214], -v[141:142]
	v_mul_f64 v[215:216], v[215:216], v[143:144]
	v_add_f64 v[137:138], v[137:138], -v[141:142]
	v_fma_f64 v[215:216], v[217:218], v[213:214], v[215:216]
	v_add_f64 v[139:140], v[139:140], -v[215:216]
	ds_read2_b64 v[215:218], v253 offset0:52 offset1:53
	s_waitcnt lgkmcnt(0)
	v_mul_f64 v[141:142], v[217:218], v[143:144]
	v_fma_f64 v[141:142], v[215:216], v[213:214], -v[141:142]
	v_mul_f64 v[215:216], v[215:216], v[143:144]
	v_add_f64 v[133:134], v[133:134], -v[141:142]
	v_fma_f64 v[215:216], v[217:218], v[213:214], v[215:216]
	v_add_f64 v[135:136], v[135:136], -v[215:216]
	ds_read2_b64 v[215:218], v253 offset0:54 offset1:55
	;; [unrolled: 8-line block ×34, first 2 shown]
	s_waitcnt lgkmcnt(0)
	v_mul_f64 v[141:142], v[217:218], v[143:144]
	v_fma_f64 v[141:142], v[215:216], v[213:214], -v[141:142]
	v_mul_f64 v[215:216], v[215:216], v[143:144]
	v_add_f64 v[1:2], v[1:2], -v[141:142]
	v_fma_f64 v[215:216], v[217:218], v[213:214], v[215:216]
	v_mov_b32_e32 v141, v213
	v_mov_b32_e32 v142, v214
	v_add_f64 v[3:4], v[3:4], -v[215:216]
.LBB119_226:
	s_or_b32 exec_lo, exec_lo, s1
	s_mov_b32 s2, exec_lo
	s_waitcnt_vscnt null, 0x0
	s_barrier
	buffer_gl0_inv
	v_cmpx_eq_u32_e32 25, v0
	s_cbranch_execz .LBB119_233
; %bb.227:
	ds_write2_b64 v255, v[137:138], v[139:140] offset1:1
	ds_write2_b64 v253, v[133:134], v[135:136] offset0:52 offset1:53
	ds_write2_b64 v253, v[129:130], v[131:132] offset0:54 offset1:55
	ds_write2_b64 v253, v[125:126], v[127:128] offset0:56 offset1:57
	ds_write2_b64 v253, v[121:122], v[123:124] offset0:58 offset1:59
	ds_write2_b64 v253, v[117:118], v[119:120] offset0:60 offset1:61
	ds_write2_b64 v253, v[113:114], v[115:116] offset0:62 offset1:63
	ds_write2_b64 v253, v[109:110], v[111:112] offset0:64 offset1:65
	ds_write2_b64 v253, v[105:106], v[107:108] offset0:66 offset1:67
	ds_write2_b64 v253, v[101:102], v[103:104] offset0:68 offset1:69
	ds_write2_b64 v253, v[97:98], v[99:100] offset0:70 offset1:71
	ds_write2_b64 v253, v[93:94], v[95:96] offset0:72 offset1:73
	ds_write2_b64 v253, v[89:90], v[91:92] offset0:74 offset1:75
	ds_write2_b64 v253, v[85:86], v[87:88] offset0:76 offset1:77
	ds_write2_b64 v253, v[81:82], v[83:84] offset0:78 offset1:79
	ds_write2_b64 v253, v[77:78], v[79:80] offset0:80 offset1:81
	ds_write2_b64 v253, v[73:74], v[75:76] offset0:82 offset1:83
	ds_write2_b64 v253, v[69:70], v[71:72] offset0:84 offset1:85
	ds_write2_b64 v253, v[65:66], v[67:68] offset0:86 offset1:87
	ds_write2_b64 v253, v[61:62], v[63:64] offset0:88 offset1:89
	ds_write2_b64 v253, v[57:58], v[59:60] offset0:90 offset1:91
	ds_write2_b64 v253, v[53:54], v[55:56] offset0:92 offset1:93
	ds_write2_b64 v253, v[49:50], v[51:52] offset0:94 offset1:95
	ds_write2_b64 v253, v[45:46], v[47:48] offset0:96 offset1:97
	ds_write2_b64 v253, v[41:42], v[43:44] offset0:98 offset1:99
	ds_write2_b64 v253, v[37:38], v[39:40] offset0:100 offset1:101
	ds_write2_b64 v253, v[33:34], v[35:36] offset0:102 offset1:103
	ds_write2_b64 v253, v[29:30], v[31:32] offset0:104 offset1:105
	ds_write2_b64 v253, v[25:26], v[27:28] offset0:106 offset1:107
	ds_write2_b64 v253, v[21:22], v[23:24] offset0:108 offset1:109
	ds_write2_b64 v253, v[17:18], v[19:20] offset0:110 offset1:111
	ds_write2_b64 v253, v[13:14], v[15:16] offset0:112 offset1:113
	ds_write2_b64 v253, v[9:10], v[11:12] offset0:114 offset1:115
	ds_write2_b64 v253, v[5:6], v[7:8] offset0:116 offset1:117
	ds_write2_b64 v253, v[1:2], v[3:4] offset0:118 offset1:119
	ds_read2_b64 v[213:216], v255 offset1:1
	s_waitcnt lgkmcnt(0)
	v_cmp_neq_f64_e32 vcc_lo, 0, v[213:214]
	v_cmp_neq_f64_e64 s1, 0, v[215:216]
	s_or_b32 s1, vcc_lo, s1
	s_and_b32 exec_lo, exec_lo, s1
	s_cbranch_execz .LBB119_233
; %bb.228:
	v_cmp_ngt_f64_e64 s1, |v[213:214]|, |v[215:216]|
                                        ; implicit-def: $vgpr217_vgpr218
	s_and_saveexec_b32 s3, s1
	s_xor_b32 s1, exec_lo, s3
                                        ; implicit-def: $vgpr219_vgpr220
	s_cbranch_execz .LBB119_230
; %bb.229:
	v_div_scale_f64 v[217:218], null, v[215:216], v[215:216], v[213:214]
	v_div_scale_f64 v[223:224], vcc_lo, v[213:214], v[215:216], v[213:214]
	v_rcp_f64_e32 v[219:220], v[217:218]
	v_fma_f64 v[221:222], -v[217:218], v[219:220], 1.0
	v_fma_f64 v[219:220], v[219:220], v[221:222], v[219:220]
	v_fma_f64 v[221:222], -v[217:218], v[219:220], 1.0
	v_fma_f64 v[219:220], v[219:220], v[221:222], v[219:220]
	v_mul_f64 v[221:222], v[223:224], v[219:220]
	v_fma_f64 v[217:218], -v[217:218], v[221:222], v[223:224]
	v_div_fmas_f64 v[217:218], v[217:218], v[219:220], v[221:222]
	v_div_fixup_f64 v[217:218], v[217:218], v[215:216], v[213:214]
	v_fma_f64 v[213:214], v[213:214], v[217:218], v[215:216]
	v_div_scale_f64 v[215:216], null, v[213:214], v[213:214], 1.0
	v_rcp_f64_e32 v[219:220], v[215:216]
	v_fma_f64 v[221:222], -v[215:216], v[219:220], 1.0
	v_fma_f64 v[219:220], v[219:220], v[221:222], v[219:220]
	v_fma_f64 v[221:222], -v[215:216], v[219:220], 1.0
	v_fma_f64 v[219:220], v[219:220], v[221:222], v[219:220]
	v_div_scale_f64 v[221:222], vcc_lo, 1.0, v[213:214], 1.0
	v_mul_f64 v[223:224], v[221:222], v[219:220]
	v_fma_f64 v[215:216], -v[215:216], v[223:224], v[221:222]
	v_div_fmas_f64 v[215:216], v[215:216], v[219:220], v[223:224]
	v_div_fixup_f64 v[219:220], v[215:216], v[213:214], 1.0
                                        ; implicit-def: $vgpr213_vgpr214
	v_mul_f64 v[217:218], v[217:218], v[219:220]
	v_xor_b32_e32 v220, 0x80000000, v220
.LBB119_230:
	s_andn2_saveexec_b32 s1, s1
	s_cbranch_execz .LBB119_232
; %bb.231:
	v_div_scale_f64 v[217:218], null, v[213:214], v[213:214], v[215:216]
	v_div_scale_f64 v[223:224], vcc_lo, v[215:216], v[213:214], v[215:216]
	v_rcp_f64_e32 v[219:220], v[217:218]
	v_fma_f64 v[221:222], -v[217:218], v[219:220], 1.0
	v_fma_f64 v[219:220], v[219:220], v[221:222], v[219:220]
	v_fma_f64 v[221:222], -v[217:218], v[219:220], 1.0
	v_fma_f64 v[219:220], v[219:220], v[221:222], v[219:220]
	v_mul_f64 v[221:222], v[223:224], v[219:220]
	v_fma_f64 v[217:218], -v[217:218], v[221:222], v[223:224]
	v_div_fmas_f64 v[217:218], v[217:218], v[219:220], v[221:222]
	v_div_fixup_f64 v[219:220], v[217:218], v[213:214], v[215:216]
	v_fma_f64 v[213:214], v[215:216], v[219:220], v[213:214]
	v_div_scale_f64 v[215:216], null, v[213:214], v[213:214], 1.0
	v_rcp_f64_e32 v[217:218], v[215:216]
	v_fma_f64 v[221:222], -v[215:216], v[217:218], 1.0
	v_fma_f64 v[217:218], v[217:218], v[221:222], v[217:218]
	v_fma_f64 v[221:222], -v[215:216], v[217:218], 1.0
	v_fma_f64 v[217:218], v[217:218], v[221:222], v[217:218]
	v_div_scale_f64 v[221:222], vcc_lo, 1.0, v[213:214], 1.0
	v_mul_f64 v[223:224], v[221:222], v[217:218]
	v_fma_f64 v[215:216], -v[215:216], v[223:224], v[221:222]
	v_div_fmas_f64 v[215:216], v[215:216], v[217:218], v[223:224]
	v_div_fixup_f64 v[217:218], v[215:216], v[213:214], 1.0
	v_mul_f64 v[219:220], v[219:220], -v[217:218]
.LBB119_232:
	s_or_b32 exec_lo, exec_lo, s1
	ds_write2_b64 v255, v[217:218], v[219:220] offset1:1
.LBB119_233:
	s_or_b32 exec_lo, exec_lo, s2
	s_waitcnt lgkmcnt(0)
	s_barrier
	buffer_gl0_inv
	ds_read2_b64 v[193:196], v255 offset1:1
	s_mov_b32 s1, exec_lo
	s_waitcnt lgkmcnt(0)
	buffer_store_dword v193, off, s[16:19], 0 offset:976 ; 4-byte Folded Spill
	buffer_store_dword v194, off, s[16:19], 0 offset:980 ; 4-byte Folded Spill
	;; [unrolled: 1-line block ×4, first 2 shown]
	v_cmpx_lt_u32_e32 25, v0
	s_cbranch_execz .LBB119_235
; %bb.234:
	s_clause 0x3
	buffer_load_dword v193, off, s[16:19], 0 offset:976
	buffer_load_dword v194, off, s[16:19], 0 offset:980
	;; [unrolled: 1-line block ×4, first 2 shown]
	ds_read2_b64 v[215:218], v253 offset0:52 offset1:53
	s_waitcnt vmcnt(0)
	v_mul_f64 v[213:214], v[195:196], v[139:140]
	v_mul_f64 v[139:140], v[193:194], v[139:140]
	v_fma_f64 v[213:214], v[193:194], v[137:138], -v[213:214]
	v_fma_f64 v[139:140], v[195:196], v[137:138], v[139:140]
	s_waitcnt lgkmcnt(0)
	v_mul_f64 v[137:138], v[217:218], v[139:140]
	v_fma_f64 v[137:138], v[215:216], v[213:214], -v[137:138]
	v_mul_f64 v[215:216], v[215:216], v[139:140]
	v_add_f64 v[133:134], v[133:134], -v[137:138]
	v_fma_f64 v[215:216], v[217:218], v[213:214], v[215:216]
	v_add_f64 v[135:136], v[135:136], -v[215:216]
	ds_read2_b64 v[215:218], v253 offset0:54 offset1:55
	s_waitcnt lgkmcnt(0)
	v_mul_f64 v[137:138], v[217:218], v[139:140]
	v_fma_f64 v[137:138], v[215:216], v[213:214], -v[137:138]
	v_mul_f64 v[215:216], v[215:216], v[139:140]
	v_add_f64 v[129:130], v[129:130], -v[137:138]
	v_fma_f64 v[215:216], v[217:218], v[213:214], v[215:216]
	v_add_f64 v[131:132], v[131:132], -v[215:216]
	ds_read2_b64 v[215:218], v253 offset0:56 offset1:57
	;; [unrolled: 8-line block ×33, first 2 shown]
	s_waitcnt lgkmcnt(0)
	v_mul_f64 v[137:138], v[217:218], v[139:140]
	v_fma_f64 v[137:138], v[215:216], v[213:214], -v[137:138]
	v_mul_f64 v[215:216], v[215:216], v[139:140]
	v_add_f64 v[1:2], v[1:2], -v[137:138]
	v_fma_f64 v[215:216], v[217:218], v[213:214], v[215:216]
	v_mov_b32_e32 v137, v213
	v_mov_b32_e32 v138, v214
	v_add_f64 v[3:4], v[3:4], -v[215:216]
.LBB119_235:
	s_or_b32 exec_lo, exec_lo, s1
	s_mov_b32 s2, exec_lo
	s_waitcnt_vscnt null, 0x0
	s_barrier
	buffer_gl0_inv
	v_cmpx_eq_u32_e32 26, v0
	s_cbranch_execz .LBB119_242
; %bb.236:
	ds_write2_b64 v255, v[133:134], v[135:136] offset1:1
	ds_write2_b64 v253, v[129:130], v[131:132] offset0:54 offset1:55
	ds_write2_b64 v253, v[125:126], v[127:128] offset0:56 offset1:57
	;; [unrolled: 1-line block ×33, first 2 shown]
	ds_read2_b64 v[213:216], v255 offset1:1
	s_waitcnt lgkmcnt(0)
	v_cmp_neq_f64_e32 vcc_lo, 0, v[213:214]
	v_cmp_neq_f64_e64 s1, 0, v[215:216]
	s_or_b32 s1, vcc_lo, s1
	s_and_b32 exec_lo, exec_lo, s1
	s_cbranch_execz .LBB119_242
; %bb.237:
	v_cmp_ngt_f64_e64 s1, |v[213:214]|, |v[215:216]|
                                        ; implicit-def: $vgpr217_vgpr218
	s_and_saveexec_b32 s3, s1
	s_xor_b32 s1, exec_lo, s3
                                        ; implicit-def: $vgpr219_vgpr220
	s_cbranch_execz .LBB119_239
; %bb.238:
	v_div_scale_f64 v[217:218], null, v[215:216], v[215:216], v[213:214]
	v_div_scale_f64 v[223:224], vcc_lo, v[213:214], v[215:216], v[213:214]
	v_rcp_f64_e32 v[219:220], v[217:218]
	v_fma_f64 v[221:222], -v[217:218], v[219:220], 1.0
	v_fma_f64 v[219:220], v[219:220], v[221:222], v[219:220]
	v_fma_f64 v[221:222], -v[217:218], v[219:220], 1.0
	v_fma_f64 v[219:220], v[219:220], v[221:222], v[219:220]
	v_mul_f64 v[221:222], v[223:224], v[219:220]
	v_fma_f64 v[217:218], -v[217:218], v[221:222], v[223:224]
	v_div_fmas_f64 v[217:218], v[217:218], v[219:220], v[221:222]
	v_div_fixup_f64 v[217:218], v[217:218], v[215:216], v[213:214]
	v_fma_f64 v[213:214], v[213:214], v[217:218], v[215:216]
	v_div_scale_f64 v[215:216], null, v[213:214], v[213:214], 1.0
	v_rcp_f64_e32 v[219:220], v[215:216]
	v_fma_f64 v[221:222], -v[215:216], v[219:220], 1.0
	v_fma_f64 v[219:220], v[219:220], v[221:222], v[219:220]
	v_fma_f64 v[221:222], -v[215:216], v[219:220], 1.0
	v_fma_f64 v[219:220], v[219:220], v[221:222], v[219:220]
	v_div_scale_f64 v[221:222], vcc_lo, 1.0, v[213:214], 1.0
	v_mul_f64 v[223:224], v[221:222], v[219:220]
	v_fma_f64 v[215:216], -v[215:216], v[223:224], v[221:222]
	v_div_fmas_f64 v[215:216], v[215:216], v[219:220], v[223:224]
	v_div_fixup_f64 v[219:220], v[215:216], v[213:214], 1.0
                                        ; implicit-def: $vgpr213_vgpr214
	v_mul_f64 v[217:218], v[217:218], v[219:220]
	v_xor_b32_e32 v220, 0x80000000, v220
.LBB119_239:
	s_andn2_saveexec_b32 s1, s1
	s_cbranch_execz .LBB119_241
; %bb.240:
	v_div_scale_f64 v[217:218], null, v[213:214], v[213:214], v[215:216]
	v_div_scale_f64 v[223:224], vcc_lo, v[215:216], v[213:214], v[215:216]
	v_rcp_f64_e32 v[219:220], v[217:218]
	v_fma_f64 v[221:222], -v[217:218], v[219:220], 1.0
	v_fma_f64 v[219:220], v[219:220], v[221:222], v[219:220]
	v_fma_f64 v[221:222], -v[217:218], v[219:220], 1.0
	v_fma_f64 v[219:220], v[219:220], v[221:222], v[219:220]
	v_mul_f64 v[221:222], v[223:224], v[219:220]
	v_fma_f64 v[217:218], -v[217:218], v[221:222], v[223:224]
	v_div_fmas_f64 v[217:218], v[217:218], v[219:220], v[221:222]
	v_div_fixup_f64 v[219:220], v[217:218], v[213:214], v[215:216]
	v_fma_f64 v[213:214], v[215:216], v[219:220], v[213:214]
	v_div_scale_f64 v[215:216], null, v[213:214], v[213:214], 1.0
	v_rcp_f64_e32 v[217:218], v[215:216]
	v_fma_f64 v[221:222], -v[215:216], v[217:218], 1.0
	v_fma_f64 v[217:218], v[217:218], v[221:222], v[217:218]
	v_fma_f64 v[221:222], -v[215:216], v[217:218], 1.0
	v_fma_f64 v[217:218], v[217:218], v[221:222], v[217:218]
	v_div_scale_f64 v[221:222], vcc_lo, 1.0, v[213:214], 1.0
	v_mul_f64 v[223:224], v[221:222], v[217:218]
	v_fma_f64 v[215:216], -v[215:216], v[223:224], v[221:222]
	v_div_fmas_f64 v[215:216], v[215:216], v[217:218], v[223:224]
	v_div_fixup_f64 v[217:218], v[215:216], v[213:214], 1.0
	v_mul_f64 v[219:220], v[219:220], -v[217:218]
.LBB119_241:
	s_or_b32 exec_lo, exec_lo, s1
	ds_write2_b64 v255, v[217:218], v[219:220] offset1:1
.LBB119_242:
	s_or_b32 exec_lo, exec_lo, s2
	s_waitcnt lgkmcnt(0)
	s_barrier
	buffer_gl0_inv
	ds_read2_b64 v[193:196], v255 offset1:1
	s_mov_b32 s1, exec_lo
	s_waitcnt lgkmcnt(0)
	buffer_store_dword v193, off, s[16:19], 0 offset:992 ; 4-byte Folded Spill
	buffer_store_dword v194, off, s[16:19], 0 offset:996 ; 4-byte Folded Spill
	;; [unrolled: 1-line block ×4, first 2 shown]
	v_cmpx_lt_u32_e32 26, v0
	s_cbranch_execz .LBB119_244
; %bb.243:
	s_clause 0x3
	buffer_load_dword v193, off, s[16:19], 0 offset:992
	buffer_load_dword v194, off, s[16:19], 0 offset:996
	;; [unrolled: 1-line block ×4, first 2 shown]
	ds_read2_b64 v[215:218], v253 offset0:54 offset1:55
	s_waitcnt vmcnt(0)
	v_mul_f64 v[213:214], v[195:196], v[135:136]
	v_mul_f64 v[135:136], v[193:194], v[135:136]
	v_fma_f64 v[213:214], v[193:194], v[133:134], -v[213:214]
	v_fma_f64 v[135:136], v[195:196], v[133:134], v[135:136]
	s_waitcnt lgkmcnt(0)
	v_mul_f64 v[133:134], v[217:218], v[135:136]
	v_fma_f64 v[133:134], v[215:216], v[213:214], -v[133:134]
	v_mul_f64 v[215:216], v[215:216], v[135:136]
	v_add_f64 v[129:130], v[129:130], -v[133:134]
	v_fma_f64 v[215:216], v[217:218], v[213:214], v[215:216]
	v_add_f64 v[131:132], v[131:132], -v[215:216]
	ds_read2_b64 v[215:218], v253 offset0:56 offset1:57
	s_waitcnt lgkmcnt(0)
	v_mul_f64 v[133:134], v[217:218], v[135:136]
	v_fma_f64 v[133:134], v[215:216], v[213:214], -v[133:134]
	v_mul_f64 v[215:216], v[215:216], v[135:136]
	v_add_f64 v[125:126], v[125:126], -v[133:134]
	v_fma_f64 v[215:216], v[217:218], v[213:214], v[215:216]
	v_add_f64 v[127:128], v[127:128], -v[215:216]
	ds_read2_b64 v[215:218], v253 offset0:58 offset1:59
	;; [unrolled: 8-line block ×32, first 2 shown]
	s_waitcnt lgkmcnt(0)
	v_mul_f64 v[133:134], v[217:218], v[135:136]
	v_fma_f64 v[133:134], v[215:216], v[213:214], -v[133:134]
	v_mul_f64 v[215:216], v[215:216], v[135:136]
	v_add_f64 v[1:2], v[1:2], -v[133:134]
	v_fma_f64 v[215:216], v[217:218], v[213:214], v[215:216]
	v_mov_b32_e32 v133, v213
	v_mov_b32_e32 v134, v214
	v_add_f64 v[3:4], v[3:4], -v[215:216]
.LBB119_244:
	s_or_b32 exec_lo, exec_lo, s1
	s_mov_b32 s2, exec_lo
	s_waitcnt_vscnt null, 0x0
	s_barrier
	buffer_gl0_inv
	v_cmpx_eq_u32_e32 27, v0
	s_cbranch_execz .LBB119_251
; %bb.245:
	ds_write2_b64 v255, v[129:130], v[131:132] offset1:1
	ds_write2_b64 v253, v[125:126], v[127:128] offset0:56 offset1:57
	ds_write2_b64 v253, v[121:122], v[123:124] offset0:58 offset1:59
	;; [unrolled: 1-line block ×32, first 2 shown]
	ds_read2_b64 v[213:216], v255 offset1:1
	s_waitcnt lgkmcnt(0)
	v_cmp_neq_f64_e32 vcc_lo, 0, v[213:214]
	v_cmp_neq_f64_e64 s1, 0, v[215:216]
	s_or_b32 s1, vcc_lo, s1
	s_and_b32 exec_lo, exec_lo, s1
	s_cbranch_execz .LBB119_251
; %bb.246:
	v_cmp_ngt_f64_e64 s1, |v[213:214]|, |v[215:216]|
                                        ; implicit-def: $vgpr217_vgpr218
	s_and_saveexec_b32 s3, s1
	s_xor_b32 s1, exec_lo, s3
                                        ; implicit-def: $vgpr219_vgpr220
	s_cbranch_execz .LBB119_248
; %bb.247:
	v_div_scale_f64 v[217:218], null, v[215:216], v[215:216], v[213:214]
	v_div_scale_f64 v[223:224], vcc_lo, v[213:214], v[215:216], v[213:214]
	v_rcp_f64_e32 v[219:220], v[217:218]
	v_fma_f64 v[221:222], -v[217:218], v[219:220], 1.0
	v_fma_f64 v[219:220], v[219:220], v[221:222], v[219:220]
	v_fma_f64 v[221:222], -v[217:218], v[219:220], 1.0
	v_fma_f64 v[219:220], v[219:220], v[221:222], v[219:220]
	v_mul_f64 v[221:222], v[223:224], v[219:220]
	v_fma_f64 v[217:218], -v[217:218], v[221:222], v[223:224]
	v_div_fmas_f64 v[217:218], v[217:218], v[219:220], v[221:222]
	v_div_fixup_f64 v[217:218], v[217:218], v[215:216], v[213:214]
	v_fma_f64 v[213:214], v[213:214], v[217:218], v[215:216]
	v_div_scale_f64 v[215:216], null, v[213:214], v[213:214], 1.0
	v_rcp_f64_e32 v[219:220], v[215:216]
	v_fma_f64 v[221:222], -v[215:216], v[219:220], 1.0
	v_fma_f64 v[219:220], v[219:220], v[221:222], v[219:220]
	v_fma_f64 v[221:222], -v[215:216], v[219:220], 1.0
	v_fma_f64 v[219:220], v[219:220], v[221:222], v[219:220]
	v_div_scale_f64 v[221:222], vcc_lo, 1.0, v[213:214], 1.0
	v_mul_f64 v[223:224], v[221:222], v[219:220]
	v_fma_f64 v[215:216], -v[215:216], v[223:224], v[221:222]
	v_div_fmas_f64 v[215:216], v[215:216], v[219:220], v[223:224]
	v_div_fixup_f64 v[219:220], v[215:216], v[213:214], 1.0
                                        ; implicit-def: $vgpr213_vgpr214
	v_mul_f64 v[217:218], v[217:218], v[219:220]
	v_xor_b32_e32 v220, 0x80000000, v220
.LBB119_248:
	s_andn2_saveexec_b32 s1, s1
	s_cbranch_execz .LBB119_250
; %bb.249:
	v_div_scale_f64 v[217:218], null, v[213:214], v[213:214], v[215:216]
	v_div_scale_f64 v[223:224], vcc_lo, v[215:216], v[213:214], v[215:216]
	v_rcp_f64_e32 v[219:220], v[217:218]
	v_fma_f64 v[221:222], -v[217:218], v[219:220], 1.0
	v_fma_f64 v[219:220], v[219:220], v[221:222], v[219:220]
	v_fma_f64 v[221:222], -v[217:218], v[219:220], 1.0
	v_fma_f64 v[219:220], v[219:220], v[221:222], v[219:220]
	v_mul_f64 v[221:222], v[223:224], v[219:220]
	v_fma_f64 v[217:218], -v[217:218], v[221:222], v[223:224]
	v_div_fmas_f64 v[217:218], v[217:218], v[219:220], v[221:222]
	v_div_fixup_f64 v[219:220], v[217:218], v[213:214], v[215:216]
	v_fma_f64 v[213:214], v[215:216], v[219:220], v[213:214]
	v_div_scale_f64 v[215:216], null, v[213:214], v[213:214], 1.0
	v_rcp_f64_e32 v[217:218], v[215:216]
	v_fma_f64 v[221:222], -v[215:216], v[217:218], 1.0
	v_fma_f64 v[217:218], v[217:218], v[221:222], v[217:218]
	v_fma_f64 v[221:222], -v[215:216], v[217:218], 1.0
	v_fma_f64 v[217:218], v[217:218], v[221:222], v[217:218]
	v_div_scale_f64 v[221:222], vcc_lo, 1.0, v[213:214], 1.0
	v_mul_f64 v[223:224], v[221:222], v[217:218]
	v_fma_f64 v[215:216], -v[215:216], v[223:224], v[221:222]
	v_div_fmas_f64 v[215:216], v[215:216], v[217:218], v[223:224]
	v_div_fixup_f64 v[217:218], v[215:216], v[213:214], 1.0
	v_mul_f64 v[219:220], v[219:220], -v[217:218]
.LBB119_250:
	s_or_b32 exec_lo, exec_lo, s1
	ds_write2_b64 v255, v[217:218], v[219:220] offset1:1
.LBB119_251:
	s_or_b32 exec_lo, exec_lo, s2
	s_waitcnt lgkmcnt(0)
	s_barrier
	buffer_gl0_inv
	ds_read2_b64 v[193:196], v255 offset1:1
	s_mov_b32 s1, exec_lo
	s_waitcnt lgkmcnt(0)
	buffer_store_dword v193, off, s[16:19], 0 offset:1008 ; 4-byte Folded Spill
	buffer_store_dword v194, off, s[16:19], 0 offset:1012 ; 4-byte Folded Spill
	;; [unrolled: 1-line block ×4, first 2 shown]
	v_cmpx_lt_u32_e32 27, v0
	s_cbranch_execz .LBB119_253
; %bb.252:
	s_clause 0x3
	buffer_load_dword v193, off, s[16:19], 0 offset:1008
	buffer_load_dword v194, off, s[16:19], 0 offset:1012
	;; [unrolled: 1-line block ×4, first 2 shown]
	ds_read2_b64 v[215:218], v253 offset0:56 offset1:57
	s_waitcnt vmcnt(0)
	v_mul_f64 v[213:214], v[195:196], v[131:132]
	v_mul_f64 v[131:132], v[193:194], v[131:132]
	v_fma_f64 v[213:214], v[193:194], v[129:130], -v[213:214]
	v_fma_f64 v[131:132], v[195:196], v[129:130], v[131:132]
	s_waitcnt lgkmcnt(0)
	v_mul_f64 v[129:130], v[217:218], v[131:132]
	v_fma_f64 v[129:130], v[215:216], v[213:214], -v[129:130]
	v_mul_f64 v[215:216], v[215:216], v[131:132]
	v_add_f64 v[125:126], v[125:126], -v[129:130]
	v_fma_f64 v[215:216], v[217:218], v[213:214], v[215:216]
	v_add_f64 v[127:128], v[127:128], -v[215:216]
	ds_read2_b64 v[215:218], v253 offset0:58 offset1:59
	s_waitcnt lgkmcnt(0)
	v_mul_f64 v[129:130], v[217:218], v[131:132]
	v_fma_f64 v[129:130], v[215:216], v[213:214], -v[129:130]
	v_mul_f64 v[215:216], v[215:216], v[131:132]
	v_add_f64 v[121:122], v[121:122], -v[129:130]
	v_fma_f64 v[215:216], v[217:218], v[213:214], v[215:216]
	v_add_f64 v[123:124], v[123:124], -v[215:216]
	ds_read2_b64 v[215:218], v253 offset0:60 offset1:61
	;; [unrolled: 8-line block ×31, first 2 shown]
	s_waitcnt lgkmcnt(0)
	v_mul_f64 v[129:130], v[217:218], v[131:132]
	v_fma_f64 v[129:130], v[215:216], v[213:214], -v[129:130]
	v_mul_f64 v[215:216], v[215:216], v[131:132]
	v_add_f64 v[1:2], v[1:2], -v[129:130]
	v_fma_f64 v[215:216], v[217:218], v[213:214], v[215:216]
	v_mov_b32_e32 v129, v213
	v_mov_b32_e32 v130, v214
	v_add_f64 v[3:4], v[3:4], -v[215:216]
.LBB119_253:
	s_or_b32 exec_lo, exec_lo, s1
	s_mov_b32 s2, exec_lo
	s_waitcnt_vscnt null, 0x0
	s_barrier
	buffer_gl0_inv
	v_cmpx_eq_u32_e32 28, v0
	s_cbranch_execz .LBB119_260
; %bb.254:
	ds_write2_b64 v255, v[125:126], v[127:128] offset1:1
	ds_write2_b64 v253, v[121:122], v[123:124] offset0:58 offset1:59
	ds_write2_b64 v253, v[117:118], v[119:120] offset0:60 offset1:61
	ds_write2_b64 v253, v[113:114], v[115:116] offset0:62 offset1:63
	ds_write2_b64 v253, v[109:110], v[111:112] offset0:64 offset1:65
	ds_write2_b64 v253, v[105:106], v[107:108] offset0:66 offset1:67
	ds_write2_b64 v253, v[101:102], v[103:104] offset0:68 offset1:69
	ds_write2_b64 v253, v[97:98], v[99:100] offset0:70 offset1:71
	ds_write2_b64 v253, v[93:94], v[95:96] offset0:72 offset1:73
	ds_write2_b64 v253, v[89:90], v[91:92] offset0:74 offset1:75
	ds_write2_b64 v253, v[85:86], v[87:88] offset0:76 offset1:77
	ds_write2_b64 v253, v[81:82], v[83:84] offset0:78 offset1:79
	ds_write2_b64 v253, v[77:78], v[79:80] offset0:80 offset1:81
	ds_write2_b64 v253, v[73:74], v[75:76] offset0:82 offset1:83
	ds_write2_b64 v253, v[69:70], v[71:72] offset0:84 offset1:85
	ds_write2_b64 v253, v[65:66], v[67:68] offset0:86 offset1:87
	ds_write2_b64 v253, v[61:62], v[63:64] offset0:88 offset1:89
	ds_write2_b64 v253, v[57:58], v[59:60] offset0:90 offset1:91
	ds_write2_b64 v253, v[53:54], v[55:56] offset0:92 offset1:93
	ds_write2_b64 v253, v[49:50], v[51:52] offset0:94 offset1:95
	ds_write2_b64 v253, v[45:46], v[47:48] offset0:96 offset1:97
	ds_write2_b64 v253, v[41:42], v[43:44] offset0:98 offset1:99
	ds_write2_b64 v253, v[37:38], v[39:40] offset0:100 offset1:101
	ds_write2_b64 v253, v[33:34], v[35:36] offset0:102 offset1:103
	ds_write2_b64 v253, v[29:30], v[31:32] offset0:104 offset1:105
	ds_write2_b64 v253, v[25:26], v[27:28] offset0:106 offset1:107
	ds_write2_b64 v253, v[21:22], v[23:24] offset0:108 offset1:109
	ds_write2_b64 v253, v[17:18], v[19:20] offset0:110 offset1:111
	ds_write2_b64 v253, v[13:14], v[15:16] offset0:112 offset1:113
	ds_write2_b64 v253, v[9:10], v[11:12] offset0:114 offset1:115
	ds_write2_b64 v253, v[5:6], v[7:8] offset0:116 offset1:117
	ds_write2_b64 v253, v[1:2], v[3:4] offset0:118 offset1:119
	ds_read2_b64 v[213:216], v255 offset1:1
	s_waitcnt lgkmcnt(0)
	v_cmp_neq_f64_e32 vcc_lo, 0, v[213:214]
	v_cmp_neq_f64_e64 s1, 0, v[215:216]
	s_or_b32 s1, vcc_lo, s1
	s_and_b32 exec_lo, exec_lo, s1
	s_cbranch_execz .LBB119_260
; %bb.255:
	v_cmp_ngt_f64_e64 s1, |v[213:214]|, |v[215:216]|
                                        ; implicit-def: $vgpr217_vgpr218
	s_and_saveexec_b32 s3, s1
	s_xor_b32 s1, exec_lo, s3
                                        ; implicit-def: $vgpr219_vgpr220
	s_cbranch_execz .LBB119_257
; %bb.256:
	v_div_scale_f64 v[217:218], null, v[215:216], v[215:216], v[213:214]
	v_div_scale_f64 v[223:224], vcc_lo, v[213:214], v[215:216], v[213:214]
	v_rcp_f64_e32 v[219:220], v[217:218]
	v_fma_f64 v[221:222], -v[217:218], v[219:220], 1.0
	v_fma_f64 v[219:220], v[219:220], v[221:222], v[219:220]
	v_fma_f64 v[221:222], -v[217:218], v[219:220], 1.0
	v_fma_f64 v[219:220], v[219:220], v[221:222], v[219:220]
	v_mul_f64 v[221:222], v[223:224], v[219:220]
	v_fma_f64 v[217:218], -v[217:218], v[221:222], v[223:224]
	v_div_fmas_f64 v[217:218], v[217:218], v[219:220], v[221:222]
	v_div_fixup_f64 v[217:218], v[217:218], v[215:216], v[213:214]
	v_fma_f64 v[213:214], v[213:214], v[217:218], v[215:216]
	v_div_scale_f64 v[215:216], null, v[213:214], v[213:214], 1.0
	v_rcp_f64_e32 v[219:220], v[215:216]
	v_fma_f64 v[221:222], -v[215:216], v[219:220], 1.0
	v_fma_f64 v[219:220], v[219:220], v[221:222], v[219:220]
	v_fma_f64 v[221:222], -v[215:216], v[219:220], 1.0
	v_fma_f64 v[219:220], v[219:220], v[221:222], v[219:220]
	v_div_scale_f64 v[221:222], vcc_lo, 1.0, v[213:214], 1.0
	v_mul_f64 v[223:224], v[221:222], v[219:220]
	v_fma_f64 v[215:216], -v[215:216], v[223:224], v[221:222]
	v_div_fmas_f64 v[215:216], v[215:216], v[219:220], v[223:224]
	v_div_fixup_f64 v[219:220], v[215:216], v[213:214], 1.0
                                        ; implicit-def: $vgpr213_vgpr214
	v_mul_f64 v[217:218], v[217:218], v[219:220]
	v_xor_b32_e32 v220, 0x80000000, v220
.LBB119_257:
	s_andn2_saveexec_b32 s1, s1
	s_cbranch_execz .LBB119_259
; %bb.258:
	v_div_scale_f64 v[217:218], null, v[213:214], v[213:214], v[215:216]
	v_div_scale_f64 v[223:224], vcc_lo, v[215:216], v[213:214], v[215:216]
	v_rcp_f64_e32 v[219:220], v[217:218]
	v_fma_f64 v[221:222], -v[217:218], v[219:220], 1.0
	v_fma_f64 v[219:220], v[219:220], v[221:222], v[219:220]
	v_fma_f64 v[221:222], -v[217:218], v[219:220], 1.0
	v_fma_f64 v[219:220], v[219:220], v[221:222], v[219:220]
	v_mul_f64 v[221:222], v[223:224], v[219:220]
	v_fma_f64 v[217:218], -v[217:218], v[221:222], v[223:224]
	v_div_fmas_f64 v[217:218], v[217:218], v[219:220], v[221:222]
	v_div_fixup_f64 v[219:220], v[217:218], v[213:214], v[215:216]
	v_fma_f64 v[213:214], v[215:216], v[219:220], v[213:214]
	v_div_scale_f64 v[215:216], null, v[213:214], v[213:214], 1.0
	v_rcp_f64_e32 v[217:218], v[215:216]
	v_fma_f64 v[221:222], -v[215:216], v[217:218], 1.0
	v_fma_f64 v[217:218], v[217:218], v[221:222], v[217:218]
	v_fma_f64 v[221:222], -v[215:216], v[217:218], 1.0
	v_fma_f64 v[217:218], v[217:218], v[221:222], v[217:218]
	v_div_scale_f64 v[221:222], vcc_lo, 1.0, v[213:214], 1.0
	v_mul_f64 v[223:224], v[221:222], v[217:218]
	v_fma_f64 v[215:216], -v[215:216], v[223:224], v[221:222]
	v_div_fmas_f64 v[215:216], v[215:216], v[217:218], v[223:224]
	v_div_fixup_f64 v[217:218], v[215:216], v[213:214], 1.0
	v_mul_f64 v[219:220], v[219:220], -v[217:218]
.LBB119_259:
	s_or_b32 exec_lo, exec_lo, s1
	ds_write2_b64 v255, v[217:218], v[219:220] offset1:1
.LBB119_260:
	s_or_b32 exec_lo, exec_lo, s2
	s_waitcnt lgkmcnt(0)
	s_barrier
	buffer_gl0_inv
	ds_read2_b64 v[193:196], v255 offset1:1
	s_mov_b32 s1, exec_lo
	s_waitcnt lgkmcnt(0)
	buffer_store_dword v193, off, s[16:19], 0 offset:1024 ; 4-byte Folded Spill
	buffer_store_dword v194, off, s[16:19], 0 offset:1028 ; 4-byte Folded Spill
	;; [unrolled: 1-line block ×4, first 2 shown]
	v_cmpx_lt_u32_e32 28, v0
	s_cbranch_execz .LBB119_262
; %bb.261:
	s_clause 0x3
	buffer_load_dword v193, off, s[16:19], 0 offset:1024
	buffer_load_dword v194, off, s[16:19], 0 offset:1028
	;; [unrolled: 1-line block ×4, first 2 shown]
	ds_read2_b64 v[215:218], v253 offset0:58 offset1:59
	s_waitcnt vmcnt(0)
	v_mul_f64 v[213:214], v[195:196], v[127:128]
	v_mul_f64 v[127:128], v[193:194], v[127:128]
	v_fma_f64 v[213:214], v[193:194], v[125:126], -v[213:214]
	v_fma_f64 v[127:128], v[195:196], v[125:126], v[127:128]
	s_waitcnt lgkmcnt(0)
	v_mul_f64 v[125:126], v[217:218], v[127:128]
	v_fma_f64 v[125:126], v[215:216], v[213:214], -v[125:126]
	v_mul_f64 v[215:216], v[215:216], v[127:128]
	v_add_f64 v[121:122], v[121:122], -v[125:126]
	v_fma_f64 v[215:216], v[217:218], v[213:214], v[215:216]
	v_add_f64 v[123:124], v[123:124], -v[215:216]
	ds_read2_b64 v[215:218], v253 offset0:60 offset1:61
	s_waitcnt lgkmcnt(0)
	v_mul_f64 v[125:126], v[217:218], v[127:128]
	v_fma_f64 v[125:126], v[215:216], v[213:214], -v[125:126]
	v_mul_f64 v[215:216], v[215:216], v[127:128]
	v_add_f64 v[117:118], v[117:118], -v[125:126]
	v_fma_f64 v[215:216], v[217:218], v[213:214], v[215:216]
	v_add_f64 v[119:120], v[119:120], -v[215:216]
	ds_read2_b64 v[215:218], v253 offset0:62 offset1:63
	;; [unrolled: 8-line block ×30, first 2 shown]
	s_waitcnt lgkmcnt(0)
	v_mul_f64 v[125:126], v[217:218], v[127:128]
	v_fma_f64 v[125:126], v[215:216], v[213:214], -v[125:126]
	v_mul_f64 v[215:216], v[215:216], v[127:128]
	v_add_f64 v[1:2], v[1:2], -v[125:126]
	v_fma_f64 v[215:216], v[217:218], v[213:214], v[215:216]
	v_mov_b32_e32 v125, v213
	v_mov_b32_e32 v126, v214
	v_add_f64 v[3:4], v[3:4], -v[215:216]
.LBB119_262:
	s_or_b32 exec_lo, exec_lo, s1
	s_mov_b32 s2, exec_lo
	s_waitcnt_vscnt null, 0x0
	s_barrier
	buffer_gl0_inv
	v_cmpx_eq_u32_e32 29, v0
	s_cbranch_execz .LBB119_269
; %bb.263:
	ds_write2_b64 v255, v[121:122], v[123:124] offset1:1
	ds_write2_b64 v253, v[117:118], v[119:120] offset0:60 offset1:61
	ds_write2_b64 v253, v[113:114], v[115:116] offset0:62 offset1:63
	;; [unrolled: 1-line block ×30, first 2 shown]
	ds_read2_b64 v[213:216], v255 offset1:1
	s_waitcnt lgkmcnt(0)
	v_cmp_neq_f64_e32 vcc_lo, 0, v[213:214]
	v_cmp_neq_f64_e64 s1, 0, v[215:216]
	s_or_b32 s1, vcc_lo, s1
	s_and_b32 exec_lo, exec_lo, s1
	s_cbranch_execz .LBB119_269
; %bb.264:
	v_cmp_ngt_f64_e64 s1, |v[213:214]|, |v[215:216]|
                                        ; implicit-def: $vgpr217_vgpr218
	s_and_saveexec_b32 s3, s1
	s_xor_b32 s1, exec_lo, s3
                                        ; implicit-def: $vgpr219_vgpr220
	s_cbranch_execz .LBB119_266
; %bb.265:
	v_div_scale_f64 v[217:218], null, v[215:216], v[215:216], v[213:214]
	v_div_scale_f64 v[223:224], vcc_lo, v[213:214], v[215:216], v[213:214]
	v_rcp_f64_e32 v[219:220], v[217:218]
	v_fma_f64 v[221:222], -v[217:218], v[219:220], 1.0
	v_fma_f64 v[219:220], v[219:220], v[221:222], v[219:220]
	v_fma_f64 v[221:222], -v[217:218], v[219:220], 1.0
	v_fma_f64 v[219:220], v[219:220], v[221:222], v[219:220]
	v_mul_f64 v[221:222], v[223:224], v[219:220]
	v_fma_f64 v[217:218], -v[217:218], v[221:222], v[223:224]
	v_div_fmas_f64 v[217:218], v[217:218], v[219:220], v[221:222]
	v_div_fixup_f64 v[217:218], v[217:218], v[215:216], v[213:214]
	v_fma_f64 v[213:214], v[213:214], v[217:218], v[215:216]
	v_div_scale_f64 v[215:216], null, v[213:214], v[213:214], 1.0
	v_rcp_f64_e32 v[219:220], v[215:216]
	v_fma_f64 v[221:222], -v[215:216], v[219:220], 1.0
	v_fma_f64 v[219:220], v[219:220], v[221:222], v[219:220]
	v_fma_f64 v[221:222], -v[215:216], v[219:220], 1.0
	v_fma_f64 v[219:220], v[219:220], v[221:222], v[219:220]
	v_div_scale_f64 v[221:222], vcc_lo, 1.0, v[213:214], 1.0
	v_mul_f64 v[223:224], v[221:222], v[219:220]
	v_fma_f64 v[215:216], -v[215:216], v[223:224], v[221:222]
	v_div_fmas_f64 v[215:216], v[215:216], v[219:220], v[223:224]
	v_div_fixup_f64 v[219:220], v[215:216], v[213:214], 1.0
                                        ; implicit-def: $vgpr213_vgpr214
	v_mul_f64 v[217:218], v[217:218], v[219:220]
	v_xor_b32_e32 v220, 0x80000000, v220
.LBB119_266:
	s_andn2_saveexec_b32 s1, s1
	s_cbranch_execz .LBB119_268
; %bb.267:
	v_div_scale_f64 v[217:218], null, v[213:214], v[213:214], v[215:216]
	v_div_scale_f64 v[223:224], vcc_lo, v[215:216], v[213:214], v[215:216]
	v_rcp_f64_e32 v[219:220], v[217:218]
	v_fma_f64 v[221:222], -v[217:218], v[219:220], 1.0
	v_fma_f64 v[219:220], v[219:220], v[221:222], v[219:220]
	v_fma_f64 v[221:222], -v[217:218], v[219:220], 1.0
	v_fma_f64 v[219:220], v[219:220], v[221:222], v[219:220]
	v_mul_f64 v[221:222], v[223:224], v[219:220]
	v_fma_f64 v[217:218], -v[217:218], v[221:222], v[223:224]
	v_div_fmas_f64 v[217:218], v[217:218], v[219:220], v[221:222]
	v_div_fixup_f64 v[219:220], v[217:218], v[213:214], v[215:216]
	v_fma_f64 v[213:214], v[215:216], v[219:220], v[213:214]
	v_div_scale_f64 v[215:216], null, v[213:214], v[213:214], 1.0
	v_rcp_f64_e32 v[217:218], v[215:216]
	v_fma_f64 v[221:222], -v[215:216], v[217:218], 1.0
	v_fma_f64 v[217:218], v[217:218], v[221:222], v[217:218]
	v_fma_f64 v[221:222], -v[215:216], v[217:218], 1.0
	v_fma_f64 v[217:218], v[217:218], v[221:222], v[217:218]
	v_div_scale_f64 v[221:222], vcc_lo, 1.0, v[213:214], 1.0
	v_mul_f64 v[223:224], v[221:222], v[217:218]
	v_fma_f64 v[215:216], -v[215:216], v[223:224], v[221:222]
	v_div_fmas_f64 v[215:216], v[215:216], v[217:218], v[223:224]
	v_div_fixup_f64 v[217:218], v[215:216], v[213:214], 1.0
	v_mul_f64 v[219:220], v[219:220], -v[217:218]
.LBB119_268:
	s_or_b32 exec_lo, exec_lo, s1
	ds_write2_b64 v255, v[217:218], v[219:220] offset1:1
.LBB119_269:
	s_or_b32 exec_lo, exec_lo, s2
	s_waitcnt lgkmcnt(0)
	s_barrier
	buffer_gl0_inv
	ds_read2_b64 v[193:196], v255 offset1:1
	s_mov_b32 s1, exec_lo
	s_waitcnt lgkmcnt(0)
	buffer_store_dword v193, off, s[16:19], 0 offset:1040 ; 4-byte Folded Spill
	buffer_store_dword v194, off, s[16:19], 0 offset:1044 ; 4-byte Folded Spill
	;; [unrolled: 1-line block ×4, first 2 shown]
	v_cmpx_lt_u32_e32 29, v0
	s_cbranch_execz .LBB119_271
; %bb.270:
	s_clause 0x3
	buffer_load_dword v193, off, s[16:19], 0 offset:1040
	buffer_load_dword v194, off, s[16:19], 0 offset:1044
	;; [unrolled: 1-line block ×4, first 2 shown]
	ds_read2_b64 v[215:218], v253 offset0:60 offset1:61
	s_waitcnt vmcnt(0)
	v_mul_f64 v[213:214], v[195:196], v[123:124]
	v_mul_f64 v[123:124], v[193:194], v[123:124]
	v_fma_f64 v[213:214], v[193:194], v[121:122], -v[213:214]
	v_fma_f64 v[123:124], v[195:196], v[121:122], v[123:124]
	s_waitcnt lgkmcnt(0)
	v_mul_f64 v[121:122], v[217:218], v[123:124]
	v_fma_f64 v[121:122], v[215:216], v[213:214], -v[121:122]
	v_mul_f64 v[215:216], v[215:216], v[123:124]
	v_add_f64 v[117:118], v[117:118], -v[121:122]
	v_fma_f64 v[215:216], v[217:218], v[213:214], v[215:216]
	v_add_f64 v[119:120], v[119:120], -v[215:216]
	ds_read2_b64 v[215:218], v253 offset0:62 offset1:63
	s_waitcnt lgkmcnt(0)
	v_mul_f64 v[121:122], v[217:218], v[123:124]
	v_fma_f64 v[121:122], v[215:216], v[213:214], -v[121:122]
	v_mul_f64 v[215:216], v[215:216], v[123:124]
	v_add_f64 v[113:114], v[113:114], -v[121:122]
	v_fma_f64 v[215:216], v[217:218], v[213:214], v[215:216]
	v_add_f64 v[115:116], v[115:116], -v[215:216]
	ds_read2_b64 v[215:218], v253 offset0:64 offset1:65
	;; [unrolled: 8-line block ×29, first 2 shown]
	s_waitcnt lgkmcnt(0)
	v_mul_f64 v[121:122], v[217:218], v[123:124]
	v_fma_f64 v[121:122], v[215:216], v[213:214], -v[121:122]
	v_mul_f64 v[215:216], v[215:216], v[123:124]
	v_add_f64 v[1:2], v[1:2], -v[121:122]
	v_fma_f64 v[215:216], v[217:218], v[213:214], v[215:216]
	v_mov_b32_e32 v121, v213
	v_mov_b32_e32 v122, v214
	v_add_f64 v[3:4], v[3:4], -v[215:216]
.LBB119_271:
	s_or_b32 exec_lo, exec_lo, s1
	s_mov_b32 s2, exec_lo
	s_waitcnt_vscnt null, 0x0
	s_barrier
	buffer_gl0_inv
	v_cmpx_eq_u32_e32 30, v0
	s_cbranch_execz .LBB119_278
; %bb.272:
	ds_write2_b64 v255, v[117:118], v[119:120] offset1:1
	ds_write2_b64 v253, v[113:114], v[115:116] offset0:62 offset1:63
	ds_write2_b64 v253, v[109:110], v[111:112] offset0:64 offset1:65
	;; [unrolled: 1-line block ×29, first 2 shown]
	ds_read2_b64 v[213:216], v255 offset1:1
	s_waitcnt lgkmcnt(0)
	v_cmp_neq_f64_e32 vcc_lo, 0, v[213:214]
	v_cmp_neq_f64_e64 s1, 0, v[215:216]
	s_or_b32 s1, vcc_lo, s1
	s_and_b32 exec_lo, exec_lo, s1
	s_cbranch_execz .LBB119_278
; %bb.273:
	v_cmp_ngt_f64_e64 s1, |v[213:214]|, |v[215:216]|
                                        ; implicit-def: $vgpr217_vgpr218
	s_and_saveexec_b32 s3, s1
	s_xor_b32 s1, exec_lo, s3
                                        ; implicit-def: $vgpr219_vgpr220
	s_cbranch_execz .LBB119_275
; %bb.274:
	v_div_scale_f64 v[217:218], null, v[215:216], v[215:216], v[213:214]
	v_div_scale_f64 v[223:224], vcc_lo, v[213:214], v[215:216], v[213:214]
	v_rcp_f64_e32 v[219:220], v[217:218]
	v_fma_f64 v[221:222], -v[217:218], v[219:220], 1.0
	v_fma_f64 v[219:220], v[219:220], v[221:222], v[219:220]
	v_fma_f64 v[221:222], -v[217:218], v[219:220], 1.0
	v_fma_f64 v[219:220], v[219:220], v[221:222], v[219:220]
	v_mul_f64 v[221:222], v[223:224], v[219:220]
	v_fma_f64 v[217:218], -v[217:218], v[221:222], v[223:224]
	v_div_fmas_f64 v[217:218], v[217:218], v[219:220], v[221:222]
	v_div_fixup_f64 v[217:218], v[217:218], v[215:216], v[213:214]
	v_fma_f64 v[213:214], v[213:214], v[217:218], v[215:216]
	v_div_scale_f64 v[215:216], null, v[213:214], v[213:214], 1.0
	v_rcp_f64_e32 v[219:220], v[215:216]
	v_fma_f64 v[221:222], -v[215:216], v[219:220], 1.0
	v_fma_f64 v[219:220], v[219:220], v[221:222], v[219:220]
	v_fma_f64 v[221:222], -v[215:216], v[219:220], 1.0
	v_fma_f64 v[219:220], v[219:220], v[221:222], v[219:220]
	v_div_scale_f64 v[221:222], vcc_lo, 1.0, v[213:214], 1.0
	v_mul_f64 v[223:224], v[221:222], v[219:220]
	v_fma_f64 v[215:216], -v[215:216], v[223:224], v[221:222]
	v_div_fmas_f64 v[215:216], v[215:216], v[219:220], v[223:224]
	v_div_fixup_f64 v[219:220], v[215:216], v[213:214], 1.0
                                        ; implicit-def: $vgpr213_vgpr214
	v_mul_f64 v[217:218], v[217:218], v[219:220]
	v_xor_b32_e32 v220, 0x80000000, v220
.LBB119_275:
	s_andn2_saveexec_b32 s1, s1
	s_cbranch_execz .LBB119_277
; %bb.276:
	v_div_scale_f64 v[217:218], null, v[213:214], v[213:214], v[215:216]
	v_div_scale_f64 v[223:224], vcc_lo, v[215:216], v[213:214], v[215:216]
	v_rcp_f64_e32 v[219:220], v[217:218]
	v_fma_f64 v[221:222], -v[217:218], v[219:220], 1.0
	v_fma_f64 v[219:220], v[219:220], v[221:222], v[219:220]
	v_fma_f64 v[221:222], -v[217:218], v[219:220], 1.0
	v_fma_f64 v[219:220], v[219:220], v[221:222], v[219:220]
	v_mul_f64 v[221:222], v[223:224], v[219:220]
	v_fma_f64 v[217:218], -v[217:218], v[221:222], v[223:224]
	v_div_fmas_f64 v[217:218], v[217:218], v[219:220], v[221:222]
	v_div_fixup_f64 v[219:220], v[217:218], v[213:214], v[215:216]
	v_fma_f64 v[213:214], v[215:216], v[219:220], v[213:214]
	v_div_scale_f64 v[215:216], null, v[213:214], v[213:214], 1.0
	v_rcp_f64_e32 v[217:218], v[215:216]
	v_fma_f64 v[221:222], -v[215:216], v[217:218], 1.0
	v_fma_f64 v[217:218], v[217:218], v[221:222], v[217:218]
	v_fma_f64 v[221:222], -v[215:216], v[217:218], 1.0
	v_fma_f64 v[217:218], v[217:218], v[221:222], v[217:218]
	v_div_scale_f64 v[221:222], vcc_lo, 1.0, v[213:214], 1.0
	v_mul_f64 v[223:224], v[221:222], v[217:218]
	v_fma_f64 v[215:216], -v[215:216], v[223:224], v[221:222]
	v_div_fmas_f64 v[215:216], v[215:216], v[217:218], v[223:224]
	v_div_fixup_f64 v[217:218], v[215:216], v[213:214], 1.0
	v_mul_f64 v[219:220], v[219:220], -v[217:218]
.LBB119_277:
	s_or_b32 exec_lo, exec_lo, s1
	ds_write2_b64 v255, v[217:218], v[219:220] offset1:1
.LBB119_278:
	s_or_b32 exec_lo, exec_lo, s2
	s_waitcnt lgkmcnt(0)
	s_barrier
	buffer_gl0_inv
	ds_read2_b64 v[193:196], v255 offset1:1
	s_mov_b32 s1, exec_lo
	s_waitcnt lgkmcnt(0)
	buffer_store_dword v193, off, s[16:19], 0 offset:1056 ; 4-byte Folded Spill
	buffer_store_dword v194, off, s[16:19], 0 offset:1060 ; 4-byte Folded Spill
	;; [unrolled: 1-line block ×4, first 2 shown]
	v_cmpx_lt_u32_e32 30, v0
	s_cbranch_execz .LBB119_280
; %bb.279:
	s_clause 0x3
	buffer_load_dword v193, off, s[16:19], 0 offset:1056
	buffer_load_dword v194, off, s[16:19], 0 offset:1060
	buffer_load_dword v195, off, s[16:19], 0 offset:1064
	buffer_load_dword v196, off, s[16:19], 0 offset:1068
	ds_read2_b64 v[215:218], v253 offset0:62 offset1:63
	s_waitcnt vmcnt(0)
	v_mul_f64 v[213:214], v[195:196], v[119:120]
	v_mul_f64 v[119:120], v[193:194], v[119:120]
	v_fma_f64 v[213:214], v[193:194], v[117:118], -v[213:214]
	v_fma_f64 v[119:120], v[195:196], v[117:118], v[119:120]
	s_waitcnt lgkmcnt(0)
	v_mul_f64 v[117:118], v[217:218], v[119:120]
	v_fma_f64 v[117:118], v[215:216], v[213:214], -v[117:118]
	v_mul_f64 v[215:216], v[215:216], v[119:120]
	v_add_f64 v[113:114], v[113:114], -v[117:118]
	v_fma_f64 v[215:216], v[217:218], v[213:214], v[215:216]
	v_add_f64 v[115:116], v[115:116], -v[215:216]
	ds_read2_b64 v[215:218], v253 offset0:64 offset1:65
	s_waitcnt lgkmcnt(0)
	v_mul_f64 v[117:118], v[217:218], v[119:120]
	v_fma_f64 v[117:118], v[215:216], v[213:214], -v[117:118]
	v_mul_f64 v[215:216], v[215:216], v[119:120]
	v_add_f64 v[109:110], v[109:110], -v[117:118]
	v_fma_f64 v[215:216], v[217:218], v[213:214], v[215:216]
	v_add_f64 v[111:112], v[111:112], -v[215:216]
	ds_read2_b64 v[215:218], v253 offset0:66 offset1:67
	;; [unrolled: 8-line block ×28, first 2 shown]
	s_waitcnt lgkmcnt(0)
	v_mul_f64 v[117:118], v[217:218], v[119:120]
	v_fma_f64 v[117:118], v[215:216], v[213:214], -v[117:118]
	v_mul_f64 v[215:216], v[215:216], v[119:120]
	v_add_f64 v[1:2], v[1:2], -v[117:118]
	v_fma_f64 v[215:216], v[217:218], v[213:214], v[215:216]
	v_mov_b32_e32 v117, v213
	v_mov_b32_e32 v118, v214
	v_add_f64 v[3:4], v[3:4], -v[215:216]
.LBB119_280:
	s_or_b32 exec_lo, exec_lo, s1
	s_mov_b32 s2, exec_lo
	s_waitcnt_vscnt null, 0x0
	s_barrier
	buffer_gl0_inv
	v_cmpx_eq_u32_e32 31, v0
	s_cbranch_execz .LBB119_287
; %bb.281:
	ds_write2_b64 v255, v[113:114], v[115:116] offset1:1
	ds_write2_b64 v253, v[109:110], v[111:112] offset0:64 offset1:65
	ds_write2_b64 v253, v[105:106], v[107:108] offset0:66 offset1:67
	;; [unrolled: 1-line block ×28, first 2 shown]
	ds_read2_b64 v[213:216], v255 offset1:1
	s_waitcnt lgkmcnt(0)
	v_cmp_neq_f64_e32 vcc_lo, 0, v[213:214]
	v_cmp_neq_f64_e64 s1, 0, v[215:216]
	s_or_b32 s1, vcc_lo, s1
	s_and_b32 exec_lo, exec_lo, s1
	s_cbranch_execz .LBB119_287
; %bb.282:
	v_cmp_ngt_f64_e64 s1, |v[213:214]|, |v[215:216]|
                                        ; implicit-def: $vgpr217_vgpr218
	s_and_saveexec_b32 s3, s1
	s_xor_b32 s1, exec_lo, s3
                                        ; implicit-def: $vgpr219_vgpr220
	s_cbranch_execz .LBB119_284
; %bb.283:
	v_div_scale_f64 v[217:218], null, v[215:216], v[215:216], v[213:214]
	v_div_scale_f64 v[223:224], vcc_lo, v[213:214], v[215:216], v[213:214]
	v_rcp_f64_e32 v[219:220], v[217:218]
	v_fma_f64 v[221:222], -v[217:218], v[219:220], 1.0
	v_fma_f64 v[219:220], v[219:220], v[221:222], v[219:220]
	v_fma_f64 v[221:222], -v[217:218], v[219:220], 1.0
	v_fma_f64 v[219:220], v[219:220], v[221:222], v[219:220]
	v_mul_f64 v[221:222], v[223:224], v[219:220]
	v_fma_f64 v[217:218], -v[217:218], v[221:222], v[223:224]
	v_div_fmas_f64 v[217:218], v[217:218], v[219:220], v[221:222]
	v_div_fixup_f64 v[217:218], v[217:218], v[215:216], v[213:214]
	v_fma_f64 v[213:214], v[213:214], v[217:218], v[215:216]
	v_div_scale_f64 v[215:216], null, v[213:214], v[213:214], 1.0
	v_rcp_f64_e32 v[219:220], v[215:216]
	v_fma_f64 v[221:222], -v[215:216], v[219:220], 1.0
	v_fma_f64 v[219:220], v[219:220], v[221:222], v[219:220]
	v_fma_f64 v[221:222], -v[215:216], v[219:220], 1.0
	v_fma_f64 v[219:220], v[219:220], v[221:222], v[219:220]
	v_div_scale_f64 v[221:222], vcc_lo, 1.0, v[213:214], 1.0
	v_mul_f64 v[223:224], v[221:222], v[219:220]
	v_fma_f64 v[215:216], -v[215:216], v[223:224], v[221:222]
	v_div_fmas_f64 v[215:216], v[215:216], v[219:220], v[223:224]
	v_div_fixup_f64 v[219:220], v[215:216], v[213:214], 1.0
                                        ; implicit-def: $vgpr213_vgpr214
	v_mul_f64 v[217:218], v[217:218], v[219:220]
	v_xor_b32_e32 v220, 0x80000000, v220
.LBB119_284:
	s_andn2_saveexec_b32 s1, s1
	s_cbranch_execz .LBB119_286
; %bb.285:
	v_div_scale_f64 v[217:218], null, v[213:214], v[213:214], v[215:216]
	v_div_scale_f64 v[223:224], vcc_lo, v[215:216], v[213:214], v[215:216]
	v_rcp_f64_e32 v[219:220], v[217:218]
	v_fma_f64 v[221:222], -v[217:218], v[219:220], 1.0
	v_fma_f64 v[219:220], v[219:220], v[221:222], v[219:220]
	v_fma_f64 v[221:222], -v[217:218], v[219:220], 1.0
	v_fma_f64 v[219:220], v[219:220], v[221:222], v[219:220]
	v_mul_f64 v[221:222], v[223:224], v[219:220]
	v_fma_f64 v[217:218], -v[217:218], v[221:222], v[223:224]
	v_div_fmas_f64 v[217:218], v[217:218], v[219:220], v[221:222]
	v_div_fixup_f64 v[219:220], v[217:218], v[213:214], v[215:216]
	v_fma_f64 v[213:214], v[215:216], v[219:220], v[213:214]
	v_div_scale_f64 v[215:216], null, v[213:214], v[213:214], 1.0
	v_rcp_f64_e32 v[217:218], v[215:216]
	v_fma_f64 v[221:222], -v[215:216], v[217:218], 1.0
	v_fma_f64 v[217:218], v[217:218], v[221:222], v[217:218]
	v_fma_f64 v[221:222], -v[215:216], v[217:218], 1.0
	v_fma_f64 v[217:218], v[217:218], v[221:222], v[217:218]
	v_div_scale_f64 v[221:222], vcc_lo, 1.0, v[213:214], 1.0
	v_mul_f64 v[223:224], v[221:222], v[217:218]
	v_fma_f64 v[215:216], -v[215:216], v[223:224], v[221:222]
	v_div_fmas_f64 v[215:216], v[215:216], v[217:218], v[223:224]
	v_div_fixup_f64 v[217:218], v[215:216], v[213:214], 1.0
	v_mul_f64 v[219:220], v[219:220], -v[217:218]
.LBB119_286:
	s_or_b32 exec_lo, exec_lo, s1
	ds_write2_b64 v255, v[217:218], v[219:220] offset1:1
.LBB119_287:
	s_or_b32 exec_lo, exec_lo, s2
	s_waitcnt lgkmcnt(0)
	s_barrier
	buffer_gl0_inv
	ds_read2_b64 v[193:196], v255 offset1:1
	s_mov_b32 s1, exec_lo
	s_waitcnt lgkmcnt(0)
	buffer_store_dword v193, off, s[16:19], 0 offset:1072 ; 4-byte Folded Spill
	buffer_store_dword v194, off, s[16:19], 0 offset:1076 ; 4-byte Folded Spill
	;; [unrolled: 1-line block ×4, first 2 shown]
	v_cmpx_lt_u32_e32 31, v0
	s_cbranch_execz .LBB119_289
; %bb.288:
	s_clause 0x3
	buffer_load_dword v193, off, s[16:19], 0 offset:1072
	buffer_load_dword v194, off, s[16:19], 0 offset:1076
	;; [unrolled: 1-line block ×4, first 2 shown]
	ds_read2_b64 v[215:218], v253 offset0:64 offset1:65
	s_waitcnt vmcnt(0)
	v_mul_f64 v[213:214], v[195:196], v[115:116]
	v_mul_f64 v[115:116], v[193:194], v[115:116]
	v_fma_f64 v[213:214], v[193:194], v[113:114], -v[213:214]
	v_fma_f64 v[115:116], v[195:196], v[113:114], v[115:116]
	s_waitcnt lgkmcnt(0)
	v_mul_f64 v[113:114], v[217:218], v[115:116]
	v_fma_f64 v[113:114], v[215:216], v[213:214], -v[113:114]
	v_mul_f64 v[215:216], v[215:216], v[115:116]
	v_add_f64 v[109:110], v[109:110], -v[113:114]
	v_fma_f64 v[215:216], v[217:218], v[213:214], v[215:216]
	v_add_f64 v[111:112], v[111:112], -v[215:216]
	ds_read2_b64 v[215:218], v253 offset0:66 offset1:67
	s_waitcnt lgkmcnt(0)
	v_mul_f64 v[113:114], v[217:218], v[115:116]
	v_fma_f64 v[113:114], v[215:216], v[213:214], -v[113:114]
	v_mul_f64 v[215:216], v[215:216], v[115:116]
	v_add_f64 v[105:106], v[105:106], -v[113:114]
	v_fma_f64 v[215:216], v[217:218], v[213:214], v[215:216]
	v_add_f64 v[107:108], v[107:108], -v[215:216]
	ds_read2_b64 v[215:218], v253 offset0:68 offset1:69
	;; [unrolled: 8-line block ×27, first 2 shown]
	s_waitcnt lgkmcnt(0)
	v_mul_f64 v[113:114], v[217:218], v[115:116]
	v_fma_f64 v[113:114], v[215:216], v[213:214], -v[113:114]
	v_mul_f64 v[215:216], v[215:216], v[115:116]
	v_add_f64 v[1:2], v[1:2], -v[113:114]
	v_fma_f64 v[215:216], v[217:218], v[213:214], v[215:216]
	v_mov_b32_e32 v113, v213
	v_mov_b32_e32 v114, v214
	v_add_f64 v[3:4], v[3:4], -v[215:216]
.LBB119_289:
	s_or_b32 exec_lo, exec_lo, s1
	s_mov_b32 s2, exec_lo
	s_waitcnt_vscnt null, 0x0
	s_barrier
	buffer_gl0_inv
	v_cmpx_eq_u32_e32 32, v0
	s_cbranch_execz .LBB119_296
; %bb.290:
	ds_write2_b64 v255, v[109:110], v[111:112] offset1:1
	ds_write2_b64 v253, v[105:106], v[107:108] offset0:66 offset1:67
	ds_write2_b64 v253, v[101:102], v[103:104] offset0:68 offset1:69
	;; [unrolled: 1-line block ×27, first 2 shown]
	ds_read2_b64 v[213:216], v255 offset1:1
	s_waitcnt lgkmcnt(0)
	v_cmp_neq_f64_e32 vcc_lo, 0, v[213:214]
	v_cmp_neq_f64_e64 s1, 0, v[215:216]
	s_or_b32 s1, vcc_lo, s1
	s_and_b32 exec_lo, exec_lo, s1
	s_cbranch_execz .LBB119_296
; %bb.291:
	v_cmp_ngt_f64_e64 s1, |v[213:214]|, |v[215:216]|
                                        ; implicit-def: $vgpr217_vgpr218
	s_and_saveexec_b32 s3, s1
	s_xor_b32 s1, exec_lo, s3
                                        ; implicit-def: $vgpr219_vgpr220
	s_cbranch_execz .LBB119_293
; %bb.292:
	v_div_scale_f64 v[217:218], null, v[215:216], v[215:216], v[213:214]
	v_div_scale_f64 v[223:224], vcc_lo, v[213:214], v[215:216], v[213:214]
	v_rcp_f64_e32 v[219:220], v[217:218]
	v_fma_f64 v[221:222], -v[217:218], v[219:220], 1.0
	v_fma_f64 v[219:220], v[219:220], v[221:222], v[219:220]
	v_fma_f64 v[221:222], -v[217:218], v[219:220], 1.0
	v_fma_f64 v[219:220], v[219:220], v[221:222], v[219:220]
	v_mul_f64 v[221:222], v[223:224], v[219:220]
	v_fma_f64 v[217:218], -v[217:218], v[221:222], v[223:224]
	v_div_fmas_f64 v[217:218], v[217:218], v[219:220], v[221:222]
	v_div_fixup_f64 v[217:218], v[217:218], v[215:216], v[213:214]
	v_fma_f64 v[213:214], v[213:214], v[217:218], v[215:216]
	v_div_scale_f64 v[215:216], null, v[213:214], v[213:214], 1.0
	v_rcp_f64_e32 v[219:220], v[215:216]
	v_fma_f64 v[221:222], -v[215:216], v[219:220], 1.0
	v_fma_f64 v[219:220], v[219:220], v[221:222], v[219:220]
	v_fma_f64 v[221:222], -v[215:216], v[219:220], 1.0
	v_fma_f64 v[219:220], v[219:220], v[221:222], v[219:220]
	v_div_scale_f64 v[221:222], vcc_lo, 1.0, v[213:214], 1.0
	v_mul_f64 v[223:224], v[221:222], v[219:220]
	v_fma_f64 v[215:216], -v[215:216], v[223:224], v[221:222]
	v_div_fmas_f64 v[215:216], v[215:216], v[219:220], v[223:224]
	v_div_fixup_f64 v[219:220], v[215:216], v[213:214], 1.0
                                        ; implicit-def: $vgpr213_vgpr214
	v_mul_f64 v[217:218], v[217:218], v[219:220]
	v_xor_b32_e32 v220, 0x80000000, v220
.LBB119_293:
	s_andn2_saveexec_b32 s1, s1
	s_cbranch_execz .LBB119_295
; %bb.294:
	v_div_scale_f64 v[217:218], null, v[213:214], v[213:214], v[215:216]
	v_div_scale_f64 v[223:224], vcc_lo, v[215:216], v[213:214], v[215:216]
	v_rcp_f64_e32 v[219:220], v[217:218]
	v_fma_f64 v[221:222], -v[217:218], v[219:220], 1.0
	v_fma_f64 v[219:220], v[219:220], v[221:222], v[219:220]
	v_fma_f64 v[221:222], -v[217:218], v[219:220], 1.0
	v_fma_f64 v[219:220], v[219:220], v[221:222], v[219:220]
	v_mul_f64 v[221:222], v[223:224], v[219:220]
	v_fma_f64 v[217:218], -v[217:218], v[221:222], v[223:224]
	v_div_fmas_f64 v[217:218], v[217:218], v[219:220], v[221:222]
	v_div_fixup_f64 v[219:220], v[217:218], v[213:214], v[215:216]
	v_fma_f64 v[213:214], v[215:216], v[219:220], v[213:214]
	v_div_scale_f64 v[215:216], null, v[213:214], v[213:214], 1.0
	v_rcp_f64_e32 v[217:218], v[215:216]
	v_fma_f64 v[221:222], -v[215:216], v[217:218], 1.0
	v_fma_f64 v[217:218], v[217:218], v[221:222], v[217:218]
	v_fma_f64 v[221:222], -v[215:216], v[217:218], 1.0
	v_fma_f64 v[217:218], v[217:218], v[221:222], v[217:218]
	v_div_scale_f64 v[221:222], vcc_lo, 1.0, v[213:214], 1.0
	v_mul_f64 v[223:224], v[221:222], v[217:218]
	v_fma_f64 v[215:216], -v[215:216], v[223:224], v[221:222]
	v_div_fmas_f64 v[215:216], v[215:216], v[217:218], v[223:224]
	v_div_fixup_f64 v[217:218], v[215:216], v[213:214], 1.0
	v_mul_f64 v[219:220], v[219:220], -v[217:218]
.LBB119_295:
	s_or_b32 exec_lo, exec_lo, s1
	ds_write2_b64 v255, v[217:218], v[219:220] offset1:1
.LBB119_296:
	s_or_b32 exec_lo, exec_lo, s2
	s_waitcnt lgkmcnt(0)
	s_barrier
	buffer_gl0_inv
	ds_read2_b64 v[193:196], v255 offset1:1
	s_mov_b32 s1, exec_lo
	s_waitcnt lgkmcnt(0)
	buffer_store_dword v193, off, s[16:19], 0 offset:1088 ; 4-byte Folded Spill
	buffer_store_dword v194, off, s[16:19], 0 offset:1092 ; 4-byte Folded Spill
	;; [unrolled: 1-line block ×4, first 2 shown]
	v_cmpx_lt_u32_e32 32, v0
	s_cbranch_execz .LBB119_298
; %bb.297:
	s_clause 0x3
	buffer_load_dword v193, off, s[16:19], 0 offset:1088
	buffer_load_dword v194, off, s[16:19], 0 offset:1092
	;; [unrolled: 1-line block ×4, first 2 shown]
	ds_read2_b64 v[215:218], v253 offset0:66 offset1:67
	s_waitcnt vmcnt(0)
	v_mul_f64 v[213:214], v[195:196], v[111:112]
	v_mul_f64 v[111:112], v[193:194], v[111:112]
	v_fma_f64 v[213:214], v[193:194], v[109:110], -v[213:214]
	v_fma_f64 v[111:112], v[195:196], v[109:110], v[111:112]
	s_waitcnt lgkmcnt(0)
	v_mul_f64 v[109:110], v[217:218], v[111:112]
	v_fma_f64 v[109:110], v[215:216], v[213:214], -v[109:110]
	v_mul_f64 v[215:216], v[215:216], v[111:112]
	v_add_f64 v[105:106], v[105:106], -v[109:110]
	v_fma_f64 v[215:216], v[217:218], v[213:214], v[215:216]
	v_add_f64 v[107:108], v[107:108], -v[215:216]
	ds_read2_b64 v[215:218], v253 offset0:68 offset1:69
	s_waitcnt lgkmcnt(0)
	v_mul_f64 v[109:110], v[217:218], v[111:112]
	v_fma_f64 v[109:110], v[215:216], v[213:214], -v[109:110]
	v_mul_f64 v[215:216], v[215:216], v[111:112]
	v_add_f64 v[101:102], v[101:102], -v[109:110]
	v_fma_f64 v[215:216], v[217:218], v[213:214], v[215:216]
	v_add_f64 v[103:104], v[103:104], -v[215:216]
	ds_read2_b64 v[215:218], v253 offset0:70 offset1:71
	;; [unrolled: 8-line block ×26, first 2 shown]
	s_waitcnt lgkmcnt(0)
	v_mul_f64 v[109:110], v[217:218], v[111:112]
	v_fma_f64 v[109:110], v[215:216], v[213:214], -v[109:110]
	v_mul_f64 v[215:216], v[215:216], v[111:112]
	v_add_f64 v[1:2], v[1:2], -v[109:110]
	v_fma_f64 v[215:216], v[217:218], v[213:214], v[215:216]
	v_mov_b32_e32 v109, v213
	v_mov_b32_e32 v110, v214
	v_add_f64 v[3:4], v[3:4], -v[215:216]
.LBB119_298:
	s_or_b32 exec_lo, exec_lo, s1
	s_mov_b32 s2, exec_lo
	s_waitcnt_vscnt null, 0x0
	s_barrier
	buffer_gl0_inv
	v_cmpx_eq_u32_e32 33, v0
	s_cbranch_execz .LBB119_305
; %bb.299:
	ds_write2_b64 v255, v[105:106], v[107:108] offset1:1
	ds_write2_b64 v253, v[101:102], v[103:104] offset0:68 offset1:69
	ds_write2_b64 v253, v[97:98], v[99:100] offset0:70 offset1:71
	;; [unrolled: 1-line block ×26, first 2 shown]
	ds_read2_b64 v[213:216], v255 offset1:1
	s_waitcnt lgkmcnt(0)
	v_cmp_neq_f64_e32 vcc_lo, 0, v[213:214]
	v_cmp_neq_f64_e64 s1, 0, v[215:216]
	s_or_b32 s1, vcc_lo, s1
	s_and_b32 exec_lo, exec_lo, s1
	s_cbranch_execz .LBB119_305
; %bb.300:
	v_cmp_ngt_f64_e64 s1, |v[213:214]|, |v[215:216]|
                                        ; implicit-def: $vgpr217_vgpr218
	s_and_saveexec_b32 s3, s1
	s_xor_b32 s1, exec_lo, s3
                                        ; implicit-def: $vgpr219_vgpr220
	s_cbranch_execz .LBB119_302
; %bb.301:
	v_div_scale_f64 v[217:218], null, v[215:216], v[215:216], v[213:214]
	v_div_scale_f64 v[223:224], vcc_lo, v[213:214], v[215:216], v[213:214]
	v_rcp_f64_e32 v[219:220], v[217:218]
	v_fma_f64 v[221:222], -v[217:218], v[219:220], 1.0
	v_fma_f64 v[219:220], v[219:220], v[221:222], v[219:220]
	v_fma_f64 v[221:222], -v[217:218], v[219:220], 1.0
	v_fma_f64 v[219:220], v[219:220], v[221:222], v[219:220]
	v_mul_f64 v[221:222], v[223:224], v[219:220]
	v_fma_f64 v[217:218], -v[217:218], v[221:222], v[223:224]
	v_div_fmas_f64 v[217:218], v[217:218], v[219:220], v[221:222]
	v_div_fixup_f64 v[217:218], v[217:218], v[215:216], v[213:214]
	v_fma_f64 v[213:214], v[213:214], v[217:218], v[215:216]
	v_div_scale_f64 v[215:216], null, v[213:214], v[213:214], 1.0
	v_rcp_f64_e32 v[219:220], v[215:216]
	v_fma_f64 v[221:222], -v[215:216], v[219:220], 1.0
	v_fma_f64 v[219:220], v[219:220], v[221:222], v[219:220]
	v_fma_f64 v[221:222], -v[215:216], v[219:220], 1.0
	v_fma_f64 v[219:220], v[219:220], v[221:222], v[219:220]
	v_div_scale_f64 v[221:222], vcc_lo, 1.0, v[213:214], 1.0
	v_mul_f64 v[223:224], v[221:222], v[219:220]
	v_fma_f64 v[215:216], -v[215:216], v[223:224], v[221:222]
	v_div_fmas_f64 v[215:216], v[215:216], v[219:220], v[223:224]
	v_div_fixup_f64 v[219:220], v[215:216], v[213:214], 1.0
                                        ; implicit-def: $vgpr213_vgpr214
	v_mul_f64 v[217:218], v[217:218], v[219:220]
	v_xor_b32_e32 v220, 0x80000000, v220
.LBB119_302:
	s_andn2_saveexec_b32 s1, s1
	s_cbranch_execz .LBB119_304
; %bb.303:
	v_div_scale_f64 v[217:218], null, v[213:214], v[213:214], v[215:216]
	v_div_scale_f64 v[223:224], vcc_lo, v[215:216], v[213:214], v[215:216]
	v_rcp_f64_e32 v[219:220], v[217:218]
	v_fma_f64 v[221:222], -v[217:218], v[219:220], 1.0
	v_fma_f64 v[219:220], v[219:220], v[221:222], v[219:220]
	v_fma_f64 v[221:222], -v[217:218], v[219:220], 1.0
	v_fma_f64 v[219:220], v[219:220], v[221:222], v[219:220]
	v_mul_f64 v[221:222], v[223:224], v[219:220]
	v_fma_f64 v[217:218], -v[217:218], v[221:222], v[223:224]
	v_div_fmas_f64 v[217:218], v[217:218], v[219:220], v[221:222]
	v_div_fixup_f64 v[219:220], v[217:218], v[213:214], v[215:216]
	v_fma_f64 v[213:214], v[215:216], v[219:220], v[213:214]
	v_div_scale_f64 v[215:216], null, v[213:214], v[213:214], 1.0
	v_rcp_f64_e32 v[217:218], v[215:216]
	v_fma_f64 v[221:222], -v[215:216], v[217:218], 1.0
	v_fma_f64 v[217:218], v[217:218], v[221:222], v[217:218]
	v_fma_f64 v[221:222], -v[215:216], v[217:218], 1.0
	v_fma_f64 v[217:218], v[217:218], v[221:222], v[217:218]
	v_div_scale_f64 v[221:222], vcc_lo, 1.0, v[213:214], 1.0
	v_mul_f64 v[223:224], v[221:222], v[217:218]
	v_fma_f64 v[215:216], -v[215:216], v[223:224], v[221:222]
	v_div_fmas_f64 v[215:216], v[215:216], v[217:218], v[223:224]
	v_div_fixup_f64 v[217:218], v[215:216], v[213:214], 1.0
	v_mul_f64 v[219:220], v[219:220], -v[217:218]
.LBB119_304:
	s_or_b32 exec_lo, exec_lo, s1
	ds_write2_b64 v255, v[217:218], v[219:220] offset1:1
.LBB119_305:
	s_or_b32 exec_lo, exec_lo, s2
	s_waitcnt lgkmcnt(0)
	s_barrier
	buffer_gl0_inv
	ds_read2_b64 v[193:196], v255 offset1:1
	s_mov_b32 s1, exec_lo
	s_waitcnt lgkmcnt(0)
	buffer_store_dword v193, off, s[16:19], 0 offset:1104 ; 4-byte Folded Spill
	buffer_store_dword v194, off, s[16:19], 0 offset:1108 ; 4-byte Folded Spill
	;; [unrolled: 1-line block ×4, first 2 shown]
	v_cmpx_lt_u32_e32 33, v0
	s_cbranch_execz .LBB119_307
; %bb.306:
	s_clause 0x3
	buffer_load_dword v193, off, s[16:19], 0 offset:1104
	buffer_load_dword v194, off, s[16:19], 0 offset:1108
	;; [unrolled: 1-line block ×4, first 2 shown]
	ds_read2_b64 v[215:218], v253 offset0:68 offset1:69
	s_waitcnt vmcnt(0)
	v_mul_f64 v[213:214], v[195:196], v[107:108]
	v_mul_f64 v[107:108], v[193:194], v[107:108]
	v_fma_f64 v[213:214], v[193:194], v[105:106], -v[213:214]
	v_fma_f64 v[107:108], v[195:196], v[105:106], v[107:108]
	s_waitcnt lgkmcnt(0)
	v_mul_f64 v[105:106], v[217:218], v[107:108]
	v_fma_f64 v[105:106], v[215:216], v[213:214], -v[105:106]
	v_mul_f64 v[215:216], v[215:216], v[107:108]
	v_add_f64 v[101:102], v[101:102], -v[105:106]
	v_fma_f64 v[215:216], v[217:218], v[213:214], v[215:216]
	v_add_f64 v[103:104], v[103:104], -v[215:216]
	ds_read2_b64 v[215:218], v253 offset0:70 offset1:71
	s_waitcnt lgkmcnt(0)
	v_mul_f64 v[105:106], v[217:218], v[107:108]
	v_fma_f64 v[105:106], v[215:216], v[213:214], -v[105:106]
	v_mul_f64 v[215:216], v[215:216], v[107:108]
	v_add_f64 v[97:98], v[97:98], -v[105:106]
	v_fma_f64 v[215:216], v[217:218], v[213:214], v[215:216]
	v_add_f64 v[99:100], v[99:100], -v[215:216]
	ds_read2_b64 v[215:218], v253 offset0:72 offset1:73
	;; [unrolled: 8-line block ×25, first 2 shown]
	s_waitcnt lgkmcnt(0)
	v_mul_f64 v[105:106], v[217:218], v[107:108]
	v_fma_f64 v[105:106], v[215:216], v[213:214], -v[105:106]
	v_mul_f64 v[215:216], v[215:216], v[107:108]
	v_add_f64 v[1:2], v[1:2], -v[105:106]
	v_fma_f64 v[215:216], v[217:218], v[213:214], v[215:216]
	v_mov_b32_e32 v105, v213
	v_mov_b32_e32 v106, v214
	v_add_f64 v[3:4], v[3:4], -v[215:216]
.LBB119_307:
	s_or_b32 exec_lo, exec_lo, s1
	s_mov_b32 s2, exec_lo
	s_waitcnt_vscnt null, 0x0
	s_barrier
	buffer_gl0_inv
	v_cmpx_eq_u32_e32 34, v0
	s_cbranch_execz .LBB119_314
; %bb.308:
	ds_write2_b64 v255, v[101:102], v[103:104] offset1:1
	ds_write2_b64 v253, v[97:98], v[99:100] offset0:70 offset1:71
	ds_write2_b64 v253, v[93:94], v[95:96] offset0:72 offset1:73
	;; [unrolled: 1-line block ×25, first 2 shown]
	ds_read2_b64 v[213:216], v255 offset1:1
	s_waitcnt lgkmcnt(0)
	v_cmp_neq_f64_e32 vcc_lo, 0, v[213:214]
	v_cmp_neq_f64_e64 s1, 0, v[215:216]
	s_or_b32 s1, vcc_lo, s1
	s_and_b32 exec_lo, exec_lo, s1
	s_cbranch_execz .LBB119_314
; %bb.309:
	v_cmp_ngt_f64_e64 s1, |v[213:214]|, |v[215:216]|
                                        ; implicit-def: $vgpr217_vgpr218
	s_and_saveexec_b32 s3, s1
	s_xor_b32 s1, exec_lo, s3
                                        ; implicit-def: $vgpr219_vgpr220
	s_cbranch_execz .LBB119_311
; %bb.310:
	v_div_scale_f64 v[217:218], null, v[215:216], v[215:216], v[213:214]
	v_div_scale_f64 v[223:224], vcc_lo, v[213:214], v[215:216], v[213:214]
	v_rcp_f64_e32 v[219:220], v[217:218]
	v_fma_f64 v[221:222], -v[217:218], v[219:220], 1.0
	v_fma_f64 v[219:220], v[219:220], v[221:222], v[219:220]
	v_fma_f64 v[221:222], -v[217:218], v[219:220], 1.0
	v_fma_f64 v[219:220], v[219:220], v[221:222], v[219:220]
	v_mul_f64 v[221:222], v[223:224], v[219:220]
	v_fma_f64 v[217:218], -v[217:218], v[221:222], v[223:224]
	v_div_fmas_f64 v[217:218], v[217:218], v[219:220], v[221:222]
	v_div_fixup_f64 v[217:218], v[217:218], v[215:216], v[213:214]
	v_fma_f64 v[213:214], v[213:214], v[217:218], v[215:216]
	v_div_scale_f64 v[215:216], null, v[213:214], v[213:214], 1.0
	v_rcp_f64_e32 v[219:220], v[215:216]
	v_fma_f64 v[221:222], -v[215:216], v[219:220], 1.0
	v_fma_f64 v[219:220], v[219:220], v[221:222], v[219:220]
	v_fma_f64 v[221:222], -v[215:216], v[219:220], 1.0
	v_fma_f64 v[219:220], v[219:220], v[221:222], v[219:220]
	v_div_scale_f64 v[221:222], vcc_lo, 1.0, v[213:214], 1.0
	v_mul_f64 v[223:224], v[221:222], v[219:220]
	v_fma_f64 v[215:216], -v[215:216], v[223:224], v[221:222]
	v_div_fmas_f64 v[215:216], v[215:216], v[219:220], v[223:224]
	v_div_fixup_f64 v[219:220], v[215:216], v[213:214], 1.0
                                        ; implicit-def: $vgpr213_vgpr214
	v_mul_f64 v[217:218], v[217:218], v[219:220]
	v_xor_b32_e32 v220, 0x80000000, v220
.LBB119_311:
	s_andn2_saveexec_b32 s1, s1
	s_cbranch_execz .LBB119_313
; %bb.312:
	v_div_scale_f64 v[217:218], null, v[213:214], v[213:214], v[215:216]
	v_div_scale_f64 v[223:224], vcc_lo, v[215:216], v[213:214], v[215:216]
	v_rcp_f64_e32 v[219:220], v[217:218]
	v_fma_f64 v[221:222], -v[217:218], v[219:220], 1.0
	v_fma_f64 v[219:220], v[219:220], v[221:222], v[219:220]
	v_fma_f64 v[221:222], -v[217:218], v[219:220], 1.0
	v_fma_f64 v[219:220], v[219:220], v[221:222], v[219:220]
	v_mul_f64 v[221:222], v[223:224], v[219:220]
	v_fma_f64 v[217:218], -v[217:218], v[221:222], v[223:224]
	v_div_fmas_f64 v[217:218], v[217:218], v[219:220], v[221:222]
	v_div_fixup_f64 v[219:220], v[217:218], v[213:214], v[215:216]
	v_fma_f64 v[213:214], v[215:216], v[219:220], v[213:214]
	v_div_scale_f64 v[215:216], null, v[213:214], v[213:214], 1.0
	v_rcp_f64_e32 v[217:218], v[215:216]
	v_fma_f64 v[221:222], -v[215:216], v[217:218], 1.0
	v_fma_f64 v[217:218], v[217:218], v[221:222], v[217:218]
	v_fma_f64 v[221:222], -v[215:216], v[217:218], 1.0
	v_fma_f64 v[217:218], v[217:218], v[221:222], v[217:218]
	v_div_scale_f64 v[221:222], vcc_lo, 1.0, v[213:214], 1.0
	v_mul_f64 v[223:224], v[221:222], v[217:218]
	v_fma_f64 v[215:216], -v[215:216], v[223:224], v[221:222]
	v_div_fmas_f64 v[215:216], v[215:216], v[217:218], v[223:224]
	v_div_fixup_f64 v[217:218], v[215:216], v[213:214], 1.0
	v_mul_f64 v[219:220], v[219:220], -v[217:218]
.LBB119_313:
	s_or_b32 exec_lo, exec_lo, s1
	ds_write2_b64 v255, v[217:218], v[219:220] offset1:1
.LBB119_314:
	s_or_b32 exec_lo, exec_lo, s2
	s_waitcnt lgkmcnt(0)
	s_barrier
	buffer_gl0_inv
	ds_read2_b64 v[193:196], v255 offset1:1
	s_mov_b32 s1, exec_lo
	s_waitcnt lgkmcnt(0)
	buffer_store_dword v193, off, s[16:19], 0 offset:1120 ; 4-byte Folded Spill
	buffer_store_dword v194, off, s[16:19], 0 offset:1124 ; 4-byte Folded Spill
	;; [unrolled: 1-line block ×4, first 2 shown]
	v_cmpx_lt_u32_e32 34, v0
	s_cbranch_execz .LBB119_316
; %bb.315:
	s_clause 0x3
	buffer_load_dword v193, off, s[16:19], 0 offset:1120
	buffer_load_dword v194, off, s[16:19], 0 offset:1124
	;; [unrolled: 1-line block ×4, first 2 shown]
	ds_read2_b64 v[215:218], v253 offset0:70 offset1:71
	s_waitcnt vmcnt(0)
	v_mul_f64 v[213:214], v[195:196], v[103:104]
	v_mul_f64 v[103:104], v[193:194], v[103:104]
	v_fma_f64 v[213:214], v[193:194], v[101:102], -v[213:214]
	v_fma_f64 v[103:104], v[195:196], v[101:102], v[103:104]
	s_waitcnt lgkmcnt(0)
	v_mul_f64 v[101:102], v[217:218], v[103:104]
	v_fma_f64 v[101:102], v[215:216], v[213:214], -v[101:102]
	v_mul_f64 v[215:216], v[215:216], v[103:104]
	v_add_f64 v[97:98], v[97:98], -v[101:102]
	v_fma_f64 v[215:216], v[217:218], v[213:214], v[215:216]
	v_add_f64 v[99:100], v[99:100], -v[215:216]
	ds_read2_b64 v[215:218], v253 offset0:72 offset1:73
	s_waitcnt lgkmcnt(0)
	v_mul_f64 v[101:102], v[217:218], v[103:104]
	v_fma_f64 v[101:102], v[215:216], v[213:214], -v[101:102]
	v_mul_f64 v[215:216], v[215:216], v[103:104]
	v_add_f64 v[93:94], v[93:94], -v[101:102]
	v_fma_f64 v[215:216], v[217:218], v[213:214], v[215:216]
	v_add_f64 v[95:96], v[95:96], -v[215:216]
	ds_read2_b64 v[215:218], v253 offset0:74 offset1:75
	;; [unrolled: 8-line block ×24, first 2 shown]
	s_waitcnt lgkmcnt(0)
	v_mul_f64 v[101:102], v[217:218], v[103:104]
	v_fma_f64 v[101:102], v[215:216], v[213:214], -v[101:102]
	v_mul_f64 v[215:216], v[215:216], v[103:104]
	v_add_f64 v[1:2], v[1:2], -v[101:102]
	v_fma_f64 v[215:216], v[217:218], v[213:214], v[215:216]
	v_mov_b32_e32 v101, v213
	v_mov_b32_e32 v102, v214
	v_add_f64 v[3:4], v[3:4], -v[215:216]
.LBB119_316:
	s_or_b32 exec_lo, exec_lo, s1
	s_mov_b32 s2, exec_lo
	s_waitcnt_vscnt null, 0x0
	s_barrier
	buffer_gl0_inv
	v_cmpx_eq_u32_e32 35, v0
	s_cbranch_execz .LBB119_323
; %bb.317:
	ds_write2_b64 v255, v[97:98], v[99:100] offset1:1
	ds_write2_b64 v253, v[93:94], v[95:96] offset0:72 offset1:73
	ds_write2_b64 v253, v[89:90], v[91:92] offset0:74 offset1:75
	;; [unrolled: 1-line block ×24, first 2 shown]
	ds_read2_b64 v[213:216], v255 offset1:1
	s_waitcnt lgkmcnt(0)
	v_cmp_neq_f64_e32 vcc_lo, 0, v[213:214]
	v_cmp_neq_f64_e64 s1, 0, v[215:216]
	s_or_b32 s1, vcc_lo, s1
	s_and_b32 exec_lo, exec_lo, s1
	s_cbranch_execz .LBB119_323
; %bb.318:
	v_cmp_ngt_f64_e64 s1, |v[213:214]|, |v[215:216]|
                                        ; implicit-def: $vgpr217_vgpr218
	s_and_saveexec_b32 s3, s1
	s_xor_b32 s1, exec_lo, s3
                                        ; implicit-def: $vgpr219_vgpr220
	s_cbranch_execz .LBB119_320
; %bb.319:
	v_div_scale_f64 v[217:218], null, v[215:216], v[215:216], v[213:214]
	v_div_scale_f64 v[223:224], vcc_lo, v[213:214], v[215:216], v[213:214]
	v_rcp_f64_e32 v[219:220], v[217:218]
	v_fma_f64 v[221:222], -v[217:218], v[219:220], 1.0
	v_fma_f64 v[219:220], v[219:220], v[221:222], v[219:220]
	v_fma_f64 v[221:222], -v[217:218], v[219:220], 1.0
	v_fma_f64 v[219:220], v[219:220], v[221:222], v[219:220]
	v_mul_f64 v[221:222], v[223:224], v[219:220]
	v_fma_f64 v[217:218], -v[217:218], v[221:222], v[223:224]
	v_div_fmas_f64 v[217:218], v[217:218], v[219:220], v[221:222]
	v_div_fixup_f64 v[217:218], v[217:218], v[215:216], v[213:214]
	v_fma_f64 v[213:214], v[213:214], v[217:218], v[215:216]
	v_div_scale_f64 v[215:216], null, v[213:214], v[213:214], 1.0
	v_rcp_f64_e32 v[219:220], v[215:216]
	v_fma_f64 v[221:222], -v[215:216], v[219:220], 1.0
	v_fma_f64 v[219:220], v[219:220], v[221:222], v[219:220]
	v_fma_f64 v[221:222], -v[215:216], v[219:220], 1.0
	v_fma_f64 v[219:220], v[219:220], v[221:222], v[219:220]
	v_div_scale_f64 v[221:222], vcc_lo, 1.0, v[213:214], 1.0
	v_mul_f64 v[223:224], v[221:222], v[219:220]
	v_fma_f64 v[215:216], -v[215:216], v[223:224], v[221:222]
	v_div_fmas_f64 v[215:216], v[215:216], v[219:220], v[223:224]
	v_div_fixup_f64 v[219:220], v[215:216], v[213:214], 1.0
                                        ; implicit-def: $vgpr213_vgpr214
	v_mul_f64 v[217:218], v[217:218], v[219:220]
	v_xor_b32_e32 v220, 0x80000000, v220
.LBB119_320:
	s_andn2_saveexec_b32 s1, s1
	s_cbranch_execz .LBB119_322
; %bb.321:
	v_div_scale_f64 v[217:218], null, v[213:214], v[213:214], v[215:216]
	v_div_scale_f64 v[223:224], vcc_lo, v[215:216], v[213:214], v[215:216]
	v_rcp_f64_e32 v[219:220], v[217:218]
	v_fma_f64 v[221:222], -v[217:218], v[219:220], 1.0
	v_fma_f64 v[219:220], v[219:220], v[221:222], v[219:220]
	v_fma_f64 v[221:222], -v[217:218], v[219:220], 1.0
	v_fma_f64 v[219:220], v[219:220], v[221:222], v[219:220]
	v_mul_f64 v[221:222], v[223:224], v[219:220]
	v_fma_f64 v[217:218], -v[217:218], v[221:222], v[223:224]
	v_div_fmas_f64 v[217:218], v[217:218], v[219:220], v[221:222]
	v_div_fixup_f64 v[219:220], v[217:218], v[213:214], v[215:216]
	v_fma_f64 v[213:214], v[215:216], v[219:220], v[213:214]
	v_div_scale_f64 v[215:216], null, v[213:214], v[213:214], 1.0
	v_rcp_f64_e32 v[217:218], v[215:216]
	v_fma_f64 v[221:222], -v[215:216], v[217:218], 1.0
	v_fma_f64 v[217:218], v[217:218], v[221:222], v[217:218]
	v_fma_f64 v[221:222], -v[215:216], v[217:218], 1.0
	v_fma_f64 v[217:218], v[217:218], v[221:222], v[217:218]
	v_div_scale_f64 v[221:222], vcc_lo, 1.0, v[213:214], 1.0
	v_mul_f64 v[223:224], v[221:222], v[217:218]
	v_fma_f64 v[215:216], -v[215:216], v[223:224], v[221:222]
	v_div_fmas_f64 v[215:216], v[215:216], v[217:218], v[223:224]
	v_div_fixup_f64 v[217:218], v[215:216], v[213:214], 1.0
	v_mul_f64 v[219:220], v[219:220], -v[217:218]
.LBB119_322:
	s_or_b32 exec_lo, exec_lo, s1
	ds_write2_b64 v255, v[217:218], v[219:220] offset1:1
.LBB119_323:
	s_or_b32 exec_lo, exec_lo, s2
	s_waitcnt lgkmcnt(0)
	s_barrier
	buffer_gl0_inv
	ds_read2_b64 v[193:196], v255 offset1:1
	s_mov_b32 s1, exec_lo
	s_waitcnt lgkmcnt(0)
	buffer_store_dword v193, off, s[16:19], 0 offset:1136 ; 4-byte Folded Spill
	buffer_store_dword v194, off, s[16:19], 0 offset:1140 ; 4-byte Folded Spill
	;; [unrolled: 1-line block ×4, first 2 shown]
	v_cmpx_lt_u32_e32 35, v0
	s_cbranch_execz .LBB119_325
; %bb.324:
	s_clause 0x3
	buffer_load_dword v193, off, s[16:19], 0 offset:1136
	buffer_load_dword v194, off, s[16:19], 0 offset:1140
	;; [unrolled: 1-line block ×4, first 2 shown]
	ds_read2_b64 v[215:218], v253 offset0:72 offset1:73
	s_waitcnt vmcnt(0)
	v_mul_f64 v[213:214], v[195:196], v[99:100]
	v_mul_f64 v[99:100], v[193:194], v[99:100]
	v_fma_f64 v[213:214], v[193:194], v[97:98], -v[213:214]
	v_fma_f64 v[99:100], v[195:196], v[97:98], v[99:100]
	s_waitcnt lgkmcnt(0)
	v_mul_f64 v[97:98], v[217:218], v[99:100]
	v_fma_f64 v[97:98], v[215:216], v[213:214], -v[97:98]
	v_mul_f64 v[215:216], v[215:216], v[99:100]
	v_add_f64 v[93:94], v[93:94], -v[97:98]
	v_fma_f64 v[215:216], v[217:218], v[213:214], v[215:216]
	v_add_f64 v[95:96], v[95:96], -v[215:216]
	ds_read2_b64 v[215:218], v253 offset0:74 offset1:75
	s_waitcnt lgkmcnt(0)
	v_mul_f64 v[97:98], v[217:218], v[99:100]
	v_fma_f64 v[97:98], v[215:216], v[213:214], -v[97:98]
	v_mul_f64 v[215:216], v[215:216], v[99:100]
	v_add_f64 v[89:90], v[89:90], -v[97:98]
	v_fma_f64 v[215:216], v[217:218], v[213:214], v[215:216]
	v_add_f64 v[91:92], v[91:92], -v[215:216]
	ds_read2_b64 v[215:218], v253 offset0:76 offset1:77
	;; [unrolled: 8-line block ×23, first 2 shown]
	s_waitcnt lgkmcnt(0)
	v_mul_f64 v[97:98], v[217:218], v[99:100]
	v_fma_f64 v[97:98], v[215:216], v[213:214], -v[97:98]
	v_mul_f64 v[215:216], v[215:216], v[99:100]
	v_add_f64 v[1:2], v[1:2], -v[97:98]
	v_fma_f64 v[215:216], v[217:218], v[213:214], v[215:216]
	v_mov_b32_e32 v97, v213
	v_mov_b32_e32 v98, v214
	v_add_f64 v[3:4], v[3:4], -v[215:216]
.LBB119_325:
	s_or_b32 exec_lo, exec_lo, s1
	s_mov_b32 s2, exec_lo
	s_waitcnt_vscnt null, 0x0
	s_barrier
	buffer_gl0_inv
	v_cmpx_eq_u32_e32 36, v0
	s_cbranch_execz .LBB119_332
; %bb.326:
	ds_write2_b64 v255, v[93:94], v[95:96] offset1:1
	ds_write2_b64 v253, v[89:90], v[91:92] offset0:74 offset1:75
	ds_write2_b64 v253, v[85:86], v[87:88] offset0:76 offset1:77
	;; [unrolled: 1-line block ×23, first 2 shown]
	ds_read2_b64 v[213:216], v255 offset1:1
	s_waitcnt lgkmcnt(0)
	v_cmp_neq_f64_e32 vcc_lo, 0, v[213:214]
	v_cmp_neq_f64_e64 s1, 0, v[215:216]
	s_or_b32 s1, vcc_lo, s1
	s_and_b32 exec_lo, exec_lo, s1
	s_cbranch_execz .LBB119_332
; %bb.327:
	v_cmp_ngt_f64_e64 s1, |v[213:214]|, |v[215:216]|
                                        ; implicit-def: $vgpr217_vgpr218
	s_and_saveexec_b32 s3, s1
	s_xor_b32 s1, exec_lo, s3
                                        ; implicit-def: $vgpr219_vgpr220
	s_cbranch_execz .LBB119_329
; %bb.328:
	v_div_scale_f64 v[217:218], null, v[215:216], v[215:216], v[213:214]
	v_div_scale_f64 v[223:224], vcc_lo, v[213:214], v[215:216], v[213:214]
	v_rcp_f64_e32 v[219:220], v[217:218]
	v_fma_f64 v[221:222], -v[217:218], v[219:220], 1.0
	v_fma_f64 v[219:220], v[219:220], v[221:222], v[219:220]
	v_fma_f64 v[221:222], -v[217:218], v[219:220], 1.0
	v_fma_f64 v[219:220], v[219:220], v[221:222], v[219:220]
	v_mul_f64 v[221:222], v[223:224], v[219:220]
	v_fma_f64 v[217:218], -v[217:218], v[221:222], v[223:224]
	v_div_fmas_f64 v[217:218], v[217:218], v[219:220], v[221:222]
	v_div_fixup_f64 v[217:218], v[217:218], v[215:216], v[213:214]
	v_fma_f64 v[213:214], v[213:214], v[217:218], v[215:216]
	v_div_scale_f64 v[215:216], null, v[213:214], v[213:214], 1.0
	v_rcp_f64_e32 v[219:220], v[215:216]
	v_fma_f64 v[221:222], -v[215:216], v[219:220], 1.0
	v_fma_f64 v[219:220], v[219:220], v[221:222], v[219:220]
	v_fma_f64 v[221:222], -v[215:216], v[219:220], 1.0
	v_fma_f64 v[219:220], v[219:220], v[221:222], v[219:220]
	v_div_scale_f64 v[221:222], vcc_lo, 1.0, v[213:214], 1.0
	v_mul_f64 v[223:224], v[221:222], v[219:220]
	v_fma_f64 v[215:216], -v[215:216], v[223:224], v[221:222]
	v_div_fmas_f64 v[215:216], v[215:216], v[219:220], v[223:224]
	v_div_fixup_f64 v[219:220], v[215:216], v[213:214], 1.0
                                        ; implicit-def: $vgpr213_vgpr214
	v_mul_f64 v[217:218], v[217:218], v[219:220]
	v_xor_b32_e32 v220, 0x80000000, v220
.LBB119_329:
	s_andn2_saveexec_b32 s1, s1
	s_cbranch_execz .LBB119_331
; %bb.330:
	v_div_scale_f64 v[217:218], null, v[213:214], v[213:214], v[215:216]
	v_div_scale_f64 v[223:224], vcc_lo, v[215:216], v[213:214], v[215:216]
	v_rcp_f64_e32 v[219:220], v[217:218]
	v_fma_f64 v[221:222], -v[217:218], v[219:220], 1.0
	v_fma_f64 v[219:220], v[219:220], v[221:222], v[219:220]
	v_fma_f64 v[221:222], -v[217:218], v[219:220], 1.0
	v_fma_f64 v[219:220], v[219:220], v[221:222], v[219:220]
	v_mul_f64 v[221:222], v[223:224], v[219:220]
	v_fma_f64 v[217:218], -v[217:218], v[221:222], v[223:224]
	v_div_fmas_f64 v[217:218], v[217:218], v[219:220], v[221:222]
	v_div_fixup_f64 v[219:220], v[217:218], v[213:214], v[215:216]
	v_fma_f64 v[213:214], v[215:216], v[219:220], v[213:214]
	v_div_scale_f64 v[215:216], null, v[213:214], v[213:214], 1.0
	v_rcp_f64_e32 v[217:218], v[215:216]
	v_fma_f64 v[221:222], -v[215:216], v[217:218], 1.0
	v_fma_f64 v[217:218], v[217:218], v[221:222], v[217:218]
	v_fma_f64 v[221:222], -v[215:216], v[217:218], 1.0
	v_fma_f64 v[217:218], v[217:218], v[221:222], v[217:218]
	v_div_scale_f64 v[221:222], vcc_lo, 1.0, v[213:214], 1.0
	v_mul_f64 v[223:224], v[221:222], v[217:218]
	v_fma_f64 v[215:216], -v[215:216], v[223:224], v[221:222]
	v_div_fmas_f64 v[215:216], v[215:216], v[217:218], v[223:224]
	v_div_fixup_f64 v[217:218], v[215:216], v[213:214], 1.0
	v_mul_f64 v[219:220], v[219:220], -v[217:218]
.LBB119_331:
	s_or_b32 exec_lo, exec_lo, s1
	ds_write2_b64 v255, v[217:218], v[219:220] offset1:1
.LBB119_332:
	s_or_b32 exec_lo, exec_lo, s2
	s_waitcnt lgkmcnt(0)
	s_barrier
	buffer_gl0_inv
	ds_read2_b64 v[193:196], v255 offset1:1
	s_mov_b32 s1, exec_lo
	s_waitcnt lgkmcnt(0)
	buffer_store_dword v193, off, s[16:19], 0 offset:1152 ; 4-byte Folded Spill
	buffer_store_dword v194, off, s[16:19], 0 offset:1156 ; 4-byte Folded Spill
	buffer_store_dword v195, off, s[16:19], 0 offset:1160 ; 4-byte Folded Spill
	buffer_store_dword v196, off, s[16:19], 0 offset:1164 ; 4-byte Folded Spill
	v_cmpx_lt_u32_e32 36, v0
	s_cbranch_execz .LBB119_334
; %bb.333:
	s_clause 0x3
	buffer_load_dword v193, off, s[16:19], 0 offset:1152
	buffer_load_dword v194, off, s[16:19], 0 offset:1156
	buffer_load_dword v195, off, s[16:19], 0 offset:1160
	buffer_load_dword v196, off, s[16:19], 0 offset:1164
	ds_read2_b64 v[215:218], v253 offset0:74 offset1:75
	s_waitcnt vmcnt(0)
	v_mul_f64 v[213:214], v[195:196], v[95:96]
	v_mul_f64 v[95:96], v[193:194], v[95:96]
	v_fma_f64 v[213:214], v[193:194], v[93:94], -v[213:214]
	v_fma_f64 v[95:96], v[195:196], v[93:94], v[95:96]
	s_waitcnt lgkmcnt(0)
	v_mul_f64 v[93:94], v[217:218], v[95:96]
	v_fma_f64 v[93:94], v[215:216], v[213:214], -v[93:94]
	v_mul_f64 v[215:216], v[215:216], v[95:96]
	v_add_f64 v[89:90], v[89:90], -v[93:94]
	v_fma_f64 v[215:216], v[217:218], v[213:214], v[215:216]
	v_add_f64 v[91:92], v[91:92], -v[215:216]
	ds_read2_b64 v[215:218], v253 offset0:76 offset1:77
	s_waitcnt lgkmcnt(0)
	v_mul_f64 v[93:94], v[217:218], v[95:96]
	v_fma_f64 v[93:94], v[215:216], v[213:214], -v[93:94]
	v_mul_f64 v[215:216], v[215:216], v[95:96]
	v_add_f64 v[85:86], v[85:86], -v[93:94]
	v_fma_f64 v[215:216], v[217:218], v[213:214], v[215:216]
	v_add_f64 v[87:88], v[87:88], -v[215:216]
	ds_read2_b64 v[215:218], v253 offset0:78 offset1:79
	;; [unrolled: 8-line block ×22, first 2 shown]
	s_waitcnt lgkmcnt(0)
	v_mul_f64 v[93:94], v[217:218], v[95:96]
	v_fma_f64 v[93:94], v[215:216], v[213:214], -v[93:94]
	v_mul_f64 v[215:216], v[215:216], v[95:96]
	v_add_f64 v[1:2], v[1:2], -v[93:94]
	v_fma_f64 v[215:216], v[217:218], v[213:214], v[215:216]
	v_mov_b32_e32 v93, v213
	v_mov_b32_e32 v94, v214
	v_add_f64 v[3:4], v[3:4], -v[215:216]
.LBB119_334:
	s_or_b32 exec_lo, exec_lo, s1
	s_mov_b32 s2, exec_lo
	s_waitcnt_vscnt null, 0x0
	s_barrier
	buffer_gl0_inv
	v_cmpx_eq_u32_e32 37, v0
	s_cbranch_execz .LBB119_341
; %bb.335:
	ds_write2_b64 v255, v[89:90], v[91:92] offset1:1
	ds_write2_b64 v253, v[85:86], v[87:88] offset0:76 offset1:77
	ds_write2_b64 v253, v[81:82], v[83:84] offset0:78 offset1:79
	;; [unrolled: 1-line block ×22, first 2 shown]
	ds_read2_b64 v[213:216], v255 offset1:1
	s_waitcnt lgkmcnt(0)
	v_cmp_neq_f64_e32 vcc_lo, 0, v[213:214]
	v_cmp_neq_f64_e64 s1, 0, v[215:216]
	s_or_b32 s1, vcc_lo, s1
	s_and_b32 exec_lo, exec_lo, s1
	s_cbranch_execz .LBB119_341
; %bb.336:
	v_cmp_ngt_f64_e64 s1, |v[213:214]|, |v[215:216]|
                                        ; implicit-def: $vgpr217_vgpr218
	s_and_saveexec_b32 s3, s1
	s_xor_b32 s1, exec_lo, s3
                                        ; implicit-def: $vgpr219_vgpr220
	s_cbranch_execz .LBB119_338
; %bb.337:
	v_div_scale_f64 v[217:218], null, v[215:216], v[215:216], v[213:214]
	v_div_scale_f64 v[223:224], vcc_lo, v[213:214], v[215:216], v[213:214]
	v_rcp_f64_e32 v[219:220], v[217:218]
	v_fma_f64 v[221:222], -v[217:218], v[219:220], 1.0
	v_fma_f64 v[219:220], v[219:220], v[221:222], v[219:220]
	v_fma_f64 v[221:222], -v[217:218], v[219:220], 1.0
	v_fma_f64 v[219:220], v[219:220], v[221:222], v[219:220]
	v_mul_f64 v[221:222], v[223:224], v[219:220]
	v_fma_f64 v[217:218], -v[217:218], v[221:222], v[223:224]
	v_div_fmas_f64 v[217:218], v[217:218], v[219:220], v[221:222]
	v_div_fixup_f64 v[217:218], v[217:218], v[215:216], v[213:214]
	v_fma_f64 v[213:214], v[213:214], v[217:218], v[215:216]
	v_div_scale_f64 v[215:216], null, v[213:214], v[213:214], 1.0
	v_rcp_f64_e32 v[219:220], v[215:216]
	v_fma_f64 v[221:222], -v[215:216], v[219:220], 1.0
	v_fma_f64 v[219:220], v[219:220], v[221:222], v[219:220]
	v_fma_f64 v[221:222], -v[215:216], v[219:220], 1.0
	v_fma_f64 v[219:220], v[219:220], v[221:222], v[219:220]
	v_div_scale_f64 v[221:222], vcc_lo, 1.0, v[213:214], 1.0
	v_mul_f64 v[223:224], v[221:222], v[219:220]
	v_fma_f64 v[215:216], -v[215:216], v[223:224], v[221:222]
	v_div_fmas_f64 v[215:216], v[215:216], v[219:220], v[223:224]
	v_div_fixup_f64 v[219:220], v[215:216], v[213:214], 1.0
                                        ; implicit-def: $vgpr213_vgpr214
	v_mul_f64 v[217:218], v[217:218], v[219:220]
	v_xor_b32_e32 v220, 0x80000000, v220
.LBB119_338:
	s_andn2_saveexec_b32 s1, s1
	s_cbranch_execz .LBB119_340
; %bb.339:
	v_div_scale_f64 v[217:218], null, v[213:214], v[213:214], v[215:216]
	v_div_scale_f64 v[223:224], vcc_lo, v[215:216], v[213:214], v[215:216]
	v_rcp_f64_e32 v[219:220], v[217:218]
	v_fma_f64 v[221:222], -v[217:218], v[219:220], 1.0
	v_fma_f64 v[219:220], v[219:220], v[221:222], v[219:220]
	v_fma_f64 v[221:222], -v[217:218], v[219:220], 1.0
	v_fma_f64 v[219:220], v[219:220], v[221:222], v[219:220]
	v_mul_f64 v[221:222], v[223:224], v[219:220]
	v_fma_f64 v[217:218], -v[217:218], v[221:222], v[223:224]
	v_div_fmas_f64 v[217:218], v[217:218], v[219:220], v[221:222]
	v_div_fixup_f64 v[219:220], v[217:218], v[213:214], v[215:216]
	v_fma_f64 v[213:214], v[215:216], v[219:220], v[213:214]
	v_div_scale_f64 v[215:216], null, v[213:214], v[213:214], 1.0
	v_rcp_f64_e32 v[217:218], v[215:216]
	v_fma_f64 v[221:222], -v[215:216], v[217:218], 1.0
	v_fma_f64 v[217:218], v[217:218], v[221:222], v[217:218]
	v_fma_f64 v[221:222], -v[215:216], v[217:218], 1.0
	v_fma_f64 v[217:218], v[217:218], v[221:222], v[217:218]
	v_div_scale_f64 v[221:222], vcc_lo, 1.0, v[213:214], 1.0
	v_mul_f64 v[223:224], v[221:222], v[217:218]
	v_fma_f64 v[215:216], -v[215:216], v[223:224], v[221:222]
	v_div_fmas_f64 v[215:216], v[215:216], v[217:218], v[223:224]
	v_div_fixup_f64 v[217:218], v[215:216], v[213:214], 1.0
	v_mul_f64 v[219:220], v[219:220], -v[217:218]
.LBB119_340:
	s_or_b32 exec_lo, exec_lo, s1
	ds_write2_b64 v255, v[217:218], v[219:220] offset1:1
.LBB119_341:
	s_or_b32 exec_lo, exec_lo, s2
	s_waitcnt lgkmcnt(0)
	s_barrier
	buffer_gl0_inv
	ds_read2_b64 v[193:196], v255 offset1:1
	s_mov_b32 s1, exec_lo
	s_waitcnt lgkmcnt(0)
	buffer_store_dword v193, off, s[16:19], 0 offset:1168 ; 4-byte Folded Spill
	buffer_store_dword v194, off, s[16:19], 0 offset:1172 ; 4-byte Folded Spill
	;; [unrolled: 1-line block ×4, first 2 shown]
	v_cmpx_lt_u32_e32 37, v0
	s_cbranch_execz .LBB119_343
; %bb.342:
	s_clause 0x3
	buffer_load_dword v193, off, s[16:19], 0 offset:1168
	buffer_load_dword v194, off, s[16:19], 0 offset:1172
	buffer_load_dword v195, off, s[16:19], 0 offset:1176
	buffer_load_dword v196, off, s[16:19], 0 offset:1180
	ds_read2_b64 v[215:218], v253 offset0:76 offset1:77
	s_waitcnt vmcnt(0)
	v_mul_f64 v[213:214], v[195:196], v[91:92]
	v_mul_f64 v[91:92], v[193:194], v[91:92]
	v_fma_f64 v[213:214], v[193:194], v[89:90], -v[213:214]
	v_fma_f64 v[91:92], v[195:196], v[89:90], v[91:92]
	s_waitcnt lgkmcnt(0)
	v_mul_f64 v[89:90], v[217:218], v[91:92]
	v_fma_f64 v[89:90], v[215:216], v[213:214], -v[89:90]
	v_mul_f64 v[215:216], v[215:216], v[91:92]
	v_add_f64 v[85:86], v[85:86], -v[89:90]
	v_fma_f64 v[215:216], v[217:218], v[213:214], v[215:216]
	v_add_f64 v[87:88], v[87:88], -v[215:216]
	ds_read2_b64 v[215:218], v253 offset0:78 offset1:79
	s_waitcnt lgkmcnt(0)
	v_mul_f64 v[89:90], v[217:218], v[91:92]
	v_fma_f64 v[89:90], v[215:216], v[213:214], -v[89:90]
	v_mul_f64 v[215:216], v[215:216], v[91:92]
	v_add_f64 v[81:82], v[81:82], -v[89:90]
	v_fma_f64 v[215:216], v[217:218], v[213:214], v[215:216]
	v_add_f64 v[83:84], v[83:84], -v[215:216]
	ds_read2_b64 v[215:218], v253 offset0:80 offset1:81
	;; [unrolled: 8-line block ×21, first 2 shown]
	s_waitcnt lgkmcnt(0)
	v_mul_f64 v[89:90], v[217:218], v[91:92]
	v_fma_f64 v[89:90], v[215:216], v[213:214], -v[89:90]
	v_mul_f64 v[215:216], v[215:216], v[91:92]
	v_add_f64 v[1:2], v[1:2], -v[89:90]
	v_fma_f64 v[215:216], v[217:218], v[213:214], v[215:216]
	v_mov_b32_e32 v89, v213
	v_mov_b32_e32 v90, v214
	v_add_f64 v[3:4], v[3:4], -v[215:216]
.LBB119_343:
	s_or_b32 exec_lo, exec_lo, s1
	s_mov_b32 s2, exec_lo
	s_waitcnt_vscnt null, 0x0
	s_barrier
	buffer_gl0_inv
	v_cmpx_eq_u32_e32 38, v0
	s_cbranch_execz .LBB119_350
; %bb.344:
	ds_write2_b64 v255, v[85:86], v[87:88] offset1:1
	ds_write2_b64 v253, v[81:82], v[83:84] offset0:78 offset1:79
	ds_write2_b64 v253, v[77:78], v[79:80] offset0:80 offset1:81
	;; [unrolled: 1-line block ×21, first 2 shown]
	ds_read2_b64 v[213:216], v255 offset1:1
	s_waitcnt lgkmcnt(0)
	v_cmp_neq_f64_e32 vcc_lo, 0, v[213:214]
	v_cmp_neq_f64_e64 s1, 0, v[215:216]
	s_or_b32 s1, vcc_lo, s1
	s_and_b32 exec_lo, exec_lo, s1
	s_cbranch_execz .LBB119_350
; %bb.345:
	v_cmp_ngt_f64_e64 s1, |v[213:214]|, |v[215:216]|
                                        ; implicit-def: $vgpr217_vgpr218
	s_and_saveexec_b32 s3, s1
	s_xor_b32 s1, exec_lo, s3
                                        ; implicit-def: $vgpr219_vgpr220
	s_cbranch_execz .LBB119_347
; %bb.346:
	v_div_scale_f64 v[217:218], null, v[215:216], v[215:216], v[213:214]
	v_div_scale_f64 v[223:224], vcc_lo, v[213:214], v[215:216], v[213:214]
	v_rcp_f64_e32 v[219:220], v[217:218]
	v_fma_f64 v[221:222], -v[217:218], v[219:220], 1.0
	v_fma_f64 v[219:220], v[219:220], v[221:222], v[219:220]
	v_fma_f64 v[221:222], -v[217:218], v[219:220], 1.0
	v_fma_f64 v[219:220], v[219:220], v[221:222], v[219:220]
	v_mul_f64 v[221:222], v[223:224], v[219:220]
	v_fma_f64 v[217:218], -v[217:218], v[221:222], v[223:224]
	v_div_fmas_f64 v[217:218], v[217:218], v[219:220], v[221:222]
	v_div_fixup_f64 v[217:218], v[217:218], v[215:216], v[213:214]
	v_fma_f64 v[213:214], v[213:214], v[217:218], v[215:216]
	v_div_scale_f64 v[215:216], null, v[213:214], v[213:214], 1.0
	v_rcp_f64_e32 v[219:220], v[215:216]
	v_fma_f64 v[221:222], -v[215:216], v[219:220], 1.0
	v_fma_f64 v[219:220], v[219:220], v[221:222], v[219:220]
	v_fma_f64 v[221:222], -v[215:216], v[219:220], 1.0
	v_fma_f64 v[219:220], v[219:220], v[221:222], v[219:220]
	v_div_scale_f64 v[221:222], vcc_lo, 1.0, v[213:214], 1.0
	v_mul_f64 v[223:224], v[221:222], v[219:220]
	v_fma_f64 v[215:216], -v[215:216], v[223:224], v[221:222]
	v_div_fmas_f64 v[215:216], v[215:216], v[219:220], v[223:224]
	v_div_fixup_f64 v[219:220], v[215:216], v[213:214], 1.0
                                        ; implicit-def: $vgpr213_vgpr214
	v_mul_f64 v[217:218], v[217:218], v[219:220]
	v_xor_b32_e32 v220, 0x80000000, v220
.LBB119_347:
	s_andn2_saveexec_b32 s1, s1
	s_cbranch_execz .LBB119_349
; %bb.348:
	v_div_scale_f64 v[217:218], null, v[213:214], v[213:214], v[215:216]
	v_div_scale_f64 v[223:224], vcc_lo, v[215:216], v[213:214], v[215:216]
	v_rcp_f64_e32 v[219:220], v[217:218]
	v_fma_f64 v[221:222], -v[217:218], v[219:220], 1.0
	v_fma_f64 v[219:220], v[219:220], v[221:222], v[219:220]
	v_fma_f64 v[221:222], -v[217:218], v[219:220], 1.0
	v_fma_f64 v[219:220], v[219:220], v[221:222], v[219:220]
	v_mul_f64 v[221:222], v[223:224], v[219:220]
	v_fma_f64 v[217:218], -v[217:218], v[221:222], v[223:224]
	v_div_fmas_f64 v[217:218], v[217:218], v[219:220], v[221:222]
	v_div_fixup_f64 v[219:220], v[217:218], v[213:214], v[215:216]
	v_fma_f64 v[213:214], v[215:216], v[219:220], v[213:214]
	v_div_scale_f64 v[215:216], null, v[213:214], v[213:214], 1.0
	v_rcp_f64_e32 v[217:218], v[215:216]
	v_fma_f64 v[221:222], -v[215:216], v[217:218], 1.0
	v_fma_f64 v[217:218], v[217:218], v[221:222], v[217:218]
	v_fma_f64 v[221:222], -v[215:216], v[217:218], 1.0
	v_fma_f64 v[217:218], v[217:218], v[221:222], v[217:218]
	v_div_scale_f64 v[221:222], vcc_lo, 1.0, v[213:214], 1.0
	v_mul_f64 v[223:224], v[221:222], v[217:218]
	v_fma_f64 v[215:216], -v[215:216], v[223:224], v[221:222]
	v_div_fmas_f64 v[215:216], v[215:216], v[217:218], v[223:224]
	v_div_fixup_f64 v[217:218], v[215:216], v[213:214], 1.0
	v_mul_f64 v[219:220], v[219:220], -v[217:218]
.LBB119_349:
	s_or_b32 exec_lo, exec_lo, s1
	ds_write2_b64 v255, v[217:218], v[219:220] offset1:1
.LBB119_350:
	s_or_b32 exec_lo, exec_lo, s2
	s_waitcnt lgkmcnt(0)
	s_barrier
	buffer_gl0_inv
	ds_read2_b64 v[193:196], v255 offset1:1
	s_mov_b32 s1, exec_lo
	s_waitcnt lgkmcnt(0)
	buffer_store_dword v193, off, s[16:19], 0 offset:1184 ; 4-byte Folded Spill
	buffer_store_dword v194, off, s[16:19], 0 offset:1188 ; 4-byte Folded Spill
	;; [unrolled: 1-line block ×4, first 2 shown]
	v_cmpx_lt_u32_e32 38, v0
	s_cbranch_execz .LBB119_352
; %bb.351:
	s_clause 0x3
	buffer_load_dword v193, off, s[16:19], 0 offset:1184
	buffer_load_dword v194, off, s[16:19], 0 offset:1188
	;; [unrolled: 1-line block ×4, first 2 shown]
	ds_read2_b64 v[215:218], v253 offset0:78 offset1:79
	s_waitcnt vmcnt(0)
	v_mul_f64 v[213:214], v[195:196], v[87:88]
	v_mul_f64 v[87:88], v[193:194], v[87:88]
	v_fma_f64 v[213:214], v[193:194], v[85:86], -v[213:214]
	v_fma_f64 v[87:88], v[195:196], v[85:86], v[87:88]
	s_waitcnt lgkmcnt(0)
	v_mul_f64 v[85:86], v[217:218], v[87:88]
	v_fma_f64 v[85:86], v[215:216], v[213:214], -v[85:86]
	v_mul_f64 v[215:216], v[215:216], v[87:88]
	v_add_f64 v[81:82], v[81:82], -v[85:86]
	v_fma_f64 v[215:216], v[217:218], v[213:214], v[215:216]
	v_add_f64 v[83:84], v[83:84], -v[215:216]
	ds_read2_b64 v[215:218], v253 offset0:80 offset1:81
	s_waitcnt lgkmcnt(0)
	v_mul_f64 v[85:86], v[217:218], v[87:88]
	v_fma_f64 v[85:86], v[215:216], v[213:214], -v[85:86]
	v_mul_f64 v[215:216], v[215:216], v[87:88]
	v_add_f64 v[77:78], v[77:78], -v[85:86]
	v_fma_f64 v[215:216], v[217:218], v[213:214], v[215:216]
	v_add_f64 v[79:80], v[79:80], -v[215:216]
	ds_read2_b64 v[215:218], v253 offset0:82 offset1:83
	s_waitcnt lgkmcnt(0)
	v_mul_f64 v[85:86], v[217:218], v[87:88]
	v_fma_f64 v[85:86], v[215:216], v[213:214], -v[85:86]
	v_mul_f64 v[215:216], v[215:216], v[87:88]
	v_add_f64 v[73:74], v[73:74], -v[85:86]
	v_fma_f64 v[215:216], v[217:218], v[213:214], v[215:216]
	v_add_f64 v[75:76], v[75:76], -v[215:216]
	ds_read2_b64 v[215:218], v253 offset0:84 offset1:85
	s_waitcnt lgkmcnt(0)
	v_mul_f64 v[85:86], v[217:218], v[87:88]
	v_fma_f64 v[85:86], v[215:216], v[213:214], -v[85:86]
	v_mul_f64 v[215:216], v[215:216], v[87:88]
	v_add_f64 v[69:70], v[69:70], -v[85:86]
	v_fma_f64 v[215:216], v[217:218], v[213:214], v[215:216]
	v_add_f64 v[71:72], v[71:72], -v[215:216]
	ds_read2_b64 v[215:218], v253 offset0:86 offset1:87
	s_waitcnt lgkmcnt(0)
	v_mul_f64 v[85:86], v[217:218], v[87:88]
	v_fma_f64 v[85:86], v[215:216], v[213:214], -v[85:86]
	v_mul_f64 v[215:216], v[215:216], v[87:88]
	v_add_f64 v[65:66], v[65:66], -v[85:86]
	v_fma_f64 v[215:216], v[217:218], v[213:214], v[215:216]
	v_add_f64 v[67:68], v[67:68], -v[215:216]
	ds_read2_b64 v[215:218], v253 offset0:88 offset1:89
	s_waitcnt lgkmcnt(0)
	v_mul_f64 v[85:86], v[217:218], v[87:88]
	v_fma_f64 v[85:86], v[215:216], v[213:214], -v[85:86]
	v_mul_f64 v[215:216], v[215:216], v[87:88]
	v_add_f64 v[61:62], v[61:62], -v[85:86]
	v_fma_f64 v[215:216], v[217:218], v[213:214], v[215:216]
	v_add_f64 v[63:64], v[63:64], -v[215:216]
	ds_read2_b64 v[215:218], v253 offset0:90 offset1:91
	s_waitcnt lgkmcnt(0)
	v_mul_f64 v[85:86], v[217:218], v[87:88]
	v_fma_f64 v[85:86], v[215:216], v[213:214], -v[85:86]
	v_mul_f64 v[215:216], v[215:216], v[87:88]
	v_add_f64 v[57:58], v[57:58], -v[85:86]
	v_fma_f64 v[215:216], v[217:218], v[213:214], v[215:216]
	v_add_f64 v[59:60], v[59:60], -v[215:216]
	ds_read2_b64 v[215:218], v253 offset0:92 offset1:93
	s_waitcnt lgkmcnt(0)
	v_mul_f64 v[85:86], v[217:218], v[87:88]
	v_fma_f64 v[85:86], v[215:216], v[213:214], -v[85:86]
	v_mul_f64 v[215:216], v[215:216], v[87:88]
	v_add_f64 v[53:54], v[53:54], -v[85:86]
	v_fma_f64 v[215:216], v[217:218], v[213:214], v[215:216]
	v_add_f64 v[55:56], v[55:56], -v[215:216]
	ds_read2_b64 v[215:218], v253 offset0:94 offset1:95
	s_waitcnt lgkmcnt(0)
	v_mul_f64 v[85:86], v[217:218], v[87:88]
	v_fma_f64 v[85:86], v[215:216], v[213:214], -v[85:86]
	v_mul_f64 v[215:216], v[215:216], v[87:88]
	v_add_f64 v[49:50], v[49:50], -v[85:86]
	v_fma_f64 v[215:216], v[217:218], v[213:214], v[215:216]
	v_add_f64 v[51:52], v[51:52], -v[215:216]
	ds_read2_b64 v[215:218], v253 offset0:96 offset1:97
	s_waitcnt lgkmcnt(0)
	v_mul_f64 v[85:86], v[217:218], v[87:88]
	v_fma_f64 v[85:86], v[215:216], v[213:214], -v[85:86]
	v_mul_f64 v[215:216], v[215:216], v[87:88]
	v_add_f64 v[45:46], v[45:46], -v[85:86]
	v_fma_f64 v[215:216], v[217:218], v[213:214], v[215:216]
	v_add_f64 v[47:48], v[47:48], -v[215:216]
	ds_read2_b64 v[215:218], v253 offset0:98 offset1:99
	s_waitcnt lgkmcnt(0)
	v_mul_f64 v[85:86], v[217:218], v[87:88]
	v_fma_f64 v[85:86], v[215:216], v[213:214], -v[85:86]
	v_mul_f64 v[215:216], v[215:216], v[87:88]
	v_add_f64 v[41:42], v[41:42], -v[85:86]
	v_fma_f64 v[215:216], v[217:218], v[213:214], v[215:216]
	v_add_f64 v[43:44], v[43:44], -v[215:216]
	ds_read2_b64 v[215:218], v253 offset0:100 offset1:101
	s_waitcnt lgkmcnt(0)
	v_mul_f64 v[85:86], v[217:218], v[87:88]
	v_fma_f64 v[85:86], v[215:216], v[213:214], -v[85:86]
	v_mul_f64 v[215:216], v[215:216], v[87:88]
	v_add_f64 v[37:38], v[37:38], -v[85:86]
	v_fma_f64 v[215:216], v[217:218], v[213:214], v[215:216]
	v_add_f64 v[39:40], v[39:40], -v[215:216]
	ds_read2_b64 v[215:218], v253 offset0:102 offset1:103
	s_waitcnt lgkmcnt(0)
	v_mul_f64 v[85:86], v[217:218], v[87:88]
	v_fma_f64 v[85:86], v[215:216], v[213:214], -v[85:86]
	v_mul_f64 v[215:216], v[215:216], v[87:88]
	v_add_f64 v[33:34], v[33:34], -v[85:86]
	v_fma_f64 v[215:216], v[217:218], v[213:214], v[215:216]
	v_add_f64 v[35:36], v[35:36], -v[215:216]
	ds_read2_b64 v[215:218], v253 offset0:104 offset1:105
	s_waitcnt lgkmcnt(0)
	v_mul_f64 v[85:86], v[217:218], v[87:88]
	v_fma_f64 v[85:86], v[215:216], v[213:214], -v[85:86]
	v_mul_f64 v[215:216], v[215:216], v[87:88]
	v_add_f64 v[29:30], v[29:30], -v[85:86]
	v_fma_f64 v[215:216], v[217:218], v[213:214], v[215:216]
	v_add_f64 v[31:32], v[31:32], -v[215:216]
	ds_read2_b64 v[215:218], v253 offset0:106 offset1:107
	s_waitcnt lgkmcnt(0)
	v_mul_f64 v[85:86], v[217:218], v[87:88]
	v_fma_f64 v[85:86], v[215:216], v[213:214], -v[85:86]
	v_mul_f64 v[215:216], v[215:216], v[87:88]
	v_add_f64 v[25:26], v[25:26], -v[85:86]
	v_fma_f64 v[215:216], v[217:218], v[213:214], v[215:216]
	v_add_f64 v[27:28], v[27:28], -v[215:216]
	ds_read2_b64 v[215:218], v253 offset0:108 offset1:109
	s_waitcnt lgkmcnt(0)
	v_mul_f64 v[85:86], v[217:218], v[87:88]
	v_fma_f64 v[85:86], v[215:216], v[213:214], -v[85:86]
	v_mul_f64 v[215:216], v[215:216], v[87:88]
	v_add_f64 v[21:22], v[21:22], -v[85:86]
	v_fma_f64 v[215:216], v[217:218], v[213:214], v[215:216]
	v_add_f64 v[23:24], v[23:24], -v[215:216]
	ds_read2_b64 v[215:218], v253 offset0:110 offset1:111
	s_waitcnt lgkmcnt(0)
	v_mul_f64 v[85:86], v[217:218], v[87:88]
	v_fma_f64 v[85:86], v[215:216], v[213:214], -v[85:86]
	v_mul_f64 v[215:216], v[215:216], v[87:88]
	v_add_f64 v[17:18], v[17:18], -v[85:86]
	v_fma_f64 v[215:216], v[217:218], v[213:214], v[215:216]
	v_add_f64 v[19:20], v[19:20], -v[215:216]
	ds_read2_b64 v[215:218], v253 offset0:112 offset1:113
	s_waitcnt lgkmcnt(0)
	v_mul_f64 v[85:86], v[217:218], v[87:88]
	v_fma_f64 v[85:86], v[215:216], v[213:214], -v[85:86]
	v_mul_f64 v[215:216], v[215:216], v[87:88]
	v_add_f64 v[13:14], v[13:14], -v[85:86]
	v_fma_f64 v[215:216], v[217:218], v[213:214], v[215:216]
	v_add_f64 v[15:16], v[15:16], -v[215:216]
	ds_read2_b64 v[215:218], v253 offset0:114 offset1:115
	s_waitcnt lgkmcnt(0)
	v_mul_f64 v[85:86], v[217:218], v[87:88]
	v_fma_f64 v[85:86], v[215:216], v[213:214], -v[85:86]
	v_mul_f64 v[215:216], v[215:216], v[87:88]
	v_add_f64 v[9:10], v[9:10], -v[85:86]
	v_fma_f64 v[215:216], v[217:218], v[213:214], v[215:216]
	v_add_f64 v[11:12], v[11:12], -v[215:216]
	ds_read2_b64 v[215:218], v253 offset0:116 offset1:117
	s_waitcnt lgkmcnt(0)
	v_mul_f64 v[85:86], v[217:218], v[87:88]
	v_fma_f64 v[85:86], v[215:216], v[213:214], -v[85:86]
	v_mul_f64 v[215:216], v[215:216], v[87:88]
	v_add_f64 v[5:6], v[5:6], -v[85:86]
	v_fma_f64 v[215:216], v[217:218], v[213:214], v[215:216]
	v_add_f64 v[7:8], v[7:8], -v[215:216]
	ds_read2_b64 v[215:218], v253 offset0:118 offset1:119
	s_waitcnt lgkmcnt(0)
	v_mul_f64 v[85:86], v[217:218], v[87:88]
	v_fma_f64 v[85:86], v[215:216], v[213:214], -v[85:86]
	v_mul_f64 v[215:216], v[215:216], v[87:88]
	v_add_f64 v[1:2], v[1:2], -v[85:86]
	v_fma_f64 v[215:216], v[217:218], v[213:214], v[215:216]
	v_mov_b32_e32 v85, v213
	v_mov_b32_e32 v86, v214
	v_add_f64 v[3:4], v[3:4], -v[215:216]
.LBB119_352:
	s_or_b32 exec_lo, exec_lo, s1
	s_mov_b32 s2, exec_lo
	s_waitcnt_vscnt null, 0x0
	s_barrier
	buffer_gl0_inv
	v_cmpx_eq_u32_e32 39, v0
	s_cbranch_execz .LBB119_359
; %bb.353:
	ds_write2_b64 v255, v[81:82], v[83:84] offset1:1
	ds_write2_b64 v253, v[77:78], v[79:80] offset0:80 offset1:81
	ds_write2_b64 v253, v[73:74], v[75:76] offset0:82 offset1:83
	;; [unrolled: 1-line block ×20, first 2 shown]
	ds_read2_b64 v[213:216], v255 offset1:1
	s_waitcnt lgkmcnt(0)
	v_cmp_neq_f64_e32 vcc_lo, 0, v[213:214]
	v_cmp_neq_f64_e64 s1, 0, v[215:216]
	s_or_b32 s1, vcc_lo, s1
	s_and_b32 exec_lo, exec_lo, s1
	s_cbranch_execz .LBB119_359
; %bb.354:
	v_cmp_ngt_f64_e64 s1, |v[213:214]|, |v[215:216]|
                                        ; implicit-def: $vgpr217_vgpr218
	s_and_saveexec_b32 s3, s1
	s_xor_b32 s1, exec_lo, s3
                                        ; implicit-def: $vgpr219_vgpr220
	s_cbranch_execz .LBB119_356
; %bb.355:
	v_div_scale_f64 v[217:218], null, v[215:216], v[215:216], v[213:214]
	v_div_scale_f64 v[223:224], vcc_lo, v[213:214], v[215:216], v[213:214]
	v_rcp_f64_e32 v[219:220], v[217:218]
	v_fma_f64 v[221:222], -v[217:218], v[219:220], 1.0
	v_fma_f64 v[219:220], v[219:220], v[221:222], v[219:220]
	v_fma_f64 v[221:222], -v[217:218], v[219:220], 1.0
	v_fma_f64 v[219:220], v[219:220], v[221:222], v[219:220]
	v_mul_f64 v[221:222], v[223:224], v[219:220]
	v_fma_f64 v[217:218], -v[217:218], v[221:222], v[223:224]
	v_div_fmas_f64 v[217:218], v[217:218], v[219:220], v[221:222]
	v_div_fixup_f64 v[217:218], v[217:218], v[215:216], v[213:214]
	v_fma_f64 v[213:214], v[213:214], v[217:218], v[215:216]
	v_div_scale_f64 v[215:216], null, v[213:214], v[213:214], 1.0
	v_rcp_f64_e32 v[219:220], v[215:216]
	v_fma_f64 v[221:222], -v[215:216], v[219:220], 1.0
	v_fma_f64 v[219:220], v[219:220], v[221:222], v[219:220]
	v_fma_f64 v[221:222], -v[215:216], v[219:220], 1.0
	v_fma_f64 v[219:220], v[219:220], v[221:222], v[219:220]
	v_div_scale_f64 v[221:222], vcc_lo, 1.0, v[213:214], 1.0
	v_mul_f64 v[223:224], v[221:222], v[219:220]
	v_fma_f64 v[215:216], -v[215:216], v[223:224], v[221:222]
	v_div_fmas_f64 v[215:216], v[215:216], v[219:220], v[223:224]
	v_div_fixup_f64 v[219:220], v[215:216], v[213:214], 1.0
                                        ; implicit-def: $vgpr213_vgpr214
	v_mul_f64 v[217:218], v[217:218], v[219:220]
	v_xor_b32_e32 v220, 0x80000000, v220
.LBB119_356:
	s_andn2_saveexec_b32 s1, s1
	s_cbranch_execz .LBB119_358
; %bb.357:
	v_div_scale_f64 v[217:218], null, v[213:214], v[213:214], v[215:216]
	v_div_scale_f64 v[223:224], vcc_lo, v[215:216], v[213:214], v[215:216]
	v_rcp_f64_e32 v[219:220], v[217:218]
	v_fma_f64 v[221:222], -v[217:218], v[219:220], 1.0
	v_fma_f64 v[219:220], v[219:220], v[221:222], v[219:220]
	v_fma_f64 v[221:222], -v[217:218], v[219:220], 1.0
	v_fma_f64 v[219:220], v[219:220], v[221:222], v[219:220]
	v_mul_f64 v[221:222], v[223:224], v[219:220]
	v_fma_f64 v[217:218], -v[217:218], v[221:222], v[223:224]
	v_div_fmas_f64 v[217:218], v[217:218], v[219:220], v[221:222]
	v_div_fixup_f64 v[219:220], v[217:218], v[213:214], v[215:216]
	v_fma_f64 v[213:214], v[215:216], v[219:220], v[213:214]
	v_div_scale_f64 v[215:216], null, v[213:214], v[213:214], 1.0
	v_rcp_f64_e32 v[217:218], v[215:216]
	v_fma_f64 v[221:222], -v[215:216], v[217:218], 1.0
	v_fma_f64 v[217:218], v[217:218], v[221:222], v[217:218]
	v_fma_f64 v[221:222], -v[215:216], v[217:218], 1.0
	v_fma_f64 v[217:218], v[217:218], v[221:222], v[217:218]
	v_div_scale_f64 v[221:222], vcc_lo, 1.0, v[213:214], 1.0
	v_mul_f64 v[223:224], v[221:222], v[217:218]
	v_fma_f64 v[215:216], -v[215:216], v[223:224], v[221:222]
	v_div_fmas_f64 v[215:216], v[215:216], v[217:218], v[223:224]
	v_div_fixup_f64 v[217:218], v[215:216], v[213:214], 1.0
	v_mul_f64 v[219:220], v[219:220], -v[217:218]
.LBB119_358:
	s_or_b32 exec_lo, exec_lo, s1
	ds_write2_b64 v255, v[217:218], v[219:220] offset1:1
.LBB119_359:
	s_or_b32 exec_lo, exec_lo, s2
	s_waitcnt lgkmcnt(0)
	s_barrier
	buffer_gl0_inv
	ds_read2_b64 v[193:196], v255 offset1:1
	s_mov_b32 s1, exec_lo
	s_waitcnt lgkmcnt(0)
	buffer_store_dword v193, off, s[16:19], 0 offset:1200 ; 4-byte Folded Spill
	buffer_store_dword v194, off, s[16:19], 0 offset:1204 ; 4-byte Folded Spill
	;; [unrolled: 1-line block ×4, first 2 shown]
	v_cmpx_lt_u32_e32 39, v0
	s_cbranch_execz .LBB119_361
; %bb.360:
	s_clause 0x3
	buffer_load_dword v193, off, s[16:19], 0 offset:1200
	buffer_load_dword v194, off, s[16:19], 0 offset:1204
	;; [unrolled: 1-line block ×4, first 2 shown]
	ds_read2_b64 v[215:218], v253 offset0:80 offset1:81
	s_waitcnt vmcnt(0)
	v_mul_f64 v[213:214], v[195:196], v[83:84]
	v_mul_f64 v[83:84], v[193:194], v[83:84]
	v_fma_f64 v[213:214], v[193:194], v[81:82], -v[213:214]
	v_fma_f64 v[83:84], v[195:196], v[81:82], v[83:84]
	s_waitcnt lgkmcnt(0)
	v_mul_f64 v[81:82], v[217:218], v[83:84]
	v_fma_f64 v[81:82], v[215:216], v[213:214], -v[81:82]
	v_mul_f64 v[215:216], v[215:216], v[83:84]
	v_add_f64 v[77:78], v[77:78], -v[81:82]
	v_fma_f64 v[215:216], v[217:218], v[213:214], v[215:216]
	v_add_f64 v[79:80], v[79:80], -v[215:216]
	ds_read2_b64 v[215:218], v253 offset0:82 offset1:83
	s_waitcnt lgkmcnt(0)
	v_mul_f64 v[81:82], v[217:218], v[83:84]
	v_fma_f64 v[81:82], v[215:216], v[213:214], -v[81:82]
	v_mul_f64 v[215:216], v[215:216], v[83:84]
	v_add_f64 v[73:74], v[73:74], -v[81:82]
	v_fma_f64 v[215:216], v[217:218], v[213:214], v[215:216]
	v_add_f64 v[75:76], v[75:76], -v[215:216]
	ds_read2_b64 v[215:218], v253 offset0:84 offset1:85
	;; [unrolled: 8-line block ×19, first 2 shown]
	s_waitcnt lgkmcnt(0)
	v_mul_f64 v[81:82], v[217:218], v[83:84]
	v_fma_f64 v[81:82], v[215:216], v[213:214], -v[81:82]
	v_mul_f64 v[215:216], v[215:216], v[83:84]
	v_add_f64 v[1:2], v[1:2], -v[81:82]
	v_fma_f64 v[215:216], v[217:218], v[213:214], v[215:216]
	v_mov_b32_e32 v81, v213
	v_mov_b32_e32 v82, v214
	v_add_f64 v[3:4], v[3:4], -v[215:216]
.LBB119_361:
	s_or_b32 exec_lo, exec_lo, s1
	s_mov_b32 s2, exec_lo
	s_waitcnt_vscnt null, 0x0
	s_barrier
	buffer_gl0_inv
	v_cmpx_eq_u32_e32 40, v0
	s_cbranch_execz .LBB119_368
; %bb.362:
	ds_write2_b64 v255, v[77:78], v[79:80] offset1:1
	ds_write2_b64 v253, v[73:74], v[75:76] offset0:82 offset1:83
	ds_write2_b64 v253, v[69:70], v[71:72] offset0:84 offset1:85
	;; [unrolled: 1-line block ×19, first 2 shown]
	ds_read2_b64 v[213:216], v255 offset1:1
	s_waitcnt lgkmcnt(0)
	v_cmp_neq_f64_e32 vcc_lo, 0, v[213:214]
	v_cmp_neq_f64_e64 s1, 0, v[215:216]
	s_or_b32 s1, vcc_lo, s1
	s_and_b32 exec_lo, exec_lo, s1
	s_cbranch_execz .LBB119_368
; %bb.363:
	v_cmp_ngt_f64_e64 s1, |v[213:214]|, |v[215:216]|
                                        ; implicit-def: $vgpr217_vgpr218
	s_and_saveexec_b32 s3, s1
	s_xor_b32 s1, exec_lo, s3
                                        ; implicit-def: $vgpr219_vgpr220
	s_cbranch_execz .LBB119_365
; %bb.364:
	v_div_scale_f64 v[217:218], null, v[215:216], v[215:216], v[213:214]
	v_div_scale_f64 v[223:224], vcc_lo, v[213:214], v[215:216], v[213:214]
	v_rcp_f64_e32 v[219:220], v[217:218]
	v_fma_f64 v[221:222], -v[217:218], v[219:220], 1.0
	v_fma_f64 v[219:220], v[219:220], v[221:222], v[219:220]
	v_fma_f64 v[221:222], -v[217:218], v[219:220], 1.0
	v_fma_f64 v[219:220], v[219:220], v[221:222], v[219:220]
	v_mul_f64 v[221:222], v[223:224], v[219:220]
	v_fma_f64 v[217:218], -v[217:218], v[221:222], v[223:224]
	v_div_fmas_f64 v[217:218], v[217:218], v[219:220], v[221:222]
	v_div_fixup_f64 v[217:218], v[217:218], v[215:216], v[213:214]
	v_fma_f64 v[213:214], v[213:214], v[217:218], v[215:216]
	v_div_scale_f64 v[215:216], null, v[213:214], v[213:214], 1.0
	v_rcp_f64_e32 v[219:220], v[215:216]
	v_fma_f64 v[221:222], -v[215:216], v[219:220], 1.0
	v_fma_f64 v[219:220], v[219:220], v[221:222], v[219:220]
	v_fma_f64 v[221:222], -v[215:216], v[219:220], 1.0
	v_fma_f64 v[219:220], v[219:220], v[221:222], v[219:220]
	v_div_scale_f64 v[221:222], vcc_lo, 1.0, v[213:214], 1.0
	v_mul_f64 v[223:224], v[221:222], v[219:220]
	v_fma_f64 v[215:216], -v[215:216], v[223:224], v[221:222]
	v_div_fmas_f64 v[215:216], v[215:216], v[219:220], v[223:224]
	v_div_fixup_f64 v[219:220], v[215:216], v[213:214], 1.0
                                        ; implicit-def: $vgpr213_vgpr214
	v_mul_f64 v[217:218], v[217:218], v[219:220]
	v_xor_b32_e32 v220, 0x80000000, v220
.LBB119_365:
	s_andn2_saveexec_b32 s1, s1
	s_cbranch_execz .LBB119_367
; %bb.366:
	v_div_scale_f64 v[217:218], null, v[213:214], v[213:214], v[215:216]
	v_div_scale_f64 v[223:224], vcc_lo, v[215:216], v[213:214], v[215:216]
	v_rcp_f64_e32 v[219:220], v[217:218]
	v_fma_f64 v[221:222], -v[217:218], v[219:220], 1.0
	v_fma_f64 v[219:220], v[219:220], v[221:222], v[219:220]
	v_fma_f64 v[221:222], -v[217:218], v[219:220], 1.0
	v_fma_f64 v[219:220], v[219:220], v[221:222], v[219:220]
	v_mul_f64 v[221:222], v[223:224], v[219:220]
	v_fma_f64 v[217:218], -v[217:218], v[221:222], v[223:224]
	v_div_fmas_f64 v[217:218], v[217:218], v[219:220], v[221:222]
	v_div_fixup_f64 v[219:220], v[217:218], v[213:214], v[215:216]
	v_fma_f64 v[213:214], v[215:216], v[219:220], v[213:214]
	v_div_scale_f64 v[215:216], null, v[213:214], v[213:214], 1.0
	v_rcp_f64_e32 v[217:218], v[215:216]
	v_fma_f64 v[221:222], -v[215:216], v[217:218], 1.0
	v_fma_f64 v[217:218], v[217:218], v[221:222], v[217:218]
	v_fma_f64 v[221:222], -v[215:216], v[217:218], 1.0
	v_fma_f64 v[217:218], v[217:218], v[221:222], v[217:218]
	v_div_scale_f64 v[221:222], vcc_lo, 1.0, v[213:214], 1.0
	v_mul_f64 v[223:224], v[221:222], v[217:218]
	v_fma_f64 v[215:216], -v[215:216], v[223:224], v[221:222]
	v_div_fmas_f64 v[215:216], v[215:216], v[217:218], v[223:224]
	v_div_fixup_f64 v[217:218], v[215:216], v[213:214], 1.0
	v_mul_f64 v[219:220], v[219:220], -v[217:218]
.LBB119_367:
	s_or_b32 exec_lo, exec_lo, s1
	ds_write2_b64 v255, v[217:218], v[219:220] offset1:1
.LBB119_368:
	s_or_b32 exec_lo, exec_lo, s2
	s_waitcnt lgkmcnt(0)
	s_barrier
	buffer_gl0_inv
	ds_read2_b64 v[193:196], v255 offset1:1
	s_mov_b32 s1, exec_lo
	s_waitcnt lgkmcnt(0)
	buffer_store_dword v193, off, s[16:19], 0 offset:1216 ; 4-byte Folded Spill
	buffer_store_dword v194, off, s[16:19], 0 offset:1220 ; 4-byte Folded Spill
	buffer_store_dword v195, off, s[16:19], 0 offset:1224 ; 4-byte Folded Spill
	buffer_store_dword v196, off, s[16:19], 0 offset:1228 ; 4-byte Folded Spill
	v_cmpx_lt_u32_e32 40, v0
	s_cbranch_execz .LBB119_370
; %bb.369:
	s_clause 0x3
	buffer_load_dword v193, off, s[16:19], 0 offset:1216
	buffer_load_dword v194, off, s[16:19], 0 offset:1220
	;; [unrolled: 1-line block ×4, first 2 shown]
	ds_read2_b64 v[215:218], v253 offset0:82 offset1:83
	s_waitcnt vmcnt(0)
	v_mul_f64 v[213:214], v[195:196], v[79:80]
	v_mul_f64 v[79:80], v[193:194], v[79:80]
	v_fma_f64 v[213:214], v[193:194], v[77:78], -v[213:214]
	v_fma_f64 v[79:80], v[195:196], v[77:78], v[79:80]
	s_waitcnt lgkmcnt(0)
	v_mul_f64 v[77:78], v[217:218], v[79:80]
	v_fma_f64 v[77:78], v[215:216], v[213:214], -v[77:78]
	v_mul_f64 v[215:216], v[215:216], v[79:80]
	v_add_f64 v[73:74], v[73:74], -v[77:78]
	v_fma_f64 v[215:216], v[217:218], v[213:214], v[215:216]
	v_add_f64 v[75:76], v[75:76], -v[215:216]
	ds_read2_b64 v[215:218], v253 offset0:84 offset1:85
	s_waitcnt lgkmcnt(0)
	v_mul_f64 v[77:78], v[217:218], v[79:80]
	v_fma_f64 v[77:78], v[215:216], v[213:214], -v[77:78]
	v_mul_f64 v[215:216], v[215:216], v[79:80]
	v_add_f64 v[69:70], v[69:70], -v[77:78]
	v_fma_f64 v[215:216], v[217:218], v[213:214], v[215:216]
	v_add_f64 v[71:72], v[71:72], -v[215:216]
	ds_read2_b64 v[215:218], v253 offset0:86 offset1:87
	;; [unrolled: 8-line block ×18, first 2 shown]
	s_waitcnt lgkmcnt(0)
	v_mul_f64 v[77:78], v[217:218], v[79:80]
	v_fma_f64 v[77:78], v[215:216], v[213:214], -v[77:78]
	v_mul_f64 v[215:216], v[215:216], v[79:80]
	v_add_f64 v[1:2], v[1:2], -v[77:78]
	v_fma_f64 v[215:216], v[217:218], v[213:214], v[215:216]
	v_mov_b32_e32 v77, v213
	v_mov_b32_e32 v78, v214
	v_add_f64 v[3:4], v[3:4], -v[215:216]
.LBB119_370:
	s_or_b32 exec_lo, exec_lo, s1
	s_mov_b32 s2, exec_lo
	s_waitcnt_vscnt null, 0x0
	s_barrier
	buffer_gl0_inv
	v_cmpx_eq_u32_e32 41, v0
	s_cbranch_execz .LBB119_377
; %bb.371:
	ds_write2_b64 v255, v[73:74], v[75:76] offset1:1
	ds_write2_b64 v253, v[69:70], v[71:72] offset0:84 offset1:85
	ds_write2_b64 v253, v[65:66], v[67:68] offset0:86 offset1:87
	;; [unrolled: 1-line block ×18, first 2 shown]
	ds_read2_b64 v[213:216], v255 offset1:1
	s_waitcnt lgkmcnt(0)
	v_cmp_neq_f64_e32 vcc_lo, 0, v[213:214]
	v_cmp_neq_f64_e64 s1, 0, v[215:216]
	s_or_b32 s1, vcc_lo, s1
	s_and_b32 exec_lo, exec_lo, s1
	s_cbranch_execz .LBB119_377
; %bb.372:
	v_cmp_ngt_f64_e64 s1, |v[213:214]|, |v[215:216]|
                                        ; implicit-def: $vgpr217_vgpr218
	s_and_saveexec_b32 s3, s1
	s_xor_b32 s1, exec_lo, s3
                                        ; implicit-def: $vgpr219_vgpr220
	s_cbranch_execz .LBB119_374
; %bb.373:
	v_div_scale_f64 v[217:218], null, v[215:216], v[215:216], v[213:214]
	v_div_scale_f64 v[223:224], vcc_lo, v[213:214], v[215:216], v[213:214]
	v_rcp_f64_e32 v[219:220], v[217:218]
	v_fma_f64 v[221:222], -v[217:218], v[219:220], 1.0
	v_fma_f64 v[219:220], v[219:220], v[221:222], v[219:220]
	v_fma_f64 v[221:222], -v[217:218], v[219:220], 1.0
	v_fma_f64 v[219:220], v[219:220], v[221:222], v[219:220]
	v_mul_f64 v[221:222], v[223:224], v[219:220]
	v_fma_f64 v[217:218], -v[217:218], v[221:222], v[223:224]
	v_div_fmas_f64 v[217:218], v[217:218], v[219:220], v[221:222]
	v_div_fixup_f64 v[217:218], v[217:218], v[215:216], v[213:214]
	v_fma_f64 v[213:214], v[213:214], v[217:218], v[215:216]
	v_div_scale_f64 v[215:216], null, v[213:214], v[213:214], 1.0
	v_rcp_f64_e32 v[219:220], v[215:216]
	v_fma_f64 v[221:222], -v[215:216], v[219:220], 1.0
	v_fma_f64 v[219:220], v[219:220], v[221:222], v[219:220]
	v_fma_f64 v[221:222], -v[215:216], v[219:220], 1.0
	v_fma_f64 v[219:220], v[219:220], v[221:222], v[219:220]
	v_div_scale_f64 v[221:222], vcc_lo, 1.0, v[213:214], 1.0
	v_mul_f64 v[223:224], v[221:222], v[219:220]
	v_fma_f64 v[215:216], -v[215:216], v[223:224], v[221:222]
	v_div_fmas_f64 v[215:216], v[215:216], v[219:220], v[223:224]
	v_div_fixup_f64 v[219:220], v[215:216], v[213:214], 1.0
                                        ; implicit-def: $vgpr213_vgpr214
	v_mul_f64 v[217:218], v[217:218], v[219:220]
	v_xor_b32_e32 v220, 0x80000000, v220
.LBB119_374:
	s_andn2_saveexec_b32 s1, s1
	s_cbranch_execz .LBB119_376
; %bb.375:
	v_div_scale_f64 v[217:218], null, v[213:214], v[213:214], v[215:216]
	v_div_scale_f64 v[223:224], vcc_lo, v[215:216], v[213:214], v[215:216]
	v_rcp_f64_e32 v[219:220], v[217:218]
	v_fma_f64 v[221:222], -v[217:218], v[219:220], 1.0
	v_fma_f64 v[219:220], v[219:220], v[221:222], v[219:220]
	v_fma_f64 v[221:222], -v[217:218], v[219:220], 1.0
	v_fma_f64 v[219:220], v[219:220], v[221:222], v[219:220]
	v_mul_f64 v[221:222], v[223:224], v[219:220]
	v_fma_f64 v[217:218], -v[217:218], v[221:222], v[223:224]
	v_div_fmas_f64 v[217:218], v[217:218], v[219:220], v[221:222]
	v_div_fixup_f64 v[219:220], v[217:218], v[213:214], v[215:216]
	v_fma_f64 v[213:214], v[215:216], v[219:220], v[213:214]
	v_div_scale_f64 v[215:216], null, v[213:214], v[213:214], 1.0
	v_rcp_f64_e32 v[217:218], v[215:216]
	v_fma_f64 v[221:222], -v[215:216], v[217:218], 1.0
	v_fma_f64 v[217:218], v[217:218], v[221:222], v[217:218]
	v_fma_f64 v[221:222], -v[215:216], v[217:218], 1.0
	v_fma_f64 v[217:218], v[217:218], v[221:222], v[217:218]
	v_div_scale_f64 v[221:222], vcc_lo, 1.0, v[213:214], 1.0
	v_mul_f64 v[223:224], v[221:222], v[217:218]
	v_fma_f64 v[215:216], -v[215:216], v[223:224], v[221:222]
	v_div_fmas_f64 v[215:216], v[215:216], v[217:218], v[223:224]
	v_div_fixup_f64 v[217:218], v[215:216], v[213:214], 1.0
	v_mul_f64 v[219:220], v[219:220], -v[217:218]
.LBB119_376:
	s_or_b32 exec_lo, exec_lo, s1
	ds_write2_b64 v255, v[217:218], v[219:220] offset1:1
.LBB119_377:
	s_or_b32 exec_lo, exec_lo, s2
	s_waitcnt lgkmcnt(0)
	s_barrier
	buffer_gl0_inv
	ds_read2_b64 v[193:196], v255 offset1:1
	s_mov_b32 s1, exec_lo
	s_waitcnt lgkmcnt(0)
	buffer_store_dword v193, off, s[16:19], 0 offset:1232 ; 4-byte Folded Spill
	buffer_store_dword v194, off, s[16:19], 0 offset:1236 ; 4-byte Folded Spill
	;; [unrolled: 1-line block ×4, first 2 shown]
	v_cmpx_lt_u32_e32 41, v0
	s_cbranch_execz .LBB119_379
; %bb.378:
	s_clause 0x3
	buffer_load_dword v193, off, s[16:19], 0 offset:1232
	buffer_load_dword v194, off, s[16:19], 0 offset:1236
	;; [unrolled: 1-line block ×4, first 2 shown]
	ds_read2_b64 v[215:218], v253 offset0:84 offset1:85
	s_waitcnt vmcnt(0)
	v_mul_f64 v[213:214], v[195:196], v[75:76]
	v_mul_f64 v[75:76], v[193:194], v[75:76]
	v_fma_f64 v[213:214], v[193:194], v[73:74], -v[213:214]
	v_fma_f64 v[75:76], v[195:196], v[73:74], v[75:76]
	s_waitcnt lgkmcnt(0)
	v_mul_f64 v[73:74], v[217:218], v[75:76]
	v_fma_f64 v[73:74], v[215:216], v[213:214], -v[73:74]
	v_mul_f64 v[215:216], v[215:216], v[75:76]
	v_add_f64 v[69:70], v[69:70], -v[73:74]
	v_fma_f64 v[215:216], v[217:218], v[213:214], v[215:216]
	v_add_f64 v[71:72], v[71:72], -v[215:216]
	ds_read2_b64 v[215:218], v253 offset0:86 offset1:87
	s_waitcnt lgkmcnt(0)
	v_mul_f64 v[73:74], v[217:218], v[75:76]
	v_fma_f64 v[73:74], v[215:216], v[213:214], -v[73:74]
	v_mul_f64 v[215:216], v[215:216], v[75:76]
	v_add_f64 v[65:66], v[65:66], -v[73:74]
	v_fma_f64 v[215:216], v[217:218], v[213:214], v[215:216]
	v_add_f64 v[67:68], v[67:68], -v[215:216]
	ds_read2_b64 v[215:218], v253 offset0:88 offset1:89
	;; [unrolled: 8-line block ×17, first 2 shown]
	s_waitcnt lgkmcnt(0)
	v_mul_f64 v[73:74], v[217:218], v[75:76]
	v_fma_f64 v[73:74], v[215:216], v[213:214], -v[73:74]
	v_mul_f64 v[215:216], v[215:216], v[75:76]
	v_add_f64 v[1:2], v[1:2], -v[73:74]
	v_fma_f64 v[215:216], v[217:218], v[213:214], v[215:216]
	v_mov_b32_e32 v73, v213
	v_mov_b32_e32 v74, v214
	v_add_f64 v[3:4], v[3:4], -v[215:216]
.LBB119_379:
	s_or_b32 exec_lo, exec_lo, s1
	s_mov_b32 s2, exec_lo
	s_waitcnt_vscnt null, 0x0
	s_barrier
	buffer_gl0_inv
	v_cmpx_eq_u32_e32 42, v0
	s_cbranch_execz .LBB119_386
; %bb.380:
	ds_write2_b64 v255, v[69:70], v[71:72] offset1:1
	ds_write2_b64 v253, v[65:66], v[67:68] offset0:86 offset1:87
	ds_write2_b64 v253, v[61:62], v[63:64] offset0:88 offset1:89
	ds_write2_b64 v253, v[57:58], v[59:60] offset0:90 offset1:91
	ds_write2_b64 v253, v[53:54], v[55:56] offset0:92 offset1:93
	ds_write2_b64 v253, v[49:50], v[51:52] offset0:94 offset1:95
	ds_write2_b64 v253, v[45:46], v[47:48] offset0:96 offset1:97
	ds_write2_b64 v253, v[41:42], v[43:44] offset0:98 offset1:99
	ds_write2_b64 v253, v[37:38], v[39:40] offset0:100 offset1:101
	ds_write2_b64 v253, v[33:34], v[35:36] offset0:102 offset1:103
	ds_write2_b64 v253, v[29:30], v[31:32] offset0:104 offset1:105
	ds_write2_b64 v253, v[25:26], v[27:28] offset0:106 offset1:107
	ds_write2_b64 v253, v[21:22], v[23:24] offset0:108 offset1:109
	ds_write2_b64 v253, v[17:18], v[19:20] offset0:110 offset1:111
	ds_write2_b64 v253, v[13:14], v[15:16] offset0:112 offset1:113
	ds_write2_b64 v253, v[9:10], v[11:12] offset0:114 offset1:115
	ds_write2_b64 v253, v[5:6], v[7:8] offset0:116 offset1:117
	ds_write2_b64 v253, v[1:2], v[3:4] offset0:118 offset1:119
	ds_read2_b64 v[213:216], v255 offset1:1
	s_waitcnt lgkmcnt(0)
	v_cmp_neq_f64_e32 vcc_lo, 0, v[213:214]
	v_cmp_neq_f64_e64 s1, 0, v[215:216]
	s_or_b32 s1, vcc_lo, s1
	s_and_b32 exec_lo, exec_lo, s1
	s_cbranch_execz .LBB119_386
; %bb.381:
	v_cmp_ngt_f64_e64 s1, |v[213:214]|, |v[215:216]|
                                        ; implicit-def: $vgpr217_vgpr218
	s_and_saveexec_b32 s3, s1
	s_xor_b32 s1, exec_lo, s3
                                        ; implicit-def: $vgpr219_vgpr220
	s_cbranch_execz .LBB119_383
; %bb.382:
	v_div_scale_f64 v[217:218], null, v[215:216], v[215:216], v[213:214]
	v_div_scale_f64 v[223:224], vcc_lo, v[213:214], v[215:216], v[213:214]
	v_rcp_f64_e32 v[219:220], v[217:218]
	v_fma_f64 v[221:222], -v[217:218], v[219:220], 1.0
	v_fma_f64 v[219:220], v[219:220], v[221:222], v[219:220]
	v_fma_f64 v[221:222], -v[217:218], v[219:220], 1.0
	v_fma_f64 v[219:220], v[219:220], v[221:222], v[219:220]
	v_mul_f64 v[221:222], v[223:224], v[219:220]
	v_fma_f64 v[217:218], -v[217:218], v[221:222], v[223:224]
	v_div_fmas_f64 v[217:218], v[217:218], v[219:220], v[221:222]
	v_div_fixup_f64 v[217:218], v[217:218], v[215:216], v[213:214]
	v_fma_f64 v[213:214], v[213:214], v[217:218], v[215:216]
	v_div_scale_f64 v[215:216], null, v[213:214], v[213:214], 1.0
	v_rcp_f64_e32 v[219:220], v[215:216]
	v_fma_f64 v[221:222], -v[215:216], v[219:220], 1.0
	v_fma_f64 v[219:220], v[219:220], v[221:222], v[219:220]
	v_fma_f64 v[221:222], -v[215:216], v[219:220], 1.0
	v_fma_f64 v[219:220], v[219:220], v[221:222], v[219:220]
	v_div_scale_f64 v[221:222], vcc_lo, 1.0, v[213:214], 1.0
	v_mul_f64 v[223:224], v[221:222], v[219:220]
	v_fma_f64 v[215:216], -v[215:216], v[223:224], v[221:222]
	v_div_fmas_f64 v[215:216], v[215:216], v[219:220], v[223:224]
	v_div_fixup_f64 v[219:220], v[215:216], v[213:214], 1.0
                                        ; implicit-def: $vgpr213_vgpr214
	v_mul_f64 v[217:218], v[217:218], v[219:220]
	v_xor_b32_e32 v220, 0x80000000, v220
.LBB119_383:
	s_andn2_saveexec_b32 s1, s1
	s_cbranch_execz .LBB119_385
; %bb.384:
	v_div_scale_f64 v[217:218], null, v[213:214], v[213:214], v[215:216]
	v_div_scale_f64 v[223:224], vcc_lo, v[215:216], v[213:214], v[215:216]
	v_rcp_f64_e32 v[219:220], v[217:218]
	v_fma_f64 v[221:222], -v[217:218], v[219:220], 1.0
	v_fma_f64 v[219:220], v[219:220], v[221:222], v[219:220]
	v_fma_f64 v[221:222], -v[217:218], v[219:220], 1.0
	v_fma_f64 v[219:220], v[219:220], v[221:222], v[219:220]
	v_mul_f64 v[221:222], v[223:224], v[219:220]
	v_fma_f64 v[217:218], -v[217:218], v[221:222], v[223:224]
	v_div_fmas_f64 v[217:218], v[217:218], v[219:220], v[221:222]
	v_div_fixup_f64 v[219:220], v[217:218], v[213:214], v[215:216]
	v_fma_f64 v[213:214], v[215:216], v[219:220], v[213:214]
	v_div_scale_f64 v[215:216], null, v[213:214], v[213:214], 1.0
	v_rcp_f64_e32 v[217:218], v[215:216]
	v_fma_f64 v[221:222], -v[215:216], v[217:218], 1.0
	v_fma_f64 v[217:218], v[217:218], v[221:222], v[217:218]
	v_fma_f64 v[221:222], -v[215:216], v[217:218], 1.0
	v_fma_f64 v[217:218], v[217:218], v[221:222], v[217:218]
	v_div_scale_f64 v[221:222], vcc_lo, 1.0, v[213:214], 1.0
	v_mul_f64 v[223:224], v[221:222], v[217:218]
	v_fma_f64 v[215:216], -v[215:216], v[223:224], v[221:222]
	v_div_fmas_f64 v[215:216], v[215:216], v[217:218], v[223:224]
	v_div_fixup_f64 v[217:218], v[215:216], v[213:214], 1.0
	v_mul_f64 v[219:220], v[219:220], -v[217:218]
.LBB119_385:
	s_or_b32 exec_lo, exec_lo, s1
	ds_write2_b64 v255, v[217:218], v[219:220] offset1:1
.LBB119_386:
	s_or_b32 exec_lo, exec_lo, s2
	s_waitcnt lgkmcnt(0)
	s_barrier
	buffer_gl0_inv
	ds_read2_b64 v[193:196], v255 offset1:1
	s_mov_b32 s1, exec_lo
	s_waitcnt lgkmcnt(0)
	buffer_store_dword v193, off, s[16:19], 0 offset:1248 ; 4-byte Folded Spill
	buffer_store_dword v194, off, s[16:19], 0 offset:1252 ; 4-byte Folded Spill
	;; [unrolled: 1-line block ×4, first 2 shown]
	v_cmpx_lt_u32_e32 42, v0
	s_cbranch_execz .LBB119_388
; %bb.387:
	s_clause 0x3
	buffer_load_dword v193, off, s[16:19], 0 offset:1248
	buffer_load_dword v194, off, s[16:19], 0 offset:1252
	;; [unrolled: 1-line block ×4, first 2 shown]
	ds_read2_b64 v[215:218], v253 offset0:86 offset1:87
	s_waitcnt vmcnt(0)
	v_mul_f64 v[213:214], v[195:196], v[71:72]
	v_mul_f64 v[71:72], v[193:194], v[71:72]
	v_fma_f64 v[213:214], v[193:194], v[69:70], -v[213:214]
	v_fma_f64 v[71:72], v[195:196], v[69:70], v[71:72]
	s_waitcnt lgkmcnt(0)
	v_mul_f64 v[69:70], v[217:218], v[71:72]
	v_fma_f64 v[69:70], v[215:216], v[213:214], -v[69:70]
	v_mul_f64 v[215:216], v[215:216], v[71:72]
	v_add_f64 v[65:66], v[65:66], -v[69:70]
	v_fma_f64 v[215:216], v[217:218], v[213:214], v[215:216]
	v_add_f64 v[67:68], v[67:68], -v[215:216]
	ds_read2_b64 v[215:218], v253 offset0:88 offset1:89
	s_waitcnt lgkmcnt(0)
	v_mul_f64 v[69:70], v[217:218], v[71:72]
	v_fma_f64 v[69:70], v[215:216], v[213:214], -v[69:70]
	v_mul_f64 v[215:216], v[215:216], v[71:72]
	v_add_f64 v[61:62], v[61:62], -v[69:70]
	v_fma_f64 v[215:216], v[217:218], v[213:214], v[215:216]
	v_add_f64 v[63:64], v[63:64], -v[215:216]
	ds_read2_b64 v[215:218], v253 offset0:90 offset1:91
	s_waitcnt lgkmcnt(0)
	v_mul_f64 v[69:70], v[217:218], v[71:72]
	v_fma_f64 v[69:70], v[215:216], v[213:214], -v[69:70]
	v_mul_f64 v[215:216], v[215:216], v[71:72]
	v_add_f64 v[57:58], v[57:58], -v[69:70]
	v_fma_f64 v[215:216], v[217:218], v[213:214], v[215:216]
	v_add_f64 v[59:60], v[59:60], -v[215:216]
	ds_read2_b64 v[215:218], v253 offset0:92 offset1:93
	s_waitcnt lgkmcnt(0)
	v_mul_f64 v[69:70], v[217:218], v[71:72]
	v_fma_f64 v[69:70], v[215:216], v[213:214], -v[69:70]
	v_mul_f64 v[215:216], v[215:216], v[71:72]
	v_add_f64 v[53:54], v[53:54], -v[69:70]
	v_fma_f64 v[215:216], v[217:218], v[213:214], v[215:216]
	v_add_f64 v[55:56], v[55:56], -v[215:216]
	ds_read2_b64 v[215:218], v253 offset0:94 offset1:95
	s_waitcnt lgkmcnt(0)
	v_mul_f64 v[69:70], v[217:218], v[71:72]
	v_fma_f64 v[69:70], v[215:216], v[213:214], -v[69:70]
	v_mul_f64 v[215:216], v[215:216], v[71:72]
	v_add_f64 v[49:50], v[49:50], -v[69:70]
	v_fma_f64 v[215:216], v[217:218], v[213:214], v[215:216]
	v_add_f64 v[51:52], v[51:52], -v[215:216]
	ds_read2_b64 v[215:218], v253 offset0:96 offset1:97
	s_waitcnt lgkmcnt(0)
	v_mul_f64 v[69:70], v[217:218], v[71:72]
	v_fma_f64 v[69:70], v[215:216], v[213:214], -v[69:70]
	v_mul_f64 v[215:216], v[215:216], v[71:72]
	v_add_f64 v[45:46], v[45:46], -v[69:70]
	v_fma_f64 v[215:216], v[217:218], v[213:214], v[215:216]
	v_add_f64 v[47:48], v[47:48], -v[215:216]
	ds_read2_b64 v[215:218], v253 offset0:98 offset1:99
	s_waitcnt lgkmcnt(0)
	v_mul_f64 v[69:70], v[217:218], v[71:72]
	v_fma_f64 v[69:70], v[215:216], v[213:214], -v[69:70]
	v_mul_f64 v[215:216], v[215:216], v[71:72]
	v_add_f64 v[41:42], v[41:42], -v[69:70]
	v_fma_f64 v[215:216], v[217:218], v[213:214], v[215:216]
	v_add_f64 v[43:44], v[43:44], -v[215:216]
	ds_read2_b64 v[215:218], v253 offset0:100 offset1:101
	s_waitcnt lgkmcnt(0)
	v_mul_f64 v[69:70], v[217:218], v[71:72]
	v_fma_f64 v[69:70], v[215:216], v[213:214], -v[69:70]
	v_mul_f64 v[215:216], v[215:216], v[71:72]
	v_add_f64 v[37:38], v[37:38], -v[69:70]
	v_fma_f64 v[215:216], v[217:218], v[213:214], v[215:216]
	v_add_f64 v[39:40], v[39:40], -v[215:216]
	ds_read2_b64 v[215:218], v253 offset0:102 offset1:103
	s_waitcnt lgkmcnt(0)
	v_mul_f64 v[69:70], v[217:218], v[71:72]
	v_fma_f64 v[69:70], v[215:216], v[213:214], -v[69:70]
	v_mul_f64 v[215:216], v[215:216], v[71:72]
	v_add_f64 v[33:34], v[33:34], -v[69:70]
	v_fma_f64 v[215:216], v[217:218], v[213:214], v[215:216]
	v_add_f64 v[35:36], v[35:36], -v[215:216]
	ds_read2_b64 v[215:218], v253 offset0:104 offset1:105
	s_waitcnt lgkmcnt(0)
	v_mul_f64 v[69:70], v[217:218], v[71:72]
	v_fma_f64 v[69:70], v[215:216], v[213:214], -v[69:70]
	v_mul_f64 v[215:216], v[215:216], v[71:72]
	v_add_f64 v[29:30], v[29:30], -v[69:70]
	v_fma_f64 v[215:216], v[217:218], v[213:214], v[215:216]
	v_add_f64 v[31:32], v[31:32], -v[215:216]
	ds_read2_b64 v[215:218], v253 offset0:106 offset1:107
	s_waitcnt lgkmcnt(0)
	v_mul_f64 v[69:70], v[217:218], v[71:72]
	v_fma_f64 v[69:70], v[215:216], v[213:214], -v[69:70]
	v_mul_f64 v[215:216], v[215:216], v[71:72]
	v_add_f64 v[25:26], v[25:26], -v[69:70]
	v_fma_f64 v[215:216], v[217:218], v[213:214], v[215:216]
	v_add_f64 v[27:28], v[27:28], -v[215:216]
	ds_read2_b64 v[215:218], v253 offset0:108 offset1:109
	s_waitcnt lgkmcnt(0)
	v_mul_f64 v[69:70], v[217:218], v[71:72]
	v_fma_f64 v[69:70], v[215:216], v[213:214], -v[69:70]
	v_mul_f64 v[215:216], v[215:216], v[71:72]
	v_add_f64 v[21:22], v[21:22], -v[69:70]
	v_fma_f64 v[215:216], v[217:218], v[213:214], v[215:216]
	v_add_f64 v[23:24], v[23:24], -v[215:216]
	ds_read2_b64 v[215:218], v253 offset0:110 offset1:111
	s_waitcnt lgkmcnt(0)
	v_mul_f64 v[69:70], v[217:218], v[71:72]
	v_fma_f64 v[69:70], v[215:216], v[213:214], -v[69:70]
	v_mul_f64 v[215:216], v[215:216], v[71:72]
	v_add_f64 v[17:18], v[17:18], -v[69:70]
	v_fma_f64 v[215:216], v[217:218], v[213:214], v[215:216]
	v_add_f64 v[19:20], v[19:20], -v[215:216]
	ds_read2_b64 v[215:218], v253 offset0:112 offset1:113
	s_waitcnt lgkmcnt(0)
	v_mul_f64 v[69:70], v[217:218], v[71:72]
	v_fma_f64 v[69:70], v[215:216], v[213:214], -v[69:70]
	v_mul_f64 v[215:216], v[215:216], v[71:72]
	v_add_f64 v[13:14], v[13:14], -v[69:70]
	v_fma_f64 v[215:216], v[217:218], v[213:214], v[215:216]
	v_add_f64 v[15:16], v[15:16], -v[215:216]
	ds_read2_b64 v[215:218], v253 offset0:114 offset1:115
	s_waitcnt lgkmcnt(0)
	v_mul_f64 v[69:70], v[217:218], v[71:72]
	v_fma_f64 v[69:70], v[215:216], v[213:214], -v[69:70]
	v_mul_f64 v[215:216], v[215:216], v[71:72]
	v_add_f64 v[9:10], v[9:10], -v[69:70]
	v_fma_f64 v[215:216], v[217:218], v[213:214], v[215:216]
	v_add_f64 v[11:12], v[11:12], -v[215:216]
	ds_read2_b64 v[215:218], v253 offset0:116 offset1:117
	s_waitcnt lgkmcnt(0)
	v_mul_f64 v[69:70], v[217:218], v[71:72]
	v_fma_f64 v[69:70], v[215:216], v[213:214], -v[69:70]
	v_mul_f64 v[215:216], v[215:216], v[71:72]
	v_add_f64 v[5:6], v[5:6], -v[69:70]
	v_fma_f64 v[215:216], v[217:218], v[213:214], v[215:216]
	v_add_f64 v[7:8], v[7:8], -v[215:216]
	ds_read2_b64 v[215:218], v253 offset0:118 offset1:119
	s_waitcnt lgkmcnt(0)
	v_mul_f64 v[69:70], v[217:218], v[71:72]
	v_fma_f64 v[69:70], v[215:216], v[213:214], -v[69:70]
	v_mul_f64 v[215:216], v[215:216], v[71:72]
	v_add_f64 v[1:2], v[1:2], -v[69:70]
	v_fma_f64 v[215:216], v[217:218], v[213:214], v[215:216]
	v_mov_b32_e32 v69, v213
	v_mov_b32_e32 v70, v214
	v_add_f64 v[3:4], v[3:4], -v[215:216]
.LBB119_388:
	s_or_b32 exec_lo, exec_lo, s1
	s_mov_b32 s2, exec_lo
	s_waitcnt_vscnt null, 0x0
	s_barrier
	buffer_gl0_inv
	v_cmpx_eq_u32_e32 43, v0
	s_cbranch_execz .LBB119_395
; %bb.389:
	ds_write2_b64 v255, v[65:66], v[67:68] offset1:1
	ds_write2_b64 v253, v[61:62], v[63:64] offset0:88 offset1:89
	ds_write2_b64 v253, v[57:58], v[59:60] offset0:90 offset1:91
	;; [unrolled: 1-line block ×16, first 2 shown]
	ds_read2_b64 v[213:216], v255 offset1:1
	s_waitcnt lgkmcnt(0)
	v_cmp_neq_f64_e32 vcc_lo, 0, v[213:214]
	v_cmp_neq_f64_e64 s1, 0, v[215:216]
	s_or_b32 s1, vcc_lo, s1
	s_and_b32 exec_lo, exec_lo, s1
	s_cbranch_execz .LBB119_395
; %bb.390:
	v_cmp_ngt_f64_e64 s1, |v[213:214]|, |v[215:216]|
                                        ; implicit-def: $vgpr217_vgpr218
	s_and_saveexec_b32 s3, s1
	s_xor_b32 s1, exec_lo, s3
                                        ; implicit-def: $vgpr219_vgpr220
	s_cbranch_execz .LBB119_392
; %bb.391:
	v_div_scale_f64 v[217:218], null, v[215:216], v[215:216], v[213:214]
	v_div_scale_f64 v[223:224], vcc_lo, v[213:214], v[215:216], v[213:214]
	v_rcp_f64_e32 v[219:220], v[217:218]
	v_fma_f64 v[221:222], -v[217:218], v[219:220], 1.0
	v_fma_f64 v[219:220], v[219:220], v[221:222], v[219:220]
	v_fma_f64 v[221:222], -v[217:218], v[219:220], 1.0
	v_fma_f64 v[219:220], v[219:220], v[221:222], v[219:220]
	v_mul_f64 v[221:222], v[223:224], v[219:220]
	v_fma_f64 v[217:218], -v[217:218], v[221:222], v[223:224]
	v_div_fmas_f64 v[217:218], v[217:218], v[219:220], v[221:222]
	v_div_fixup_f64 v[217:218], v[217:218], v[215:216], v[213:214]
	v_fma_f64 v[213:214], v[213:214], v[217:218], v[215:216]
	v_div_scale_f64 v[215:216], null, v[213:214], v[213:214], 1.0
	v_rcp_f64_e32 v[219:220], v[215:216]
	v_fma_f64 v[221:222], -v[215:216], v[219:220], 1.0
	v_fma_f64 v[219:220], v[219:220], v[221:222], v[219:220]
	v_fma_f64 v[221:222], -v[215:216], v[219:220], 1.0
	v_fma_f64 v[219:220], v[219:220], v[221:222], v[219:220]
	v_div_scale_f64 v[221:222], vcc_lo, 1.0, v[213:214], 1.0
	v_mul_f64 v[223:224], v[221:222], v[219:220]
	v_fma_f64 v[215:216], -v[215:216], v[223:224], v[221:222]
	v_div_fmas_f64 v[215:216], v[215:216], v[219:220], v[223:224]
	v_div_fixup_f64 v[219:220], v[215:216], v[213:214], 1.0
                                        ; implicit-def: $vgpr213_vgpr214
	v_mul_f64 v[217:218], v[217:218], v[219:220]
	v_xor_b32_e32 v220, 0x80000000, v220
.LBB119_392:
	s_andn2_saveexec_b32 s1, s1
	s_cbranch_execz .LBB119_394
; %bb.393:
	v_div_scale_f64 v[217:218], null, v[213:214], v[213:214], v[215:216]
	v_div_scale_f64 v[223:224], vcc_lo, v[215:216], v[213:214], v[215:216]
	v_rcp_f64_e32 v[219:220], v[217:218]
	v_fma_f64 v[221:222], -v[217:218], v[219:220], 1.0
	v_fma_f64 v[219:220], v[219:220], v[221:222], v[219:220]
	v_fma_f64 v[221:222], -v[217:218], v[219:220], 1.0
	v_fma_f64 v[219:220], v[219:220], v[221:222], v[219:220]
	v_mul_f64 v[221:222], v[223:224], v[219:220]
	v_fma_f64 v[217:218], -v[217:218], v[221:222], v[223:224]
	v_div_fmas_f64 v[217:218], v[217:218], v[219:220], v[221:222]
	v_div_fixup_f64 v[219:220], v[217:218], v[213:214], v[215:216]
	v_fma_f64 v[213:214], v[215:216], v[219:220], v[213:214]
	v_div_scale_f64 v[215:216], null, v[213:214], v[213:214], 1.0
	v_rcp_f64_e32 v[217:218], v[215:216]
	v_fma_f64 v[221:222], -v[215:216], v[217:218], 1.0
	v_fma_f64 v[217:218], v[217:218], v[221:222], v[217:218]
	v_fma_f64 v[221:222], -v[215:216], v[217:218], 1.0
	v_fma_f64 v[217:218], v[217:218], v[221:222], v[217:218]
	v_div_scale_f64 v[221:222], vcc_lo, 1.0, v[213:214], 1.0
	v_mul_f64 v[223:224], v[221:222], v[217:218]
	v_fma_f64 v[215:216], -v[215:216], v[223:224], v[221:222]
	v_div_fmas_f64 v[215:216], v[215:216], v[217:218], v[223:224]
	v_div_fixup_f64 v[217:218], v[215:216], v[213:214], 1.0
	v_mul_f64 v[219:220], v[219:220], -v[217:218]
.LBB119_394:
	s_or_b32 exec_lo, exec_lo, s1
	ds_write2_b64 v255, v[217:218], v[219:220] offset1:1
.LBB119_395:
	s_or_b32 exec_lo, exec_lo, s2
	s_waitcnt lgkmcnt(0)
	s_barrier
	buffer_gl0_inv
	ds_read2_b64 v[193:196], v255 offset1:1
	s_mov_b32 s1, exec_lo
	s_waitcnt lgkmcnt(0)
	buffer_store_dword v193, off, s[16:19], 0 offset:1264 ; 4-byte Folded Spill
	buffer_store_dword v194, off, s[16:19], 0 offset:1268 ; 4-byte Folded Spill
	;; [unrolled: 1-line block ×4, first 2 shown]
	v_cmpx_lt_u32_e32 43, v0
	s_cbranch_execz .LBB119_397
; %bb.396:
	s_clause 0x3
	buffer_load_dword v193, off, s[16:19], 0 offset:1264
	buffer_load_dword v194, off, s[16:19], 0 offset:1268
	;; [unrolled: 1-line block ×4, first 2 shown]
	ds_read2_b64 v[215:218], v253 offset0:88 offset1:89
	s_waitcnt vmcnt(2)
	v_mul_f64 v[213:214], v[193:194], v[67:68]
	s_waitcnt vmcnt(0)
	v_mul_f64 v[67:68], v[195:196], v[67:68]
	v_fma_f64 v[213:214], v[195:196], v[65:66], v[213:214]
	v_fma_f64 v[65:66], v[193:194], v[65:66], -v[67:68]
	s_waitcnt lgkmcnt(0)
	v_mul_f64 v[67:68], v[217:218], v[213:214]
	v_fma_f64 v[67:68], v[215:216], v[65:66], -v[67:68]
	v_mul_f64 v[215:216], v[215:216], v[213:214]
	v_add_f64 v[61:62], v[61:62], -v[67:68]
	v_fma_f64 v[215:216], v[217:218], v[65:66], v[215:216]
	v_add_f64 v[63:64], v[63:64], -v[215:216]
	ds_read2_b64 v[215:218], v253 offset0:90 offset1:91
	s_waitcnt lgkmcnt(0)
	v_mul_f64 v[67:68], v[217:218], v[213:214]
	v_fma_f64 v[67:68], v[215:216], v[65:66], -v[67:68]
	v_mul_f64 v[215:216], v[215:216], v[213:214]
	v_add_f64 v[57:58], v[57:58], -v[67:68]
	v_fma_f64 v[215:216], v[217:218], v[65:66], v[215:216]
	v_add_f64 v[59:60], v[59:60], -v[215:216]
	ds_read2_b64 v[215:218], v253 offset0:92 offset1:93
	;; [unrolled: 8-line block ×15, first 2 shown]
	s_waitcnt lgkmcnt(0)
	v_mul_f64 v[67:68], v[217:218], v[213:214]
	v_fma_f64 v[67:68], v[215:216], v[65:66], -v[67:68]
	v_mul_f64 v[215:216], v[215:216], v[213:214]
	v_add_f64 v[1:2], v[1:2], -v[67:68]
	v_fma_f64 v[215:216], v[217:218], v[65:66], v[215:216]
	v_mov_b32_e32 v67, v213
	v_mov_b32_e32 v68, v214
	v_add_f64 v[3:4], v[3:4], -v[215:216]
.LBB119_397:
	s_or_b32 exec_lo, exec_lo, s1
	s_mov_b32 s2, exec_lo
	s_waitcnt_vscnt null, 0x0
	s_barrier
	buffer_gl0_inv
	v_cmpx_eq_u32_e32 44, v0
	s_cbranch_execz .LBB119_404
; %bb.398:
	ds_write2_b64 v255, v[61:62], v[63:64] offset1:1
	ds_write2_b64 v253, v[57:58], v[59:60] offset0:90 offset1:91
	ds_write2_b64 v253, v[53:54], v[55:56] offset0:92 offset1:93
	;; [unrolled: 1-line block ×15, first 2 shown]
	ds_read2_b64 v[213:216], v255 offset1:1
	s_waitcnt lgkmcnt(0)
	v_cmp_neq_f64_e32 vcc_lo, 0, v[213:214]
	v_cmp_neq_f64_e64 s1, 0, v[215:216]
	s_or_b32 s1, vcc_lo, s1
	s_and_b32 exec_lo, exec_lo, s1
	s_cbranch_execz .LBB119_404
; %bb.399:
	v_cmp_ngt_f64_e64 s1, |v[213:214]|, |v[215:216]|
                                        ; implicit-def: $vgpr217_vgpr218
	s_and_saveexec_b32 s3, s1
	s_xor_b32 s1, exec_lo, s3
                                        ; implicit-def: $vgpr219_vgpr220
	s_cbranch_execz .LBB119_401
; %bb.400:
	v_div_scale_f64 v[217:218], null, v[215:216], v[215:216], v[213:214]
	v_div_scale_f64 v[223:224], vcc_lo, v[213:214], v[215:216], v[213:214]
	v_rcp_f64_e32 v[219:220], v[217:218]
	v_fma_f64 v[221:222], -v[217:218], v[219:220], 1.0
	v_fma_f64 v[219:220], v[219:220], v[221:222], v[219:220]
	v_fma_f64 v[221:222], -v[217:218], v[219:220], 1.0
	v_fma_f64 v[219:220], v[219:220], v[221:222], v[219:220]
	v_mul_f64 v[221:222], v[223:224], v[219:220]
	v_fma_f64 v[217:218], -v[217:218], v[221:222], v[223:224]
	v_div_fmas_f64 v[217:218], v[217:218], v[219:220], v[221:222]
	v_div_fixup_f64 v[217:218], v[217:218], v[215:216], v[213:214]
	v_fma_f64 v[213:214], v[213:214], v[217:218], v[215:216]
	v_div_scale_f64 v[215:216], null, v[213:214], v[213:214], 1.0
	v_rcp_f64_e32 v[219:220], v[215:216]
	v_fma_f64 v[221:222], -v[215:216], v[219:220], 1.0
	v_fma_f64 v[219:220], v[219:220], v[221:222], v[219:220]
	v_fma_f64 v[221:222], -v[215:216], v[219:220], 1.0
	v_fma_f64 v[219:220], v[219:220], v[221:222], v[219:220]
	v_div_scale_f64 v[221:222], vcc_lo, 1.0, v[213:214], 1.0
	v_mul_f64 v[223:224], v[221:222], v[219:220]
	v_fma_f64 v[215:216], -v[215:216], v[223:224], v[221:222]
	v_div_fmas_f64 v[215:216], v[215:216], v[219:220], v[223:224]
	v_div_fixup_f64 v[219:220], v[215:216], v[213:214], 1.0
                                        ; implicit-def: $vgpr213_vgpr214
	v_mul_f64 v[217:218], v[217:218], v[219:220]
	v_xor_b32_e32 v220, 0x80000000, v220
.LBB119_401:
	s_andn2_saveexec_b32 s1, s1
	s_cbranch_execz .LBB119_403
; %bb.402:
	v_div_scale_f64 v[217:218], null, v[213:214], v[213:214], v[215:216]
	v_div_scale_f64 v[223:224], vcc_lo, v[215:216], v[213:214], v[215:216]
	v_rcp_f64_e32 v[219:220], v[217:218]
	v_fma_f64 v[221:222], -v[217:218], v[219:220], 1.0
	v_fma_f64 v[219:220], v[219:220], v[221:222], v[219:220]
	v_fma_f64 v[221:222], -v[217:218], v[219:220], 1.0
	v_fma_f64 v[219:220], v[219:220], v[221:222], v[219:220]
	v_mul_f64 v[221:222], v[223:224], v[219:220]
	v_fma_f64 v[217:218], -v[217:218], v[221:222], v[223:224]
	v_div_fmas_f64 v[217:218], v[217:218], v[219:220], v[221:222]
	v_div_fixup_f64 v[219:220], v[217:218], v[213:214], v[215:216]
	v_fma_f64 v[213:214], v[215:216], v[219:220], v[213:214]
	v_div_scale_f64 v[215:216], null, v[213:214], v[213:214], 1.0
	v_rcp_f64_e32 v[217:218], v[215:216]
	v_fma_f64 v[221:222], -v[215:216], v[217:218], 1.0
	v_fma_f64 v[217:218], v[217:218], v[221:222], v[217:218]
	v_fma_f64 v[221:222], -v[215:216], v[217:218], 1.0
	v_fma_f64 v[217:218], v[217:218], v[221:222], v[217:218]
	v_div_scale_f64 v[221:222], vcc_lo, 1.0, v[213:214], 1.0
	v_mul_f64 v[223:224], v[221:222], v[217:218]
	v_fma_f64 v[215:216], -v[215:216], v[223:224], v[221:222]
	v_div_fmas_f64 v[215:216], v[215:216], v[217:218], v[223:224]
	v_div_fixup_f64 v[217:218], v[215:216], v[213:214], 1.0
	v_mul_f64 v[219:220], v[219:220], -v[217:218]
.LBB119_403:
	s_or_b32 exec_lo, exec_lo, s1
	ds_write2_b64 v255, v[217:218], v[219:220] offset1:1
.LBB119_404:
	s_or_b32 exec_lo, exec_lo, s2
	s_waitcnt lgkmcnt(0)
	s_barrier
	buffer_gl0_inv
	ds_read2_b64 v[193:196], v255 offset1:1
	s_mov_b32 s1, exec_lo
	s_waitcnt lgkmcnt(0)
	buffer_store_dword v193, off, s[16:19], 0 offset:1280 ; 4-byte Folded Spill
	buffer_store_dword v194, off, s[16:19], 0 offset:1284 ; 4-byte Folded Spill
	;; [unrolled: 1-line block ×4, first 2 shown]
	v_cmpx_lt_u32_e32 44, v0
	s_cbranch_execz .LBB119_406
; %bb.405:
	s_clause 0x3
	buffer_load_dword v193, off, s[16:19], 0 offset:1280
	buffer_load_dword v194, off, s[16:19], 0 offset:1284
	;; [unrolled: 1-line block ×4, first 2 shown]
	ds_read2_b64 v[215:218], v253 offset0:90 offset1:91
	s_waitcnt vmcnt(2)
	v_mul_f64 v[213:214], v[193:194], v[63:64]
	s_waitcnt vmcnt(0)
	v_mul_f64 v[63:64], v[195:196], v[63:64]
	v_fma_f64 v[213:214], v[195:196], v[61:62], v[213:214]
	v_fma_f64 v[61:62], v[193:194], v[61:62], -v[63:64]
	s_waitcnt lgkmcnt(0)
	v_mul_f64 v[63:64], v[217:218], v[213:214]
	v_fma_f64 v[63:64], v[215:216], v[61:62], -v[63:64]
	v_mul_f64 v[215:216], v[215:216], v[213:214]
	v_add_f64 v[57:58], v[57:58], -v[63:64]
	v_fma_f64 v[215:216], v[217:218], v[61:62], v[215:216]
	v_add_f64 v[59:60], v[59:60], -v[215:216]
	ds_read2_b64 v[215:218], v253 offset0:92 offset1:93
	s_waitcnt lgkmcnt(0)
	v_mul_f64 v[63:64], v[217:218], v[213:214]
	v_fma_f64 v[63:64], v[215:216], v[61:62], -v[63:64]
	v_mul_f64 v[215:216], v[215:216], v[213:214]
	v_add_f64 v[53:54], v[53:54], -v[63:64]
	v_fma_f64 v[215:216], v[217:218], v[61:62], v[215:216]
	v_add_f64 v[55:56], v[55:56], -v[215:216]
	ds_read2_b64 v[215:218], v253 offset0:94 offset1:95
	s_waitcnt lgkmcnt(0)
	v_mul_f64 v[63:64], v[217:218], v[213:214]
	v_fma_f64 v[63:64], v[215:216], v[61:62], -v[63:64]
	v_mul_f64 v[215:216], v[215:216], v[213:214]
	v_add_f64 v[49:50], v[49:50], -v[63:64]
	v_fma_f64 v[215:216], v[217:218], v[61:62], v[215:216]
	v_add_f64 v[51:52], v[51:52], -v[215:216]
	ds_read2_b64 v[215:218], v253 offset0:96 offset1:97
	s_waitcnt lgkmcnt(0)
	v_mul_f64 v[63:64], v[217:218], v[213:214]
	v_fma_f64 v[63:64], v[215:216], v[61:62], -v[63:64]
	v_mul_f64 v[215:216], v[215:216], v[213:214]
	v_add_f64 v[45:46], v[45:46], -v[63:64]
	v_fma_f64 v[215:216], v[217:218], v[61:62], v[215:216]
	v_add_f64 v[47:48], v[47:48], -v[215:216]
	ds_read2_b64 v[215:218], v253 offset0:98 offset1:99
	s_waitcnt lgkmcnt(0)
	v_mul_f64 v[63:64], v[217:218], v[213:214]
	v_fma_f64 v[63:64], v[215:216], v[61:62], -v[63:64]
	v_mul_f64 v[215:216], v[215:216], v[213:214]
	v_add_f64 v[41:42], v[41:42], -v[63:64]
	v_fma_f64 v[215:216], v[217:218], v[61:62], v[215:216]
	v_add_f64 v[43:44], v[43:44], -v[215:216]
	ds_read2_b64 v[215:218], v253 offset0:100 offset1:101
	s_waitcnt lgkmcnt(0)
	v_mul_f64 v[63:64], v[217:218], v[213:214]
	v_fma_f64 v[63:64], v[215:216], v[61:62], -v[63:64]
	v_mul_f64 v[215:216], v[215:216], v[213:214]
	v_add_f64 v[37:38], v[37:38], -v[63:64]
	v_fma_f64 v[215:216], v[217:218], v[61:62], v[215:216]
	v_add_f64 v[39:40], v[39:40], -v[215:216]
	ds_read2_b64 v[215:218], v253 offset0:102 offset1:103
	s_waitcnt lgkmcnt(0)
	v_mul_f64 v[63:64], v[217:218], v[213:214]
	v_fma_f64 v[63:64], v[215:216], v[61:62], -v[63:64]
	v_mul_f64 v[215:216], v[215:216], v[213:214]
	v_add_f64 v[33:34], v[33:34], -v[63:64]
	v_fma_f64 v[215:216], v[217:218], v[61:62], v[215:216]
	v_add_f64 v[35:36], v[35:36], -v[215:216]
	ds_read2_b64 v[215:218], v253 offset0:104 offset1:105
	s_waitcnt lgkmcnt(0)
	v_mul_f64 v[63:64], v[217:218], v[213:214]
	v_fma_f64 v[63:64], v[215:216], v[61:62], -v[63:64]
	v_mul_f64 v[215:216], v[215:216], v[213:214]
	v_add_f64 v[29:30], v[29:30], -v[63:64]
	v_fma_f64 v[215:216], v[217:218], v[61:62], v[215:216]
	v_add_f64 v[31:32], v[31:32], -v[215:216]
	ds_read2_b64 v[215:218], v253 offset0:106 offset1:107
	s_waitcnt lgkmcnt(0)
	v_mul_f64 v[63:64], v[217:218], v[213:214]
	v_fma_f64 v[63:64], v[215:216], v[61:62], -v[63:64]
	v_mul_f64 v[215:216], v[215:216], v[213:214]
	v_add_f64 v[25:26], v[25:26], -v[63:64]
	v_fma_f64 v[215:216], v[217:218], v[61:62], v[215:216]
	v_add_f64 v[27:28], v[27:28], -v[215:216]
	ds_read2_b64 v[215:218], v253 offset0:108 offset1:109
	s_waitcnt lgkmcnt(0)
	v_mul_f64 v[63:64], v[217:218], v[213:214]
	v_fma_f64 v[63:64], v[215:216], v[61:62], -v[63:64]
	v_mul_f64 v[215:216], v[215:216], v[213:214]
	v_add_f64 v[21:22], v[21:22], -v[63:64]
	v_fma_f64 v[215:216], v[217:218], v[61:62], v[215:216]
	v_add_f64 v[23:24], v[23:24], -v[215:216]
	ds_read2_b64 v[215:218], v253 offset0:110 offset1:111
	s_waitcnt lgkmcnt(0)
	v_mul_f64 v[63:64], v[217:218], v[213:214]
	v_fma_f64 v[63:64], v[215:216], v[61:62], -v[63:64]
	v_mul_f64 v[215:216], v[215:216], v[213:214]
	v_add_f64 v[17:18], v[17:18], -v[63:64]
	v_fma_f64 v[215:216], v[217:218], v[61:62], v[215:216]
	v_add_f64 v[19:20], v[19:20], -v[215:216]
	ds_read2_b64 v[215:218], v253 offset0:112 offset1:113
	s_waitcnt lgkmcnt(0)
	v_mul_f64 v[63:64], v[217:218], v[213:214]
	v_fma_f64 v[63:64], v[215:216], v[61:62], -v[63:64]
	v_mul_f64 v[215:216], v[215:216], v[213:214]
	v_add_f64 v[13:14], v[13:14], -v[63:64]
	v_fma_f64 v[215:216], v[217:218], v[61:62], v[215:216]
	v_add_f64 v[15:16], v[15:16], -v[215:216]
	ds_read2_b64 v[215:218], v253 offset0:114 offset1:115
	s_waitcnt lgkmcnt(0)
	v_mul_f64 v[63:64], v[217:218], v[213:214]
	v_fma_f64 v[63:64], v[215:216], v[61:62], -v[63:64]
	v_mul_f64 v[215:216], v[215:216], v[213:214]
	v_add_f64 v[9:10], v[9:10], -v[63:64]
	v_fma_f64 v[215:216], v[217:218], v[61:62], v[215:216]
	v_add_f64 v[11:12], v[11:12], -v[215:216]
	ds_read2_b64 v[215:218], v253 offset0:116 offset1:117
	s_waitcnt lgkmcnt(0)
	v_mul_f64 v[63:64], v[217:218], v[213:214]
	v_fma_f64 v[63:64], v[215:216], v[61:62], -v[63:64]
	v_mul_f64 v[215:216], v[215:216], v[213:214]
	v_add_f64 v[5:6], v[5:6], -v[63:64]
	v_fma_f64 v[215:216], v[217:218], v[61:62], v[215:216]
	v_add_f64 v[7:8], v[7:8], -v[215:216]
	ds_read2_b64 v[215:218], v253 offset0:118 offset1:119
	s_waitcnt lgkmcnt(0)
	v_mul_f64 v[63:64], v[217:218], v[213:214]
	v_fma_f64 v[63:64], v[215:216], v[61:62], -v[63:64]
	v_mul_f64 v[215:216], v[215:216], v[213:214]
	v_add_f64 v[1:2], v[1:2], -v[63:64]
	v_fma_f64 v[215:216], v[217:218], v[61:62], v[215:216]
	v_mov_b32_e32 v63, v213
	v_mov_b32_e32 v64, v214
	v_add_f64 v[3:4], v[3:4], -v[215:216]
.LBB119_406:
	s_or_b32 exec_lo, exec_lo, s1
	s_mov_b32 s2, exec_lo
	s_waitcnt_vscnt null, 0x0
	s_barrier
	buffer_gl0_inv
	v_cmpx_eq_u32_e32 45, v0
	s_cbranch_execz .LBB119_413
; %bb.407:
	ds_write2_b64 v255, v[57:58], v[59:60] offset1:1
	ds_write2_b64 v253, v[53:54], v[55:56] offset0:92 offset1:93
	ds_write2_b64 v253, v[49:50], v[51:52] offset0:94 offset1:95
	;; [unrolled: 1-line block ×14, first 2 shown]
	ds_read2_b64 v[213:216], v255 offset1:1
	s_waitcnt lgkmcnt(0)
	v_cmp_neq_f64_e32 vcc_lo, 0, v[213:214]
	v_cmp_neq_f64_e64 s1, 0, v[215:216]
	s_or_b32 s1, vcc_lo, s1
	s_and_b32 exec_lo, exec_lo, s1
	s_cbranch_execz .LBB119_413
; %bb.408:
	v_cmp_ngt_f64_e64 s1, |v[213:214]|, |v[215:216]|
                                        ; implicit-def: $vgpr217_vgpr218
	s_and_saveexec_b32 s3, s1
	s_xor_b32 s1, exec_lo, s3
                                        ; implicit-def: $vgpr219_vgpr220
	s_cbranch_execz .LBB119_410
; %bb.409:
	v_div_scale_f64 v[217:218], null, v[215:216], v[215:216], v[213:214]
	v_div_scale_f64 v[223:224], vcc_lo, v[213:214], v[215:216], v[213:214]
	v_rcp_f64_e32 v[219:220], v[217:218]
	v_fma_f64 v[221:222], -v[217:218], v[219:220], 1.0
	v_fma_f64 v[219:220], v[219:220], v[221:222], v[219:220]
	v_fma_f64 v[221:222], -v[217:218], v[219:220], 1.0
	v_fma_f64 v[219:220], v[219:220], v[221:222], v[219:220]
	v_mul_f64 v[221:222], v[223:224], v[219:220]
	v_fma_f64 v[217:218], -v[217:218], v[221:222], v[223:224]
	v_div_fmas_f64 v[217:218], v[217:218], v[219:220], v[221:222]
	v_div_fixup_f64 v[217:218], v[217:218], v[215:216], v[213:214]
	v_fma_f64 v[213:214], v[213:214], v[217:218], v[215:216]
	v_div_scale_f64 v[215:216], null, v[213:214], v[213:214], 1.0
	v_rcp_f64_e32 v[219:220], v[215:216]
	v_fma_f64 v[221:222], -v[215:216], v[219:220], 1.0
	v_fma_f64 v[219:220], v[219:220], v[221:222], v[219:220]
	v_fma_f64 v[221:222], -v[215:216], v[219:220], 1.0
	v_fma_f64 v[219:220], v[219:220], v[221:222], v[219:220]
	v_div_scale_f64 v[221:222], vcc_lo, 1.0, v[213:214], 1.0
	v_mul_f64 v[223:224], v[221:222], v[219:220]
	v_fma_f64 v[215:216], -v[215:216], v[223:224], v[221:222]
	v_div_fmas_f64 v[215:216], v[215:216], v[219:220], v[223:224]
	v_div_fixup_f64 v[219:220], v[215:216], v[213:214], 1.0
                                        ; implicit-def: $vgpr213_vgpr214
	v_mul_f64 v[217:218], v[217:218], v[219:220]
	v_xor_b32_e32 v220, 0x80000000, v220
.LBB119_410:
	s_andn2_saveexec_b32 s1, s1
	s_cbranch_execz .LBB119_412
; %bb.411:
	v_div_scale_f64 v[217:218], null, v[213:214], v[213:214], v[215:216]
	v_div_scale_f64 v[223:224], vcc_lo, v[215:216], v[213:214], v[215:216]
	v_rcp_f64_e32 v[219:220], v[217:218]
	v_fma_f64 v[221:222], -v[217:218], v[219:220], 1.0
	v_fma_f64 v[219:220], v[219:220], v[221:222], v[219:220]
	v_fma_f64 v[221:222], -v[217:218], v[219:220], 1.0
	v_fma_f64 v[219:220], v[219:220], v[221:222], v[219:220]
	v_mul_f64 v[221:222], v[223:224], v[219:220]
	v_fma_f64 v[217:218], -v[217:218], v[221:222], v[223:224]
	v_div_fmas_f64 v[217:218], v[217:218], v[219:220], v[221:222]
	v_div_fixup_f64 v[219:220], v[217:218], v[213:214], v[215:216]
	v_fma_f64 v[213:214], v[215:216], v[219:220], v[213:214]
	v_div_scale_f64 v[215:216], null, v[213:214], v[213:214], 1.0
	v_rcp_f64_e32 v[217:218], v[215:216]
	v_fma_f64 v[221:222], -v[215:216], v[217:218], 1.0
	v_fma_f64 v[217:218], v[217:218], v[221:222], v[217:218]
	v_fma_f64 v[221:222], -v[215:216], v[217:218], 1.0
	v_fma_f64 v[217:218], v[217:218], v[221:222], v[217:218]
	v_div_scale_f64 v[221:222], vcc_lo, 1.0, v[213:214], 1.0
	v_mul_f64 v[223:224], v[221:222], v[217:218]
	v_fma_f64 v[215:216], -v[215:216], v[223:224], v[221:222]
	v_div_fmas_f64 v[215:216], v[215:216], v[217:218], v[223:224]
	v_div_fixup_f64 v[217:218], v[215:216], v[213:214], 1.0
	v_mul_f64 v[219:220], v[219:220], -v[217:218]
.LBB119_412:
	s_or_b32 exec_lo, exec_lo, s1
	ds_write2_b64 v255, v[217:218], v[219:220] offset1:1
.LBB119_413:
	s_or_b32 exec_lo, exec_lo, s2
	s_waitcnt lgkmcnt(0)
	s_barrier
	buffer_gl0_inv
	ds_read2_b64 v[193:196], v255 offset1:1
	s_mov_b32 s1, exec_lo
	s_waitcnt lgkmcnt(0)
	buffer_store_dword v193, off, s[16:19], 0 offset:1296 ; 4-byte Folded Spill
	buffer_store_dword v194, off, s[16:19], 0 offset:1300 ; 4-byte Folded Spill
	;; [unrolled: 1-line block ×4, first 2 shown]
	v_cmpx_lt_u32_e32 45, v0
	s_cbranch_execz .LBB119_415
; %bb.414:
	s_clause 0x3
	buffer_load_dword v193, off, s[16:19], 0 offset:1296
	buffer_load_dword v194, off, s[16:19], 0 offset:1300
	;; [unrolled: 1-line block ×4, first 2 shown]
	ds_read2_b64 v[215:218], v253 offset0:92 offset1:93
	s_waitcnt vmcnt(2)
	v_mul_f64 v[213:214], v[193:194], v[59:60]
	s_waitcnt vmcnt(0)
	v_mul_f64 v[59:60], v[195:196], v[59:60]
	v_fma_f64 v[213:214], v[195:196], v[57:58], v[213:214]
	v_fma_f64 v[57:58], v[193:194], v[57:58], -v[59:60]
	s_waitcnt lgkmcnt(0)
	v_mul_f64 v[59:60], v[217:218], v[213:214]
	v_fma_f64 v[59:60], v[215:216], v[57:58], -v[59:60]
	v_mul_f64 v[215:216], v[215:216], v[213:214]
	v_add_f64 v[53:54], v[53:54], -v[59:60]
	v_fma_f64 v[215:216], v[217:218], v[57:58], v[215:216]
	v_add_f64 v[55:56], v[55:56], -v[215:216]
	ds_read2_b64 v[215:218], v253 offset0:94 offset1:95
	s_waitcnt lgkmcnt(0)
	v_mul_f64 v[59:60], v[217:218], v[213:214]
	v_fma_f64 v[59:60], v[215:216], v[57:58], -v[59:60]
	v_mul_f64 v[215:216], v[215:216], v[213:214]
	v_add_f64 v[49:50], v[49:50], -v[59:60]
	v_fma_f64 v[215:216], v[217:218], v[57:58], v[215:216]
	v_add_f64 v[51:52], v[51:52], -v[215:216]
	ds_read2_b64 v[215:218], v253 offset0:96 offset1:97
	s_waitcnt lgkmcnt(0)
	v_mul_f64 v[59:60], v[217:218], v[213:214]
	v_fma_f64 v[59:60], v[215:216], v[57:58], -v[59:60]
	v_mul_f64 v[215:216], v[215:216], v[213:214]
	v_add_f64 v[45:46], v[45:46], -v[59:60]
	v_fma_f64 v[215:216], v[217:218], v[57:58], v[215:216]
	v_add_f64 v[47:48], v[47:48], -v[215:216]
	ds_read2_b64 v[215:218], v253 offset0:98 offset1:99
	s_waitcnt lgkmcnt(0)
	v_mul_f64 v[59:60], v[217:218], v[213:214]
	v_fma_f64 v[59:60], v[215:216], v[57:58], -v[59:60]
	v_mul_f64 v[215:216], v[215:216], v[213:214]
	v_add_f64 v[41:42], v[41:42], -v[59:60]
	v_fma_f64 v[215:216], v[217:218], v[57:58], v[215:216]
	v_add_f64 v[43:44], v[43:44], -v[215:216]
	ds_read2_b64 v[215:218], v253 offset0:100 offset1:101
	s_waitcnt lgkmcnt(0)
	v_mul_f64 v[59:60], v[217:218], v[213:214]
	v_fma_f64 v[59:60], v[215:216], v[57:58], -v[59:60]
	v_mul_f64 v[215:216], v[215:216], v[213:214]
	v_add_f64 v[37:38], v[37:38], -v[59:60]
	v_fma_f64 v[215:216], v[217:218], v[57:58], v[215:216]
	v_add_f64 v[39:40], v[39:40], -v[215:216]
	ds_read2_b64 v[215:218], v253 offset0:102 offset1:103
	s_waitcnt lgkmcnt(0)
	v_mul_f64 v[59:60], v[217:218], v[213:214]
	v_fma_f64 v[59:60], v[215:216], v[57:58], -v[59:60]
	v_mul_f64 v[215:216], v[215:216], v[213:214]
	v_add_f64 v[33:34], v[33:34], -v[59:60]
	v_fma_f64 v[215:216], v[217:218], v[57:58], v[215:216]
	v_add_f64 v[35:36], v[35:36], -v[215:216]
	ds_read2_b64 v[215:218], v253 offset0:104 offset1:105
	s_waitcnt lgkmcnt(0)
	v_mul_f64 v[59:60], v[217:218], v[213:214]
	v_fma_f64 v[59:60], v[215:216], v[57:58], -v[59:60]
	v_mul_f64 v[215:216], v[215:216], v[213:214]
	v_add_f64 v[29:30], v[29:30], -v[59:60]
	v_fma_f64 v[215:216], v[217:218], v[57:58], v[215:216]
	v_add_f64 v[31:32], v[31:32], -v[215:216]
	ds_read2_b64 v[215:218], v253 offset0:106 offset1:107
	s_waitcnt lgkmcnt(0)
	v_mul_f64 v[59:60], v[217:218], v[213:214]
	v_fma_f64 v[59:60], v[215:216], v[57:58], -v[59:60]
	v_mul_f64 v[215:216], v[215:216], v[213:214]
	v_add_f64 v[25:26], v[25:26], -v[59:60]
	v_fma_f64 v[215:216], v[217:218], v[57:58], v[215:216]
	v_add_f64 v[27:28], v[27:28], -v[215:216]
	ds_read2_b64 v[215:218], v253 offset0:108 offset1:109
	s_waitcnt lgkmcnt(0)
	v_mul_f64 v[59:60], v[217:218], v[213:214]
	v_fma_f64 v[59:60], v[215:216], v[57:58], -v[59:60]
	v_mul_f64 v[215:216], v[215:216], v[213:214]
	v_add_f64 v[21:22], v[21:22], -v[59:60]
	v_fma_f64 v[215:216], v[217:218], v[57:58], v[215:216]
	v_add_f64 v[23:24], v[23:24], -v[215:216]
	ds_read2_b64 v[215:218], v253 offset0:110 offset1:111
	s_waitcnt lgkmcnt(0)
	v_mul_f64 v[59:60], v[217:218], v[213:214]
	v_fma_f64 v[59:60], v[215:216], v[57:58], -v[59:60]
	v_mul_f64 v[215:216], v[215:216], v[213:214]
	v_add_f64 v[17:18], v[17:18], -v[59:60]
	v_fma_f64 v[215:216], v[217:218], v[57:58], v[215:216]
	v_add_f64 v[19:20], v[19:20], -v[215:216]
	ds_read2_b64 v[215:218], v253 offset0:112 offset1:113
	s_waitcnt lgkmcnt(0)
	v_mul_f64 v[59:60], v[217:218], v[213:214]
	v_fma_f64 v[59:60], v[215:216], v[57:58], -v[59:60]
	v_mul_f64 v[215:216], v[215:216], v[213:214]
	v_add_f64 v[13:14], v[13:14], -v[59:60]
	v_fma_f64 v[215:216], v[217:218], v[57:58], v[215:216]
	v_add_f64 v[15:16], v[15:16], -v[215:216]
	ds_read2_b64 v[215:218], v253 offset0:114 offset1:115
	s_waitcnt lgkmcnt(0)
	v_mul_f64 v[59:60], v[217:218], v[213:214]
	v_fma_f64 v[59:60], v[215:216], v[57:58], -v[59:60]
	v_mul_f64 v[215:216], v[215:216], v[213:214]
	v_add_f64 v[9:10], v[9:10], -v[59:60]
	v_fma_f64 v[215:216], v[217:218], v[57:58], v[215:216]
	v_add_f64 v[11:12], v[11:12], -v[215:216]
	ds_read2_b64 v[215:218], v253 offset0:116 offset1:117
	s_waitcnt lgkmcnt(0)
	v_mul_f64 v[59:60], v[217:218], v[213:214]
	v_fma_f64 v[59:60], v[215:216], v[57:58], -v[59:60]
	v_mul_f64 v[215:216], v[215:216], v[213:214]
	v_add_f64 v[5:6], v[5:6], -v[59:60]
	v_fma_f64 v[215:216], v[217:218], v[57:58], v[215:216]
	v_add_f64 v[7:8], v[7:8], -v[215:216]
	ds_read2_b64 v[215:218], v253 offset0:118 offset1:119
	s_waitcnt lgkmcnt(0)
	v_mul_f64 v[59:60], v[217:218], v[213:214]
	v_fma_f64 v[59:60], v[215:216], v[57:58], -v[59:60]
	v_mul_f64 v[215:216], v[215:216], v[213:214]
	v_add_f64 v[1:2], v[1:2], -v[59:60]
	v_fma_f64 v[215:216], v[217:218], v[57:58], v[215:216]
	v_mov_b32_e32 v59, v213
	v_mov_b32_e32 v60, v214
	v_add_f64 v[3:4], v[3:4], -v[215:216]
.LBB119_415:
	s_or_b32 exec_lo, exec_lo, s1
	s_mov_b32 s2, exec_lo
	s_waitcnt_vscnt null, 0x0
	s_barrier
	buffer_gl0_inv
	v_cmpx_eq_u32_e32 46, v0
	s_cbranch_execz .LBB119_422
; %bb.416:
	ds_write2_b64 v255, v[53:54], v[55:56] offset1:1
	ds_write2_b64 v253, v[49:50], v[51:52] offset0:94 offset1:95
	ds_write2_b64 v253, v[45:46], v[47:48] offset0:96 offset1:97
	;; [unrolled: 1-line block ×13, first 2 shown]
	ds_read2_b64 v[213:216], v255 offset1:1
	s_waitcnt lgkmcnt(0)
	v_cmp_neq_f64_e32 vcc_lo, 0, v[213:214]
	v_cmp_neq_f64_e64 s1, 0, v[215:216]
	s_or_b32 s1, vcc_lo, s1
	s_and_b32 exec_lo, exec_lo, s1
	s_cbranch_execz .LBB119_422
; %bb.417:
	v_cmp_ngt_f64_e64 s1, |v[213:214]|, |v[215:216]|
                                        ; implicit-def: $vgpr217_vgpr218
	s_and_saveexec_b32 s3, s1
	s_xor_b32 s1, exec_lo, s3
                                        ; implicit-def: $vgpr219_vgpr220
	s_cbranch_execz .LBB119_419
; %bb.418:
	v_div_scale_f64 v[217:218], null, v[215:216], v[215:216], v[213:214]
	v_div_scale_f64 v[223:224], vcc_lo, v[213:214], v[215:216], v[213:214]
	v_rcp_f64_e32 v[219:220], v[217:218]
	v_fma_f64 v[221:222], -v[217:218], v[219:220], 1.0
	v_fma_f64 v[219:220], v[219:220], v[221:222], v[219:220]
	v_fma_f64 v[221:222], -v[217:218], v[219:220], 1.0
	v_fma_f64 v[219:220], v[219:220], v[221:222], v[219:220]
	v_mul_f64 v[221:222], v[223:224], v[219:220]
	v_fma_f64 v[217:218], -v[217:218], v[221:222], v[223:224]
	v_div_fmas_f64 v[217:218], v[217:218], v[219:220], v[221:222]
	v_div_fixup_f64 v[217:218], v[217:218], v[215:216], v[213:214]
	v_fma_f64 v[213:214], v[213:214], v[217:218], v[215:216]
	v_div_scale_f64 v[215:216], null, v[213:214], v[213:214], 1.0
	v_rcp_f64_e32 v[219:220], v[215:216]
	v_fma_f64 v[221:222], -v[215:216], v[219:220], 1.0
	v_fma_f64 v[219:220], v[219:220], v[221:222], v[219:220]
	v_fma_f64 v[221:222], -v[215:216], v[219:220], 1.0
	v_fma_f64 v[219:220], v[219:220], v[221:222], v[219:220]
	v_div_scale_f64 v[221:222], vcc_lo, 1.0, v[213:214], 1.0
	v_mul_f64 v[223:224], v[221:222], v[219:220]
	v_fma_f64 v[215:216], -v[215:216], v[223:224], v[221:222]
	v_div_fmas_f64 v[215:216], v[215:216], v[219:220], v[223:224]
	v_div_fixup_f64 v[219:220], v[215:216], v[213:214], 1.0
                                        ; implicit-def: $vgpr213_vgpr214
	v_mul_f64 v[217:218], v[217:218], v[219:220]
	v_xor_b32_e32 v220, 0x80000000, v220
.LBB119_419:
	s_andn2_saveexec_b32 s1, s1
	s_cbranch_execz .LBB119_421
; %bb.420:
	v_div_scale_f64 v[217:218], null, v[213:214], v[213:214], v[215:216]
	v_div_scale_f64 v[223:224], vcc_lo, v[215:216], v[213:214], v[215:216]
	v_rcp_f64_e32 v[219:220], v[217:218]
	v_fma_f64 v[221:222], -v[217:218], v[219:220], 1.0
	v_fma_f64 v[219:220], v[219:220], v[221:222], v[219:220]
	v_fma_f64 v[221:222], -v[217:218], v[219:220], 1.0
	v_fma_f64 v[219:220], v[219:220], v[221:222], v[219:220]
	v_mul_f64 v[221:222], v[223:224], v[219:220]
	v_fma_f64 v[217:218], -v[217:218], v[221:222], v[223:224]
	v_div_fmas_f64 v[217:218], v[217:218], v[219:220], v[221:222]
	v_div_fixup_f64 v[219:220], v[217:218], v[213:214], v[215:216]
	v_fma_f64 v[213:214], v[215:216], v[219:220], v[213:214]
	v_div_scale_f64 v[215:216], null, v[213:214], v[213:214], 1.0
	v_rcp_f64_e32 v[217:218], v[215:216]
	v_fma_f64 v[221:222], -v[215:216], v[217:218], 1.0
	v_fma_f64 v[217:218], v[217:218], v[221:222], v[217:218]
	v_fma_f64 v[221:222], -v[215:216], v[217:218], 1.0
	v_fma_f64 v[217:218], v[217:218], v[221:222], v[217:218]
	v_div_scale_f64 v[221:222], vcc_lo, 1.0, v[213:214], 1.0
	v_mul_f64 v[223:224], v[221:222], v[217:218]
	v_fma_f64 v[215:216], -v[215:216], v[223:224], v[221:222]
	v_div_fmas_f64 v[215:216], v[215:216], v[217:218], v[223:224]
	v_div_fixup_f64 v[217:218], v[215:216], v[213:214], 1.0
	v_mul_f64 v[219:220], v[219:220], -v[217:218]
.LBB119_421:
	s_or_b32 exec_lo, exec_lo, s1
	ds_write2_b64 v255, v[217:218], v[219:220] offset1:1
.LBB119_422:
	s_or_b32 exec_lo, exec_lo, s2
	s_waitcnt lgkmcnt(0)
	s_barrier
	buffer_gl0_inv
	ds_read2_b64 v[193:196], v255 offset1:1
	s_mov_b32 s1, exec_lo
	s_waitcnt lgkmcnt(0)
	buffer_store_dword v193, off, s[16:19], 0 offset:1312 ; 4-byte Folded Spill
	buffer_store_dword v194, off, s[16:19], 0 offset:1316 ; 4-byte Folded Spill
	;; [unrolled: 1-line block ×4, first 2 shown]
	v_cmpx_lt_u32_e32 46, v0
	s_cbranch_execz .LBB119_424
; %bb.423:
	s_clause 0x3
	buffer_load_dword v193, off, s[16:19], 0 offset:1312
	buffer_load_dword v194, off, s[16:19], 0 offset:1316
	buffer_load_dword v195, off, s[16:19], 0 offset:1320
	buffer_load_dword v196, off, s[16:19], 0 offset:1324
	ds_read2_b64 v[215:218], v253 offset0:94 offset1:95
	s_waitcnt vmcnt(2)
	v_mul_f64 v[213:214], v[193:194], v[55:56]
	s_waitcnt vmcnt(0)
	v_mul_f64 v[55:56], v[195:196], v[55:56]
	v_fma_f64 v[213:214], v[195:196], v[53:54], v[213:214]
	v_fma_f64 v[53:54], v[193:194], v[53:54], -v[55:56]
	s_waitcnt lgkmcnt(0)
	v_mul_f64 v[55:56], v[217:218], v[213:214]
	v_fma_f64 v[55:56], v[215:216], v[53:54], -v[55:56]
	v_mul_f64 v[215:216], v[215:216], v[213:214]
	v_add_f64 v[49:50], v[49:50], -v[55:56]
	v_fma_f64 v[215:216], v[217:218], v[53:54], v[215:216]
	v_add_f64 v[51:52], v[51:52], -v[215:216]
	ds_read2_b64 v[215:218], v253 offset0:96 offset1:97
	s_waitcnt lgkmcnt(0)
	v_mul_f64 v[55:56], v[217:218], v[213:214]
	v_fma_f64 v[55:56], v[215:216], v[53:54], -v[55:56]
	v_mul_f64 v[215:216], v[215:216], v[213:214]
	v_add_f64 v[45:46], v[45:46], -v[55:56]
	v_fma_f64 v[215:216], v[217:218], v[53:54], v[215:216]
	v_add_f64 v[47:48], v[47:48], -v[215:216]
	ds_read2_b64 v[215:218], v253 offset0:98 offset1:99
	;; [unrolled: 8-line block ×12, first 2 shown]
	s_waitcnt lgkmcnt(0)
	v_mul_f64 v[55:56], v[217:218], v[213:214]
	v_fma_f64 v[55:56], v[215:216], v[53:54], -v[55:56]
	v_mul_f64 v[215:216], v[215:216], v[213:214]
	v_add_f64 v[1:2], v[1:2], -v[55:56]
	v_fma_f64 v[215:216], v[217:218], v[53:54], v[215:216]
	v_mov_b32_e32 v55, v213
	v_mov_b32_e32 v56, v214
	v_add_f64 v[3:4], v[3:4], -v[215:216]
.LBB119_424:
	s_or_b32 exec_lo, exec_lo, s1
	s_mov_b32 s2, exec_lo
	s_waitcnt_vscnt null, 0x0
	s_barrier
	buffer_gl0_inv
	v_cmpx_eq_u32_e32 47, v0
	s_cbranch_execz .LBB119_431
; %bb.425:
	ds_write2_b64 v255, v[49:50], v[51:52] offset1:1
	ds_write2_b64 v253, v[45:46], v[47:48] offset0:96 offset1:97
	ds_write2_b64 v253, v[41:42], v[43:44] offset0:98 offset1:99
	;; [unrolled: 1-line block ×12, first 2 shown]
	ds_read2_b64 v[213:216], v255 offset1:1
	s_waitcnt lgkmcnt(0)
	v_cmp_neq_f64_e32 vcc_lo, 0, v[213:214]
	v_cmp_neq_f64_e64 s1, 0, v[215:216]
	s_or_b32 s1, vcc_lo, s1
	s_and_b32 exec_lo, exec_lo, s1
	s_cbranch_execz .LBB119_431
; %bb.426:
	v_cmp_ngt_f64_e64 s1, |v[213:214]|, |v[215:216]|
                                        ; implicit-def: $vgpr217_vgpr218
	s_and_saveexec_b32 s3, s1
	s_xor_b32 s1, exec_lo, s3
                                        ; implicit-def: $vgpr219_vgpr220
	s_cbranch_execz .LBB119_428
; %bb.427:
	v_div_scale_f64 v[217:218], null, v[215:216], v[215:216], v[213:214]
	v_div_scale_f64 v[223:224], vcc_lo, v[213:214], v[215:216], v[213:214]
	v_rcp_f64_e32 v[219:220], v[217:218]
	v_fma_f64 v[221:222], -v[217:218], v[219:220], 1.0
	v_fma_f64 v[219:220], v[219:220], v[221:222], v[219:220]
	v_fma_f64 v[221:222], -v[217:218], v[219:220], 1.0
	v_fma_f64 v[219:220], v[219:220], v[221:222], v[219:220]
	v_mul_f64 v[221:222], v[223:224], v[219:220]
	v_fma_f64 v[217:218], -v[217:218], v[221:222], v[223:224]
	v_div_fmas_f64 v[217:218], v[217:218], v[219:220], v[221:222]
	v_div_fixup_f64 v[217:218], v[217:218], v[215:216], v[213:214]
	v_fma_f64 v[213:214], v[213:214], v[217:218], v[215:216]
	v_div_scale_f64 v[215:216], null, v[213:214], v[213:214], 1.0
	v_rcp_f64_e32 v[219:220], v[215:216]
	v_fma_f64 v[221:222], -v[215:216], v[219:220], 1.0
	v_fma_f64 v[219:220], v[219:220], v[221:222], v[219:220]
	v_fma_f64 v[221:222], -v[215:216], v[219:220], 1.0
	v_fma_f64 v[219:220], v[219:220], v[221:222], v[219:220]
	v_div_scale_f64 v[221:222], vcc_lo, 1.0, v[213:214], 1.0
	v_mul_f64 v[223:224], v[221:222], v[219:220]
	v_fma_f64 v[215:216], -v[215:216], v[223:224], v[221:222]
	v_div_fmas_f64 v[215:216], v[215:216], v[219:220], v[223:224]
	v_div_fixup_f64 v[219:220], v[215:216], v[213:214], 1.0
                                        ; implicit-def: $vgpr213_vgpr214
	v_mul_f64 v[217:218], v[217:218], v[219:220]
	v_xor_b32_e32 v220, 0x80000000, v220
.LBB119_428:
	s_andn2_saveexec_b32 s1, s1
	s_cbranch_execz .LBB119_430
; %bb.429:
	v_div_scale_f64 v[217:218], null, v[213:214], v[213:214], v[215:216]
	v_div_scale_f64 v[223:224], vcc_lo, v[215:216], v[213:214], v[215:216]
	v_rcp_f64_e32 v[219:220], v[217:218]
	v_fma_f64 v[221:222], -v[217:218], v[219:220], 1.0
	v_fma_f64 v[219:220], v[219:220], v[221:222], v[219:220]
	v_fma_f64 v[221:222], -v[217:218], v[219:220], 1.0
	v_fma_f64 v[219:220], v[219:220], v[221:222], v[219:220]
	v_mul_f64 v[221:222], v[223:224], v[219:220]
	v_fma_f64 v[217:218], -v[217:218], v[221:222], v[223:224]
	v_div_fmas_f64 v[217:218], v[217:218], v[219:220], v[221:222]
	v_div_fixup_f64 v[219:220], v[217:218], v[213:214], v[215:216]
	v_fma_f64 v[213:214], v[215:216], v[219:220], v[213:214]
	v_div_scale_f64 v[215:216], null, v[213:214], v[213:214], 1.0
	v_rcp_f64_e32 v[217:218], v[215:216]
	v_fma_f64 v[221:222], -v[215:216], v[217:218], 1.0
	v_fma_f64 v[217:218], v[217:218], v[221:222], v[217:218]
	v_fma_f64 v[221:222], -v[215:216], v[217:218], 1.0
	v_fma_f64 v[217:218], v[217:218], v[221:222], v[217:218]
	v_div_scale_f64 v[221:222], vcc_lo, 1.0, v[213:214], 1.0
	v_mul_f64 v[223:224], v[221:222], v[217:218]
	v_fma_f64 v[215:216], -v[215:216], v[223:224], v[221:222]
	v_div_fmas_f64 v[215:216], v[215:216], v[217:218], v[223:224]
	v_div_fixup_f64 v[217:218], v[215:216], v[213:214], 1.0
	v_mul_f64 v[219:220], v[219:220], -v[217:218]
.LBB119_430:
	s_or_b32 exec_lo, exec_lo, s1
	ds_write2_b64 v255, v[217:218], v[219:220] offset1:1
.LBB119_431:
	s_or_b32 exec_lo, exec_lo, s2
	s_waitcnt lgkmcnt(0)
	s_barrier
	buffer_gl0_inv
	ds_read2_b64 v[193:196], v255 offset1:1
	s_mov_b32 s1, exec_lo
	s_waitcnt lgkmcnt(0)
	buffer_store_dword v193, off, s[16:19], 0 offset:1328 ; 4-byte Folded Spill
	buffer_store_dword v194, off, s[16:19], 0 offset:1332 ; 4-byte Folded Spill
	;; [unrolled: 1-line block ×4, first 2 shown]
	v_cmpx_lt_u32_e32 47, v0
	s_cbranch_execz .LBB119_433
; %bb.432:
	s_clause 0x3
	buffer_load_dword v193, off, s[16:19], 0 offset:1328
	buffer_load_dword v194, off, s[16:19], 0 offset:1332
	;; [unrolled: 1-line block ×4, first 2 shown]
	ds_read2_b64 v[215:218], v253 offset0:96 offset1:97
	s_waitcnt vmcnt(2)
	v_mul_f64 v[213:214], v[193:194], v[51:52]
	s_waitcnt vmcnt(0)
	v_mul_f64 v[51:52], v[195:196], v[51:52]
	v_fma_f64 v[213:214], v[195:196], v[49:50], v[213:214]
	v_fma_f64 v[49:50], v[193:194], v[49:50], -v[51:52]
	s_waitcnt lgkmcnt(0)
	v_mul_f64 v[51:52], v[217:218], v[213:214]
	v_fma_f64 v[51:52], v[215:216], v[49:50], -v[51:52]
	v_mul_f64 v[215:216], v[215:216], v[213:214]
	v_add_f64 v[45:46], v[45:46], -v[51:52]
	v_fma_f64 v[215:216], v[217:218], v[49:50], v[215:216]
	v_add_f64 v[47:48], v[47:48], -v[215:216]
	ds_read2_b64 v[215:218], v253 offset0:98 offset1:99
	s_waitcnt lgkmcnt(0)
	v_mul_f64 v[51:52], v[217:218], v[213:214]
	v_fma_f64 v[51:52], v[215:216], v[49:50], -v[51:52]
	v_mul_f64 v[215:216], v[215:216], v[213:214]
	v_add_f64 v[41:42], v[41:42], -v[51:52]
	v_fma_f64 v[215:216], v[217:218], v[49:50], v[215:216]
	v_add_f64 v[43:44], v[43:44], -v[215:216]
	ds_read2_b64 v[215:218], v253 offset0:100 offset1:101
	;; [unrolled: 8-line block ×11, first 2 shown]
	s_waitcnt lgkmcnt(0)
	v_mul_f64 v[51:52], v[217:218], v[213:214]
	v_fma_f64 v[51:52], v[215:216], v[49:50], -v[51:52]
	v_mul_f64 v[215:216], v[215:216], v[213:214]
	v_add_f64 v[1:2], v[1:2], -v[51:52]
	v_fma_f64 v[215:216], v[217:218], v[49:50], v[215:216]
	v_mov_b32_e32 v51, v213
	v_mov_b32_e32 v52, v214
	v_add_f64 v[3:4], v[3:4], -v[215:216]
.LBB119_433:
	s_or_b32 exec_lo, exec_lo, s1
	s_mov_b32 s2, exec_lo
	s_waitcnt_vscnt null, 0x0
	s_barrier
	buffer_gl0_inv
	v_cmpx_eq_u32_e32 48, v0
	s_cbranch_execz .LBB119_440
; %bb.434:
	ds_write2_b64 v255, v[45:46], v[47:48] offset1:1
	ds_write2_b64 v253, v[41:42], v[43:44] offset0:98 offset1:99
	ds_write2_b64 v253, v[37:38], v[39:40] offset0:100 offset1:101
	;; [unrolled: 1-line block ×11, first 2 shown]
	ds_read2_b64 v[213:216], v255 offset1:1
	s_waitcnt lgkmcnt(0)
	v_cmp_neq_f64_e32 vcc_lo, 0, v[213:214]
	v_cmp_neq_f64_e64 s1, 0, v[215:216]
	s_or_b32 s1, vcc_lo, s1
	s_and_b32 exec_lo, exec_lo, s1
	s_cbranch_execz .LBB119_440
; %bb.435:
	v_cmp_ngt_f64_e64 s1, |v[213:214]|, |v[215:216]|
                                        ; implicit-def: $vgpr217_vgpr218
	s_and_saveexec_b32 s3, s1
	s_xor_b32 s1, exec_lo, s3
                                        ; implicit-def: $vgpr219_vgpr220
	s_cbranch_execz .LBB119_437
; %bb.436:
	v_div_scale_f64 v[217:218], null, v[215:216], v[215:216], v[213:214]
	v_div_scale_f64 v[223:224], vcc_lo, v[213:214], v[215:216], v[213:214]
	v_rcp_f64_e32 v[219:220], v[217:218]
	v_fma_f64 v[221:222], -v[217:218], v[219:220], 1.0
	v_fma_f64 v[219:220], v[219:220], v[221:222], v[219:220]
	v_fma_f64 v[221:222], -v[217:218], v[219:220], 1.0
	v_fma_f64 v[219:220], v[219:220], v[221:222], v[219:220]
	v_mul_f64 v[221:222], v[223:224], v[219:220]
	v_fma_f64 v[217:218], -v[217:218], v[221:222], v[223:224]
	v_div_fmas_f64 v[217:218], v[217:218], v[219:220], v[221:222]
	v_div_fixup_f64 v[217:218], v[217:218], v[215:216], v[213:214]
	v_fma_f64 v[213:214], v[213:214], v[217:218], v[215:216]
	v_div_scale_f64 v[215:216], null, v[213:214], v[213:214], 1.0
	v_rcp_f64_e32 v[219:220], v[215:216]
	v_fma_f64 v[221:222], -v[215:216], v[219:220], 1.0
	v_fma_f64 v[219:220], v[219:220], v[221:222], v[219:220]
	v_fma_f64 v[221:222], -v[215:216], v[219:220], 1.0
	v_fma_f64 v[219:220], v[219:220], v[221:222], v[219:220]
	v_div_scale_f64 v[221:222], vcc_lo, 1.0, v[213:214], 1.0
	v_mul_f64 v[223:224], v[221:222], v[219:220]
	v_fma_f64 v[215:216], -v[215:216], v[223:224], v[221:222]
	v_div_fmas_f64 v[215:216], v[215:216], v[219:220], v[223:224]
	v_div_fixup_f64 v[219:220], v[215:216], v[213:214], 1.0
                                        ; implicit-def: $vgpr213_vgpr214
	v_mul_f64 v[217:218], v[217:218], v[219:220]
	v_xor_b32_e32 v220, 0x80000000, v220
.LBB119_437:
	s_andn2_saveexec_b32 s1, s1
	s_cbranch_execz .LBB119_439
; %bb.438:
	v_div_scale_f64 v[217:218], null, v[213:214], v[213:214], v[215:216]
	v_div_scale_f64 v[223:224], vcc_lo, v[215:216], v[213:214], v[215:216]
	v_rcp_f64_e32 v[219:220], v[217:218]
	v_fma_f64 v[221:222], -v[217:218], v[219:220], 1.0
	v_fma_f64 v[219:220], v[219:220], v[221:222], v[219:220]
	v_fma_f64 v[221:222], -v[217:218], v[219:220], 1.0
	v_fma_f64 v[219:220], v[219:220], v[221:222], v[219:220]
	v_mul_f64 v[221:222], v[223:224], v[219:220]
	v_fma_f64 v[217:218], -v[217:218], v[221:222], v[223:224]
	v_div_fmas_f64 v[217:218], v[217:218], v[219:220], v[221:222]
	v_div_fixup_f64 v[219:220], v[217:218], v[213:214], v[215:216]
	v_fma_f64 v[213:214], v[215:216], v[219:220], v[213:214]
	v_div_scale_f64 v[215:216], null, v[213:214], v[213:214], 1.0
	v_rcp_f64_e32 v[217:218], v[215:216]
	v_fma_f64 v[221:222], -v[215:216], v[217:218], 1.0
	v_fma_f64 v[217:218], v[217:218], v[221:222], v[217:218]
	v_fma_f64 v[221:222], -v[215:216], v[217:218], 1.0
	v_fma_f64 v[217:218], v[217:218], v[221:222], v[217:218]
	v_div_scale_f64 v[221:222], vcc_lo, 1.0, v[213:214], 1.0
	v_mul_f64 v[223:224], v[221:222], v[217:218]
	v_fma_f64 v[215:216], -v[215:216], v[223:224], v[221:222]
	v_div_fmas_f64 v[215:216], v[215:216], v[217:218], v[223:224]
	v_div_fixup_f64 v[217:218], v[215:216], v[213:214], 1.0
	v_mul_f64 v[219:220], v[219:220], -v[217:218]
.LBB119_439:
	s_or_b32 exec_lo, exec_lo, s1
	ds_write2_b64 v255, v[217:218], v[219:220] offset1:1
.LBB119_440:
	s_or_b32 exec_lo, exec_lo, s2
	s_waitcnt lgkmcnt(0)
	s_barrier
	buffer_gl0_inv
	ds_read2_b64 v[193:196], v255 offset1:1
	s_mov_b32 s1, exec_lo
	s_waitcnt lgkmcnt(0)
	buffer_store_dword v193, off, s[16:19], 0 offset:1344 ; 4-byte Folded Spill
	buffer_store_dword v194, off, s[16:19], 0 offset:1348 ; 4-byte Folded Spill
	;; [unrolled: 1-line block ×4, first 2 shown]
	v_cmpx_lt_u32_e32 48, v0
	s_cbranch_execz .LBB119_442
; %bb.441:
	s_clause 0x3
	buffer_load_dword v193, off, s[16:19], 0 offset:1344
	buffer_load_dword v194, off, s[16:19], 0 offset:1348
	;; [unrolled: 1-line block ×4, first 2 shown]
	ds_read2_b64 v[215:218], v253 offset0:98 offset1:99
	s_waitcnt vmcnt(2)
	v_mul_f64 v[213:214], v[193:194], v[47:48]
	s_waitcnt vmcnt(0)
	v_mul_f64 v[47:48], v[195:196], v[47:48]
	v_fma_f64 v[213:214], v[195:196], v[45:46], v[213:214]
	v_fma_f64 v[45:46], v[193:194], v[45:46], -v[47:48]
	s_waitcnt lgkmcnt(0)
	v_mul_f64 v[47:48], v[217:218], v[213:214]
	v_fma_f64 v[47:48], v[215:216], v[45:46], -v[47:48]
	v_mul_f64 v[215:216], v[215:216], v[213:214]
	v_add_f64 v[41:42], v[41:42], -v[47:48]
	v_fma_f64 v[215:216], v[217:218], v[45:46], v[215:216]
	v_add_f64 v[43:44], v[43:44], -v[215:216]
	ds_read2_b64 v[215:218], v253 offset0:100 offset1:101
	s_waitcnt lgkmcnt(0)
	v_mul_f64 v[47:48], v[217:218], v[213:214]
	v_fma_f64 v[47:48], v[215:216], v[45:46], -v[47:48]
	v_mul_f64 v[215:216], v[215:216], v[213:214]
	v_add_f64 v[37:38], v[37:38], -v[47:48]
	v_fma_f64 v[215:216], v[217:218], v[45:46], v[215:216]
	v_add_f64 v[39:40], v[39:40], -v[215:216]
	ds_read2_b64 v[215:218], v253 offset0:102 offset1:103
	;; [unrolled: 8-line block ×10, first 2 shown]
	s_waitcnt lgkmcnt(0)
	v_mul_f64 v[47:48], v[217:218], v[213:214]
	v_fma_f64 v[47:48], v[215:216], v[45:46], -v[47:48]
	v_mul_f64 v[215:216], v[215:216], v[213:214]
	v_add_f64 v[1:2], v[1:2], -v[47:48]
	v_fma_f64 v[215:216], v[217:218], v[45:46], v[215:216]
	v_mov_b32_e32 v47, v213
	v_mov_b32_e32 v48, v214
	v_add_f64 v[3:4], v[3:4], -v[215:216]
.LBB119_442:
	s_or_b32 exec_lo, exec_lo, s1
	s_mov_b32 s2, exec_lo
	s_waitcnt_vscnt null, 0x0
	s_barrier
	buffer_gl0_inv
	v_cmpx_eq_u32_e32 49, v0
	s_cbranch_execz .LBB119_449
; %bb.443:
	ds_write2_b64 v255, v[41:42], v[43:44] offset1:1
	ds_write2_b64 v253, v[37:38], v[39:40] offset0:100 offset1:101
	ds_write2_b64 v253, v[33:34], v[35:36] offset0:102 offset1:103
	;; [unrolled: 1-line block ×10, first 2 shown]
	ds_read2_b64 v[213:216], v255 offset1:1
	s_waitcnt lgkmcnt(0)
	v_cmp_neq_f64_e32 vcc_lo, 0, v[213:214]
	v_cmp_neq_f64_e64 s1, 0, v[215:216]
	s_or_b32 s1, vcc_lo, s1
	s_and_b32 exec_lo, exec_lo, s1
	s_cbranch_execz .LBB119_449
; %bb.444:
	v_cmp_ngt_f64_e64 s1, |v[213:214]|, |v[215:216]|
                                        ; implicit-def: $vgpr217_vgpr218
	s_and_saveexec_b32 s3, s1
	s_xor_b32 s1, exec_lo, s3
                                        ; implicit-def: $vgpr219_vgpr220
	s_cbranch_execz .LBB119_446
; %bb.445:
	v_div_scale_f64 v[217:218], null, v[215:216], v[215:216], v[213:214]
	v_div_scale_f64 v[223:224], vcc_lo, v[213:214], v[215:216], v[213:214]
	v_rcp_f64_e32 v[219:220], v[217:218]
	v_fma_f64 v[221:222], -v[217:218], v[219:220], 1.0
	v_fma_f64 v[219:220], v[219:220], v[221:222], v[219:220]
	v_fma_f64 v[221:222], -v[217:218], v[219:220], 1.0
	v_fma_f64 v[219:220], v[219:220], v[221:222], v[219:220]
	v_mul_f64 v[221:222], v[223:224], v[219:220]
	v_fma_f64 v[217:218], -v[217:218], v[221:222], v[223:224]
	v_div_fmas_f64 v[217:218], v[217:218], v[219:220], v[221:222]
	v_div_fixup_f64 v[217:218], v[217:218], v[215:216], v[213:214]
	v_fma_f64 v[213:214], v[213:214], v[217:218], v[215:216]
	v_div_scale_f64 v[215:216], null, v[213:214], v[213:214], 1.0
	v_rcp_f64_e32 v[219:220], v[215:216]
	v_fma_f64 v[221:222], -v[215:216], v[219:220], 1.0
	v_fma_f64 v[219:220], v[219:220], v[221:222], v[219:220]
	v_fma_f64 v[221:222], -v[215:216], v[219:220], 1.0
	v_fma_f64 v[219:220], v[219:220], v[221:222], v[219:220]
	v_div_scale_f64 v[221:222], vcc_lo, 1.0, v[213:214], 1.0
	v_mul_f64 v[223:224], v[221:222], v[219:220]
	v_fma_f64 v[215:216], -v[215:216], v[223:224], v[221:222]
	v_div_fmas_f64 v[215:216], v[215:216], v[219:220], v[223:224]
	v_div_fixup_f64 v[219:220], v[215:216], v[213:214], 1.0
                                        ; implicit-def: $vgpr213_vgpr214
	v_mul_f64 v[217:218], v[217:218], v[219:220]
	v_xor_b32_e32 v220, 0x80000000, v220
.LBB119_446:
	s_andn2_saveexec_b32 s1, s1
	s_cbranch_execz .LBB119_448
; %bb.447:
	v_div_scale_f64 v[217:218], null, v[213:214], v[213:214], v[215:216]
	v_div_scale_f64 v[223:224], vcc_lo, v[215:216], v[213:214], v[215:216]
	v_rcp_f64_e32 v[219:220], v[217:218]
	v_fma_f64 v[221:222], -v[217:218], v[219:220], 1.0
	v_fma_f64 v[219:220], v[219:220], v[221:222], v[219:220]
	v_fma_f64 v[221:222], -v[217:218], v[219:220], 1.0
	v_fma_f64 v[219:220], v[219:220], v[221:222], v[219:220]
	v_mul_f64 v[221:222], v[223:224], v[219:220]
	v_fma_f64 v[217:218], -v[217:218], v[221:222], v[223:224]
	v_div_fmas_f64 v[217:218], v[217:218], v[219:220], v[221:222]
	v_div_fixup_f64 v[219:220], v[217:218], v[213:214], v[215:216]
	v_fma_f64 v[213:214], v[215:216], v[219:220], v[213:214]
	v_div_scale_f64 v[215:216], null, v[213:214], v[213:214], 1.0
	v_rcp_f64_e32 v[217:218], v[215:216]
	v_fma_f64 v[221:222], -v[215:216], v[217:218], 1.0
	v_fma_f64 v[217:218], v[217:218], v[221:222], v[217:218]
	v_fma_f64 v[221:222], -v[215:216], v[217:218], 1.0
	v_fma_f64 v[217:218], v[217:218], v[221:222], v[217:218]
	v_div_scale_f64 v[221:222], vcc_lo, 1.0, v[213:214], 1.0
	v_mul_f64 v[223:224], v[221:222], v[217:218]
	v_fma_f64 v[215:216], -v[215:216], v[223:224], v[221:222]
	v_div_fmas_f64 v[215:216], v[215:216], v[217:218], v[223:224]
	v_div_fixup_f64 v[217:218], v[215:216], v[213:214], 1.0
	v_mul_f64 v[219:220], v[219:220], -v[217:218]
.LBB119_448:
	s_or_b32 exec_lo, exec_lo, s1
	ds_write2_b64 v255, v[217:218], v[219:220] offset1:1
.LBB119_449:
	s_or_b32 exec_lo, exec_lo, s2
	s_waitcnt lgkmcnt(0)
	s_barrier
	buffer_gl0_inv
	ds_read2_b64 v[193:196], v255 offset1:1
	s_mov_b32 s1, exec_lo
	s_waitcnt lgkmcnt(0)
	buffer_store_dword v193, off, s[16:19], 0 offset:1360 ; 4-byte Folded Spill
	buffer_store_dword v194, off, s[16:19], 0 offset:1364 ; 4-byte Folded Spill
	;; [unrolled: 1-line block ×4, first 2 shown]
	v_cmpx_lt_u32_e32 49, v0
	s_cbranch_execz .LBB119_451
; %bb.450:
	s_clause 0x3
	buffer_load_dword v193, off, s[16:19], 0 offset:1360
	buffer_load_dword v194, off, s[16:19], 0 offset:1364
	;; [unrolled: 1-line block ×4, first 2 shown]
	s_waitcnt vmcnt(2)
	v_mul_f64 v[213:214], v[193:194], v[43:44]
	s_waitcnt vmcnt(0)
	v_mul_f64 v[43:44], v[195:196], v[43:44]
	v_fma_f64 v[217:218], v[195:196], v[41:42], v[213:214]
	ds_read2_b64 v[213:216], v253 offset0:100 offset1:101
	v_fma_f64 v[41:42], v[193:194], v[41:42], -v[43:44]
	s_waitcnt lgkmcnt(0)
	v_mul_f64 v[43:44], v[215:216], v[217:218]
	v_fma_f64 v[43:44], v[213:214], v[41:42], -v[43:44]
	v_mul_f64 v[213:214], v[213:214], v[217:218]
	v_add_f64 v[37:38], v[37:38], -v[43:44]
	v_fma_f64 v[213:214], v[215:216], v[41:42], v[213:214]
	v_add_f64 v[39:40], v[39:40], -v[213:214]
	ds_read2_b64 v[213:216], v253 offset0:102 offset1:103
	s_waitcnt lgkmcnt(0)
	v_mul_f64 v[43:44], v[215:216], v[217:218]
	v_fma_f64 v[43:44], v[213:214], v[41:42], -v[43:44]
	v_mul_f64 v[213:214], v[213:214], v[217:218]
	v_add_f64 v[33:34], v[33:34], -v[43:44]
	v_fma_f64 v[213:214], v[215:216], v[41:42], v[213:214]
	v_add_f64 v[35:36], v[35:36], -v[213:214]
	ds_read2_b64 v[213:216], v253 offset0:104 offset1:105
	;; [unrolled: 8-line block ×9, first 2 shown]
	s_waitcnt lgkmcnt(0)
	v_mul_f64 v[43:44], v[215:216], v[217:218]
	v_fma_f64 v[43:44], v[213:214], v[41:42], -v[43:44]
	v_mul_f64 v[213:214], v[213:214], v[217:218]
	v_add_f64 v[1:2], v[1:2], -v[43:44]
	v_fma_f64 v[213:214], v[215:216], v[41:42], v[213:214]
	v_mov_b32_e32 v43, v217
	v_mov_b32_e32 v44, v218
	v_add_f64 v[3:4], v[3:4], -v[213:214]
.LBB119_451:
	s_or_b32 exec_lo, exec_lo, s1
	s_mov_b32 s2, exec_lo
	s_waitcnt_vscnt null, 0x0
	s_barrier
	buffer_gl0_inv
	v_cmpx_eq_u32_e32 50, v0
	s_cbranch_execz .LBB119_458
; %bb.452:
	ds_write2_b64 v255, v[37:38], v[39:40] offset1:1
	ds_write2_b64 v253, v[33:34], v[35:36] offset0:102 offset1:103
	ds_write2_b64 v253, v[29:30], v[31:32] offset0:104 offset1:105
	;; [unrolled: 1-line block ×9, first 2 shown]
	ds_read2_b64 v[213:216], v255 offset1:1
	s_waitcnt lgkmcnt(0)
	v_cmp_neq_f64_e32 vcc_lo, 0, v[213:214]
	v_cmp_neq_f64_e64 s1, 0, v[215:216]
	s_or_b32 s1, vcc_lo, s1
	s_and_b32 exec_lo, exec_lo, s1
	s_cbranch_execz .LBB119_458
; %bb.453:
	v_cmp_ngt_f64_e64 s1, |v[213:214]|, |v[215:216]|
                                        ; implicit-def: $vgpr217_vgpr218
	s_and_saveexec_b32 s3, s1
	s_xor_b32 s1, exec_lo, s3
                                        ; implicit-def: $vgpr219_vgpr220
	s_cbranch_execz .LBB119_455
; %bb.454:
	v_div_scale_f64 v[217:218], null, v[215:216], v[215:216], v[213:214]
	v_div_scale_f64 v[223:224], vcc_lo, v[213:214], v[215:216], v[213:214]
	v_rcp_f64_e32 v[219:220], v[217:218]
	v_fma_f64 v[221:222], -v[217:218], v[219:220], 1.0
	v_fma_f64 v[219:220], v[219:220], v[221:222], v[219:220]
	v_fma_f64 v[221:222], -v[217:218], v[219:220], 1.0
	v_fma_f64 v[219:220], v[219:220], v[221:222], v[219:220]
	v_mul_f64 v[221:222], v[223:224], v[219:220]
	v_fma_f64 v[217:218], -v[217:218], v[221:222], v[223:224]
	v_div_fmas_f64 v[217:218], v[217:218], v[219:220], v[221:222]
	v_div_fixup_f64 v[217:218], v[217:218], v[215:216], v[213:214]
	v_fma_f64 v[213:214], v[213:214], v[217:218], v[215:216]
	v_div_scale_f64 v[215:216], null, v[213:214], v[213:214], 1.0
	v_rcp_f64_e32 v[219:220], v[215:216]
	v_fma_f64 v[221:222], -v[215:216], v[219:220], 1.0
	v_fma_f64 v[219:220], v[219:220], v[221:222], v[219:220]
	v_fma_f64 v[221:222], -v[215:216], v[219:220], 1.0
	v_fma_f64 v[219:220], v[219:220], v[221:222], v[219:220]
	v_div_scale_f64 v[221:222], vcc_lo, 1.0, v[213:214], 1.0
	v_mul_f64 v[223:224], v[221:222], v[219:220]
	v_fma_f64 v[215:216], -v[215:216], v[223:224], v[221:222]
	v_div_fmas_f64 v[215:216], v[215:216], v[219:220], v[223:224]
	v_div_fixup_f64 v[219:220], v[215:216], v[213:214], 1.0
                                        ; implicit-def: $vgpr213_vgpr214
	v_mul_f64 v[217:218], v[217:218], v[219:220]
	v_xor_b32_e32 v220, 0x80000000, v220
.LBB119_455:
	s_andn2_saveexec_b32 s1, s1
	s_cbranch_execz .LBB119_457
; %bb.456:
	v_div_scale_f64 v[217:218], null, v[213:214], v[213:214], v[215:216]
	v_div_scale_f64 v[223:224], vcc_lo, v[215:216], v[213:214], v[215:216]
	v_rcp_f64_e32 v[219:220], v[217:218]
	v_fma_f64 v[221:222], -v[217:218], v[219:220], 1.0
	v_fma_f64 v[219:220], v[219:220], v[221:222], v[219:220]
	v_fma_f64 v[221:222], -v[217:218], v[219:220], 1.0
	v_fma_f64 v[219:220], v[219:220], v[221:222], v[219:220]
	v_mul_f64 v[221:222], v[223:224], v[219:220]
	v_fma_f64 v[217:218], -v[217:218], v[221:222], v[223:224]
	v_div_fmas_f64 v[217:218], v[217:218], v[219:220], v[221:222]
	v_div_fixup_f64 v[219:220], v[217:218], v[213:214], v[215:216]
	v_fma_f64 v[213:214], v[215:216], v[219:220], v[213:214]
	v_div_scale_f64 v[215:216], null, v[213:214], v[213:214], 1.0
	v_rcp_f64_e32 v[217:218], v[215:216]
	v_fma_f64 v[221:222], -v[215:216], v[217:218], 1.0
	v_fma_f64 v[217:218], v[217:218], v[221:222], v[217:218]
	v_fma_f64 v[221:222], -v[215:216], v[217:218], 1.0
	v_fma_f64 v[217:218], v[217:218], v[221:222], v[217:218]
	v_div_scale_f64 v[221:222], vcc_lo, 1.0, v[213:214], 1.0
	v_mul_f64 v[223:224], v[221:222], v[217:218]
	v_fma_f64 v[215:216], -v[215:216], v[223:224], v[221:222]
	v_div_fmas_f64 v[215:216], v[215:216], v[217:218], v[223:224]
	v_div_fixup_f64 v[217:218], v[215:216], v[213:214], 1.0
	v_mul_f64 v[219:220], v[219:220], -v[217:218]
.LBB119_457:
	s_or_b32 exec_lo, exec_lo, s1
	ds_write2_b64 v255, v[217:218], v[219:220] offset1:1
.LBB119_458:
	s_or_b32 exec_lo, exec_lo, s2
	s_waitcnt lgkmcnt(0)
	s_barrier
	buffer_gl0_inv
	ds_read2_b64 v[193:196], v255 offset1:1
	s_mov_b32 s1, exec_lo
	s_waitcnt lgkmcnt(0)
	buffer_store_dword v193, off, s[16:19], 0 offset:1376 ; 4-byte Folded Spill
	buffer_store_dword v194, off, s[16:19], 0 offset:1380 ; 4-byte Folded Spill
	;; [unrolled: 1-line block ×4, first 2 shown]
	v_cmpx_lt_u32_e32 50, v0
	s_cbranch_execz .LBB119_460
; %bb.459:
	s_clause 0x3
	buffer_load_dword v193, off, s[16:19], 0 offset:1376
	buffer_load_dword v194, off, s[16:19], 0 offset:1380
	;; [unrolled: 1-line block ×4, first 2 shown]
	s_waitcnt vmcnt(2)
	v_mul_f64 v[213:214], v[193:194], v[39:40]
	s_waitcnt vmcnt(0)
	v_mul_f64 v[39:40], v[195:196], v[39:40]
	v_fma_f64 v[217:218], v[195:196], v[37:38], v[213:214]
	ds_read2_b64 v[213:216], v253 offset0:102 offset1:103
	v_fma_f64 v[37:38], v[193:194], v[37:38], -v[39:40]
	s_waitcnt lgkmcnt(0)
	v_mul_f64 v[39:40], v[215:216], v[217:218]
	v_fma_f64 v[39:40], v[213:214], v[37:38], -v[39:40]
	v_mul_f64 v[213:214], v[213:214], v[217:218]
	v_add_f64 v[33:34], v[33:34], -v[39:40]
	v_fma_f64 v[213:214], v[215:216], v[37:38], v[213:214]
	v_add_f64 v[35:36], v[35:36], -v[213:214]
	ds_read2_b64 v[213:216], v253 offset0:104 offset1:105
	s_waitcnt lgkmcnt(0)
	v_mul_f64 v[39:40], v[215:216], v[217:218]
	v_fma_f64 v[39:40], v[213:214], v[37:38], -v[39:40]
	v_mul_f64 v[213:214], v[213:214], v[217:218]
	v_add_f64 v[29:30], v[29:30], -v[39:40]
	v_fma_f64 v[213:214], v[215:216], v[37:38], v[213:214]
	v_add_f64 v[31:32], v[31:32], -v[213:214]
	ds_read2_b64 v[213:216], v253 offset0:106 offset1:107
	;; [unrolled: 8-line block ×8, first 2 shown]
	s_waitcnt lgkmcnt(0)
	v_mul_f64 v[39:40], v[215:216], v[217:218]
	v_fma_f64 v[39:40], v[213:214], v[37:38], -v[39:40]
	v_mul_f64 v[213:214], v[213:214], v[217:218]
	v_add_f64 v[1:2], v[1:2], -v[39:40]
	v_fma_f64 v[213:214], v[215:216], v[37:38], v[213:214]
	v_mov_b32_e32 v39, v217
	v_mov_b32_e32 v40, v218
	v_add_f64 v[3:4], v[3:4], -v[213:214]
.LBB119_460:
	s_or_b32 exec_lo, exec_lo, s1
	s_mov_b32 s2, exec_lo
	s_waitcnt_vscnt null, 0x0
	s_barrier
	buffer_gl0_inv
	v_cmpx_eq_u32_e32 51, v0
	s_cbranch_execz .LBB119_467
; %bb.461:
	ds_write2_b64 v255, v[33:34], v[35:36] offset1:1
	ds_write2_b64 v253, v[29:30], v[31:32] offset0:104 offset1:105
	ds_write2_b64 v253, v[25:26], v[27:28] offset0:106 offset1:107
	;; [unrolled: 1-line block ×8, first 2 shown]
	ds_read2_b64 v[213:216], v255 offset1:1
	s_waitcnt lgkmcnt(0)
	v_cmp_neq_f64_e32 vcc_lo, 0, v[213:214]
	v_cmp_neq_f64_e64 s1, 0, v[215:216]
	s_or_b32 s1, vcc_lo, s1
	s_and_b32 exec_lo, exec_lo, s1
	s_cbranch_execz .LBB119_467
; %bb.462:
	v_cmp_ngt_f64_e64 s1, |v[213:214]|, |v[215:216]|
                                        ; implicit-def: $vgpr217_vgpr218
	s_and_saveexec_b32 s3, s1
	s_xor_b32 s1, exec_lo, s3
                                        ; implicit-def: $vgpr219_vgpr220
	s_cbranch_execz .LBB119_464
; %bb.463:
	v_div_scale_f64 v[217:218], null, v[215:216], v[215:216], v[213:214]
	v_div_scale_f64 v[223:224], vcc_lo, v[213:214], v[215:216], v[213:214]
	v_rcp_f64_e32 v[219:220], v[217:218]
	v_fma_f64 v[221:222], -v[217:218], v[219:220], 1.0
	v_fma_f64 v[219:220], v[219:220], v[221:222], v[219:220]
	v_fma_f64 v[221:222], -v[217:218], v[219:220], 1.0
	v_fma_f64 v[219:220], v[219:220], v[221:222], v[219:220]
	v_mul_f64 v[221:222], v[223:224], v[219:220]
	v_fma_f64 v[217:218], -v[217:218], v[221:222], v[223:224]
	v_div_fmas_f64 v[217:218], v[217:218], v[219:220], v[221:222]
	v_div_fixup_f64 v[217:218], v[217:218], v[215:216], v[213:214]
	v_fma_f64 v[213:214], v[213:214], v[217:218], v[215:216]
	v_div_scale_f64 v[215:216], null, v[213:214], v[213:214], 1.0
	v_rcp_f64_e32 v[219:220], v[215:216]
	v_fma_f64 v[221:222], -v[215:216], v[219:220], 1.0
	v_fma_f64 v[219:220], v[219:220], v[221:222], v[219:220]
	v_fma_f64 v[221:222], -v[215:216], v[219:220], 1.0
	v_fma_f64 v[219:220], v[219:220], v[221:222], v[219:220]
	v_div_scale_f64 v[221:222], vcc_lo, 1.0, v[213:214], 1.0
	v_mul_f64 v[223:224], v[221:222], v[219:220]
	v_fma_f64 v[215:216], -v[215:216], v[223:224], v[221:222]
	v_div_fmas_f64 v[215:216], v[215:216], v[219:220], v[223:224]
	v_div_fixup_f64 v[219:220], v[215:216], v[213:214], 1.0
                                        ; implicit-def: $vgpr213_vgpr214
	v_mul_f64 v[217:218], v[217:218], v[219:220]
	v_xor_b32_e32 v220, 0x80000000, v220
.LBB119_464:
	s_andn2_saveexec_b32 s1, s1
	s_cbranch_execz .LBB119_466
; %bb.465:
	v_div_scale_f64 v[217:218], null, v[213:214], v[213:214], v[215:216]
	v_div_scale_f64 v[223:224], vcc_lo, v[215:216], v[213:214], v[215:216]
	v_rcp_f64_e32 v[219:220], v[217:218]
	v_fma_f64 v[221:222], -v[217:218], v[219:220], 1.0
	v_fma_f64 v[219:220], v[219:220], v[221:222], v[219:220]
	v_fma_f64 v[221:222], -v[217:218], v[219:220], 1.0
	v_fma_f64 v[219:220], v[219:220], v[221:222], v[219:220]
	v_mul_f64 v[221:222], v[223:224], v[219:220]
	v_fma_f64 v[217:218], -v[217:218], v[221:222], v[223:224]
	v_div_fmas_f64 v[217:218], v[217:218], v[219:220], v[221:222]
	v_div_fixup_f64 v[219:220], v[217:218], v[213:214], v[215:216]
	v_fma_f64 v[213:214], v[215:216], v[219:220], v[213:214]
	v_div_scale_f64 v[215:216], null, v[213:214], v[213:214], 1.0
	v_rcp_f64_e32 v[217:218], v[215:216]
	v_fma_f64 v[221:222], -v[215:216], v[217:218], 1.0
	v_fma_f64 v[217:218], v[217:218], v[221:222], v[217:218]
	v_fma_f64 v[221:222], -v[215:216], v[217:218], 1.0
	v_fma_f64 v[217:218], v[217:218], v[221:222], v[217:218]
	v_div_scale_f64 v[221:222], vcc_lo, 1.0, v[213:214], 1.0
	v_mul_f64 v[223:224], v[221:222], v[217:218]
	v_fma_f64 v[215:216], -v[215:216], v[223:224], v[221:222]
	v_div_fmas_f64 v[215:216], v[215:216], v[217:218], v[223:224]
	v_div_fixup_f64 v[217:218], v[215:216], v[213:214], 1.0
	v_mul_f64 v[219:220], v[219:220], -v[217:218]
.LBB119_466:
	s_or_b32 exec_lo, exec_lo, s1
	ds_write2_b64 v255, v[217:218], v[219:220] offset1:1
.LBB119_467:
	s_or_b32 exec_lo, exec_lo, s2
	s_waitcnt lgkmcnt(0)
	s_barrier
	buffer_gl0_inv
	ds_read2_b64 v[193:196], v255 offset1:1
	s_mov_b32 s1, exec_lo
	s_waitcnt lgkmcnt(0)
	buffer_store_dword v193, off, s[16:19], 0 offset:1392 ; 4-byte Folded Spill
	buffer_store_dword v194, off, s[16:19], 0 offset:1396 ; 4-byte Folded Spill
	;; [unrolled: 1-line block ×4, first 2 shown]
	v_cmpx_lt_u32_e32 51, v0
	s_cbranch_execz .LBB119_469
; %bb.468:
	s_clause 0x3
	buffer_load_dword v193, off, s[16:19], 0 offset:1392
	buffer_load_dword v194, off, s[16:19], 0 offset:1396
	;; [unrolled: 1-line block ×4, first 2 shown]
	s_waitcnt vmcnt(2)
	v_mul_f64 v[213:214], v[193:194], v[35:36]
	s_waitcnt vmcnt(0)
	v_mul_f64 v[35:36], v[195:196], v[35:36]
	v_fma_f64 v[217:218], v[195:196], v[33:34], v[213:214]
	ds_read2_b64 v[213:216], v253 offset0:104 offset1:105
	v_fma_f64 v[33:34], v[193:194], v[33:34], -v[35:36]
	s_waitcnt lgkmcnt(0)
	v_mul_f64 v[35:36], v[215:216], v[217:218]
	v_fma_f64 v[35:36], v[213:214], v[33:34], -v[35:36]
	v_mul_f64 v[213:214], v[213:214], v[217:218]
	v_add_f64 v[29:30], v[29:30], -v[35:36]
	v_fma_f64 v[213:214], v[215:216], v[33:34], v[213:214]
	v_add_f64 v[31:32], v[31:32], -v[213:214]
	ds_read2_b64 v[213:216], v253 offset0:106 offset1:107
	s_waitcnt lgkmcnt(0)
	v_mul_f64 v[35:36], v[215:216], v[217:218]
	v_fma_f64 v[35:36], v[213:214], v[33:34], -v[35:36]
	v_mul_f64 v[213:214], v[213:214], v[217:218]
	v_add_f64 v[25:26], v[25:26], -v[35:36]
	v_fma_f64 v[213:214], v[215:216], v[33:34], v[213:214]
	v_add_f64 v[27:28], v[27:28], -v[213:214]
	ds_read2_b64 v[213:216], v253 offset0:108 offset1:109
	;; [unrolled: 8-line block ×7, first 2 shown]
	s_waitcnt lgkmcnt(0)
	v_mul_f64 v[35:36], v[215:216], v[217:218]
	v_fma_f64 v[35:36], v[213:214], v[33:34], -v[35:36]
	v_mul_f64 v[213:214], v[213:214], v[217:218]
	v_add_f64 v[1:2], v[1:2], -v[35:36]
	v_fma_f64 v[213:214], v[215:216], v[33:34], v[213:214]
	v_mov_b32_e32 v35, v217
	v_mov_b32_e32 v36, v218
	v_add_f64 v[3:4], v[3:4], -v[213:214]
.LBB119_469:
	s_or_b32 exec_lo, exec_lo, s1
	s_mov_b32 s2, exec_lo
	s_waitcnt_vscnt null, 0x0
	s_barrier
	buffer_gl0_inv
	v_cmpx_eq_u32_e32 52, v0
	s_cbranch_execz .LBB119_476
; %bb.470:
	ds_write2_b64 v255, v[29:30], v[31:32] offset1:1
	ds_write2_b64 v253, v[25:26], v[27:28] offset0:106 offset1:107
	ds_write2_b64 v253, v[21:22], v[23:24] offset0:108 offset1:109
	;; [unrolled: 1-line block ×7, first 2 shown]
	ds_read2_b64 v[213:216], v255 offset1:1
	s_waitcnt lgkmcnt(0)
	v_cmp_neq_f64_e32 vcc_lo, 0, v[213:214]
	v_cmp_neq_f64_e64 s1, 0, v[215:216]
	s_or_b32 s1, vcc_lo, s1
	s_and_b32 exec_lo, exec_lo, s1
	s_cbranch_execz .LBB119_476
; %bb.471:
	v_cmp_ngt_f64_e64 s1, |v[213:214]|, |v[215:216]|
                                        ; implicit-def: $vgpr217_vgpr218
	s_and_saveexec_b32 s3, s1
	s_xor_b32 s1, exec_lo, s3
                                        ; implicit-def: $vgpr219_vgpr220
	s_cbranch_execz .LBB119_473
; %bb.472:
	v_div_scale_f64 v[217:218], null, v[215:216], v[215:216], v[213:214]
	v_div_scale_f64 v[223:224], vcc_lo, v[213:214], v[215:216], v[213:214]
	v_rcp_f64_e32 v[219:220], v[217:218]
	v_fma_f64 v[221:222], -v[217:218], v[219:220], 1.0
	v_fma_f64 v[219:220], v[219:220], v[221:222], v[219:220]
	v_fma_f64 v[221:222], -v[217:218], v[219:220], 1.0
	v_fma_f64 v[219:220], v[219:220], v[221:222], v[219:220]
	v_mul_f64 v[221:222], v[223:224], v[219:220]
	v_fma_f64 v[217:218], -v[217:218], v[221:222], v[223:224]
	v_div_fmas_f64 v[217:218], v[217:218], v[219:220], v[221:222]
	v_div_fixup_f64 v[217:218], v[217:218], v[215:216], v[213:214]
	v_fma_f64 v[213:214], v[213:214], v[217:218], v[215:216]
	v_div_scale_f64 v[215:216], null, v[213:214], v[213:214], 1.0
	v_rcp_f64_e32 v[219:220], v[215:216]
	v_fma_f64 v[221:222], -v[215:216], v[219:220], 1.0
	v_fma_f64 v[219:220], v[219:220], v[221:222], v[219:220]
	v_fma_f64 v[221:222], -v[215:216], v[219:220], 1.0
	v_fma_f64 v[219:220], v[219:220], v[221:222], v[219:220]
	v_div_scale_f64 v[221:222], vcc_lo, 1.0, v[213:214], 1.0
	v_mul_f64 v[223:224], v[221:222], v[219:220]
	v_fma_f64 v[215:216], -v[215:216], v[223:224], v[221:222]
	v_div_fmas_f64 v[215:216], v[215:216], v[219:220], v[223:224]
	v_div_fixup_f64 v[219:220], v[215:216], v[213:214], 1.0
                                        ; implicit-def: $vgpr213_vgpr214
	v_mul_f64 v[217:218], v[217:218], v[219:220]
	v_xor_b32_e32 v220, 0x80000000, v220
.LBB119_473:
	s_andn2_saveexec_b32 s1, s1
	s_cbranch_execz .LBB119_475
; %bb.474:
	v_div_scale_f64 v[217:218], null, v[213:214], v[213:214], v[215:216]
	v_div_scale_f64 v[223:224], vcc_lo, v[215:216], v[213:214], v[215:216]
	v_rcp_f64_e32 v[219:220], v[217:218]
	v_fma_f64 v[221:222], -v[217:218], v[219:220], 1.0
	v_fma_f64 v[219:220], v[219:220], v[221:222], v[219:220]
	v_fma_f64 v[221:222], -v[217:218], v[219:220], 1.0
	v_fma_f64 v[219:220], v[219:220], v[221:222], v[219:220]
	v_mul_f64 v[221:222], v[223:224], v[219:220]
	v_fma_f64 v[217:218], -v[217:218], v[221:222], v[223:224]
	v_div_fmas_f64 v[217:218], v[217:218], v[219:220], v[221:222]
	v_div_fixup_f64 v[219:220], v[217:218], v[213:214], v[215:216]
	v_fma_f64 v[213:214], v[215:216], v[219:220], v[213:214]
	v_div_scale_f64 v[215:216], null, v[213:214], v[213:214], 1.0
	v_rcp_f64_e32 v[217:218], v[215:216]
	v_fma_f64 v[221:222], -v[215:216], v[217:218], 1.0
	v_fma_f64 v[217:218], v[217:218], v[221:222], v[217:218]
	v_fma_f64 v[221:222], -v[215:216], v[217:218], 1.0
	v_fma_f64 v[217:218], v[217:218], v[221:222], v[217:218]
	v_div_scale_f64 v[221:222], vcc_lo, 1.0, v[213:214], 1.0
	v_mul_f64 v[223:224], v[221:222], v[217:218]
	v_fma_f64 v[215:216], -v[215:216], v[223:224], v[221:222]
	v_div_fmas_f64 v[215:216], v[215:216], v[217:218], v[223:224]
	v_div_fixup_f64 v[217:218], v[215:216], v[213:214], 1.0
	v_mul_f64 v[219:220], v[219:220], -v[217:218]
.LBB119_475:
	s_or_b32 exec_lo, exec_lo, s1
	ds_write2_b64 v255, v[217:218], v[219:220] offset1:1
.LBB119_476:
	s_or_b32 exec_lo, exec_lo, s2
	s_waitcnt lgkmcnt(0)
	s_barrier
	buffer_gl0_inv
	ds_read2_b64 v[193:196], v255 offset1:1
	s_mov_b32 s1, exec_lo
	s_waitcnt lgkmcnt(0)
	buffer_store_dword v193, off, s[16:19], 0 offset:1408 ; 4-byte Folded Spill
	buffer_store_dword v194, off, s[16:19], 0 offset:1412 ; 4-byte Folded Spill
	;; [unrolled: 1-line block ×4, first 2 shown]
	v_cmpx_lt_u32_e32 52, v0
	s_cbranch_execz .LBB119_478
; %bb.477:
	s_clause 0x3
	buffer_load_dword v193, off, s[16:19], 0 offset:1408
	buffer_load_dword v194, off, s[16:19], 0 offset:1412
	;; [unrolled: 1-line block ×4, first 2 shown]
	s_waitcnt vmcnt(2)
	v_mul_f64 v[213:214], v[193:194], v[31:32]
	s_waitcnt vmcnt(0)
	v_mul_f64 v[31:32], v[195:196], v[31:32]
	v_fma_f64 v[217:218], v[195:196], v[29:30], v[213:214]
	ds_read2_b64 v[213:216], v253 offset0:106 offset1:107
	v_fma_f64 v[29:30], v[193:194], v[29:30], -v[31:32]
	s_waitcnt lgkmcnt(0)
	v_mul_f64 v[31:32], v[215:216], v[217:218]
	v_fma_f64 v[31:32], v[213:214], v[29:30], -v[31:32]
	v_mul_f64 v[213:214], v[213:214], v[217:218]
	v_add_f64 v[25:26], v[25:26], -v[31:32]
	v_fma_f64 v[213:214], v[215:216], v[29:30], v[213:214]
	v_add_f64 v[27:28], v[27:28], -v[213:214]
	ds_read2_b64 v[213:216], v253 offset0:108 offset1:109
	s_waitcnt lgkmcnt(0)
	v_mul_f64 v[31:32], v[215:216], v[217:218]
	v_fma_f64 v[31:32], v[213:214], v[29:30], -v[31:32]
	v_mul_f64 v[213:214], v[213:214], v[217:218]
	v_add_f64 v[21:22], v[21:22], -v[31:32]
	v_fma_f64 v[213:214], v[215:216], v[29:30], v[213:214]
	v_add_f64 v[23:24], v[23:24], -v[213:214]
	ds_read2_b64 v[213:216], v253 offset0:110 offset1:111
	;; [unrolled: 8-line block ×6, first 2 shown]
	s_waitcnt lgkmcnt(0)
	v_mul_f64 v[31:32], v[215:216], v[217:218]
	v_fma_f64 v[31:32], v[213:214], v[29:30], -v[31:32]
	v_mul_f64 v[213:214], v[213:214], v[217:218]
	v_add_f64 v[1:2], v[1:2], -v[31:32]
	v_fma_f64 v[213:214], v[215:216], v[29:30], v[213:214]
	v_mov_b32_e32 v31, v217
	v_mov_b32_e32 v32, v218
	v_add_f64 v[3:4], v[3:4], -v[213:214]
.LBB119_478:
	s_or_b32 exec_lo, exec_lo, s1
	s_mov_b32 s2, exec_lo
	s_waitcnt_vscnt null, 0x0
	s_barrier
	buffer_gl0_inv
	v_cmpx_eq_u32_e32 53, v0
	s_cbranch_execz .LBB119_485
; %bb.479:
	ds_write2_b64 v255, v[25:26], v[27:28] offset1:1
	ds_write2_b64 v253, v[21:22], v[23:24] offset0:108 offset1:109
	ds_write2_b64 v253, v[17:18], v[19:20] offset0:110 offset1:111
	;; [unrolled: 1-line block ×6, first 2 shown]
	ds_read2_b64 v[213:216], v255 offset1:1
	s_waitcnt lgkmcnt(0)
	v_cmp_neq_f64_e32 vcc_lo, 0, v[213:214]
	v_cmp_neq_f64_e64 s1, 0, v[215:216]
	s_or_b32 s1, vcc_lo, s1
	s_and_b32 exec_lo, exec_lo, s1
	s_cbranch_execz .LBB119_485
; %bb.480:
	v_cmp_ngt_f64_e64 s1, |v[213:214]|, |v[215:216]|
                                        ; implicit-def: $vgpr217_vgpr218
	s_and_saveexec_b32 s3, s1
	s_xor_b32 s1, exec_lo, s3
                                        ; implicit-def: $vgpr219_vgpr220
	s_cbranch_execz .LBB119_482
; %bb.481:
	v_div_scale_f64 v[217:218], null, v[215:216], v[215:216], v[213:214]
	v_div_scale_f64 v[223:224], vcc_lo, v[213:214], v[215:216], v[213:214]
	v_rcp_f64_e32 v[219:220], v[217:218]
	v_fma_f64 v[221:222], -v[217:218], v[219:220], 1.0
	v_fma_f64 v[219:220], v[219:220], v[221:222], v[219:220]
	v_fma_f64 v[221:222], -v[217:218], v[219:220], 1.0
	v_fma_f64 v[219:220], v[219:220], v[221:222], v[219:220]
	v_mul_f64 v[221:222], v[223:224], v[219:220]
	v_fma_f64 v[217:218], -v[217:218], v[221:222], v[223:224]
	v_div_fmas_f64 v[217:218], v[217:218], v[219:220], v[221:222]
	v_div_fixup_f64 v[217:218], v[217:218], v[215:216], v[213:214]
	v_fma_f64 v[213:214], v[213:214], v[217:218], v[215:216]
	v_div_scale_f64 v[215:216], null, v[213:214], v[213:214], 1.0
	v_rcp_f64_e32 v[219:220], v[215:216]
	v_fma_f64 v[221:222], -v[215:216], v[219:220], 1.0
	v_fma_f64 v[219:220], v[219:220], v[221:222], v[219:220]
	v_fma_f64 v[221:222], -v[215:216], v[219:220], 1.0
	v_fma_f64 v[219:220], v[219:220], v[221:222], v[219:220]
	v_div_scale_f64 v[221:222], vcc_lo, 1.0, v[213:214], 1.0
	v_mul_f64 v[223:224], v[221:222], v[219:220]
	v_fma_f64 v[215:216], -v[215:216], v[223:224], v[221:222]
	v_div_fmas_f64 v[215:216], v[215:216], v[219:220], v[223:224]
	v_div_fixup_f64 v[219:220], v[215:216], v[213:214], 1.0
                                        ; implicit-def: $vgpr213_vgpr214
	v_mul_f64 v[217:218], v[217:218], v[219:220]
	v_xor_b32_e32 v220, 0x80000000, v220
.LBB119_482:
	s_andn2_saveexec_b32 s1, s1
	s_cbranch_execz .LBB119_484
; %bb.483:
	v_div_scale_f64 v[217:218], null, v[213:214], v[213:214], v[215:216]
	v_div_scale_f64 v[223:224], vcc_lo, v[215:216], v[213:214], v[215:216]
	v_rcp_f64_e32 v[219:220], v[217:218]
	v_fma_f64 v[221:222], -v[217:218], v[219:220], 1.0
	v_fma_f64 v[219:220], v[219:220], v[221:222], v[219:220]
	v_fma_f64 v[221:222], -v[217:218], v[219:220], 1.0
	v_fma_f64 v[219:220], v[219:220], v[221:222], v[219:220]
	v_mul_f64 v[221:222], v[223:224], v[219:220]
	v_fma_f64 v[217:218], -v[217:218], v[221:222], v[223:224]
	v_div_fmas_f64 v[217:218], v[217:218], v[219:220], v[221:222]
	v_div_fixup_f64 v[219:220], v[217:218], v[213:214], v[215:216]
	v_fma_f64 v[213:214], v[215:216], v[219:220], v[213:214]
	v_div_scale_f64 v[215:216], null, v[213:214], v[213:214], 1.0
	v_rcp_f64_e32 v[217:218], v[215:216]
	v_fma_f64 v[221:222], -v[215:216], v[217:218], 1.0
	v_fma_f64 v[217:218], v[217:218], v[221:222], v[217:218]
	v_fma_f64 v[221:222], -v[215:216], v[217:218], 1.0
	v_fma_f64 v[217:218], v[217:218], v[221:222], v[217:218]
	v_div_scale_f64 v[221:222], vcc_lo, 1.0, v[213:214], 1.0
	v_mul_f64 v[223:224], v[221:222], v[217:218]
	v_fma_f64 v[215:216], -v[215:216], v[223:224], v[221:222]
	v_div_fmas_f64 v[215:216], v[215:216], v[217:218], v[223:224]
	v_div_fixup_f64 v[217:218], v[215:216], v[213:214], 1.0
	v_mul_f64 v[219:220], v[219:220], -v[217:218]
.LBB119_484:
	s_or_b32 exec_lo, exec_lo, s1
	ds_write2_b64 v255, v[217:218], v[219:220] offset1:1
.LBB119_485:
	s_or_b32 exec_lo, exec_lo, s2
	s_waitcnt lgkmcnt(0)
	s_barrier
	buffer_gl0_inv
	ds_read2_b64 v[193:196], v255 offset1:1
	s_mov_b32 s1, exec_lo
	s_waitcnt lgkmcnt(0)
	buffer_store_dword v193, off, s[16:19], 0 offset:1424 ; 4-byte Folded Spill
	buffer_store_dword v194, off, s[16:19], 0 offset:1428 ; 4-byte Folded Spill
	;; [unrolled: 1-line block ×4, first 2 shown]
	v_cmpx_lt_u32_e32 53, v0
	s_cbranch_execz .LBB119_487
; %bb.486:
	s_clause 0x3
	buffer_load_dword v193, off, s[16:19], 0 offset:1424
	buffer_load_dword v194, off, s[16:19], 0 offset:1428
	;; [unrolled: 1-line block ×4, first 2 shown]
	s_waitcnt vmcnt(2)
	v_mul_f64 v[213:214], v[193:194], v[27:28]
	s_waitcnt vmcnt(0)
	v_mul_f64 v[27:28], v[195:196], v[27:28]
	v_fma_f64 v[217:218], v[195:196], v[25:26], v[213:214]
	ds_read2_b64 v[213:216], v253 offset0:108 offset1:109
	v_fma_f64 v[25:26], v[193:194], v[25:26], -v[27:28]
	s_waitcnt lgkmcnt(0)
	v_mul_f64 v[27:28], v[215:216], v[217:218]
	v_fma_f64 v[27:28], v[213:214], v[25:26], -v[27:28]
	v_mul_f64 v[213:214], v[213:214], v[217:218]
	v_add_f64 v[21:22], v[21:22], -v[27:28]
	v_fma_f64 v[213:214], v[215:216], v[25:26], v[213:214]
	v_add_f64 v[23:24], v[23:24], -v[213:214]
	ds_read2_b64 v[213:216], v253 offset0:110 offset1:111
	s_waitcnt lgkmcnt(0)
	v_mul_f64 v[27:28], v[215:216], v[217:218]
	v_fma_f64 v[27:28], v[213:214], v[25:26], -v[27:28]
	v_mul_f64 v[213:214], v[213:214], v[217:218]
	v_add_f64 v[17:18], v[17:18], -v[27:28]
	v_fma_f64 v[213:214], v[215:216], v[25:26], v[213:214]
	v_add_f64 v[19:20], v[19:20], -v[213:214]
	ds_read2_b64 v[213:216], v253 offset0:112 offset1:113
	;; [unrolled: 8-line block ×5, first 2 shown]
	s_waitcnt lgkmcnt(0)
	v_mul_f64 v[27:28], v[215:216], v[217:218]
	v_fma_f64 v[27:28], v[213:214], v[25:26], -v[27:28]
	v_mul_f64 v[213:214], v[213:214], v[217:218]
	v_add_f64 v[1:2], v[1:2], -v[27:28]
	v_fma_f64 v[213:214], v[215:216], v[25:26], v[213:214]
	v_mov_b32_e32 v27, v217
	v_mov_b32_e32 v28, v218
	v_add_f64 v[3:4], v[3:4], -v[213:214]
.LBB119_487:
	s_or_b32 exec_lo, exec_lo, s1
	s_mov_b32 s2, exec_lo
	s_waitcnt_vscnt null, 0x0
	s_barrier
	buffer_gl0_inv
	v_cmpx_eq_u32_e32 54, v0
	s_cbranch_execz .LBB119_494
; %bb.488:
	ds_write2_b64 v255, v[21:22], v[23:24] offset1:1
	ds_write2_b64 v253, v[17:18], v[19:20] offset0:110 offset1:111
	ds_write2_b64 v253, v[13:14], v[15:16] offset0:112 offset1:113
	;; [unrolled: 1-line block ×5, first 2 shown]
	ds_read2_b64 v[213:216], v255 offset1:1
	s_waitcnt lgkmcnt(0)
	v_cmp_neq_f64_e32 vcc_lo, 0, v[213:214]
	v_cmp_neq_f64_e64 s1, 0, v[215:216]
	s_or_b32 s1, vcc_lo, s1
	s_and_b32 exec_lo, exec_lo, s1
	s_cbranch_execz .LBB119_494
; %bb.489:
	v_cmp_ngt_f64_e64 s1, |v[213:214]|, |v[215:216]|
                                        ; implicit-def: $vgpr217_vgpr218
	s_and_saveexec_b32 s3, s1
	s_xor_b32 s1, exec_lo, s3
                                        ; implicit-def: $vgpr219_vgpr220
	s_cbranch_execz .LBB119_491
; %bb.490:
	v_div_scale_f64 v[217:218], null, v[215:216], v[215:216], v[213:214]
	v_div_scale_f64 v[223:224], vcc_lo, v[213:214], v[215:216], v[213:214]
	v_rcp_f64_e32 v[219:220], v[217:218]
	v_fma_f64 v[221:222], -v[217:218], v[219:220], 1.0
	v_fma_f64 v[219:220], v[219:220], v[221:222], v[219:220]
	v_fma_f64 v[221:222], -v[217:218], v[219:220], 1.0
	v_fma_f64 v[219:220], v[219:220], v[221:222], v[219:220]
	v_mul_f64 v[221:222], v[223:224], v[219:220]
	v_fma_f64 v[217:218], -v[217:218], v[221:222], v[223:224]
	v_div_fmas_f64 v[217:218], v[217:218], v[219:220], v[221:222]
	v_div_fixup_f64 v[217:218], v[217:218], v[215:216], v[213:214]
	v_fma_f64 v[213:214], v[213:214], v[217:218], v[215:216]
	v_div_scale_f64 v[215:216], null, v[213:214], v[213:214], 1.0
	v_rcp_f64_e32 v[219:220], v[215:216]
	v_fma_f64 v[221:222], -v[215:216], v[219:220], 1.0
	v_fma_f64 v[219:220], v[219:220], v[221:222], v[219:220]
	v_fma_f64 v[221:222], -v[215:216], v[219:220], 1.0
	v_fma_f64 v[219:220], v[219:220], v[221:222], v[219:220]
	v_div_scale_f64 v[221:222], vcc_lo, 1.0, v[213:214], 1.0
	v_mul_f64 v[223:224], v[221:222], v[219:220]
	v_fma_f64 v[215:216], -v[215:216], v[223:224], v[221:222]
	v_div_fmas_f64 v[215:216], v[215:216], v[219:220], v[223:224]
	v_div_fixup_f64 v[219:220], v[215:216], v[213:214], 1.0
                                        ; implicit-def: $vgpr213_vgpr214
	v_mul_f64 v[217:218], v[217:218], v[219:220]
	v_xor_b32_e32 v220, 0x80000000, v220
.LBB119_491:
	s_andn2_saveexec_b32 s1, s1
	s_cbranch_execz .LBB119_493
; %bb.492:
	v_div_scale_f64 v[217:218], null, v[213:214], v[213:214], v[215:216]
	v_div_scale_f64 v[223:224], vcc_lo, v[215:216], v[213:214], v[215:216]
	v_rcp_f64_e32 v[219:220], v[217:218]
	v_fma_f64 v[221:222], -v[217:218], v[219:220], 1.0
	v_fma_f64 v[219:220], v[219:220], v[221:222], v[219:220]
	v_fma_f64 v[221:222], -v[217:218], v[219:220], 1.0
	v_fma_f64 v[219:220], v[219:220], v[221:222], v[219:220]
	v_mul_f64 v[221:222], v[223:224], v[219:220]
	v_fma_f64 v[217:218], -v[217:218], v[221:222], v[223:224]
	v_div_fmas_f64 v[217:218], v[217:218], v[219:220], v[221:222]
	v_div_fixup_f64 v[219:220], v[217:218], v[213:214], v[215:216]
	v_fma_f64 v[213:214], v[215:216], v[219:220], v[213:214]
	v_div_scale_f64 v[215:216], null, v[213:214], v[213:214], 1.0
	v_rcp_f64_e32 v[217:218], v[215:216]
	v_fma_f64 v[221:222], -v[215:216], v[217:218], 1.0
	v_fma_f64 v[217:218], v[217:218], v[221:222], v[217:218]
	v_fma_f64 v[221:222], -v[215:216], v[217:218], 1.0
	v_fma_f64 v[217:218], v[217:218], v[221:222], v[217:218]
	v_div_scale_f64 v[221:222], vcc_lo, 1.0, v[213:214], 1.0
	v_mul_f64 v[223:224], v[221:222], v[217:218]
	v_fma_f64 v[215:216], -v[215:216], v[223:224], v[221:222]
	v_div_fmas_f64 v[215:216], v[215:216], v[217:218], v[223:224]
	v_div_fixup_f64 v[217:218], v[215:216], v[213:214], 1.0
	v_mul_f64 v[219:220], v[219:220], -v[217:218]
.LBB119_493:
	s_or_b32 exec_lo, exec_lo, s1
	ds_write2_b64 v255, v[217:218], v[219:220] offset1:1
.LBB119_494:
	s_or_b32 exec_lo, exec_lo, s2
	s_waitcnt lgkmcnt(0)
	s_barrier
	buffer_gl0_inv
	ds_read2_b64 v[229:232], v255 offset1:1
	s_mov_b32 s1, exec_lo
	v_cmpx_lt_u32_e32 54, v0
	s_cbranch_execz .LBB119_496
; %bb.495:
	s_waitcnt lgkmcnt(0)
	v_mul_f64 v[213:214], v[229:230], v[23:24]
	v_mul_f64 v[23:24], v[231:232], v[23:24]
	v_fma_f64 v[217:218], v[231:232], v[21:22], v[213:214]
	ds_read2_b64 v[213:216], v253 offset0:110 offset1:111
	v_fma_f64 v[21:22], v[229:230], v[21:22], -v[23:24]
	s_waitcnt lgkmcnt(0)
	v_mul_f64 v[23:24], v[215:216], v[217:218]
	v_fma_f64 v[23:24], v[213:214], v[21:22], -v[23:24]
	v_mul_f64 v[213:214], v[213:214], v[217:218]
	v_add_f64 v[17:18], v[17:18], -v[23:24]
	v_fma_f64 v[213:214], v[215:216], v[21:22], v[213:214]
	v_add_f64 v[19:20], v[19:20], -v[213:214]
	ds_read2_b64 v[213:216], v253 offset0:112 offset1:113
	s_waitcnt lgkmcnt(0)
	v_mul_f64 v[23:24], v[215:216], v[217:218]
	v_fma_f64 v[23:24], v[213:214], v[21:22], -v[23:24]
	v_mul_f64 v[213:214], v[213:214], v[217:218]
	v_add_f64 v[13:14], v[13:14], -v[23:24]
	v_fma_f64 v[213:214], v[215:216], v[21:22], v[213:214]
	v_add_f64 v[15:16], v[15:16], -v[213:214]
	ds_read2_b64 v[213:216], v253 offset0:114 offset1:115
	;; [unrolled: 8-line block ×4, first 2 shown]
	s_waitcnt lgkmcnt(0)
	v_mul_f64 v[23:24], v[215:216], v[217:218]
	v_fma_f64 v[23:24], v[213:214], v[21:22], -v[23:24]
	v_mul_f64 v[213:214], v[213:214], v[217:218]
	v_add_f64 v[1:2], v[1:2], -v[23:24]
	v_fma_f64 v[213:214], v[215:216], v[21:22], v[213:214]
	v_mov_b32_e32 v23, v217
	v_mov_b32_e32 v24, v218
	v_add_f64 v[3:4], v[3:4], -v[213:214]
.LBB119_496:
	s_or_b32 exec_lo, exec_lo, s1
	s_mov_b32 s2, exec_lo
	s_waitcnt lgkmcnt(0)
	s_barrier
	buffer_gl0_inv
	v_cmpx_eq_u32_e32 55, v0
	s_cbranch_execz .LBB119_503
; %bb.497:
	ds_write2_b64 v255, v[17:18], v[19:20] offset1:1
	ds_write2_b64 v253, v[13:14], v[15:16] offset0:112 offset1:113
	ds_write2_b64 v253, v[9:10], v[11:12] offset0:114 offset1:115
	;; [unrolled: 1-line block ×4, first 2 shown]
	ds_read2_b64 v[213:216], v255 offset1:1
	s_waitcnt lgkmcnt(0)
	v_cmp_neq_f64_e32 vcc_lo, 0, v[213:214]
	v_cmp_neq_f64_e64 s1, 0, v[215:216]
	s_or_b32 s1, vcc_lo, s1
	s_and_b32 exec_lo, exec_lo, s1
	s_cbranch_execz .LBB119_503
; %bb.498:
	v_cmp_ngt_f64_e64 s1, |v[213:214]|, |v[215:216]|
                                        ; implicit-def: $vgpr217_vgpr218
	s_and_saveexec_b32 s3, s1
	s_xor_b32 s1, exec_lo, s3
                                        ; implicit-def: $vgpr219_vgpr220
	s_cbranch_execz .LBB119_500
; %bb.499:
	v_div_scale_f64 v[217:218], null, v[215:216], v[215:216], v[213:214]
	v_div_scale_f64 v[223:224], vcc_lo, v[213:214], v[215:216], v[213:214]
	v_rcp_f64_e32 v[219:220], v[217:218]
	v_fma_f64 v[221:222], -v[217:218], v[219:220], 1.0
	v_fma_f64 v[219:220], v[219:220], v[221:222], v[219:220]
	v_fma_f64 v[221:222], -v[217:218], v[219:220], 1.0
	v_fma_f64 v[219:220], v[219:220], v[221:222], v[219:220]
	v_mul_f64 v[221:222], v[223:224], v[219:220]
	v_fma_f64 v[217:218], -v[217:218], v[221:222], v[223:224]
	v_div_fmas_f64 v[217:218], v[217:218], v[219:220], v[221:222]
	v_div_fixup_f64 v[217:218], v[217:218], v[215:216], v[213:214]
	v_fma_f64 v[213:214], v[213:214], v[217:218], v[215:216]
	v_div_scale_f64 v[215:216], null, v[213:214], v[213:214], 1.0
	v_rcp_f64_e32 v[219:220], v[215:216]
	v_fma_f64 v[221:222], -v[215:216], v[219:220], 1.0
	v_fma_f64 v[219:220], v[219:220], v[221:222], v[219:220]
	v_fma_f64 v[221:222], -v[215:216], v[219:220], 1.0
	v_fma_f64 v[219:220], v[219:220], v[221:222], v[219:220]
	v_div_scale_f64 v[221:222], vcc_lo, 1.0, v[213:214], 1.0
	v_mul_f64 v[223:224], v[221:222], v[219:220]
	v_fma_f64 v[215:216], -v[215:216], v[223:224], v[221:222]
	v_div_fmas_f64 v[215:216], v[215:216], v[219:220], v[223:224]
	v_div_fixup_f64 v[219:220], v[215:216], v[213:214], 1.0
                                        ; implicit-def: $vgpr213_vgpr214
	v_mul_f64 v[217:218], v[217:218], v[219:220]
	v_xor_b32_e32 v220, 0x80000000, v220
.LBB119_500:
	s_andn2_saveexec_b32 s1, s1
	s_cbranch_execz .LBB119_502
; %bb.501:
	v_div_scale_f64 v[217:218], null, v[213:214], v[213:214], v[215:216]
	v_div_scale_f64 v[223:224], vcc_lo, v[215:216], v[213:214], v[215:216]
	v_rcp_f64_e32 v[219:220], v[217:218]
	v_fma_f64 v[221:222], -v[217:218], v[219:220], 1.0
	v_fma_f64 v[219:220], v[219:220], v[221:222], v[219:220]
	v_fma_f64 v[221:222], -v[217:218], v[219:220], 1.0
	v_fma_f64 v[219:220], v[219:220], v[221:222], v[219:220]
	v_mul_f64 v[221:222], v[223:224], v[219:220]
	v_fma_f64 v[217:218], -v[217:218], v[221:222], v[223:224]
	v_div_fmas_f64 v[217:218], v[217:218], v[219:220], v[221:222]
	v_div_fixup_f64 v[219:220], v[217:218], v[213:214], v[215:216]
	v_fma_f64 v[213:214], v[215:216], v[219:220], v[213:214]
	v_div_scale_f64 v[215:216], null, v[213:214], v[213:214], 1.0
	v_rcp_f64_e32 v[217:218], v[215:216]
	v_fma_f64 v[221:222], -v[215:216], v[217:218], 1.0
	v_fma_f64 v[217:218], v[217:218], v[221:222], v[217:218]
	v_fma_f64 v[221:222], -v[215:216], v[217:218], 1.0
	v_fma_f64 v[217:218], v[217:218], v[221:222], v[217:218]
	v_div_scale_f64 v[221:222], vcc_lo, 1.0, v[213:214], 1.0
	v_mul_f64 v[223:224], v[221:222], v[217:218]
	v_fma_f64 v[215:216], -v[215:216], v[223:224], v[221:222]
	v_div_fmas_f64 v[215:216], v[215:216], v[217:218], v[223:224]
	v_div_fixup_f64 v[217:218], v[215:216], v[213:214], 1.0
	v_mul_f64 v[219:220], v[219:220], -v[217:218]
.LBB119_502:
	s_or_b32 exec_lo, exec_lo, s1
	ds_write2_b64 v255, v[217:218], v[219:220] offset1:1
.LBB119_503:
	s_or_b32 exec_lo, exec_lo, s2
	s_waitcnt lgkmcnt(0)
	s_barrier
	buffer_gl0_inv
	ds_read2_b64 v[225:228], v255 offset1:1
	s_mov_b32 s1, exec_lo
	v_cmpx_lt_u32_e32 55, v0
	s_cbranch_execz .LBB119_505
; %bb.504:
	s_waitcnt lgkmcnt(0)
	v_mul_f64 v[213:214], v[225:226], v[19:20]
	v_mul_f64 v[19:20], v[227:228], v[19:20]
	v_fma_f64 v[217:218], v[227:228], v[17:18], v[213:214]
	ds_read2_b64 v[213:216], v253 offset0:112 offset1:113
	v_fma_f64 v[17:18], v[225:226], v[17:18], -v[19:20]
	s_waitcnt lgkmcnt(0)
	v_mul_f64 v[19:20], v[215:216], v[217:218]
	v_fma_f64 v[19:20], v[213:214], v[17:18], -v[19:20]
	v_mul_f64 v[213:214], v[213:214], v[217:218]
	v_add_f64 v[13:14], v[13:14], -v[19:20]
	v_fma_f64 v[213:214], v[215:216], v[17:18], v[213:214]
	v_add_f64 v[15:16], v[15:16], -v[213:214]
	ds_read2_b64 v[213:216], v253 offset0:114 offset1:115
	s_waitcnt lgkmcnt(0)
	v_mul_f64 v[19:20], v[215:216], v[217:218]
	v_fma_f64 v[19:20], v[213:214], v[17:18], -v[19:20]
	v_mul_f64 v[213:214], v[213:214], v[217:218]
	v_add_f64 v[9:10], v[9:10], -v[19:20]
	v_fma_f64 v[213:214], v[215:216], v[17:18], v[213:214]
	v_add_f64 v[11:12], v[11:12], -v[213:214]
	ds_read2_b64 v[213:216], v253 offset0:116 offset1:117
	;; [unrolled: 8-line block ×3, first 2 shown]
	s_waitcnt lgkmcnt(0)
	v_mul_f64 v[19:20], v[215:216], v[217:218]
	v_fma_f64 v[19:20], v[213:214], v[17:18], -v[19:20]
	v_mul_f64 v[213:214], v[213:214], v[217:218]
	v_add_f64 v[1:2], v[1:2], -v[19:20]
	v_fma_f64 v[213:214], v[215:216], v[17:18], v[213:214]
	v_mov_b32_e32 v19, v217
	v_mov_b32_e32 v20, v218
	v_add_f64 v[3:4], v[3:4], -v[213:214]
.LBB119_505:
	s_or_b32 exec_lo, exec_lo, s1
	s_mov_b32 s2, exec_lo
	s_waitcnt lgkmcnt(0)
	s_barrier
	buffer_gl0_inv
	v_cmpx_eq_u32_e32 56, v0
	s_cbranch_execz .LBB119_512
; %bb.506:
	ds_write2_b64 v255, v[13:14], v[15:16] offset1:1
	ds_write2_b64 v253, v[9:10], v[11:12] offset0:114 offset1:115
	ds_write2_b64 v253, v[5:6], v[7:8] offset0:116 offset1:117
	;; [unrolled: 1-line block ×3, first 2 shown]
	ds_read2_b64 v[213:216], v255 offset1:1
	s_waitcnt lgkmcnt(0)
	v_cmp_neq_f64_e32 vcc_lo, 0, v[213:214]
	v_cmp_neq_f64_e64 s1, 0, v[215:216]
	s_or_b32 s1, vcc_lo, s1
	s_and_b32 exec_lo, exec_lo, s1
	s_cbranch_execz .LBB119_512
; %bb.507:
	v_cmp_ngt_f64_e64 s1, |v[213:214]|, |v[215:216]|
                                        ; implicit-def: $vgpr217_vgpr218
	s_and_saveexec_b32 s3, s1
	s_xor_b32 s1, exec_lo, s3
                                        ; implicit-def: $vgpr219_vgpr220
	s_cbranch_execz .LBB119_509
; %bb.508:
	v_div_scale_f64 v[217:218], null, v[215:216], v[215:216], v[213:214]
	v_div_scale_f64 v[223:224], vcc_lo, v[213:214], v[215:216], v[213:214]
	v_rcp_f64_e32 v[219:220], v[217:218]
	v_fma_f64 v[221:222], -v[217:218], v[219:220], 1.0
	v_fma_f64 v[219:220], v[219:220], v[221:222], v[219:220]
	v_fma_f64 v[221:222], -v[217:218], v[219:220], 1.0
	v_fma_f64 v[219:220], v[219:220], v[221:222], v[219:220]
	v_mul_f64 v[221:222], v[223:224], v[219:220]
	v_fma_f64 v[217:218], -v[217:218], v[221:222], v[223:224]
	v_div_fmas_f64 v[217:218], v[217:218], v[219:220], v[221:222]
	v_div_fixup_f64 v[217:218], v[217:218], v[215:216], v[213:214]
	v_fma_f64 v[213:214], v[213:214], v[217:218], v[215:216]
	v_div_scale_f64 v[215:216], null, v[213:214], v[213:214], 1.0
	v_rcp_f64_e32 v[219:220], v[215:216]
	v_fma_f64 v[221:222], -v[215:216], v[219:220], 1.0
	v_fma_f64 v[219:220], v[219:220], v[221:222], v[219:220]
	v_fma_f64 v[221:222], -v[215:216], v[219:220], 1.0
	v_fma_f64 v[219:220], v[219:220], v[221:222], v[219:220]
	v_div_scale_f64 v[221:222], vcc_lo, 1.0, v[213:214], 1.0
	v_mul_f64 v[223:224], v[221:222], v[219:220]
	v_fma_f64 v[215:216], -v[215:216], v[223:224], v[221:222]
	v_div_fmas_f64 v[215:216], v[215:216], v[219:220], v[223:224]
	v_div_fixup_f64 v[219:220], v[215:216], v[213:214], 1.0
                                        ; implicit-def: $vgpr213_vgpr214
	v_mul_f64 v[217:218], v[217:218], v[219:220]
	v_xor_b32_e32 v220, 0x80000000, v220
.LBB119_509:
	s_andn2_saveexec_b32 s1, s1
	s_cbranch_execz .LBB119_511
; %bb.510:
	v_div_scale_f64 v[217:218], null, v[213:214], v[213:214], v[215:216]
	v_div_scale_f64 v[223:224], vcc_lo, v[215:216], v[213:214], v[215:216]
	v_rcp_f64_e32 v[219:220], v[217:218]
	v_fma_f64 v[221:222], -v[217:218], v[219:220], 1.0
	v_fma_f64 v[219:220], v[219:220], v[221:222], v[219:220]
	v_fma_f64 v[221:222], -v[217:218], v[219:220], 1.0
	v_fma_f64 v[219:220], v[219:220], v[221:222], v[219:220]
	v_mul_f64 v[221:222], v[223:224], v[219:220]
	v_fma_f64 v[217:218], -v[217:218], v[221:222], v[223:224]
	v_div_fmas_f64 v[217:218], v[217:218], v[219:220], v[221:222]
	v_div_fixup_f64 v[219:220], v[217:218], v[213:214], v[215:216]
	v_fma_f64 v[213:214], v[215:216], v[219:220], v[213:214]
	v_div_scale_f64 v[215:216], null, v[213:214], v[213:214], 1.0
	v_rcp_f64_e32 v[217:218], v[215:216]
	v_fma_f64 v[221:222], -v[215:216], v[217:218], 1.0
	v_fma_f64 v[217:218], v[217:218], v[221:222], v[217:218]
	v_fma_f64 v[221:222], -v[215:216], v[217:218], 1.0
	v_fma_f64 v[217:218], v[217:218], v[221:222], v[217:218]
	v_div_scale_f64 v[221:222], vcc_lo, 1.0, v[213:214], 1.0
	v_mul_f64 v[223:224], v[221:222], v[217:218]
	v_fma_f64 v[215:216], -v[215:216], v[223:224], v[221:222]
	v_div_fmas_f64 v[215:216], v[215:216], v[217:218], v[223:224]
	v_div_fixup_f64 v[217:218], v[215:216], v[213:214], 1.0
	v_mul_f64 v[219:220], v[219:220], -v[217:218]
.LBB119_511:
	s_or_b32 exec_lo, exec_lo, s1
	ds_write2_b64 v255, v[217:218], v[219:220] offset1:1
.LBB119_512:
	s_or_b32 exec_lo, exec_lo, s2
	s_waitcnt lgkmcnt(0)
	s_barrier
	buffer_gl0_inv
	ds_read2_b64 v[221:224], v255 offset1:1
	s_mov_b32 s1, exec_lo
	v_cmpx_lt_u32_e32 56, v0
	s_cbranch_execz .LBB119_514
; %bb.513:
	s_waitcnt lgkmcnt(0)
	v_mul_f64 v[213:214], v[221:222], v[15:16]
	v_mul_f64 v[15:16], v[223:224], v[15:16]
	v_fma_f64 v[217:218], v[223:224], v[13:14], v[213:214]
	ds_read2_b64 v[213:216], v253 offset0:114 offset1:115
	v_fma_f64 v[13:14], v[221:222], v[13:14], -v[15:16]
	s_waitcnt lgkmcnt(0)
	v_mul_f64 v[15:16], v[215:216], v[217:218]
	v_fma_f64 v[15:16], v[213:214], v[13:14], -v[15:16]
	v_mul_f64 v[213:214], v[213:214], v[217:218]
	v_add_f64 v[9:10], v[9:10], -v[15:16]
	v_fma_f64 v[213:214], v[215:216], v[13:14], v[213:214]
	v_add_f64 v[11:12], v[11:12], -v[213:214]
	ds_read2_b64 v[213:216], v253 offset0:116 offset1:117
	s_waitcnt lgkmcnt(0)
	v_mul_f64 v[15:16], v[215:216], v[217:218]
	v_fma_f64 v[15:16], v[213:214], v[13:14], -v[15:16]
	v_mul_f64 v[213:214], v[213:214], v[217:218]
	v_add_f64 v[5:6], v[5:6], -v[15:16]
	v_fma_f64 v[213:214], v[215:216], v[13:14], v[213:214]
	v_add_f64 v[7:8], v[7:8], -v[213:214]
	ds_read2_b64 v[213:216], v253 offset0:118 offset1:119
	s_waitcnt lgkmcnt(0)
	v_mul_f64 v[15:16], v[215:216], v[217:218]
	v_fma_f64 v[15:16], v[213:214], v[13:14], -v[15:16]
	v_mul_f64 v[213:214], v[213:214], v[217:218]
	v_add_f64 v[1:2], v[1:2], -v[15:16]
	v_fma_f64 v[213:214], v[215:216], v[13:14], v[213:214]
	v_mov_b32_e32 v15, v217
	v_mov_b32_e32 v16, v218
	v_add_f64 v[3:4], v[3:4], -v[213:214]
.LBB119_514:
	s_or_b32 exec_lo, exec_lo, s1
	s_mov_b32 s2, exec_lo
	s_waitcnt lgkmcnt(0)
	s_barrier
	buffer_gl0_inv
	v_cmpx_eq_u32_e32 57, v0
	s_cbranch_execz .LBB119_521
; %bb.515:
	ds_write2_b64 v255, v[9:10], v[11:12] offset1:1
	ds_write2_b64 v253, v[5:6], v[7:8] offset0:116 offset1:117
	ds_write2_b64 v253, v[1:2], v[3:4] offset0:118 offset1:119
	ds_read2_b64 v[213:216], v255 offset1:1
	s_waitcnt lgkmcnt(0)
	v_cmp_neq_f64_e32 vcc_lo, 0, v[213:214]
	v_cmp_neq_f64_e64 s1, 0, v[215:216]
	s_or_b32 s1, vcc_lo, s1
	s_and_b32 exec_lo, exec_lo, s1
	s_cbranch_execz .LBB119_521
; %bb.516:
	v_cmp_ngt_f64_e64 s1, |v[213:214]|, |v[215:216]|
                                        ; implicit-def: $vgpr217_vgpr218
	s_and_saveexec_b32 s3, s1
	s_xor_b32 s1, exec_lo, s3
                                        ; implicit-def: $vgpr219_vgpr220
	s_cbranch_execz .LBB119_518
; %bb.517:
	v_div_scale_f64 v[217:218], null, v[215:216], v[215:216], v[213:214]
	v_div_scale_f64 v[247:248], vcc_lo, v[213:214], v[215:216], v[213:214]
	v_rcp_f64_e32 v[219:220], v[217:218]
	v_fma_f64 v[245:246], -v[217:218], v[219:220], 1.0
	v_fma_f64 v[219:220], v[219:220], v[245:246], v[219:220]
	v_fma_f64 v[245:246], -v[217:218], v[219:220], 1.0
	v_fma_f64 v[219:220], v[219:220], v[245:246], v[219:220]
	v_mul_f64 v[245:246], v[247:248], v[219:220]
	v_fma_f64 v[217:218], -v[217:218], v[245:246], v[247:248]
	v_div_fmas_f64 v[217:218], v[217:218], v[219:220], v[245:246]
	v_div_fixup_f64 v[217:218], v[217:218], v[215:216], v[213:214]
	v_fma_f64 v[213:214], v[213:214], v[217:218], v[215:216]
	v_div_scale_f64 v[215:216], null, v[213:214], v[213:214], 1.0
	v_rcp_f64_e32 v[219:220], v[215:216]
	v_fma_f64 v[245:246], -v[215:216], v[219:220], 1.0
	v_fma_f64 v[219:220], v[219:220], v[245:246], v[219:220]
	v_fma_f64 v[245:246], -v[215:216], v[219:220], 1.0
	v_fma_f64 v[219:220], v[219:220], v[245:246], v[219:220]
	v_div_scale_f64 v[245:246], vcc_lo, 1.0, v[213:214], 1.0
	v_mul_f64 v[247:248], v[245:246], v[219:220]
	v_fma_f64 v[215:216], -v[215:216], v[247:248], v[245:246]
	v_div_fmas_f64 v[215:216], v[215:216], v[219:220], v[247:248]
	v_div_fixup_f64 v[219:220], v[215:216], v[213:214], 1.0
                                        ; implicit-def: $vgpr213_vgpr214
	v_mul_f64 v[217:218], v[217:218], v[219:220]
	v_xor_b32_e32 v220, 0x80000000, v220
.LBB119_518:
	s_andn2_saveexec_b32 s1, s1
	s_cbranch_execz .LBB119_520
; %bb.519:
	v_div_scale_f64 v[217:218], null, v[213:214], v[213:214], v[215:216]
	v_div_scale_f64 v[247:248], vcc_lo, v[215:216], v[213:214], v[215:216]
	v_rcp_f64_e32 v[219:220], v[217:218]
	v_fma_f64 v[245:246], -v[217:218], v[219:220], 1.0
	v_fma_f64 v[219:220], v[219:220], v[245:246], v[219:220]
	v_fma_f64 v[245:246], -v[217:218], v[219:220], 1.0
	v_fma_f64 v[219:220], v[219:220], v[245:246], v[219:220]
	v_mul_f64 v[245:246], v[247:248], v[219:220]
	v_fma_f64 v[217:218], -v[217:218], v[245:246], v[247:248]
	v_div_fmas_f64 v[217:218], v[217:218], v[219:220], v[245:246]
	v_div_fixup_f64 v[219:220], v[217:218], v[213:214], v[215:216]
	v_fma_f64 v[213:214], v[215:216], v[219:220], v[213:214]
	v_div_scale_f64 v[215:216], null, v[213:214], v[213:214], 1.0
	v_rcp_f64_e32 v[217:218], v[215:216]
	v_fma_f64 v[245:246], -v[215:216], v[217:218], 1.0
	v_fma_f64 v[217:218], v[217:218], v[245:246], v[217:218]
	v_fma_f64 v[245:246], -v[215:216], v[217:218], 1.0
	v_fma_f64 v[217:218], v[217:218], v[245:246], v[217:218]
	v_div_scale_f64 v[245:246], vcc_lo, 1.0, v[213:214], 1.0
	v_mul_f64 v[247:248], v[245:246], v[217:218]
	v_fma_f64 v[215:216], -v[215:216], v[247:248], v[245:246]
	v_div_fmas_f64 v[215:216], v[215:216], v[217:218], v[247:248]
	v_div_fixup_f64 v[217:218], v[215:216], v[213:214], 1.0
	v_mul_f64 v[219:220], v[219:220], -v[217:218]
.LBB119_520:
	s_or_b32 exec_lo, exec_lo, s1
	ds_write2_b64 v255, v[217:218], v[219:220] offset1:1
.LBB119_521:
	s_or_b32 exec_lo, exec_lo, s2
	s_waitcnt lgkmcnt(0)
	s_barrier
	buffer_gl0_inv
	ds_read2_b64 v[245:248], v255 offset1:1
	s_mov_b32 s1, exec_lo
	v_cmpx_lt_u32_e32 57, v0
	s_cbranch_execz .LBB119_523
; %bb.522:
	s_waitcnt lgkmcnt(0)
	v_mul_f64 v[213:214], v[245:246], v[11:12]
	v_mul_f64 v[11:12], v[247:248], v[11:12]
	v_fma_f64 v[217:218], v[247:248], v[9:10], v[213:214]
	ds_read2_b64 v[213:216], v253 offset0:116 offset1:117
	v_fma_f64 v[9:10], v[245:246], v[9:10], -v[11:12]
	s_waitcnt lgkmcnt(0)
	v_mul_f64 v[11:12], v[215:216], v[217:218]
	v_fma_f64 v[11:12], v[213:214], v[9:10], -v[11:12]
	v_mul_f64 v[213:214], v[213:214], v[217:218]
	v_add_f64 v[5:6], v[5:6], -v[11:12]
	v_fma_f64 v[213:214], v[215:216], v[9:10], v[213:214]
	v_add_f64 v[7:8], v[7:8], -v[213:214]
	ds_read2_b64 v[213:216], v253 offset0:118 offset1:119
	s_waitcnt lgkmcnt(0)
	v_mul_f64 v[11:12], v[215:216], v[217:218]
	v_fma_f64 v[11:12], v[213:214], v[9:10], -v[11:12]
	v_mul_f64 v[213:214], v[213:214], v[217:218]
	v_add_f64 v[1:2], v[1:2], -v[11:12]
	v_fma_f64 v[213:214], v[215:216], v[9:10], v[213:214]
	v_mov_b32_e32 v11, v217
	v_mov_b32_e32 v12, v218
	v_add_f64 v[3:4], v[3:4], -v[213:214]
.LBB119_523:
	s_or_b32 exec_lo, exec_lo, s1
	s_mov_b32 s2, exec_lo
	s_waitcnt lgkmcnt(0)
	s_barrier
	buffer_gl0_inv
	v_cmpx_eq_u32_e32 58, v0
	s_cbranch_execz .LBB119_530
; %bb.524:
	ds_write2_b64 v255, v[5:6], v[7:8] offset1:1
	ds_write2_b64 v253, v[1:2], v[3:4] offset0:118 offset1:119
	ds_read2_b64 v[213:216], v255 offset1:1
	s_waitcnt lgkmcnt(0)
	v_cmp_neq_f64_e32 vcc_lo, 0, v[213:214]
	v_cmp_neq_f64_e64 s1, 0, v[215:216]
	s_or_b32 s1, vcc_lo, s1
	s_and_b32 exec_lo, exec_lo, s1
	s_cbranch_execz .LBB119_530
; %bb.525:
	v_cmp_ngt_f64_e64 s1, |v[213:214]|, |v[215:216]|
                                        ; implicit-def: $vgpr217_vgpr218
	s_and_saveexec_b32 s3, s1
	s_xor_b32 s1, exec_lo, s3
                                        ; implicit-def: $vgpr219_vgpr220
	s_cbranch_execz .LBB119_527
; %bb.526:
	v_div_scale_f64 v[217:218], null, v[215:216], v[215:216], v[213:214]
	v_mov_b32_e32 v196, v192
	v_mov_b32_e32 v195, v191
	;; [unrolled: 1-line block ×8, first 2 shown]
	v_rcp_f64_e32 v[219:220], v[217:218]
	v_fma_f64 v[209:210], -v[217:218], v[219:220], 1.0
	v_fma_f64 v[209:210], v[219:220], v[209:210], v[219:220]
	v_div_scale_f64 v[219:220], vcc_lo, v[213:214], v[215:216], v[213:214]
	v_fma_f64 v[211:212], -v[217:218], v[209:210], 1.0
	v_fma_f64 v[209:210], v[209:210], v[211:212], v[209:210]
	v_mul_f64 v[211:212], v[219:220], v[209:210]
	v_fma_f64 v[217:218], -v[217:218], v[211:212], v[219:220]
	v_div_fmas_f64 v[209:210], v[217:218], v[209:210], v[211:212]
	v_div_fixup_f64 v[209:210], v[209:210], v[215:216], v[213:214]
	v_fma_f64 v[211:212], v[213:214], v[209:210], v[215:216]
	v_div_scale_f64 v[213:214], null, v[211:212], v[211:212], 1.0
	v_rcp_f64_e32 v[215:216], v[213:214]
	v_fma_f64 v[217:218], -v[213:214], v[215:216], 1.0
	v_fma_f64 v[215:216], v[215:216], v[217:218], v[215:216]
	v_fma_f64 v[217:218], -v[213:214], v[215:216], 1.0
	v_fma_f64 v[215:216], v[215:216], v[217:218], v[215:216]
	v_div_scale_f64 v[217:218], vcc_lo, 1.0, v[211:212], 1.0
	v_mul_f64 v[219:220], v[217:218], v[215:216]
	v_fma_f64 v[213:214], -v[213:214], v[219:220], v[217:218]
	v_div_fmas_f64 v[213:214], v[213:214], v[215:216], v[219:220]
	v_div_fixup_f64 v[219:220], v[213:214], v[211:212], 1.0
                                        ; implicit-def: $vgpr213_vgpr214
	v_mul_f64 v[217:218], v[209:210], v[219:220]
	v_mov_b32_e32 v212, v192
	v_mov_b32_e32 v211, v191
	;; [unrolled: 1-line block ×8, first 2 shown]
	v_xor_b32_e32 v220, 0x80000000, v220
.LBB119_527:
	s_andn2_saveexec_b32 s1, s1
	s_cbranch_execz .LBB119_529
; %bb.528:
	v_mov_b32_e32 v196, v192
	v_mov_b32_e32 v195, v191
	;; [unrolled: 1-line block ×8, first 2 shown]
	v_div_scale_f64 v[209:210], null, v[213:214], v[213:214], v[215:216]
	v_div_scale_f64 v[219:220], vcc_lo, v[215:216], v[213:214], v[215:216]
	v_rcp_f64_e32 v[211:212], v[209:210]
	v_fma_f64 v[217:218], -v[209:210], v[211:212], 1.0
	v_fma_f64 v[211:212], v[211:212], v[217:218], v[211:212]
	v_fma_f64 v[217:218], -v[209:210], v[211:212], 1.0
	v_fma_f64 v[211:212], v[211:212], v[217:218], v[211:212]
	v_mul_f64 v[217:218], v[219:220], v[211:212]
	v_fma_f64 v[209:210], -v[209:210], v[217:218], v[219:220]
	v_div_fmas_f64 v[209:210], v[209:210], v[211:212], v[217:218]
	v_div_fixup_f64 v[209:210], v[209:210], v[213:214], v[215:216]
	v_fma_f64 v[211:212], v[215:216], v[209:210], v[213:214]
	v_div_scale_f64 v[213:214], null, v[211:212], v[211:212], 1.0
	v_rcp_f64_e32 v[215:216], v[213:214]
	v_fma_f64 v[217:218], -v[213:214], v[215:216], 1.0
	v_fma_f64 v[215:216], v[215:216], v[217:218], v[215:216]
	v_fma_f64 v[217:218], -v[213:214], v[215:216], 1.0
	v_fma_f64 v[215:216], v[215:216], v[217:218], v[215:216]
	v_div_scale_f64 v[217:218], vcc_lo, 1.0, v[211:212], 1.0
	v_mul_f64 v[219:220], v[217:218], v[215:216]
	v_fma_f64 v[213:214], -v[213:214], v[219:220], v[217:218]
	v_div_fmas_f64 v[213:214], v[213:214], v[215:216], v[219:220]
	v_div_fixup_f64 v[217:218], v[213:214], v[211:212], 1.0
	v_mul_f64 v[219:220], v[209:210], -v[217:218]
	v_mov_b32_e32 v212, v192
	v_mov_b32_e32 v211, v191
	;; [unrolled: 1-line block ×8, first 2 shown]
.LBB119_529:
	s_or_b32 exec_lo, exec_lo, s1
	ds_write2_b64 v255, v[217:218], v[219:220] offset1:1
.LBB119_530:
	s_or_b32 exec_lo, exec_lo, s2
	s_waitcnt lgkmcnt(0)
	s_barrier
	buffer_gl0_inv
	ds_read2_b64 v[217:220], v255 offset1:1
	s_mov_b32 s1, exec_lo
	v_cmpx_lt_u32_e32 58, v0
	s_cbranch_execz .LBB119_532
; %bb.531:
	v_mov_b32_e32 v193, v209
	v_mov_b32_e32 v194, v210
	;; [unrolled: 1-line block ×4, first 2 shown]
	s_waitcnt lgkmcnt(0)
	v_mul_f64 v[209:210], v[217:218], v[7:8]
	v_mul_f64 v[7:8], v[219:220], v[7:8]
	ds_read2_b64 v[213:216], v253 offset0:118 offset1:119
	v_fma_f64 v[209:210], v[219:220], v[5:6], v[209:210]
	v_fma_f64 v[5:6], v[217:218], v[5:6], -v[7:8]
	s_waitcnt lgkmcnt(0)
	v_mul_f64 v[7:8], v[215:216], v[209:210]
	v_mul_f64 v[211:212], v[213:214], v[209:210]
	v_fma_f64 v[7:8], v[213:214], v[5:6], -v[7:8]
	v_fma_f64 v[211:212], v[215:216], v[5:6], v[211:212]
	v_add_f64 v[1:2], v[1:2], -v[7:8]
	v_add_f64 v[3:4], v[3:4], -v[211:212]
	v_mov_b32_e32 v7, v209
	v_mov_b32_e32 v8, v210
	;; [unrolled: 1-line block ×6, first 2 shown]
.LBB119_532:
	s_or_b32 exec_lo, exec_lo, s1
	s_mov_b32 s2, exec_lo
	s_waitcnt lgkmcnt(0)
	s_barrier
	buffer_gl0_inv
	v_cmpx_eq_u32_e32 59, v0
	s_cbranch_execz .LBB119_539
; %bb.533:
	v_cmp_neq_f64_e32 vcc_lo, 0, v[1:2]
	v_cmp_neq_f64_e64 s1, 0, v[3:4]
	ds_write2_b64 v255, v[1:2], v[3:4] offset1:1
	s_or_b32 s1, vcc_lo, s1
	s_and_b32 exec_lo, exec_lo, s1
	s_cbranch_execz .LBB119_539
; %bb.534:
	v_cmp_ngt_f64_e64 s1, |v[1:2]|, |v[3:4]|
                                        ; implicit-def: $vgpr213_vgpr214
	s_and_saveexec_b32 s3, s1
	s_xor_b32 s1, exec_lo, s3
                                        ; implicit-def: $vgpr215_vgpr216
	s_cbranch_execz .LBB119_536
; %bb.535:
	v_mov_b32_e32 v236, v52
	v_mov_b32_e32 v235, v51
	;; [unrolled: 1-line block ×160, first 2 shown]
	v_div_scale_f64 v[209:210], null, v[3:4], v[3:4], v[1:2]
	v_div_scale_f64 v[215:216], vcc_lo, v[1:2], v[3:4], v[1:2]
	v_mov_b32_e32 v193, v199
	v_mov_b32_e32 v194, v200
	;; [unrolled: 1-line block ×10, first 2 shown]
	v_rcp_f64_e32 v[211:212], v[209:210]
	v_fma_f64 v[213:214], -v[209:210], v[211:212], 1.0
	v_fma_f64 v[211:212], v[211:212], v[213:214], v[211:212]
	v_fma_f64 v[213:214], -v[209:210], v[211:212], 1.0
	v_fma_f64 v[211:212], v[211:212], v[213:214], v[211:212]
	v_mul_f64 v[213:214], v[215:216], v[211:212]
	v_fma_f64 v[209:210], -v[209:210], v[213:214], v[215:216]
	v_div_fmas_f64 v[209:210], v[209:210], v[211:212], v[213:214]
	v_div_fixup_f64 v[209:210], v[209:210], v[3:4], v[1:2]
	v_fma_f64 v[211:212], v[1:2], v[209:210], v[3:4]
	v_div_scale_f64 v[213:214], null, v[211:212], v[211:212], 1.0
	v_rcp_f64_e32 v[215:216], v[213:214]
	v_fma_f64 v[253:254], -v[213:214], v[215:216], 1.0
	v_fma_f64 v[215:216], v[215:216], v[253:254], v[215:216]
	v_fma_f64 v[253:254], -v[213:214], v[215:216], 1.0
	v_fma_f64 v[215:216], v[215:216], v[253:254], v[215:216]
	v_div_scale_f64 v[253:254], vcc_lo, 1.0, v[211:212], 1.0
	v_mul_f64 v[205:206], v[253:254], v[215:216]
	v_fma_f64 v[207:208], -v[213:214], v[205:206], v[253:254]
	v_div_fmas_f64 v[205:206], v[207:208], v[215:216], v[205:206]
	v_mov_b32_e32 v208, v202
	v_mov_b32_e32 v207, v201
	;; [unrolled: 1-line block ×10, first 2 shown]
	v_div_fixup_f64 v[215:216], v[205:206], v[211:212], 1.0
	v_mul_f64 v[213:214], v[209:210], v[215:216]
	v_mov_b32_e32 v212, v192
	v_mov_b32_e32 v211, v191
	v_mov_b32_e32 v210, v190
	v_mov_b32_e32 v209, v189
	v_mov_b32_e32 v189, v249
	v_mov_b32_e32 v190, v250
	v_mov_b32_e32 v191, v251
	v_mov_b32_e32 v192, v252
	v_mov_b32_e32 v252, v188
	v_mov_b32_e32 v251, v187
	v_mov_b32_e32 v250, v186
	v_mov_b32_e32 v249, v185
	v_mov_b32_e32 v188, v184
	v_mov_b32_e32 v187, v183
	v_mov_b32_e32 v186, v182
	v_mov_b32_e32 v185, v181
	v_mov_b32_e32 v184, v180
	v_mov_b32_e32 v183, v179
	v_mov_b32_e32 v182, v178
	v_mov_b32_e32 v181, v177
	v_mov_b32_e32 v180, v176
	v_mov_b32_e32 v179, v175
	v_mov_b32_e32 v178, v174
	v_mov_b32_e32 v177, v173
	v_mov_b32_e32 v176, v172
	v_mov_b32_e32 v175, v171
	v_mov_b32_e32 v174, v170
	v_mov_b32_e32 v173, v169
	v_mov_b32_e32 v172, v168
	v_mov_b32_e32 v171, v167
	v_mov_b32_e32 v170, v166
	v_mov_b32_e32 v169, v165
	v_mov_b32_e32 v168, v164
	v_mov_b32_e32 v167, v163
	v_mov_b32_e32 v166, v162
	v_mov_b32_e32 v165, v161
	v_mov_b32_e32 v164, v160
	v_mov_b32_e32 v163, v159
	v_mov_b32_e32 v162, v158
	v_mov_b32_e32 v161, v157
	v_mov_b32_e32 v160, v156
	v_mov_b32_e32 v159, v155
	v_mov_b32_e32 v158, v154
	v_mov_b32_e32 v157, v153
	v_mov_b32_e32 v153, v241
	v_mov_b32_e32 v154, v242
	v_mov_b32_e32 v155, v243
	v_mov_b32_e32 v156, v244
	v_mov_b32_e32 v244, v152
	v_mov_b32_e32 v243, v151
	v_mov_b32_e32 v242, v150
	v_mov_b32_e32 v241, v149
	v_mov_b32_e32 v152, v148
	v_mov_b32_e32 v151, v147
	v_mov_b32_e32 v150, v146
	v_mov_b32_e32 v149, v145
	v_mov_b32_e32 v148, v144
	v_mov_b32_e32 v147, v143
	v_mov_b32_e32 v146, v142
	v_mov_b32_e32 v145, v141
	v_mov_b32_e32 v144, v140
	v_mov_b32_e32 v143, v139
	v_mov_b32_e32 v142, v138
	v_mov_b32_e32 v141, v137
	v_mov_b32_e32 v140, v136
	v_mov_b32_e32 v139, v135
	v_mov_b32_e32 v138, v134
	v_mov_b32_e32 v137, v133
	v_mov_b32_e32 v136, v132
	v_mov_b32_e32 v135, v131
	v_mov_b32_e32 v134, v130
	v_mov_b32_e32 v133, v129
	v_mov_b32_e32 v132, v128
	v_mov_b32_e32 v131, v127
	v_mov_b32_e32 v130, v126
	v_mov_b32_e32 v129, v125
	v_mov_b32_e32 v128, v124
	v_mov_b32_e32 v127, v123
	v_mov_b32_e32 v126, v122
	v_mov_b32_e32 v125, v121
	v_mov_b32_e32 v124, v120
	v_mov_b32_e32 v123, v119
	v_mov_b32_e32 v122, v118
	v_mov_b32_e32 v121, v117
	v_mov_b32_e32 v120, v116
	v_mov_b32_e32 v119, v115
	v_mov_b32_e32 v118, v114
	v_mov_b32_e32 v117, v113
	v_mov_b32_e32 v116, v112
	v_mov_b32_e32 v115, v111
	v_mov_b32_e32 v114, v110
	v_mov_b32_e32 v113, v109
	v_mov_b32_e32 v109, v237
	v_mov_b32_e32 v110, v238
	v_mov_b32_e32 v111, v239
	v_mov_b32_e32 v112, v240
	v_mov_b32_e32 v240, v108
	v_mov_b32_e32 v239, v107
	v_mov_b32_e32 v238, v106
	v_mov_b32_e32 v237, v105
	v_mov_b32_e32 v108, v104
	v_mov_b32_e32 v107, v103
	v_mov_b32_e32 v106, v102
	v_mov_b32_e32 v105, v101
	v_mov_b32_e32 v104, v100
	v_mov_b32_e32 v103, v99
	v_mov_b32_e32 v102, v98
	v_mov_b32_e32 v101, v97
	v_mov_b32_e32 v100, v96
	v_mov_b32_e32 v99, v95
	v_mov_b32_e32 v98, v94
	v_mov_b32_e32 v97, v93
	v_mov_b32_e32 v96, v92
	v_mov_b32_e32 v95, v91
	v_mov_b32_e32 v94, v90
	v_mov_b32_e32 v93, v89
	v_mov_b32_e32 v92, v88
	v_mov_b32_e32 v91, v87
	v_mov_b32_e32 v90, v86
	v_mov_b32_e32 v89, v85
	v_mov_b32_e32 v88, v84
	v_mov_b32_e32 v87, v83
	v_mov_b32_e32 v86, v82
	v_mov_b32_e32 v85, v81
	v_mov_b32_e32 v84, v80
	v_mov_b32_e32 v83, v79
	v_mov_b32_e32 v82, v78
	v_mov_b32_e32 v81, v77
	v_mov_b32_e32 v80, v76
	v_mov_b32_e32 v79, v75
	v_mov_b32_e32 v78, v74
	v_mov_b32_e32 v77, v73
	v_mov_b32_e32 v76, v72
	v_mov_b32_e32 v75, v71
	v_mov_b32_e32 v74, v70
	v_mov_b32_e32 v73, v69
	v_mov_b32_e32 v72, v68
	v_mov_b32_e32 v71, v67
	v_mov_b32_e32 v70, v66
	v_mov_b32_e32 v69, v65
	v_mov_b32_e32 v68, v64
	v_mov_b32_e32 v67, v63
	v_mov_b32_e32 v66, v62
	v_mov_b32_e32 v65, v61
	v_mov_b32_e32 v64, v60
	v_mov_b32_e32 v63, v59
	v_mov_b32_e32 v62, v58
	v_mov_b32_e32 v61, v57
	v_mov_b32_e32 v60, v56
	v_mov_b32_e32 v59, v55
	v_mov_b32_e32 v58, v54
	v_mov_b32_e32 v57, v53
	v_mov_b32_e32 v56, v52
	v_mov_b32_e32 v55, v51
	v_mov_b32_e32 v54, v50
	v_mov_b32_e32 v53, v49
	v_mov_b32_e32 v49, v233
	v_mov_b32_e32 v50, v234
	v_mov_b32_e32 v51, v235
	v_mov_b32_e32 v52, v236
	v_xor_b32_e32 v216, 0x80000000, v216
.LBB119_536:
	s_andn2_saveexec_b32 s1, s1
	s_cbranch_execz .LBB119_538
; %bb.537:
	v_div_scale_f64 v[205:206], null, v[1:2], v[1:2], v[3:4]
	v_mov_b32_e32 v254, v208
	v_mov_b32_e32 v253, v207
	;; [unrolled: 1-line block ×10, first 2 shown]
	v_div_scale_f64 v[211:212], vcc_lo, v[3:4], v[1:2], v[3:4]
	v_rcp_f64_e32 v[207:208], v[205:206]
	v_fma_f64 v[209:210], -v[205:206], v[207:208], 1.0
	v_fma_f64 v[207:208], v[207:208], v[209:210], v[207:208]
	v_fma_f64 v[209:210], -v[205:206], v[207:208], 1.0
	v_fma_f64 v[207:208], v[207:208], v[209:210], v[207:208]
	v_mul_f64 v[209:210], v[211:212], v[207:208]
	v_fma_f64 v[205:206], -v[205:206], v[209:210], v[211:212]
	v_div_fmas_f64 v[205:206], v[205:206], v[207:208], v[209:210]
	v_div_fixup_f64 v[205:206], v[205:206], v[1:2], v[3:4]
	v_fma_f64 v[207:208], v[3:4], v[205:206], v[1:2]
	v_div_scale_f64 v[209:210], null, v[207:208], v[207:208], 1.0
	v_rcp_f64_e32 v[211:212], v[209:210]
	v_fma_f64 v[213:214], -v[209:210], v[211:212], 1.0
	v_fma_f64 v[211:212], v[211:212], v[213:214], v[211:212]
	v_fma_f64 v[213:214], -v[209:210], v[211:212], 1.0
	v_fma_f64 v[211:212], v[211:212], v[213:214], v[211:212]
	v_div_scale_f64 v[213:214], vcc_lo, 1.0, v[207:208], 1.0
	v_mul_f64 v[215:216], v[213:214], v[211:212]
	v_fma_f64 v[209:210], -v[209:210], v[215:216], v[213:214]
	v_div_fmas_f64 v[209:210], v[209:210], v[211:212], v[215:216]
	v_div_fixup_f64 v[213:214], v[209:210], v[207:208], 1.0
	v_mov_b32_e32 v212, v192
	v_mov_b32_e32 v211, v191
	;; [unrolled: 1-line block ×10, first 2 shown]
	v_mul_f64 v[215:216], v[205:206], -v[213:214]
.LBB119_538:
	s_or_b32 exec_lo, exec_lo, s1
	ds_write2_b64 v255, v[213:214], v[215:216] offset1:1
.LBB119_539:
	s_or_b32 exec_lo, exec_lo, s2
	s_waitcnt lgkmcnt(0)
	s_barrier
	buffer_gl0_inv
	ds_read2_b64 v[213:216], v255 offset1:1
	s_mov_b32 s1, exec_lo
	v_cmpx_lt_u32_e32 59, v0
	s_cbranch_execz .LBB119_541
; %bb.540:
	s_waitcnt lgkmcnt(0)
	v_mul_f64 v[205:206], v[215:216], v[3:4]
	v_mul_f64 v[3:4], v[213:214], v[3:4]
	v_fma_f64 v[205:206], v[213:214], v[1:2], -v[205:206]
	v_fma_f64 v[3:4], v[215:216], v[1:2], v[3:4]
	v_mov_b32_e32 v1, v205
	v_mov_b32_e32 v2, v206
.LBB119_541:
	s_or_b32 exec_lo, exec_lo, s1
	v_mov_b32_e32 v236, v48
	v_mov_b32_e32 v235, v47
	;; [unrolled: 1-line block ×4, first 2 shown]
	s_waitcnt lgkmcnt(0)
	s_barrier
	buffer_gl0_inv
	s_and_saveexec_b32 s7, s0
	s_cbranch_execz .LBB119_544
; %bb.542:
	s_clause 0x3
	buffer_load_dword v45, off, s[16:19], 0 offset:592
	buffer_load_dword v46, off, s[16:19], 0 offset:596
	;; [unrolled: 1-line block ×4, first 2 shown]
	v_lshlrev_b64 v[205:206], 2, v[199:200]
	s_waitcnt vmcnt(2)
	v_cmp_eq_f64_e32 vcc_lo, 0, v[45:46]
	s_waitcnt vmcnt(0)
	v_cmp_eq_f64_e64 s0, 0, v[47:48]
	s_clause 0x3
	buffer_load_dword v45, off, s[16:19], 0 offset:608
	buffer_load_dword v46, off, s[16:19], 0 offset:612
	;; [unrolled: 1-line block ×4, first 2 shown]
	s_and_b32 s0, vcc_lo, s0
	v_cndmask_b32_e64 v0, 0, 1, s0
	s_waitcnt vmcnt(2)
	v_cmp_neq_f64_e64 s1, 0, v[45:46]
	s_waitcnt vmcnt(0)
	v_cmp_neq_f64_e64 s2, 0, v[47:48]
	s_clause 0x3
	buffer_load_dword v45, off, s[16:19], 0 offset:624
	buffer_load_dword v46, off, s[16:19], 0 offset:628
	;; [unrolled: 1-line block ×4, first 2 shown]
	s_or_b32 s1, s1, s2
	s_or_b32 s0, s1, s0
	v_cndmask_b32_e64 v0, 2, v0, s0
	v_cmp_eq_u32_e64 s0, 0, v0
	s_waitcnt vmcnt(2)
	v_cmp_eq_f64_e64 s3, 0, v[45:46]
	s_waitcnt vmcnt(0)
	v_cmp_eq_f64_e64 s4, 0, v[47:48]
	s_clause 0x3
	buffer_load_dword v45, off, s[16:19], 0 offset:640
	buffer_load_dword v46, off, s[16:19], 0 offset:644
	buffer_load_dword v47, off, s[16:19], 0 offset:648
	buffer_load_dword v48, off, s[16:19], 0 offset:652
	s_and_b32 s3, s3, s4
	s_and_b32 s0, s3, s0
	v_cndmask_b32_e64 v0, v0, 3, s0
	v_cmp_eq_u32_e64 s0, 0, v0
	s_waitcnt vmcnt(2)
	v_cmp_eq_f64_e64 s5, 0, v[45:46]
	s_waitcnt vmcnt(0)
	v_cmp_eq_f64_e32 vcc_lo, 0, v[47:48]
	s_clause 0x3
	buffer_load_dword v45, off, s[16:19], 0 offset:656
	buffer_load_dword v46, off, s[16:19], 0 offset:660
	;; [unrolled: 1-line block ×4, first 2 shown]
	s_and_b32 s5, s5, vcc_lo
	s_and_b32 s0, s5, s0
	v_cndmask_b32_e64 v0, v0, 4, s0
	v_cmp_eq_u32_e32 vcc_lo, 0, v0
	s_waitcnt vmcnt(2)
	v_cmp_eq_f64_e64 s1, 0, v[45:46]
	s_waitcnt vmcnt(0)
	v_cmp_eq_f64_e64 s2, 0, v[47:48]
	s_clause 0x3
	buffer_load_dword v45, off, s[16:19], 0 offset:672
	buffer_load_dword v46, off, s[16:19], 0 offset:676
	buffer_load_dword v47, off, s[16:19], 0 offset:680
	buffer_load_dword v48, off, s[16:19], 0 offset:684
	s_and_b32 s1, s1, s2
	s_and_b32 s1, s1, vcc_lo
	v_cndmask_b32_e64 v0, v0, 5, s1
	v_cmp_eq_u32_e32 vcc_lo, 0, v0
	s_waitcnt vmcnt(2)
	v_cmp_eq_f64_e64 s3, 0, v[45:46]
	s_waitcnt vmcnt(0)
	v_cmp_eq_f64_e64 s4, 0, v[47:48]
	s_clause 0x3
	buffer_load_dword v45, off, s[16:19], 0 offset:688
	buffer_load_dword v46, off, s[16:19], 0 offset:692
	buffer_load_dword v47, off, s[16:19], 0 offset:696
	buffer_load_dword v48, off, s[16:19], 0 offset:700
	s_and_b32 s3, s3, s4
	s_and_b32 s3, s3, vcc_lo
	;; [unrolled: 13-line block ×3, first 2 shown]
	v_cndmask_b32_e64 v0, v0, 7, s0
	v_cmp_eq_u32_e32 vcc_lo, 0, v0
	s_waitcnt vmcnt(2)
	v_cmp_eq_f64_e64 s1, 0, v[45:46]
	s_waitcnt vmcnt(0)
	v_cmp_eq_f64_e64 s2, 0, v[47:48]
	s_clause 0x3
	buffer_load_dword v45, off, s[16:19], 0 offset:720
	buffer_load_dword v46, off, s[16:19], 0 offset:724
	;; [unrolled: 1-line block ×4, first 2 shown]
	s_and_b32 s1, s1, s2
	v_cmp_eq_f64_e64 s2, 0, v[203:204]
	s_and_b32 s1, s1, vcc_lo
	v_cndmask_b32_e64 v0, v0, 8, s1
	v_cmp_eq_f64_e64 s1, 0, v[201:202]
	v_cmp_eq_u32_e32 vcc_lo, 0, v0
	s_and_b32 s1, s1, s2
	s_waitcnt vmcnt(2)
	v_cmp_eq_f64_e64 s3, 0, v[45:46]
	s_waitcnt vmcnt(0)
	v_cmp_eq_f64_e64 s4, 0, v[47:48]
	s_clause 0x3
	buffer_load_dword v45, off, s[16:19], 0 offset:736
	buffer_load_dword v46, off, s[16:19], 0 offset:740
	buffer_load_dword v47, off, s[16:19], 0 offset:744
	buffer_load_dword v48, off, s[16:19], 0 offset:748
	s_and_b32 s3, s3, s4
	s_and_b32 s3, s3, vcc_lo
	v_cndmask_b32_e64 v0, v0, 9, s3
	v_cmp_eq_u32_e32 vcc_lo, 0, v0
	s_waitcnt vmcnt(2)
	v_cmp_eq_f64_e64 s0, 0, v[45:46]
	s_waitcnt vmcnt(0)
	v_cmp_eq_f64_e64 s5, 0, v[47:48]
	s_clause 0x3
	buffer_load_dword v45, off, s[16:19], 0 offset:752
	buffer_load_dword v46, off, s[16:19], 0 offset:756
	;; [unrolled: 1-line block ×4, first 2 shown]
	s_and_b32 s0, s0, s5
	s_and_b32 s0, s0, vcc_lo
	v_cndmask_b32_e64 v0, v0, 10, s0
	v_cmp_eq_u32_e32 vcc_lo, 0, v0
	s_and_b32 s1, s1, vcc_lo
	v_cndmask_b32_e64 v0, v0, 11, s1
	v_cmp_eq_u32_e32 vcc_lo, 0, v0
	s_waitcnt vmcnt(2)
	v_cmp_eq_f64_e64 s3, 0, v[45:46]
	s_waitcnt vmcnt(0)
	v_cmp_eq_f64_e64 s4, 0, v[47:48]
	s_clause 0x3
	buffer_load_dword v45, off, s[16:19], 0 offset:768
	buffer_load_dword v46, off, s[16:19], 0 offset:772
	buffer_load_dword v47, off, s[16:19], 0 offset:776
	buffer_load_dword v48, off, s[16:19], 0 offset:780
	s_and_b32 s3, s3, s4
	s_and_b32 s3, s3, vcc_lo
	v_cndmask_b32_e64 v0, v0, 12, s3
	v_cmp_eq_u32_e32 vcc_lo, 0, v0
	s_waitcnt vmcnt(2)
	v_cmp_eq_f64_e64 s0, 0, v[45:46]
	s_waitcnt vmcnt(0)
	v_cmp_eq_f64_e64 s5, 0, v[47:48]
	s_clause 0x3
	buffer_load_dword v45, off, s[16:19], 0 offset:784
	buffer_load_dword v46, off, s[16:19], 0 offset:788
	buffer_load_dword v47, off, s[16:19], 0 offset:792
	buffer_load_dword v48, off, s[16:19], 0 offset:796
	s_and_b32 s0, s0, s5
	;; [unrolled: 13-line block ×19, first 2 shown]
	v_add_co_u32 v253, s4, s10, v205
	v_add_co_ci_u32_e64 v254, null, s11, v206, s4
	s_and_b32 s0, s0, vcc_lo
	v_cndmask_b32_e64 v0, v0, 30, s0
	v_cmp_eq_u32_e64 s3, 0, v0
	s_waitcnt vmcnt(2)
	v_cmp_eq_f64_e64 s5, 0, v[45:46]
	s_waitcnt vmcnt(0)
	v_cmp_eq_f64_e64 s6, 0, v[47:48]
	s_clause 0x3
	buffer_load_dword v45, off, s[16:19], 0 offset:1072
	buffer_load_dword v46, off, s[16:19], 0 offset:1076
	;; [unrolled: 1-line block ×4, first 2 shown]
	s_and_b32 s5, s5, s6
	s_and_b32 s3, s5, s3
	v_cndmask_b32_e64 v0, v0, 31, s3
	v_cmp_eq_u32_e64 s3, 0, v0
	s_waitcnt vmcnt(2)
	v_cmp_eq_f64_e64 s1, 0, v[45:46]
	s_waitcnt vmcnt(0)
	v_cmp_eq_f64_e64 s2, 0, v[47:48]
	s_clause 0x3
	buffer_load_dword v45, off, s[16:19], 0 offset:1088
	buffer_load_dword v46, off, s[16:19], 0 offset:1092
	;; [unrolled: 1-line block ×4, first 2 shown]
	global_load_dword v205, v[253:254], off
	s_and_b32 s1, s1, s2
	s_and_b32 s1, s1, s3
	v_cndmask_b32_e64 v0, v0, 32, s1
	v_cmp_eq_u32_e64 s1, 0, v0
	s_waitcnt vmcnt(3)
	v_cmp_eq_f64_e32 vcc_lo, 0, v[45:46]
	s_waitcnt vmcnt(1)
	v_cmp_eq_f64_e64 s0, 0, v[47:48]
	s_clause 0x3
	buffer_load_dword v45, off, s[16:19], 0 offset:1104
	buffer_load_dword v46, off, s[16:19], 0 offset:1108
	;; [unrolled: 1-line block ×4, first 2 shown]
	s_and_b32 s0, vcc_lo, s0
	s_and_b32 s0, s0, s1
	v_cndmask_b32_e64 v0, v0, 33, s0
	v_cmp_eq_u32_e32 vcc_lo, 0, v0
	s_waitcnt vmcnt(2)
	v_cmp_eq_f64_e64 s4, 0, v[45:46]
	s_waitcnt vmcnt(0)
	v_cmp_eq_f64_e64 s5, 0, v[47:48]
	s_clause 0x3
	buffer_load_dword v45, off, s[16:19], 0 offset:1120
	buffer_load_dword v46, off, s[16:19], 0 offset:1124
	buffer_load_dword v47, off, s[16:19], 0 offset:1128
	buffer_load_dword v48, off, s[16:19], 0 offset:1132
	s_and_b32 s4, s4, s5
	s_and_b32 s4, s4, vcc_lo
	v_cndmask_b32_e64 v0, v0, 34, s4
	v_cmp_eq_u32_e32 vcc_lo, 0, v0
	s_waitcnt vmcnt(2)
	v_cmp_eq_f64_e64 s2, 0, v[45:46]
	s_waitcnt vmcnt(0)
	v_cmp_eq_f64_e64 s3, 0, v[47:48]
	s_clause 0x3
	buffer_load_dword v45, off, s[16:19], 0 offset:1136
	buffer_load_dword v46, off, s[16:19], 0 offset:1140
	buffer_load_dword v47, off, s[16:19], 0 offset:1144
	buffer_load_dword v48, off, s[16:19], 0 offset:1148
	s_and_b32 s2, s2, s3
	s_and_b32 s2, s2, vcc_lo
	;; [unrolled: 13-line block ×18, first 2 shown]
	v_cndmask_b32_e64 v0, v0, 51, s0
	v_cmp_eq_u32_e32 vcc_lo, 0, v0
	s_waitcnt vmcnt(2)
	v_cmp_eq_f64_e64 s4, 0, v[45:46]
	s_waitcnt vmcnt(0)
	v_cmp_eq_f64_e64 s5, 0, v[47:48]
	s_clause 0x3
	buffer_load_dword v45, off, s[16:19], 0 offset:1408
	buffer_load_dword v46, off, s[16:19], 0 offset:1412
	buffer_load_dword v47, off, s[16:19], 0 offset:1416
	buffer_load_dword v48, off, s[16:19], 0 offset:1420
	s_and_b32 s4, s4, s5
	v_cmp_eq_f64_e64 s5, 0, v[231:232]
	s_and_b32 s4, s4, vcc_lo
	v_cndmask_b32_e64 v0, v0, 52, s4
	v_cmp_eq_f64_e64 s4, 0, v[229:230]
	v_cmp_eq_u32_e32 vcc_lo, 0, v0
	s_and_b32 s4, s4, s5
	v_cmp_eq_f64_e64 s5, 0, v[247:248]
	s_waitcnt vmcnt(2)
	v_cmp_eq_f64_e64 s2, 0, v[45:46]
	s_waitcnt vmcnt(0)
	v_cmp_eq_f64_e64 s3, 0, v[47:48]
	s_clause 0x3
	buffer_load_dword v45, off, s[16:19], 0 offset:1424
	buffer_load_dword v46, off, s[16:19], 0 offset:1428
	;; [unrolled: 1-line block ×4, first 2 shown]
	s_and_b32 s2, s2, s3
	v_cmp_eq_f64_e64 s3, 0, v[227:228]
	s_and_b32 s2, s2, vcc_lo
	v_cndmask_b32_e64 v0, v0, 53, s2
	v_cmp_eq_f64_e64 s2, 0, v[225:226]
	v_cmp_eq_u32_e32 vcc_lo, 0, v0
	s_and_b32 s2, s2, s3
	v_cmp_eq_f64_e64 s3, 0, v[219:220]
	s_waitcnt vmcnt(2)
	v_cmp_eq_f64_e64 s0, 0, v[45:46]
	s_waitcnt vmcnt(0)
	v_cmp_eq_f64_e64 s1, 0, v[47:48]
	s_and_b32 s0, s0, s1
	v_cmp_eq_f64_e64 s1, 0, v[223:224]
	s_and_b32 s0, s0, vcc_lo
	v_cndmask_b32_e64 v0, v0, 54, s0
	v_cmp_eq_f64_e64 s0, 0, v[221:222]
	v_cmp_eq_u32_e32 vcc_lo, 0, v0
	s_and_b32 s4, s4, vcc_lo
	v_cndmask_b32_e64 v0, v0, 55, s4
	v_cmp_eq_f64_e64 s4, 0, v[245:246]
	v_cmp_eq_u32_e32 vcc_lo, 0, v0
	s_and_b32 s2, s2, vcc_lo
	s_and_b32 s0, s0, s1
	v_cndmask_b32_e64 v0, v0, 56, s2
	v_cmp_eq_f64_e64 s2, 0, v[217:218]
	v_cmp_eq_f64_e64 s1, 0, v[215:216]
	v_cmp_eq_u32_e32 vcc_lo, 0, v0
	s_and_b32 s0, s0, vcc_lo
	s_and_b32 s4, s4, s5
	v_cndmask_b32_e64 v0, v0, 57, s0
	v_cmp_eq_f64_e64 s0, 0, v[213:214]
	v_cmp_eq_u32_e32 vcc_lo, 0, v0
	s_and_b32 s4, s4, vcc_lo
	s_and_b32 s2, s2, s3
	v_cndmask_b32_e64 v0, v0, 58, s4
	v_cmp_eq_u32_e32 vcc_lo, 0, v0
	s_and_b32 s2, s2, vcc_lo
	s_and_b32 s0, s0, s1
	v_cndmask_b32_e64 v0, v0, 59, s2
	v_cmp_eq_u32_e32 vcc_lo, 0, v0
	s_and_b32 s0, s0, vcc_lo
	v_cmp_eq_u32_e32 vcc_lo, 0, v205
	v_cndmask_b32_e64 v0, v0, 60, s0
	v_cmp_ne_u32_e64 s0, 0, v0
	s_and_b32 s0, vcc_lo, s0
	s_and_b32 exec_lo, exec_lo, s0
	s_cbranch_execz .LBB119_544
; %bb.543:
	v_add_nc_u32_e32 v0, s13, v0
	global_store_dword v[253:254], v0, off
.LBB119_544:
	s_or_b32 exec_lo, exec_lo, s7
	s_clause 0x5
	buffer_load_dword v45, off, s[16:19], 0 offset:576
	buffer_load_dword v46, off, s[16:19], 0 offset:580
	buffer_load_dword v193, off, s[16:19], 0 offset:96
	buffer_load_dword v194, off, s[16:19], 0 offset:100
	buffer_load_dword v195, off, s[16:19], 0 offset:104
	buffer_load_dword v196, off, s[16:19], 0 offset:108
	s_waitcnt vmcnt(0)
	global_store_dwordx4 v[45:46], v[193:196], off
	s_clause 0x5
	buffer_load_dword v45, off, s[16:19], 0 offset:584
	buffer_load_dword v46, off, s[16:19], 0 offset:588
	buffer_load_dword v193, off, s[16:19], 0 offset:80
	buffer_load_dword v194, off, s[16:19], 0 offset:84
	buffer_load_dword v195, off, s[16:19], 0 offset:88
	buffer_load_dword v196, off, s[16:19], 0 offset:92
	s_waitcnt vmcnt(0)
	global_store_dwordx4 v[45:46], v[193:196], off
	;; [unrolled: 9-line block ×4, first 2 shown]
	s_clause 0x3
	buffer_load_dword v45, off, s[16:19], 0 offset:32
	buffer_load_dword v46, off, s[16:19], 0 offset:36
	;; [unrolled: 1-line block ×4, first 2 shown]
	s_waitcnt vmcnt(0)
	global_store_dwordx4 v[207:208], v[45:48], off
	s_clause 0x5
	buffer_load_dword v45, off, s[16:19], 0 offset:544
	buffer_load_dword v46, off, s[16:19], 0 offset:548
	buffer_load_dword v193, off, s[16:19], 0 offset:16
	buffer_load_dword v194, off, s[16:19], 0 offset:20
	buffer_load_dword v195, off, s[16:19], 0 offset:24
	buffer_load_dword v196, off, s[16:19], 0 offset:28
	s_waitcnt vmcnt(0)
	global_store_dwordx4 v[45:46], v[193:196], off
	s_clause 0x5
	buffer_load_dword v199, off, s[16:19], 0 offset:120
	buffer_load_dword v200, off, s[16:19], 0 offset:124
	;; [unrolled: 1-line block ×6, first 2 shown]
	s_waitcnt vmcnt(0)
	global_store_dwordx4 v[199:200], v[45:48], off
	s_clause 0x3
	buffer_load_dword v45, off, s[16:19], 0
	buffer_load_dword v46, off, s[16:19], 0 offset:4
	buffer_load_dword v47, off, s[16:19], 0 offset:8
	;; [unrolled: 1-line block ×3, first 2 shown]
	s_waitcnt vmcnt(0)
	global_store_dwordx4 v[197:198], v[45:48], off
	s_clause 0x1
	buffer_load_dword v197, off, s[16:19], 0 offset:128
	buffer_load_dword v198, off, s[16:19], 0 offset:132
	s_waitcnt vmcnt(0)
	global_store_dwordx4 v[197:198], v[237:240], off
	s_clause 0x1
	buffer_load_dword v197, off, s[16:19], 0 offset:136
	buffer_load_dword v198, off, s[16:19], 0 offset:140
	;; [unrolled: 5-line block ×52, first 2 shown]
	s_waitcnt vmcnt(0)
	global_store_dwordx4 v[5:6], v[1:4], off
.LBB119_545:
	s_endpgm
	.section	.rodata,"a",@progbits
	.p2align	6, 0x0
	.amdhsa_kernel _ZN9rocsolver6v33100L23getf2_npvt_small_kernelILi60E19rocblas_complex_numIdEiiPS3_EEvT1_T3_lS5_lPT2_S5_S5_
		.amdhsa_group_segment_fixed_size 0
		.amdhsa_private_segment_fixed_size 1444
		.amdhsa_kernarg_size 312
		.amdhsa_user_sgpr_count 6
		.amdhsa_user_sgpr_private_segment_buffer 1
		.amdhsa_user_sgpr_dispatch_ptr 0
		.amdhsa_user_sgpr_queue_ptr 0
		.amdhsa_user_sgpr_kernarg_segment_ptr 1
		.amdhsa_user_sgpr_dispatch_id 0
		.amdhsa_user_sgpr_flat_scratch_init 0
		.amdhsa_user_sgpr_private_segment_size 0
		.amdhsa_wavefront_size32 1
		.amdhsa_uses_dynamic_stack 0
		.amdhsa_system_sgpr_private_segment_wavefront_offset 1
		.amdhsa_system_sgpr_workgroup_id_x 1
		.amdhsa_system_sgpr_workgroup_id_y 1
		.amdhsa_system_sgpr_workgroup_id_z 0
		.amdhsa_system_sgpr_workgroup_info 0
		.amdhsa_system_vgpr_workitem_id 1
		.amdhsa_next_free_vgpr 256
		.amdhsa_next_free_sgpr 22
		.amdhsa_reserve_vcc 1
		.amdhsa_reserve_flat_scratch 0
		.amdhsa_float_round_mode_32 0
		.amdhsa_float_round_mode_16_64 0
		.amdhsa_float_denorm_mode_32 3
		.amdhsa_float_denorm_mode_16_64 3
		.amdhsa_dx10_clamp 1
		.amdhsa_ieee_mode 1
		.amdhsa_fp16_overflow 0
		.amdhsa_workgroup_processor_mode 1
		.amdhsa_memory_ordered 1
		.amdhsa_forward_progress 1
		.amdhsa_shared_vgpr_count 0
		.amdhsa_exception_fp_ieee_invalid_op 0
		.amdhsa_exception_fp_denorm_src 0
		.amdhsa_exception_fp_ieee_div_zero 0
		.amdhsa_exception_fp_ieee_overflow 0
		.amdhsa_exception_fp_ieee_underflow 0
		.amdhsa_exception_fp_ieee_inexact 0
		.amdhsa_exception_int_div_zero 0
	.end_amdhsa_kernel
	.section	.text._ZN9rocsolver6v33100L23getf2_npvt_small_kernelILi60E19rocblas_complex_numIdEiiPS3_EEvT1_T3_lS5_lPT2_S5_S5_,"axG",@progbits,_ZN9rocsolver6v33100L23getf2_npvt_small_kernelILi60E19rocblas_complex_numIdEiiPS3_EEvT1_T3_lS5_lPT2_S5_S5_,comdat
.Lfunc_end119:
	.size	_ZN9rocsolver6v33100L23getf2_npvt_small_kernelILi60E19rocblas_complex_numIdEiiPS3_EEvT1_T3_lS5_lPT2_S5_S5_, .Lfunc_end119-_ZN9rocsolver6v33100L23getf2_npvt_small_kernelILi60E19rocblas_complex_numIdEiiPS3_EEvT1_T3_lS5_lPT2_S5_S5_
                                        ; -- End function
	.set _ZN9rocsolver6v33100L23getf2_npvt_small_kernelILi60E19rocblas_complex_numIdEiiPS3_EEvT1_T3_lS5_lPT2_S5_S5_.num_vgpr, 256
	.set _ZN9rocsolver6v33100L23getf2_npvt_small_kernelILi60E19rocblas_complex_numIdEiiPS3_EEvT1_T3_lS5_lPT2_S5_S5_.num_agpr, 0
	.set _ZN9rocsolver6v33100L23getf2_npvt_small_kernelILi60E19rocblas_complex_numIdEiiPS3_EEvT1_T3_lS5_lPT2_S5_S5_.numbered_sgpr, 22
	.set _ZN9rocsolver6v33100L23getf2_npvt_small_kernelILi60E19rocblas_complex_numIdEiiPS3_EEvT1_T3_lS5_lPT2_S5_S5_.num_named_barrier, 0
	.set _ZN9rocsolver6v33100L23getf2_npvt_small_kernelILi60E19rocblas_complex_numIdEiiPS3_EEvT1_T3_lS5_lPT2_S5_S5_.private_seg_size, 1444
	.set _ZN9rocsolver6v33100L23getf2_npvt_small_kernelILi60E19rocblas_complex_numIdEiiPS3_EEvT1_T3_lS5_lPT2_S5_S5_.uses_vcc, 1
	.set _ZN9rocsolver6v33100L23getf2_npvt_small_kernelILi60E19rocblas_complex_numIdEiiPS3_EEvT1_T3_lS5_lPT2_S5_S5_.uses_flat_scratch, 0
	.set _ZN9rocsolver6v33100L23getf2_npvt_small_kernelILi60E19rocblas_complex_numIdEiiPS3_EEvT1_T3_lS5_lPT2_S5_S5_.has_dyn_sized_stack, 0
	.set _ZN9rocsolver6v33100L23getf2_npvt_small_kernelILi60E19rocblas_complex_numIdEiiPS3_EEvT1_T3_lS5_lPT2_S5_S5_.has_recursion, 0
	.set _ZN9rocsolver6v33100L23getf2_npvt_small_kernelILi60E19rocblas_complex_numIdEiiPS3_EEvT1_T3_lS5_lPT2_S5_S5_.has_indirect_call, 0
	.section	.AMDGPU.csdata,"",@progbits
; Kernel info:
; codeLenInByte = 174532
; TotalNumSgprs: 24
; NumVgprs: 256
; ScratchSize: 1444
; MemoryBound: 1
; FloatMode: 240
; IeeeMode: 1
; LDSByteSize: 0 bytes/workgroup (compile time only)
; SGPRBlocks: 0
; VGPRBlocks: 31
; NumSGPRsForWavesPerEU: 24
; NumVGPRsForWavesPerEU: 256
; Occupancy: 4
; WaveLimiterHint : 0
; COMPUTE_PGM_RSRC2:SCRATCH_EN: 1
; COMPUTE_PGM_RSRC2:USER_SGPR: 6
; COMPUTE_PGM_RSRC2:TRAP_HANDLER: 0
; COMPUTE_PGM_RSRC2:TGID_X_EN: 1
; COMPUTE_PGM_RSRC2:TGID_Y_EN: 1
; COMPUTE_PGM_RSRC2:TGID_Z_EN: 0
; COMPUTE_PGM_RSRC2:TIDIG_COMP_CNT: 1
	.section	.text._ZN9rocsolver6v33100L18getf2_small_kernelILi61E19rocblas_complex_numIdEiiPS3_EEvT1_T3_lS5_lPS5_llPT2_S5_S5_S7_l,"axG",@progbits,_ZN9rocsolver6v33100L18getf2_small_kernelILi61E19rocblas_complex_numIdEiiPS3_EEvT1_T3_lS5_lPS5_llPT2_S5_S5_S7_l,comdat
	.globl	_ZN9rocsolver6v33100L18getf2_small_kernelILi61E19rocblas_complex_numIdEiiPS3_EEvT1_T3_lS5_lPS5_llPT2_S5_S5_S7_l ; -- Begin function _ZN9rocsolver6v33100L18getf2_small_kernelILi61E19rocblas_complex_numIdEiiPS3_EEvT1_T3_lS5_lPS5_llPT2_S5_S5_S7_l
	.p2align	8
	.type	_ZN9rocsolver6v33100L18getf2_small_kernelILi61E19rocblas_complex_numIdEiiPS3_EEvT1_T3_lS5_lPS5_llPT2_S5_S5_S7_l,@function
_ZN9rocsolver6v33100L18getf2_small_kernelILi61E19rocblas_complex_numIdEiiPS3_EEvT1_T3_lS5_lPS5_llPT2_S5_S5_S7_l: ; @_ZN9rocsolver6v33100L18getf2_small_kernelILi61E19rocblas_complex_numIdEiiPS3_EEvT1_T3_lS5_lPS5_llPT2_S5_S5_S7_l
; %bb.0:
	s_add_u32 s0, s0, s8
	s_clause 0x1
	s_load_dword s6, s[4:5], 0x6c
	s_load_dwordx2 s[8:9], s[4:5], 0x48
	s_addc_u32 s1, s1, 0
	s_waitcnt lgkmcnt(0)
	s_lshr_b32 s6, s6, 16
	v_mad_u64_u32 v[5:6], null, s7, s6, v[1:2]
	s_mov_b32 s6, exec_lo
	v_cmpx_gt_i32_e64 s8, v5
	s_cbranch_execnz .LBB120_1
; %bb.1408:
	s_getpc_b64 s[102:103]
.Lpost_getpc22:
	s_add_u32 s102, s102, (.LBB120_1407-.Lpost_getpc22)&4294967295
	s_addc_u32 s103, s103, (.LBB120_1407-.Lpost_getpc22)>>32
	s_setpc_b64 s[102:103]
.LBB120_1:
                                        ; implicit-def: $vgpr162 : SGPR spill to VGPR lane
	v_mov_b32_e32 v7, 0
	v_writelane_b32 v162, s8, 0
	v_ashrrev_i32_e32 v6, 31, v5
	v_mov_b32_e32 v8, 0
	v_writelane_b32 v162, s9, 1
	s_load_dwordx4 s[8:11], s[4:5], 0x50
	s_waitcnt lgkmcnt(0)
	s_cmp_eq_u64 s[8:9], 0
	s_cselect_b32 s20, -1, 0
	s_and_b32 vcc_lo, exec_lo, s20
	s_cbranch_vccnz .LBB120_3
; %bb.2:
	v_mul_lo_u32 v4, s11, v5
	v_mul_lo_u32 v7, s10, v6
	v_mad_u64_u32 v[2:3], null, s10, v5, 0
	v_add3_u32 v3, v3, v7, v4
	v_lshlrev_b64 v[2:3], 2, v[2:3]
	v_add_co_u32 v7, vcc_lo, s8, v2
	v_add_co_ci_u32_e64 v8, null, s9, v3, vcc_lo
.LBB120_3:
	s_clause 0x2
	s_load_dwordx8 s[8:15], s[4:5], 0x20
	s_load_dword s6, s[4:5], 0x18
	s_load_dwordx4 s[16:19], s[4:5], 0x8
	v_lshlrev_b32_e32 v4, 4, v0
	s_clause 0x1
	s_load_dword s56, s[4:5], 0x0
	s_load_dwordx2 s[4:5], s[4:5], 0x40
	s_movk_i32 s22, 0x90
	s_movk_i32 s23, 0xa0
	s_movk_i32 s24, 0xb0
	s_movk_i32 s25, 0xc0
	s_movk_i32 s26, 0xd0
	s_movk_i32 s27, 0xe0
	s_movk_i32 s28, 0xf0
	s_movk_i32 s29, 0x100
	s_movk_i32 s30, 0x110
	s_movk_i32 s31, 0x120
	s_movk_i32 s33, 0x130
	s_movk_i32 s34, 0x140
	s_movk_i32 s35, 0x150
	s_movk_i32 s36, 0x160
	s_waitcnt lgkmcnt(0)
	v_mul_lo_u32 v10, s9, v5
	v_mul_lo_u32 v11, s8, v6
	v_mad_u64_u32 v[2:3], null, s8, v5, 0
	v_add3_u32 v9, s6, s6, v0
	s_lshl_b64 s[18:19], s[18:19], 4
	s_ashr_i32 s7, s6, 31
	s_movk_i32 s37, 0x170
	s_lshl_b64 s[8:9], s[6:7], 4
	v_add_nc_u32_e32 v12, s6, v9
	v_add3_u32 v3, v3, v11, v10
	v_ashrrev_i32_e32 v10, 31, v9
	s_max_i32 s7, s56, 61
	s_movk_i32 s38, 0x180
	v_ashrrev_i32_e32 v13, 31, v12
	v_lshlrev_b64 v[2:3], 4, v[2:3]
	v_add_nc_u32_e32 v11, s6, v12
	v_lshlrev_b64 v[25:26], 4, v[9:10]
	s_movk_i32 s39, 0x190
	v_lshlrev_b64 v[9:10], 4, v[12:13]
	s_movk_i32 s40, 0x1a0
	v_add_nc_u32_e32 v13, s6, v11
	v_add_co_u32 v15, vcc_lo, s16, v2
	v_add_co_ci_u32_e64 v16, null, s17, v3, vcc_lo
	v_ashrrev_i32_e32 v12, 31, v11
	v_ashrrev_i32_e32 v14, 31, v13
	v_add_co_u32 v144, vcc_lo, v15, s18
	v_add_co_ci_u32_e64 v145, null, s19, v16, vcc_lo
	v_lshlrev_b64 v[2:3], 4, v[11:12]
	v_lshlrev_b64 v[11:12], 4, v[13:14]
	v_add_co_u32 v109, vcc_lo, v144, v4
	v_add_nc_u32_e32 v27, s6, v13
	v_add_co_ci_u32_e64 v110, null, 0, v145, vcc_lo
	v_add_co_u32 v14, vcc_lo, v144, v9
	v_add_co_ci_u32_e64 v15, null, v145, v10, vcc_lo
	v_add_co_u32 v2, vcc_lo, v144, v2
	v_add_nc_u32_e32 v33, s6, v27
	v_add_co_ci_u32_e64 v3, null, v145, v3, vcc_lo
	v_add_co_u32 v21, vcc_lo, v144, v11
	v_add_co_ci_u32_e64 v22, null, v145, v12, vcc_lo
	v_ashrrev_i32_e32 v28, 31, v27
	s_clause 0x3
	global_load_dwordx4 v[9:12], v[109:110], off
	global_load_dwordx4 v[13:16], v[14:15], off
	global_load_dwordx4 v[17:20], v[2:3], off
	global_load_dwordx4 v[21:24], v[21:22], off
	v_add_co_u32 v2, vcc_lo, v109, s8
	v_add_nc_u32_e32 v35, s6, v33
	v_writelane_b32 v162, s8, 2
	v_add_co_ci_u32_e64 v3, null, s9, v110, vcc_lo
	v_add_co_u32 v29, vcc_lo, v144, v25
	v_ashrrev_i32_e32 v34, 31, v33
	v_add_co_ci_u32_e64 v30, null, v145, v26, vcc_lo
	v_lshlrev_b64 v[37:38], 4, v[27:28]
	v_ashrrev_i32_e32 v36, 31, v35
	s_clause 0x1
	global_load_dwordx4 v[25:28], v[2:3], off
	global_load_dwordx4 v[29:32], v[29:30], off
	v_lshlrev_b64 v[2:3], 4, v[33:34]
	v_writelane_b32 v162, s9, 3
	s_movk_i32 s18, 0x70
	v_add_co_u32 v33, vcc_lo, v144, v37
	v_add_nc_u32_e32 v37, s6, v35
	v_lshlrev_b64 v[35:36], 4, v[35:36]
	v_add_co_ci_u32_e64 v34, null, v145, v38, vcc_lo
	v_add_co_u32 v2, vcc_lo, v144, v2
	v_add_co_ci_u32_e64 v3, null, v145, v3, vcc_lo
	v_add_co_u32 v41, vcc_lo, v144, v35
	v_ashrrev_i32_e32 v38, 31, v37
	v_add_nc_u32_e32 v45, s6, v37
	v_add_co_ci_u32_e64 v42, null, v145, v36, vcc_lo
	global_load_dwordx4 v[33:36], v[33:34], off
	v_lshlrev_b64 v[47:48], 4, v[37:38]
	s_clause 0x1
	global_load_dwordx4 v[37:40], v[2:3], off
	global_load_dwordx4 v[41:44], v[41:42], off
	v_add_nc_u32_e32 v2, s6, v45
	v_ashrrev_i32_e32 v46, 31, v45
	v_writelane_b32 v162, s4, 4
	s_movk_i32 s19, 0x80
	v_add_co_u32 v47, vcc_lo, v144, v47
	v_add_nc_u32_e32 v53, s6, v2
	v_ashrrev_i32_e32 v3, 31, v2
	v_lshlrev_b64 v[45:46], 4, v[45:46]
	v_add_co_ci_u32_e64 v48, null, v145, v48, vcc_lo
	v_ashrrev_i32_e32 v54, 31, v53
	v_add_nc_u32_e32 v55, s6, v53
	v_lshlrev_b64 v[2:3], 4, v[2:3]
	v_add_co_u32 v49, vcc_lo, v144, v45
	v_lshlrev_b64 v[53:54], 4, v[53:54]
	v_ashrrev_i32_e32 v56, 31, v55
	v_add_nc_u32_e32 v61, s6, v55
	v_add_co_ci_u32_e64 v50, null, v145, v46, vcc_lo
	v_add_co_u32 v2, vcc_lo, v144, v2
	v_add_co_ci_u32_e64 v3, null, v145, v3, vcc_lo
	v_add_co_u32 v57, vcc_lo, v144, v53
	v_add_nc_u32_e32 v63, s6, v61
	v_lshlrev_b64 v[65:66], 4, v[55:56]
	v_ashrrev_i32_e32 v62, 31, v61
	v_add_co_ci_u32_e64 v58, null, v145, v54, vcc_lo
	v_ashrrev_i32_e32 v64, 31, v63
	s_clause 0x3
	global_load_dwordx4 v[45:48], v[47:48], off
	global_load_dwordx4 v[49:52], v[49:50], off
	;; [unrolled: 1-line block ×4, first 2 shown]
	v_lshlrev_b64 v[2:3], 4, v[61:62]
	v_add_co_u32 v61, vcc_lo, v144, v65
	v_add_co_ci_u32_e64 v62, null, v145, v66, vcc_lo
	v_add_nc_u32_e32 v66, s6, v63
	v_lshlrev_b64 v[64:65], 4, v[63:64]
	v_add_co_u32 v2, vcc_lo, v144, v2
	v_add_co_ci_u32_e64 v3, null, v145, v3, vcc_lo
	v_ashrrev_i32_e32 v67, 31, v66
	v_add_nc_u32_e32 v69, s6, v66
	v_add_co_u32 v71, vcc_lo, v144, v64
	v_add_co_ci_u32_e64 v72, null, v145, v65, vcc_lo
	v_lshlrev_b64 v[73:74], 4, v[66:67]
	s_clause 0x1
	global_load_dwordx4 v[61:64], v[61:62], off
	global_load_dwordx4 v[65:68], v[2:3], off
	v_add_nc_u32_e32 v2, s6, v69
	v_ashrrev_i32_e32 v70, 31, v69
	v_writelane_b32 v162, s5, 5
	s_movk_i32 s5, 0x50
	v_add_co_u32 v73, vcc_lo, v144, v73
	v_add_nc_u32_e32 v77, s6, v2
	v_ashrrev_i32_e32 v3, 31, v2
	v_lshlrev_b64 v[79:80], 4, v[69:70]
	v_add_co_ci_u32_e64 v74, null, v145, v74, vcc_lo
	v_add_nc_u32_e32 v81, s6, v77
	v_ashrrev_i32_e32 v78, 31, v77
	v_lshlrev_b64 v[2:3], 4, v[2:3]
	v_add_co_u32 v79, vcc_lo, v144, v79
	v_add_nc_u32_e32 v85, s6, v81
	v_lshlrev_b64 v[77:78], 4, v[77:78]
	v_ashrrev_i32_e32 v82, 31, v81
	v_add_co_ci_u32_e64 v80, null, v145, v80, vcc_lo
	v_add_nc_u32_e32 v91, s6, v85
	v_add_co_u32 v2, vcc_lo, v144, v2
	v_ashrrev_i32_e32 v86, 31, v85
	v_add_co_ci_u32_e64 v3, null, v145, v3, vcc_lo
	v_add_nc_u32_e32 v93, s6, v91
	v_ashrrev_i32_e32 v92, 31, v91
	v_lshlrev_b64 v[89:90], 4, v[81:82]
	v_add_co_u32 v87, vcc_lo, v144, v77
	s_clause 0x1
	global_load_dwordx4 v[69:72], v[71:72], off
	global_load_dwordx4 v[73:76], v[73:74], off
	v_add_co_ci_u32_e64 v88, null, v145, v78, vcc_lo
	s_clause 0x1
	global_load_dwordx4 v[77:80], v[79:80], off
	global_load_dwordx4 v[81:84], v[2:3], off
	v_lshlrev_b64 v[2:3], 4, v[85:86]
	v_add_nc_u32_e32 v111, s6, v93
	v_lshlrev_b64 v[91:92], 4, v[91:92]
	v_ashrrev_i32_e32 v94, 31, v93
	v_add_co_u32 v89, vcc_lo, v144, v89
	v_ashrrev_i32_e32 v112, 31, v111
	v_add_co_ci_u32_e64 v90, null, v145, v90, vcc_lo
	v_add_co_u32 v2, vcc_lo, v144, v2
	v_add_co_ci_u32_e64 v3, null, v145, v3, vcc_lo
	v_add_co_u32 v97, vcc_lo, v144, v91
	v_lshlrev_b64 v[101:102], 4, v[93:94]
	v_add_co_ci_u32_e64 v98, null, v145, v92, vcc_lo
	v_lshlrev_b64 v[103:104], 4, v[111:112]
	s_clause 0x3
	global_load_dwordx4 v[85:88], v[87:88], off
	global_load_dwordx4 v[89:92], v[89:90], off
	;; [unrolled: 1-line block ×4, first 2 shown]
	v_add_co_u32 v2, vcc_lo, v144, v101
	v_add_co_ci_u32_e64 v3, null, v145, v102, vcc_lo
	v_add_co_u32 v105, vcc_lo, v144, v103
	v_add_co_ci_u32_e64 v106, null, v145, v104, vcc_lo
	s_clause 0x1
	global_load_dwordx4 v[101:104], v[2:3], off
	global_load_dwordx4 v[105:108], v[105:106], off
	v_add_nc_u32_e32 v2, s6, v111
	global_load_dwordx4 v[109:112], v[109:110], off
	s_movk_i32 s41, 0x1b0
	s_movk_i32 s42, 0x1c0
	;; [unrolled: 1-line block ×3, first 2 shown]
	v_add_nc_u32_e32 v113, s6, v2
	v_ashrrev_i32_e32 v3, 31, v2
	s_movk_i32 s44, 0x1e0
	s_movk_i32 s45, 0x1f0
	;; [unrolled: 1-line block ×3, first 2 shown]
	v_add_nc_u32_e32 v115, s6, v113
	v_ashrrev_i32_e32 v114, 31, v113
	v_lshlrev_b64 v[2:3], 4, v[2:3]
	s_movk_i32 s80, 0x210
	s_movk_i32 s8, 0x220
	v_add_nc_u32_e32 v117, s6, v115
	v_lshlrev_b64 v[113:114], 4, v[113:114]
	v_ashrrev_i32_e32 v116, 31, v115
	v_add_co_u32 v2, vcc_lo, v144, v2
	v_add_nc_u32_e32 v123, s6, v117
	v_ashrrev_i32_e32 v118, 31, v117
	v_add_co_ci_u32_e64 v3, null, v145, v3, vcc_lo
	v_lshlrev_b64 v[121:122], 4, v[115:116]
	v_add_nc_u32_e32 v125, s6, v123
	v_add_co_u32 v119, vcc_lo, v144, v113
	v_add_co_ci_u32_e64 v120, null, v145, v114, vcc_lo
	v_add_nc_u32_e32 v129, s6, v125
	v_ashrrev_i32_e32 v124, 31, v123
	v_lshlrev_b64 v[127:128], 4, v[117:118]
	s_clause 0x1
	global_load_dwordx4 v[113:116], v[2:3], off
	global_load_dwordx4 v[117:120], v[119:120], off
	v_add_co_u32 v2, vcc_lo, v144, v121
	v_add_nc_u32_e32 v133, s6, v129
	v_add_co_ci_u32_e64 v3, null, v145, v122, vcc_lo
	v_lshlrev_b64 v[121:122], 4, v[123:124]
	v_ashrrev_i32_e32 v126, 31, v125
	v_add_co_u32 v127, vcc_lo, v144, v127
	v_add_nc_u32_e32 v137, s6, v133
	v_ashrrev_i32_e32 v130, 31, v129
	v_add_co_ci_u32_e64 v128, null, v145, v128, vcc_lo
	v_ashrrev_i32_e32 v134, 31, v133
	v_lshlrev_b64 v[131:132], 4, v[125:126]
	v_add_co_u32 v135, vcc_lo, v144, v121
	v_add_nc_u32_e32 v146, s6, v137
	v_add_co_ci_u32_e64 v136, null, v145, v122, vcc_lo
	s_clause 0x1
	global_load_dwordx4 v[121:124], v[2:3], off
	global_load_dwordx4 v[125:128], v[127:128], off
	v_lshlrev_b64 v[2:3], 4, v[129:130]
	v_ashrrev_i32_e32 v138, 31, v137
	v_lshlrev_b64 v[141:142], 4, v[133:134]
	v_add_co_u32 v139, vcc_lo, v144, v131
	v_add_nc_u32_e32 v150, s6, v146
	v_add_co_ci_u32_e64 v140, null, v145, v132, vcc_lo
	v_add_co_u32 v2, vcc_lo, v144, v2
	v_lshlrev_b64 v[137:138], 4, v[137:138]
	v_ashrrev_i32_e32 v147, 31, v146
	v_add_co_ci_u32_e64 v3, null, v145, v3, vcc_lo
	v_add_co_u32 v141, vcc_lo, v144, v141
	v_add_nc_u32_e32 v154, s6, v150
	v_add_co_ci_u32_e64 v142, null, v145, v142, vcc_lo
	v_lshlrev_b64 v[152:153], 4, v[146:147]
	v_add_co_u32 v156, vcc_lo, v144, v137
	v_ashrrev_i32_e32 v151, 31, v150
	s_clause 0x1
	global_load_dwordx4 v[129:132], v[135:136], off
	global_load_dwordx4 v[133:136], v[139:140], off
	v_add_co_ci_u32_e64 v157, null, v145, v138, vcc_lo
	s_clause 0x1
	global_load_dwordx4 v[137:140], v[2:3], off
	global_load_dwordx4 v[146:149], v[141:142], off
	v_add_nc_u32_e32 v141, s6, v154
	v_ashrrev_i32_e32 v155, 31, v154
	v_lshlrev_b64 v[2:3], 4, v[150:151]
	v_add_co_u32 v150, vcc_lo, v144, v152
	v_add_nc_u32_e32 v158, s6, v141
	v_add_co_ci_u32_e64 v151, null, v145, v153, vcc_lo
	v_lshlrev_b64 v[154:155], 4, v[154:155]
	v_ashrrev_i32_e32 v142, 31, v141
	v_add_co_u32 v2, vcc_lo, v144, v2
	v_ashrrev_i32_e32 v159, 31, v158
	v_add_co_ci_u32_e64 v3, null, v145, v3, vcc_lo
	v_add_co_u32 v154, vcc_lo, v144, v154
	v_lshlrev_b64 v[141:142], 4, v[141:142]
	v_add_co_ci_u32_e64 v155, null, v145, v155, vcc_lo
	s_movk_i32 s82, 0x230
	s_movk_i32 s83, 0x240
	s_movk_i32 s84, 0x250
	v_add_co_u32 v141, vcc_lo, v144, v141
	v_add_co_ci_u32_e64 v142, null, v145, v142, vcc_lo
	s_movk_i32 s85, 0x260
	s_movk_i32 s86, 0x270
	;; [unrolled: 1-line block ×18, first 2 shown]
	s_movk_i32 vcc_hi, 0x380
	s_movk_i32 s16, 0x390
	s_movk_i32 s17, 0x3a0
	;; [unrolled: 1-line block ×3, first 2 shown]
	s_cmp_lt_i32 s56, 2
	s_movk_i32 s21, 0x3c0
	s_waitcnt vmcnt(33)
	buffer_store_dword v12, off, s[0:3], 0 offset:12
	buffer_store_dword v11, off, s[0:3], 0 offset:8
	;; [unrolled: 1-line block ×3, first 2 shown]
	buffer_store_dword v9, off, s[0:3], 0
	s_clause 0x1
	global_load_dwordx4 v[9:12], v[156:157], off
	global_load_dwordx4 v[150:153], v[150:151], off
	v_add_nc_u32_e32 v156, s6, v158
	v_lshlrev_b64 v[158:159], 4, v[158:159]
	s_waitcnt vmcnt(34)
	buffer_store_dword v16, off, s[0:3], 0 offset:60
	buffer_store_dword v15, off, s[0:3], 0 offset:56
	;; [unrolled: 1-line block ×4, first 2 shown]
	s_waitcnt vmcnt(33)
	buffer_store_dword v20, off, s[0:3], 0 offset:76
	buffer_store_dword v19, off, s[0:3], 0 offset:72
	;; [unrolled: 1-line block ×4, first 2 shown]
	s_clause 0x1
	global_load_dwordx4 v[13:16], v[2:3], off
	global_load_dwordx4 v[17:20], v[154:155], off
	v_add_nc_u32_e32 v160, s6, v156
	v_ashrrev_i32_e32 v157, 31, v156
	s_waitcnt vmcnt(34)
	buffer_store_dword v24, off, s[0:3], 0 offset:92
	buffer_store_dword v23, off, s[0:3], 0 offset:88
	buffer_store_dword v22, off, s[0:3], 0 offset:84
	buffer_store_dword v21, off, s[0:3], 0 offset:80
	v_add_co_u32 v154, vcc_lo, v144, v158
	v_ashrrev_i32_e32 v161, 31, v160
	v_add_nc_u32_e32 v2, s6, v160
	v_lshlrev_b64 v[21:22], 4, v[156:157]
	v_add_co_ci_u32_e64 v155, null, v145, v159, vcc_lo
	v_lshlrev_b64 v[156:157], 4, v[160:161]
	v_add_nc_u32_e32 v160, s6, v2
	s_waitcnt vmcnt(33)
	buffer_store_dword v28, off, s[0:3], 0 offset:28
	buffer_store_dword v27, off, s[0:3], 0 offset:24
	;; [unrolled: 1-line block ×4, first 2 shown]
	v_add_co_u32 v158, vcc_lo, v144, v21
	v_add_co_ci_u32_e64 v159, null, v145, v22, vcc_lo
	s_clause 0x1
	global_load_dwordx4 v[21:24], v[141:142], off
	global_load_dwordx4 v[25:28], v[154:155], off
	v_ashrrev_i32_e32 v161, 31, v160
	v_add_nc_u32_e32 v141, s6, v160
	v_ashrrev_i32_e32 v3, 31, v2
	v_add_co_u32 v154, vcc_lo, v144, v156
	v_add_co_ci_u32_e64 v155, null, v145, v157, vcc_lo
	v_lshlrev_b64 v[156:157], 4, v[160:161]
	v_add_nc_u32_e32 v160, s6, v141
	v_lshlrev_b64 v[2:3], 4, v[2:3]
	s_waitcnt vmcnt(34)
	buffer_store_dword v32, off, s[0:3], 0 offset:44
	buffer_store_dword v31, off, s[0:3], 0 offset:40
	;; [unrolled: 1-line block ×4, first 2 shown]
	s_waitcnt vmcnt(33)
	buffer_store_dword v36, off, s[0:3], 0 offset:108
	buffer_store_dword v35, off, s[0:3], 0 offset:104
	;; [unrolled: 1-line block ×4, first 2 shown]
	v_ashrrev_i32_e32 v142, 31, v141
	s_clause 0x1
	global_load_dwordx4 v[29:32], v[158:159], off
	global_load_dwordx4 v[33:36], v[154:155], off
	v_ashrrev_i32_e32 v161, 31, v160
	v_add_nc_u32_e32 v154, s6, v160
	v_add_co_u32 v2, vcc_lo, v144, v2
	v_lshlrev_b64 v[141:142], 4, v[141:142]
	v_lshlrev_b64 v[158:159], 4, v[160:161]
	v_add_nc_u32_e32 v160, s6, v154
	v_add_co_ci_u32_e64 v3, null, v145, v3, vcc_lo
	v_add_co_u32 v156, vcc_lo, v144, v156
	v_add_co_ci_u32_e64 v157, null, v145, v157, vcc_lo
	v_ashrrev_i32_e32 v155, 31, v154
	v_ashrrev_i32_e32 v161, 31, v160
	s_waitcnt vmcnt(34)
	buffer_store_dword v40, off, s[0:3], 0 offset:124
	buffer_store_dword v39, off, s[0:3], 0 offset:120
	;; [unrolled: 1-line block ×4, first 2 shown]
	v_add_co_u32 v141, vcc_lo, v144, v141
	s_waitcnt vmcnt(33)
	buffer_store_dword v44, off, s[0:3], 0 offset:140
	buffer_store_dword v43, off, s[0:3], 0 offset:136
	;; [unrolled: 1-line block ×4, first 2 shown]
	s_clause 0x1
	global_load_dwordx4 v[37:40], v[2:3], off
	global_load_dwordx4 v[41:44], v[156:157], off
	v_add_co_ci_u32_e64 v142, null, v145, v142, vcc_lo
	v_add_co_u32 v2, vcc_lo, v144, v158
	v_add_co_ci_u32_e64 v3, null, v145, v159, vcc_lo
	s_waitcnt vmcnt(34)
	buffer_store_dword v48, off, s[0:3], 0 offset:156
	buffer_store_dword v47, off, s[0:3], 0 offset:152
	buffer_store_dword v46, off, s[0:3], 0 offset:148
	buffer_store_dword v45, off, s[0:3], 0 offset:144
	s_waitcnt vmcnt(33)
	buffer_store_dword v52, off, s[0:3], 0 offset:172
	buffer_store_dword v51, off, s[0:3], 0 offset:168
	buffer_store_dword v50, off, s[0:3], 0 offset:164
	buffer_store_dword v49, off, s[0:3], 0 offset:160
	;; [unrolled: 5-line block ×15, first 2 shown]
	s_waitcnt vmcnt(19)
	buffer_store_dword v108, off, s[0:3], 0 offset:396
	v_add_nc_u32_e32 v55, s6, v160
	v_lshlrev_b64 v[53:54], 4, v[154:155]
	v_lshlrev_b64 v[57:58], 4, v[160:161]
	s_clause 0x1
	global_load_dwordx4 v[45:48], v[141:142], off
	global_load_dwordx4 v[49:52], v[2:3], off
	v_add_nc_u32_e32 v61, s6, v55
	v_ashrrev_i32_e32 v56, 31, v55
	v_add_co_u32 v2, vcc_lo, v144, v53
	v_add_co_ci_u32_e64 v3, null, v145, v54, vcc_lo
	v_add_co_u32 v57, vcc_lo, v144, v57
	v_ashrrev_i32_e32 v62, 31, v61
	v_add_nc_u32_e32 v63, s6, v61
	v_add_co_ci_u32_e64 v58, null, v145, v58, vcc_lo
	v_lshlrev_b64 v[65:66], 4, v[55:56]
	s_clause 0x1
	global_load_dwordx4 v[53:56], v[2:3], off
	global_load_dwordx4 v[57:60], v[57:58], off
	v_lshlrev_b64 v[2:3], 4, v[61:62]
	v_ashrrev_i32_e32 v64, 31, v63
	v_add_nc_u32_e32 v69, s6, v63
	v_add_co_u32 v61, vcc_lo, v144, v65
	v_add_co_ci_u32_e64 v62, null, v145, v66, vcc_lo
	v_lshlrev_b64 v[65:66], 4, v[63:64]
	v_add_co_u32 v2, vcc_lo, v144, v2
	v_add_co_ci_u32_e64 v3, null, v145, v3, vcc_lo
	v_ashrrev_i32_e32 v70, 31, v69
	v_add_co_u32 v71, vcc_lo, v144, v65
	v_add_nc_u32_e32 v73, s6, v69
	global_load_dwordx4 v[61:64], v[61:62], off
	v_add_co_ci_u32_e64 v72, null, v145, v66, vcc_lo
	global_load_dwordx4 v[65:68], v[2:3], off
	v_lshlrev_b64 v[2:3], 4, v[69:70]
	v_add_nc_u32_e32 v77, s6, v73
	v_ashrrev_i32_e32 v74, 31, v73
	global_load_dwordx4 v[69:72], v[71:72], off
	buffer_store_dword v107, off, s[0:3], 0 offset:392
	buffer_store_dword v106, off, s[0:3], 0 offset:388
	v_add_co_u32 v2, vcc_lo, v144, v2
	v_add_co_ci_u32_e64 v3, null, v145, v3, vcc_lo
	v_ashrrev_i32_e32 v78, 31, v77
	v_lshlrev_b64 v[79:80], 4, v[73:74]
	buffer_store_dword v105, off, s[0:3], 0 offset:384
	global_load_dwordx4 v[73:76], v[2:3], off
	v_lshlrev_b64 v[2:3], 4, v[77:78]
	v_add_nc_u32_e32 v77, s6, v77
	v_add_co_u32 v79, vcc_lo, v144, v79
	v_add_co_ci_u32_e64 v80, null, v145, v80, vcc_lo
	v_ashrrev_i32_e32 v78, 31, v77
	v_add_nc_u32_e32 v85, s6, v77
	v_add_co_u32 v2, vcc_lo, v144, v2
	v_add_co_ci_u32_e64 v3, null, v145, v3, vcc_lo
	v_lshlrev_b64 v[89:90], 4, v[77:78]
	v_ashrrev_i32_e32 v86, 31, v85
	v_add_nc_u32_e32 v87, s6, v85
	s_clause 0x1
	global_load_dwordx4 v[77:80], v[79:80], off
	global_load_dwordx4 v[81:84], v[2:3], off
	v_lshlrev_b64 v[2:3], 4, v[85:86]
	v_add_co_u32 v85, vcc_lo, v144, v89
	v_add_co_ci_u32_e64 v86, null, v145, v90, vcc_lo
	v_add_nc_u32_e32 v90, s6, v87
	v_ashrrev_i32_e32 v88, 31, v87
	v_add_co_u32 v2, vcc_lo, v144, v2
	v_add_co_ci_u32_e64 v3, null, v145, v3, vcc_lo
	v_add_nc_u32_e32 v97, s6, v90
	v_lshlrev_b64 v[88:89], 4, v[87:88]
	v_ashrrev_i32_e32 v91, 31, v90
	v_add_nc_u32_e32 v101, s6, v97
	v_ashrrev_i32_e32 v98, 31, v97
	v_lshlrev_b64 v[99:100], 4, v[90:91]
	v_add_co_u32 v93, vcc_lo, v144, v88
	v_add_co_ci_u32_e64 v94, null, v145, v89, vcc_lo
	v_ashrrev_i32_e32 v102, 31, v101
	s_clause 0x2
	global_load_dwordx4 v[85:88], v[85:86], off
	global_load_dwordx4 v[89:92], v[2:3], off
	;; [unrolled: 1-line block ×3, first 2 shown]
	v_lshlrev_b64 v[2:3], 4, v[97:98]
	v_add_co_u32 v97, vcc_lo, v144, v99
	v_add_co_ci_u32_e64 v98, null, v145, v100, vcc_lo
	v_lshlrev_b64 v[99:100], 4, v[101:102]
	v_add_nc_u32_e32 v101, s6, v101
	v_add_co_u32 v2, vcc_lo, v144, v2
	v_add_co_ci_u32_e64 v3, null, v145, v3, vcc_lo
	v_add_nc_u32_e32 v141, s6, v101
	v_ashrrev_i32_e32 v102, 31, v101
	v_add_co_u32 v105, vcc_lo, v144, v99
	v_add_co_ci_u32_e64 v106, null, v145, v100, vcc_lo
	v_ashrrev_i32_e32 v142, 31, v141
	v_lshlrev_b64 v[154:155], 4, v[101:102]
	s_clause 0x2
	global_load_dwordx4 v[97:100], v[97:98], off
	global_load_dwordx4 v[101:104], v[2:3], off
	;; [unrolled: 1-line block ×3, first 2 shown]
	v_lshlrev_b64 v[2:3], 4, v[141:142]
	v_add_co_u32 v141, vcc_lo, v144, v154
	v_add_co_ci_u32_e64 v142, null, v145, v155, vcc_lo
	v_add_co_u32 v2, vcc_lo, v144, v2
	v_add_co_ci_u32_e64 v3, null, v145, v3, vcc_lo
	s_clause 0x1
	global_load_dwordx4 v[154:157], v[141:142], off
	global_load_dwordx4 v[158:161], v[2:3], off
	s_waitcnt vmcnt(35)
	buffer_store_dword v116, off, s[0:3], 0 offset:412
	buffer_store_dword v115, off, s[0:3], 0 offset:408
	buffer_store_dword v114, off, s[0:3], 0 offset:404
	buffer_store_dword v113, off, s[0:3], 0 offset:400
	s_waitcnt vmcnt(34)
	buffer_store_dword v120, off, s[0:3], 0 offset:428
	buffer_store_dword v119, off, s[0:3], 0 offset:424
	buffer_store_dword v118, off, s[0:3], 0 offset:420
	buffer_store_dword v117, off, s[0:3], 0 offset:416
	s_waitcnt vmcnt(33)
	buffer_store_dword v124, off, s[0:3], 0 offset:444
	buffer_store_dword v123, off, s[0:3], 0 offset:440
	buffer_store_dword v122, off, s[0:3], 0 offset:436
	buffer_store_dword v121, off, s[0:3], 0 offset:432
	s_waitcnt vmcnt(32)
	buffer_store_dword v128, off, s[0:3], 0 offset:460
	buffer_store_dword v127, off, s[0:3], 0 offset:456
	buffer_store_dword v126, off, s[0:3], 0 offset:452
	buffer_store_dword v125, off, s[0:3], 0 offset:448
	s_waitcnt vmcnt(31)
	buffer_store_dword v132, off, s[0:3], 0 offset:476
	buffer_store_dword v131, off, s[0:3], 0 offset:472
	buffer_store_dword v130, off, s[0:3], 0 offset:468
	buffer_store_dword v129, off, s[0:3], 0 offset:464
	s_waitcnt vmcnt(30)
	buffer_store_dword v136, off, s[0:3], 0 offset:492
	buffer_store_dword v135, off, s[0:3], 0 offset:488
	buffer_store_dword v134, off, s[0:3], 0 offset:484
	buffer_store_dword v133, off, s[0:3], 0 offset:480
	s_waitcnt vmcnt(29)
	buffer_store_dword v140, off, s[0:3], 0 offset:508
	buffer_store_dword v139, off, s[0:3], 0 offset:504
	buffer_store_dword v138, off, s[0:3], 0 offset:500
	buffer_store_dword v137, off, s[0:3], 0 offset:496
	s_waitcnt vmcnt(28)
	buffer_store_dword v149, off, s[0:3], 0 offset:524
	buffer_store_dword v148, off, s[0:3], 0 offset:520
	buffer_store_dword v147, off, s[0:3], 0 offset:516
	buffer_store_dword v146, off, s[0:3], 0 offset:512
	s_waitcnt vmcnt(27)
	buffer_store_dword v12, off, s[0:3], 0 offset:540
	buffer_store_dword v11, off, s[0:3], 0 offset:536
	buffer_store_dword v10, off, s[0:3], 0 offset:532
	buffer_store_dword v9, off, s[0:3], 0 offset:528
	s_waitcnt vmcnt(26)
	buffer_store_dword v153, off, s[0:3], 0 offset:556
	buffer_store_dword v152, off, s[0:3], 0 offset:552
	buffer_store_dword v151, off, s[0:3], 0 offset:548
	buffer_store_dword v150, off, s[0:3], 0 offset:544
	s_waitcnt vmcnt(25)
	buffer_store_dword v16, off, s[0:3], 0 offset:572
	buffer_store_dword v15, off, s[0:3], 0 offset:568
	buffer_store_dword v14, off, s[0:3], 0 offset:564
	buffer_store_dword v13, off, s[0:3], 0 offset:560
	s_waitcnt vmcnt(24)
	buffer_store_dword v20, off, s[0:3], 0 offset:588
	buffer_store_dword v19, off, s[0:3], 0 offset:584
	buffer_store_dword v18, off, s[0:3], 0 offset:580
	buffer_store_dword v17, off, s[0:3], 0 offset:576
	s_waitcnt vmcnt(23)
	buffer_store_dword v24, off, s[0:3], 0 offset:604
	buffer_store_dword v23, off, s[0:3], 0 offset:600
	buffer_store_dword v22, off, s[0:3], 0 offset:596
	buffer_store_dword v21, off, s[0:3], 0 offset:592
	s_waitcnt vmcnt(22)
	buffer_store_dword v28, off, s[0:3], 0 offset:620
	buffer_store_dword v27, off, s[0:3], 0 offset:616
	buffer_store_dword v26, off, s[0:3], 0 offset:612
	buffer_store_dword v25, off, s[0:3], 0 offset:608
	s_waitcnt vmcnt(21)
	buffer_store_dword v32, off, s[0:3], 0 offset:636
	buffer_store_dword v31, off, s[0:3], 0 offset:632
	buffer_store_dword v30, off, s[0:3], 0 offset:628
	buffer_store_dword v29, off, s[0:3], 0 offset:624
	s_waitcnt vmcnt(20)
	buffer_store_dword v36, off, s[0:3], 0 offset:652
	buffer_store_dword v35, off, s[0:3], 0 offset:648
	buffer_store_dword v34, off, s[0:3], 0 offset:644
	buffer_store_dword v33, off, s[0:3], 0 offset:640
	s_waitcnt vmcnt(19)
	buffer_store_dword v40, off, s[0:3], 0 offset:668
	buffer_store_dword v39, off, s[0:3], 0 offset:664
	buffer_store_dword v38, off, s[0:3], 0 offset:660
	buffer_store_dword v37, off, s[0:3], 0 offset:656
	s_waitcnt vmcnt(18)
	buffer_store_dword v44, off, s[0:3], 0 offset:684
	buffer_store_dword v43, off, s[0:3], 0 offset:680
	buffer_store_dword v42, off, s[0:3], 0 offset:676
	buffer_store_dword v41, off, s[0:3], 0 offset:672
	s_waitcnt vmcnt(17)
	buffer_store_dword v48, off, s[0:3], 0 offset:700
	buffer_store_dword v47, off, s[0:3], 0 offset:696
	buffer_store_dword v46, off, s[0:3], 0 offset:692
	buffer_store_dword v45, off, s[0:3], 0 offset:688
	s_waitcnt vmcnt(16)
	buffer_store_dword v52, off, s[0:3], 0 offset:716
	buffer_store_dword v51, off, s[0:3], 0 offset:712
	buffer_store_dword v50, off, s[0:3], 0 offset:708
	buffer_store_dword v49, off, s[0:3], 0 offset:704
	s_waitcnt vmcnt(15)
	buffer_store_dword v56, off, s[0:3], 0 offset:732
	buffer_store_dword v55, off, s[0:3], 0 offset:728
	buffer_store_dword v54, off, s[0:3], 0 offset:724
	buffer_store_dword v53, off, s[0:3], 0 offset:720
	s_waitcnt vmcnt(14)
	buffer_store_dword v60, off, s[0:3], 0 offset:748
	buffer_store_dword v59, off, s[0:3], 0 offset:744
	buffer_store_dword v58, off, s[0:3], 0 offset:740
	buffer_store_dword v57, off, s[0:3], 0 offset:736
	s_waitcnt vmcnt(13)
	buffer_store_dword v64, off, s[0:3], 0 offset:764
	v_mul_lo_u32 v10, s7, v1
	v_mov_b32_e32 v9, 0
	s_movk_i32 s7, 0x60
	v_lshl_add_u32 v11, v10, 4, 0
	v_lshlrev_b32_e32 v13, 4, v10
	v_add_nc_u32_e32 v1, v11, v4
	buffer_store_dword v63, off, s[0:3], 0 offset:760
	buffer_store_dword v62, off, s[0:3], 0 offset:756
	buffer_store_dword v61, off, s[0:3], 0 offset:752
	s_waitcnt vmcnt(12)
	buffer_store_dword v68, off, s[0:3], 0 offset:780
	buffer_store_dword v67, off, s[0:3], 0 offset:776
	buffer_store_dword v66, off, s[0:3], 0 offset:772
	buffer_store_dword v65, off, s[0:3], 0 offset:768
	s_waitcnt vmcnt(11)
	buffer_store_dword v72, off, s[0:3], 0 offset:796
	;; [unrolled: 5-line block ×13, first 2 shown]
	buffer_store_dword v160, off, s[0:3], 0 offset:968
	buffer_store_dword v159, off, s[0:3], 0 offset:964
	;; [unrolled: 1-line block ×3, first 2 shown]
	ds_write2_b64 v1, v[109:110], v[111:112] offset1:1
	s_waitcnt lgkmcnt(0)
	s_waitcnt_vscnt null, 0x0
	s_barrier
	buffer_gl0_inv
	ds_read2_b64 v[1:4], v11 offset1:1
	s_cbranch_scc1 .LBB120_6
; %bb.4:
	v_add3_u32 v10, v13, 0, 16
	v_mov_b32_e32 v9, 0
	s_mov_b32 s47, 1
	s_inst_prefetch 0x1
	.p2align	6
.LBB120_5:                              ; =>This Inner Loop Header: Depth=1
	s_waitcnt lgkmcnt(0)
	v_cmp_gt_f64_e32 vcc_lo, 0, v[3:4]
	v_cmp_gt_f64_e64 s4, 0, v[1:2]
	ds_read2_b64 v[14:17], v10 offset1:1
	v_xor_b32_e32 v12, 0x80000000, v2
	v_xor_b32_e32 v21, 0x80000000, v4
	v_mov_b32_e32 v18, v1
	v_mov_b32_e32 v20, v3
	v_add_nc_u32_e32 v10, 16, v10
	s_waitcnt lgkmcnt(0)
	v_xor_b32_e32 v23, 0x80000000, v17
	v_cndmask_b32_e64 v19, v2, v12, s4
	v_cndmask_b32_e32 v21, v4, v21, vcc_lo
	v_cmp_gt_f64_e32 vcc_lo, 0, v[16:17]
	v_cmp_gt_f64_e64 s4, 0, v[14:15]
	v_xor_b32_e32 v12, 0x80000000, v15
	v_mov_b32_e32 v22, v16
	v_add_f64 v[18:19], v[18:19], v[20:21]
	v_mov_b32_e32 v20, v14
	v_cndmask_b32_e32 v23, v17, v23, vcc_lo
	v_cndmask_b32_e64 v21, v15, v12, s4
	v_add_f64 v[20:21], v[20:21], v[22:23]
	v_cmp_lt_f64_e32 vcc_lo, v[18:19], v[20:21]
	v_cndmask_b32_e32 v2, v2, v15, vcc_lo
	v_cndmask_b32_e32 v1, v1, v14, vcc_lo
	;; [unrolled: 1-line block ×4, first 2 shown]
	v_cndmask_b32_e64 v9, v9, s47, vcc_lo
	s_add_i32 s47, s47, 1
	s_cmp_eq_u32 s56, s47
	s_cbranch_scc0 .LBB120_5
.LBB120_6:
	s_inst_prefetch 0x2
	s_waitcnt lgkmcnt(0)
	v_cmp_neq_f64_e32 vcc_lo, 0, v[1:2]
	v_cmp_neq_f64_e64 s4, 0, v[3:4]
	v_mov_b32_e32 v12, 1
	v_mov_b32_e32 v15, 1
	s_mov_b32 s81, 16
	s_mov_b32 s79, 32
	;; [unrolled: 1-line block ×55, first 2 shown]
	s_mov_b32 s22, vcc_hi
	s_mov_b32 s19, s16
	s_mov_b32 s18, s17
	;; [unrolled: 1-line block ×4, first 2 shown]
	s_or_b32 s16, vcc_lo, s4
	s_and_saveexec_b32 s4, s16
	s_cbranch_execz .LBB120_12
; %bb.7:
	v_cmp_ngt_f64_e64 s16, |v[1:2]|, |v[3:4]|
	s_and_saveexec_b32 s17, s16
	s_xor_b32 s16, exec_lo, s17
	s_cbranch_execz .LBB120_9
; %bb.8:
	v_div_scale_f64 v[14:15], null, v[3:4], v[3:4], v[1:2]
	v_div_scale_f64 v[20:21], vcc_lo, v[1:2], v[3:4], v[1:2]
	v_rcp_f64_e32 v[16:17], v[14:15]
	v_fma_f64 v[18:19], -v[14:15], v[16:17], 1.0
	v_fma_f64 v[16:17], v[16:17], v[18:19], v[16:17]
	v_fma_f64 v[18:19], -v[14:15], v[16:17], 1.0
	v_fma_f64 v[16:17], v[16:17], v[18:19], v[16:17]
	v_mul_f64 v[18:19], v[20:21], v[16:17]
	v_fma_f64 v[14:15], -v[14:15], v[18:19], v[20:21]
	v_div_fmas_f64 v[14:15], v[14:15], v[16:17], v[18:19]
	v_div_fixup_f64 v[14:15], v[14:15], v[3:4], v[1:2]
	v_fma_f64 v[1:2], v[1:2], v[14:15], v[3:4]
	v_div_scale_f64 v[3:4], null, v[1:2], v[1:2], 1.0
	v_rcp_f64_e32 v[16:17], v[3:4]
	v_fma_f64 v[18:19], -v[3:4], v[16:17], 1.0
	v_fma_f64 v[16:17], v[16:17], v[18:19], v[16:17]
	v_fma_f64 v[18:19], -v[3:4], v[16:17], 1.0
	v_fma_f64 v[16:17], v[16:17], v[18:19], v[16:17]
	v_div_scale_f64 v[18:19], vcc_lo, 1.0, v[1:2], 1.0
	v_mul_f64 v[20:21], v[18:19], v[16:17]
	v_fma_f64 v[3:4], -v[3:4], v[20:21], v[18:19]
	v_div_fmas_f64 v[3:4], v[3:4], v[16:17], v[20:21]
	v_div_fixup_f64 v[3:4], v[3:4], v[1:2], 1.0
	v_mul_f64 v[1:2], v[14:15], v[3:4]
	v_xor_b32_e32 v4, 0x80000000, v4
.LBB120_9:
	s_andn2_saveexec_b32 s16, s16
	s_cbranch_execz .LBB120_11
; %bb.10:
	v_div_scale_f64 v[14:15], null, v[1:2], v[1:2], v[3:4]
	v_div_scale_f64 v[20:21], vcc_lo, v[3:4], v[1:2], v[3:4]
	v_rcp_f64_e32 v[16:17], v[14:15]
	v_fma_f64 v[18:19], -v[14:15], v[16:17], 1.0
	v_fma_f64 v[16:17], v[16:17], v[18:19], v[16:17]
	v_fma_f64 v[18:19], -v[14:15], v[16:17], 1.0
	v_fma_f64 v[16:17], v[16:17], v[18:19], v[16:17]
	v_mul_f64 v[18:19], v[20:21], v[16:17]
	v_fma_f64 v[14:15], -v[14:15], v[18:19], v[20:21]
	v_div_fmas_f64 v[14:15], v[14:15], v[16:17], v[18:19]
	v_div_fixup_f64 v[14:15], v[14:15], v[1:2], v[3:4]
	v_fma_f64 v[1:2], v[3:4], v[14:15], v[1:2]
	v_div_scale_f64 v[3:4], null, v[1:2], v[1:2], 1.0
	v_rcp_f64_e32 v[16:17], v[3:4]
	v_fma_f64 v[18:19], -v[3:4], v[16:17], 1.0
	v_fma_f64 v[16:17], v[16:17], v[18:19], v[16:17]
	v_fma_f64 v[18:19], -v[3:4], v[16:17], 1.0
	v_fma_f64 v[16:17], v[16:17], v[18:19], v[16:17]
	v_div_scale_f64 v[18:19], vcc_lo, 1.0, v[1:2], 1.0
	v_mul_f64 v[20:21], v[18:19], v[16:17]
	v_fma_f64 v[3:4], -v[3:4], v[20:21], v[18:19]
	v_div_fmas_f64 v[3:4], v[3:4], v[16:17], v[20:21]
	v_div_fixup_f64 v[1:2], v[3:4], v[1:2], 1.0
	v_mul_f64 v[3:4], v[14:15], -v[1:2]
.LBB120_11:
	s_or_b32 exec_lo, exec_lo, s16
	v_mov_b32_e32 v15, 0
	v_mov_b32_e32 v12, 2
.LBB120_12:
	s_or_b32 exec_lo, exec_lo, s4
	s_mov_b32 s4, exec_lo
                                        ; implicit-def: $vgpr14
	v_cmpx_ne_u32_e64 v0, v9
	s_xor_b32 s4, exec_lo, s4
	s_cbranch_execz .LBB120_18
; %bb.13:
	s_mov_b32 s16, exec_lo
	v_cmpx_eq_u32_e32 0, v0
	s_cbranch_execz .LBB120_17
; %bb.14:
	v_cmp_ne_u32_e32 vcc_lo, 0, v9
	s_xor_b32 s17, s20, -1
	s_and_b32 s57, s17, vcc_lo
	s_and_saveexec_b32 s17, s57
	s_cbranch_execz .LBB120_16
; %bb.15:
	v_ashrrev_i32_e32 v10, 31, v9
	v_lshlrev_b64 v[16:17], 2, v[9:10]
	v_add_co_u32 v16, vcc_lo, v7, v16
	v_add_co_ci_u32_e64 v17, null, v8, v17, vcc_lo
	s_clause 0x1
	global_load_dword v0, v[16:17], off
	global_load_dword v10, v[7:8], off
	s_waitcnt vmcnt(1)
	global_store_dword v[7:8], v0, off
	s_waitcnt vmcnt(0)
	global_store_dword v[16:17], v10, off
.LBB120_16:
	s_or_b32 exec_lo, exec_lo, s17
	v_mov_b32_e32 v0, v9
.LBB120_17:
	s_or_b32 exec_lo, exec_lo, s16
	v_mov_b32_e32 v14, v0
                                        ; implicit-def: $vgpr0
.LBB120_18:
	s_or_saveexec_b32 s4, s4
	v_mov_b32_e32 v10, v14
	s_xor_b32 exec_lo, exec_lo, s4
	s_cbranch_execz .LBB120_22
; %bb.19:
	s_mov_b32 s80, 16
.LBB120_20:                             ; =>This Inner Loop Header: Depth=1
	v_mov_b32_e32 v14, s80
	s_clause 0x3b
	buffer_load_dword v9, v14, s[0:3], 0 offen
	buffer_load_dword v10, v14, s[0:3], 0 offen offset:4
	buffer_load_dword v16, v14, s[0:3], 0 offen offset:8
	buffer_load_dword v17, v14, s[0:3], 0 offen offset:12
	buffer_load_dword v18, v14, s[0:3], 0 offen offset:16
	buffer_load_dword v19, v14, s[0:3], 0 offen offset:20
	buffer_load_dword v20, v14, s[0:3], 0 offen offset:24
	buffer_load_dword v21, v14, s[0:3], 0 offen offset:28
	buffer_load_dword v22, v14, s[0:3], 0 offen offset:32
	buffer_load_dword v23, v14, s[0:3], 0 offen offset:36
	buffer_load_dword v24, v14, s[0:3], 0 offen offset:40
	buffer_load_dword v25, v14, s[0:3], 0 offen offset:44
	buffer_load_dword v26, v14, s[0:3], 0 offen offset:48
	buffer_load_dword v27, v14, s[0:3], 0 offen offset:52
	buffer_load_dword v28, v14, s[0:3], 0 offen offset:56
	buffer_load_dword v29, v14, s[0:3], 0 offen offset:60
	buffer_load_dword v31, v14, s[0:3], 0 offen offset:76
	buffer_load_dword v33, v14, s[0:3], 0 offen offset:92
	buffer_load_dword v32, v14, s[0:3], 0 offen offset:88
	buffer_load_dword v35, v14, s[0:3], 0 offen offset:84
	buffer_load_dword v34, v14, s[0:3], 0 offen offset:80
	buffer_load_dword v30, v14, s[0:3], 0 offen offset:72
	buffer_load_dword v37, v14, s[0:3], 0 offen offset:68
	buffer_load_dword v36, v14, s[0:3], 0 offen offset:64
	buffer_load_dword v39, v14, s[0:3], 0 offen offset:108
	buffer_load_dword v41, v14, s[0:3], 0 offen offset:124
	buffer_load_dword v40, v14, s[0:3], 0 offen offset:120
	buffer_load_dword v43, v14, s[0:3], 0 offen offset:116
	buffer_load_dword v42, v14, s[0:3], 0 offen offset:112
	buffer_load_dword v38, v14, s[0:3], 0 offen offset:104
	buffer_load_dword v45, v14, s[0:3], 0 offen offset:100
	buffer_load_dword v44, v14, s[0:3], 0 offen offset:96
	buffer_load_dword v46, v14, s[0:3], 0 offen offset:128
	buffer_load_dword v47, v14, s[0:3], 0 offen offset:132
	buffer_load_dword v48, v14, s[0:3], 0 offen offset:136
	buffer_load_dword v49, v14, s[0:3], 0 offen offset:140
	buffer_load_dword v50, v14, s[0:3], 0 offen offset:144
	buffer_load_dword v51, v14, s[0:3], 0 offen offset:148
	buffer_load_dword v52, v14, s[0:3], 0 offen offset:152
	buffer_load_dword v53, v14, s[0:3], 0 offen offset:156
	buffer_load_dword v54, v14, s[0:3], 0 offen offset:160
	buffer_load_dword v55, v14, s[0:3], 0 offen offset:164
	buffer_load_dword v56, v14, s[0:3], 0 offen offset:168
	buffer_load_dword v57, v14, s[0:3], 0 offen offset:172
	buffer_load_dword v58, v14, s[0:3], 0 offen offset:176
	buffer_load_dword v59, v14, s[0:3], 0 offen offset:180
	buffer_load_dword v60, v14, s[0:3], 0 offen offset:184
	buffer_load_dword v61, v14, s[0:3], 0 offen offset:188
	buffer_load_dword v62, v14, s[0:3], 0 offen offset:192
	buffer_load_dword v63, v14, s[0:3], 0 offen offset:196
	buffer_load_dword v64, v14, s[0:3], 0 offen offset:200
	buffer_load_dword v65, v14, s[0:3], 0 offen offset:204
	buffer_load_dword v66, v14, s[0:3], 0 offen offset:208
	buffer_load_dword v67, v14, s[0:3], 0 offen offset:212
	buffer_load_dword v68, v14, s[0:3], 0 offen offset:216
	buffer_load_dword v69, v14, s[0:3], 0 offen offset:220
	buffer_load_dword v70, v14, s[0:3], 0 offen offset:224
	buffer_load_dword v71, v14, s[0:3], 0 offen offset:228
	buffer_load_dword v72, v14, s[0:3], 0 offen offset:232
	buffer_load_dword v73, v14, s[0:3], 0 offen offset:236
	v_add_nc_u32_e32 v14, s80, v11
	s_addk_i32 s80, 0xf0
	s_waitcnt vmcnt(56)
	ds_write2_b64 v14, v[9:10], v[16:17] offset1:1
	s_waitcnt vmcnt(52)
	ds_write2_b64 v14, v[18:19], v[20:21] offset0:2 offset1:3
	s_waitcnt vmcnt(48)
	ds_write2_b64 v14, v[22:23], v[24:25] offset0:4 offset1:5
	;; [unrolled: 2-line block ×4, first 2 shown]
	ds_write2_b64 v14, v[34:35], v[32:33] offset0:10 offset1:11
	s_waitcnt vmcnt(28)
	ds_write2_b64 v14, v[44:45], v[38:39] offset0:12 offset1:13
	ds_write2_b64 v14, v[42:43], v[40:41] offset0:14 offset1:15
	s_waitcnt vmcnt(24)
	ds_write2_b64 v14, v[46:47], v[48:49] offset0:16 offset1:17
	s_waitcnt vmcnt(20)
	;; [unrolled: 2-line block ×7, first 2 shown]
	ds_write2_b64 v14, v[70:71], v[72:73] offset0:28 offset1:29
	s_cmpk_eq_i32 s80, 0x3d0
	s_cbranch_scc0 .LBB120_20
; %bb.21:
	v_mov_b32_e32 v14, 0
	v_mov_b32_e32 v10, v0
.LBB120_22:
	s_or_b32 exec_lo, exec_lo, s4
	s_mov_b32 s4, exec_lo
	s_waitcnt lgkmcnt(0)
	s_waitcnt_vscnt null, 0x0
	s_barrier
	buffer_gl0_inv
	v_cmpx_lt_i32_e32 0, v14
	s_cbranch_execz .LBB120_25
; %bb.23:
	s_clause 0x3
	buffer_load_dword v16, off, s[0:3], 0 offset:8
	buffer_load_dword v17, off, s[0:3], 0 offset:12
	buffer_load_dword v18, off, s[0:3], 0
	buffer_load_dword v19, off, s[0:3], 0 offset:4
	s_mov_b32 s80, 16
	s_waitcnt vmcnt(2)
	v_mul_f64 v[20:21], v[3:4], v[16:17]
	v_mul_f64 v[16:17], v[1:2], v[16:17]
	s_waitcnt vmcnt(0)
	v_fma_f64 v[0:1], v[1:2], v[18:19], -v[20:21]
	v_fma_f64 v[2:3], v[3:4], v[18:19], v[16:17]
	buffer_store_dword v0, off, s[0:3], 0
	buffer_store_dword v1, off, s[0:3], 0 offset:4
	buffer_store_dword v2, off, s[0:3], 0 offset:8
	;; [unrolled: 1-line block ×3, first 2 shown]
.LBB120_24:                             ; =>This Inner Loop Header: Depth=1
	v_mov_b32_e32 v4, s80
	v_add_nc_u32_e32 v9, s80, v11
	s_addk_i32 s80, 0x60
	s_clause 0x17
	buffer_load_dword v40, v4, s[0:3], 0 offen
	buffer_load_dword v41, v4, s[0:3], 0 offen offset:4
	buffer_load_dword v42, v4, s[0:3], 0 offen offset:8
	;; [unrolled: 1-line block ×23, first 2 shown]
	ds_read2_b64 v[16:19], v9 offset1:1
	ds_read2_b64 v[20:23], v9 offset0:2 offset1:3
	ds_read2_b64 v[24:27], v9 offset0:4 offset1:5
	;; [unrolled: 1-line block ×5, first 2 shown]
	s_cmpk_lg_i32 s80, 0x3d0
	s_waitcnt lgkmcnt(5)
	v_mul_f64 v[64:65], v[18:19], v[2:3]
	v_mul_f64 v[66:67], v[16:17], v[2:3]
	s_waitcnt lgkmcnt(4)
	v_mul_f64 v[68:69], v[22:23], v[2:3]
	v_mul_f64 v[70:71], v[20:21], v[2:3]
	;; [unrolled: 3-line block ×6, first 2 shown]
	v_fma_f64 v[16:17], v[16:17], v[0:1], -v[64:65]
	v_fma_f64 v[18:19], v[18:19], v[0:1], v[66:67]
	v_fma_f64 v[20:21], v[20:21], v[0:1], -v[68:69]
	v_fma_f64 v[22:23], v[22:23], v[0:1], v[70:71]
	;; [unrolled: 2-line block ×6, first 2 shown]
	s_waitcnt vmcnt(22)
	v_add_f64 v[16:17], v[40:41], -v[16:17]
	s_waitcnt vmcnt(20)
	v_add_f64 v[18:19], v[42:43], -v[18:19]
	;; [unrolled: 2-line block ×12, first 2 shown]
	buffer_store_dword v16, v4, s[0:3], 0 offen
	buffer_store_dword v17, v4, s[0:3], 0 offen offset:4
	buffer_store_dword v18, v4, s[0:3], 0 offen offset:8
	;; [unrolled: 1-line block ×23, first 2 shown]
	s_cbranch_scc1 .LBB120_24
.LBB120_25:
	s_or_b32 exec_lo, exec_lo, s4
	v_mov_b32_e32 v3, s81
	s_waitcnt_vscnt null, 0x0
	s_barrier
	buffer_gl0_inv
	v_lshl_add_u32 v4, v14, 4, v11
	s_clause 0x3
	buffer_load_dword v0, v3, s[0:3], 0 offen
	buffer_load_dword v1, v3, s[0:3], 0 offen offset:4
	buffer_load_dword v2, v3, s[0:3], 0 offen offset:8
	;; [unrolled: 1-line block ×3, first 2 shown]
	v_mov_b32_e32 v9, 1
	s_cmp_lt_i32 s56, 3
	s_waitcnt vmcnt(0)
	ds_write2_b64 v4, v[0:1], v[2:3] offset1:1
	s_waitcnt lgkmcnt(0)
	s_barrier
	buffer_gl0_inv
	ds_read2_b64 v[0:3], v11 offset0:2 offset1:3
	s_cbranch_scc1 .LBB120_28
; %bb.26:
	v_add3_u32 v4, v13, 0, 32
	v_mov_b32_e32 v9, 1
	s_mov_b32 s16, 2
	s_inst_prefetch 0x1
	.p2align	6
.LBB120_27:                             ; =>This Inner Loop Header: Depth=1
	s_waitcnt lgkmcnt(0)
	v_cmp_gt_f64_e32 vcc_lo, 0, v[2:3]
	v_cmp_gt_f64_e64 s4, 0, v[0:1]
	ds_read2_b64 v[16:19], v4 offset1:1
	v_xor_b32_e32 v21, 0x80000000, v1
	v_xor_b32_e32 v23, 0x80000000, v3
	v_mov_b32_e32 v20, v0
	v_mov_b32_e32 v22, v2
	v_add_nc_u32_e32 v4, 16, v4
	s_waitcnt lgkmcnt(0)
	v_xor_b32_e32 v25, 0x80000000, v19
	v_cndmask_b32_e64 v21, v1, v21, s4
	v_cndmask_b32_e32 v23, v3, v23, vcc_lo
	v_cmp_gt_f64_e32 vcc_lo, 0, v[18:19]
	v_cmp_gt_f64_e64 s4, 0, v[16:17]
	v_mov_b32_e32 v24, v18
	v_add_f64 v[20:21], v[20:21], v[22:23]
	v_xor_b32_e32 v23, 0x80000000, v17
	v_mov_b32_e32 v22, v16
	v_cndmask_b32_e32 v25, v19, v25, vcc_lo
	v_cndmask_b32_e64 v23, v17, v23, s4
	v_add_f64 v[22:23], v[22:23], v[24:25]
	v_cmp_lt_f64_e32 vcc_lo, v[20:21], v[22:23]
	v_cndmask_b32_e32 v1, v1, v17, vcc_lo
	v_cndmask_b32_e32 v0, v0, v16, vcc_lo
	;; [unrolled: 1-line block ×4, first 2 shown]
	v_cndmask_b32_e64 v9, v9, s16, vcc_lo
	s_add_i32 s16, s16, 1
	s_cmp_lg_u32 s56, s16
	s_cbranch_scc1 .LBB120_27
.LBB120_28:
	s_inst_prefetch 0x2
	s_waitcnt lgkmcnt(0)
	v_cmp_neq_f64_e32 vcc_lo, 0, v[0:1]
	v_cmp_neq_f64_e64 s4, 0, v[2:3]
	s_or_b32 s16, vcc_lo, s4
	s_and_saveexec_b32 s4, s16
	s_cbranch_execz .LBB120_34
; %bb.29:
	v_cmp_ngt_f64_e64 s16, |v[0:1]|, |v[2:3]|
	s_and_saveexec_b32 s17, s16
	s_xor_b32 s16, exec_lo, s17
	s_cbranch_execz .LBB120_31
; %bb.30:
	v_div_scale_f64 v[16:17], null, v[2:3], v[2:3], v[0:1]
	v_div_scale_f64 v[22:23], vcc_lo, v[0:1], v[2:3], v[0:1]
	v_rcp_f64_e32 v[18:19], v[16:17]
	v_fma_f64 v[20:21], -v[16:17], v[18:19], 1.0
	v_fma_f64 v[18:19], v[18:19], v[20:21], v[18:19]
	v_fma_f64 v[20:21], -v[16:17], v[18:19], 1.0
	v_fma_f64 v[18:19], v[18:19], v[20:21], v[18:19]
	v_mul_f64 v[20:21], v[22:23], v[18:19]
	v_fma_f64 v[16:17], -v[16:17], v[20:21], v[22:23]
	v_div_fmas_f64 v[16:17], v[16:17], v[18:19], v[20:21]
	v_div_fixup_f64 v[16:17], v[16:17], v[2:3], v[0:1]
	v_fma_f64 v[0:1], v[0:1], v[16:17], v[2:3]
	v_div_scale_f64 v[2:3], null, v[0:1], v[0:1], 1.0
	v_rcp_f64_e32 v[18:19], v[2:3]
	v_fma_f64 v[20:21], -v[2:3], v[18:19], 1.0
	v_fma_f64 v[18:19], v[18:19], v[20:21], v[18:19]
	v_fma_f64 v[20:21], -v[2:3], v[18:19], 1.0
	v_fma_f64 v[18:19], v[18:19], v[20:21], v[18:19]
	v_div_scale_f64 v[20:21], vcc_lo, 1.0, v[0:1], 1.0
	v_mul_f64 v[22:23], v[20:21], v[18:19]
	v_fma_f64 v[2:3], -v[2:3], v[22:23], v[20:21]
	v_div_fmas_f64 v[2:3], v[2:3], v[18:19], v[22:23]
	v_div_fixup_f64 v[2:3], v[2:3], v[0:1], 1.0
	v_mul_f64 v[0:1], v[16:17], v[2:3]
	v_xor_b32_e32 v3, 0x80000000, v3
.LBB120_31:
	s_andn2_saveexec_b32 s16, s16
	s_cbranch_execz .LBB120_33
; %bb.32:
	v_div_scale_f64 v[16:17], null, v[0:1], v[0:1], v[2:3]
	v_div_scale_f64 v[22:23], vcc_lo, v[2:3], v[0:1], v[2:3]
	v_rcp_f64_e32 v[18:19], v[16:17]
	v_fma_f64 v[20:21], -v[16:17], v[18:19], 1.0
	v_fma_f64 v[18:19], v[18:19], v[20:21], v[18:19]
	v_fma_f64 v[20:21], -v[16:17], v[18:19], 1.0
	v_fma_f64 v[18:19], v[18:19], v[20:21], v[18:19]
	v_mul_f64 v[20:21], v[22:23], v[18:19]
	v_fma_f64 v[16:17], -v[16:17], v[20:21], v[22:23]
	v_div_fmas_f64 v[16:17], v[16:17], v[18:19], v[20:21]
	v_div_fixup_f64 v[16:17], v[16:17], v[0:1], v[2:3]
	v_fma_f64 v[0:1], v[2:3], v[16:17], v[0:1]
	v_div_scale_f64 v[2:3], null, v[0:1], v[0:1], 1.0
	v_rcp_f64_e32 v[18:19], v[2:3]
	v_fma_f64 v[20:21], -v[2:3], v[18:19], 1.0
	v_fma_f64 v[18:19], v[18:19], v[20:21], v[18:19]
	v_fma_f64 v[20:21], -v[2:3], v[18:19], 1.0
	v_fma_f64 v[18:19], v[18:19], v[20:21], v[18:19]
	v_div_scale_f64 v[20:21], vcc_lo, 1.0, v[0:1], 1.0
	v_mul_f64 v[22:23], v[20:21], v[18:19]
	v_fma_f64 v[2:3], -v[2:3], v[22:23], v[20:21]
	v_div_fmas_f64 v[2:3], v[2:3], v[18:19], v[22:23]
	v_div_fixup_f64 v[0:1], v[2:3], v[0:1], 1.0
	v_mul_f64 v[2:3], v[16:17], -v[0:1]
.LBB120_33:
	s_or_b32 exec_lo, exec_lo, s16
	v_mov_b32_e32 v12, v15
.LBB120_34:
	s_or_b32 exec_lo, exec_lo, s4
	s_mov_b32 s4, exec_lo
	v_cmpx_ne_u32_e64 v14, v9
	s_xor_b32 s4, exec_lo, s4
	s_cbranch_execz .LBB120_40
; %bb.35:
	s_mov_b32 s16, exec_lo
	v_cmpx_eq_u32_e32 1, v14
	s_cbranch_execz .LBB120_39
; %bb.36:
	v_cmp_ne_u32_e32 vcc_lo, 1, v9
	s_xor_b32 s17, s20, -1
	s_and_b32 s57, s17, vcc_lo
	s_and_saveexec_b32 s17, s57
	s_cbranch_execz .LBB120_38
; %bb.37:
	v_ashrrev_i32_e32 v10, 31, v9
	v_lshlrev_b64 v[14:15], 2, v[9:10]
	v_add_co_u32 v14, vcc_lo, v7, v14
	v_add_co_ci_u32_e64 v15, null, v8, v15, vcc_lo
	s_clause 0x1
	global_load_dword v4, v[14:15], off
	global_load_dword v10, v[7:8], off offset:4
	s_waitcnt vmcnt(1)
	global_store_dword v[7:8], v4, off offset:4
	s_waitcnt vmcnt(0)
	global_store_dword v[14:15], v10, off
.LBB120_38:
	s_or_b32 exec_lo, exec_lo, s17
	v_mov_b32_e32 v14, v9
	v_mov_b32_e32 v10, v9
.LBB120_39:
	s_or_b32 exec_lo, exec_lo, s16
.LBB120_40:
	s_andn2_saveexec_b32 s4, s4
	s_cbranch_execz .LBB120_46
; %bb.41:
	s_mov_b32 s16, 32
	s_branch .LBB120_43
.LBB120_42:                             ;   in Loop: Header=BB120_43 Depth=1
	s_andn2_b32 vcc_lo, exec_lo, s57
	s_cbranch_vccz .LBB120_45
.LBB120_43:                             ; =>This Inner Loop Header: Depth=1
	v_mov_b32_e32 v4, s16
	s_mov_b32 s17, s16
	s_mov_b32 s57, -1
	s_cmpk_eq_i32 s16, 0x3a0
	s_clause 0xb
	buffer_load_dword v14, v4, s[0:3], 0 offen
	buffer_load_dword v15, v4, s[0:3], 0 offen offset:4
	buffer_load_dword v16, v4, s[0:3], 0 offen offset:8
	buffer_load_dword v17, v4, s[0:3], 0 offen offset:12
	buffer_load_dword v18, v4, s[0:3], 0 offen offset:16
	buffer_load_dword v19, v4, s[0:3], 0 offen offset:20
	buffer_load_dword v20, v4, s[0:3], 0 offen offset:24
	buffer_load_dword v21, v4, s[0:3], 0 offen offset:28
	buffer_load_dword v22, v4, s[0:3], 0 offen offset:32
	buffer_load_dword v23, v4, s[0:3], 0 offen offset:36
	buffer_load_dword v24, v4, s[0:3], 0 offen offset:40
	buffer_load_dword v25, v4, s[0:3], 0 offen offset:44
	v_add_nc_u32_e32 v4, s16, v11
	s_waitcnt vmcnt(8)
	ds_write2_b64 v4, v[14:15], v[16:17] offset1:1
	s_waitcnt vmcnt(4)
	ds_write2_b64 v4, v[18:19], v[20:21] offset0:2 offset1:3
	s_waitcnt vmcnt(0)
	ds_write2_b64 v4, v[22:23], v[24:25] offset0:4 offset1:5
	s_cbranch_scc1 .LBB120_42
; %bb.44:                               ;   in Loop: Header=BB120_43 Depth=1
	v_mov_b32_e32 v9, s17
	s_addk_i32 s16, 0x80
	s_mov_b32 s57, 0
	s_clause 0x13
	buffer_load_dword v14, v9, s[0:3], 0 offen offset:48
	buffer_load_dword v15, v9, s[0:3], 0 offen offset:52
	buffer_load_dword v16, v9, s[0:3], 0 offen offset:56
	buffer_load_dword v17, v9, s[0:3], 0 offen offset:60
	buffer_load_dword v18, v9, s[0:3], 0 offen offset:64
	buffer_load_dword v19, v9, s[0:3], 0 offen offset:68
	buffer_load_dword v20, v9, s[0:3], 0 offen offset:72
	buffer_load_dword v21, v9, s[0:3], 0 offen offset:76
	buffer_load_dword v22, v9, s[0:3], 0 offen offset:80
	buffer_load_dword v23, v9, s[0:3], 0 offen offset:84
	buffer_load_dword v24, v9, s[0:3], 0 offen offset:88
	buffer_load_dword v25, v9, s[0:3], 0 offen offset:92
	buffer_load_dword v26, v9, s[0:3], 0 offen offset:96
	buffer_load_dword v27, v9, s[0:3], 0 offen offset:100
	buffer_load_dword v28, v9, s[0:3], 0 offen offset:104
	buffer_load_dword v29, v9, s[0:3], 0 offen offset:108
	buffer_load_dword v31, v9, s[0:3], 0 offen offset:124
	buffer_load_dword v30, v9, s[0:3], 0 offen offset:120
	buffer_load_dword v33, v9, s[0:3], 0 offen offset:116
	buffer_load_dword v32, v9, s[0:3], 0 offen offset:112
	s_waitcnt vmcnt(16)
	ds_write2_b64 v4, v[14:15], v[16:17] offset0:6 offset1:7
	s_waitcnt vmcnt(12)
	ds_write2_b64 v4, v[18:19], v[20:21] offset0:8 offset1:9
	;; [unrolled: 2-line block ×5, first 2 shown]
	s_branch .LBB120_42
.LBB120_45:
	v_mov_b32_e32 v14, 1
.LBB120_46:
	s_or_b32 exec_lo, exec_lo, s4
	s_mov_b32 s4, exec_lo
	s_waitcnt lgkmcnt(0)
	s_waitcnt_vscnt null, 0x0
	s_barrier
	buffer_gl0_inv
	v_cmpx_lt_i32_e32 1, v14
	s_cbranch_execz .LBB120_51
; %bb.47:
	s_clause 0x3
	buffer_load_dword v15, off, s[0:3], 0 offset:24
	buffer_load_dword v16, off, s[0:3], 0 offset:28
	;; [unrolled: 1-line block ×4, first 2 shown]
	s_mov_b32 s80, 32
	s_waitcnt vmcnt(2)
	v_mul_f64 v[19:20], v[2:3], v[15:16]
	v_mul_f64 v[15:16], v[0:1], v[15:16]
	s_waitcnt vmcnt(0)
	v_fma_f64 v[0:1], v[0:1], v[17:18], -v[19:20]
	v_fma_f64 v[2:3], v[2:3], v[17:18], v[15:16]
	buffer_store_dword v0, off, s[0:3], 0 offset:16
	buffer_store_dword v1, off, s[0:3], 0 offset:20
	;; [unrolled: 1-line block ×4, first 2 shown]
	s_branch .LBB120_49
.LBB120_48:                             ;   in Loop: Header=BB120_49 Depth=1
	s_andn2_b32 vcc_lo, exec_lo, s17
	s_cbranch_vccz .LBB120_51
.LBB120_49:                             ; =>This Inner Loop Header: Depth=1
	v_mov_b32_e32 v9, s80
	v_add_nc_u32_e32 v4, s80, v11
	s_mov_b32 s16, s80
	s_mov_b32 s17, -1
	s_cmpk_eq_i32 s80, 0x3a0
	s_clause 0x3
	buffer_load_dword v23, v9, s[0:3], 0 offen
	buffer_load_dword v24, v9, s[0:3], 0 offen offset:4
	buffer_load_dword v25, v9, s[0:3], 0 offen offset:8
	;; [unrolled: 1-line block ×3, first 2 shown]
	ds_read2_b64 v[15:18], v4 offset1:1
	ds_read2_b64 v[19:22], v4 offset0:2 offset1:3
	s_waitcnt lgkmcnt(1)
	v_mul_f64 v[27:28], v[17:18], v[2:3]
	v_mul_f64 v[2:3], v[15:16], v[2:3]
	v_fma_f64 v[15:16], v[15:16], v[0:1], -v[27:28]
	v_fma_f64 v[0:1], v[17:18], v[0:1], v[2:3]
	s_clause 0x3
	buffer_load_dword v27, v9, s[0:3], 0 offen offset:20
	buffer_load_dword v29, v9, s[0:3], 0 offen offset:28
	;; [unrolled: 1-line block ×4, first 2 shown]
	s_waitcnt vmcnt(6)
	v_add_f64 v[2:3], v[23:24], -v[15:16]
	s_waitcnt vmcnt(4)
	v_add_f64 v[0:1], v[25:26], -v[0:1]
	buffer_store_dword v3, v9, s[0:3], 0 offen offset:4
	buffer_store_dword v2, v9, s[0:3], 0 offen
	buffer_store_dword v1, v9, s[0:3], 0 offen offset:12
	buffer_store_dword v0, v9, s[0:3], 0 offen offset:8
	s_clause 0x7
	buffer_load_dword v28, v9, s[0:3], 0 offen offset:24
	buffer_load_dword v30, v9, s[0:3], 0 offen offset:32
	buffer_load_dword v32, v9, s[0:3], 0 offen offset:40
	buffer_load_dword v3, off, s[0:3], 0 offset:28
	buffer_load_dword v2, off, s[0:3], 0 offset:24
	;; [unrolled: 1-line block ×4, first 2 shown]
	buffer_load_dword v26, v9, s[0:3], 0 offen offset:16
	ds_read2_b64 v[15:18], v4 offset0:4 offset1:5
	s_waitcnt vmcnt(3) lgkmcnt(1)
	v_mul_f64 v[23:24], v[21:22], v[2:3]
	v_mul_f64 v[34:35], v[19:20], v[2:3]
	s_waitcnt lgkmcnt(0)
	v_mul_f64 v[36:37], v[17:18], v[2:3]
	v_mul_f64 v[38:39], v[15:16], v[2:3]
	s_waitcnt vmcnt(1)
	v_fma_f64 v[19:20], v[19:20], v[0:1], -v[23:24]
	v_fma_f64 v[21:22], v[21:22], v[0:1], v[34:35]
	v_fma_f64 v[15:16], v[15:16], v[0:1], -v[36:37]
	v_fma_f64 v[17:18], v[17:18], v[0:1], v[38:39]
	s_waitcnt vmcnt(0)
	v_add_f64 v[19:20], v[26:27], -v[19:20]
	v_add_f64 v[21:22], v[28:29], -v[21:22]
	;; [unrolled: 1-line block ×4, first 2 shown]
	buffer_store_dword v20, v9, s[0:3], 0 offen offset:20
	buffer_store_dword v19, v9, s[0:3], 0 offen offset:16
	;; [unrolled: 1-line block ×8, first 2 shown]
	s_cbranch_scc1 .LBB120_48
; %bb.50:                               ;   in Loop: Header=BB120_49 Depth=1
	v_mov_b32_e32 v9, s16
	s_add_i32 s80, s80, 64
	s_mov_b32 s17, 0
	s_clause 0x3
	buffer_load_dword v19, v9, s[0:3], 0 offen offset:48
	buffer_load_dword v20, v9, s[0:3], 0 offen offset:52
	;; [unrolled: 1-line block ×4, first 2 shown]
	ds_read2_b64 v[15:18], v4 offset0:6 offset1:7
	s_waitcnt lgkmcnt(0)
	v_mul_f64 v[23:24], v[17:18], v[2:3]
	v_mul_f64 v[25:26], v[15:16], v[2:3]
	v_fma_f64 v[15:16], v[15:16], v[0:1], -v[23:24]
	v_fma_f64 v[17:18], v[17:18], v[0:1], v[25:26]
	s_waitcnt vmcnt(2)
	v_add_f64 v[15:16], v[19:20], -v[15:16]
	s_waitcnt vmcnt(0)
	v_add_f64 v[17:18], v[21:22], -v[17:18]
	buffer_store_dword v15, v9, s[0:3], 0 offen offset:48
	buffer_store_dword v16, v9, s[0:3], 0 offen offset:52
	;; [unrolled: 1-line block ×4, first 2 shown]
	s_branch .LBB120_48
.LBB120_51:
	s_or_b32 exec_lo, exec_lo, s4
	v_mov_b32_e32 v3, s79
	s_waitcnt_vscnt null, 0x0
	s_barrier
	buffer_gl0_inv
	v_lshl_add_u32 v4, v14, 4, v11
	s_clause 0x3
	buffer_load_dword v0, v3, s[0:3], 0 offen
	buffer_load_dword v1, v3, s[0:3], 0 offen offset:4
	buffer_load_dword v2, v3, s[0:3], 0 offen offset:8
	;; [unrolled: 1-line block ×3, first 2 shown]
	v_mov_b32_e32 v9, 2
	s_cmp_lt_i32 s56, 4
	s_waitcnt vmcnt(0)
	ds_write2_b64 v4, v[0:1], v[2:3] offset1:1
	s_waitcnt lgkmcnt(0)
	s_barrier
	buffer_gl0_inv
	ds_read2_b64 v[0:3], v11 offset0:4 offset1:5
	s_cbranch_scc1 .LBB120_54
; %bb.52:
	v_add3_u32 v4, v13, 0, 48
	v_mov_b32_e32 v9, 2
	s_mov_b32 s16, 3
	s_inst_prefetch 0x1
	.p2align	6
.LBB120_53:                             ; =>This Inner Loop Header: Depth=1
	s_waitcnt lgkmcnt(0)
	v_cmp_gt_f64_e32 vcc_lo, 0, v[2:3]
	v_cmp_gt_f64_e64 s4, 0, v[0:1]
	ds_read2_b64 v[15:18], v4 offset1:1
	v_xor_b32_e32 v20, 0x80000000, v1
	v_xor_b32_e32 v22, 0x80000000, v3
	v_mov_b32_e32 v19, v0
	v_mov_b32_e32 v21, v2
	v_add_nc_u32_e32 v4, 16, v4
	s_waitcnt lgkmcnt(0)
	v_xor_b32_e32 v24, 0x80000000, v18
	v_cndmask_b32_e64 v20, v1, v20, s4
	v_cndmask_b32_e32 v22, v3, v22, vcc_lo
	v_cmp_gt_f64_e32 vcc_lo, 0, v[17:18]
	v_cmp_gt_f64_e64 s4, 0, v[15:16]
	v_mov_b32_e32 v23, v17
	v_add_f64 v[19:20], v[19:20], v[21:22]
	v_xor_b32_e32 v22, 0x80000000, v16
	v_mov_b32_e32 v21, v15
	v_cndmask_b32_e32 v24, v18, v24, vcc_lo
	v_cndmask_b32_e64 v22, v16, v22, s4
	v_add_f64 v[21:22], v[21:22], v[23:24]
	v_cmp_lt_f64_e32 vcc_lo, v[19:20], v[21:22]
	v_cndmask_b32_e32 v1, v1, v16, vcc_lo
	v_cndmask_b32_e32 v0, v0, v15, vcc_lo
	;; [unrolled: 1-line block ×4, first 2 shown]
	v_cndmask_b32_e64 v9, v9, s16, vcc_lo
	s_add_i32 s16, s16, 1
	s_cmp_lg_u32 s56, s16
	s_cbranch_scc1 .LBB120_53
.LBB120_54:
	s_inst_prefetch 0x2
	s_waitcnt lgkmcnt(0)
	v_cmp_eq_f64_e32 vcc_lo, 0, v[0:1]
	v_cmp_eq_f64_e64 s4, 0, v[2:3]
	s_and_b32 s4, vcc_lo, s4
	s_and_saveexec_b32 s16, s4
	s_xor_b32 s4, exec_lo, s16
; %bb.55:
	v_cmp_ne_u32_e32 vcc_lo, 0, v12
	v_cndmask_b32_e32 v12, 3, v12, vcc_lo
; %bb.56:
	s_andn2_saveexec_b32 s4, s4
	s_cbranch_execz .LBB120_62
; %bb.57:
	v_cmp_ngt_f64_e64 s16, |v[0:1]|, |v[2:3]|
	s_and_saveexec_b32 s17, s16
	s_xor_b32 s16, exec_lo, s17
	s_cbranch_execz .LBB120_59
; %bb.58:
	v_div_scale_f64 v[15:16], null, v[2:3], v[2:3], v[0:1]
	v_div_scale_f64 v[21:22], vcc_lo, v[0:1], v[2:3], v[0:1]
	v_rcp_f64_e32 v[17:18], v[15:16]
	v_fma_f64 v[19:20], -v[15:16], v[17:18], 1.0
	v_fma_f64 v[17:18], v[17:18], v[19:20], v[17:18]
	v_fma_f64 v[19:20], -v[15:16], v[17:18], 1.0
	v_fma_f64 v[17:18], v[17:18], v[19:20], v[17:18]
	v_mul_f64 v[19:20], v[21:22], v[17:18]
	v_fma_f64 v[15:16], -v[15:16], v[19:20], v[21:22]
	v_div_fmas_f64 v[15:16], v[15:16], v[17:18], v[19:20]
	v_div_fixup_f64 v[15:16], v[15:16], v[2:3], v[0:1]
	v_fma_f64 v[0:1], v[0:1], v[15:16], v[2:3]
	v_div_scale_f64 v[2:3], null, v[0:1], v[0:1], 1.0
	v_rcp_f64_e32 v[17:18], v[2:3]
	v_fma_f64 v[19:20], -v[2:3], v[17:18], 1.0
	v_fma_f64 v[17:18], v[17:18], v[19:20], v[17:18]
	v_fma_f64 v[19:20], -v[2:3], v[17:18], 1.0
	v_fma_f64 v[17:18], v[17:18], v[19:20], v[17:18]
	v_div_scale_f64 v[19:20], vcc_lo, 1.0, v[0:1], 1.0
	v_mul_f64 v[21:22], v[19:20], v[17:18]
	v_fma_f64 v[2:3], -v[2:3], v[21:22], v[19:20]
	v_div_fmas_f64 v[2:3], v[2:3], v[17:18], v[21:22]
	v_div_fixup_f64 v[2:3], v[2:3], v[0:1], 1.0
	v_mul_f64 v[0:1], v[15:16], v[2:3]
	v_xor_b32_e32 v3, 0x80000000, v3
.LBB120_59:
	s_andn2_saveexec_b32 s16, s16
	s_cbranch_execz .LBB120_61
; %bb.60:
	v_div_scale_f64 v[15:16], null, v[0:1], v[0:1], v[2:3]
	v_div_scale_f64 v[21:22], vcc_lo, v[2:3], v[0:1], v[2:3]
	v_rcp_f64_e32 v[17:18], v[15:16]
	v_fma_f64 v[19:20], -v[15:16], v[17:18], 1.0
	v_fma_f64 v[17:18], v[17:18], v[19:20], v[17:18]
	v_fma_f64 v[19:20], -v[15:16], v[17:18], 1.0
	v_fma_f64 v[17:18], v[17:18], v[19:20], v[17:18]
	v_mul_f64 v[19:20], v[21:22], v[17:18]
	v_fma_f64 v[15:16], -v[15:16], v[19:20], v[21:22]
	v_div_fmas_f64 v[15:16], v[15:16], v[17:18], v[19:20]
	v_div_fixup_f64 v[15:16], v[15:16], v[0:1], v[2:3]
	v_fma_f64 v[0:1], v[2:3], v[15:16], v[0:1]
	v_div_scale_f64 v[2:3], null, v[0:1], v[0:1], 1.0
	v_rcp_f64_e32 v[17:18], v[2:3]
	v_fma_f64 v[19:20], -v[2:3], v[17:18], 1.0
	v_fma_f64 v[17:18], v[17:18], v[19:20], v[17:18]
	v_fma_f64 v[19:20], -v[2:3], v[17:18], 1.0
	v_fma_f64 v[17:18], v[17:18], v[19:20], v[17:18]
	v_div_scale_f64 v[19:20], vcc_lo, 1.0, v[0:1], 1.0
	v_mul_f64 v[21:22], v[19:20], v[17:18]
	v_fma_f64 v[2:3], -v[2:3], v[21:22], v[19:20]
	v_div_fmas_f64 v[2:3], v[2:3], v[17:18], v[21:22]
	v_div_fixup_f64 v[0:1], v[2:3], v[0:1], 1.0
	v_mul_f64 v[2:3], v[15:16], -v[0:1]
.LBB120_61:
	s_or_b32 exec_lo, exec_lo, s16
.LBB120_62:
	s_or_b32 exec_lo, exec_lo, s4
	s_mov_b32 s4, exec_lo
	v_cmpx_ne_u32_e64 v14, v9
	s_xor_b32 s4, exec_lo, s4
	s_cbranch_execz .LBB120_68
; %bb.63:
	s_mov_b32 s16, exec_lo
	v_cmpx_eq_u32_e32 2, v14
	s_cbranch_execz .LBB120_67
; %bb.64:
	v_cmp_ne_u32_e32 vcc_lo, 2, v9
	s_xor_b32 s17, s20, -1
	s_and_b32 s57, s17, vcc_lo
	s_and_saveexec_b32 s17, s57
	s_cbranch_execz .LBB120_66
; %bb.65:
	v_ashrrev_i32_e32 v10, 31, v9
	v_lshlrev_b64 v[14:15], 2, v[9:10]
	v_add_co_u32 v14, vcc_lo, v7, v14
	v_add_co_ci_u32_e64 v15, null, v8, v15, vcc_lo
	s_clause 0x1
	global_load_dword v4, v[14:15], off
	global_load_dword v10, v[7:8], off offset:8
	s_waitcnt vmcnt(1)
	global_store_dword v[7:8], v4, off offset:8
	s_waitcnt vmcnt(0)
	global_store_dword v[14:15], v10, off
.LBB120_66:
	s_or_b32 exec_lo, exec_lo, s17
	v_mov_b32_e32 v14, v9
	v_mov_b32_e32 v10, v9
.LBB120_67:
	s_or_b32 exec_lo, exec_lo, s16
.LBB120_68:
	s_andn2_saveexec_b32 s4, s4
	s_cbranch_execz .LBB120_72
; %bb.69:
	s_mov_b32 s16, 48
	.p2align	6
.LBB120_70:                             ; =>This Inner Loop Header: Depth=1
	v_mov_b32_e32 v4, s16
	s_clause 0x7
	buffer_load_dword v14, v4, s[0:3], 0 offen
	buffer_load_dword v15, v4, s[0:3], 0 offen offset:4
	buffer_load_dword v16, v4, s[0:3], 0 offen offset:8
	;; [unrolled: 1-line block ×7, first 2 shown]
	v_add_nc_u32_e32 v4, s16, v11
	s_add_i32 s16, s16, 32
	s_waitcnt vmcnt(4)
	ds_write2_b64 v4, v[14:15], v[16:17] offset1:1
	s_waitcnt vmcnt(0)
	ds_write2_b64 v4, v[18:19], v[20:21] offset0:2 offset1:3
	s_cmpk_eq_i32 s16, 0x3d0
	s_cbranch_scc0 .LBB120_70
; %bb.71:
	v_mov_b32_e32 v14, 2
.LBB120_72:
	s_or_b32 exec_lo, exec_lo, s4
	s_mov_b32 s4, exec_lo
	s_waitcnt lgkmcnt(0)
	s_waitcnt_vscnt null, 0x0
	s_barrier
	buffer_gl0_inv
	v_cmpx_lt_i32_e32 2, v14
	s_cbranch_execz .LBB120_75
; %bb.73:
	s_clause 0x3
	buffer_load_dword v15, off, s[0:3], 0 offset:40
	buffer_load_dword v16, off, s[0:3], 0 offset:44
	;; [unrolled: 1-line block ×4, first 2 shown]
	s_mov_b32 s16, 48
	s_waitcnt vmcnt(2)
	v_mul_f64 v[19:20], v[2:3], v[15:16]
	v_mul_f64 v[15:16], v[0:1], v[15:16]
	s_waitcnt vmcnt(0)
	v_fma_f64 v[0:1], v[0:1], v[17:18], -v[19:20]
	v_fma_f64 v[2:3], v[2:3], v[17:18], v[15:16]
	buffer_store_dword v0, off, s[0:3], 0 offset:32
	buffer_store_dword v1, off, s[0:3], 0 offset:36
	;; [unrolled: 1-line block ×4, first 2 shown]
.LBB120_74:                             ; =>This Inner Loop Header: Depth=1
	s_clause 0x3
	buffer_load_dword v19, off, s[0:3], 0 offset:40
	buffer_load_dword v20, off, s[0:3], 0 offset:44
	;; [unrolled: 1-line block ×4, first 2 shown]
	v_mov_b32_e32 v4, s16
	v_add_nc_u32_e32 v9, s16, v11
	s_add_i32 s16, s16, 32
	s_clause 0x3
	buffer_load_dword v23, v4, s[0:3], 0 offen
	buffer_load_dword v24, v4, s[0:3], 0 offen offset:4
	buffer_load_dword v25, v4, s[0:3], 0 offen offset:8
	;; [unrolled: 1-line block ×3, first 2 shown]
	ds_read2_b64 v[0:3], v9 offset1:1
	ds_read2_b64 v[15:18], v9 offset0:2 offset1:3
	s_cmpk_lg_i32 s16, 0x3d0
	s_waitcnt vmcnt(6) lgkmcnt(1)
	v_mul_f64 v[27:28], v[2:3], v[19:20]
	v_mul_f64 v[19:20], v[0:1], v[19:20]
	s_waitcnt vmcnt(4)
	v_fma_f64 v[0:1], v[0:1], v[21:22], -v[27:28]
	v_fma_f64 v[2:3], v[2:3], v[21:22], v[19:20]
	s_clause 0x3
	buffer_load_dword v19, v4, s[0:3], 0 offen offset:16
	buffer_load_dword v20, v4, s[0:3], 0 offen offset:20
	;; [unrolled: 1-line block ×4, first 2 shown]
	s_waitcnt vmcnt(6)
	v_add_f64 v[0:1], v[23:24], -v[0:1]
	s_waitcnt vmcnt(4)
	v_add_f64 v[2:3], v[25:26], -v[2:3]
	buffer_store_dword v1, v4, s[0:3], 0 offen offset:4
	buffer_store_dword v0, v4, s[0:3], 0 offen
	buffer_store_dword v3, v4, s[0:3], 0 offen offset:12
	buffer_store_dword v2, v4, s[0:3], 0 offen offset:8
	s_clause 0x3
	buffer_load_dword v1, off, s[0:3], 0 offset:44
	buffer_load_dword v0, off, s[0:3], 0 offset:40
	buffer_load_dword v3, off, s[0:3], 0 offset:36
	buffer_load_dword v2, off, s[0:3], 0 offset:32
	s_waitcnt vmcnt(2) lgkmcnt(0)
	v_mul_f64 v[23:24], v[17:18], v[0:1]
	v_mul_f64 v[0:1], v[15:16], v[0:1]
	s_waitcnt vmcnt(0)
	v_fma_f64 v[15:16], v[15:16], v[2:3], -v[23:24]
	v_fma_f64 v[0:1], v[17:18], v[2:3], v[0:1]
	v_add_f64 v[2:3], v[19:20], -v[15:16]
	v_add_f64 v[0:1], v[21:22], -v[0:1]
	buffer_store_dword v3, v4, s[0:3], 0 offen offset:20
	buffer_store_dword v2, v4, s[0:3], 0 offen offset:16
	;; [unrolled: 1-line block ×4, first 2 shown]
	s_cbranch_scc1 .LBB120_74
.LBB120_75:
	s_or_b32 exec_lo, exec_lo, s4
	v_mov_b32_e32 v3, s78
	s_waitcnt_vscnt null, 0x0
	s_barrier
	buffer_gl0_inv
	v_lshl_add_u32 v4, v14, 4, v11
	s_clause 0x3
	buffer_load_dword v0, v3, s[0:3], 0 offen
	buffer_load_dword v1, v3, s[0:3], 0 offen offset:4
	buffer_load_dword v2, v3, s[0:3], 0 offen offset:8
	;; [unrolled: 1-line block ×3, first 2 shown]
	v_mov_b32_e32 v9, 3
	s_cmp_lt_i32 s56, 5
	s_mov_b32 s16, 4
	s_waitcnt vmcnt(0)
	ds_write2_b64 v4, v[0:1], v[2:3] offset1:1
	s_waitcnt lgkmcnt(0)
	s_barrier
	buffer_gl0_inv
	ds_read2_b64 v[0:3], v11 offset0:6 offset1:7
	s_cbranch_scc1 .LBB120_78
; %bb.76:
	v_add3_u32 v4, v13, 0, 64
	v_mov_b32_e32 v9, 3
	s_inst_prefetch 0x1
	.p2align	6
.LBB120_77:                             ; =>This Inner Loop Header: Depth=1
	s_waitcnt lgkmcnt(0)
	v_cmp_gt_f64_e32 vcc_lo, 0, v[2:3]
	v_cmp_gt_f64_e64 s4, 0, v[0:1]
	ds_read2_b64 v[15:18], v4 offset1:1
	v_xor_b32_e32 v20, 0x80000000, v1
	v_xor_b32_e32 v22, 0x80000000, v3
	v_mov_b32_e32 v19, v0
	v_mov_b32_e32 v21, v2
	v_add_nc_u32_e32 v4, 16, v4
	s_waitcnt lgkmcnt(0)
	v_xor_b32_e32 v24, 0x80000000, v18
	v_cndmask_b32_e64 v20, v1, v20, s4
	v_cndmask_b32_e32 v22, v3, v22, vcc_lo
	v_cmp_gt_f64_e32 vcc_lo, 0, v[17:18]
	v_cmp_gt_f64_e64 s4, 0, v[15:16]
	v_mov_b32_e32 v23, v17
	v_add_f64 v[19:20], v[19:20], v[21:22]
	v_xor_b32_e32 v22, 0x80000000, v16
	v_mov_b32_e32 v21, v15
	v_cndmask_b32_e32 v24, v18, v24, vcc_lo
	v_cndmask_b32_e64 v22, v16, v22, s4
	v_add_f64 v[21:22], v[21:22], v[23:24]
	v_cmp_lt_f64_e32 vcc_lo, v[19:20], v[21:22]
	v_cndmask_b32_e32 v1, v1, v16, vcc_lo
	v_cndmask_b32_e32 v0, v0, v15, vcc_lo
	;; [unrolled: 1-line block ×4, first 2 shown]
	v_cndmask_b32_e64 v9, v9, s16, vcc_lo
	s_add_i32 s16, s16, 1
	s_cmp_lg_u32 s56, s16
	s_cbranch_scc1 .LBB120_77
.LBB120_78:
	s_inst_prefetch 0x2
	s_waitcnt lgkmcnt(0)
	v_cmp_eq_f64_e32 vcc_lo, 0, v[0:1]
	v_cmp_eq_f64_e64 s4, 0, v[2:3]
	s_and_b32 s4, vcc_lo, s4
	s_and_saveexec_b32 s16, s4
	s_xor_b32 s4, exec_lo, s16
; %bb.79:
	v_cmp_ne_u32_e32 vcc_lo, 0, v12
	v_cndmask_b32_e32 v12, 4, v12, vcc_lo
; %bb.80:
	s_andn2_saveexec_b32 s4, s4
	s_cbranch_execz .LBB120_86
; %bb.81:
	v_cmp_ngt_f64_e64 s16, |v[0:1]|, |v[2:3]|
	s_and_saveexec_b32 s17, s16
	s_xor_b32 s16, exec_lo, s17
	s_cbranch_execz .LBB120_83
; %bb.82:
	v_div_scale_f64 v[15:16], null, v[2:3], v[2:3], v[0:1]
	v_div_scale_f64 v[21:22], vcc_lo, v[0:1], v[2:3], v[0:1]
	v_rcp_f64_e32 v[17:18], v[15:16]
	v_fma_f64 v[19:20], -v[15:16], v[17:18], 1.0
	v_fma_f64 v[17:18], v[17:18], v[19:20], v[17:18]
	v_fma_f64 v[19:20], -v[15:16], v[17:18], 1.0
	v_fma_f64 v[17:18], v[17:18], v[19:20], v[17:18]
	v_mul_f64 v[19:20], v[21:22], v[17:18]
	v_fma_f64 v[15:16], -v[15:16], v[19:20], v[21:22]
	v_div_fmas_f64 v[15:16], v[15:16], v[17:18], v[19:20]
	v_div_fixup_f64 v[15:16], v[15:16], v[2:3], v[0:1]
	v_fma_f64 v[0:1], v[0:1], v[15:16], v[2:3]
	v_div_scale_f64 v[2:3], null, v[0:1], v[0:1], 1.0
	v_rcp_f64_e32 v[17:18], v[2:3]
	v_fma_f64 v[19:20], -v[2:3], v[17:18], 1.0
	v_fma_f64 v[17:18], v[17:18], v[19:20], v[17:18]
	v_fma_f64 v[19:20], -v[2:3], v[17:18], 1.0
	v_fma_f64 v[17:18], v[17:18], v[19:20], v[17:18]
	v_div_scale_f64 v[19:20], vcc_lo, 1.0, v[0:1], 1.0
	v_mul_f64 v[21:22], v[19:20], v[17:18]
	v_fma_f64 v[2:3], -v[2:3], v[21:22], v[19:20]
	v_div_fmas_f64 v[2:3], v[2:3], v[17:18], v[21:22]
	v_div_fixup_f64 v[2:3], v[2:3], v[0:1], 1.0
	v_mul_f64 v[0:1], v[15:16], v[2:3]
	v_xor_b32_e32 v3, 0x80000000, v3
.LBB120_83:
	s_andn2_saveexec_b32 s16, s16
	s_cbranch_execz .LBB120_85
; %bb.84:
	v_div_scale_f64 v[15:16], null, v[0:1], v[0:1], v[2:3]
	v_div_scale_f64 v[21:22], vcc_lo, v[2:3], v[0:1], v[2:3]
	v_rcp_f64_e32 v[17:18], v[15:16]
	v_fma_f64 v[19:20], -v[15:16], v[17:18], 1.0
	v_fma_f64 v[17:18], v[17:18], v[19:20], v[17:18]
	v_fma_f64 v[19:20], -v[15:16], v[17:18], 1.0
	v_fma_f64 v[17:18], v[17:18], v[19:20], v[17:18]
	v_mul_f64 v[19:20], v[21:22], v[17:18]
	v_fma_f64 v[15:16], -v[15:16], v[19:20], v[21:22]
	v_div_fmas_f64 v[15:16], v[15:16], v[17:18], v[19:20]
	v_div_fixup_f64 v[15:16], v[15:16], v[0:1], v[2:3]
	v_fma_f64 v[0:1], v[2:3], v[15:16], v[0:1]
	v_div_scale_f64 v[2:3], null, v[0:1], v[0:1], 1.0
	v_rcp_f64_e32 v[17:18], v[2:3]
	v_fma_f64 v[19:20], -v[2:3], v[17:18], 1.0
	v_fma_f64 v[17:18], v[17:18], v[19:20], v[17:18]
	v_fma_f64 v[19:20], -v[2:3], v[17:18], 1.0
	v_fma_f64 v[17:18], v[17:18], v[19:20], v[17:18]
	v_div_scale_f64 v[19:20], vcc_lo, 1.0, v[0:1], 1.0
	v_mul_f64 v[21:22], v[19:20], v[17:18]
	v_fma_f64 v[2:3], -v[2:3], v[21:22], v[19:20]
	v_div_fmas_f64 v[2:3], v[2:3], v[17:18], v[21:22]
	v_div_fixup_f64 v[0:1], v[2:3], v[0:1], 1.0
	v_mul_f64 v[2:3], v[15:16], -v[0:1]
.LBB120_85:
	s_or_b32 exec_lo, exec_lo, s16
.LBB120_86:
	s_or_b32 exec_lo, exec_lo, s4
	s_mov_b32 s4, exec_lo
	v_cmpx_ne_u32_e64 v14, v9
	s_xor_b32 s4, exec_lo, s4
	s_cbranch_execz .LBB120_92
; %bb.87:
	s_mov_b32 s16, exec_lo
	v_cmpx_eq_u32_e32 3, v14
	s_cbranch_execz .LBB120_91
; %bb.88:
	v_cmp_ne_u32_e32 vcc_lo, 3, v9
	s_xor_b32 s17, s20, -1
	s_and_b32 s57, s17, vcc_lo
	s_and_saveexec_b32 s17, s57
	s_cbranch_execz .LBB120_90
; %bb.89:
	v_ashrrev_i32_e32 v10, 31, v9
	v_lshlrev_b64 v[14:15], 2, v[9:10]
	v_add_co_u32 v14, vcc_lo, v7, v14
	v_add_co_ci_u32_e64 v15, null, v8, v15, vcc_lo
	s_clause 0x1
	global_load_dword v4, v[14:15], off
	global_load_dword v10, v[7:8], off offset:12
	s_waitcnt vmcnt(1)
	global_store_dword v[7:8], v4, off offset:12
	s_waitcnt vmcnt(0)
	global_store_dword v[14:15], v10, off
.LBB120_90:
	s_or_b32 exec_lo, exec_lo, s17
	v_mov_b32_e32 v14, v9
	v_mov_b32_e32 v10, v9
.LBB120_91:
	s_or_b32 exec_lo, exec_lo, s16
.LBB120_92:
	s_andn2_saveexec_b32 s4, s4
	s_cbranch_execz .LBB120_96
; %bb.93:
	s_mov_b32 s16, 64
	s_inst_prefetch 0x1
	.p2align	6
.LBB120_94:                             ; =>This Inner Loop Header: Depth=1
	v_mov_b32_e32 v4, s16
	s_clause 0xb
	buffer_load_dword v14, v4, s[0:3], 0 offen
	buffer_load_dword v15, v4, s[0:3], 0 offen offset:4
	buffer_load_dword v16, v4, s[0:3], 0 offen offset:8
	;; [unrolled: 1-line block ×11, first 2 shown]
	v_add_nc_u32_e32 v4, s16, v11
	s_add_i32 s16, s16, 48
	s_waitcnt vmcnt(8)
	ds_write2_b64 v4, v[14:15], v[16:17] offset1:1
	s_waitcnt vmcnt(4)
	ds_write2_b64 v4, v[18:19], v[20:21] offset0:2 offset1:3
	s_waitcnt vmcnt(0)
	ds_write2_b64 v4, v[22:23], v[24:25] offset0:4 offset1:5
	s_cmpk_eq_i32 s16, 0x3d0
	s_cbranch_scc0 .LBB120_94
; %bb.95:
	s_inst_prefetch 0x2
	v_mov_b32_e32 v14, 3
.LBB120_96:
	s_or_b32 exec_lo, exec_lo, s4
	s_mov_b32 s4, exec_lo
	s_waitcnt lgkmcnt(0)
	s_waitcnt_vscnt null, 0x0
	s_barrier
	buffer_gl0_inv
	v_cmpx_lt_i32_e32 3, v14
	s_cbranch_execz .LBB120_99
; %bb.97:
	s_clause 0x3
	buffer_load_dword v15, off, s[0:3], 0 offset:56
	buffer_load_dword v16, off, s[0:3], 0 offset:60
	;; [unrolled: 1-line block ×4, first 2 shown]
	s_mov_b32 s16, 64
	s_waitcnt vmcnt(2)
	v_mul_f64 v[19:20], v[2:3], v[15:16]
	v_mul_f64 v[15:16], v[0:1], v[15:16]
	s_waitcnt vmcnt(0)
	v_fma_f64 v[0:1], v[0:1], v[17:18], -v[19:20]
	v_fma_f64 v[2:3], v[2:3], v[17:18], v[15:16]
	buffer_store_dword v0, off, s[0:3], 0 offset:48
	buffer_store_dword v1, off, s[0:3], 0 offset:52
	;; [unrolled: 1-line block ×4, first 2 shown]
.LBB120_98:                             ; =>This Inner Loop Header: Depth=1
	s_clause 0x3
	buffer_load_dword v19, off, s[0:3], 0 offset:56
	buffer_load_dword v20, off, s[0:3], 0 offset:60
	;; [unrolled: 1-line block ×4, first 2 shown]
	v_mov_b32_e32 v4, s16
	v_add_nc_u32_e32 v9, s16, v11
	s_add_i32 s16, s16, 48
	s_clause 0x3
	buffer_load_dword v23, v4, s[0:3], 0 offen
	buffer_load_dword v24, v4, s[0:3], 0 offen offset:4
	buffer_load_dword v25, v4, s[0:3], 0 offen offset:8
	;; [unrolled: 1-line block ×3, first 2 shown]
	ds_read2_b64 v[0:3], v9 offset1:1
	ds_read2_b64 v[15:18], v9 offset0:2 offset1:3
	s_cmpk_lg_i32 s16, 0x3d0
	s_waitcnt vmcnt(6) lgkmcnt(1)
	v_mul_f64 v[27:28], v[2:3], v[19:20]
	v_mul_f64 v[19:20], v[0:1], v[19:20]
	s_waitcnt vmcnt(4)
	v_fma_f64 v[0:1], v[0:1], v[21:22], -v[27:28]
	v_fma_f64 v[2:3], v[2:3], v[21:22], v[19:20]
	s_clause 0x3
	buffer_load_dword v19, v4, s[0:3], 0 offen offset:16
	buffer_load_dword v20, v4, s[0:3], 0 offen offset:20
	;; [unrolled: 1-line block ×4, first 2 shown]
	s_waitcnt vmcnt(6)
	v_add_f64 v[0:1], v[23:24], -v[0:1]
	s_waitcnt vmcnt(4)
	v_add_f64 v[2:3], v[25:26], -v[2:3]
	buffer_store_dword v1, v4, s[0:3], 0 offen offset:4
	buffer_store_dword v0, v4, s[0:3], 0 offen
	buffer_store_dword v3, v4, s[0:3], 0 offen offset:12
	buffer_store_dword v2, v4, s[0:3], 0 offen offset:8
	s_clause 0x3
	buffer_load_dword v1, off, s[0:3], 0 offset:60
	buffer_load_dword v0, off, s[0:3], 0 offset:56
	;; [unrolled: 1-line block ×4, first 2 shown]
	s_waitcnt vmcnt(2) lgkmcnt(0)
	v_mul_f64 v[23:24], v[17:18], v[0:1]
	v_mul_f64 v[0:1], v[15:16], v[0:1]
	s_waitcnt vmcnt(0)
	v_fma_f64 v[15:16], v[15:16], v[2:3], -v[23:24]
	v_fma_f64 v[0:1], v[17:18], v[2:3], v[0:1]
	v_add_f64 v[2:3], v[19:20], -v[15:16]
	v_add_f64 v[0:1], v[21:22], -v[0:1]
	s_clause 0x3
	buffer_load_dword v15, v4, s[0:3], 0 offen offset:32
	buffer_load_dword v16, v4, s[0:3], 0 offen offset:36
	buffer_load_dword v17, v4, s[0:3], 0 offen offset:40
	buffer_load_dword v18, v4, s[0:3], 0 offen offset:44
	buffer_store_dword v3, v4, s[0:3], 0 offen offset:20
	buffer_store_dword v2, v4, s[0:3], 0 offen offset:16
	;; [unrolled: 1-line block ×4, first 2 shown]
	s_clause 0x3
	buffer_load_dword v19, off, s[0:3], 0 offset:56
	buffer_load_dword v20, off, s[0:3], 0 offset:60
	;; [unrolled: 1-line block ×4, first 2 shown]
	ds_read2_b64 v[0:3], v9 offset0:4 offset1:5
	s_waitcnt vmcnt(2) lgkmcnt(0)
	v_mul_f64 v[23:24], v[2:3], v[19:20]
	v_mul_f64 v[19:20], v[0:1], v[19:20]
	s_waitcnt vmcnt(0)
	v_fma_f64 v[0:1], v[0:1], v[21:22], -v[23:24]
	v_fma_f64 v[2:3], v[2:3], v[21:22], v[19:20]
	v_add_f64 v[0:1], v[15:16], -v[0:1]
	v_add_f64 v[2:3], v[17:18], -v[2:3]
	buffer_store_dword v1, v4, s[0:3], 0 offen offset:36
	buffer_store_dword v0, v4, s[0:3], 0 offen offset:32
	;; [unrolled: 1-line block ×4, first 2 shown]
	s_cbranch_scc1 .LBB120_98
.LBB120_99:
	s_or_b32 exec_lo, exec_lo, s4
	v_mov_b32_e32 v3, s77
	s_waitcnt_vscnt null, 0x0
	s_barrier
	buffer_gl0_inv
	v_lshl_add_u32 v4, v14, 4, v11
	s_clause 0x3
	buffer_load_dword v0, v3, s[0:3], 0 offen
	buffer_load_dword v1, v3, s[0:3], 0 offen offset:4
	buffer_load_dword v2, v3, s[0:3], 0 offen offset:8
	;; [unrolled: 1-line block ×3, first 2 shown]
	v_mov_b32_e32 v9, 4
	s_cmp_lt_i32 s56, 6
	s_waitcnt vmcnt(0)
	ds_write2_b64 v4, v[0:1], v[2:3] offset1:1
	s_waitcnt lgkmcnt(0)
	s_barrier
	buffer_gl0_inv
	ds_read2_b64 v[0:3], v11 offset0:8 offset1:9
	s_cbranch_scc1 .LBB120_102
; %bb.100:
	v_mov_b32_e32 v9, 4
	v_add3_u32 v4, v13, 0, 0x50
	s_mov_b32 s16, 5
	s_inst_prefetch 0x1
	.p2align	6
.LBB120_101:                            ; =>This Inner Loop Header: Depth=1
	s_waitcnt lgkmcnt(0)
	v_cmp_gt_f64_e32 vcc_lo, 0, v[2:3]
	v_cmp_gt_f64_e64 s4, 0, v[0:1]
	ds_read2_b64 v[15:18], v4 offset1:1
	v_xor_b32_e32 v20, 0x80000000, v1
	v_xor_b32_e32 v22, 0x80000000, v3
	v_mov_b32_e32 v19, v0
	v_mov_b32_e32 v21, v2
	v_add_nc_u32_e32 v4, 16, v4
	s_waitcnt lgkmcnt(0)
	v_xor_b32_e32 v24, 0x80000000, v18
	v_cndmask_b32_e64 v20, v1, v20, s4
	v_cndmask_b32_e32 v22, v3, v22, vcc_lo
	v_cmp_gt_f64_e32 vcc_lo, 0, v[17:18]
	v_cmp_gt_f64_e64 s4, 0, v[15:16]
	v_mov_b32_e32 v23, v17
	v_add_f64 v[19:20], v[19:20], v[21:22]
	v_xor_b32_e32 v22, 0x80000000, v16
	v_mov_b32_e32 v21, v15
	v_cndmask_b32_e32 v24, v18, v24, vcc_lo
	v_cndmask_b32_e64 v22, v16, v22, s4
	v_add_f64 v[21:22], v[21:22], v[23:24]
	v_cmp_lt_f64_e32 vcc_lo, v[19:20], v[21:22]
	v_cndmask_b32_e32 v1, v1, v16, vcc_lo
	v_cndmask_b32_e32 v0, v0, v15, vcc_lo
	;; [unrolled: 1-line block ×4, first 2 shown]
	v_cndmask_b32_e64 v9, v9, s16, vcc_lo
	s_add_i32 s16, s16, 1
	s_cmp_lg_u32 s56, s16
	s_cbranch_scc1 .LBB120_101
.LBB120_102:
	s_inst_prefetch 0x2
	s_waitcnt lgkmcnt(0)
	v_cmp_eq_f64_e32 vcc_lo, 0, v[0:1]
	v_cmp_eq_f64_e64 s4, 0, v[2:3]
	s_and_b32 s4, vcc_lo, s4
	s_and_saveexec_b32 s16, s4
	s_xor_b32 s4, exec_lo, s16
; %bb.103:
	v_cmp_ne_u32_e32 vcc_lo, 0, v12
	v_cndmask_b32_e32 v12, 5, v12, vcc_lo
; %bb.104:
	s_andn2_saveexec_b32 s4, s4
	s_cbranch_execz .LBB120_110
; %bb.105:
	v_cmp_ngt_f64_e64 s16, |v[0:1]|, |v[2:3]|
	s_and_saveexec_b32 s17, s16
	s_xor_b32 s16, exec_lo, s17
	s_cbranch_execz .LBB120_107
; %bb.106:
	v_div_scale_f64 v[15:16], null, v[2:3], v[2:3], v[0:1]
	v_div_scale_f64 v[21:22], vcc_lo, v[0:1], v[2:3], v[0:1]
	v_rcp_f64_e32 v[17:18], v[15:16]
	v_fma_f64 v[19:20], -v[15:16], v[17:18], 1.0
	v_fma_f64 v[17:18], v[17:18], v[19:20], v[17:18]
	v_fma_f64 v[19:20], -v[15:16], v[17:18], 1.0
	v_fma_f64 v[17:18], v[17:18], v[19:20], v[17:18]
	v_mul_f64 v[19:20], v[21:22], v[17:18]
	v_fma_f64 v[15:16], -v[15:16], v[19:20], v[21:22]
	v_div_fmas_f64 v[15:16], v[15:16], v[17:18], v[19:20]
	v_div_fixup_f64 v[15:16], v[15:16], v[2:3], v[0:1]
	v_fma_f64 v[0:1], v[0:1], v[15:16], v[2:3]
	v_div_scale_f64 v[2:3], null, v[0:1], v[0:1], 1.0
	v_rcp_f64_e32 v[17:18], v[2:3]
	v_fma_f64 v[19:20], -v[2:3], v[17:18], 1.0
	v_fma_f64 v[17:18], v[17:18], v[19:20], v[17:18]
	v_fma_f64 v[19:20], -v[2:3], v[17:18], 1.0
	v_fma_f64 v[17:18], v[17:18], v[19:20], v[17:18]
	v_div_scale_f64 v[19:20], vcc_lo, 1.0, v[0:1], 1.0
	v_mul_f64 v[21:22], v[19:20], v[17:18]
	v_fma_f64 v[2:3], -v[2:3], v[21:22], v[19:20]
	v_div_fmas_f64 v[2:3], v[2:3], v[17:18], v[21:22]
	v_div_fixup_f64 v[2:3], v[2:3], v[0:1], 1.0
	v_mul_f64 v[0:1], v[15:16], v[2:3]
	v_xor_b32_e32 v3, 0x80000000, v3
.LBB120_107:
	s_andn2_saveexec_b32 s16, s16
	s_cbranch_execz .LBB120_109
; %bb.108:
	v_div_scale_f64 v[15:16], null, v[0:1], v[0:1], v[2:3]
	v_div_scale_f64 v[21:22], vcc_lo, v[2:3], v[0:1], v[2:3]
	v_rcp_f64_e32 v[17:18], v[15:16]
	v_fma_f64 v[19:20], -v[15:16], v[17:18], 1.0
	v_fma_f64 v[17:18], v[17:18], v[19:20], v[17:18]
	v_fma_f64 v[19:20], -v[15:16], v[17:18], 1.0
	v_fma_f64 v[17:18], v[17:18], v[19:20], v[17:18]
	v_mul_f64 v[19:20], v[21:22], v[17:18]
	v_fma_f64 v[15:16], -v[15:16], v[19:20], v[21:22]
	v_div_fmas_f64 v[15:16], v[15:16], v[17:18], v[19:20]
	v_div_fixup_f64 v[15:16], v[15:16], v[0:1], v[2:3]
	v_fma_f64 v[0:1], v[2:3], v[15:16], v[0:1]
	v_div_scale_f64 v[2:3], null, v[0:1], v[0:1], 1.0
	v_rcp_f64_e32 v[17:18], v[2:3]
	v_fma_f64 v[19:20], -v[2:3], v[17:18], 1.0
	v_fma_f64 v[17:18], v[17:18], v[19:20], v[17:18]
	v_fma_f64 v[19:20], -v[2:3], v[17:18], 1.0
	v_fma_f64 v[17:18], v[17:18], v[19:20], v[17:18]
	v_div_scale_f64 v[19:20], vcc_lo, 1.0, v[0:1], 1.0
	v_mul_f64 v[21:22], v[19:20], v[17:18]
	v_fma_f64 v[2:3], -v[2:3], v[21:22], v[19:20]
	v_div_fmas_f64 v[2:3], v[2:3], v[17:18], v[21:22]
	v_div_fixup_f64 v[0:1], v[2:3], v[0:1], 1.0
	v_mul_f64 v[2:3], v[15:16], -v[0:1]
.LBB120_109:
	s_or_b32 exec_lo, exec_lo, s16
.LBB120_110:
	s_or_b32 exec_lo, exec_lo, s4
	s_mov_b32 s4, exec_lo
	v_cmpx_ne_u32_e64 v14, v9
	s_xor_b32 s4, exec_lo, s4
	s_cbranch_execz .LBB120_116
; %bb.111:
	s_mov_b32 s16, exec_lo
	v_cmpx_eq_u32_e32 4, v14
	s_cbranch_execz .LBB120_115
; %bb.112:
	v_cmp_ne_u32_e32 vcc_lo, 4, v9
	s_xor_b32 s17, s20, -1
	s_and_b32 s57, s17, vcc_lo
	s_and_saveexec_b32 s17, s57
	s_cbranch_execz .LBB120_114
; %bb.113:
	v_ashrrev_i32_e32 v10, 31, v9
	v_lshlrev_b64 v[14:15], 2, v[9:10]
	v_add_co_u32 v14, vcc_lo, v7, v14
	v_add_co_ci_u32_e64 v15, null, v8, v15, vcc_lo
	s_clause 0x1
	global_load_dword v4, v[14:15], off
	global_load_dword v10, v[7:8], off offset:16
	s_waitcnt vmcnt(1)
	global_store_dword v[7:8], v4, off offset:16
	s_waitcnt vmcnt(0)
	global_store_dword v[14:15], v10, off
.LBB120_114:
	s_or_b32 exec_lo, exec_lo, s17
	v_mov_b32_e32 v14, v9
	v_mov_b32_e32 v10, v9
.LBB120_115:
	s_or_b32 exec_lo, exec_lo, s16
.LBB120_116:
	s_andn2_saveexec_b32 s4, s4
	s_cbranch_execz .LBB120_120
; %bb.117:
	s_movk_i32 s16, 0x50
.LBB120_118:                            ; =>This Inner Loop Header: Depth=1
	v_mov_b32_e32 v4, s16
	s_clause 0x37
	buffer_load_dword v14, v4, s[0:3], 0 offen
	buffer_load_dword v15, v4, s[0:3], 0 offen offset:4
	buffer_load_dword v16, v4, s[0:3], 0 offen offset:8
	;; [unrolled: 1-line block ×55, first 2 shown]
	v_add_nc_u32_e32 v4, s16, v11
	s_addk_i32 s16, 0xe0
	s_waitcnt vmcnt(52)
	ds_write2_b64 v4, v[14:15], v[16:17] offset1:1
	s_waitcnt vmcnt(48)
	ds_write2_b64 v4, v[18:19], v[20:21] offset0:2 offset1:3
	s_waitcnt vmcnt(44)
	ds_write2_b64 v4, v[22:23], v[24:25] offset0:4 offset1:5
	;; [unrolled: 2-line block ×4, first 2 shown]
	ds_write2_b64 v4, v[34:35], v[32:33] offset0:10 offset1:11
	s_waitcnt vmcnt(24)
	ds_write2_b64 v4, v[44:45], v[38:39] offset0:12 offset1:13
	ds_write2_b64 v4, v[42:43], v[40:41] offset0:14 offset1:15
	s_waitcnt vmcnt(20)
	ds_write2_b64 v4, v[46:47], v[48:49] offset0:16 offset1:17
	s_waitcnt vmcnt(16)
	;; [unrolled: 2-line block ×6, first 2 shown]
	ds_write2_b64 v4, v[66:67], v[68:69] offset0:26 offset1:27
	s_cmpk_eq_i32 s16, 0x3d0
	s_cbranch_scc0 .LBB120_118
; %bb.119:
	v_mov_b32_e32 v14, 4
.LBB120_120:
	s_or_b32 exec_lo, exec_lo, s4
	s_mov_b32 s4, exec_lo
	s_waitcnt lgkmcnt(0)
	s_waitcnt_vscnt null, 0x0
	s_barrier
	buffer_gl0_inv
	v_cmpx_lt_i32_e32 4, v14
	s_cbranch_execz .LBB120_123
; %bb.121:
	s_clause 0x3
	buffer_load_dword v15, off, s[0:3], 0 offset:72
	buffer_load_dword v16, off, s[0:3], 0 offset:76
	;; [unrolled: 1-line block ×4, first 2 shown]
	s_movk_i32 s80, 0x50
	s_waitcnt vmcnt(2)
	v_mul_f64 v[19:20], v[2:3], v[15:16]
	v_mul_f64 v[15:16], v[0:1], v[15:16]
	s_waitcnt vmcnt(0)
	v_fma_f64 v[0:1], v[0:1], v[17:18], -v[19:20]
	v_fma_f64 v[2:3], v[2:3], v[17:18], v[15:16]
	buffer_store_dword v0, off, s[0:3], 0 offset:64
	buffer_store_dword v1, off, s[0:3], 0 offset:68
	;; [unrolled: 1-line block ×4, first 2 shown]
.LBB120_122:                            ; =>This Inner Loop Header: Depth=1
	v_mov_b32_e32 v9, s80
	v_add_nc_u32_e32 v39, s80, v11
	s_addk_i32 s80, 0x70
	s_clause 0x3
	buffer_load_dword v23, v9, s[0:3], 0 offen
	buffer_load_dword v24, v9, s[0:3], 0 offen offset:4
	buffer_load_dword v25, v9, s[0:3], 0 offen offset:8
	buffer_load_dword v26, v9, s[0:3], 0 offen offset:12
	ds_read2_b64 v[15:18], v39 offset1:1
	ds_read2_b64 v[19:22], v39 offset0:2 offset1:3
	s_clause 0x7
	buffer_load_dword v27, v9, s[0:3], 0 offen offset:16
	buffer_load_dword v29, v9, s[0:3], 0 offen offset:24
	;; [unrolled: 1-line block ×8, first 2 shown]
	s_cmpk_lg_i32 s80, 0x3d0
	s_waitcnt lgkmcnt(1)
	v_mul_f64 v[36:37], v[17:18], v[2:3]
	v_mul_f64 v[2:3], v[15:16], v[2:3]
	v_fma_f64 v[15:16], v[15:16], v[0:1], -v[36:37]
	v_fma_f64 v[0:1], v[17:18], v[0:1], v[2:3]
	s_waitcnt vmcnt(10)
	v_add_f64 v[2:3], v[23:24], -v[15:16]
	s_waitcnt vmcnt(8)
	v_add_f64 v[0:1], v[25:26], -v[0:1]
	buffer_store_dword v3, v9, s[0:3], 0 offen offset:4
	buffer_store_dword v2, v9, s[0:3], 0 offen
	buffer_store_dword v1, v9, s[0:3], 0 offen offset:12
	buffer_store_dword v0, v9, s[0:3], 0 offen offset:8
	s_clause 0x7
	buffer_load_dword v1, off, s[0:3], 0 offset:76
	buffer_load_dword v0, off, s[0:3], 0 offset:72
	;; [unrolled: 1-line block ×4, first 2 shown]
	buffer_load_dword v31, v9, s[0:3], 0 offen offset:32
	buffer_load_dword v34, v9, s[0:3], 0 offen offset:44
	;; [unrolled: 1-line block ×4, first 2 shown]
	s_waitcnt vmcnt(6) lgkmcnt(0)
	v_mul_f64 v[15:16], v[21:22], v[0:1]
	v_mul_f64 v[0:1], v[19:20], v[0:1]
	s_waitcnt vmcnt(4)
	v_fma_f64 v[15:16], v[19:20], v[2:3], -v[15:16]
	v_fma_f64 v[0:1], v[21:22], v[2:3], v[0:1]
	v_add_f64 v[2:3], v[27:28], -v[15:16]
	v_add_f64 v[0:1], v[29:30], -v[0:1]
	buffer_store_dword v3, v9, s[0:3], 0 offen offset:20
	buffer_store_dword v2, v9, s[0:3], 0 offen offset:16
	;; [unrolled: 1-line block ×4, first 2 shown]
	s_clause 0x3
	buffer_load_dword v19, off, s[0:3], 0 offset:72
	buffer_load_dword v20, off, s[0:3], 0 offset:76
	;; [unrolled: 1-line block ×4, first 2 shown]
	ds_read2_b64 v[0:3], v39 offset0:4 offset1:5
	ds_read2_b64 v[15:18], v39 offset0:6 offset1:7
	s_waitcnt vmcnt(2) lgkmcnt(1)
	v_mul_f64 v[23:24], v[2:3], v[19:20]
	v_mul_f64 v[19:20], v[0:1], v[19:20]
	s_waitcnt vmcnt(0)
	v_fma_f64 v[0:1], v[0:1], v[21:22], -v[23:24]
	v_fma_f64 v[2:3], v[2:3], v[21:22], v[19:20]
	v_add_f64 v[0:1], v[31:32], -v[0:1]
	v_add_f64 v[2:3], v[33:34], -v[2:3]
	buffer_store_dword v1, v9, s[0:3], 0 offen offset:36
	buffer_store_dword v0, v9, s[0:3], 0 offen offset:32
	;; [unrolled: 1-line block ×4, first 2 shown]
	s_clause 0x7
	buffer_load_dword v0, off, s[0:3], 0 offset:72
	buffer_load_dword v1, off, s[0:3], 0 offset:76
	;; [unrolled: 1-line block ×4, first 2 shown]
	buffer_load_dword v3, v9, s[0:3], 0 offen offset:48
	buffer_load_dword v28, v9, s[0:3], 0 offen offset:68
	;; [unrolled: 1-line block ×4, first 2 shown]
	s_waitcnt vmcnt(6) lgkmcnt(0)
	v_mul_f64 v[21:22], v[17:18], v[0:1]
	v_mul_f64 v[0:1], v[15:16], v[0:1]
	s_waitcnt vmcnt(4)
	v_fma_f64 v[15:16], v[15:16], v[19:20], -v[21:22]
	v_fma_f64 v[0:1], v[17:18], v[19:20], v[0:1]
	s_waitcnt vmcnt(3)
	v_add_f64 v[2:3], v[3:4], -v[15:16]
	v_add_f64 v[0:1], v[35:36], -v[0:1]
	buffer_store_dword v3, v9, s[0:3], 0 offen offset:52
	buffer_store_dword v2, v9, s[0:3], 0 offen offset:48
	;; [unrolled: 1-line block ×4, first 2 shown]
	s_clause 0xb
	buffer_load_dword v2, off, s[0:3], 0 offset:72
	buffer_load_dword v3, off, s[0:3], 0 offset:76
	;; [unrolled: 1-line block ×4, first 2 shown]
	buffer_load_dword v33, v9, s[0:3], 0 offen offset:96
	buffer_load_dword v34, v9, s[0:3], 0 offen offset:100
	;; [unrolled: 1-line block ×8, first 2 shown]
	ds_read2_b64 v[15:18], v39 offset0:8 offset1:9
	ds_read2_b64 v[19:22], v39 offset0:10 offset1:11
	;; [unrolled: 1-line block ×3, first 2 shown]
	s_waitcnt vmcnt(10) lgkmcnt(2)
	v_mul_f64 v[39:40], v[17:18], v[2:3]
	v_mul_f64 v[41:42], v[15:16], v[2:3]
	s_waitcnt lgkmcnt(1)
	v_mul_f64 v[43:44], v[21:22], v[2:3]
	v_mul_f64 v[45:46], v[19:20], v[2:3]
	s_waitcnt lgkmcnt(0)
	v_mul_f64 v[47:48], v[25:26], v[2:3]
	v_mul_f64 v[49:50], v[23:24], v[2:3]
	s_waitcnt vmcnt(8)
	v_fma_f64 v[15:16], v[15:16], v[0:1], -v[39:40]
	v_fma_f64 v[17:18], v[17:18], v[0:1], v[41:42]
	v_fma_f64 v[19:20], v[19:20], v[0:1], -v[43:44]
	v_fma_f64 v[21:22], v[21:22], v[0:1], v[45:46]
	;; [unrolled: 2-line block ×3, first 2 shown]
	s_waitcnt vmcnt(3)
	v_add_f64 v[15:16], v[27:28], -v[15:16]
	s_waitcnt vmcnt(2)
	v_add_f64 v[17:18], v[37:38], -v[17:18]
	;; [unrolled: 2-line block ×4, first 2 shown]
	v_add_f64 v[23:24], v[33:34], -v[23:24]
	v_add_f64 v[25:26], v[35:36], -v[25:26]
	buffer_store_dword v16, v9, s[0:3], 0 offen offset:68
	buffer_store_dword v15, v9, s[0:3], 0 offen offset:64
	;; [unrolled: 1-line block ×12, first 2 shown]
	s_cbranch_scc1 .LBB120_122
.LBB120_123:
	s_or_b32 exec_lo, exec_lo, s4
	v_mov_b32_e32 v3, s76
	s_waitcnt_vscnt null, 0x0
	s_barrier
	buffer_gl0_inv
	v_lshl_add_u32 v4, v14, 4, v11
	s_clause 0x3
	buffer_load_dword v0, v3, s[0:3], 0 offen
	buffer_load_dword v1, v3, s[0:3], 0 offen offset:4
	buffer_load_dword v2, v3, s[0:3], 0 offen offset:8
	;; [unrolled: 1-line block ×3, first 2 shown]
	v_mov_b32_e32 v9, 5
	s_cmp_lt_i32 s56, 7
	s_waitcnt vmcnt(0)
	ds_write2_b64 v4, v[0:1], v[2:3] offset1:1
	s_waitcnt lgkmcnt(0)
	s_barrier
	buffer_gl0_inv
	ds_read2_b64 v[0:3], v11 offset0:10 offset1:11
	s_cbranch_scc1 .LBB120_126
; %bb.124:
	v_add3_u32 v4, v13, 0, 0x60
	v_mov_b32_e32 v9, 5
	s_mov_b32 s16, 6
	s_inst_prefetch 0x1
	.p2align	6
.LBB120_125:                            ; =>This Inner Loop Header: Depth=1
	s_waitcnt lgkmcnt(0)
	v_cmp_gt_f64_e32 vcc_lo, 0, v[2:3]
	v_cmp_gt_f64_e64 s4, 0, v[0:1]
	ds_read2_b64 v[15:18], v4 offset1:1
	v_xor_b32_e32 v20, 0x80000000, v1
	v_xor_b32_e32 v22, 0x80000000, v3
	v_mov_b32_e32 v19, v0
	v_mov_b32_e32 v21, v2
	v_add_nc_u32_e32 v4, 16, v4
	s_waitcnt lgkmcnt(0)
	v_xor_b32_e32 v24, 0x80000000, v18
	v_cndmask_b32_e64 v20, v1, v20, s4
	v_cndmask_b32_e32 v22, v3, v22, vcc_lo
	v_cmp_gt_f64_e32 vcc_lo, 0, v[17:18]
	v_cmp_gt_f64_e64 s4, 0, v[15:16]
	v_mov_b32_e32 v23, v17
	v_add_f64 v[19:20], v[19:20], v[21:22]
	v_xor_b32_e32 v22, 0x80000000, v16
	v_mov_b32_e32 v21, v15
	v_cndmask_b32_e32 v24, v18, v24, vcc_lo
	v_cndmask_b32_e64 v22, v16, v22, s4
	v_add_f64 v[21:22], v[21:22], v[23:24]
	v_cmp_lt_f64_e32 vcc_lo, v[19:20], v[21:22]
	v_cndmask_b32_e32 v1, v1, v16, vcc_lo
	v_cndmask_b32_e32 v0, v0, v15, vcc_lo
	;; [unrolled: 1-line block ×4, first 2 shown]
	v_cndmask_b32_e64 v9, v9, s16, vcc_lo
	s_add_i32 s16, s16, 1
	s_cmp_lg_u32 s56, s16
	s_cbranch_scc1 .LBB120_125
.LBB120_126:
	s_inst_prefetch 0x2
	s_waitcnt lgkmcnt(0)
	v_cmp_eq_f64_e32 vcc_lo, 0, v[0:1]
	v_cmp_eq_f64_e64 s4, 0, v[2:3]
	s_and_b32 s4, vcc_lo, s4
	s_and_saveexec_b32 s16, s4
	s_xor_b32 s4, exec_lo, s16
; %bb.127:
	v_cmp_ne_u32_e32 vcc_lo, 0, v12
	v_cndmask_b32_e32 v12, 6, v12, vcc_lo
; %bb.128:
	s_andn2_saveexec_b32 s4, s4
	s_cbranch_execz .LBB120_134
; %bb.129:
	v_cmp_ngt_f64_e64 s16, |v[0:1]|, |v[2:3]|
	s_and_saveexec_b32 s17, s16
	s_xor_b32 s16, exec_lo, s17
	s_cbranch_execz .LBB120_131
; %bb.130:
	v_div_scale_f64 v[15:16], null, v[2:3], v[2:3], v[0:1]
	v_div_scale_f64 v[21:22], vcc_lo, v[0:1], v[2:3], v[0:1]
	v_rcp_f64_e32 v[17:18], v[15:16]
	v_fma_f64 v[19:20], -v[15:16], v[17:18], 1.0
	v_fma_f64 v[17:18], v[17:18], v[19:20], v[17:18]
	v_fma_f64 v[19:20], -v[15:16], v[17:18], 1.0
	v_fma_f64 v[17:18], v[17:18], v[19:20], v[17:18]
	v_mul_f64 v[19:20], v[21:22], v[17:18]
	v_fma_f64 v[15:16], -v[15:16], v[19:20], v[21:22]
	v_div_fmas_f64 v[15:16], v[15:16], v[17:18], v[19:20]
	v_div_fixup_f64 v[15:16], v[15:16], v[2:3], v[0:1]
	v_fma_f64 v[0:1], v[0:1], v[15:16], v[2:3]
	v_div_scale_f64 v[2:3], null, v[0:1], v[0:1], 1.0
	v_rcp_f64_e32 v[17:18], v[2:3]
	v_fma_f64 v[19:20], -v[2:3], v[17:18], 1.0
	v_fma_f64 v[17:18], v[17:18], v[19:20], v[17:18]
	v_fma_f64 v[19:20], -v[2:3], v[17:18], 1.0
	v_fma_f64 v[17:18], v[17:18], v[19:20], v[17:18]
	v_div_scale_f64 v[19:20], vcc_lo, 1.0, v[0:1], 1.0
	v_mul_f64 v[21:22], v[19:20], v[17:18]
	v_fma_f64 v[2:3], -v[2:3], v[21:22], v[19:20]
	v_div_fmas_f64 v[2:3], v[2:3], v[17:18], v[21:22]
	v_div_fixup_f64 v[2:3], v[2:3], v[0:1], 1.0
	v_mul_f64 v[0:1], v[15:16], v[2:3]
	v_xor_b32_e32 v3, 0x80000000, v3
.LBB120_131:
	s_andn2_saveexec_b32 s16, s16
	s_cbranch_execz .LBB120_133
; %bb.132:
	v_div_scale_f64 v[15:16], null, v[0:1], v[0:1], v[2:3]
	v_div_scale_f64 v[21:22], vcc_lo, v[2:3], v[0:1], v[2:3]
	v_rcp_f64_e32 v[17:18], v[15:16]
	v_fma_f64 v[19:20], -v[15:16], v[17:18], 1.0
	v_fma_f64 v[17:18], v[17:18], v[19:20], v[17:18]
	v_fma_f64 v[19:20], -v[15:16], v[17:18], 1.0
	v_fma_f64 v[17:18], v[17:18], v[19:20], v[17:18]
	v_mul_f64 v[19:20], v[21:22], v[17:18]
	v_fma_f64 v[15:16], -v[15:16], v[19:20], v[21:22]
	v_div_fmas_f64 v[15:16], v[15:16], v[17:18], v[19:20]
	v_div_fixup_f64 v[15:16], v[15:16], v[0:1], v[2:3]
	v_fma_f64 v[0:1], v[2:3], v[15:16], v[0:1]
	v_div_scale_f64 v[2:3], null, v[0:1], v[0:1], 1.0
	v_rcp_f64_e32 v[17:18], v[2:3]
	v_fma_f64 v[19:20], -v[2:3], v[17:18], 1.0
	v_fma_f64 v[17:18], v[17:18], v[19:20], v[17:18]
	v_fma_f64 v[19:20], -v[2:3], v[17:18], 1.0
	v_fma_f64 v[17:18], v[17:18], v[19:20], v[17:18]
	v_div_scale_f64 v[19:20], vcc_lo, 1.0, v[0:1], 1.0
	v_mul_f64 v[21:22], v[19:20], v[17:18]
	v_fma_f64 v[2:3], -v[2:3], v[21:22], v[19:20]
	v_div_fmas_f64 v[2:3], v[2:3], v[17:18], v[21:22]
	v_div_fixup_f64 v[0:1], v[2:3], v[0:1], 1.0
	v_mul_f64 v[2:3], v[15:16], -v[0:1]
.LBB120_133:
	s_or_b32 exec_lo, exec_lo, s16
.LBB120_134:
	s_or_b32 exec_lo, exec_lo, s4
	s_mov_b32 s4, exec_lo
	v_cmpx_ne_u32_e64 v14, v9
	s_xor_b32 s4, exec_lo, s4
	s_cbranch_execz .LBB120_140
; %bb.135:
	s_mov_b32 s16, exec_lo
	v_cmpx_eq_u32_e32 5, v14
	s_cbranch_execz .LBB120_139
; %bb.136:
	v_cmp_ne_u32_e32 vcc_lo, 5, v9
	s_xor_b32 s17, s20, -1
	s_and_b32 s57, s17, vcc_lo
	s_and_saveexec_b32 s17, s57
	s_cbranch_execz .LBB120_138
; %bb.137:
	v_ashrrev_i32_e32 v10, 31, v9
	v_lshlrev_b64 v[14:15], 2, v[9:10]
	v_add_co_u32 v14, vcc_lo, v7, v14
	v_add_co_ci_u32_e64 v15, null, v8, v15, vcc_lo
	s_clause 0x1
	global_load_dword v4, v[14:15], off
	global_load_dword v10, v[7:8], off offset:20
	s_waitcnt vmcnt(1)
	global_store_dword v[7:8], v4, off offset:20
	s_waitcnt vmcnt(0)
	global_store_dword v[14:15], v10, off
.LBB120_138:
	s_or_b32 exec_lo, exec_lo, s17
	v_mov_b32_e32 v14, v9
	v_mov_b32_e32 v10, v9
.LBB120_139:
	s_or_b32 exec_lo, exec_lo, s16
.LBB120_140:
	s_andn2_saveexec_b32 s4, s4
	s_cbranch_execz .LBB120_144
; %bb.141:
	s_movk_i32 s16, 0x60
.LBB120_142:                            ; =>This Inner Loop Header: Depth=1
	v_mov_b32_e32 v4, s16
	s_clause 0x2b
	buffer_load_dword v14, v4, s[0:3], 0 offen
	buffer_load_dword v15, v4, s[0:3], 0 offen offset:4
	buffer_load_dword v16, v4, s[0:3], 0 offen offset:8
	;; [unrolled: 1-line block ×43, first 2 shown]
	v_add_nc_u32_e32 v4, s16, v11
	s_addk_i32 s16, 0xb0
	s_waitcnt vmcnt(40)
	ds_write2_b64 v4, v[14:15], v[16:17] offset1:1
	s_waitcnt vmcnt(36)
	ds_write2_b64 v4, v[18:19], v[20:21] offset0:2 offset1:3
	s_waitcnt vmcnt(32)
	ds_write2_b64 v4, v[22:23], v[24:25] offset0:4 offset1:5
	;; [unrolled: 2-line block ×4, first 2 shown]
	ds_write2_b64 v4, v[34:35], v[32:33] offset0:10 offset1:11
	s_waitcnt vmcnt(12)
	ds_write2_b64 v4, v[44:45], v[38:39] offset0:12 offset1:13
	ds_write2_b64 v4, v[42:43], v[40:41] offset0:14 offset1:15
	s_waitcnt vmcnt(8)
	ds_write2_b64 v4, v[46:47], v[48:49] offset0:16 offset1:17
	s_waitcnt vmcnt(4)
	;; [unrolled: 2-line block ×3, first 2 shown]
	ds_write2_b64 v4, v[54:55], v[56:57] offset0:20 offset1:21
	s_cmpk_eq_i32 s16, 0x3d0
	s_cbranch_scc0 .LBB120_142
; %bb.143:
	v_mov_b32_e32 v14, 5
.LBB120_144:
	s_or_b32 exec_lo, exec_lo, s4
	s_mov_b32 s4, exec_lo
	s_waitcnt lgkmcnt(0)
	s_waitcnt_vscnt null, 0x0
	s_barrier
	buffer_gl0_inv
	v_cmpx_lt_i32_e32 5, v14
	s_cbranch_execz .LBB120_147
; %bb.145:
	s_clause 0x3
	buffer_load_dword v15, off, s[0:3], 0 offset:88
	buffer_load_dword v16, off, s[0:3], 0 offset:92
	;; [unrolled: 1-line block ×4, first 2 shown]
	s_movk_i32 s80, 0x60
	s_waitcnt vmcnt(2)
	v_mul_f64 v[19:20], v[2:3], v[15:16]
	v_mul_f64 v[15:16], v[0:1], v[15:16]
	s_waitcnt vmcnt(0)
	v_fma_f64 v[0:1], v[0:1], v[17:18], -v[19:20]
	v_fma_f64 v[2:3], v[2:3], v[17:18], v[15:16]
	buffer_store_dword v0, off, s[0:3], 0 offset:80
	buffer_store_dword v1, off, s[0:3], 0 offset:84
	;; [unrolled: 1-line block ×4, first 2 shown]
.LBB120_146:                            ; =>This Inner Loop Header: Depth=1
	s_clause 0x3
	buffer_load_dword v19, off, s[0:3], 0 offset:88
	buffer_load_dword v20, off, s[0:3], 0 offset:92
	;; [unrolled: 1-line block ×4, first 2 shown]
	v_mov_b32_e32 v4, s80
	v_add_nc_u32_e32 v9, s80, v11
	s_addk_i32 s80, 0x50
	s_clause 0x3
	buffer_load_dword v23, v4, s[0:3], 0 offen
	buffer_load_dword v24, v4, s[0:3], 0 offen offset:4
	buffer_load_dword v25, v4, s[0:3], 0 offen offset:8
	;; [unrolled: 1-line block ×3, first 2 shown]
	ds_read2_b64 v[0:3], v9 offset1:1
	ds_read2_b64 v[15:18], v9 offset0:2 offset1:3
	s_cmpk_lg_i32 s80, 0x3d0
	s_waitcnt vmcnt(6) lgkmcnt(1)
	v_mul_f64 v[27:28], v[2:3], v[19:20]
	v_mul_f64 v[19:20], v[0:1], v[19:20]
	s_waitcnt vmcnt(4)
	v_fma_f64 v[0:1], v[0:1], v[21:22], -v[27:28]
	v_fma_f64 v[2:3], v[2:3], v[21:22], v[19:20]
	s_clause 0x3
	buffer_load_dword v19, v4, s[0:3], 0 offen offset:16
	buffer_load_dword v20, v4, s[0:3], 0 offen offset:20
	buffer_load_dword v21, v4, s[0:3], 0 offen offset:24
	buffer_load_dword v22, v4, s[0:3], 0 offen offset:28
	s_waitcnt vmcnt(6)
	v_add_f64 v[0:1], v[23:24], -v[0:1]
	s_waitcnt vmcnt(4)
	v_add_f64 v[2:3], v[25:26], -v[2:3]
	buffer_store_dword v1, v4, s[0:3], 0 offen offset:4
	buffer_store_dword v0, v4, s[0:3], 0 offen
	buffer_store_dword v3, v4, s[0:3], 0 offen offset:12
	buffer_store_dword v2, v4, s[0:3], 0 offen offset:8
	s_clause 0x3
	buffer_load_dword v1, off, s[0:3], 0 offset:92
	buffer_load_dword v0, off, s[0:3], 0 offset:88
	;; [unrolled: 1-line block ×4, first 2 shown]
	s_waitcnt vmcnt(2) lgkmcnt(0)
	v_mul_f64 v[23:24], v[17:18], v[0:1]
	v_mul_f64 v[0:1], v[15:16], v[0:1]
	s_waitcnt vmcnt(0)
	v_fma_f64 v[15:16], v[15:16], v[2:3], -v[23:24]
	v_fma_f64 v[0:1], v[17:18], v[2:3], v[0:1]
	v_add_f64 v[2:3], v[19:20], -v[15:16]
	v_add_f64 v[0:1], v[21:22], -v[0:1]
	s_clause 0x3
	buffer_load_dword v19, v4, s[0:3], 0 offen offset:32
	buffer_load_dword v20, v4, s[0:3], 0 offen offset:36
	;; [unrolled: 1-line block ×4, first 2 shown]
	buffer_store_dword v3, v4, s[0:3], 0 offen offset:20
	buffer_store_dword v2, v4, s[0:3], 0 offen offset:16
	;; [unrolled: 1-line block ×4, first 2 shown]
	s_clause 0x3
	buffer_load_dword v23, off, s[0:3], 0 offset:88
	buffer_load_dword v24, off, s[0:3], 0 offset:92
	;; [unrolled: 1-line block ×4, first 2 shown]
	ds_read2_b64 v[0:3], v9 offset0:4 offset1:5
	ds_read2_b64 v[15:18], v9 offset0:6 offset1:7
	s_waitcnt vmcnt(2) lgkmcnt(1)
	v_mul_f64 v[27:28], v[2:3], v[23:24]
	v_mul_f64 v[23:24], v[0:1], v[23:24]
	s_waitcnt vmcnt(0)
	v_fma_f64 v[0:1], v[0:1], v[25:26], -v[27:28]
	v_fma_f64 v[2:3], v[2:3], v[25:26], v[23:24]
	v_add_f64 v[0:1], v[19:20], -v[0:1]
	v_add_f64 v[2:3], v[21:22], -v[2:3]
	buffer_store_dword v1, v4, s[0:3], 0 offen offset:36
	buffer_store_dword v0, v4, s[0:3], 0 offen offset:32
	;; [unrolled: 1-line block ×4, first 2 shown]
	s_clause 0x7
	buffer_load_dword v0, off, s[0:3], 0 offset:88
	buffer_load_dword v1, off, s[0:3], 0 offset:92
	;; [unrolled: 1-line block ×4, first 2 shown]
	buffer_load_dword v19, v4, s[0:3], 0 offen offset:48
	buffer_load_dword v20, v4, s[0:3], 0 offen offset:52
	buffer_load_dword v21, v4, s[0:3], 0 offen offset:56
	buffer_load_dword v22, v4, s[0:3], 0 offen offset:60
	s_waitcnt vmcnt(6) lgkmcnt(0)
	v_mul_f64 v[23:24], v[17:18], v[0:1]
	v_mul_f64 v[0:1], v[15:16], v[0:1]
	s_waitcnt vmcnt(4)
	v_fma_f64 v[15:16], v[15:16], v[2:3], -v[23:24]
	v_fma_f64 v[0:1], v[17:18], v[2:3], v[0:1]
	s_waitcnt vmcnt(2)
	v_add_f64 v[2:3], v[19:20], -v[15:16]
	s_waitcnt vmcnt(0)
	v_add_f64 v[0:1], v[21:22], -v[0:1]
	buffer_store_dword v3, v4, s[0:3], 0 offen offset:52
	buffer_store_dword v2, v4, s[0:3], 0 offen offset:48
	;; [unrolled: 1-line block ×4, first 2 shown]
	s_clause 0x7
	buffer_load_dword v15, off, s[0:3], 0 offset:88
	buffer_load_dword v16, off, s[0:3], 0 offset:92
	;; [unrolled: 1-line block ×4, first 2 shown]
	buffer_load_dword v19, v4, s[0:3], 0 offen offset:64
	buffer_load_dword v20, v4, s[0:3], 0 offen offset:68
	;; [unrolled: 1-line block ×4, first 2 shown]
	ds_read2_b64 v[0:3], v9 offset0:8 offset1:9
	s_waitcnt vmcnt(6) lgkmcnt(0)
	v_mul_f64 v[23:24], v[2:3], v[15:16]
	v_mul_f64 v[15:16], v[0:1], v[15:16]
	s_waitcnt vmcnt(4)
	v_fma_f64 v[0:1], v[0:1], v[17:18], -v[23:24]
	v_fma_f64 v[2:3], v[2:3], v[17:18], v[15:16]
	s_waitcnt vmcnt(2)
	v_add_f64 v[0:1], v[19:20], -v[0:1]
	s_waitcnt vmcnt(0)
	v_add_f64 v[2:3], v[21:22], -v[2:3]
	buffer_store_dword v1, v4, s[0:3], 0 offen offset:68
	buffer_store_dword v0, v4, s[0:3], 0 offen offset:64
	;; [unrolled: 1-line block ×4, first 2 shown]
	s_cbranch_scc1 .LBB120_146
.LBB120_147:
	s_or_b32 exec_lo, exec_lo, s4
	v_mov_b32_e32 v3, s75
	s_waitcnt_vscnt null, 0x0
	s_barrier
	buffer_gl0_inv
	v_lshl_add_u32 v4, v14, 4, v11
	s_clause 0x3
	buffer_load_dword v0, v3, s[0:3], 0 offen
	buffer_load_dword v1, v3, s[0:3], 0 offen offset:4
	buffer_load_dword v2, v3, s[0:3], 0 offen offset:8
	;; [unrolled: 1-line block ×3, first 2 shown]
	v_mov_b32_e32 v9, 6
	s_cmp_lt_i32 s56, 8
	s_waitcnt vmcnt(0)
	ds_write2_b64 v4, v[0:1], v[2:3] offset1:1
	s_waitcnt lgkmcnt(0)
	s_barrier
	buffer_gl0_inv
	ds_read2_b64 v[0:3], v11 offset0:12 offset1:13
	s_cbranch_scc1 .LBB120_150
; %bb.148:
	v_add3_u32 v4, v13, 0, 0x70
	v_mov_b32_e32 v9, 6
	s_mov_b32 s16, 7
	s_inst_prefetch 0x1
	.p2align	6
.LBB120_149:                            ; =>This Inner Loop Header: Depth=1
	s_waitcnt lgkmcnt(0)
	v_cmp_gt_f64_e32 vcc_lo, 0, v[2:3]
	v_cmp_gt_f64_e64 s4, 0, v[0:1]
	ds_read2_b64 v[15:18], v4 offset1:1
	v_xor_b32_e32 v20, 0x80000000, v1
	v_xor_b32_e32 v22, 0x80000000, v3
	v_mov_b32_e32 v19, v0
	v_mov_b32_e32 v21, v2
	v_add_nc_u32_e32 v4, 16, v4
	s_waitcnt lgkmcnt(0)
	v_xor_b32_e32 v24, 0x80000000, v18
	v_cndmask_b32_e64 v20, v1, v20, s4
	v_cndmask_b32_e32 v22, v3, v22, vcc_lo
	v_cmp_gt_f64_e32 vcc_lo, 0, v[17:18]
	v_cmp_gt_f64_e64 s4, 0, v[15:16]
	v_mov_b32_e32 v23, v17
	v_add_f64 v[19:20], v[19:20], v[21:22]
	v_xor_b32_e32 v22, 0x80000000, v16
	v_mov_b32_e32 v21, v15
	v_cndmask_b32_e32 v24, v18, v24, vcc_lo
	v_cndmask_b32_e64 v22, v16, v22, s4
	v_add_f64 v[21:22], v[21:22], v[23:24]
	v_cmp_lt_f64_e32 vcc_lo, v[19:20], v[21:22]
	v_cndmask_b32_e32 v1, v1, v16, vcc_lo
	v_cndmask_b32_e32 v0, v0, v15, vcc_lo
	;; [unrolled: 1-line block ×4, first 2 shown]
	v_cndmask_b32_e64 v9, v9, s16, vcc_lo
	s_add_i32 s16, s16, 1
	s_cmp_lg_u32 s56, s16
	s_cbranch_scc1 .LBB120_149
.LBB120_150:
	s_inst_prefetch 0x2
	s_waitcnt lgkmcnt(0)
	v_cmp_eq_f64_e32 vcc_lo, 0, v[0:1]
	v_cmp_eq_f64_e64 s4, 0, v[2:3]
	s_and_b32 s4, vcc_lo, s4
	s_and_saveexec_b32 s16, s4
	s_xor_b32 s4, exec_lo, s16
; %bb.151:
	v_cmp_ne_u32_e32 vcc_lo, 0, v12
	v_cndmask_b32_e32 v12, 7, v12, vcc_lo
; %bb.152:
	s_andn2_saveexec_b32 s4, s4
	s_cbranch_execz .LBB120_158
; %bb.153:
	v_cmp_ngt_f64_e64 s16, |v[0:1]|, |v[2:3]|
	s_and_saveexec_b32 s17, s16
	s_xor_b32 s16, exec_lo, s17
	s_cbranch_execz .LBB120_155
; %bb.154:
	v_div_scale_f64 v[15:16], null, v[2:3], v[2:3], v[0:1]
	v_div_scale_f64 v[21:22], vcc_lo, v[0:1], v[2:3], v[0:1]
	v_rcp_f64_e32 v[17:18], v[15:16]
	v_fma_f64 v[19:20], -v[15:16], v[17:18], 1.0
	v_fma_f64 v[17:18], v[17:18], v[19:20], v[17:18]
	v_fma_f64 v[19:20], -v[15:16], v[17:18], 1.0
	v_fma_f64 v[17:18], v[17:18], v[19:20], v[17:18]
	v_mul_f64 v[19:20], v[21:22], v[17:18]
	v_fma_f64 v[15:16], -v[15:16], v[19:20], v[21:22]
	v_div_fmas_f64 v[15:16], v[15:16], v[17:18], v[19:20]
	v_div_fixup_f64 v[15:16], v[15:16], v[2:3], v[0:1]
	v_fma_f64 v[0:1], v[0:1], v[15:16], v[2:3]
	v_div_scale_f64 v[2:3], null, v[0:1], v[0:1], 1.0
	v_rcp_f64_e32 v[17:18], v[2:3]
	v_fma_f64 v[19:20], -v[2:3], v[17:18], 1.0
	v_fma_f64 v[17:18], v[17:18], v[19:20], v[17:18]
	v_fma_f64 v[19:20], -v[2:3], v[17:18], 1.0
	v_fma_f64 v[17:18], v[17:18], v[19:20], v[17:18]
	v_div_scale_f64 v[19:20], vcc_lo, 1.0, v[0:1], 1.0
	v_mul_f64 v[21:22], v[19:20], v[17:18]
	v_fma_f64 v[2:3], -v[2:3], v[21:22], v[19:20]
	v_div_fmas_f64 v[2:3], v[2:3], v[17:18], v[21:22]
	v_div_fixup_f64 v[2:3], v[2:3], v[0:1], 1.0
	v_mul_f64 v[0:1], v[15:16], v[2:3]
	v_xor_b32_e32 v3, 0x80000000, v3
.LBB120_155:
	s_andn2_saveexec_b32 s16, s16
	s_cbranch_execz .LBB120_157
; %bb.156:
	v_div_scale_f64 v[15:16], null, v[0:1], v[0:1], v[2:3]
	v_div_scale_f64 v[21:22], vcc_lo, v[2:3], v[0:1], v[2:3]
	v_rcp_f64_e32 v[17:18], v[15:16]
	v_fma_f64 v[19:20], -v[15:16], v[17:18], 1.0
	v_fma_f64 v[17:18], v[17:18], v[19:20], v[17:18]
	v_fma_f64 v[19:20], -v[15:16], v[17:18], 1.0
	v_fma_f64 v[17:18], v[17:18], v[19:20], v[17:18]
	v_mul_f64 v[19:20], v[21:22], v[17:18]
	v_fma_f64 v[15:16], -v[15:16], v[19:20], v[21:22]
	v_div_fmas_f64 v[15:16], v[15:16], v[17:18], v[19:20]
	v_div_fixup_f64 v[15:16], v[15:16], v[0:1], v[2:3]
	v_fma_f64 v[0:1], v[2:3], v[15:16], v[0:1]
	v_div_scale_f64 v[2:3], null, v[0:1], v[0:1], 1.0
	v_rcp_f64_e32 v[17:18], v[2:3]
	v_fma_f64 v[19:20], -v[2:3], v[17:18], 1.0
	v_fma_f64 v[17:18], v[17:18], v[19:20], v[17:18]
	v_fma_f64 v[19:20], -v[2:3], v[17:18], 1.0
	v_fma_f64 v[17:18], v[17:18], v[19:20], v[17:18]
	v_div_scale_f64 v[19:20], vcc_lo, 1.0, v[0:1], 1.0
	v_mul_f64 v[21:22], v[19:20], v[17:18]
	v_fma_f64 v[2:3], -v[2:3], v[21:22], v[19:20]
	v_div_fmas_f64 v[2:3], v[2:3], v[17:18], v[21:22]
	v_div_fixup_f64 v[0:1], v[2:3], v[0:1], 1.0
	v_mul_f64 v[2:3], v[15:16], -v[0:1]
.LBB120_157:
	s_or_b32 exec_lo, exec_lo, s16
.LBB120_158:
	s_or_b32 exec_lo, exec_lo, s4
	s_mov_b32 s4, exec_lo
	v_cmpx_ne_u32_e64 v14, v9
	s_xor_b32 s4, exec_lo, s4
	s_cbranch_execz .LBB120_164
; %bb.159:
	s_mov_b32 s16, exec_lo
	v_cmpx_eq_u32_e32 6, v14
	s_cbranch_execz .LBB120_163
; %bb.160:
	v_cmp_ne_u32_e32 vcc_lo, 6, v9
	s_xor_b32 s17, s20, -1
	s_and_b32 s57, s17, vcc_lo
	s_and_saveexec_b32 s17, s57
	s_cbranch_execz .LBB120_162
; %bb.161:
	v_ashrrev_i32_e32 v10, 31, v9
	v_lshlrev_b64 v[14:15], 2, v[9:10]
	v_add_co_u32 v14, vcc_lo, v7, v14
	v_add_co_ci_u32_e64 v15, null, v8, v15, vcc_lo
	s_clause 0x1
	global_load_dword v4, v[14:15], off
	global_load_dword v10, v[7:8], off offset:24
	s_waitcnt vmcnt(1)
	global_store_dword v[7:8], v4, off offset:24
	s_waitcnt vmcnt(0)
	global_store_dword v[14:15], v10, off
.LBB120_162:
	s_or_b32 exec_lo, exec_lo, s17
	v_mov_b32_e32 v14, v9
	v_mov_b32_e32 v10, v9
.LBB120_163:
	s_or_b32 exec_lo, exec_lo, s16
.LBB120_164:
	s_andn2_saveexec_b32 s4, s4
	s_cbranch_execz .LBB120_168
; %bb.165:
	s_movk_i32 s80, 0x70
.LBB120_166:                            ; =>This Inner Loop Header: Depth=1
	v_mov_b32_e32 v4, s80
	s_clause 0x3e
	buffer_load_dword v14, v4, s[0:3], 0 offen
	buffer_load_dword v15, v4, s[0:3], 0 offen offset:4
	buffer_load_dword v16, v4, s[0:3], 0 offen offset:8
	;; [unrolled: 1-line block ×62, first 2 shown]
	s_clause 0x8
	buffer_load_dword v77, v4, s[0:3], 0 offen offset:252
	buffer_load_dword v78, v4, s[0:3], 0 offen offset:256
	;; [unrolled: 1-line block ×9, first 2 shown]
	v_add_nc_u32_e32 v4, s80, v11
	s_addk_i32 s80, 0x120
	s_waitcnt vmcnt(62)
	ds_write2_b64 v4, v[14:15], v[16:17] offset1:1
	ds_write2_b64 v4, v[18:19], v[20:21] offset0:2 offset1:3
	s_waitcnt vmcnt(60)
	ds_write2_b64 v4, v[22:23], v[24:25] offset0:4 offset1:5
	s_waitcnt vmcnt(56)
	ds_write2_b64 v4, v[26:27], v[28:29] offset0:6 offset1:7
	s_waitcnt vmcnt(48)
	ds_write2_b64 v4, v[36:37], v[30:31] offset0:8 offset1:9
	ds_write2_b64 v4, v[34:35], v[32:33] offset0:10 offset1:11
	s_waitcnt vmcnt(40)
	ds_write2_b64 v4, v[44:45], v[38:39] offset0:12 offset1:13
	ds_write2_b64 v4, v[42:43], v[40:41] offset0:14 offset1:15
	s_waitcnt vmcnt(36)
	ds_write2_b64 v4, v[46:47], v[48:49] offset0:16 offset1:17
	s_waitcnt vmcnt(32)
	;; [unrolled: 2-line block ×10, first 2 shown]
	ds_write2_b64 v4, v[82:83], v[84:85] offset0:34 offset1:35
	s_cmpk_eq_i32 s80, 0x3d0
	s_cbranch_scc0 .LBB120_166
; %bb.167:
	v_mov_b32_e32 v14, 6
.LBB120_168:
	s_or_b32 exec_lo, exec_lo, s4
	s_mov_b32 s4, exec_lo
	s_waitcnt lgkmcnt(0)
	s_waitcnt_vscnt null, 0x0
	s_barrier
	buffer_gl0_inv
	v_cmpx_lt_i32_e32 6, v14
	s_cbranch_execz .LBB120_171
; %bb.169:
	s_clause 0x3
	buffer_load_dword v15, off, s[0:3], 0 offset:104
	buffer_load_dword v16, off, s[0:3], 0 offset:108
	;; [unrolled: 1-line block ×4, first 2 shown]
	s_movk_i32 s80, 0x70
	s_waitcnt vmcnt(2)
	v_mul_f64 v[19:20], v[2:3], v[15:16]
	v_mul_f64 v[15:16], v[0:1], v[15:16]
	s_waitcnt vmcnt(0)
	v_fma_f64 v[0:1], v[0:1], v[17:18], -v[19:20]
	v_fma_f64 v[2:3], v[2:3], v[17:18], v[15:16]
	buffer_store_dword v0, off, s[0:3], 0 offset:96
	buffer_store_dword v1, off, s[0:3], 0 offset:100
	;; [unrolled: 1-line block ×4, first 2 shown]
.LBB120_170:                            ; =>This Inner Loop Header: Depth=1
	s_clause 0x3
	buffer_load_dword v19, off, s[0:3], 0 offset:104
	buffer_load_dword v20, off, s[0:3], 0 offset:108
	;; [unrolled: 1-line block ×4, first 2 shown]
	v_mov_b32_e32 v4, s80
	v_add_nc_u32_e32 v9, s80, v11
	s_addk_i32 s80, 0x60
	s_clause 0x3
	buffer_load_dword v23, v4, s[0:3], 0 offen
	buffer_load_dword v24, v4, s[0:3], 0 offen offset:4
	buffer_load_dword v25, v4, s[0:3], 0 offen offset:8
	;; [unrolled: 1-line block ×3, first 2 shown]
	ds_read2_b64 v[0:3], v9 offset1:1
	s_clause 0x3
	buffer_load_dword v27, v4, s[0:3], 0 offen offset:16
	buffer_load_dword v28, v4, s[0:3], 0 offen offset:20
	;; [unrolled: 1-line block ×4, first 2 shown]
	ds_read2_b64 v[15:18], v9 offset0:2 offset1:3
	s_cmpk_lg_i32 s80, 0x3d0
	s_waitcnt vmcnt(10) lgkmcnt(1)
	v_mul_f64 v[31:32], v[2:3], v[19:20]
	v_mul_f64 v[19:20], v[0:1], v[19:20]
	s_waitcnt vmcnt(8)
	v_fma_f64 v[0:1], v[0:1], v[21:22], -v[31:32]
	v_fma_f64 v[2:3], v[2:3], v[21:22], v[19:20]
	s_waitcnt vmcnt(6)
	v_add_f64 v[0:1], v[23:24], -v[0:1]
	s_waitcnt vmcnt(4)
	v_add_f64 v[2:3], v[25:26], -v[2:3]
	buffer_store_dword v1, v4, s[0:3], 0 offen offset:4
	buffer_store_dword v0, v4, s[0:3], 0 offen
	buffer_store_dword v3, v4, s[0:3], 0 offen offset:12
	buffer_store_dword v2, v4, s[0:3], 0 offen offset:8
	s_clause 0x3
	buffer_load_dword v1, off, s[0:3], 0 offset:108
	buffer_load_dword v0, off, s[0:3], 0 offset:104
	;; [unrolled: 1-line block ×4, first 2 shown]
	s_waitcnt vmcnt(2) lgkmcnt(0)
	v_mul_f64 v[19:20], v[17:18], v[0:1]
	v_mul_f64 v[0:1], v[15:16], v[0:1]
	s_waitcnt vmcnt(0)
	v_fma_f64 v[15:16], v[15:16], v[2:3], -v[19:20]
	v_fma_f64 v[0:1], v[17:18], v[2:3], v[0:1]
	s_clause 0x3
	buffer_load_dword v19, v4, s[0:3], 0 offen offset:32
	buffer_load_dword v20, v4, s[0:3], 0 offen offset:36
	;; [unrolled: 1-line block ×4, first 2 shown]
	v_add_f64 v[2:3], v[27:28], -v[15:16]
	v_add_f64 v[0:1], v[29:30], -v[0:1]
	buffer_store_dword v3, v4, s[0:3], 0 offen offset:20
	buffer_store_dword v2, v4, s[0:3], 0 offen offset:16
	;; [unrolled: 1-line block ×4, first 2 shown]
	s_clause 0x3
	buffer_load_dword v23, off, s[0:3], 0 offset:104
	buffer_load_dword v24, off, s[0:3], 0 offset:108
	;; [unrolled: 1-line block ×4, first 2 shown]
	ds_read2_b64 v[0:3], v9 offset0:4 offset1:5
	ds_read2_b64 v[15:18], v9 offset0:6 offset1:7
	s_waitcnt vmcnt(2) lgkmcnt(1)
	v_mul_f64 v[27:28], v[2:3], v[23:24]
	v_mul_f64 v[23:24], v[0:1], v[23:24]
	s_waitcnt vmcnt(0)
	v_fma_f64 v[0:1], v[0:1], v[25:26], -v[27:28]
	v_fma_f64 v[2:3], v[2:3], v[25:26], v[23:24]
	v_add_f64 v[0:1], v[19:20], -v[0:1]
	v_add_f64 v[2:3], v[21:22], -v[2:3]
	buffer_store_dword v1, v4, s[0:3], 0 offen offset:36
	buffer_store_dword v0, v4, s[0:3], 0 offen offset:32
	;; [unrolled: 1-line block ×4, first 2 shown]
	s_clause 0x7
	buffer_load_dword v0, off, s[0:3], 0 offset:104
	buffer_load_dword v1, off, s[0:3], 0 offset:108
	buffer_load_dword v2, off, s[0:3], 0 offset:96
	buffer_load_dword v3, off, s[0:3], 0 offset:100
	buffer_load_dword v19, v4, s[0:3], 0 offen offset:48
	buffer_load_dword v20, v4, s[0:3], 0 offen offset:52
	;; [unrolled: 1-line block ×4, first 2 shown]
	s_waitcnt vmcnt(6) lgkmcnt(0)
	v_mul_f64 v[23:24], v[17:18], v[0:1]
	v_mul_f64 v[0:1], v[15:16], v[0:1]
	s_waitcnt vmcnt(4)
	v_fma_f64 v[15:16], v[15:16], v[2:3], -v[23:24]
	v_fma_f64 v[0:1], v[17:18], v[2:3], v[0:1]
	s_waitcnt vmcnt(2)
	v_add_f64 v[2:3], v[19:20], -v[15:16]
	s_waitcnt vmcnt(0)
	v_add_f64 v[0:1], v[21:22], -v[0:1]
	buffer_store_dword v3, v4, s[0:3], 0 offen offset:52
	buffer_store_dword v2, v4, s[0:3], 0 offen offset:48
	;; [unrolled: 1-line block ×4, first 2 shown]
	s_clause 0x7
	buffer_load_dword v19, off, s[0:3], 0 offset:104
	buffer_load_dword v20, off, s[0:3], 0 offset:108
	;; [unrolled: 1-line block ×4, first 2 shown]
	buffer_load_dword v23, v4, s[0:3], 0 offen offset:64
	buffer_load_dword v24, v4, s[0:3], 0 offen offset:68
	;; [unrolled: 1-line block ×4, first 2 shown]
	ds_read2_b64 v[0:3], v9 offset0:8 offset1:9
	ds_read2_b64 v[15:18], v9 offset0:10 offset1:11
	s_waitcnt vmcnt(6) lgkmcnt(1)
	v_mul_f64 v[27:28], v[2:3], v[19:20]
	v_mul_f64 v[19:20], v[0:1], v[19:20]
	s_waitcnt vmcnt(4)
	v_fma_f64 v[0:1], v[0:1], v[21:22], -v[27:28]
	v_fma_f64 v[2:3], v[2:3], v[21:22], v[19:20]
	s_waitcnt vmcnt(2)
	v_add_f64 v[0:1], v[23:24], -v[0:1]
	s_waitcnt vmcnt(0)
	v_add_f64 v[2:3], v[25:26], -v[2:3]
	buffer_store_dword v1, v4, s[0:3], 0 offen offset:68
	buffer_store_dword v0, v4, s[0:3], 0 offen offset:64
	;; [unrolled: 1-line block ×4, first 2 shown]
	s_clause 0x7
	buffer_load_dword v0, off, s[0:3], 0 offset:104
	buffer_load_dword v1, off, s[0:3], 0 offset:108
	;; [unrolled: 1-line block ×4, first 2 shown]
	buffer_load_dword v19, v4, s[0:3], 0 offen offset:80
	buffer_load_dword v20, v4, s[0:3], 0 offen offset:84
	;; [unrolled: 1-line block ×4, first 2 shown]
	s_waitcnt vmcnt(6) lgkmcnt(0)
	v_mul_f64 v[23:24], v[17:18], v[0:1]
	v_mul_f64 v[0:1], v[15:16], v[0:1]
	s_waitcnt vmcnt(4)
	v_fma_f64 v[15:16], v[15:16], v[2:3], -v[23:24]
	v_fma_f64 v[0:1], v[17:18], v[2:3], v[0:1]
	s_waitcnt vmcnt(2)
	v_add_f64 v[2:3], v[19:20], -v[15:16]
	s_waitcnt vmcnt(0)
	v_add_f64 v[0:1], v[21:22], -v[0:1]
	buffer_store_dword v3, v4, s[0:3], 0 offen offset:84
	buffer_store_dword v2, v4, s[0:3], 0 offen offset:80
	;; [unrolled: 1-line block ×4, first 2 shown]
	s_cbranch_scc1 .LBB120_170
.LBB120_171:
	s_or_b32 exec_lo, exec_lo, s4
	v_mov_b32_e32 v3, s74
	s_waitcnt_vscnt null, 0x0
	s_barrier
	buffer_gl0_inv
	v_lshl_add_u32 v4, v14, 4, v11
	s_clause 0x3
	buffer_load_dword v0, v3, s[0:3], 0 offen
	buffer_load_dword v1, v3, s[0:3], 0 offen offset:4
	buffer_load_dword v2, v3, s[0:3], 0 offen offset:8
	;; [unrolled: 1-line block ×3, first 2 shown]
	v_mov_b32_e32 v9, 7
	s_cmp_lt_i32 s56, 9
	s_waitcnt vmcnt(0)
	ds_write2_b64 v4, v[0:1], v[2:3] offset1:1
	s_waitcnt lgkmcnt(0)
	s_barrier
	buffer_gl0_inv
	ds_read2_b64 v[0:3], v11 offset0:14 offset1:15
	s_cbranch_scc1 .LBB120_174
; %bb.172:
	v_add3_u32 v4, v13, 0, 0x80
	v_mov_b32_e32 v9, 7
	s_mov_b32 s16, 8
	s_inst_prefetch 0x1
	.p2align	6
.LBB120_173:                            ; =>This Inner Loop Header: Depth=1
	s_waitcnt lgkmcnt(0)
	v_cmp_gt_f64_e32 vcc_lo, 0, v[2:3]
	v_cmp_gt_f64_e64 s4, 0, v[0:1]
	ds_read2_b64 v[15:18], v4 offset1:1
	v_xor_b32_e32 v20, 0x80000000, v1
	v_xor_b32_e32 v22, 0x80000000, v3
	v_mov_b32_e32 v19, v0
	v_mov_b32_e32 v21, v2
	v_add_nc_u32_e32 v4, 16, v4
	s_waitcnt lgkmcnt(0)
	v_xor_b32_e32 v24, 0x80000000, v18
	v_cndmask_b32_e64 v20, v1, v20, s4
	v_cndmask_b32_e32 v22, v3, v22, vcc_lo
	v_cmp_gt_f64_e32 vcc_lo, 0, v[17:18]
	v_cmp_gt_f64_e64 s4, 0, v[15:16]
	v_mov_b32_e32 v23, v17
	v_add_f64 v[19:20], v[19:20], v[21:22]
	v_xor_b32_e32 v22, 0x80000000, v16
	v_mov_b32_e32 v21, v15
	v_cndmask_b32_e32 v24, v18, v24, vcc_lo
	v_cndmask_b32_e64 v22, v16, v22, s4
	v_add_f64 v[21:22], v[21:22], v[23:24]
	v_cmp_lt_f64_e32 vcc_lo, v[19:20], v[21:22]
	v_cndmask_b32_e32 v1, v1, v16, vcc_lo
	v_cndmask_b32_e32 v0, v0, v15, vcc_lo
	;; [unrolled: 1-line block ×4, first 2 shown]
	v_cndmask_b32_e64 v9, v9, s16, vcc_lo
	s_add_i32 s16, s16, 1
	s_cmp_lg_u32 s56, s16
	s_cbranch_scc1 .LBB120_173
.LBB120_174:
	s_inst_prefetch 0x2
	s_waitcnt lgkmcnt(0)
	v_cmp_eq_f64_e32 vcc_lo, 0, v[0:1]
	v_cmp_eq_f64_e64 s4, 0, v[2:3]
	s_and_b32 s4, vcc_lo, s4
	s_and_saveexec_b32 s16, s4
	s_xor_b32 s4, exec_lo, s16
; %bb.175:
	v_cmp_ne_u32_e32 vcc_lo, 0, v12
	v_cndmask_b32_e32 v12, 8, v12, vcc_lo
; %bb.176:
	s_andn2_saveexec_b32 s4, s4
	s_cbranch_execz .LBB120_182
; %bb.177:
	v_cmp_ngt_f64_e64 s16, |v[0:1]|, |v[2:3]|
	s_and_saveexec_b32 s17, s16
	s_xor_b32 s16, exec_lo, s17
	s_cbranch_execz .LBB120_179
; %bb.178:
	v_div_scale_f64 v[15:16], null, v[2:3], v[2:3], v[0:1]
	v_div_scale_f64 v[21:22], vcc_lo, v[0:1], v[2:3], v[0:1]
	v_rcp_f64_e32 v[17:18], v[15:16]
	v_fma_f64 v[19:20], -v[15:16], v[17:18], 1.0
	v_fma_f64 v[17:18], v[17:18], v[19:20], v[17:18]
	v_fma_f64 v[19:20], -v[15:16], v[17:18], 1.0
	v_fma_f64 v[17:18], v[17:18], v[19:20], v[17:18]
	v_mul_f64 v[19:20], v[21:22], v[17:18]
	v_fma_f64 v[15:16], -v[15:16], v[19:20], v[21:22]
	v_div_fmas_f64 v[15:16], v[15:16], v[17:18], v[19:20]
	v_div_fixup_f64 v[15:16], v[15:16], v[2:3], v[0:1]
	v_fma_f64 v[0:1], v[0:1], v[15:16], v[2:3]
	v_div_scale_f64 v[2:3], null, v[0:1], v[0:1], 1.0
	v_rcp_f64_e32 v[17:18], v[2:3]
	v_fma_f64 v[19:20], -v[2:3], v[17:18], 1.0
	v_fma_f64 v[17:18], v[17:18], v[19:20], v[17:18]
	v_fma_f64 v[19:20], -v[2:3], v[17:18], 1.0
	v_fma_f64 v[17:18], v[17:18], v[19:20], v[17:18]
	v_div_scale_f64 v[19:20], vcc_lo, 1.0, v[0:1], 1.0
	v_mul_f64 v[21:22], v[19:20], v[17:18]
	v_fma_f64 v[2:3], -v[2:3], v[21:22], v[19:20]
	v_div_fmas_f64 v[2:3], v[2:3], v[17:18], v[21:22]
	v_div_fixup_f64 v[2:3], v[2:3], v[0:1], 1.0
	v_mul_f64 v[0:1], v[15:16], v[2:3]
	v_xor_b32_e32 v3, 0x80000000, v3
.LBB120_179:
	s_andn2_saveexec_b32 s16, s16
	s_cbranch_execz .LBB120_181
; %bb.180:
	v_div_scale_f64 v[15:16], null, v[0:1], v[0:1], v[2:3]
	v_div_scale_f64 v[21:22], vcc_lo, v[2:3], v[0:1], v[2:3]
	v_rcp_f64_e32 v[17:18], v[15:16]
	v_fma_f64 v[19:20], -v[15:16], v[17:18], 1.0
	v_fma_f64 v[17:18], v[17:18], v[19:20], v[17:18]
	v_fma_f64 v[19:20], -v[15:16], v[17:18], 1.0
	v_fma_f64 v[17:18], v[17:18], v[19:20], v[17:18]
	v_mul_f64 v[19:20], v[21:22], v[17:18]
	v_fma_f64 v[15:16], -v[15:16], v[19:20], v[21:22]
	v_div_fmas_f64 v[15:16], v[15:16], v[17:18], v[19:20]
	v_div_fixup_f64 v[15:16], v[15:16], v[0:1], v[2:3]
	v_fma_f64 v[0:1], v[2:3], v[15:16], v[0:1]
	v_div_scale_f64 v[2:3], null, v[0:1], v[0:1], 1.0
	v_rcp_f64_e32 v[17:18], v[2:3]
	v_fma_f64 v[19:20], -v[2:3], v[17:18], 1.0
	v_fma_f64 v[17:18], v[17:18], v[19:20], v[17:18]
	v_fma_f64 v[19:20], -v[2:3], v[17:18], 1.0
	v_fma_f64 v[17:18], v[17:18], v[19:20], v[17:18]
	v_div_scale_f64 v[19:20], vcc_lo, 1.0, v[0:1], 1.0
	v_mul_f64 v[21:22], v[19:20], v[17:18]
	v_fma_f64 v[2:3], -v[2:3], v[21:22], v[19:20]
	v_div_fmas_f64 v[2:3], v[2:3], v[17:18], v[21:22]
	v_div_fixup_f64 v[0:1], v[2:3], v[0:1], 1.0
	v_mul_f64 v[2:3], v[15:16], -v[0:1]
.LBB120_181:
	s_or_b32 exec_lo, exec_lo, s16
.LBB120_182:
	s_or_b32 exec_lo, exec_lo, s4
	s_mov_b32 s4, exec_lo
	v_cmpx_ne_u32_e64 v14, v9
	s_xor_b32 s4, exec_lo, s4
	s_cbranch_execz .LBB120_188
; %bb.183:
	s_mov_b32 s16, exec_lo
	v_cmpx_eq_u32_e32 7, v14
	s_cbranch_execz .LBB120_187
; %bb.184:
	v_cmp_ne_u32_e32 vcc_lo, 7, v9
	s_xor_b32 s17, s20, -1
	s_and_b32 s57, s17, vcc_lo
	s_and_saveexec_b32 s17, s57
	s_cbranch_execz .LBB120_186
; %bb.185:
	v_ashrrev_i32_e32 v10, 31, v9
	v_lshlrev_b64 v[14:15], 2, v[9:10]
	v_add_co_u32 v14, vcc_lo, v7, v14
	v_add_co_ci_u32_e64 v15, null, v8, v15, vcc_lo
	s_clause 0x1
	global_load_dword v4, v[14:15], off
	global_load_dword v10, v[7:8], off offset:28
	s_waitcnt vmcnt(1)
	global_store_dword v[7:8], v4, off offset:28
	s_waitcnt vmcnt(0)
	global_store_dword v[14:15], v10, off
.LBB120_186:
	s_or_b32 exec_lo, exec_lo, s17
	v_mov_b32_e32 v14, v9
	v_mov_b32_e32 v10, v9
.LBB120_187:
	s_or_b32 exec_lo, exec_lo, s16
.LBB120_188:
	s_andn2_saveexec_b32 s4, s4
	s_cbranch_execz .LBB120_194
; %bb.189:
	s_movk_i32 s16, 0x80
	s_branch .LBB120_191
.LBB120_190:                            ;   in Loop: Header=BB120_191 Depth=1
	s_andn2_b32 vcc_lo, exec_lo, s57
	s_cbranch_vccz .LBB120_193
.LBB120_191:                            ; =>This Inner Loop Header: Depth=1
	v_mov_b32_e32 v4, s16
	s_mov_b32 s17, s16
	s_mov_b32 s57, -1
	s_cmpk_eq_i32 s16, 0x380
	s_clause 0x13
	buffer_load_dword v14, v4, s[0:3], 0 offen
	buffer_load_dword v15, v4, s[0:3], 0 offen offset:4
	buffer_load_dword v16, v4, s[0:3], 0 offen offset:8
	;; [unrolled: 1-line block ×19, first 2 shown]
	v_add_nc_u32_e32 v4, s16, v11
	s_waitcnt vmcnt(16)
	ds_write2_b64 v4, v[14:15], v[16:17] offset1:1
	s_waitcnt vmcnt(12)
	ds_write2_b64 v4, v[18:19], v[20:21] offset0:2 offset1:3
	s_waitcnt vmcnt(8)
	ds_write2_b64 v4, v[22:23], v[24:25] offset0:4 offset1:5
	;; [unrolled: 2-line block ×4, first 2 shown]
	s_cbranch_scc1 .LBB120_190
; %bb.192:                              ;   in Loop: Header=BB120_191 Depth=1
	v_mov_b32_e32 v9, s17
	s_addk_i32 s16, 0x80
	s_mov_b32 s57, 0
	s_clause 0xb
	buffer_load_dword v14, v9, s[0:3], 0 offen offset:80
	buffer_load_dword v15, v9, s[0:3], 0 offen offset:84
	;; [unrolled: 1-line block ×12, first 2 shown]
	s_waitcnt vmcnt(8)
	ds_write2_b64 v4, v[14:15], v[16:17] offset0:10 offset1:11
	s_waitcnt vmcnt(4)
	ds_write2_b64 v4, v[18:19], v[20:21] offset0:12 offset1:13
	;; [unrolled: 2-line block ×3, first 2 shown]
	s_branch .LBB120_190
.LBB120_193:
	v_mov_b32_e32 v14, 7
.LBB120_194:
	s_or_b32 exec_lo, exec_lo, s4
	s_mov_b32 s4, exec_lo
	s_waitcnt lgkmcnt(0)
	s_waitcnt_vscnt null, 0x0
	s_barrier
	buffer_gl0_inv
	v_cmpx_lt_i32_e32 7, v14
	s_cbranch_execz .LBB120_199
; %bb.195:
	s_clause 0x3
	buffer_load_dword v15, off, s[0:3], 0 offset:120
	buffer_load_dword v16, off, s[0:3], 0 offset:124
	;; [unrolled: 1-line block ×4, first 2 shown]
	s_movk_i32 s80, 0x80
	s_waitcnt vmcnt(2)
	v_mul_f64 v[19:20], v[2:3], v[15:16]
	v_mul_f64 v[15:16], v[0:1], v[15:16]
	s_waitcnt vmcnt(0)
	v_fma_f64 v[0:1], v[0:1], v[17:18], -v[19:20]
	v_fma_f64 v[2:3], v[2:3], v[17:18], v[15:16]
	buffer_store_dword v0, off, s[0:3], 0 offset:112
	buffer_store_dword v1, off, s[0:3], 0 offset:116
	buffer_store_dword v2, off, s[0:3], 0 offset:120
	buffer_store_dword v3, off, s[0:3], 0 offset:124
	s_branch .LBB120_197
.LBB120_196:                            ;   in Loop: Header=BB120_197 Depth=1
	s_andn2_b32 vcc_lo, exec_lo, s17
	s_cbranch_vccz .LBB120_199
.LBB120_197:                            ; =>This Inner Loop Header: Depth=1
	v_mov_b32_e32 v9, s80
	v_add_nc_u32_e32 v4, s80, v11
	s_mov_b32 s16, s80
	s_mov_b32 s17, -1
	s_cmpk_eq_i32 s80, 0x3c0
	s_clause 0x3
	buffer_load_dword v19, v9, s[0:3], 0 offen
	buffer_load_dword v20, v9, s[0:3], 0 offen offset:4
	buffer_load_dword v21, v9, s[0:3], 0 offen offset:8
	;; [unrolled: 1-line block ×3, first 2 shown]
	ds_read2_b64 v[15:18], v4 offset1:1
	s_waitcnt vmcnt(4) lgkmcnt(0)
	v_mul_f64 v[23:24], v[17:18], v[2:3]
	v_mul_f64 v[2:3], v[15:16], v[2:3]
	v_fma_f64 v[15:16], v[15:16], v[0:1], -v[23:24]
	v_fma_f64 v[0:1], v[17:18], v[0:1], v[2:3]
	s_waitcnt vmcnt(2)
	v_add_f64 v[2:3], v[19:20], -v[15:16]
	s_waitcnt vmcnt(0)
	v_add_f64 v[0:1], v[21:22], -v[0:1]
	buffer_store_dword v2, v9, s[0:3], 0 offen
	buffer_store_dword v3, v9, s[0:3], 0 offen offset:4
	buffer_store_dword v0, v9, s[0:3], 0 offen offset:8
	;; [unrolled: 1-line block ×3, first 2 shown]
                                        ; implicit-def: $vgpr0_vgpr1
                                        ; implicit-def: $vgpr2_vgpr3
	s_cbranch_scc1 .LBB120_196
; %bb.198:                              ;   in Loop: Header=BB120_197 Depth=1
	s_clause 0x3
	buffer_load_dword v19, off, s[0:3], 0 offset:120
	buffer_load_dword v20, off, s[0:3], 0 offset:124
	;; [unrolled: 1-line block ×4, first 2 shown]
	v_mov_b32_e32 v9, s16
	s_add_i32 s80, s80, 64
	s_mov_b32 s17, 0
	s_clause 0x3
	buffer_load_dword v23, v9, s[0:3], 0 offen offset:16
	buffer_load_dword v24, v9, s[0:3], 0 offen offset:20
	;; [unrolled: 1-line block ×4, first 2 shown]
	ds_read2_b64 v[0:3], v4 offset0:2 offset1:3
	ds_read2_b64 v[15:18], v4 offset0:4 offset1:5
	s_waitcnt vmcnt(6) lgkmcnt(1)
	v_mul_f64 v[27:28], v[2:3], v[19:20]
	v_mul_f64 v[19:20], v[0:1], v[19:20]
	s_waitcnt vmcnt(4)
	v_fma_f64 v[0:1], v[0:1], v[21:22], -v[27:28]
	v_fma_f64 v[2:3], v[2:3], v[21:22], v[19:20]
	s_waitcnt vmcnt(2)
	v_add_f64 v[0:1], v[23:24], -v[0:1]
	s_waitcnt vmcnt(0)
	v_add_f64 v[2:3], v[25:26], -v[2:3]
	buffer_store_dword v1, v9, s[0:3], 0 offen offset:20
	buffer_store_dword v0, v9, s[0:3], 0 offen offset:16
	;; [unrolled: 1-line block ×4, first 2 shown]
	s_clause 0x7
	buffer_load_dword v1, v9, s[0:3], 0 offen offset:36
	buffer_load_dword v2, v9, s[0:3], 0 offen offset:40
	;; [unrolled: 1-line block ×3, first 2 shown]
	buffer_load_dword v20, off, s[0:3], 0 offset:124
	buffer_load_dword v19, off, s[0:3], 0 offset:120
	;; [unrolled: 1-line block ×4, first 2 shown]
	buffer_load_dword v0, v9, s[0:3], 0 offen offset:32
	s_waitcnt vmcnt(3) lgkmcnt(0)
	v_mul_f64 v[23:24], v[17:18], v[19:20]
	v_mul_f64 v[19:20], v[15:16], v[19:20]
	s_waitcnt vmcnt(1)
	v_fma_f64 v[15:16], v[15:16], v[21:22], -v[23:24]
	v_fma_f64 v[17:18], v[17:18], v[21:22], v[19:20]
	s_waitcnt vmcnt(0)
	v_add_f64 v[0:1], v[0:1], -v[15:16]
	v_add_f64 v[2:3], v[2:3], -v[17:18]
	buffer_store_dword v1, v9, s[0:3], 0 offen offset:36
	buffer_store_dword v0, v9, s[0:3], 0 offen offset:32
	;; [unrolled: 1-line block ×4, first 2 shown]
	s_clause 0x7
	buffer_load_dword v16, v9, s[0:3], 0 offen offset:52
	buffer_load_dword v17, v9, s[0:3], 0 offen offset:56
	;; [unrolled: 1-line block ×3, first 2 shown]
	buffer_load_dword v19, off, s[0:3], 0 offset:120
	buffer_load_dword v20, off, s[0:3], 0 offset:124
	;; [unrolled: 1-line block ×4, first 2 shown]
	buffer_load_dword v15, v9, s[0:3], 0 offen offset:48
	ds_read2_b64 v[0:3], v4 offset0:6 offset1:7
	s_waitcnt vmcnt(3) lgkmcnt(0)
	v_mul_f64 v[23:24], v[2:3], v[19:20]
	v_mul_f64 v[19:20], v[0:1], v[19:20]
	s_waitcnt vmcnt(1)
	v_fma_f64 v[0:1], v[0:1], v[21:22], -v[23:24]
	v_fma_f64 v[2:3], v[2:3], v[21:22], v[19:20]
	s_waitcnt vmcnt(0)
	v_add_f64 v[0:1], v[15:16], -v[0:1]
	v_add_f64 v[2:3], v[17:18], -v[2:3]
	buffer_store_dword v1, v9, s[0:3], 0 offen offset:52
	buffer_store_dword v0, v9, s[0:3], 0 offen offset:48
	;; [unrolled: 1-line block ×4, first 2 shown]
	s_clause 0x3
	buffer_load_dword v0, off, s[0:3], 0 offset:112
	buffer_load_dword v1, off, s[0:3], 0 offset:116
	;; [unrolled: 1-line block ×4, first 2 shown]
	s_branch .LBB120_196
.LBB120_199:
	s_or_b32 exec_lo, exec_lo, s4
	s_waitcnt vmcnt(0)
	v_mov_b32_e32 v3, s73
	s_waitcnt_vscnt null, 0x0
	s_barrier
	buffer_gl0_inv
	v_lshl_add_u32 v4, v14, 4, v11
	s_clause 0x3
	buffer_load_dword v0, v3, s[0:3], 0 offen
	buffer_load_dword v1, v3, s[0:3], 0 offen offset:4
	buffer_load_dword v2, v3, s[0:3], 0 offen offset:8
	;; [unrolled: 1-line block ×3, first 2 shown]
	v_mov_b32_e32 v9, 8
	s_cmp_lt_i32 s56, 10
	s_waitcnt vmcnt(0)
	ds_write2_b64 v4, v[0:1], v[2:3] offset1:1
	s_waitcnt lgkmcnt(0)
	s_barrier
	buffer_gl0_inv
	ds_read2_b64 v[0:3], v11 offset0:16 offset1:17
	s_cbranch_scc1 .LBB120_202
; %bb.200:
	v_add3_u32 v4, v13, 0, 0x90
	v_mov_b32_e32 v9, 8
	s_mov_b32 s16, 9
	s_inst_prefetch 0x1
	.p2align	6
.LBB120_201:                            ; =>This Inner Loop Header: Depth=1
	s_waitcnt lgkmcnt(0)
	v_cmp_gt_f64_e32 vcc_lo, 0, v[2:3]
	v_cmp_gt_f64_e64 s4, 0, v[0:1]
	ds_read2_b64 v[15:18], v4 offset1:1
	v_xor_b32_e32 v20, 0x80000000, v1
	v_xor_b32_e32 v22, 0x80000000, v3
	v_mov_b32_e32 v19, v0
	v_mov_b32_e32 v21, v2
	v_add_nc_u32_e32 v4, 16, v4
	s_waitcnt lgkmcnt(0)
	v_xor_b32_e32 v24, 0x80000000, v18
	v_cndmask_b32_e64 v20, v1, v20, s4
	v_cndmask_b32_e32 v22, v3, v22, vcc_lo
	v_cmp_gt_f64_e32 vcc_lo, 0, v[17:18]
	v_cmp_gt_f64_e64 s4, 0, v[15:16]
	v_mov_b32_e32 v23, v17
	v_add_f64 v[19:20], v[19:20], v[21:22]
	v_xor_b32_e32 v22, 0x80000000, v16
	v_mov_b32_e32 v21, v15
	v_cndmask_b32_e32 v24, v18, v24, vcc_lo
	v_cndmask_b32_e64 v22, v16, v22, s4
	v_add_f64 v[21:22], v[21:22], v[23:24]
	v_cmp_lt_f64_e32 vcc_lo, v[19:20], v[21:22]
	v_cndmask_b32_e32 v1, v1, v16, vcc_lo
	v_cndmask_b32_e32 v0, v0, v15, vcc_lo
	;; [unrolled: 1-line block ×4, first 2 shown]
	v_cndmask_b32_e64 v9, v9, s16, vcc_lo
	s_add_i32 s16, s16, 1
	s_cmp_lg_u32 s56, s16
	s_cbranch_scc1 .LBB120_201
.LBB120_202:
	s_inst_prefetch 0x2
	s_waitcnt lgkmcnt(0)
	v_cmp_eq_f64_e32 vcc_lo, 0, v[0:1]
	v_cmp_eq_f64_e64 s4, 0, v[2:3]
	s_and_b32 s4, vcc_lo, s4
	s_and_saveexec_b32 s16, s4
	s_xor_b32 s4, exec_lo, s16
; %bb.203:
	v_cmp_ne_u32_e32 vcc_lo, 0, v12
	v_cndmask_b32_e32 v12, 9, v12, vcc_lo
; %bb.204:
	s_andn2_saveexec_b32 s4, s4
	s_cbranch_execz .LBB120_210
; %bb.205:
	v_cmp_ngt_f64_e64 s16, |v[0:1]|, |v[2:3]|
	s_and_saveexec_b32 s17, s16
	s_xor_b32 s16, exec_lo, s17
	s_cbranch_execz .LBB120_207
; %bb.206:
	v_div_scale_f64 v[15:16], null, v[2:3], v[2:3], v[0:1]
	v_div_scale_f64 v[21:22], vcc_lo, v[0:1], v[2:3], v[0:1]
	v_rcp_f64_e32 v[17:18], v[15:16]
	v_fma_f64 v[19:20], -v[15:16], v[17:18], 1.0
	v_fma_f64 v[17:18], v[17:18], v[19:20], v[17:18]
	v_fma_f64 v[19:20], -v[15:16], v[17:18], 1.0
	v_fma_f64 v[17:18], v[17:18], v[19:20], v[17:18]
	v_mul_f64 v[19:20], v[21:22], v[17:18]
	v_fma_f64 v[15:16], -v[15:16], v[19:20], v[21:22]
	v_div_fmas_f64 v[15:16], v[15:16], v[17:18], v[19:20]
	v_div_fixup_f64 v[15:16], v[15:16], v[2:3], v[0:1]
	v_fma_f64 v[0:1], v[0:1], v[15:16], v[2:3]
	v_div_scale_f64 v[2:3], null, v[0:1], v[0:1], 1.0
	v_rcp_f64_e32 v[17:18], v[2:3]
	v_fma_f64 v[19:20], -v[2:3], v[17:18], 1.0
	v_fma_f64 v[17:18], v[17:18], v[19:20], v[17:18]
	v_fma_f64 v[19:20], -v[2:3], v[17:18], 1.0
	v_fma_f64 v[17:18], v[17:18], v[19:20], v[17:18]
	v_div_scale_f64 v[19:20], vcc_lo, 1.0, v[0:1], 1.0
	v_mul_f64 v[21:22], v[19:20], v[17:18]
	v_fma_f64 v[2:3], -v[2:3], v[21:22], v[19:20]
	v_div_fmas_f64 v[2:3], v[2:3], v[17:18], v[21:22]
	v_div_fixup_f64 v[2:3], v[2:3], v[0:1], 1.0
	v_mul_f64 v[0:1], v[15:16], v[2:3]
	v_xor_b32_e32 v3, 0x80000000, v3
.LBB120_207:
	s_andn2_saveexec_b32 s16, s16
	s_cbranch_execz .LBB120_209
; %bb.208:
	v_div_scale_f64 v[15:16], null, v[0:1], v[0:1], v[2:3]
	v_div_scale_f64 v[21:22], vcc_lo, v[2:3], v[0:1], v[2:3]
	v_rcp_f64_e32 v[17:18], v[15:16]
	v_fma_f64 v[19:20], -v[15:16], v[17:18], 1.0
	v_fma_f64 v[17:18], v[17:18], v[19:20], v[17:18]
	v_fma_f64 v[19:20], -v[15:16], v[17:18], 1.0
	v_fma_f64 v[17:18], v[17:18], v[19:20], v[17:18]
	v_mul_f64 v[19:20], v[21:22], v[17:18]
	v_fma_f64 v[15:16], -v[15:16], v[19:20], v[21:22]
	v_div_fmas_f64 v[15:16], v[15:16], v[17:18], v[19:20]
	v_div_fixup_f64 v[15:16], v[15:16], v[0:1], v[2:3]
	v_fma_f64 v[0:1], v[2:3], v[15:16], v[0:1]
	v_div_scale_f64 v[2:3], null, v[0:1], v[0:1], 1.0
	v_rcp_f64_e32 v[17:18], v[2:3]
	v_fma_f64 v[19:20], -v[2:3], v[17:18], 1.0
	v_fma_f64 v[17:18], v[17:18], v[19:20], v[17:18]
	v_fma_f64 v[19:20], -v[2:3], v[17:18], 1.0
	v_fma_f64 v[17:18], v[17:18], v[19:20], v[17:18]
	v_div_scale_f64 v[19:20], vcc_lo, 1.0, v[0:1], 1.0
	v_mul_f64 v[21:22], v[19:20], v[17:18]
	v_fma_f64 v[2:3], -v[2:3], v[21:22], v[19:20]
	v_div_fmas_f64 v[2:3], v[2:3], v[17:18], v[21:22]
	v_div_fixup_f64 v[0:1], v[2:3], v[0:1], 1.0
	v_mul_f64 v[2:3], v[15:16], -v[0:1]
.LBB120_209:
	s_or_b32 exec_lo, exec_lo, s16
.LBB120_210:
	s_or_b32 exec_lo, exec_lo, s4
	s_mov_b32 s4, exec_lo
	v_cmpx_ne_u32_e64 v14, v9
	s_xor_b32 s4, exec_lo, s4
	s_cbranch_execz .LBB120_216
; %bb.211:
	s_mov_b32 s16, exec_lo
	v_cmpx_eq_u32_e32 8, v14
	s_cbranch_execz .LBB120_215
; %bb.212:
	v_cmp_ne_u32_e32 vcc_lo, 8, v9
	s_xor_b32 s17, s20, -1
	s_and_b32 s57, s17, vcc_lo
	s_and_saveexec_b32 s17, s57
	s_cbranch_execz .LBB120_214
; %bb.213:
	v_ashrrev_i32_e32 v10, 31, v9
	v_lshlrev_b64 v[14:15], 2, v[9:10]
	v_add_co_u32 v14, vcc_lo, v7, v14
	v_add_co_ci_u32_e64 v15, null, v8, v15, vcc_lo
	s_clause 0x1
	global_load_dword v4, v[14:15], off
	global_load_dword v10, v[7:8], off offset:32
	s_waitcnt vmcnt(1)
	global_store_dword v[7:8], v4, off offset:32
	s_waitcnt vmcnt(0)
	global_store_dword v[14:15], v10, off
.LBB120_214:
	s_or_b32 exec_lo, exec_lo, s17
	v_mov_b32_e32 v14, v9
	v_mov_b32_e32 v10, v9
.LBB120_215:
	s_or_b32 exec_lo, exec_lo, s16
.LBB120_216:
	s_andn2_saveexec_b32 s4, s4
	s_cbranch_execz .LBB120_220
; %bb.217:
	s_movk_i32 s16, 0x90
.LBB120_218:                            ; =>This Inner Loop Header: Depth=1
	v_mov_b32_e32 v4, s16
	s_clause 0x33
	buffer_load_dword v14, v4, s[0:3], 0 offen
	buffer_load_dword v15, v4, s[0:3], 0 offen offset:4
	buffer_load_dword v16, v4, s[0:3], 0 offen offset:8
	;; [unrolled: 1-line block ×51, first 2 shown]
	v_add_nc_u32_e32 v4, s16, v11
	s_addk_i32 s16, 0xd0
	s_waitcnt vmcnt(48)
	ds_write2_b64 v4, v[14:15], v[16:17] offset1:1
	s_waitcnt vmcnt(44)
	ds_write2_b64 v4, v[18:19], v[20:21] offset0:2 offset1:3
	s_waitcnt vmcnt(40)
	ds_write2_b64 v4, v[22:23], v[24:25] offset0:4 offset1:5
	;; [unrolled: 2-line block ×4, first 2 shown]
	ds_write2_b64 v4, v[34:35], v[32:33] offset0:10 offset1:11
	s_waitcnt vmcnt(20)
	ds_write2_b64 v4, v[44:45], v[38:39] offset0:12 offset1:13
	ds_write2_b64 v4, v[42:43], v[40:41] offset0:14 offset1:15
	s_waitcnt vmcnt(16)
	ds_write2_b64 v4, v[46:47], v[48:49] offset0:16 offset1:17
	s_waitcnt vmcnt(12)
	ds_write2_b64 v4, v[50:51], v[52:53] offset0:18 offset1:19
	s_waitcnt vmcnt(8)
	ds_write2_b64 v4, v[54:55], v[56:57] offset0:20 offset1:21
	s_waitcnt vmcnt(4)
	ds_write2_b64 v4, v[58:59], v[60:61] offset0:22 offset1:23
	s_waitcnt vmcnt(0)
	ds_write2_b64 v4, v[62:63], v[64:65] offset0:24 offset1:25
	s_cmpk_eq_i32 s16, 0x3d0
	s_cbranch_scc0 .LBB120_218
; %bb.219:
	v_mov_b32_e32 v14, 8
.LBB120_220:
	s_or_b32 exec_lo, exec_lo, s4
	s_mov_b32 s4, exec_lo
	s_waitcnt lgkmcnt(0)
	s_waitcnt_vscnt null, 0x0
	s_barrier
	buffer_gl0_inv
	v_cmpx_lt_i32_e32 8, v14
	s_cbranch_execz .LBB120_223
; %bb.221:
	s_clause 0x3
	buffer_load_dword v15, off, s[0:3], 0 offset:136
	buffer_load_dword v16, off, s[0:3], 0 offset:140
	;; [unrolled: 1-line block ×4, first 2 shown]
	s_movk_i32 s80, 0x90
	s_waitcnt vmcnt(2)
	v_mul_f64 v[19:20], v[2:3], v[15:16]
	v_mul_f64 v[15:16], v[0:1], v[15:16]
	s_waitcnt vmcnt(0)
	v_fma_f64 v[0:1], v[0:1], v[17:18], -v[19:20]
	v_fma_f64 v[2:3], v[2:3], v[17:18], v[15:16]
	buffer_store_dword v0, off, s[0:3], 0 offset:128
	buffer_store_dword v1, off, s[0:3], 0 offset:132
	;; [unrolled: 1-line block ×4, first 2 shown]
.LBB120_222:                            ; =>This Inner Loop Header: Depth=1
	s_clause 0x3
	buffer_load_dword v19, off, s[0:3], 0 offset:136
	buffer_load_dword v20, off, s[0:3], 0 offset:140
	;; [unrolled: 1-line block ×4, first 2 shown]
	v_mov_b32_e32 v4, s80
	v_add_nc_u32_e32 v9, s80, v11
	s_add_i32 s80, s80, 64
	s_clause 0x3
	buffer_load_dword v23, v4, s[0:3], 0 offen
	buffer_load_dword v24, v4, s[0:3], 0 offen offset:4
	buffer_load_dword v25, v4, s[0:3], 0 offen offset:8
	;; [unrolled: 1-line block ×3, first 2 shown]
	ds_read2_b64 v[0:3], v9 offset1:1
	ds_read2_b64 v[15:18], v9 offset0:2 offset1:3
	s_cmpk_lg_i32 s80, 0x3d0
	s_waitcnt vmcnt(6) lgkmcnt(1)
	v_mul_f64 v[27:28], v[2:3], v[19:20]
	v_mul_f64 v[19:20], v[0:1], v[19:20]
	s_waitcnt vmcnt(4)
	v_fma_f64 v[0:1], v[0:1], v[21:22], -v[27:28]
	v_fma_f64 v[2:3], v[2:3], v[21:22], v[19:20]
	s_clause 0x3
	buffer_load_dword v19, v4, s[0:3], 0 offen offset:16
	buffer_load_dword v20, v4, s[0:3], 0 offen offset:20
	;; [unrolled: 1-line block ×4, first 2 shown]
	s_waitcnt vmcnt(6)
	v_add_f64 v[0:1], v[23:24], -v[0:1]
	s_waitcnt vmcnt(4)
	v_add_f64 v[2:3], v[25:26], -v[2:3]
	buffer_store_dword v1, v4, s[0:3], 0 offen offset:4
	buffer_store_dword v0, v4, s[0:3], 0 offen
	buffer_store_dword v3, v4, s[0:3], 0 offen offset:12
	buffer_store_dword v2, v4, s[0:3], 0 offen offset:8
	s_clause 0x3
	buffer_load_dword v1, off, s[0:3], 0 offset:140
	buffer_load_dword v0, off, s[0:3], 0 offset:136
	;; [unrolled: 1-line block ×4, first 2 shown]
	s_waitcnt vmcnt(2) lgkmcnt(0)
	v_mul_f64 v[23:24], v[17:18], v[0:1]
	v_mul_f64 v[0:1], v[15:16], v[0:1]
	s_waitcnt vmcnt(0)
	v_fma_f64 v[15:16], v[15:16], v[2:3], -v[23:24]
	v_fma_f64 v[0:1], v[17:18], v[2:3], v[0:1]
	v_add_f64 v[2:3], v[19:20], -v[15:16]
	v_add_f64 v[0:1], v[21:22], -v[0:1]
	s_clause 0x3
	buffer_load_dword v19, v4, s[0:3], 0 offen offset:32
	buffer_load_dword v20, v4, s[0:3], 0 offen offset:36
	;; [unrolled: 1-line block ×4, first 2 shown]
	buffer_store_dword v3, v4, s[0:3], 0 offen offset:20
	buffer_store_dword v2, v4, s[0:3], 0 offen offset:16
	;; [unrolled: 1-line block ×4, first 2 shown]
	s_clause 0x3
	buffer_load_dword v23, off, s[0:3], 0 offset:136
	buffer_load_dword v24, off, s[0:3], 0 offset:140
	;; [unrolled: 1-line block ×4, first 2 shown]
	ds_read2_b64 v[0:3], v9 offset0:4 offset1:5
	ds_read2_b64 v[15:18], v9 offset0:6 offset1:7
	s_waitcnt vmcnt(2) lgkmcnt(1)
	v_mul_f64 v[27:28], v[2:3], v[23:24]
	v_mul_f64 v[23:24], v[0:1], v[23:24]
	s_waitcnt vmcnt(0)
	v_fma_f64 v[0:1], v[0:1], v[25:26], -v[27:28]
	v_fma_f64 v[2:3], v[2:3], v[25:26], v[23:24]
	v_add_f64 v[0:1], v[19:20], -v[0:1]
	v_add_f64 v[2:3], v[21:22], -v[2:3]
	buffer_store_dword v1, v4, s[0:3], 0 offen offset:36
	buffer_store_dword v0, v4, s[0:3], 0 offen offset:32
	;; [unrolled: 1-line block ×4, first 2 shown]
	s_clause 0x7
	buffer_load_dword v0, off, s[0:3], 0 offset:136
	buffer_load_dword v1, off, s[0:3], 0 offset:140
	;; [unrolled: 1-line block ×4, first 2 shown]
	buffer_load_dword v19, v4, s[0:3], 0 offen offset:48
	buffer_load_dword v20, v4, s[0:3], 0 offen offset:52
	;; [unrolled: 1-line block ×4, first 2 shown]
	s_waitcnt vmcnt(6) lgkmcnt(0)
	v_mul_f64 v[23:24], v[17:18], v[0:1]
	v_mul_f64 v[0:1], v[15:16], v[0:1]
	s_waitcnt vmcnt(4)
	v_fma_f64 v[15:16], v[15:16], v[2:3], -v[23:24]
	v_fma_f64 v[0:1], v[17:18], v[2:3], v[0:1]
	s_waitcnt vmcnt(2)
	v_add_f64 v[2:3], v[19:20], -v[15:16]
	s_waitcnt vmcnt(0)
	v_add_f64 v[0:1], v[21:22], -v[0:1]
	buffer_store_dword v3, v4, s[0:3], 0 offen offset:52
	buffer_store_dword v2, v4, s[0:3], 0 offen offset:48
	;; [unrolled: 1-line block ×4, first 2 shown]
	s_cbranch_scc1 .LBB120_222
.LBB120_223:
	s_or_b32 exec_lo, exec_lo, s4
	v_mov_b32_e32 v3, s72
	s_waitcnt_vscnt null, 0x0
	s_barrier
	buffer_gl0_inv
	v_lshl_add_u32 v4, v14, 4, v11
	s_clause 0x3
	buffer_load_dword v0, v3, s[0:3], 0 offen
	buffer_load_dword v1, v3, s[0:3], 0 offen offset:4
	buffer_load_dword v2, v3, s[0:3], 0 offen offset:8
	;; [unrolled: 1-line block ×3, first 2 shown]
	v_mov_b32_e32 v9, 9
	s_cmp_lt_i32 s56, 11
	s_waitcnt vmcnt(0)
	ds_write2_b64 v4, v[0:1], v[2:3] offset1:1
	s_waitcnt lgkmcnt(0)
	s_barrier
	buffer_gl0_inv
	ds_read2_b64 v[0:3], v11 offset0:18 offset1:19
	s_cbranch_scc1 .LBB120_226
; %bb.224:
	v_add3_u32 v4, v13, 0, 0xa0
	v_mov_b32_e32 v9, 9
	s_mov_b32 s16, 10
	s_inst_prefetch 0x1
	.p2align	6
.LBB120_225:                            ; =>This Inner Loop Header: Depth=1
	s_waitcnt lgkmcnt(0)
	v_cmp_gt_f64_e32 vcc_lo, 0, v[2:3]
	v_cmp_gt_f64_e64 s4, 0, v[0:1]
	ds_read2_b64 v[15:18], v4 offset1:1
	v_xor_b32_e32 v20, 0x80000000, v1
	v_xor_b32_e32 v22, 0x80000000, v3
	v_mov_b32_e32 v19, v0
	v_mov_b32_e32 v21, v2
	v_add_nc_u32_e32 v4, 16, v4
	s_waitcnt lgkmcnt(0)
	v_xor_b32_e32 v24, 0x80000000, v18
	v_cndmask_b32_e64 v20, v1, v20, s4
	v_cndmask_b32_e32 v22, v3, v22, vcc_lo
	v_cmp_gt_f64_e32 vcc_lo, 0, v[17:18]
	v_cmp_gt_f64_e64 s4, 0, v[15:16]
	v_mov_b32_e32 v23, v17
	v_add_f64 v[19:20], v[19:20], v[21:22]
	v_xor_b32_e32 v22, 0x80000000, v16
	v_mov_b32_e32 v21, v15
	v_cndmask_b32_e32 v24, v18, v24, vcc_lo
	v_cndmask_b32_e64 v22, v16, v22, s4
	v_add_f64 v[21:22], v[21:22], v[23:24]
	v_cmp_lt_f64_e32 vcc_lo, v[19:20], v[21:22]
	v_cndmask_b32_e32 v1, v1, v16, vcc_lo
	v_cndmask_b32_e32 v0, v0, v15, vcc_lo
	;; [unrolled: 1-line block ×4, first 2 shown]
	v_cndmask_b32_e64 v9, v9, s16, vcc_lo
	s_add_i32 s16, s16, 1
	s_cmp_lg_u32 s56, s16
	s_cbranch_scc1 .LBB120_225
.LBB120_226:
	s_inst_prefetch 0x2
	s_waitcnt lgkmcnt(0)
	v_cmp_eq_f64_e32 vcc_lo, 0, v[0:1]
	v_cmp_eq_f64_e64 s4, 0, v[2:3]
	s_and_b32 s4, vcc_lo, s4
	s_and_saveexec_b32 s16, s4
	s_xor_b32 s4, exec_lo, s16
; %bb.227:
	v_cmp_ne_u32_e32 vcc_lo, 0, v12
	v_cndmask_b32_e32 v12, 10, v12, vcc_lo
; %bb.228:
	s_andn2_saveexec_b32 s4, s4
	s_cbranch_execz .LBB120_234
; %bb.229:
	v_cmp_ngt_f64_e64 s16, |v[0:1]|, |v[2:3]|
	s_and_saveexec_b32 s17, s16
	s_xor_b32 s16, exec_lo, s17
	s_cbranch_execz .LBB120_231
; %bb.230:
	v_div_scale_f64 v[15:16], null, v[2:3], v[2:3], v[0:1]
	v_div_scale_f64 v[21:22], vcc_lo, v[0:1], v[2:3], v[0:1]
	v_rcp_f64_e32 v[17:18], v[15:16]
	v_fma_f64 v[19:20], -v[15:16], v[17:18], 1.0
	v_fma_f64 v[17:18], v[17:18], v[19:20], v[17:18]
	v_fma_f64 v[19:20], -v[15:16], v[17:18], 1.0
	v_fma_f64 v[17:18], v[17:18], v[19:20], v[17:18]
	v_mul_f64 v[19:20], v[21:22], v[17:18]
	v_fma_f64 v[15:16], -v[15:16], v[19:20], v[21:22]
	v_div_fmas_f64 v[15:16], v[15:16], v[17:18], v[19:20]
	v_div_fixup_f64 v[15:16], v[15:16], v[2:3], v[0:1]
	v_fma_f64 v[0:1], v[0:1], v[15:16], v[2:3]
	v_div_scale_f64 v[2:3], null, v[0:1], v[0:1], 1.0
	v_rcp_f64_e32 v[17:18], v[2:3]
	v_fma_f64 v[19:20], -v[2:3], v[17:18], 1.0
	v_fma_f64 v[17:18], v[17:18], v[19:20], v[17:18]
	v_fma_f64 v[19:20], -v[2:3], v[17:18], 1.0
	v_fma_f64 v[17:18], v[17:18], v[19:20], v[17:18]
	v_div_scale_f64 v[19:20], vcc_lo, 1.0, v[0:1], 1.0
	v_mul_f64 v[21:22], v[19:20], v[17:18]
	v_fma_f64 v[2:3], -v[2:3], v[21:22], v[19:20]
	v_div_fmas_f64 v[2:3], v[2:3], v[17:18], v[21:22]
	v_div_fixup_f64 v[2:3], v[2:3], v[0:1], 1.0
	v_mul_f64 v[0:1], v[15:16], v[2:3]
	v_xor_b32_e32 v3, 0x80000000, v3
.LBB120_231:
	s_andn2_saveexec_b32 s16, s16
	s_cbranch_execz .LBB120_233
; %bb.232:
	v_div_scale_f64 v[15:16], null, v[0:1], v[0:1], v[2:3]
	v_div_scale_f64 v[21:22], vcc_lo, v[2:3], v[0:1], v[2:3]
	v_rcp_f64_e32 v[17:18], v[15:16]
	v_fma_f64 v[19:20], -v[15:16], v[17:18], 1.0
	v_fma_f64 v[17:18], v[17:18], v[19:20], v[17:18]
	v_fma_f64 v[19:20], -v[15:16], v[17:18], 1.0
	v_fma_f64 v[17:18], v[17:18], v[19:20], v[17:18]
	v_mul_f64 v[19:20], v[21:22], v[17:18]
	v_fma_f64 v[15:16], -v[15:16], v[19:20], v[21:22]
	v_div_fmas_f64 v[15:16], v[15:16], v[17:18], v[19:20]
	v_div_fixup_f64 v[15:16], v[15:16], v[0:1], v[2:3]
	v_fma_f64 v[0:1], v[2:3], v[15:16], v[0:1]
	v_div_scale_f64 v[2:3], null, v[0:1], v[0:1], 1.0
	v_rcp_f64_e32 v[17:18], v[2:3]
	v_fma_f64 v[19:20], -v[2:3], v[17:18], 1.0
	v_fma_f64 v[17:18], v[17:18], v[19:20], v[17:18]
	v_fma_f64 v[19:20], -v[2:3], v[17:18], 1.0
	v_fma_f64 v[17:18], v[17:18], v[19:20], v[17:18]
	v_div_scale_f64 v[19:20], vcc_lo, 1.0, v[0:1], 1.0
	v_mul_f64 v[21:22], v[19:20], v[17:18]
	v_fma_f64 v[2:3], -v[2:3], v[21:22], v[19:20]
	v_div_fmas_f64 v[2:3], v[2:3], v[17:18], v[21:22]
	v_div_fixup_f64 v[0:1], v[2:3], v[0:1], 1.0
	v_mul_f64 v[2:3], v[15:16], -v[0:1]
.LBB120_233:
	s_or_b32 exec_lo, exec_lo, s16
.LBB120_234:
	s_or_b32 exec_lo, exec_lo, s4
	s_mov_b32 s4, exec_lo
	v_cmpx_ne_u32_e64 v14, v9
	s_xor_b32 s4, exec_lo, s4
	s_cbranch_execz .LBB120_240
; %bb.235:
	s_mov_b32 s16, exec_lo
	v_cmpx_eq_u32_e32 9, v14
	s_cbranch_execz .LBB120_239
; %bb.236:
	v_cmp_ne_u32_e32 vcc_lo, 9, v9
	s_xor_b32 s17, s20, -1
	s_and_b32 s57, s17, vcc_lo
	s_and_saveexec_b32 s17, s57
	s_cbranch_execz .LBB120_238
; %bb.237:
	v_ashrrev_i32_e32 v10, 31, v9
	v_lshlrev_b64 v[14:15], 2, v[9:10]
	v_add_co_u32 v14, vcc_lo, v7, v14
	v_add_co_ci_u32_e64 v15, null, v8, v15, vcc_lo
	s_clause 0x1
	global_load_dword v4, v[14:15], off
	global_load_dword v10, v[7:8], off offset:36
	s_waitcnt vmcnt(1)
	global_store_dword v[7:8], v4, off offset:36
	s_waitcnt vmcnt(0)
	global_store_dword v[14:15], v10, off
.LBB120_238:
	s_or_b32 exec_lo, exec_lo, s17
	v_mov_b32_e32 v14, v9
	v_mov_b32_e32 v10, v9
.LBB120_239:
	s_or_b32 exec_lo, exec_lo, s16
.LBB120_240:
	s_andn2_saveexec_b32 s4, s4
	s_cbranch_execz .LBB120_244
; %bb.241:
	s_movk_i32 s80, 0xa0
.LBB120_242:                            ; =>This Inner Loop Header: Depth=1
	v_mov_b32_e32 v4, s80
	s_clause 0x3e
	buffer_load_dword v14, v4, s[0:3], 0 offen
	buffer_load_dword v15, v4, s[0:3], 0 offen offset:4
	buffer_load_dword v16, v4, s[0:3], 0 offen offset:8
	;; [unrolled: 1-line block ×62, first 2 shown]
	s_clause 0x4
	buffer_load_dword v77, v4, s[0:3], 0 offen offset:252
	buffer_load_dword v78, v4, s[0:3], 0 offen offset:256
	;; [unrolled: 1-line block ×5, first 2 shown]
	v_add_nc_u32_e32 v4, s80, v11
	s_addk_i32 s80, 0x110
	s_waitcnt vmcnt(62)
	ds_write2_b64 v4, v[14:15], v[16:17] offset1:1
	s_waitcnt vmcnt(60)
	ds_write2_b64 v4, v[18:19], v[20:21] offset0:2 offset1:3
	s_waitcnt vmcnt(56)
	ds_write2_b64 v4, v[22:23], v[24:25] offset0:4 offset1:5
	;; [unrolled: 2-line block ×4, first 2 shown]
	ds_write2_b64 v4, v[34:35], v[32:33] offset0:10 offset1:11
	s_waitcnt vmcnt(36)
	ds_write2_b64 v4, v[44:45], v[38:39] offset0:12 offset1:13
	ds_write2_b64 v4, v[42:43], v[40:41] offset0:14 offset1:15
	s_waitcnt vmcnt(32)
	ds_write2_b64 v4, v[46:47], v[48:49] offset0:16 offset1:17
	s_waitcnt vmcnt(28)
	;; [unrolled: 2-line block ×9, first 2 shown]
	ds_write2_b64 v4, v[78:79], v[80:81] offset0:32 offset1:33
	s_cmpk_eq_i32 s80, 0x3d0
	s_cbranch_scc0 .LBB120_242
; %bb.243:
	v_mov_b32_e32 v14, 9
.LBB120_244:
	s_or_b32 exec_lo, exec_lo, s4
	s_mov_b32 s4, exec_lo
	s_waitcnt lgkmcnt(0)
	s_waitcnt_vscnt null, 0x0
	s_barrier
	buffer_gl0_inv
	v_cmpx_lt_i32_e32 9, v14
	s_cbranch_execz .LBB120_247
; %bb.245:
	s_clause 0x3
	buffer_load_dword v15, off, s[0:3], 0 offset:152
	buffer_load_dword v16, off, s[0:3], 0 offset:156
	;; [unrolled: 1-line block ×4, first 2 shown]
	s_movk_i32 s16, 0xa0
	s_waitcnt vmcnt(2)
	v_mul_f64 v[19:20], v[2:3], v[15:16]
	v_mul_f64 v[15:16], v[0:1], v[15:16]
	s_waitcnt vmcnt(0)
	v_fma_f64 v[0:1], v[0:1], v[17:18], -v[19:20]
	v_fma_f64 v[2:3], v[2:3], v[17:18], v[15:16]
	buffer_store_dword v0, off, s[0:3], 0 offset:144
	buffer_store_dword v1, off, s[0:3], 0 offset:148
	;; [unrolled: 1-line block ×4, first 2 shown]
.LBB120_246:                            ; =>This Inner Loop Header: Depth=1
	s_clause 0x3
	buffer_load_dword v19, off, s[0:3], 0 offset:152
	buffer_load_dword v20, off, s[0:3], 0 offset:156
	;; [unrolled: 1-line block ×4, first 2 shown]
	v_mov_b32_e32 v4, s16
	v_add_nc_u32_e32 v9, s16, v11
	s_add_i32 s16, s16, 48
	s_clause 0x3
	buffer_load_dword v23, v4, s[0:3], 0 offen
	buffer_load_dword v24, v4, s[0:3], 0 offen offset:4
	buffer_load_dword v25, v4, s[0:3], 0 offen offset:8
	;; [unrolled: 1-line block ×3, first 2 shown]
	ds_read2_b64 v[0:3], v9 offset1:1
	ds_read2_b64 v[15:18], v9 offset0:2 offset1:3
	s_cmpk_lg_i32 s16, 0x3d0
	s_waitcnt vmcnt(6) lgkmcnt(1)
	v_mul_f64 v[27:28], v[2:3], v[19:20]
	v_mul_f64 v[19:20], v[0:1], v[19:20]
	s_waitcnt vmcnt(4)
	v_fma_f64 v[0:1], v[0:1], v[21:22], -v[27:28]
	v_fma_f64 v[2:3], v[2:3], v[21:22], v[19:20]
	s_clause 0x3
	buffer_load_dword v19, v4, s[0:3], 0 offen offset:16
	buffer_load_dword v20, v4, s[0:3], 0 offen offset:20
	;; [unrolled: 1-line block ×4, first 2 shown]
	s_waitcnt vmcnt(6)
	v_add_f64 v[0:1], v[23:24], -v[0:1]
	s_waitcnt vmcnt(4)
	v_add_f64 v[2:3], v[25:26], -v[2:3]
	buffer_store_dword v1, v4, s[0:3], 0 offen offset:4
	buffer_store_dword v0, v4, s[0:3], 0 offen
	buffer_store_dword v3, v4, s[0:3], 0 offen offset:12
	buffer_store_dword v2, v4, s[0:3], 0 offen offset:8
	s_clause 0x3
	buffer_load_dword v1, off, s[0:3], 0 offset:156
	buffer_load_dword v0, off, s[0:3], 0 offset:152
	buffer_load_dword v3, off, s[0:3], 0 offset:148
	buffer_load_dword v2, off, s[0:3], 0 offset:144
	s_waitcnt vmcnt(2) lgkmcnt(0)
	v_mul_f64 v[23:24], v[17:18], v[0:1]
	v_mul_f64 v[0:1], v[15:16], v[0:1]
	s_waitcnt vmcnt(0)
	v_fma_f64 v[15:16], v[15:16], v[2:3], -v[23:24]
	v_fma_f64 v[0:1], v[17:18], v[2:3], v[0:1]
	v_add_f64 v[2:3], v[19:20], -v[15:16]
	v_add_f64 v[0:1], v[21:22], -v[0:1]
	s_clause 0x3
	buffer_load_dword v15, v4, s[0:3], 0 offen offset:32
	buffer_load_dword v16, v4, s[0:3], 0 offen offset:36
	;; [unrolled: 1-line block ×4, first 2 shown]
	buffer_store_dword v3, v4, s[0:3], 0 offen offset:20
	buffer_store_dword v2, v4, s[0:3], 0 offen offset:16
	;; [unrolled: 1-line block ×4, first 2 shown]
	s_clause 0x3
	buffer_load_dword v19, off, s[0:3], 0 offset:152
	buffer_load_dword v20, off, s[0:3], 0 offset:156
	;; [unrolled: 1-line block ×4, first 2 shown]
	ds_read2_b64 v[0:3], v9 offset0:4 offset1:5
	s_waitcnt vmcnt(2) lgkmcnt(0)
	v_mul_f64 v[23:24], v[2:3], v[19:20]
	v_mul_f64 v[19:20], v[0:1], v[19:20]
	s_waitcnt vmcnt(0)
	v_fma_f64 v[0:1], v[0:1], v[21:22], -v[23:24]
	v_fma_f64 v[2:3], v[2:3], v[21:22], v[19:20]
	v_add_f64 v[0:1], v[15:16], -v[0:1]
	v_add_f64 v[2:3], v[17:18], -v[2:3]
	buffer_store_dword v1, v4, s[0:3], 0 offen offset:36
	buffer_store_dword v0, v4, s[0:3], 0 offen offset:32
	;; [unrolled: 1-line block ×4, first 2 shown]
	s_cbranch_scc1 .LBB120_246
.LBB120_247:
	s_or_b32 exec_lo, exec_lo, s4
	v_mov_b32_e32 v3, s71
	s_waitcnt_vscnt null, 0x0
	s_barrier
	buffer_gl0_inv
	v_lshl_add_u32 v4, v14, 4, v11
	s_clause 0x3
	buffer_load_dword v0, v3, s[0:3], 0 offen
	buffer_load_dword v1, v3, s[0:3], 0 offen offset:4
	buffer_load_dword v2, v3, s[0:3], 0 offen offset:8
	;; [unrolled: 1-line block ×3, first 2 shown]
	v_mov_b32_e32 v9, 10
	s_cmp_lt_i32 s56, 12
	s_waitcnt vmcnt(0)
	ds_write2_b64 v4, v[0:1], v[2:3] offset1:1
	s_waitcnt lgkmcnt(0)
	s_barrier
	buffer_gl0_inv
	ds_read2_b64 v[0:3], v11 offset0:20 offset1:21
	s_cbranch_scc1 .LBB120_250
; %bb.248:
	v_add3_u32 v4, v13, 0, 0xb0
	v_mov_b32_e32 v9, 10
	s_mov_b32 s16, 11
	s_inst_prefetch 0x1
	.p2align	6
.LBB120_249:                            ; =>This Inner Loop Header: Depth=1
	s_waitcnt lgkmcnt(0)
	v_cmp_gt_f64_e32 vcc_lo, 0, v[2:3]
	v_cmp_gt_f64_e64 s4, 0, v[0:1]
	ds_read2_b64 v[15:18], v4 offset1:1
	v_xor_b32_e32 v20, 0x80000000, v1
	v_xor_b32_e32 v22, 0x80000000, v3
	v_mov_b32_e32 v19, v0
	v_mov_b32_e32 v21, v2
	v_add_nc_u32_e32 v4, 16, v4
	s_waitcnt lgkmcnt(0)
	v_xor_b32_e32 v24, 0x80000000, v18
	v_cndmask_b32_e64 v20, v1, v20, s4
	v_cndmask_b32_e32 v22, v3, v22, vcc_lo
	v_cmp_gt_f64_e32 vcc_lo, 0, v[17:18]
	v_cmp_gt_f64_e64 s4, 0, v[15:16]
	v_mov_b32_e32 v23, v17
	v_add_f64 v[19:20], v[19:20], v[21:22]
	v_xor_b32_e32 v22, 0x80000000, v16
	v_mov_b32_e32 v21, v15
	v_cndmask_b32_e32 v24, v18, v24, vcc_lo
	v_cndmask_b32_e64 v22, v16, v22, s4
	v_add_f64 v[21:22], v[21:22], v[23:24]
	v_cmp_lt_f64_e32 vcc_lo, v[19:20], v[21:22]
	v_cndmask_b32_e32 v1, v1, v16, vcc_lo
	v_cndmask_b32_e32 v0, v0, v15, vcc_lo
	;; [unrolled: 1-line block ×4, first 2 shown]
	v_cndmask_b32_e64 v9, v9, s16, vcc_lo
	s_add_i32 s16, s16, 1
	s_cmp_lg_u32 s56, s16
	s_cbranch_scc1 .LBB120_249
.LBB120_250:
	s_inst_prefetch 0x2
	s_waitcnt lgkmcnt(0)
	v_cmp_eq_f64_e32 vcc_lo, 0, v[0:1]
	v_cmp_eq_f64_e64 s4, 0, v[2:3]
	s_and_b32 s4, vcc_lo, s4
	s_and_saveexec_b32 s16, s4
	s_xor_b32 s4, exec_lo, s16
; %bb.251:
	v_cmp_ne_u32_e32 vcc_lo, 0, v12
	v_cndmask_b32_e32 v12, 11, v12, vcc_lo
; %bb.252:
	s_andn2_saveexec_b32 s4, s4
	s_cbranch_execz .LBB120_258
; %bb.253:
	v_cmp_ngt_f64_e64 s16, |v[0:1]|, |v[2:3]|
	s_and_saveexec_b32 s17, s16
	s_xor_b32 s16, exec_lo, s17
	s_cbranch_execz .LBB120_255
; %bb.254:
	v_div_scale_f64 v[15:16], null, v[2:3], v[2:3], v[0:1]
	v_div_scale_f64 v[21:22], vcc_lo, v[0:1], v[2:3], v[0:1]
	v_rcp_f64_e32 v[17:18], v[15:16]
	v_fma_f64 v[19:20], -v[15:16], v[17:18], 1.0
	v_fma_f64 v[17:18], v[17:18], v[19:20], v[17:18]
	v_fma_f64 v[19:20], -v[15:16], v[17:18], 1.0
	v_fma_f64 v[17:18], v[17:18], v[19:20], v[17:18]
	v_mul_f64 v[19:20], v[21:22], v[17:18]
	v_fma_f64 v[15:16], -v[15:16], v[19:20], v[21:22]
	v_div_fmas_f64 v[15:16], v[15:16], v[17:18], v[19:20]
	v_div_fixup_f64 v[15:16], v[15:16], v[2:3], v[0:1]
	v_fma_f64 v[0:1], v[0:1], v[15:16], v[2:3]
	v_div_scale_f64 v[2:3], null, v[0:1], v[0:1], 1.0
	v_rcp_f64_e32 v[17:18], v[2:3]
	v_fma_f64 v[19:20], -v[2:3], v[17:18], 1.0
	v_fma_f64 v[17:18], v[17:18], v[19:20], v[17:18]
	v_fma_f64 v[19:20], -v[2:3], v[17:18], 1.0
	v_fma_f64 v[17:18], v[17:18], v[19:20], v[17:18]
	v_div_scale_f64 v[19:20], vcc_lo, 1.0, v[0:1], 1.0
	v_mul_f64 v[21:22], v[19:20], v[17:18]
	v_fma_f64 v[2:3], -v[2:3], v[21:22], v[19:20]
	v_div_fmas_f64 v[2:3], v[2:3], v[17:18], v[21:22]
	v_div_fixup_f64 v[2:3], v[2:3], v[0:1], 1.0
	v_mul_f64 v[0:1], v[15:16], v[2:3]
	v_xor_b32_e32 v3, 0x80000000, v3
.LBB120_255:
	s_andn2_saveexec_b32 s16, s16
	s_cbranch_execz .LBB120_257
; %bb.256:
	v_div_scale_f64 v[15:16], null, v[0:1], v[0:1], v[2:3]
	v_div_scale_f64 v[21:22], vcc_lo, v[2:3], v[0:1], v[2:3]
	v_rcp_f64_e32 v[17:18], v[15:16]
	v_fma_f64 v[19:20], -v[15:16], v[17:18], 1.0
	v_fma_f64 v[17:18], v[17:18], v[19:20], v[17:18]
	v_fma_f64 v[19:20], -v[15:16], v[17:18], 1.0
	v_fma_f64 v[17:18], v[17:18], v[19:20], v[17:18]
	v_mul_f64 v[19:20], v[21:22], v[17:18]
	v_fma_f64 v[15:16], -v[15:16], v[19:20], v[21:22]
	v_div_fmas_f64 v[15:16], v[15:16], v[17:18], v[19:20]
	v_div_fixup_f64 v[15:16], v[15:16], v[0:1], v[2:3]
	v_fma_f64 v[0:1], v[2:3], v[15:16], v[0:1]
	v_div_scale_f64 v[2:3], null, v[0:1], v[0:1], 1.0
	v_rcp_f64_e32 v[17:18], v[2:3]
	v_fma_f64 v[19:20], -v[2:3], v[17:18], 1.0
	v_fma_f64 v[17:18], v[17:18], v[19:20], v[17:18]
	v_fma_f64 v[19:20], -v[2:3], v[17:18], 1.0
	v_fma_f64 v[17:18], v[17:18], v[19:20], v[17:18]
	v_div_scale_f64 v[19:20], vcc_lo, 1.0, v[0:1], 1.0
	v_mul_f64 v[21:22], v[19:20], v[17:18]
	v_fma_f64 v[2:3], -v[2:3], v[21:22], v[19:20]
	v_div_fmas_f64 v[2:3], v[2:3], v[17:18], v[21:22]
	v_div_fixup_f64 v[0:1], v[2:3], v[0:1], 1.0
	v_mul_f64 v[2:3], v[15:16], -v[0:1]
.LBB120_257:
	s_or_b32 exec_lo, exec_lo, s16
.LBB120_258:
	s_or_b32 exec_lo, exec_lo, s4
	s_mov_b32 s4, exec_lo
	v_cmpx_ne_u32_e64 v14, v9
	s_xor_b32 s4, exec_lo, s4
	s_cbranch_execz .LBB120_264
; %bb.259:
	s_mov_b32 s16, exec_lo
	v_cmpx_eq_u32_e32 10, v14
	s_cbranch_execz .LBB120_263
; %bb.260:
	v_cmp_ne_u32_e32 vcc_lo, 10, v9
	s_xor_b32 s17, s20, -1
	s_and_b32 s57, s17, vcc_lo
	s_and_saveexec_b32 s17, s57
	s_cbranch_execz .LBB120_262
; %bb.261:
	v_ashrrev_i32_e32 v10, 31, v9
	v_lshlrev_b64 v[14:15], 2, v[9:10]
	v_add_co_u32 v14, vcc_lo, v7, v14
	v_add_co_ci_u32_e64 v15, null, v8, v15, vcc_lo
	s_clause 0x1
	global_load_dword v4, v[14:15], off
	global_load_dword v10, v[7:8], off offset:40
	s_waitcnt vmcnt(1)
	global_store_dword v[7:8], v4, off offset:40
	s_waitcnt vmcnt(0)
	global_store_dword v[14:15], v10, off
.LBB120_262:
	s_or_b32 exec_lo, exec_lo, s17
	v_mov_b32_e32 v14, v9
	v_mov_b32_e32 v10, v9
.LBB120_263:
	s_or_b32 exec_lo, exec_lo, s16
.LBB120_264:
	s_andn2_saveexec_b32 s4, s4
	s_cbranch_execz .LBB120_268
; %bb.265:
	s_movk_i32 s16, 0xb0
.LBB120_266:                            ; =>This Inner Loop Header: Depth=1
	v_mov_b32_e32 v4, s16
	s_clause 0x27
	buffer_load_dword v14, v4, s[0:3], 0 offen
	buffer_load_dword v15, v4, s[0:3], 0 offen offset:4
	buffer_load_dword v16, v4, s[0:3], 0 offen offset:8
	;; [unrolled: 1-line block ×39, first 2 shown]
	v_add_nc_u32_e32 v4, s16, v11
	s_addk_i32 s16, 0xa0
	s_waitcnt vmcnt(36)
	ds_write2_b64 v4, v[14:15], v[16:17] offset1:1
	s_waitcnt vmcnt(32)
	ds_write2_b64 v4, v[18:19], v[20:21] offset0:2 offset1:3
	s_waitcnt vmcnt(28)
	ds_write2_b64 v4, v[22:23], v[24:25] offset0:4 offset1:5
	;; [unrolled: 2-line block ×4, first 2 shown]
	ds_write2_b64 v4, v[34:35], v[32:33] offset0:10 offset1:11
	s_waitcnt vmcnt(8)
	ds_write2_b64 v4, v[44:45], v[38:39] offset0:12 offset1:13
	ds_write2_b64 v4, v[42:43], v[40:41] offset0:14 offset1:15
	s_waitcnt vmcnt(4)
	ds_write2_b64 v4, v[46:47], v[48:49] offset0:16 offset1:17
	s_waitcnt vmcnt(0)
	ds_write2_b64 v4, v[50:51], v[52:53] offset0:18 offset1:19
	s_cmpk_eq_i32 s16, 0x3d0
	s_cbranch_scc0 .LBB120_266
; %bb.267:
	v_mov_b32_e32 v14, 10
.LBB120_268:
	s_or_b32 exec_lo, exec_lo, s4
	s_mov_b32 s4, exec_lo
	s_waitcnt lgkmcnt(0)
	s_waitcnt_vscnt null, 0x0
	s_barrier
	buffer_gl0_inv
	v_cmpx_lt_i32_e32 10, v14
	s_cbranch_execz .LBB120_271
; %bb.269:
	s_clause 0x3
	buffer_load_dword v15, off, s[0:3], 0 offset:168
	buffer_load_dword v16, off, s[0:3], 0 offset:172
	;; [unrolled: 1-line block ×4, first 2 shown]
	s_movk_i32 s80, 0xb0
	s_waitcnt vmcnt(2)
	v_mul_f64 v[19:20], v[2:3], v[15:16]
	v_mul_f64 v[15:16], v[0:1], v[15:16]
	s_waitcnt vmcnt(0)
	v_fma_f64 v[0:1], v[0:1], v[17:18], -v[19:20]
	v_fma_f64 v[2:3], v[2:3], v[17:18], v[15:16]
	buffer_store_dword v0, off, s[0:3], 0 offset:160
	buffer_store_dword v1, off, s[0:3], 0 offset:164
	;; [unrolled: 1-line block ×4, first 2 shown]
.LBB120_270:                            ; =>This Inner Loop Header: Depth=1
	s_clause 0x3
	buffer_load_dword v19, off, s[0:3], 0 offset:168
	buffer_load_dword v20, off, s[0:3], 0 offset:172
	;; [unrolled: 1-line block ×4, first 2 shown]
	v_mov_b32_e32 v4, s80
	v_add_nc_u32_e32 v9, s80, v11
	s_addk_i32 s80, 0x50
	s_clause 0x3
	buffer_load_dword v23, v4, s[0:3], 0 offen
	buffer_load_dword v24, v4, s[0:3], 0 offen offset:4
	buffer_load_dword v25, v4, s[0:3], 0 offen offset:8
	buffer_load_dword v26, v4, s[0:3], 0 offen offset:12
	ds_read2_b64 v[0:3], v9 offset1:1
	ds_read2_b64 v[15:18], v9 offset0:2 offset1:3
	s_cmpk_lg_i32 s80, 0x3d0
	s_waitcnt vmcnt(6) lgkmcnt(1)
	v_mul_f64 v[27:28], v[2:3], v[19:20]
	v_mul_f64 v[19:20], v[0:1], v[19:20]
	s_waitcnt vmcnt(4)
	v_fma_f64 v[0:1], v[0:1], v[21:22], -v[27:28]
	v_fma_f64 v[2:3], v[2:3], v[21:22], v[19:20]
	s_clause 0x3
	buffer_load_dword v19, v4, s[0:3], 0 offen offset:16
	buffer_load_dword v20, v4, s[0:3], 0 offen offset:20
	buffer_load_dword v21, v4, s[0:3], 0 offen offset:24
	buffer_load_dword v22, v4, s[0:3], 0 offen offset:28
	s_waitcnt vmcnt(6)
	v_add_f64 v[0:1], v[23:24], -v[0:1]
	s_waitcnt vmcnt(4)
	v_add_f64 v[2:3], v[25:26], -v[2:3]
	buffer_store_dword v1, v4, s[0:3], 0 offen offset:4
	buffer_store_dword v0, v4, s[0:3], 0 offen
	buffer_store_dword v3, v4, s[0:3], 0 offen offset:12
	buffer_store_dword v2, v4, s[0:3], 0 offen offset:8
	s_clause 0x3
	buffer_load_dword v1, off, s[0:3], 0 offset:172
	buffer_load_dword v0, off, s[0:3], 0 offset:168
	;; [unrolled: 1-line block ×4, first 2 shown]
	s_waitcnt vmcnt(2) lgkmcnt(0)
	v_mul_f64 v[23:24], v[17:18], v[0:1]
	v_mul_f64 v[0:1], v[15:16], v[0:1]
	s_waitcnt vmcnt(0)
	v_fma_f64 v[15:16], v[15:16], v[2:3], -v[23:24]
	v_fma_f64 v[0:1], v[17:18], v[2:3], v[0:1]
	v_add_f64 v[2:3], v[19:20], -v[15:16]
	v_add_f64 v[0:1], v[21:22], -v[0:1]
	s_clause 0x3
	buffer_load_dword v19, v4, s[0:3], 0 offen offset:32
	buffer_load_dword v20, v4, s[0:3], 0 offen offset:36
	;; [unrolled: 1-line block ×4, first 2 shown]
	buffer_store_dword v3, v4, s[0:3], 0 offen offset:20
	buffer_store_dword v2, v4, s[0:3], 0 offen offset:16
	;; [unrolled: 1-line block ×4, first 2 shown]
	s_clause 0x3
	buffer_load_dword v23, off, s[0:3], 0 offset:168
	buffer_load_dword v24, off, s[0:3], 0 offset:172
	;; [unrolled: 1-line block ×4, first 2 shown]
	ds_read2_b64 v[0:3], v9 offset0:4 offset1:5
	ds_read2_b64 v[15:18], v9 offset0:6 offset1:7
	s_waitcnt vmcnt(2) lgkmcnt(1)
	v_mul_f64 v[27:28], v[2:3], v[23:24]
	v_mul_f64 v[23:24], v[0:1], v[23:24]
	s_waitcnt vmcnt(0)
	v_fma_f64 v[0:1], v[0:1], v[25:26], -v[27:28]
	v_fma_f64 v[2:3], v[2:3], v[25:26], v[23:24]
	v_add_f64 v[0:1], v[19:20], -v[0:1]
	v_add_f64 v[2:3], v[21:22], -v[2:3]
	buffer_store_dword v1, v4, s[0:3], 0 offen offset:36
	buffer_store_dword v0, v4, s[0:3], 0 offen offset:32
	;; [unrolled: 1-line block ×4, first 2 shown]
	s_clause 0x7
	buffer_load_dword v0, off, s[0:3], 0 offset:168
	buffer_load_dword v1, off, s[0:3], 0 offset:172
	;; [unrolled: 1-line block ×4, first 2 shown]
	buffer_load_dword v19, v4, s[0:3], 0 offen offset:48
	buffer_load_dword v20, v4, s[0:3], 0 offen offset:52
	;; [unrolled: 1-line block ×4, first 2 shown]
	s_waitcnt vmcnt(6) lgkmcnt(0)
	v_mul_f64 v[23:24], v[17:18], v[0:1]
	v_mul_f64 v[0:1], v[15:16], v[0:1]
	s_waitcnt vmcnt(4)
	v_fma_f64 v[15:16], v[15:16], v[2:3], -v[23:24]
	v_fma_f64 v[0:1], v[17:18], v[2:3], v[0:1]
	s_waitcnt vmcnt(2)
	v_add_f64 v[2:3], v[19:20], -v[15:16]
	s_waitcnt vmcnt(0)
	v_add_f64 v[0:1], v[21:22], -v[0:1]
	buffer_store_dword v3, v4, s[0:3], 0 offen offset:52
	buffer_store_dword v2, v4, s[0:3], 0 offen offset:48
	;; [unrolled: 1-line block ×4, first 2 shown]
	s_clause 0x7
	buffer_load_dword v15, off, s[0:3], 0 offset:168
	buffer_load_dword v16, off, s[0:3], 0 offset:172
	;; [unrolled: 1-line block ×4, first 2 shown]
	buffer_load_dword v19, v4, s[0:3], 0 offen offset:64
	buffer_load_dword v20, v4, s[0:3], 0 offen offset:68
	;; [unrolled: 1-line block ×4, first 2 shown]
	ds_read2_b64 v[0:3], v9 offset0:8 offset1:9
	s_waitcnt vmcnt(6) lgkmcnt(0)
	v_mul_f64 v[23:24], v[2:3], v[15:16]
	v_mul_f64 v[15:16], v[0:1], v[15:16]
	s_waitcnt vmcnt(4)
	v_fma_f64 v[0:1], v[0:1], v[17:18], -v[23:24]
	v_fma_f64 v[2:3], v[2:3], v[17:18], v[15:16]
	s_waitcnt vmcnt(2)
	v_add_f64 v[0:1], v[19:20], -v[0:1]
	s_waitcnt vmcnt(0)
	v_add_f64 v[2:3], v[21:22], -v[2:3]
	buffer_store_dword v1, v4, s[0:3], 0 offen offset:68
	buffer_store_dword v0, v4, s[0:3], 0 offen offset:64
	;; [unrolled: 1-line block ×4, first 2 shown]
	s_cbranch_scc1 .LBB120_270
.LBB120_271:
	s_or_b32 exec_lo, exec_lo, s4
	v_mov_b32_e32 v3, s70
	s_waitcnt_vscnt null, 0x0
	s_barrier
	buffer_gl0_inv
	v_lshl_add_u32 v4, v14, 4, v11
	s_clause 0x3
	buffer_load_dword v0, v3, s[0:3], 0 offen
	buffer_load_dword v1, v3, s[0:3], 0 offen offset:4
	buffer_load_dword v2, v3, s[0:3], 0 offen offset:8
	;; [unrolled: 1-line block ×3, first 2 shown]
	v_mov_b32_e32 v9, 11
	s_cmp_lt_i32 s56, 13
	s_waitcnt vmcnt(0)
	ds_write2_b64 v4, v[0:1], v[2:3] offset1:1
	s_waitcnt lgkmcnt(0)
	s_barrier
	buffer_gl0_inv
	ds_read2_b64 v[0:3], v11 offset0:22 offset1:23
	s_cbranch_scc1 .LBB120_274
; %bb.272:
	v_add3_u32 v4, v13, 0, 0xc0
	v_mov_b32_e32 v9, 11
	s_mov_b32 s16, 12
	s_inst_prefetch 0x1
	.p2align	6
.LBB120_273:                            ; =>This Inner Loop Header: Depth=1
	s_waitcnt lgkmcnt(0)
	v_cmp_gt_f64_e32 vcc_lo, 0, v[2:3]
	v_cmp_gt_f64_e64 s4, 0, v[0:1]
	ds_read2_b64 v[15:18], v4 offset1:1
	v_xor_b32_e32 v20, 0x80000000, v1
	v_xor_b32_e32 v22, 0x80000000, v3
	v_mov_b32_e32 v19, v0
	v_mov_b32_e32 v21, v2
	v_add_nc_u32_e32 v4, 16, v4
	s_waitcnt lgkmcnt(0)
	v_xor_b32_e32 v24, 0x80000000, v18
	v_cndmask_b32_e64 v20, v1, v20, s4
	v_cndmask_b32_e32 v22, v3, v22, vcc_lo
	v_cmp_gt_f64_e32 vcc_lo, 0, v[17:18]
	v_cmp_gt_f64_e64 s4, 0, v[15:16]
	v_mov_b32_e32 v23, v17
	v_add_f64 v[19:20], v[19:20], v[21:22]
	v_xor_b32_e32 v22, 0x80000000, v16
	v_mov_b32_e32 v21, v15
	v_cndmask_b32_e32 v24, v18, v24, vcc_lo
	v_cndmask_b32_e64 v22, v16, v22, s4
	v_add_f64 v[21:22], v[21:22], v[23:24]
	v_cmp_lt_f64_e32 vcc_lo, v[19:20], v[21:22]
	v_cndmask_b32_e32 v1, v1, v16, vcc_lo
	v_cndmask_b32_e32 v0, v0, v15, vcc_lo
	;; [unrolled: 1-line block ×4, first 2 shown]
	v_cndmask_b32_e64 v9, v9, s16, vcc_lo
	s_add_i32 s16, s16, 1
	s_cmp_lg_u32 s56, s16
	s_cbranch_scc1 .LBB120_273
.LBB120_274:
	s_inst_prefetch 0x2
	s_waitcnt lgkmcnt(0)
	v_cmp_eq_f64_e32 vcc_lo, 0, v[0:1]
	v_cmp_eq_f64_e64 s4, 0, v[2:3]
	s_and_b32 s4, vcc_lo, s4
	s_and_saveexec_b32 s16, s4
	s_xor_b32 s4, exec_lo, s16
; %bb.275:
	v_cmp_ne_u32_e32 vcc_lo, 0, v12
	v_cndmask_b32_e32 v12, 12, v12, vcc_lo
; %bb.276:
	s_andn2_saveexec_b32 s4, s4
	s_cbranch_execz .LBB120_282
; %bb.277:
	v_cmp_ngt_f64_e64 s16, |v[0:1]|, |v[2:3]|
	s_and_saveexec_b32 s17, s16
	s_xor_b32 s16, exec_lo, s17
	s_cbranch_execz .LBB120_279
; %bb.278:
	v_div_scale_f64 v[15:16], null, v[2:3], v[2:3], v[0:1]
	v_div_scale_f64 v[21:22], vcc_lo, v[0:1], v[2:3], v[0:1]
	v_rcp_f64_e32 v[17:18], v[15:16]
	v_fma_f64 v[19:20], -v[15:16], v[17:18], 1.0
	v_fma_f64 v[17:18], v[17:18], v[19:20], v[17:18]
	v_fma_f64 v[19:20], -v[15:16], v[17:18], 1.0
	v_fma_f64 v[17:18], v[17:18], v[19:20], v[17:18]
	v_mul_f64 v[19:20], v[21:22], v[17:18]
	v_fma_f64 v[15:16], -v[15:16], v[19:20], v[21:22]
	v_div_fmas_f64 v[15:16], v[15:16], v[17:18], v[19:20]
	v_div_fixup_f64 v[15:16], v[15:16], v[2:3], v[0:1]
	v_fma_f64 v[0:1], v[0:1], v[15:16], v[2:3]
	v_div_scale_f64 v[2:3], null, v[0:1], v[0:1], 1.0
	v_rcp_f64_e32 v[17:18], v[2:3]
	v_fma_f64 v[19:20], -v[2:3], v[17:18], 1.0
	v_fma_f64 v[17:18], v[17:18], v[19:20], v[17:18]
	v_fma_f64 v[19:20], -v[2:3], v[17:18], 1.0
	v_fma_f64 v[17:18], v[17:18], v[19:20], v[17:18]
	v_div_scale_f64 v[19:20], vcc_lo, 1.0, v[0:1], 1.0
	v_mul_f64 v[21:22], v[19:20], v[17:18]
	v_fma_f64 v[2:3], -v[2:3], v[21:22], v[19:20]
	v_div_fmas_f64 v[2:3], v[2:3], v[17:18], v[21:22]
	v_div_fixup_f64 v[2:3], v[2:3], v[0:1], 1.0
	v_mul_f64 v[0:1], v[15:16], v[2:3]
	v_xor_b32_e32 v3, 0x80000000, v3
.LBB120_279:
	s_andn2_saveexec_b32 s16, s16
	s_cbranch_execz .LBB120_281
; %bb.280:
	v_div_scale_f64 v[15:16], null, v[0:1], v[0:1], v[2:3]
	v_div_scale_f64 v[21:22], vcc_lo, v[2:3], v[0:1], v[2:3]
	v_rcp_f64_e32 v[17:18], v[15:16]
	v_fma_f64 v[19:20], -v[15:16], v[17:18], 1.0
	v_fma_f64 v[17:18], v[17:18], v[19:20], v[17:18]
	v_fma_f64 v[19:20], -v[15:16], v[17:18], 1.0
	v_fma_f64 v[17:18], v[17:18], v[19:20], v[17:18]
	v_mul_f64 v[19:20], v[21:22], v[17:18]
	v_fma_f64 v[15:16], -v[15:16], v[19:20], v[21:22]
	v_div_fmas_f64 v[15:16], v[15:16], v[17:18], v[19:20]
	v_div_fixup_f64 v[15:16], v[15:16], v[0:1], v[2:3]
	v_fma_f64 v[0:1], v[2:3], v[15:16], v[0:1]
	v_div_scale_f64 v[2:3], null, v[0:1], v[0:1], 1.0
	v_rcp_f64_e32 v[17:18], v[2:3]
	v_fma_f64 v[19:20], -v[2:3], v[17:18], 1.0
	v_fma_f64 v[17:18], v[17:18], v[19:20], v[17:18]
	v_fma_f64 v[19:20], -v[2:3], v[17:18], 1.0
	v_fma_f64 v[17:18], v[17:18], v[19:20], v[17:18]
	v_div_scale_f64 v[19:20], vcc_lo, 1.0, v[0:1], 1.0
	v_mul_f64 v[21:22], v[19:20], v[17:18]
	v_fma_f64 v[2:3], -v[2:3], v[21:22], v[19:20]
	v_div_fmas_f64 v[2:3], v[2:3], v[17:18], v[21:22]
	v_div_fixup_f64 v[0:1], v[2:3], v[0:1], 1.0
	v_mul_f64 v[2:3], v[15:16], -v[0:1]
.LBB120_281:
	s_or_b32 exec_lo, exec_lo, s16
.LBB120_282:
	s_or_b32 exec_lo, exec_lo, s4
	s_mov_b32 s4, exec_lo
	v_cmpx_ne_u32_e64 v14, v9
	s_xor_b32 s4, exec_lo, s4
	s_cbranch_execz .LBB120_288
; %bb.283:
	s_mov_b32 s16, exec_lo
	v_cmpx_eq_u32_e32 11, v14
	s_cbranch_execz .LBB120_287
; %bb.284:
	v_cmp_ne_u32_e32 vcc_lo, 11, v9
	s_xor_b32 s17, s20, -1
	s_and_b32 s57, s17, vcc_lo
	s_and_saveexec_b32 s17, s57
	s_cbranch_execz .LBB120_286
; %bb.285:
	v_ashrrev_i32_e32 v10, 31, v9
	v_lshlrev_b64 v[14:15], 2, v[9:10]
	v_add_co_u32 v14, vcc_lo, v7, v14
	v_add_co_ci_u32_e64 v15, null, v8, v15, vcc_lo
	s_clause 0x1
	global_load_dword v4, v[14:15], off
	global_load_dword v10, v[7:8], off offset:44
	s_waitcnt vmcnt(1)
	global_store_dword v[7:8], v4, off offset:44
	s_waitcnt vmcnt(0)
	global_store_dword v[14:15], v10, off
.LBB120_286:
	s_or_b32 exec_lo, exec_lo, s17
	v_mov_b32_e32 v14, v9
	v_mov_b32_e32 v10, v9
.LBB120_287:
	s_or_b32 exec_lo, exec_lo, s16
.LBB120_288:
	s_andn2_saveexec_b32 s4, s4
	s_cbranch_execz .LBB120_292
; %bb.289:
	s_movk_i32 s16, 0xc0
.LBB120_290:                            ; =>This Inner Loop Header: Depth=1
	v_mov_b32_e32 v4, s16
	s_clause 0x1b
	buffer_load_dword v14, v4, s[0:3], 0 offen
	buffer_load_dword v15, v4, s[0:3], 0 offen offset:4
	buffer_load_dword v16, v4, s[0:3], 0 offen offset:8
	;; [unrolled: 1-line block ×27, first 2 shown]
	v_add_nc_u32_e32 v4, s16, v11
	s_addk_i32 s16, 0x70
	s_waitcnt vmcnt(24)
	ds_write2_b64 v4, v[14:15], v[16:17] offset1:1
	s_waitcnt vmcnt(20)
	ds_write2_b64 v4, v[18:19], v[20:21] offset0:2 offset1:3
	s_waitcnt vmcnt(16)
	ds_write2_b64 v4, v[22:23], v[24:25] offset0:4 offset1:5
	;; [unrolled: 2-line block ×4, first 2 shown]
	ds_write2_b64 v4, v[34:35], v[32:33] offset0:10 offset1:11
	s_waitcnt vmcnt(0)
	ds_write2_b64 v4, v[40:41], v[38:39] offset0:12 offset1:13
	s_cmpk_eq_i32 s16, 0x3d0
	s_cbranch_scc0 .LBB120_290
; %bb.291:
	v_mov_b32_e32 v14, 11
.LBB120_292:
	s_or_b32 exec_lo, exec_lo, s4
	s_mov_b32 s4, exec_lo
	s_waitcnt lgkmcnt(0)
	s_waitcnt_vscnt null, 0x0
	s_barrier
	buffer_gl0_inv
	v_cmpx_lt_i32_e32 11, v14
	s_cbranch_execz .LBB120_295
; %bb.293:
	s_clause 0x3
	buffer_load_dword v15, off, s[0:3], 0 offset:184
	buffer_load_dword v16, off, s[0:3], 0 offset:188
	;; [unrolled: 1-line block ×4, first 2 shown]
	s_movk_i32 s80, 0xc0
	s_waitcnt vmcnt(2)
	v_mul_f64 v[19:20], v[2:3], v[15:16]
	v_mul_f64 v[15:16], v[0:1], v[15:16]
	s_waitcnt vmcnt(0)
	v_fma_f64 v[0:1], v[0:1], v[17:18], -v[19:20]
	v_fma_f64 v[2:3], v[2:3], v[17:18], v[15:16]
	buffer_store_dword v0, off, s[0:3], 0 offset:176
	buffer_store_dword v1, off, s[0:3], 0 offset:180
	;; [unrolled: 1-line block ×4, first 2 shown]
.LBB120_294:                            ; =>This Inner Loop Header: Depth=1
	s_clause 0x3
	buffer_load_dword v19, off, s[0:3], 0 offset:184
	buffer_load_dword v20, off, s[0:3], 0 offset:188
	;; [unrolled: 1-line block ×4, first 2 shown]
	v_mov_b32_e32 v4, s80
	v_add_nc_u32_e32 v9, s80, v11
	s_addk_i32 s80, 0x70
	s_clause 0x3
	buffer_load_dword v23, v4, s[0:3], 0 offen
	buffer_load_dword v24, v4, s[0:3], 0 offen offset:4
	buffer_load_dword v25, v4, s[0:3], 0 offen offset:8
	;; [unrolled: 1-line block ×3, first 2 shown]
	ds_read2_b64 v[0:3], v9 offset1:1
	s_clause 0x3
	buffer_load_dword v27, v4, s[0:3], 0 offen offset:16
	buffer_load_dword v28, v4, s[0:3], 0 offen offset:20
	;; [unrolled: 1-line block ×4, first 2 shown]
	ds_read2_b64 v[15:18], v9 offset0:2 offset1:3
	s_cmpk_lg_i32 s80, 0x3d0
	s_waitcnt vmcnt(10) lgkmcnt(1)
	v_mul_f64 v[31:32], v[2:3], v[19:20]
	v_mul_f64 v[19:20], v[0:1], v[19:20]
	s_waitcnt vmcnt(8)
	v_fma_f64 v[0:1], v[0:1], v[21:22], -v[31:32]
	v_fma_f64 v[2:3], v[2:3], v[21:22], v[19:20]
	s_waitcnt vmcnt(6)
	v_add_f64 v[0:1], v[23:24], -v[0:1]
	s_waitcnt vmcnt(4)
	v_add_f64 v[2:3], v[25:26], -v[2:3]
	buffer_store_dword v1, v4, s[0:3], 0 offen offset:4
	buffer_store_dword v0, v4, s[0:3], 0 offen
	buffer_store_dword v3, v4, s[0:3], 0 offen offset:12
	buffer_store_dword v2, v4, s[0:3], 0 offen offset:8
	s_clause 0x7
	buffer_load_dword v1, off, s[0:3], 0 offset:188
	buffer_load_dword v0, off, s[0:3], 0 offset:184
	;; [unrolled: 1-line block ×4, first 2 shown]
	buffer_load_dword v19, v4, s[0:3], 0 offen offset:32
	buffer_load_dword v20, v4, s[0:3], 0 offen offset:36
	;; [unrolled: 1-line block ×4, first 2 shown]
	s_waitcnt vmcnt(6) lgkmcnt(0)
	v_mul_f64 v[23:24], v[17:18], v[0:1]
	v_mul_f64 v[0:1], v[15:16], v[0:1]
	s_waitcnt vmcnt(4)
	v_fma_f64 v[15:16], v[15:16], v[2:3], -v[23:24]
	v_fma_f64 v[0:1], v[17:18], v[2:3], v[0:1]
	v_add_f64 v[2:3], v[27:28], -v[15:16]
	v_add_f64 v[0:1], v[29:30], -v[0:1]
	buffer_store_dword v3, v4, s[0:3], 0 offen offset:20
	buffer_store_dword v2, v4, s[0:3], 0 offen offset:16
	;; [unrolled: 1-line block ×4, first 2 shown]
	s_clause 0x3
	buffer_load_dword v23, off, s[0:3], 0 offset:184
	buffer_load_dword v24, off, s[0:3], 0 offset:188
	;; [unrolled: 1-line block ×4, first 2 shown]
	ds_read2_b64 v[0:3], v9 offset0:4 offset1:5
	ds_read2_b64 v[15:18], v9 offset0:6 offset1:7
	s_waitcnt vmcnt(2) lgkmcnt(1)
	v_mul_f64 v[27:28], v[2:3], v[23:24]
	v_mul_f64 v[23:24], v[0:1], v[23:24]
	s_waitcnt vmcnt(0)
	v_fma_f64 v[0:1], v[0:1], v[25:26], -v[27:28]
	v_fma_f64 v[2:3], v[2:3], v[25:26], v[23:24]
	v_add_f64 v[0:1], v[19:20], -v[0:1]
	v_add_f64 v[2:3], v[21:22], -v[2:3]
	buffer_store_dword v1, v4, s[0:3], 0 offen offset:36
	buffer_store_dword v0, v4, s[0:3], 0 offen offset:32
	buffer_store_dword v3, v4, s[0:3], 0 offen offset:44
	buffer_store_dword v2, v4, s[0:3], 0 offen offset:40
	s_clause 0x7
	buffer_load_dword v0, off, s[0:3], 0 offset:184
	buffer_load_dword v1, off, s[0:3], 0 offset:188
	;; [unrolled: 1-line block ×4, first 2 shown]
	buffer_load_dword v19, v4, s[0:3], 0 offen offset:48
	buffer_load_dword v20, v4, s[0:3], 0 offen offset:52
	;; [unrolled: 1-line block ×4, first 2 shown]
	s_waitcnt vmcnt(6) lgkmcnt(0)
	v_mul_f64 v[23:24], v[17:18], v[0:1]
	v_mul_f64 v[0:1], v[15:16], v[0:1]
	s_waitcnt vmcnt(4)
	v_fma_f64 v[15:16], v[15:16], v[2:3], -v[23:24]
	v_fma_f64 v[0:1], v[17:18], v[2:3], v[0:1]
	s_waitcnt vmcnt(2)
	v_add_f64 v[2:3], v[19:20], -v[15:16]
	s_waitcnt vmcnt(0)
	v_add_f64 v[0:1], v[21:22], -v[0:1]
	buffer_store_dword v3, v4, s[0:3], 0 offen offset:52
	buffer_store_dword v2, v4, s[0:3], 0 offen offset:48
	;; [unrolled: 1-line block ×4, first 2 shown]
	s_clause 0x7
	buffer_load_dword v19, off, s[0:3], 0 offset:184
	buffer_load_dword v20, off, s[0:3], 0 offset:188
	;; [unrolled: 1-line block ×4, first 2 shown]
	buffer_load_dword v23, v4, s[0:3], 0 offen offset:64
	buffer_load_dword v24, v4, s[0:3], 0 offen offset:68
	;; [unrolled: 1-line block ×4, first 2 shown]
	ds_read2_b64 v[0:3], v9 offset0:8 offset1:9
	ds_read2_b64 v[15:18], v9 offset0:10 offset1:11
	s_waitcnt vmcnt(6) lgkmcnt(1)
	v_mul_f64 v[27:28], v[2:3], v[19:20]
	v_mul_f64 v[19:20], v[0:1], v[19:20]
	s_waitcnt vmcnt(4)
	v_fma_f64 v[0:1], v[0:1], v[21:22], -v[27:28]
	v_fma_f64 v[2:3], v[2:3], v[21:22], v[19:20]
	s_waitcnt vmcnt(2)
	v_add_f64 v[0:1], v[23:24], -v[0:1]
	s_waitcnt vmcnt(0)
	v_add_f64 v[2:3], v[25:26], -v[2:3]
	buffer_store_dword v1, v4, s[0:3], 0 offen offset:68
	buffer_store_dword v0, v4, s[0:3], 0 offen offset:64
	;; [unrolled: 1-line block ×4, first 2 shown]
	s_clause 0x7
	buffer_load_dword v0, off, s[0:3], 0 offset:184
	buffer_load_dword v1, off, s[0:3], 0 offset:188
	buffer_load_dword v2, off, s[0:3], 0 offset:176
	buffer_load_dword v3, off, s[0:3], 0 offset:180
	buffer_load_dword v19, v4, s[0:3], 0 offen offset:80
	buffer_load_dword v20, v4, s[0:3], 0 offen offset:84
	;; [unrolled: 1-line block ×4, first 2 shown]
	s_waitcnt vmcnt(6) lgkmcnt(0)
	v_mul_f64 v[23:24], v[17:18], v[0:1]
	v_mul_f64 v[0:1], v[15:16], v[0:1]
	s_waitcnt vmcnt(4)
	v_fma_f64 v[15:16], v[15:16], v[2:3], -v[23:24]
	v_fma_f64 v[0:1], v[17:18], v[2:3], v[0:1]
	s_waitcnt vmcnt(2)
	v_add_f64 v[2:3], v[19:20], -v[15:16]
	s_waitcnt vmcnt(0)
	v_add_f64 v[0:1], v[21:22], -v[0:1]
	buffer_store_dword v3, v4, s[0:3], 0 offen offset:84
	buffer_store_dword v2, v4, s[0:3], 0 offen offset:80
	;; [unrolled: 1-line block ×4, first 2 shown]
	s_clause 0x7
	buffer_load_dword v15, off, s[0:3], 0 offset:184
	buffer_load_dword v16, off, s[0:3], 0 offset:188
	;; [unrolled: 1-line block ×4, first 2 shown]
	buffer_load_dword v19, v4, s[0:3], 0 offen offset:96
	buffer_load_dword v20, v4, s[0:3], 0 offen offset:100
	;; [unrolled: 1-line block ×4, first 2 shown]
	ds_read2_b64 v[0:3], v9 offset0:12 offset1:13
	s_waitcnt vmcnt(6) lgkmcnt(0)
	v_mul_f64 v[23:24], v[2:3], v[15:16]
	v_mul_f64 v[15:16], v[0:1], v[15:16]
	s_waitcnt vmcnt(4)
	v_fma_f64 v[0:1], v[0:1], v[17:18], -v[23:24]
	v_fma_f64 v[2:3], v[2:3], v[17:18], v[15:16]
	s_waitcnt vmcnt(2)
	v_add_f64 v[0:1], v[19:20], -v[0:1]
	s_waitcnt vmcnt(0)
	v_add_f64 v[2:3], v[21:22], -v[2:3]
	buffer_store_dword v1, v4, s[0:3], 0 offen offset:100
	buffer_store_dword v0, v4, s[0:3], 0 offen offset:96
	;; [unrolled: 1-line block ×4, first 2 shown]
	s_cbranch_scc1 .LBB120_294
.LBB120_295:
	s_or_b32 exec_lo, exec_lo, s4
	v_mov_b32_e32 v3, s69
	s_waitcnt_vscnt null, 0x0
	s_barrier
	buffer_gl0_inv
	v_lshl_add_u32 v4, v14, 4, v11
	s_clause 0x3
	buffer_load_dword v0, v3, s[0:3], 0 offen
	buffer_load_dword v1, v3, s[0:3], 0 offen offset:4
	buffer_load_dword v2, v3, s[0:3], 0 offen offset:8
	;; [unrolled: 1-line block ×3, first 2 shown]
	v_mov_b32_e32 v9, 12
	s_cmp_lt_i32 s56, 14
	s_waitcnt vmcnt(0)
	ds_write2_b64 v4, v[0:1], v[2:3] offset1:1
	s_waitcnt lgkmcnt(0)
	s_barrier
	buffer_gl0_inv
	ds_read2_b64 v[0:3], v11 offset0:24 offset1:25
	s_cbranch_scc1 .LBB120_298
; %bb.296:
	v_add3_u32 v4, v13, 0, 0xd0
	v_mov_b32_e32 v9, 12
	s_mov_b32 s16, 13
	s_inst_prefetch 0x1
	.p2align	6
.LBB120_297:                            ; =>This Inner Loop Header: Depth=1
	s_waitcnt lgkmcnt(0)
	v_cmp_gt_f64_e32 vcc_lo, 0, v[2:3]
	v_cmp_gt_f64_e64 s4, 0, v[0:1]
	ds_read2_b64 v[15:18], v4 offset1:1
	v_xor_b32_e32 v20, 0x80000000, v1
	v_xor_b32_e32 v22, 0x80000000, v3
	v_mov_b32_e32 v19, v0
	v_mov_b32_e32 v21, v2
	v_add_nc_u32_e32 v4, 16, v4
	s_waitcnt lgkmcnt(0)
	v_xor_b32_e32 v24, 0x80000000, v18
	v_cndmask_b32_e64 v20, v1, v20, s4
	v_cndmask_b32_e32 v22, v3, v22, vcc_lo
	v_cmp_gt_f64_e32 vcc_lo, 0, v[17:18]
	v_cmp_gt_f64_e64 s4, 0, v[15:16]
	v_mov_b32_e32 v23, v17
	v_add_f64 v[19:20], v[19:20], v[21:22]
	v_xor_b32_e32 v22, 0x80000000, v16
	v_mov_b32_e32 v21, v15
	v_cndmask_b32_e32 v24, v18, v24, vcc_lo
	v_cndmask_b32_e64 v22, v16, v22, s4
	v_add_f64 v[21:22], v[21:22], v[23:24]
	v_cmp_lt_f64_e32 vcc_lo, v[19:20], v[21:22]
	v_cndmask_b32_e32 v1, v1, v16, vcc_lo
	v_cndmask_b32_e32 v0, v0, v15, vcc_lo
	;; [unrolled: 1-line block ×4, first 2 shown]
	v_cndmask_b32_e64 v9, v9, s16, vcc_lo
	s_add_i32 s16, s16, 1
	s_cmp_lg_u32 s56, s16
	s_cbranch_scc1 .LBB120_297
.LBB120_298:
	s_inst_prefetch 0x2
	s_waitcnt lgkmcnt(0)
	v_cmp_eq_f64_e32 vcc_lo, 0, v[0:1]
	v_cmp_eq_f64_e64 s4, 0, v[2:3]
	s_and_b32 s4, vcc_lo, s4
	s_and_saveexec_b32 s16, s4
	s_xor_b32 s4, exec_lo, s16
; %bb.299:
	v_cmp_ne_u32_e32 vcc_lo, 0, v12
	v_cndmask_b32_e32 v12, 13, v12, vcc_lo
; %bb.300:
	s_andn2_saveexec_b32 s4, s4
	s_cbranch_execz .LBB120_306
; %bb.301:
	v_cmp_ngt_f64_e64 s16, |v[0:1]|, |v[2:3]|
	s_and_saveexec_b32 s17, s16
	s_xor_b32 s16, exec_lo, s17
	s_cbranch_execz .LBB120_303
; %bb.302:
	v_div_scale_f64 v[15:16], null, v[2:3], v[2:3], v[0:1]
	v_div_scale_f64 v[21:22], vcc_lo, v[0:1], v[2:3], v[0:1]
	v_rcp_f64_e32 v[17:18], v[15:16]
	v_fma_f64 v[19:20], -v[15:16], v[17:18], 1.0
	v_fma_f64 v[17:18], v[17:18], v[19:20], v[17:18]
	v_fma_f64 v[19:20], -v[15:16], v[17:18], 1.0
	v_fma_f64 v[17:18], v[17:18], v[19:20], v[17:18]
	v_mul_f64 v[19:20], v[21:22], v[17:18]
	v_fma_f64 v[15:16], -v[15:16], v[19:20], v[21:22]
	v_div_fmas_f64 v[15:16], v[15:16], v[17:18], v[19:20]
	v_div_fixup_f64 v[15:16], v[15:16], v[2:3], v[0:1]
	v_fma_f64 v[0:1], v[0:1], v[15:16], v[2:3]
	v_div_scale_f64 v[2:3], null, v[0:1], v[0:1], 1.0
	v_rcp_f64_e32 v[17:18], v[2:3]
	v_fma_f64 v[19:20], -v[2:3], v[17:18], 1.0
	v_fma_f64 v[17:18], v[17:18], v[19:20], v[17:18]
	v_fma_f64 v[19:20], -v[2:3], v[17:18], 1.0
	v_fma_f64 v[17:18], v[17:18], v[19:20], v[17:18]
	v_div_scale_f64 v[19:20], vcc_lo, 1.0, v[0:1], 1.0
	v_mul_f64 v[21:22], v[19:20], v[17:18]
	v_fma_f64 v[2:3], -v[2:3], v[21:22], v[19:20]
	v_div_fmas_f64 v[2:3], v[2:3], v[17:18], v[21:22]
	v_div_fixup_f64 v[2:3], v[2:3], v[0:1], 1.0
	v_mul_f64 v[0:1], v[15:16], v[2:3]
	v_xor_b32_e32 v3, 0x80000000, v3
.LBB120_303:
	s_andn2_saveexec_b32 s16, s16
	s_cbranch_execz .LBB120_305
; %bb.304:
	v_div_scale_f64 v[15:16], null, v[0:1], v[0:1], v[2:3]
	v_div_scale_f64 v[21:22], vcc_lo, v[2:3], v[0:1], v[2:3]
	v_rcp_f64_e32 v[17:18], v[15:16]
	v_fma_f64 v[19:20], -v[15:16], v[17:18], 1.0
	v_fma_f64 v[17:18], v[17:18], v[19:20], v[17:18]
	v_fma_f64 v[19:20], -v[15:16], v[17:18], 1.0
	v_fma_f64 v[17:18], v[17:18], v[19:20], v[17:18]
	v_mul_f64 v[19:20], v[21:22], v[17:18]
	v_fma_f64 v[15:16], -v[15:16], v[19:20], v[21:22]
	v_div_fmas_f64 v[15:16], v[15:16], v[17:18], v[19:20]
	v_div_fixup_f64 v[15:16], v[15:16], v[0:1], v[2:3]
	v_fma_f64 v[0:1], v[2:3], v[15:16], v[0:1]
	v_div_scale_f64 v[2:3], null, v[0:1], v[0:1], 1.0
	v_rcp_f64_e32 v[17:18], v[2:3]
	v_fma_f64 v[19:20], -v[2:3], v[17:18], 1.0
	v_fma_f64 v[17:18], v[17:18], v[19:20], v[17:18]
	v_fma_f64 v[19:20], -v[2:3], v[17:18], 1.0
	v_fma_f64 v[17:18], v[17:18], v[19:20], v[17:18]
	v_div_scale_f64 v[19:20], vcc_lo, 1.0, v[0:1], 1.0
	v_mul_f64 v[21:22], v[19:20], v[17:18]
	v_fma_f64 v[2:3], -v[2:3], v[21:22], v[19:20]
	v_div_fmas_f64 v[2:3], v[2:3], v[17:18], v[21:22]
	v_div_fixup_f64 v[0:1], v[2:3], v[0:1], 1.0
	v_mul_f64 v[2:3], v[15:16], -v[0:1]
.LBB120_305:
	s_or_b32 exec_lo, exec_lo, s16
.LBB120_306:
	s_or_b32 exec_lo, exec_lo, s4
	s_mov_b32 s4, exec_lo
	v_cmpx_ne_u32_e64 v14, v9
	s_xor_b32 s4, exec_lo, s4
	s_cbranch_execz .LBB120_312
; %bb.307:
	s_mov_b32 s16, exec_lo
	v_cmpx_eq_u32_e32 12, v14
	s_cbranch_execz .LBB120_311
; %bb.308:
	v_cmp_ne_u32_e32 vcc_lo, 12, v9
	s_xor_b32 s17, s20, -1
	s_and_b32 s57, s17, vcc_lo
	s_and_saveexec_b32 s17, s57
	s_cbranch_execz .LBB120_310
; %bb.309:
	v_ashrrev_i32_e32 v10, 31, v9
	v_lshlrev_b64 v[14:15], 2, v[9:10]
	v_add_co_u32 v14, vcc_lo, v7, v14
	v_add_co_ci_u32_e64 v15, null, v8, v15, vcc_lo
	s_clause 0x1
	global_load_dword v4, v[14:15], off
	global_load_dword v10, v[7:8], off offset:48
	s_waitcnt vmcnt(1)
	global_store_dword v[7:8], v4, off offset:48
	s_waitcnt vmcnt(0)
	global_store_dword v[14:15], v10, off
.LBB120_310:
	s_or_b32 exec_lo, exec_lo, s17
	v_mov_b32_e32 v14, v9
	v_mov_b32_e32 v10, v9
.LBB120_311:
	s_or_b32 exec_lo, exec_lo, s16
.LBB120_312:
	s_andn2_saveexec_b32 s4, s4
	s_cbranch_execz .LBB120_316
; %bb.313:
	s_movk_i32 s80, 0xd0
.LBB120_314:                            ; =>This Inner Loop Header: Depth=1
	v_mov_b32_e32 v4, s80
	s_clause 0x3e
	buffer_load_dword v14, v4, s[0:3], 0 offen
	buffer_load_dword v15, v4, s[0:3], 0 offen offset:4
	buffer_load_dword v16, v4, s[0:3], 0 offen offset:8
	;; [unrolled: 1-line block ×63, first 2 shown]
	v_add_nc_u32_e32 v4, s80, v11
	s_addk_i32 s80, 0x100
	s_waitcnt vmcnt(60)
	ds_write2_b64 v4, v[14:15], v[16:17] offset1:1
	s_waitcnt vmcnt(56)
	ds_write2_b64 v4, v[18:19], v[20:21] offset0:2 offset1:3
	s_waitcnt vmcnt(52)
	ds_write2_b64 v4, v[22:23], v[24:25] offset0:4 offset1:5
	;; [unrolled: 2-line block ×4, first 2 shown]
	ds_write2_b64 v4, v[34:35], v[32:33] offset0:10 offset1:11
	s_waitcnt vmcnt(32)
	ds_write2_b64 v4, v[44:45], v[38:39] offset0:12 offset1:13
	ds_write2_b64 v4, v[42:43], v[40:41] offset0:14 offset1:15
	s_waitcnt vmcnt(28)
	ds_write2_b64 v4, v[46:47], v[48:49] offset0:16 offset1:17
	s_waitcnt vmcnt(24)
	;; [unrolled: 2-line block ×8, first 2 shown]
	ds_write2_b64 v4, v[74:75], v[76:77] offset0:30 offset1:31
	s_cmpk_eq_i32 s80, 0x3d0
	s_cbranch_scc0 .LBB120_314
; %bb.315:
	v_mov_b32_e32 v14, 12
.LBB120_316:
	s_or_b32 exec_lo, exec_lo, s4
	s_mov_b32 s4, exec_lo
	s_waitcnt lgkmcnt(0)
	s_waitcnt_vscnt null, 0x0
	s_barrier
	buffer_gl0_inv
	v_cmpx_lt_i32_e32 12, v14
	s_cbranch_execz .LBB120_319
; %bb.317:
	s_clause 0x3
	buffer_load_dword v15, off, s[0:3], 0 offset:200
	buffer_load_dword v16, off, s[0:3], 0 offset:204
	;; [unrolled: 1-line block ×4, first 2 shown]
	s_movk_i32 s80, 0xd0
	s_waitcnt vmcnt(2)
	v_mul_f64 v[19:20], v[2:3], v[15:16]
	v_mul_f64 v[15:16], v[0:1], v[15:16]
	s_waitcnt vmcnt(0)
	v_fma_f64 v[0:1], v[0:1], v[17:18], -v[19:20]
	v_fma_f64 v[2:3], v[2:3], v[17:18], v[15:16]
	buffer_store_dword v0, off, s[0:3], 0 offset:192
	buffer_store_dword v1, off, s[0:3], 0 offset:196
	;; [unrolled: 1-line block ×4, first 2 shown]
.LBB120_318:                            ; =>This Inner Loop Header: Depth=1
	s_clause 0x3
	buffer_load_dword v19, off, s[0:3], 0 offset:200
	buffer_load_dword v20, off, s[0:3], 0 offset:204
	;; [unrolled: 1-line block ×4, first 2 shown]
	v_mov_b32_e32 v4, s80
	v_add_nc_u32_e32 v9, s80, v11
	s_addk_i32 s80, 0x60
	s_clause 0x3
	buffer_load_dword v23, v4, s[0:3], 0 offen
	buffer_load_dword v24, v4, s[0:3], 0 offen offset:4
	buffer_load_dword v25, v4, s[0:3], 0 offen offset:8
	;; [unrolled: 1-line block ×3, first 2 shown]
	ds_read2_b64 v[0:3], v9 offset1:1
	s_clause 0x3
	buffer_load_dword v27, v4, s[0:3], 0 offen offset:16
	buffer_load_dword v28, v4, s[0:3], 0 offen offset:20
	;; [unrolled: 1-line block ×4, first 2 shown]
	ds_read2_b64 v[15:18], v9 offset0:2 offset1:3
	s_cmpk_lg_i32 s80, 0x3d0
	s_waitcnt vmcnt(10) lgkmcnt(1)
	v_mul_f64 v[31:32], v[2:3], v[19:20]
	v_mul_f64 v[19:20], v[0:1], v[19:20]
	s_waitcnt vmcnt(8)
	v_fma_f64 v[0:1], v[0:1], v[21:22], -v[31:32]
	v_fma_f64 v[2:3], v[2:3], v[21:22], v[19:20]
	s_waitcnt vmcnt(6)
	v_add_f64 v[0:1], v[23:24], -v[0:1]
	s_waitcnt vmcnt(4)
	v_add_f64 v[2:3], v[25:26], -v[2:3]
	buffer_store_dword v1, v4, s[0:3], 0 offen offset:4
	buffer_store_dword v0, v4, s[0:3], 0 offen
	buffer_store_dword v3, v4, s[0:3], 0 offen offset:12
	buffer_store_dword v2, v4, s[0:3], 0 offen offset:8
	s_clause 0x3
	buffer_load_dword v1, off, s[0:3], 0 offset:204
	buffer_load_dword v0, off, s[0:3], 0 offset:200
	;; [unrolled: 1-line block ×4, first 2 shown]
	s_waitcnt vmcnt(2) lgkmcnt(0)
	v_mul_f64 v[19:20], v[17:18], v[0:1]
	v_mul_f64 v[0:1], v[15:16], v[0:1]
	s_waitcnt vmcnt(0)
	v_fma_f64 v[15:16], v[15:16], v[2:3], -v[19:20]
	v_fma_f64 v[0:1], v[17:18], v[2:3], v[0:1]
	s_clause 0x3
	buffer_load_dword v19, v4, s[0:3], 0 offen offset:32
	buffer_load_dword v20, v4, s[0:3], 0 offen offset:36
	buffer_load_dword v21, v4, s[0:3], 0 offen offset:40
	buffer_load_dword v22, v4, s[0:3], 0 offen offset:44
	v_add_f64 v[2:3], v[27:28], -v[15:16]
	v_add_f64 v[0:1], v[29:30], -v[0:1]
	buffer_store_dword v3, v4, s[0:3], 0 offen offset:20
	buffer_store_dword v2, v4, s[0:3], 0 offen offset:16
	;; [unrolled: 1-line block ×4, first 2 shown]
	s_clause 0x3
	buffer_load_dword v23, off, s[0:3], 0 offset:200
	buffer_load_dword v24, off, s[0:3], 0 offset:204
	;; [unrolled: 1-line block ×4, first 2 shown]
	ds_read2_b64 v[0:3], v9 offset0:4 offset1:5
	ds_read2_b64 v[15:18], v9 offset0:6 offset1:7
	s_waitcnt vmcnt(2) lgkmcnt(1)
	v_mul_f64 v[27:28], v[2:3], v[23:24]
	v_mul_f64 v[23:24], v[0:1], v[23:24]
	s_waitcnt vmcnt(0)
	v_fma_f64 v[0:1], v[0:1], v[25:26], -v[27:28]
	v_fma_f64 v[2:3], v[2:3], v[25:26], v[23:24]
	v_add_f64 v[0:1], v[19:20], -v[0:1]
	v_add_f64 v[2:3], v[21:22], -v[2:3]
	buffer_store_dword v1, v4, s[0:3], 0 offen offset:36
	buffer_store_dword v0, v4, s[0:3], 0 offen offset:32
	;; [unrolled: 1-line block ×4, first 2 shown]
	s_clause 0x7
	buffer_load_dword v0, off, s[0:3], 0 offset:200
	buffer_load_dword v1, off, s[0:3], 0 offset:204
	buffer_load_dword v2, off, s[0:3], 0 offset:192
	buffer_load_dword v3, off, s[0:3], 0 offset:196
	buffer_load_dword v19, v4, s[0:3], 0 offen offset:48
	buffer_load_dword v20, v4, s[0:3], 0 offen offset:52
	;; [unrolled: 1-line block ×4, first 2 shown]
	s_waitcnt vmcnt(6) lgkmcnt(0)
	v_mul_f64 v[23:24], v[17:18], v[0:1]
	v_mul_f64 v[0:1], v[15:16], v[0:1]
	s_waitcnt vmcnt(4)
	v_fma_f64 v[15:16], v[15:16], v[2:3], -v[23:24]
	v_fma_f64 v[0:1], v[17:18], v[2:3], v[0:1]
	s_waitcnt vmcnt(2)
	v_add_f64 v[2:3], v[19:20], -v[15:16]
	s_waitcnt vmcnt(0)
	v_add_f64 v[0:1], v[21:22], -v[0:1]
	buffer_store_dword v3, v4, s[0:3], 0 offen offset:52
	buffer_store_dword v2, v4, s[0:3], 0 offen offset:48
	;; [unrolled: 1-line block ×4, first 2 shown]
	s_clause 0x7
	buffer_load_dword v19, off, s[0:3], 0 offset:200
	buffer_load_dword v20, off, s[0:3], 0 offset:204
	;; [unrolled: 1-line block ×4, first 2 shown]
	buffer_load_dword v23, v4, s[0:3], 0 offen offset:64
	buffer_load_dword v24, v4, s[0:3], 0 offen offset:68
	;; [unrolled: 1-line block ×4, first 2 shown]
	ds_read2_b64 v[0:3], v9 offset0:8 offset1:9
	ds_read2_b64 v[15:18], v9 offset0:10 offset1:11
	s_waitcnt vmcnt(6) lgkmcnt(1)
	v_mul_f64 v[27:28], v[2:3], v[19:20]
	v_mul_f64 v[19:20], v[0:1], v[19:20]
	s_waitcnt vmcnt(4)
	v_fma_f64 v[0:1], v[0:1], v[21:22], -v[27:28]
	v_fma_f64 v[2:3], v[2:3], v[21:22], v[19:20]
	s_waitcnt vmcnt(2)
	v_add_f64 v[0:1], v[23:24], -v[0:1]
	s_waitcnt vmcnt(0)
	v_add_f64 v[2:3], v[25:26], -v[2:3]
	buffer_store_dword v1, v4, s[0:3], 0 offen offset:68
	buffer_store_dword v0, v4, s[0:3], 0 offen offset:64
	;; [unrolled: 1-line block ×4, first 2 shown]
	s_clause 0x7
	buffer_load_dword v0, off, s[0:3], 0 offset:200
	buffer_load_dword v1, off, s[0:3], 0 offset:204
	;; [unrolled: 1-line block ×4, first 2 shown]
	buffer_load_dword v19, v4, s[0:3], 0 offen offset:80
	buffer_load_dword v20, v4, s[0:3], 0 offen offset:84
	buffer_load_dword v21, v4, s[0:3], 0 offen offset:88
	buffer_load_dword v22, v4, s[0:3], 0 offen offset:92
	s_waitcnt vmcnt(6) lgkmcnt(0)
	v_mul_f64 v[23:24], v[17:18], v[0:1]
	v_mul_f64 v[0:1], v[15:16], v[0:1]
	s_waitcnt vmcnt(4)
	v_fma_f64 v[15:16], v[15:16], v[2:3], -v[23:24]
	v_fma_f64 v[0:1], v[17:18], v[2:3], v[0:1]
	s_waitcnt vmcnt(2)
	v_add_f64 v[2:3], v[19:20], -v[15:16]
	s_waitcnt vmcnt(0)
	v_add_f64 v[0:1], v[21:22], -v[0:1]
	buffer_store_dword v3, v4, s[0:3], 0 offen offset:84
	buffer_store_dword v2, v4, s[0:3], 0 offen offset:80
	;; [unrolled: 1-line block ×4, first 2 shown]
	s_cbranch_scc1 .LBB120_318
.LBB120_319:
	s_or_b32 exec_lo, exec_lo, s4
	v_mov_b32_e32 v3, s68
	s_waitcnt_vscnt null, 0x0
	s_barrier
	buffer_gl0_inv
	v_lshl_add_u32 v4, v14, 4, v11
	s_clause 0x3
	buffer_load_dword v0, v3, s[0:3], 0 offen
	buffer_load_dword v1, v3, s[0:3], 0 offen offset:4
	buffer_load_dword v2, v3, s[0:3], 0 offen offset:8
	;; [unrolled: 1-line block ×3, first 2 shown]
	v_mov_b32_e32 v9, 13
	s_cmp_lt_i32 s56, 15
	s_waitcnt vmcnt(0)
	ds_write2_b64 v4, v[0:1], v[2:3] offset1:1
	s_waitcnt lgkmcnt(0)
	s_barrier
	buffer_gl0_inv
	ds_read2_b64 v[0:3], v11 offset0:26 offset1:27
	s_cbranch_scc1 .LBB120_322
; %bb.320:
	v_add3_u32 v4, v13, 0, 0xe0
	v_mov_b32_e32 v9, 13
	s_mov_b32 s16, 14
	s_inst_prefetch 0x1
	.p2align	6
.LBB120_321:                            ; =>This Inner Loop Header: Depth=1
	s_waitcnt lgkmcnt(0)
	v_cmp_gt_f64_e32 vcc_lo, 0, v[2:3]
	v_cmp_gt_f64_e64 s4, 0, v[0:1]
	ds_read2_b64 v[15:18], v4 offset1:1
	v_xor_b32_e32 v20, 0x80000000, v1
	v_xor_b32_e32 v22, 0x80000000, v3
	v_mov_b32_e32 v19, v0
	v_mov_b32_e32 v21, v2
	v_add_nc_u32_e32 v4, 16, v4
	s_waitcnt lgkmcnt(0)
	v_xor_b32_e32 v24, 0x80000000, v18
	v_cndmask_b32_e64 v20, v1, v20, s4
	v_cndmask_b32_e32 v22, v3, v22, vcc_lo
	v_cmp_gt_f64_e32 vcc_lo, 0, v[17:18]
	v_cmp_gt_f64_e64 s4, 0, v[15:16]
	v_mov_b32_e32 v23, v17
	v_add_f64 v[19:20], v[19:20], v[21:22]
	v_xor_b32_e32 v22, 0x80000000, v16
	v_mov_b32_e32 v21, v15
	v_cndmask_b32_e32 v24, v18, v24, vcc_lo
	v_cndmask_b32_e64 v22, v16, v22, s4
	v_add_f64 v[21:22], v[21:22], v[23:24]
	v_cmp_lt_f64_e32 vcc_lo, v[19:20], v[21:22]
	v_cndmask_b32_e32 v1, v1, v16, vcc_lo
	v_cndmask_b32_e32 v0, v0, v15, vcc_lo
	;; [unrolled: 1-line block ×4, first 2 shown]
	v_cndmask_b32_e64 v9, v9, s16, vcc_lo
	s_add_i32 s16, s16, 1
	s_cmp_lg_u32 s56, s16
	s_cbranch_scc1 .LBB120_321
.LBB120_322:
	s_inst_prefetch 0x2
	s_waitcnt lgkmcnt(0)
	v_cmp_eq_f64_e32 vcc_lo, 0, v[0:1]
	v_cmp_eq_f64_e64 s4, 0, v[2:3]
	s_and_b32 s4, vcc_lo, s4
	s_and_saveexec_b32 s16, s4
	s_xor_b32 s4, exec_lo, s16
; %bb.323:
	v_cmp_ne_u32_e32 vcc_lo, 0, v12
	v_cndmask_b32_e32 v12, 14, v12, vcc_lo
; %bb.324:
	s_andn2_saveexec_b32 s4, s4
	s_cbranch_execz .LBB120_330
; %bb.325:
	v_cmp_ngt_f64_e64 s16, |v[0:1]|, |v[2:3]|
	s_and_saveexec_b32 s17, s16
	s_xor_b32 s16, exec_lo, s17
	s_cbranch_execz .LBB120_327
; %bb.326:
	v_div_scale_f64 v[15:16], null, v[2:3], v[2:3], v[0:1]
	v_div_scale_f64 v[21:22], vcc_lo, v[0:1], v[2:3], v[0:1]
	v_rcp_f64_e32 v[17:18], v[15:16]
	v_fma_f64 v[19:20], -v[15:16], v[17:18], 1.0
	v_fma_f64 v[17:18], v[17:18], v[19:20], v[17:18]
	v_fma_f64 v[19:20], -v[15:16], v[17:18], 1.0
	v_fma_f64 v[17:18], v[17:18], v[19:20], v[17:18]
	v_mul_f64 v[19:20], v[21:22], v[17:18]
	v_fma_f64 v[15:16], -v[15:16], v[19:20], v[21:22]
	v_div_fmas_f64 v[15:16], v[15:16], v[17:18], v[19:20]
	v_div_fixup_f64 v[15:16], v[15:16], v[2:3], v[0:1]
	v_fma_f64 v[0:1], v[0:1], v[15:16], v[2:3]
	v_div_scale_f64 v[2:3], null, v[0:1], v[0:1], 1.0
	v_rcp_f64_e32 v[17:18], v[2:3]
	v_fma_f64 v[19:20], -v[2:3], v[17:18], 1.0
	v_fma_f64 v[17:18], v[17:18], v[19:20], v[17:18]
	v_fma_f64 v[19:20], -v[2:3], v[17:18], 1.0
	v_fma_f64 v[17:18], v[17:18], v[19:20], v[17:18]
	v_div_scale_f64 v[19:20], vcc_lo, 1.0, v[0:1], 1.0
	v_mul_f64 v[21:22], v[19:20], v[17:18]
	v_fma_f64 v[2:3], -v[2:3], v[21:22], v[19:20]
	v_div_fmas_f64 v[2:3], v[2:3], v[17:18], v[21:22]
	v_div_fixup_f64 v[2:3], v[2:3], v[0:1], 1.0
	v_mul_f64 v[0:1], v[15:16], v[2:3]
	v_xor_b32_e32 v3, 0x80000000, v3
.LBB120_327:
	s_andn2_saveexec_b32 s16, s16
	s_cbranch_execz .LBB120_329
; %bb.328:
	v_div_scale_f64 v[15:16], null, v[0:1], v[0:1], v[2:3]
	v_div_scale_f64 v[21:22], vcc_lo, v[2:3], v[0:1], v[2:3]
	v_rcp_f64_e32 v[17:18], v[15:16]
	v_fma_f64 v[19:20], -v[15:16], v[17:18], 1.0
	v_fma_f64 v[17:18], v[17:18], v[19:20], v[17:18]
	v_fma_f64 v[19:20], -v[15:16], v[17:18], 1.0
	v_fma_f64 v[17:18], v[17:18], v[19:20], v[17:18]
	v_mul_f64 v[19:20], v[21:22], v[17:18]
	v_fma_f64 v[15:16], -v[15:16], v[19:20], v[21:22]
	v_div_fmas_f64 v[15:16], v[15:16], v[17:18], v[19:20]
	v_div_fixup_f64 v[15:16], v[15:16], v[0:1], v[2:3]
	v_fma_f64 v[0:1], v[2:3], v[15:16], v[0:1]
	v_div_scale_f64 v[2:3], null, v[0:1], v[0:1], 1.0
	v_rcp_f64_e32 v[17:18], v[2:3]
	v_fma_f64 v[19:20], -v[2:3], v[17:18], 1.0
	v_fma_f64 v[17:18], v[17:18], v[19:20], v[17:18]
	v_fma_f64 v[19:20], -v[2:3], v[17:18], 1.0
	v_fma_f64 v[17:18], v[17:18], v[19:20], v[17:18]
	v_div_scale_f64 v[19:20], vcc_lo, 1.0, v[0:1], 1.0
	v_mul_f64 v[21:22], v[19:20], v[17:18]
	v_fma_f64 v[2:3], -v[2:3], v[21:22], v[19:20]
	v_div_fmas_f64 v[2:3], v[2:3], v[17:18], v[21:22]
	v_div_fixup_f64 v[0:1], v[2:3], v[0:1], 1.0
	v_mul_f64 v[2:3], v[15:16], -v[0:1]
.LBB120_329:
	s_or_b32 exec_lo, exec_lo, s16
.LBB120_330:
	s_or_b32 exec_lo, exec_lo, s4
	s_mov_b32 s4, exec_lo
	v_cmpx_ne_u32_e64 v14, v9
	s_xor_b32 s4, exec_lo, s4
	s_cbranch_execz .LBB120_336
; %bb.331:
	s_mov_b32 s16, exec_lo
	v_cmpx_eq_u32_e32 13, v14
	s_cbranch_execz .LBB120_335
; %bb.332:
	v_cmp_ne_u32_e32 vcc_lo, 13, v9
	s_xor_b32 s17, s20, -1
	s_and_b32 s57, s17, vcc_lo
	s_and_saveexec_b32 s17, s57
	s_cbranch_execz .LBB120_334
; %bb.333:
	v_ashrrev_i32_e32 v10, 31, v9
	v_lshlrev_b64 v[14:15], 2, v[9:10]
	v_add_co_u32 v14, vcc_lo, v7, v14
	v_add_co_ci_u32_e64 v15, null, v8, v15, vcc_lo
	s_clause 0x1
	global_load_dword v4, v[14:15], off
	global_load_dword v10, v[7:8], off offset:52
	s_waitcnt vmcnt(1)
	global_store_dword v[7:8], v4, off offset:52
	s_waitcnt vmcnt(0)
	global_store_dword v[14:15], v10, off
.LBB120_334:
	s_or_b32 exec_lo, exec_lo, s17
	v_mov_b32_e32 v14, v9
	v_mov_b32_e32 v10, v9
.LBB120_335:
	s_or_b32 exec_lo, exec_lo, s16
.LBB120_336:
	s_andn2_saveexec_b32 s4, s4
	s_cbranch_execz .LBB120_342
; %bb.337:
	s_movk_i32 s16, 0xe0
	s_branch .LBB120_339
.LBB120_338:                            ;   in Loop: Header=BB120_339 Depth=1
	s_andn2_b32 vcc_lo, exec_lo, s57
	s_cbranch_vccz .LBB120_341
.LBB120_339:                            ; =>This Inner Loop Header: Depth=1
	v_mov_b32_e32 v4, s16
	s_mov_b32 s17, s16
	s_mov_b32 s57, -1
	s_cmpk_eq_i32 s16, 0x360
	s_clause 0x1b
	buffer_load_dword v14, v4, s[0:3], 0 offen
	buffer_load_dword v15, v4, s[0:3], 0 offen offset:4
	buffer_load_dword v16, v4, s[0:3], 0 offen offset:8
	;; [unrolled: 1-line block ×27, first 2 shown]
	v_add_nc_u32_e32 v4, s16, v11
	s_waitcnt vmcnt(24)
	ds_write2_b64 v4, v[14:15], v[16:17] offset1:1
	s_waitcnt vmcnt(20)
	ds_write2_b64 v4, v[18:19], v[20:21] offset0:2 offset1:3
	s_waitcnt vmcnt(16)
	ds_write2_b64 v4, v[22:23], v[24:25] offset0:4 offset1:5
	;; [unrolled: 2-line block ×4, first 2 shown]
	ds_write2_b64 v4, v[34:35], v[32:33] offset0:10 offset1:11
	s_waitcnt vmcnt(0)
	ds_write2_b64 v4, v[40:41], v[38:39] offset0:12 offset1:13
	s_cbranch_scc1 .LBB120_338
; %bb.340:                              ;   in Loop: Header=BB120_339 Depth=1
	v_mov_b32_e32 v9, s17
	s_addk_i32 s16, 0x80
	s_mov_b32 s57, 0
	s_clause 0x3
	buffer_load_dword v14, v9, s[0:3], 0 offen offset:112
	buffer_load_dword v15, v9, s[0:3], 0 offen offset:116
	;; [unrolled: 1-line block ×4, first 2 shown]
	s_waitcnt vmcnt(0)
	ds_write2_b64 v4, v[14:15], v[16:17] offset0:14 offset1:15
	s_branch .LBB120_338
.LBB120_341:
	v_mov_b32_e32 v14, 13
.LBB120_342:
	s_or_b32 exec_lo, exec_lo, s4
	s_mov_b32 s4, exec_lo
	s_waitcnt lgkmcnt(0)
	s_waitcnt_vscnt null, 0x0
	s_barrier
	buffer_gl0_inv
	v_cmpx_lt_i32_e32 13, v14
	s_cbranch_execz .LBB120_347
; %bb.343:
	s_clause 0x3
	buffer_load_dword v15, off, s[0:3], 0 offset:216
	buffer_load_dword v16, off, s[0:3], 0 offset:220
	;; [unrolled: 1-line block ×4, first 2 shown]
	s_movk_i32 s80, 0xe0
	s_waitcnt vmcnt(2)
	v_mul_f64 v[19:20], v[2:3], v[15:16]
	v_mul_f64 v[15:16], v[0:1], v[15:16]
	s_waitcnt vmcnt(0)
	v_fma_f64 v[0:1], v[0:1], v[17:18], -v[19:20]
	v_fma_f64 v[2:3], v[2:3], v[17:18], v[15:16]
	buffer_store_dword v0, off, s[0:3], 0 offset:208
	buffer_store_dword v1, off, s[0:3], 0 offset:212
	;; [unrolled: 1-line block ×4, first 2 shown]
	s_branch .LBB120_345
.LBB120_344:                            ;   in Loop: Header=BB120_345 Depth=1
	s_andn2_b32 vcc_lo, exec_lo, s17
	s_cbranch_vccz .LBB120_347
.LBB120_345:                            ; =>This Inner Loop Header: Depth=1
	v_mov_b32_e32 v9, s80
	v_add_nc_u32_e32 v4, s80, v11
	s_mov_b32 s16, s80
	s_mov_b32 s17, -1
	s_cmpk_eq_i32 s80, 0x3a0
	s_clause 0x3
	buffer_load_dword v23, v9, s[0:3], 0 offen
	buffer_load_dword v24, v9, s[0:3], 0 offen offset:4
	buffer_load_dword v25, v9, s[0:3], 0 offen offset:8
	;; [unrolled: 1-line block ×3, first 2 shown]
	ds_read2_b64 v[15:18], v4 offset1:1
	ds_read2_b64 v[19:22], v4 offset0:2 offset1:3
	s_waitcnt vmcnt(5) lgkmcnt(1)
	v_mul_f64 v[27:28], v[17:18], v[2:3]
	v_mul_f64 v[2:3], v[15:16], v[2:3]
	s_waitcnt vmcnt(4)
	v_fma_f64 v[15:16], v[15:16], v[0:1], -v[27:28]
	v_fma_f64 v[0:1], v[17:18], v[0:1], v[2:3]
	s_clause 0x2
	buffer_load_dword v2, v9, s[0:3], 0 offen offset:20
	buffer_load_dword v17, v9, s[0:3], 0 offen offset:28
	;; [unrolled: 1-line block ×3, first 2 shown]
	s_waitcnt vmcnt(5)
	v_add_f64 v[15:16], v[23:24], -v[15:16]
	s_waitcnt vmcnt(3)
	v_add_f64 v[0:1], v[25:26], -v[0:1]
	buffer_store_dword v16, v9, s[0:3], 0 offen offset:4
	buffer_store_dword v15, v9, s[0:3], 0 offen
	buffer_store_dword v1, v9, s[0:3], 0 offen offset:12
	buffer_store_dword v0, v9, s[0:3], 0 offen offset:8
	s_clause 0x6
	buffer_load_dword v16, v9, s[0:3], 0 offen offset:24
	buffer_load_dword v23, v9, s[0:3], 0 offen offset:36
	buffer_load_dword v25, off, s[0:3], 0 offset:220
	buffer_load_dword v24, off, s[0:3], 0 offset:216
	buffer_load_dword v27, off, s[0:3], 0 offset:212
	buffer_load_dword v26, off, s[0:3], 0 offset:208
	buffer_load_dword v1, v9, s[0:3], 0 offen offset:16
	s_waitcnt vmcnt(3) lgkmcnt(0)
	v_mul_f64 v[28:29], v[21:22], v[24:25]
	v_mul_f64 v[24:25], v[19:20], v[24:25]
	s_waitcnt vmcnt(1)
	v_fma_f64 v[19:20], v[19:20], v[26:27], -v[28:29]
	v_fma_f64 v[21:22], v[21:22], v[26:27], v[24:25]
	s_waitcnt vmcnt(0)
	v_add_f64 v[0:1], v[1:2], -v[19:20]
	v_add_f64 v[2:3], v[16:17], -v[21:22]
	buffer_store_dword v1, v9, s[0:3], 0 offen offset:20
	buffer_store_dword v0, v9, s[0:3], 0 offen offset:16
	;; [unrolled: 1-line block ×4, first 2 shown]
	s_clause 0x5
	buffer_load_dword v19, v9, s[0:3], 0 offen offset:44
	buffer_load_dword v15, off, s[0:3], 0 offset:216
	buffer_load_dword v16, off, s[0:3], 0 offset:220
	;; [unrolled: 1-line block ×4, first 2 shown]
	buffer_load_dword v22, v9, s[0:3], 0 offen offset:32
	ds_read2_b64 v[0:3], v4 offset0:4 offset1:5
	s_waitcnt vmcnt(3) lgkmcnt(0)
	v_mul_f64 v[24:25], v[2:3], v[15:16]
	v_mul_f64 v[15:16], v[0:1], v[15:16]
	s_waitcnt vmcnt(1)
	v_fma_f64 v[0:1], v[0:1], v[20:21], -v[24:25]
	v_fma_f64 v[2:3], v[2:3], v[20:21], v[15:16]
	s_waitcnt vmcnt(0)
	v_add_f64 v[0:1], v[22:23], -v[0:1]
	v_add_f64 v[2:3], v[18:19], -v[2:3]
	buffer_store_dword v1, v9, s[0:3], 0 offen offset:36
	buffer_store_dword v0, v9, s[0:3], 0 offen offset:32
	;; [unrolled: 1-line block ×4, first 2 shown]
                                        ; implicit-def: $vgpr0_vgpr1
                                        ; implicit-def: $vgpr2_vgpr3
	s_cbranch_scc1 .LBB120_344
; %bb.346:                              ;   in Loop: Header=BB120_345 Depth=1
	s_clause 0x3
	buffer_load_dword v15, off, s[0:3], 0 offset:216
	buffer_load_dword v16, off, s[0:3], 0 offset:220
	;; [unrolled: 1-line block ×4, first 2 shown]
	v_mov_b32_e32 v9, s16
	s_add_i32 s80, s80, 64
	s_mov_b32 s17, 0
	s_clause 0x3
	buffer_load_dword v19, v9, s[0:3], 0 offen offset:48
	buffer_load_dword v20, v9, s[0:3], 0 offen offset:52
	;; [unrolled: 1-line block ×4, first 2 shown]
	ds_read2_b64 v[0:3], v4 offset0:6 offset1:7
	s_waitcnt vmcnt(6) lgkmcnt(0)
	v_mul_f64 v[23:24], v[2:3], v[15:16]
	v_mul_f64 v[15:16], v[0:1], v[15:16]
	s_waitcnt vmcnt(4)
	v_fma_f64 v[0:1], v[0:1], v[17:18], -v[23:24]
	v_fma_f64 v[2:3], v[2:3], v[17:18], v[15:16]
	s_waitcnt vmcnt(2)
	v_add_f64 v[0:1], v[19:20], -v[0:1]
	s_waitcnt vmcnt(0)
	v_add_f64 v[2:3], v[21:22], -v[2:3]
	buffer_store_dword v1, v9, s[0:3], 0 offen offset:52
	buffer_store_dword v0, v9, s[0:3], 0 offen offset:48
	;; [unrolled: 1-line block ×4, first 2 shown]
	s_clause 0x3
	buffer_load_dword v1, off, s[0:3], 0 offset:212
	buffer_load_dword v3, off, s[0:3], 0 offset:220
	;; [unrolled: 1-line block ×4, first 2 shown]
	s_branch .LBB120_344
.LBB120_347:
	s_or_b32 exec_lo, exec_lo, s4
	s_waitcnt vmcnt(2)
	v_mov_b32_e32 v3, s67
	s_waitcnt vmcnt(0)
	s_waitcnt_vscnt null, 0x0
	s_barrier
	buffer_gl0_inv
	v_lshl_add_u32 v4, v14, 4, v11
	s_clause 0x3
	buffer_load_dword v0, v3, s[0:3], 0 offen
	buffer_load_dword v1, v3, s[0:3], 0 offen offset:4
	buffer_load_dword v2, v3, s[0:3], 0 offen offset:8
	;; [unrolled: 1-line block ×3, first 2 shown]
	v_mov_b32_e32 v9, 14
	s_cmp_lt_i32 s56, 16
	s_waitcnt vmcnt(0)
	ds_write2_b64 v4, v[0:1], v[2:3] offset1:1
	s_waitcnt lgkmcnt(0)
	s_barrier
	buffer_gl0_inv
	ds_read2_b64 v[0:3], v11 offset0:28 offset1:29
	s_cbranch_scc1 .LBB120_350
; %bb.348:
	v_add3_u32 v4, v13, 0, 0xf0
	v_mov_b32_e32 v9, 14
	s_mov_b32 s16, 15
	s_inst_prefetch 0x1
	.p2align	6
.LBB120_349:                            ; =>This Inner Loop Header: Depth=1
	s_waitcnt lgkmcnt(0)
	v_cmp_gt_f64_e32 vcc_lo, 0, v[2:3]
	v_cmp_gt_f64_e64 s4, 0, v[0:1]
	ds_read2_b64 v[15:18], v4 offset1:1
	v_xor_b32_e32 v20, 0x80000000, v1
	v_xor_b32_e32 v22, 0x80000000, v3
	v_mov_b32_e32 v19, v0
	v_mov_b32_e32 v21, v2
	v_add_nc_u32_e32 v4, 16, v4
	s_waitcnt lgkmcnt(0)
	v_xor_b32_e32 v24, 0x80000000, v18
	v_cndmask_b32_e64 v20, v1, v20, s4
	v_cndmask_b32_e32 v22, v3, v22, vcc_lo
	v_cmp_gt_f64_e32 vcc_lo, 0, v[17:18]
	v_cmp_gt_f64_e64 s4, 0, v[15:16]
	v_mov_b32_e32 v23, v17
	v_add_f64 v[19:20], v[19:20], v[21:22]
	v_xor_b32_e32 v22, 0x80000000, v16
	v_mov_b32_e32 v21, v15
	v_cndmask_b32_e32 v24, v18, v24, vcc_lo
	v_cndmask_b32_e64 v22, v16, v22, s4
	v_add_f64 v[21:22], v[21:22], v[23:24]
	v_cmp_lt_f64_e32 vcc_lo, v[19:20], v[21:22]
	v_cndmask_b32_e32 v1, v1, v16, vcc_lo
	v_cndmask_b32_e32 v0, v0, v15, vcc_lo
	;; [unrolled: 1-line block ×4, first 2 shown]
	v_cndmask_b32_e64 v9, v9, s16, vcc_lo
	s_add_i32 s16, s16, 1
	s_cmp_lg_u32 s56, s16
	s_cbranch_scc1 .LBB120_349
.LBB120_350:
	s_inst_prefetch 0x2
	s_waitcnt lgkmcnt(0)
	v_cmp_eq_f64_e32 vcc_lo, 0, v[0:1]
	v_cmp_eq_f64_e64 s4, 0, v[2:3]
	s_and_b32 s4, vcc_lo, s4
	s_and_saveexec_b32 s16, s4
	s_xor_b32 s4, exec_lo, s16
; %bb.351:
	v_cmp_ne_u32_e32 vcc_lo, 0, v12
	v_cndmask_b32_e32 v12, 15, v12, vcc_lo
; %bb.352:
	s_andn2_saveexec_b32 s4, s4
	s_cbranch_execz .LBB120_358
; %bb.353:
	v_cmp_ngt_f64_e64 s16, |v[0:1]|, |v[2:3]|
	s_and_saveexec_b32 s17, s16
	s_xor_b32 s16, exec_lo, s17
	s_cbranch_execz .LBB120_355
; %bb.354:
	v_div_scale_f64 v[15:16], null, v[2:3], v[2:3], v[0:1]
	v_div_scale_f64 v[21:22], vcc_lo, v[0:1], v[2:3], v[0:1]
	v_rcp_f64_e32 v[17:18], v[15:16]
	v_fma_f64 v[19:20], -v[15:16], v[17:18], 1.0
	v_fma_f64 v[17:18], v[17:18], v[19:20], v[17:18]
	v_fma_f64 v[19:20], -v[15:16], v[17:18], 1.0
	v_fma_f64 v[17:18], v[17:18], v[19:20], v[17:18]
	v_mul_f64 v[19:20], v[21:22], v[17:18]
	v_fma_f64 v[15:16], -v[15:16], v[19:20], v[21:22]
	v_div_fmas_f64 v[15:16], v[15:16], v[17:18], v[19:20]
	v_div_fixup_f64 v[15:16], v[15:16], v[2:3], v[0:1]
	v_fma_f64 v[0:1], v[0:1], v[15:16], v[2:3]
	v_div_scale_f64 v[2:3], null, v[0:1], v[0:1], 1.0
	v_rcp_f64_e32 v[17:18], v[2:3]
	v_fma_f64 v[19:20], -v[2:3], v[17:18], 1.0
	v_fma_f64 v[17:18], v[17:18], v[19:20], v[17:18]
	v_fma_f64 v[19:20], -v[2:3], v[17:18], 1.0
	v_fma_f64 v[17:18], v[17:18], v[19:20], v[17:18]
	v_div_scale_f64 v[19:20], vcc_lo, 1.0, v[0:1], 1.0
	v_mul_f64 v[21:22], v[19:20], v[17:18]
	v_fma_f64 v[2:3], -v[2:3], v[21:22], v[19:20]
	v_div_fmas_f64 v[2:3], v[2:3], v[17:18], v[21:22]
	v_div_fixup_f64 v[2:3], v[2:3], v[0:1], 1.0
	v_mul_f64 v[0:1], v[15:16], v[2:3]
	v_xor_b32_e32 v3, 0x80000000, v3
.LBB120_355:
	s_andn2_saveexec_b32 s16, s16
	s_cbranch_execz .LBB120_357
; %bb.356:
	v_div_scale_f64 v[15:16], null, v[0:1], v[0:1], v[2:3]
	v_div_scale_f64 v[21:22], vcc_lo, v[2:3], v[0:1], v[2:3]
	v_rcp_f64_e32 v[17:18], v[15:16]
	v_fma_f64 v[19:20], -v[15:16], v[17:18], 1.0
	v_fma_f64 v[17:18], v[17:18], v[19:20], v[17:18]
	v_fma_f64 v[19:20], -v[15:16], v[17:18], 1.0
	v_fma_f64 v[17:18], v[17:18], v[19:20], v[17:18]
	v_mul_f64 v[19:20], v[21:22], v[17:18]
	v_fma_f64 v[15:16], -v[15:16], v[19:20], v[21:22]
	v_div_fmas_f64 v[15:16], v[15:16], v[17:18], v[19:20]
	v_div_fixup_f64 v[15:16], v[15:16], v[0:1], v[2:3]
	v_fma_f64 v[0:1], v[2:3], v[15:16], v[0:1]
	v_div_scale_f64 v[2:3], null, v[0:1], v[0:1], 1.0
	v_rcp_f64_e32 v[17:18], v[2:3]
	v_fma_f64 v[19:20], -v[2:3], v[17:18], 1.0
	v_fma_f64 v[17:18], v[17:18], v[19:20], v[17:18]
	v_fma_f64 v[19:20], -v[2:3], v[17:18], 1.0
	v_fma_f64 v[17:18], v[17:18], v[19:20], v[17:18]
	v_div_scale_f64 v[19:20], vcc_lo, 1.0, v[0:1], 1.0
	v_mul_f64 v[21:22], v[19:20], v[17:18]
	v_fma_f64 v[2:3], -v[2:3], v[21:22], v[19:20]
	v_div_fmas_f64 v[2:3], v[2:3], v[17:18], v[21:22]
	v_div_fixup_f64 v[0:1], v[2:3], v[0:1], 1.0
	v_mul_f64 v[2:3], v[15:16], -v[0:1]
.LBB120_357:
	s_or_b32 exec_lo, exec_lo, s16
.LBB120_358:
	s_or_b32 exec_lo, exec_lo, s4
	s_mov_b32 s4, exec_lo
	v_cmpx_ne_u32_e64 v14, v9
	s_xor_b32 s4, exec_lo, s4
	s_cbranch_execz .LBB120_364
; %bb.359:
	s_mov_b32 s16, exec_lo
	v_cmpx_eq_u32_e32 14, v14
	s_cbranch_execz .LBB120_363
; %bb.360:
	v_cmp_ne_u32_e32 vcc_lo, 14, v9
	s_xor_b32 s17, s20, -1
	s_and_b32 s57, s17, vcc_lo
	s_and_saveexec_b32 s17, s57
	s_cbranch_execz .LBB120_362
; %bb.361:
	v_ashrrev_i32_e32 v10, 31, v9
	v_lshlrev_b64 v[14:15], 2, v[9:10]
	v_add_co_u32 v14, vcc_lo, v7, v14
	v_add_co_ci_u32_e64 v15, null, v8, v15, vcc_lo
	s_clause 0x1
	global_load_dword v4, v[14:15], off
	global_load_dword v10, v[7:8], off offset:56
	s_waitcnt vmcnt(1)
	global_store_dword v[7:8], v4, off offset:56
	s_waitcnt vmcnt(0)
	global_store_dword v[14:15], v10, off
.LBB120_362:
	s_or_b32 exec_lo, exec_lo, s17
	v_mov_b32_e32 v14, v9
	v_mov_b32_e32 v10, v9
.LBB120_363:
	s_or_b32 exec_lo, exec_lo, s16
.LBB120_364:
	s_andn2_saveexec_b32 s4, s4
	s_cbranch_execz .LBB120_368
; %bb.365:
	s_movk_i32 s16, 0xf0
	.p2align	6
.LBB120_366:                            ; =>This Inner Loop Header: Depth=1
	v_mov_b32_e32 v4, s16
	s_clause 0x7
	buffer_load_dword v14, v4, s[0:3], 0 offen
	buffer_load_dword v15, v4, s[0:3], 0 offen offset:4
	buffer_load_dword v16, v4, s[0:3], 0 offen offset:8
	;; [unrolled: 1-line block ×7, first 2 shown]
	v_add_nc_u32_e32 v4, s16, v11
	s_add_i32 s16, s16, 32
	s_waitcnt vmcnt(4)
	ds_write2_b64 v4, v[14:15], v[16:17] offset1:1
	s_waitcnt vmcnt(0)
	ds_write2_b64 v4, v[18:19], v[20:21] offset0:2 offset1:3
	s_cmpk_eq_i32 s16, 0x3d0
	s_cbranch_scc0 .LBB120_366
; %bb.367:
	v_mov_b32_e32 v14, 14
.LBB120_368:
	s_or_b32 exec_lo, exec_lo, s4
	s_mov_b32 s4, exec_lo
	s_waitcnt lgkmcnt(0)
	s_waitcnt_vscnt null, 0x0
	s_barrier
	buffer_gl0_inv
	v_cmpx_lt_i32_e32 14, v14
	s_cbranch_execz .LBB120_371
; %bb.369:
	s_clause 0x3
	buffer_load_dword v15, off, s[0:3], 0 offset:232
	buffer_load_dword v16, off, s[0:3], 0 offset:236
	;; [unrolled: 1-line block ×4, first 2 shown]
	s_movk_i32 s16, 0xf0
	s_waitcnt vmcnt(2)
	v_mul_f64 v[19:20], v[2:3], v[15:16]
	v_mul_f64 v[15:16], v[0:1], v[15:16]
	s_waitcnt vmcnt(0)
	v_fma_f64 v[0:1], v[0:1], v[17:18], -v[19:20]
	v_fma_f64 v[2:3], v[2:3], v[17:18], v[15:16]
	buffer_store_dword v0, off, s[0:3], 0 offset:224
	buffer_store_dword v1, off, s[0:3], 0 offset:228
	;; [unrolled: 1-line block ×4, first 2 shown]
.LBB120_370:                            ; =>This Inner Loop Header: Depth=1
	s_clause 0x3
	buffer_load_dword v19, off, s[0:3], 0 offset:232
	buffer_load_dword v20, off, s[0:3], 0 offset:236
	;; [unrolled: 1-line block ×4, first 2 shown]
	v_mov_b32_e32 v4, s16
	v_add_nc_u32_e32 v9, s16, v11
	s_add_i32 s16, s16, 32
	s_clause 0x3
	buffer_load_dword v23, v4, s[0:3], 0 offen
	buffer_load_dword v24, v4, s[0:3], 0 offen offset:4
	buffer_load_dword v25, v4, s[0:3], 0 offen offset:8
	;; [unrolled: 1-line block ×3, first 2 shown]
	ds_read2_b64 v[0:3], v9 offset1:1
	ds_read2_b64 v[15:18], v9 offset0:2 offset1:3
	s_cmpk_lg_i32 s16, 0x3d0
	s_waitcnt vmcnt(6) lgkmcnt(1)
	v_mul_f64 v[27:28], v[2:3], v[19:20]
	v_mul_f64 v[19:20], v[0:1], v[19:20]
	s_waitcnt vmcnt(4)
	v_fma_f64 v[0:1], v[0:1], v[21:22], -v[27:28]
	v_fma_f64 v[2:3], v[2:3], v[21:22], v[19:20]
	s_clause 0x3
	buffer_load_dword v19, v4, s[0:3], 0 offen offset:16
	buffer_load_dword v20, v4, s[0:3], 0 offen offset:20
	;; [unrolled: 1-line block ×4, first 2 shown]
	s_waitcnt vmcnt(6)
	v_add_f64 v[0:1], v[23:24], -v[0:1]
	s_waitcnt vmcnt(4)
	v_add_f64 v[2:3], v[25:26], -v[2:3]
	buffer_store_dword v1, v4, s[0:3], 0 offen offset:4
	buffer_store_dword v0, v4, s[0:3], 0 offen
	buffer_store_dword v3, v4, s[0:3], 0 offen offset:12
	buffer_store_dword v2, v4, s[0:3], 0 offen offset:8
	s_clause 0x3
	buffer_load_dword v1, off, s[0:3], 0 offset:236
	buffer_load_dword v0, off, s[0:3], 0 offset:232
	;; [unrolled: 1-line block ×4, first 2 shown]
	s_waitcnt vmcnt(2) lgkmcnt(0)
	v_mul_f64 v[23:24], v[17:18], v[0:1]
	v_mul_f64 v[0:1], v[15:16], v[0:1]
	s_waitcnt vmcnt(0)
	v_fma_f64 v[15:16], v[15:16], v[2:3], -v[23:24]
	v_fma_f64 v[0:1], v[17:18], v[2:3], v[0:1]
	v_add_f64 v[2:3], v[19:20], -v[15:16]
	v_add_f64 v[0:1], v[21:22], -v[0:1]
	buffer_store_dword v3, v4, s[0:3], 0 offen offset:20
	buffer_store_dword v2, v4, s[0:3], 0 offen offset:16
	;; [unrolled: 1-line block ×4, first 2 shown]
	s_cbranch_scc1 .LBB120_370
.LBB120_371:
	s_or_b32 exec_lo, exec_lo, s4
	v_mov_b32_e32 v3, s66
	s_waitcnt_vscnt null, 0x0
	s_barrier
	buffer_gl0_inv
	v_lshl_add_u32 v4, v14, 4, v11
	s_clause 0x3
	buffer_load_dword v0, v3, s[0:3], 0 offen
	buffer_load_dword v1, v3, s[0:3], 0 offen offset:4
	buffer_load_dword v2, v3, s[0:3], 0 offen offset:8
	;; [unrolled: 1-line block ×3, first 2 shown]
	v_mov_b32_e32 v9, 15
	s_cmp_lt_i32 s56, 17
	s_waitcnt vmcnt(0)
	ds_write2_b64 v4, v[0:1], v[2:3] offset1:1
	s_waitcnt lgkmcnt(0)
	s_barrier
	buffer_gl0_inv
	ds_read2_b64 v[0:3], v11 offset0:30 offset1:31
	s_cbranch_scc1 .LBB120_374
; %bb.372:
	v_add3_u32 v4, v13, 0, 0x100
	v_mov_b32_e32 v9, 15
	s_mov_b32 s16, 16
	s_inst_prefetch 0x1
	.p2align	6
.LBB120_373:                            ; =>This Inner Loop Header: Depth=1
	s_waitcnt lgkmcnt(0)
	v_cmp_gt_f64_e32 vcc_lo, 0, v[2:3]
	v_cmp_gt_f64_e64 s4, 0, v[0:1]
	ds_read2_b64 v[15:18], v4 offset1:1
	v_xor_b32_e32 v20, 0x80000000, v1
	v_xor_b32_e32 v22, 0x80000000, v3
	v_mov_b32_e32 v19, v0
	v_mov_b32_e32 v21, v2
	v_add_nc_u32_e32 v4, 16, v4
	s_waitcnt lgkmcnt(0)
	v_xor_b32_e32 v24, 0x80000000, v18
	v_cndmask_b32_e64 v20, v1, v20, s4
	v_cndmask_b32_e32 v22, v3, v22, vcc_lo
	v_cmp_gt_f64_e32 vcc_lo, 0, v[17:18]
	v_cmp_gt_f64_e64 s4, 0, v[15:16]
	v_mov_b32_e32 v23, v17
	v_add_f64 v[19:20], v[19:20], v[21:22]
	v_xor_b32_e32 v22, 0x80000000, v16
	v_mov_b32_e32 v21, v15
	v_cndmask_b32_e32 v24, v18, v24, vcc_lo
	v_cndmask_b32_e64 v22, v16, v22, s4
	v_add_f64 v[21:22], v[21:22], v[23:24]
	v_cmp_lt_f64_e32 vcc_lo, v[19:20], v[21:22]
	v_cndmask_b32_e32 v1, v1, v16, vcc_lo
	v_cndmask_b32_e32 v0, v0, v15, vcc_lo
	v_cndmask_b32_e32 v3, v3, v18, vcc_lo
	v_cndmask_b32_e32 v2, v2, v17, vcc_lo
	v_cndmask_b32_e64 v9, v9, s16, vcc_lo
	s_add_i32 s16, s16, 1
	s_cmp_lg_u32 s56, s16
	s_cbranch_scc1 .LBB120_373
.LBB120_374:
	s_inst_prefetch 0x2
	s_waitcnt lgkmcnt(0)
	v_cmp_eq_f64_e32 vcc_lo, 0, v[0:1]
	v_cmp_eq_f64_e64 s4, 0, v[2:3]
	s_and_b32 s4, vcc_lo, s4
	s_and_saveexec_b32 s16, s4
	s_xor_b32 s4, exec_lo, s16
; %bb.375:
	v_cmp_ne_u32_e32 vcc_lo, 0, v12
	v_cndmask_b32_e32 v12, 16, v12, vcc_lo
; %bb.376:
	s_andn2_saveexec_b32 s4, s4
	s_cbranch_execz .LBB120_382
; %bb.377:
	v_cmp_ngt_f64_e64 s16, |v[0:1]|, |v[2:3]|
	s_and_saveexec_b32 s17, s16
	s_xor_b32 s16, exec_lo, s17
	s_cbranch_execz .LBB120_379
; %bb.378:
	v_div_scale_f64 v[15:16], null, v[2:3], v[2:3], v[0:1]
	v_div_scale_f64 v[21:22], vcc_lo, v[0:1], v[2:3], v[0:1]
	v_rcp_f64_e32 v[17:18], v[15:16]
	v_fma_f64 v[19:20], -v[15:16], v[17:18], 1.0
	v_fma_f64 v[17:18], v[17:18], v[19:20], v[17:18]
	v_fma_f64 v[19:20], -v[15:16], v[17:18], 1.0
	v_fma_f64 v[17:18], v[17:18], v[19:20], v[17:18]
	v_mul_f64 v[19:20], v[21:22], v[17:18]
	v_fma_f64 v[15:16], -v[15:16], v[19:20], v[21:22]
	v_div_fmas_f64 v[15:16], v[15:16], v[17:18], v[19:20]
	v_div_fixup_f64 v[15:16], v[15:16], v[2:3], v[0:1]
	v_fma_f64 v[0:1], v[0:1], v[15:16], v[2:3]
	v_div_scale_f64 v[2:3], null, v[0:1], v[0:1], 1.0
	v_rcp_f64_e32 v[17:18], v[2:3]
	v_fma_f64 v[19:20], -v[2:3], v[17:18], 1.0
	v_fma_f64 v[17:18], v[17:18], v[19:20], v[17:18]
	v_fma_f64 v[19:20], -v[2:3], v[17:18], 1.0
	v_fma_f64 v[17:18], v[17:18], v[19:20], v[17:18]
	v_div_scale_f64 v[19:20], vcc_lo, 1.0, v[0:1], 1.0
	v_mul_f64 v[21:22], v[19:20], v[17:18]
	v_fma_f64 v[2:3], -v[2:3], v[21:22], v[19:20]
	v_div_fmas_f64 v[2:3], v[2:3], v[17:18], v[21:22]
	v_div_fixup_f64 v[2:3], v[2:3], v[0:1], 1.0
	v_mul_f64 v[0:1], v[15:16], v[2:3]
	v_xor_b32_e32 v3, 0x80000000, v3
.LBB120_379:
	s_andn2_saveexec_b32 s16, s16
	s_cbranch_execz .LBB120_381
; %bb.380:
	v_div_scale_f64 v[15:16], null, v[0:1], v[0:1], v[2:3]
	v_div_scale_f64 v[21:22], vcc_lo, v[2:3], v[0:1], v[2:3]
	v_rcp_f64_e32 v[17:18], v[15:16]
	v_fma_f64 v[19:20], -v[15:16], v[17:18], 1.0
	v_fma_f64 v[17:18], v[17:18], v[19:20], v[17:18]
	v_fma_f64 v[19:20], -v[15:16], v[17:18], 1.0
	v_fma_f64 v[17:18], v[17:18], v[19:20], v[17:18]
	v_mul_f64 v[19:20], v[21:22], v[17:18]
	v_fma_f64 v[15:16], -v[15:16], v[19:20], v[21:22]
	v_div_fmas_f64 v[15:16], v[15:16], v[17:18], v[19:20]
	v_div_fixup_f64 v[15:16], v[15:16], v[0:1], v[2:3]
	v_fma_f64 v[0:1], v[2:3], v[15:16], v[0:1]
	v_div_scale_f64 v[2:3], null, v[0:1], v[0:1], 1.0
	v_rcp_f64_e32 v[17:18], v[2:3]
	v_fma_f64 v[19:20], -v[2:3], v[17:18], 1.0
	v_fma_f64 v[17:18], v[17:18], v[19:20], v[17:18]
	v_fma_f64 v[19:20], -v[2:3], v[17:18], 1.0
	v_fma_f64 v[17:18], v[17:18], v[19:20], v[17:18]
	v_div_scale_f64 v[19:20], vcc_lo, 1.0, v[0:1], 1.0
	v_mul_f64 v[21:22], v[19:20], v[17:18]
	v_fma_f64 v[2:3], -v[2:3], v[21:22], v[19:20]
	v_div_fmas_f64 v[2:3], v[2:3], v[17:18], v[21:22]
	v_div_fixup_f64 v[0:1], v[2:3], v[0:1], 1.0
	v_mul_f64 v[2:3], v[15:16], -v[0:1]
.LBB120_381:
	s_or_b32 exec_lo, exec_lo, s16
.LBB120_382:
	s_or_b32 exec_lo, exec_lo, s4
	s_mov_b32 s4, exec_lo
	v_cmpx_ne_u32_e64 v14, v9
	s_xor_b32 s4, exec_lo, s4
	s_cbranch_execz .LBB120_388
; %bb.383:
	s_mov_b32 s16, exec_lo
	v_cmpx_eq_u32_e32 15, v14
	s_cbranch_execz .LBB120_387
; %bb.384:
	v_cmp_ne_u32_e32 vcc_lo, 15, v9
	s_xor_b32 s17, s20, -1
	s_and_b32 s57, s17, vcc_lo
	s_and_saveexec_b32 s17, s57
	s_cbranch_execz .LBB120_386
; %bb.385:
	v_ashrrev_i32_e32 v10, 31, v9
	v_lshlrev_b64 v[14:15], 2, v[9:10]
	v_add_co_u32 v14, vcc_lo, v7, v14
	v_add_co_ci_u32_e64 v15, null, v8, v15, vcc_lo
	s_clause 0x1
	global_load_dword v4, v[14:15], off
	global_load_dword v10, v[7:8], off offset:60
	s_waitcnt vmcnt(1)
	global_store_dword v[7:8], v4, off offset:60
	s_waitcnt vmcnt(0)
	global_store_dword v[14:15], v10, off
.LBB120_386:
	s_or_b32 exec_lo, exec_lo, s17
	v_mov_b32_e32 v14, v9
	v_mov_b32_e32 v10, v9
.LBB120_387:
	s_or_b32 exec_lo, exec_lo, s16
.LBB120_388:
	s_andn2_saveexec_b32 s4, s4
	s_cbranch_execz .LBB120_392
; %bb.389:
	s_movk_i32 s80, 0x100
.LBB120_390:                            ; =>This Inner Loop Header: Depth=1
	v_mov_b32_e32 v4, s80
	s_clause 0x3b
	buffer_load_dword v14, v4, s[0:3], 0 offen
	buffer_load_dword v15, v4, s[0:3], 0 offen offset:4
	buffer_load_dword v16, v4, s[0:3], 0 offen offset:8
	buffer_load_dword v17, v4, s[0:3], 0 offen offset:12
	buffer_load_dword v18, v4, s[0:3], 0 offen offset:16
	buffer_load_dword v19, v4, s[0:3], 0 offen offset:20
	buffer_load_dword v20, v4, s[0:3], 0 offen offset:24
	buffer_load_dword v21, v4, s[0:3], 0 offen offset:28
	buffer_load_dword v22, v4, s[0:3], 0 offen offset:32
	buffer_load_dword v23, v4, s[0:3], 0 offen offset:36
	buffer_load_dword v24, v4, s[0:3], 0 offen offset:40
	buffer_load_dword v25, v4, s[0:3], 0 offen offset:44
	buffer_load_dword v26, v4, s[0:3], 0 offen offset:48
	buffer_load_dword v27, v4, s[0:3], 0 offen offset:52
	buffer_load_dword v28, v4, s[0:3], 0 offen offset:56
	buffer_load_dword v29, v4, s[0:3], 0 offen offset:60
	buffer_load_dword v31, v4, s[0:3], 0 offen offset:76
	buffer_load_dword v33, v4, s[0:3], 0 offen offset:92
	buffer_load_dword v32, v4, s[0:3], 0 offen offset:88
	buffer_load_dword v35, v4, s[0:3], 0 offen offset:84
	buffer_load_dword v34, v4, s[0:3], 0 offen offset:80
	buffer_load_dword v30, v4, s[0:3], 0 offen offset:72
	buffer_load_dword v37, v4, s[0:3], 0 offen offset:68
	buffer_load_dword v36, v4, s[0:3], 0 offen offset:64
	buffer_load_dword v39, v4, s[0:3], 0 offen offset:108
	buffer_load_dword v41, v4, s[0:3], 0 offen offset:124
	buffer_load_dword v40, v4, s[0:3], 0 offen offset:120
	buffer_load_dword v43, v4, s[0:3], 0 offen offset:116
	buffer_load_dword v42, v4, s[0:3], 0 offen offset:112
	buffer_load_dword v38, v4, s[0:3], 0 offen offset:104
	buffer_load_dword v45, v4, s[0:3], 0 offen offset:100
	buffer_load_dword v44, v4, s[0:3], 0 offen offset:96
	buffer_load_dword v46, v4, s[0:3], 0 offen offset:128
	buffer_load_dword v47, v4, s[0:3], 0 offen offset:132
	buffer_load_dword v48, v4, s[0:3], 0 offen offset:136
	buffer_load_dword v49, v4, s[0:3], 0 offen offset:140
	buffer_load_dword v50, v4, s[0:3], 0 offen offset:144
	buffer_load_dword v51, v4, s[0:3], 0 offen offset:148
	buffer_load_dword v52, v4, s[0:3], 0 offen offset:152
	buffer_load_dword v53, v4, s[0:3], 0 offen offset:156
	buffer_load_dword v54, v4, s[0:3], 0 offen offset:160
	buffer_load_dword v55, v4, s[0:3], 0 offen offset:164
	buffer_load_dword v56, v4, s[0:3], 0 offen offset:168
	buffer_load_dword v57, v4, s[0:3], 0 offen offset:172
	buffer_load_dword v58, v4, s[0:3], 0 offen offset:176
	buffer_load_dword v59, v4, s[0:3], 0 offen offset:180
	buffer_load_dword v60, v4, s[0:3], 0 offen offset:184
	buffer_load_dword v61, v4, s[0:3], 0 offen offset:188
	buffer_load_dword v62, v4, s[0:3], 0 offen offset:192
	buffer_load_dword v63, v4, s[0:3], 0 offen offset:196
	buffer_load_dword v64, v4, s[0:3], 0 offen offset:200
	buffer_load_dword v65, v4, s[0:3], 0 offen offset:204
	buffer_load_dword v66, v4, s[0:3], 0 offen offset:208
	buffer_load_dword v67, v4, s[0:3], 0 offen offset:212
	buffer_load_dword v68, v4, s[0:3], 0 offen offset:216
	buffer_load_dword v69, v4, s[0:3], 0 offen offset:220
	buffer_load_dword v70, v4, s[0:3], 0 offen offset:224
	buffer_load_dword v71, v4, s[0:3], 0 offen offset:228
	buffer_load_dword v72, v4, s[0:3], 0 offen offset:232
	buffer_load_dword v73, v4, s[0:3], 0 offen offset:236
	v_add_nc_u32_e32 v4, s80, v11
	s_addk_i32 s80, 0xf0
	s_waitcnt vmcnt(56)
	ds_write2_b64 v4, v[14:15], v[16:17] offset1:1
	s_waitcnt vmcnt(52)
	ds_write2_b64 v4, v[18:19], v[20:21] offset0:2 offset1:3
	s_waitcnt vmcnt(48)
	ds_write2_b64 v4, v[22:23], v[24:25] offset0:4 offset1:5
	;; [unrolled: 2-line block ×4, first 2 shown]
	ds_write2_b64 v4, v[34:35], v[32:33] offset0:10 offset1:11
	s_waitcnt vmcnt(28)
	ds_write2_b64 v4, v[44:45], v[38:39] offset0:12 offset1:13
	ds_write2_b64 v4, v[42:43], v[40:41] offset0:14 offset1:15
	s_waitcnt vmcnt(24)
	ds_write2_b64 v4, v[46:47], v[48:49] offset0:16 offset1:17
	s_waitcnt vmcnt(20)
	;; [unrolled: 2-line block ×7, first 2 shown]
	ds_write2_b64 v4, v[70:71], v[72:73] offset0:28 offset1:29
	s_cmpk_eq_i32 s80, 0x3d0
	s_cbranch_scc0 .LBB120_390
; %bb.391:
	v_mov_b32_e32 v14, 15
.LBB120_392:
	s_or_b32 exec_lo, exec_lo, s4
	s_mov_b32 s4, exec_lo
	s_waitcnt lgkmcnt(0)
	s_waitcnt_vscnt null, 0x0
	s_barrier
	buffer_gl0_inv
	v_cmpx_lt_i32_e32 15, v14
	s_cbranch_execz .LBB120_395
; %bb.393:
	s_clause 0x3
	buffer_load_dword v15, off, s[0:3], 0 offset:248
	buffer_load_dword v16, off, s[0:3], 0 offset:252
	;; [unrolled: 1-line block ×4, first 2 shown]
	s_movk_i32 s80, 0x100
	s_waitcnt vmcnt(2)
	v_mul_f64 v[19:20], v[2:3], v[15:16]
	v_mul_f64 v[15:16], v[0:1], v[15:16]
	s_waitcnt vmcnt(0)
	v_fma_f64 v[0:1], v[0:1], v[17:18], -v[19:20]
	v_fma_f64 v[2:3], v[2:3], v[17:18], v[15:16]
	buffer_store_dword v0, off, s[0:3], 0 offset:240
	buffer_store_dword v1, off, s[0:3], 0 offset:244
	;; [unrolled: 1-line block ×4, first 2 shown]
.LBB120_394:                            ; =>This Inner Loop Header: Depth=1
	s_clause 0x3
	buffer_load_dword v19, off, s[0:3], 0 offset:248
	buffer_load_dword v20, off, s[0:3], 0 offset:252
	;; [unrolled: 1-line block ×4, first 2 shown]
	v_mov_b32_e32 v4, s80
	v_add_nc_u32_e32 v9, s80, v11
	s_addk_i32 s80, 0x50
	s_clause 0x3
	buffer_load_dword v23, v4, s[0:3], 0 offen
	buffer_load_dword v24, v4, s[0:3], 0 offen offset:4
	buffer_load_dword v25, v4, s[0:3], 0 offen offset:8
	;; [unrolled: 1-line block ×3, first 2 shown]
	ds_read2_b64 v[0:3], v9 offset1:1
	ds_read2_b64 v[15:18], v9 offset0:2 offset1:3
	s_cmpk_lg_i32 s80, 0x3d0
	s_waitcnt vmcnt(6) lgkmcnt(1)
	v_mul_f64 v[27:28], v[2:3], v[19:20]
	v_mul_f64 v[19:20], v[0:1], v[19:20]
	s_waitcnt vmcnt(4)
	v_fma_f64 v[0:1], v[0:1], v[21:22], -v[27:28]
	v_fma_f64 v[2:3], v[2:3], v[21:22], v[19:20]
	s_clause 0x3
	buffer_load_dword v19, v4, s[0:3], 0 offen offset:16
	buffer_load_dword v20, v4, s[0:3], 0 offen offset:20
	;; [unrolled: 1-line block ×4, first 2 shown]
	s_waitcnt vmcnt(6)
	v_add_f64 v[0:1], v[23:24], -v[0:1]
	s_waitcnt vmcnt(4)
	v_add_f64 v[2:3], v[25:26], -v[2:3]
	buffer_store_dword v1, v4, s[0:3], 0 offen offset:4
	buffer_store_dword v0, v4, s[0:3], 0 offen
	buffer_store_dword v3, v4, s[0:3], 0 offen offset:12
	buffer_store_dword v2, v4, s[0:3], 0 offen offset:8
	s_clause 0x3
	buffer_load_dword v1, off, s[0:3], 0 offset:252
	buffer_load_dword v0, off, s[0:3], 0 offset:248
	;; [unrolled: 1-line block ×4, first 2 shown]
	s_waitcnt vmcnt(2) lgkmcnt(0)
	v_mul_f64 v[23:24], v[17:18], v[0:1]
	v_mul_f64 v[0:1], v[15:16], v[0:1]
	s_waitcnt vmcnt(0)
	v_fma_f64 v[15:16], v[15:16], v[2:3], -v[23:24]
	v_fma_f64 v[0:1], v[17:18], v[2:3], v[0:1]
	v_add_f64 v[2:3], v[19:20], -v[15:16]
	v_add_f64 v[0:1], v[21:22], -v[0:1]
	s_clause 0x3
	buffer_load_dword v19, v4, s[0:3], 0 offen offset:32
	buffer_load_dword v20, v4, s[0:3], 0 offen offset:36
	;; [unrolled: 1-line block ×4, first 2 shown]
	buffer_store_dword v3, v4, s[0:3], 0 offen offset:20
	buffer_store_dword v2, v4, s[0:3], 0 offen offset:16
	;; [unrolled: 1-line block ×4, first 2 shown]
	s_clause 0x3
	buffer_load_dword v23, off, s[0:3], 0 offset:248
	buffer_load_dword v24, off, s[0:3], 0 offset:252
	;; [unrolled: 1-line block ×4, first 2 shown]
	ds_read2_b64 v[0:3], v9 offset0:4 offset1:5
	ds_read2_b64 v[15:18], v9 offset0:6 offset1:7
	s_waitcnt vmcnt(2) lgkmcnt(1)
	v_mul_f64 v[27:28], v[2:3], v[23:24]
	v_mul_f64 v[23:24], v[0:1], v[23:24]
	s_waitcnt vmcnt(0)
	v_fma_f64 v[0:1], v[0:1], v[25:26], -v[27:28]
	v_fma_f64 v[2:3], v[2:3], v[25:26], v[23:24]
	v_add_f64 v[0:1], v[19:20], -v[0:1]
	v_add_f64 v[2:3], v[21:22], -v[2:3]
	buffer_store_dword v1, v4, s[0:3], 0 offen offset:36
	buffer_store_dword v0, v4, s[0:3], 0 offen offset:32
	;; [unrolled: 1-line block ×4, first 2 shown]
	s_clause 0x7
	buffer_load_dword v0, off, s[0:3], 0 offset:248
	buffer_load_dword v1, off, s[0:3], 0 offset:252
	;; [unrolled: 1-line block ×4, first 2 shown]
	buffer_load_dword v19, v4, s[0:3], 0 offen offset:48
	buffer_load_dword v20, v4, s[0:3], 0 offen offset:52
	;; [unrolled: 1-line block ×4, first 2 shown]
	s_waitcnt vmcnt(6) lgkmcnt(0)
	v_mul_f64 v[23:24], v[17:18], v[0:1]
	v_mul_f64 v[0:1], v[15:16], v[0:1]
	s_waitcnt vmcnt(4)
	v_fma_f64 v[15:16], v[15:16], v[2:3], -v[23:24]
	v_fma_f64 v[0:1], v[17:18], v[2:3], v[0:1]
	s_waitcnt vmcnt(2)
	v_add_f64 v[2:3], v[19:20], -v[15:16]
	s_waitcnt vmcnt(0)
	v_add_f64 v[0:1], v[21:22], -v[0:1]
	buffer_store_dword v3, v4, s[0:3], 0 offen offset:52
	buffer_store_dword v2, v4, s[0:3], 0 offen offset:48
	;; [unrolled: 1-line block ×4, first 2 shown]
	s_clause 0x7
	buffer_load_dword v15, off, s[0:3], 0 offset:248
	buffer_load_dword v16, off, s[0:3], 0 offset:252
	;; [unrolled: 1-line block ×4, first 2 shown]
	buffer_load_dword v19, v4, s[0:3], 0 offen offset:64
	buffer_load_dword v20, v4, s[0:3], 0 offen offset:68
	;; [unrolled: 1-line block ×4, first 2 shown]
	ds_read2_b64 v[0:3], v9 offset0:8 offset1:9
	s_waitcnt vmcnt(6) lgkmcnt(0)
	v_mul_f64 v[23:24], v[2:3], v[15:16]
	v_mul_f64 v[15:16], v[0:1], v[15:16]
	s_waitcnt vmcnt(4)
	v_fma_f64 v[0:1], v[0:1], v[17:18], -v[23:24]
	v_fma_f64 v[2:3], v[2:3], v[17:18], v[15:16]
	s_waitcnt vmcnt(2)
	v_add_f64 v[0:1], v[19:20], -v[0:1]
	s_waitcnt vmcnt(0)
	v_add_f64 v[2:3], v[21:22], -v[2:3]
	buffer_store_dword v1, v4, s[0:3], 0 offen offset:68
	buffer_store_dword v0, v4, s[0:3], 0 offen offset:64
	;; [unrolled: 1-line block ×4, first 2 shown]
	s_cbranch_scc1 .LBB120_394
.LBB120_395:
	s_or_b32 exec_lo, exec_lo, s4
	v_mov_b32_e32 v3, s65
	s_waitcnt_vscnt null, 0x0
	s_barrier
	buffer_gl0_inv
	v_lshl_add_u32 v4, v14, 4, v11
	s_clause 0x3
	buffer_load_dword v0, v3, s[0:3], 0 offen
	buffer_load_dword v1, v3, s[0:3], 0 offen offset:4
	buffer_load_dword v2, v3, s[0:3], 0 offen offset:8
	buffer_load_dword v3, v3, s[0:3], 0 offen offset:12
	v_mov_b32_e32 v9, 16
	s_cmp_lt_i32 s56, 18
	s_waitcnt vmcnt(0)
	ds_write2_b64 v4, v[0:1], v[2:3] offset1:1
	s_waitcnt lgkmcnt(0)
	s_barrier
	buffer_gl0_inv
	ds_read2_b64 v[0:3], v11 offset0:32 offset1:33
	s_cbranch_scc1 .LBB120_398
; %bb.396:
	v_add3_u32 v4, v13, 0, 0x110
	v_mov_b32_e32 v9, 16
	s_mov_b32 s16, 17
	s_inst_prefetch 0x1
	.p2align	6
.LBB120_397:                            ; =>This Inner Loop Header: Depth=1
	s_waitcnt lgkmcnt(0)
	v_cmp_gt_f64_e32 vcc_lo, 0, v[2:3]
	v_cmp_gt_f64_e64 s4, 0, v[0:1]
	ds_read2_b64 v[15:18], v4 offset1:1
	v_xor_b32_e32 v20, 0x80000000, v1
	v_xor_b32_e32 v22, 0x80000000, v3
	v_mov_b32_e32 v19, v0
	v_mov_b32_e32 v21, v2
	v_add_nc_u32_e32 v4, 16, v4
	s_waitcnt lgkmcnt(0)
	v_xor_b32_e32 v24, 0x80000000, v18
	v_cndmask_b32_e64 v20, v1, v20, s4
	v_cndmask_b32_e32 v22, v3, v22, vcc_lo
	v_cmp_gt_f64_e32 vcc_lo, 0, v[17:18]
	v_cmp_gt_f64_e64 s4, 0, v[15:16]
	v_mov_b32_e32 v23, v17
	v_add_f64 v[19:20], v[19:20], v[21:22]
	v_xor_b32_e32 v22, 0x80000000, v16
	v_mov_b32_e32 v21, v15
	v_cndmask_b32_e32 v24, v18, v24, vcc_lo
	v_cndmask_b32_e64 v22, v16, v22, s4
	v_add_f64 v[21:22], v[21:22], v[23:24]
	v_cmp_lt_f64_e32 vcc_lo, v[19:20], v[21:22]
	v_cndmask_b32_e32 v1, v1, v16, vcc_lo
	v_cndmask_b32_e32 v0, v0, v15, vcc_lo
	;; [unrolled: 1-line block ×4, first 2 shown]
	v_cndmask_b32_e64 v9, v9, s16, vcc_lo
	s_add_i32 s16, s16, 1
	s_cmp_lg_u32 s56, s16
	s_cbranch_scc1 .LBB120_397
.LBB120_398:
	s_inst_prefetch 0x2
	s_waitcnt lgkmcnt(0)
	v_cmp_eq_f64_e32 vcc_lo, 0, v[0:1]
	v_cmp_eq_f64_e64 s4, 0, v[2:3]
	s_and_b32 s4, vcc_lo, s4
	s_and_saveexec_b32 s16, s4
	s_xor_b32 s4, exec_lo, s16
; %bb.399:
	v_cmp_ne_u32_e32 vcc_lo, 0, v12
	v_cndmask_b32_e32 v12, 17, v12, vcc_lo
; %bb.400:
	s_andn2_saveexec_b32 s4, s4
	s_cbranch_execz .LBB120_406
; %bb.401:
	v_cmp_ngt_f64_e64 s16, |v[0:1]|, |v[2:3]|
	s_and_saveexec_b32 s17, s16
	s_xor_b32 s16, exec_lo, s17
	s_cbranch_execz .LBB120_403
; %bb.402:
	v_div_scale_f64 v[15:16], null, v[2:3], v[2:3], v[0:1]
	v_div_scale_f64 v[21:22], vcc_lo, v[0:1], v[2:3], v[0:1]
	v_rcp_f64_e32 v[17:18], v[15:16]
	v_fma_f64 v[19:20], -v[15:16], v[17:18], 1.0
	v_fma_f64 v[17:18], v[17:18], v[19:20], v[17:18]
	v_fma_f64 v[19:20], -v[15:16], v[17:18], 1.0
	v_fma_f64 v[17:18], v[17:18], v[19:20], v[17:18]
	v_mul_f64 v[19:20], v[21:22], v[17:18]
	v_fma_f64 v[15:16], -v[15:16], v[19:20], v[21:22]
	v_div_fmas_f64 v[15:16], v[15:16], v[17:18], v[19:20]
	v_div_fixup_f64 v[15:16], v[15:16], v[2:3], v[0:1]
	v_fma_f64 v[0:1], v[0:1], v[15:16], v[2:3]
	v_div_scale_f64 v[2:3], null, v[0:1], v[0:1], 1.0
	v_rcp_f64_e32 v[17:18], v[2:3]
	v_fma_f64 v[19:20], -v[2:3], v[17:18], 1.0
	v_fma_f64 v[17:18], v[17:18], v[19:20], v[17:18]
	v_fma_f64 v[19:20], -v[2:3], v[17:18], 1.0
	v_fma_f64 v[17:18], v[17:18], v[19:20], v[17:18]
	v_div_scale_f64 v[19:20], vcc_lo, 1.0, v[0:1], 1.0
	v_mul_f64 v[21:22], v[19:20], v[17:18]
	v_fma_f64 v[2:3], -v[2:3], v[21:22], v[19:20]
	v_div_fmas_f64 v[2:3], v[2:3], v[17:18], v[21:22]
	v_div_fixup_f64 v[2:3], v[2:3], v[0:1], 1.0
	v_mul_f64 v[0:1], v[15:16], v[2:3]
	v_xor_b32_e32 v3, 0x80000000, v3
.LBB120_403:
	s_andn2_saveexec_b32 s16, s16
	s_cbranch_execz .LBB120_405
; %bb.404:
	v_div_scale_f64 v[15:16], null, v[0:1], v[0:1], v[2:3]
	v_div_scale_f64 v[21:22], vcc_lo, v[2:3], v[0:1], v[2:3]
	v_rcp_f64_e32 v[17:18], v[15:16]
	v_fma_f64 v[19:20], -v[15:16], v[17:18], 1.0
	v_fma_f64 v[17:18], v[17:18], v[19:20], v[17:18]
	v_fma_f64 v[19:20], -v[15:16], v[17:18], 1.0
	v_fma_f64 v[17:18], v[17:18], v[19:20], v[17:18]
	v_mul_f64 v[19:20], v[21:22], v[17:18]
	v_fma_f64 v[15:16], -v[15:16], v[19:20], v[21:22]
	v_div_fmas_f64 v[15:16], v[15:16], v[17:18], v[19:20]
	v_div_fixup_f64 v[15:16], v[15:16], v[0:1], v[2:3]
	v_fma_f64 v[0:1], v[2:3], v[15:16], v[0:1]
	v_div_scale_f64 v[2:3], null, v[0:1], v[0:1], 1.0
	v_rcp_f64_e32 v[17:18], v[2:3]
	v_fma_f64 v[19:20], -v[2:3], v[17:18], 1.0
	v_fma_f64 v[17:18], v[17:18], v[19:20], v[17:18]
	v_fma_f64 v[19:20], -v[2:3], v[17:18], 1.0
	v_fma_f64 v[17:18], v[17:18], v[19:20], v[17:18]
	v_div_scale_f64 v[19:20], vcc_lo, 1.0, v[0:1], 1.0
	v_mul_f64 v[21:22], v[19:20], v[17:18]
	v_fma_f64 v[2:3], -v[2:3], v[21:22], v[19:20]
	v_div_fmas_f64 v[2:3], v[2:3], v[17:18], v[21:22]
	v_div_fixup_f64 v[0:1], v[2:3], v[0:1], 1.0
	v_mul_f64 v[2:3], v[15:16], -v[0:1]
.LBB120_405:
	s_or_b32 exec_lo, exec_lo, s16
.LBB120_406:
	s_or_b32 exec_lo, exec_lo, s4
	s_mov_b32 s4, exec_lo
	v_cmpx_ne_u32_e64 v14, v9
	s_xor_b32 s4, exec_lo, s4
	s_cbranch_execz .LBB120_412
; %bb.407:
	s_mov_b32 s16, exec_lo
	v_cmpx_eq_u32_e32 16, v14
	s_cbranch_execz .LBB120_411
; %bb.408:
	v_cmp_ne_u32_e32 vcc_lo, 16, v9
	s_xor_b32 s17, s20, -1
	s_and_b32 s57, s17, vcc_lo
	s_and_saveexec_b32 s17, s57
	s_cbranch_execz .LBB120_410
; %bb.409:
	v_ashrrev_i32_e32 v10, 31, v9
	v_lshlrev_b64 v[14:15], 2, v[9:10]
	v_add_co_u32 v14, vcc_lo, v7, v14
	v_add_co_ci_u32_e64 v15, null, v8, v15, vcc_lo
	s_clause 0x1
	global_load_dword v4, v[14:15], off
	global_load_dword v10, v[7:8], off offset:64
	s_waitcnt vmcnt(1)
	global_store_dword v[7:8], v4, off offset:64
	s_waitcnt vmcnt(0)
	global_store_dword v[14:15], v10, off
.LBB120_410:
	s_or_b32 exec_lo, exec_lo, s17
	v_mov_b32_e32 v14, v9
	v_mov_b32_e32 v10, v9
.LBB120_411:
	s_or_b32 exec_lo, exec_lo, s16
.LBB120_412:
	s_andn2_saveexec_b32 s4, s4
	s_cbranch_execz .LBB120_416
; %bb.413:
	s_movk_i32 s16, 0x110
.LBB120_414:                            ; =>This Inner Loop Header: Depth=1
	v_mov_b32_e32 v4, s16
	s_clause 0x2b
	buffer_load_dword v14, v4, s[0:3], 0 offen
	buffer_load_dword v15, v4, s[0:3], 0 offen offset:4
	buffer_load_dword v16, v4, s[0:3], 0 offen offset:8
	;; [unrolled: 1-line block ×43, first 2 shown]
	v_add_nc_u32_e32 v4, s16, v11
	s_addk_i32 s16, 0xb0
	s_waitcnt vmcnt(40)
	ds_write2_b64 v4, v[14:15], v[16:17] offset1:1
	s_waitcnt vmcnt(36)
	ds_write2_b64 v4, v[18:19], v[20:21] offset0:2 offset1:3
	s_waitcnt vmcnt(32)
	ds_write2_b64 v4, v[22:23], v[24:25] offset0:4 offset1:5
	s_waitcnt vmcnt(28)
	ds_write2_b64 v4, v[26:27], v[28:29] offset0:6 offset1:7
	s_waitcnt vmcnt(20)
	ds_write2_b64 v4, v[36:37], v[30:31] offset0:8 offset1:9
	ds_write2_b64 v4, v[34:35], v[32:33] offset0:10 offset1:11
	s_waitcnt vmcnt(12)
	ds_write2_b64 v4, v[44:45], v[38:39] offset0:12 offset1:13
	ds_write2_b64 v4, v[42:43], v[40:41] offset0:14 offset1:15
	s_waitcnt vmcnt(8)
	ds_write2_b64 v4, v[46:47], v[48:49] offset0:16 offset1:17
	s_waitcnt vmcnt(4)
	;; [unrolled: 2-line block ×3, first 2 shown]
	ds_write2_b64 v4, v[54:55], v[56:57] offset0:20 offset1:21
	s_cmpk_eq_i32 s16, 0x3d0
	s_cbranch_scc0 .LBB120_414
; %bb.415:
	v_mov_b32_e32 v14, 16
.LBB120_416:
	s_or_b32 exec_lo, exec_lo, s4
	s_mov_b32 s4, exec_lo
	s_waitcnt lgkmcnt(0)
	s_waitcnt_vscnt null, 0x0
	s_barrier
	buffer_gl0_inv
	v_cmpx_lt_i32_e32 16, v14
	s_cbranch_execz .LBB120_419
; %bb.417:
	s_clause 0x3
	buffer_load_dword v15, off, s[0:3], 0 offset:264
	buffer_load_dword v16, off, s[0:3], 0 offset:268
	;; [unrolled: 1-line block ×4, first 2 shown]
	s_movk_i32 s80, 0x110
	s_waitcnt vmcnt(2)
	v_mul_f64 v[19:20], v[2:3], v[15:16]
	v_mul_f64 v[15:16], v[0:1], v[15:16]
	s_waitcnt vmcnt(0)
	v_fma_f64 v[0:1], v[0:1], v[17:18], -v[19:20]
	v_fma_f64 v[2:3], v[2:3], v[17:18], v[15:16]
	buffer_store_dword v0, off, s[0:3], 0 offset:256
	buffer_store_dword v1, off, s[0:3], 0 offset:260
	;; [unrolled: 1-line block ×4, first 2 shown]
.LBB120_418:                            ; =>This Inner Loop Header: Depth=1
	s_clause 0x3
	buffer_load_dword v19, off, s[0:3], 0 offset:264
	buffer_load_dword v20, off, s[0:3], 0 offset:268
	;; [unrolled: 1-line block ×4, first 2 shown]
	v_mov_b32_e32 v4, s80
	v_add_nc_u32_e32 v9, s80, v11
	s_add_i32 s80, s80, 64
	s_clause 0x3
	buffer_load_dword v23, v4, s[0:3], 0 offen
	buffer_load_dword v24, v4, s[0:3], 0 offen offset:4
	buffer_load_dword v25, v4, s[0:3], 0 offen offset:8
	;; [unrolled: 1-line block ×3, first 2 shown]
	ds_read2_b64 v[0:3], v9 offset1:1
	ds_read2_b64 v[15:18], v9 offset0:2 offset1:3
	s_cmpk_lg_i32 s80, 0x3d0
	s_waitcnt vmcnt(6) lgkmcnt(1)
	v_mul_f64 v[27:28], v[2:3], v[19:20]
	v_mul_f64 v[19:20], v[0:1], v[19:20]
	s_waitcnt vmcnt(4)
	v_fma_f64 v[0:1], v[0:1], v[21:22], -v[27:28]
	v_fma_f64 v[2:3], v[2:3], v[21:22], v[19:20]
	s_clause 0x3
	buffer_load_dword v19, v4, s[0:3], 0 offen offset:16
	buffer_load_dword v20, v4, s[0:3], 0 offen offset:20
	buffer_load_dword v21, v4, s[0:3], 0 offen offset:24
	buffer_load_dword v22, v4, s[0:3], 0 offen offset:28
	s_waitcnt vmcnt(6)
	v_add_f64 v[0:1], v[23:24], -v[0:1]
	s_waitcnt vmcnt(4)
	v_add_f64 v[2:3], v[25:26], -v[2:3]
	buffer_store_dword v1, v4, s[0:3], 0 offen offset:4
	buffer_store_dword v0, v4, s[0:3], 0 offen
	buffer_store_dword v3, v4, s[0:3], 0 offen offset:12
	buffer_store_dword v2, v4, s[0:3], 0 offen offset:8
	s_clause 0x3
	buffer_load_dword v1, off, s[0:3], 0 offset:268
	buffer_load_dword v0, off, s[0:3], 0 offset:264
	;; [unrolled: 1-line block ×4, first 2 shown]
	s_waitcnt vmcnt(2) lgkmcnt(0)
	v_mul_f64 v[23:24], v[17:18], v[0:1]
	v_mul_f64 v[0:1], v[15:16], v[0:1]
	s_waitcnt vmcnt(0)
	v_fma_f64 v[15:16], v[15:16], v[2:3], -v[23:24]
	v_fma_f64 v[0:1], v[17:18], v[2:3], v[0:1]
	v_add_f64 v[2:3], v[19:20], -v[15:16]
	v_add_f64 v[0:1], v[21:22], -v[0:1]
	s_clause 0x3
	buffer_load_dword v19, v4, s[0:3], 0 offen offset:32
	buffer_load_dword v20, v4, s[0:3], 0 offen offset:36
	;; [unrolled: 1-line block ×4, first 2 shown]
	buffer_store_dword v3, v4, s[0:3], 0 offen offset:20
	buffer_store_dword v2, v4, s[0:3], 0 offen offset:16
	buffer_store_dword v1, v4, s[0:3], 0 offen offset:28
	buffer_store_dword v0, v4, s[0:3], 0 offen offset:24
	s_clause 0x3
	buffer_load_dword v23, off, s[0:3], 0 offset:264
	buffer_load_dword v24, off, s[0:3], 0 offset:268
	buffer_load_dword v25, off, s[0:3], 0 offset:256
	buffer_load_dword v26, off, s[0:3], 0 offset:260
	ds_read2_b64 v[0:3], v9 offset0:4 offset1:5
	ds_read2_b64 v[15:18], v9 offset0:6 offset1:7
	s_waitcnt vmcnt(2) lgkmcnt(1)
	v_mul_f64 v[27:28], v[2:3], v[23:24]
	v_mul_f64 v[23:24], v[0:1], v[23:24]
	s_waitcnt vmcnt(0)
	v_fma_f64 v[0:1], v[0:1], v[25:26], -v[27:28]
	v_fma_f64 v[2:3], v[2:3], v[25:26], v[23:24]
	v_add_f64 v[0:1], v[19:20], -v[0:1]
	v_add_f64 v[2:3], v[21:22], -v[2:3]
	buffer_store_dword v1, v4, s[0:3], 0 offen offset:36
	buffer_store_dword v0, v4, s[0:3], 0 offen offset:32
	;; [unrolled: 1-line block ×4, first 2 shown]
	s_clause 0x7
	buffer_load_dword v0, off, s[0:3], 0 offset:264
	buffer_load_dword v1, off, s[0:3], 0 offset:268
	;; [unrolled: 1-line block ×4, first 2 shown]
	buffer_load_dword v19, v4, s[0:3], 0 offen offset:48
	buffer_load_dword v20, v4, s[0:3], 0 offen offset:52
	;; [unrolled: 1-line block ×4, first 2 shown]
	s_waitcnt vmcnt(6) lgkmcnt(0)
	v_mul_f64 v[23:24], v[17:18], v[0:1]
	v_mul_f64 v[0:1], v[15:16], v[0:1]
	s_waitcnt vmcnt(4)
	v_fma_f64 v[15:16], v[15:16], v[2:3], -v[23:24]
	v_fma_f64 v[0:1], v[17:18], v[2:3], v[0:1]
	s_waitcnt vmcnt(2)
	v_add_f64 v[2:3], v[19:20], -v[15:16]
	s_waitcnt vmcnt(0)
	v_add_f64 v[0:1], v[21:22], -v[0:1]
	buffer_store_dword v3, v4, s[0:3], 0 offen offset:52
	buffer_store_dword v2, v4, s[0:3], 0 offen offset:48
	;; [unrolled: 1-line block ×4, first 2 shown]
	s_cbranch_scc1 .LBB120_418
.LBB120_419:
	s_or_b32 exec_lo, exec_lo, s4
	v_mov_b32_e32 v3, s64
	s_waitcnt_vscnt null, 0x0
	s_barrier
	buffer_gl0_inv
	v_lshl_add_u32 v4, v14, 4, v11
	s_clause 0x3
	buffer_load_dword v0, v3, s[0:3], 0 offen
	buffer_load_dword v1, v3, s[0:3], 0 offen offset:4
	buffer_load_dword v2, v3, s[0:3], 0 offen offset:8
	;; [unrolled: 1-line block ×3, first 2 shown]
	v_mov_b32_e32 v9, 17
	s_cmp_lt_i32 s56, 19
	s_waitcnt vmcnt(0)
	ds_write2_b64 v4, v[0:1], v[2:3] offset1:1
	s_waitcnt lgkmcnt(0)
	s_barrier
	buffer_gl0_inv
	ds_read2_b64 v[0:3], v11 offset0:34 offset1:35
	s_cbranch_scc1 .LBB120_422
; %bb.420:
	v_add3_u32 v4, v13, 0, 0x120
	v_mov_b32_e32 v9, 17
	s_mov_b32 s16, 18
	s_inst_prefetch 0x1
	.p2align	6
.LBB120_421:                            ; =>This Inner Loop Header: Depth=1
	s_waitcnt lgkmcnt(0)
	v_cmp_gt_f64_e32 vcc_lo, 0, v[2:3]
	v_cmp_gt_f64_e64 s4, 0, v[0:1]
	ds_read2_b64 v[15:18], v4 offset1:1
	v_xor_b32_e32 v20, 0x80000000, v1
	v_xor_b32_e32 v22, 0x80000000, v3
	v_mov_b32_e32 v19, v0
	v_mov_b32_e32 v21, v2
	v_add_nc_u32_e32 v4, 16, v4
	s_waitcnt lgkmcnt(0)
	v_xor_b32_e32 v24, 0x80000000, v18
	v_cndmask_b32_e64 v20, v1, v20, s4
	v_cndmask_b32_e32 v22, v3, v22, vcc_lo
	v_cmp_gt_f64_e32 vcc_lo, 0, v[17:18]
	v_cmp_gt_f64_e64 s4, 0, v[15:16]
	v_mov_b32_e32 v23, v17
	v_add_f64 v[19:20], v[19:20], v[21:22]
	v_xor_b32_e32 v22, 0x80000000, v16
	v_mov_b32_e32 v21, v15
	v_cndmask_b32_e32 v24, v18, v24, vcc_lo
	v_cndmask_b32_e64 v22, v16, v22, s4
	v_add_f64 v[21:22], v[21:22], v[23:24]
	v_cmp_lt_f64_e32 vcc_lo, v[19:20], v[21:22]
	v_cndmask_b32_e32 v1, v1, v16, vcc_lo
	v_cndmask_b32_e32 v0, v0, v15, vcc_lo
	;; [unrolled: 1-line block ×4, first 2 shown]
	v_cndmask_b32_e64 v9, v9, s16, vcc_lo
	s_add_i32 s16, s16, 1
	s_cmp_lg_u32 s56, s16
	s_cbranch_scc1 .LBB120_421
.LBB120_422:
	s_inst_prefetch 0x2
	s_waitcnt lgkmcnt(0)
	v_cmp_eq_f64_e32 vcc_lo, 0, v[0:1]
	v_cmp_eq_f64_e64 s4, 0, v[2:3]
	s_and_b32 s4, vcc_lo, s4
	s_and_saveexec_b32 s16, s4
	s_xor_b32 s4, exec_lo, s16
; %bb.423:
	v_cmp_ne_u32_e32 vcc_lo, 0, v12
	v_cndmask_b32_e32 v12, 18, v12, vcc_lo
; %bb.424:
	s_andn2_saveexec_b32 s4, s4
	s_cbranch_execz .LBB120_430
; %bb.425:
	v_cmp_ngt_f64_e64 s16, |v[0:1]|, |v[2:3]|
	s_and_saveexec_b32 s17, s16
	s_xor_b32 s16, exec_lo, s17
	s_cbranch_execz .LBB120_427
; %bb.426:
	v_div_scale_f64 v[15:16], null, v[2:3], v[2:3], v[0:1]
	v_div_scale_f64 v[21:22], vcc_lo, v[0:1], v[2:3], v[0:1]
	v_rcp_f64_e32 v[17:18], v[15:16]
	v_fma_f64 v[19:20], -v[15:16], v[17:18], 1.0
	v_fma_f64 v[17:18], v[17:18], v[19:20], v[17:18]
	v_fma_f64 v[19:20], -v[15:16], v[17:18], 1.0
	v_fma_f64 v[17:18], v[17:18], v[19:20], v[17:18]
	v_mul_f64 v[19:20], v[21:22], v[17:18]
	v_fma_f64 v[15:16], -v[15:16], v[19:20], v[21:22]
	v_div_fmas_f64 v[15:16], v[15:16], v[17:18], v[19:20]
	v_div_fixup_f64 v[15:16], v[15:16], v[2:3], v[0:1]
	v_fma_f64 v[0:1], v[0:1], v[15:16], v[2:3]
	v_div_scale_f64 v[2:3], null, v[0:1], v[0:1], 1.0
	v_rcp_f64_e32 v[17:18], v[2:3]
	v_fma_f64 v[19:20], -v[2:3], v[17:18], 1.0
	v_fma_f64 v[17:18], v[17:18], v[19:20], v[17:18]
	v_fma_f64 v[19:20], -v[2:3], v[17:18], 1.0
	v_fma_f64 v[17:18], v[17:18], v[19:20], v[17:18]
	v_div_scale_f64 v[19:20], vcc_lo, 1.0, v[0:1], 1.0
	v_mul_f64 v[21:22], v[19:20], v[17:18]
	v_fma_f64 v[2:3], -v[2:3], v[21:22], v[19:20]
	v_div_fmas_f64 v[2:3], v[2:3], v[17:18], v[21:22]
	v_div_fixup_f64 v[2:3], v[2:3], v[0:1], 1.0
	v_mul_f64 v[0:1], v[15:16], v[2:3]
	v_xor_b32_e32 v3, 0x80000000, v3
.LBB120_427:
	s_andn2_saveexec_b32 s16, s16
	s_cbranch_execz .LBB120_429
; %bb.428:
	v_div_scale_f64 v[15:16], null, v[0:1], v[0:1], v[2:3]
	v_div_scale_f64 v[21:22], vcc_lo, v[2:3], v[0:1], v[2:3]
	v_rcp_f64_e32 v[17:18], v[15:16]
	v_fma_f64 v[19:20], -v[15:16], v[17:18], 1.0
	v_fma_f64 v[17:18], v[17:18], v[19:20], v[17:18]
	v_fma_f64 v[19:20], -v[15:16], v[17:18], 1.0
	v_fma_f64 v[17:18], v[17:18], v[19:20], v[17:18]
	v_mul_f64 v[19:20], v[21:22], v[17:18]
	v_fma_f64 v[15:16], -v[15:16], v[19:20], v[21:22]
	v_div_fmas_f64 v[15:16], v[15:16], v[17:18], v[19:20]
	v_div_fixup_f64 v[15:16], v[15:16], v[0:1], v[2:3]
	v_fma_f64 v[0:1], v[2:3], v[15:16], v[0:1]
	v_div_scale_f64 v[2:3], null, v[0:1], v[0:1], 1.0
	v_rcp_f64_e32 v[17:18], v[2:3]
	v_fma_f64 v[19:20], -v[2:3], v[17:18], 1.0
	v_fma_f64 v[17:18], v[17:18], v[19:20], v[17:18]
	v_fma_f64 v[19:20], -v[2:3], v[17:18], 1.0
	v_fma_f64 v[17:18], v[17:18], v[19:20], v[17:18]
	v_div_scale_f64 v[19:20], vcc_lo, 1.0, v[0:1], 1.0
	v_mul_f64 v[21:22], v[19:20], v[17:18]
	v_fma_f64 v[2:3], -v[2:3], v[21:22], v[19:20]
	v_div_fmas_f64 v[2:3], v[2:3], v[17:18], v[21:22]
	v_div_fixup_f64 v[0:1], v[2:3], v[0:1], 1.0
	v_mul_f64 v[2:3], v[15:16], -v[0:1]
.LBB120_429:
	s_or_b32 exec_lo, exec_lo, s16
.LBB120_430:
	s_or_b32 exec_lo, exec_lo, s4
	s_mov_b32 s4, exec_lo
	v_cmpx_ne_u32_e64 v14, v9
	s_xor_b32 s4, exec_lo, s4
	s_cbranch_execz .LBB120_436
; %bb.431:
	s_mov_b32 s16, exec_lo
	v_cmpx_eq_u32_e32 17, v14
	s_cbranch_execz .LBB120_435
; %bb.432:
	v_cmp_ne_u32_e32 vcc_lo, 17, v9
	s_xor_b32 s17, s20, -1
	s_and_b32 s57, s17, vcc_lo
	s_and_saveexec_b32 s17, s57
	s_cbranch_execz .LBB120_434
; %bb.433:
	v_ashrrev_i32_e32 v10, 31, v9
	v_lshlrev_b64 v[14:15], 2, v[9:10]
	v_add_co_u32 v14, vcc_lo, v7, v14
	v_add_co_ci_u32_e64 v15, null, v8, v15, vcc_lo
	s_clause 0x1
	global_load_dword v4, v[14:15], off
	global_load_dword v10, v[7:8], off offset:68
	s_waitcnt vmcnt(1)
	global_store_dword v[7:8], v4, off offset:68
	s_waitcnt vmcnt(0)
	global_store_dword v[14:15], v10, off
.LBB120_434:
	s_or_b32 exec_lo, exec_lo, s17
	v_mov_b32_e32 v14, v9
	v_mov_b32_e32 v10, v9
.LBB120_435:
	s_or_b32 exec_lo, exec_lo, s16
.LBB120_436:
	s_andn2_saveexec_b32 s4, s4
	s_cbranch_execz .LBB120_442
; %bb.437:
	s_movk_i32 s16, 0x120
	s_branch .LBB120_439
.LBB120_438:                            ;   in Loop: Header=BB120_439 Depth=1
	s_andn2_b32 vcc_lo, exec_lo, s57
	s_cbranch_vccz .LBB120_441
.LBB120_439:                            ; =>This Inner Loop Header: Depth=1
	v_mov_b32_e32 v4, s16
	s_mov_b32 s17, s16
	s_mov_b32 s57, -1
	s_cmpk_eq_i32 s16, 0x3a0
	s_clause 0xb
	buffer_load_dword v14, v4, s[0:3], 0 offen
	buffer_load_dword v15, v4, s[0:3], 0 offen offset:4
	buffer_load_dword v16, v4, s[0:3], 0 offen offset:8
	;; [unrolled: 1-line block ×11, first 2 shown]
	v_add_nc_u32_e32 v4, s16, v11
	s_waitcnt vmcnt(8)
	ds_write2_b64 v4, v[14:15], v[16:17] offset1:1
	s_waitcnt vmcnt(4)
	ds_write2_b64 v4, v[18:19], v[20:21] offset0:2 offset1:3
	s_waitcnt vmcnt(0)
	ds_write2_b64 v4, v[22:23], v[24:25] offset0:4 offset1:5
	s_cbranch_scc1 .LBB120_438
; %bb.440:                              ;   in Loop: Header=BB120_439 Depth=1
	v_mov_b32_e32 v9, s17
	s_addk_i32 s16, 0x80
	s_mov_b32 s57, 0
	s_clause 0x13
	buffer_load_dword v14, v9, s[0:3], 0 offen offset:48
	buffer_load_dword v15, v9, s[0:3], 0 offen offset:52
	;; [unrolled: 1-line block ×20, first 2 shown]
	s_waitcnt vmcnt(16)
	ds_write2_b64 v4, v[14:15], v[16:17] offset0:6 offset1:7
	s_waitcnt vmcnt(12)
	ds_write2_b64 v4, v[18:19], v[20:21] offset0:8 offset1:9
	;; [unrolled: 2-line block ×5, first 2 shown]
	s_branch .LBB120_438
.LBB120_441:
	v_mov_b32_e32 v14, 17
.LBB120_442:
	s_or_b32 exec_lo, exec_lo, s4
	s_mov_b32 s4, exec_lo
	s_waitcnt lgkmcnt(0)
	s_waitcnt_vscnt null, 0x0
	s_barrier
	buffer_gl0_inv
	v_cmpx_lt_i32_e32 17, v14
	s_cbranch_execz .LBB120_447
; %bb.443:
	s_clause 0x3
	buffer_load_dword v15, off, s[0:3], 0 offset:280
	buffer_load_dword v16, off, s[0:3], 0 offset:284
	;; [unrolled: 1-line block ×4, first 2 shown]
	s_movk_i32 s80, 0x120
	s_waitcnt vmcnt(2)
	v_mul_f64 v[19:20], v[2:3], v[15:16]
	v_mul_f64 v[15:16], v[0:1], v[15:16]
	s_waitcnt vmcnt(0)
	v_fma_f64 v[0:1], v[0:1], v[17:18], -v[19:20]
	v_fma_f64 v[2:3], v[2:3], v[17:18], v[15:16]
	buffer_store_dword v0, off, s[0:3], 0 offset:272
	buffer_store_dword v1, off, s[0:3], 0 offset:276
	;; [unrolled: 1-line block ×4, first 2 shown]
	s_branch .LBB120_445
.LBB120_444:                            ;   in Loop: Header=BB120_445 Depth=1
	s_andn2_b32 vcc_lo, exec_lo, s17
	s_cbranch_vccz .LBB120_447
.LBB120_445:                            ; =>This Inner Loop Header: Depth=1
	v_mov_b32_e32 v9, s80
	v_add_nc_u32_e32 v4, s80, v11
	s_mov_b32 s16, s80
	s_mov_b32 s17, -1
	s_cmpk_eq_i32 s80, 0x3a0
	s_clause 0x3
	buffer_load_dword v23, v9, s[0:3], 0 offen
	buffer_load_dword v24, v9, s[0:3], 0 offen offset:4
	buffer_load_dword v25, v9, s[0:3], 0 offen offset:8
	;; [unrolled: 1-line block ×3, first 2 shown]
	ds_read2_b64 v[15:18], v4 offset1:1
	ds_read2_b64 v[19:22], v4 offset0:2 offset1:3
	s_waitcnt vmcnt(5) lgkmcnt(1)
	v_mul_f64 v[27:28], v[17:18], v[2:3]
	v_mul_f64 v[2:3], v[15:16], v[2:3]
	s_waitcnt vmcnt(4)
	v_fma_f64 v[15:16], v[15:16], v[0:1], -v[27:28]
	v_fma_f64 v[0:1], v[17:18], v[0:1], v[2:3]
	s_clause 0x2
	buffer_load_dword v2, v9, s[0:3], 0 offen offset:20
	buffer_load_dword v17, v9, s[0:3], 0 offen offset:28
	;; [unrolled: 1-line block ×3, first 2 shown]
	s_waitcnt vmcnt(5)
	v_add_f64 v[15:16], v[23:24], -v[15:16]
	s_waitcnt vmcnt(3)
	v_add_f64 v[0:1], v[25:26], -v[0:1]
	buffer_store_dword v16, v9, s[0:3], 0 offen offset:4
	buffer_store_dword v15, v9, s[0:3], 0 offen
	buffer_store_dword v1, v9, s[0:3], 0 offen offset:12
	buffer_store_dword v0, v9, s[0:3], 0 offen offset:8
	s_clause 0x6
	buffer_load_dword v16, v9, s[0:3], 0 offen offset:24
	buffer_load_dword v23, v9, s[0:3], 0 offen offset:36
	buffer_load_dword v25, off, s[0:3], 0 offset:284
	buffer_load_dword v24, off, s[0:3], 0 offset:280
	;; [unrolled: 1-line block ×4, first 2 shown]
	buffer_load_dword v1, v9, s[0:3], 0 offen offset:16
	s_waitcnt vmcnt(3) lgkmcnt(0)
	v_mul_f64 v[28:29], v[21:22], v[24:25]
	v_mul_f64 v[24:25], v[19:20], v[24:25]
	s_waitcnt vmcnt(1)
	v_fma_f64 v[19:20], v[19:20], v[26:27], -v[28:29]
	v_fma_f64 v[21:22], v[21:22], v[26:27], v[24:25]
	s_waitcnt vmcnt(0)
	v_add_f64 v[0:1], v[1:2], -v[19:20]
	v_add_f64 v[2:3], v[16:17], -v[21:22]
	buffer_store_dword v1, v9, s[0:3], 0 offen offset:20
	buffer_store_dword v0, v9, s[0:3], 0 offen offset:16
	;; [unrolled: 1-line block ×4, first 2 shown]
	s_clause 0x5
	buffer_load_dword v19, v9, s[0:3], 0 offen offset:44
	buffer_load_dword v15, off, s[0:3], 0 offset:280
	buffer_load_dword v16, off, s[0:3], 0 offset:284
	;; [unrolled: 1-line block ×4, first 2 shown]
	buffer_load_dword v22, v9, s[0:3], 0 offen offset:32
	ds_read2_b64 v[0:3], v4 offset0:4 offset1:5
	s_waitcnt vmcnt(3) lgkmcnt(0)
	v_mul_f64 v[24:25], v[2:3], v[15:16]
	v_mul_f64 v[15:16], v[0:1], v[15:16]
	s_waitcnt vmcnt(1)
	v_fma_f64 v[0:1], v[0:1], v[20:21], -v[24:25]
	v_fma_f64 v[2:3], v[2:3], v[20:21], v[15:16]
	s_waitcnt vmcnt(0)
	v_add_f64 v[0:1], v[22:23], -v[0:1]
	v_add_f64 v[2:3], v[18:19], -v[2:3]
	buffer_store_dword v1, v9, s[0:3], 0 offen offset:36
	buffer_store_dword v0, v9, s[0:3], 0 offen offset:32
	;; [unrolled: 1-line block ×4, first 2 shown]
                                        ; implicit-def: $vgpr0_vgpr1
                                        ; implicit-def: $vgpr2_vgpr3
	s_cbranch_scc1 .LBB120_444
; %bb.446:                              ;   in Loop: Header=BB120_445 Depth=1
	s_clause 0x3
	buffer_load_dword v15, off, s[0:3], 0 offset:280
	buffer_load_dword v16, off, s[0:3], 0 offset:284
	;; [unrolled: 1-line block ×4, first 2 shown]
	v_mov_b32_e32 v9, s16
	s_add_i32 s80, s80, 64
	s_mov_b32 s17, 0
	s_clause 0x3
	buffer_load_dword v19, v9, s[0:3], 0 offen offset:48
	buffer_load_dword v20, v9, s[0:3], 0 offen offset:52
	buffer_load_dword v21, v9, s[0:3], 0 offen offset:56
	buffer_load_dword v22, v9, s[0:3], 0 offen offset:60
	ds_read2_b64 v[0:3], v4 offset0:6 offset1:7
	s_waitcnt vmcnt(6) lgkmcnt(0)
	v_mul_f64 v[23:24], v[2:3], v[15:16]
	v_mul_f64 v[15:16], v[0:1], v[15:16]
	s_waitcnt vmcnt(4)
	v_fma_f64 v[0:1], v[0:1], v[17:18], -v[23:24]
	v_fma_f64 v[2:3], v[2:3], v[17:18], v[15:16]
	s_waitcnt vmcnt(2)
	v_add_f64 v[0:1], v[19:20], -v[0:1]
	s_waitcnt vmcnt(0)
	v_add_f64 v[2:3], v[21:22], -v[2:3]
	buffer_store_dword v1, v9, s[0:3], 0 offen offset:52
	buffer_store_dword v0, v9, s[0:3], 0 offen offset:48
	buffer_store_dword v3, v9, s[0:3], 0 offen offset:60
	buffer_store_dword v2, v9, s[0:3], 0 offen offset:56
	s_clause 0x3
	buffer_load_dword v1, off, s[0:3], 0 offset:276
	buffer_load_dword v3, off, s[0:3], 0 offset:284
	;; [unrolled: 1-line block ×4, first 2 shown]
	s_branch .LBB120_444
.LBB120_447:
	s_or_b32 exec_lo, exec_lo, s4
	s_waitcnt vmcnt(2)
	v_mov_b32_e32 v3, s63
	s_waitcnt vmcnt(0)
	s_waitcnt_vscnt null, 0x0
	s_barrier
	buffer_gl0_inv
	v_lshl_add_u32 v4, v14, 4, v11
	s_clause 0x3
	buffer_load_dword v0, v3, s[0:3], 0 offen
	buffer_load_dword v1, v3, s[0:3], 0 offen offset:4
	buffer_load_dword v2, v3, s[0:3], 0 offen offset:8
	;; [unrolled: 1-line block ×3, first 2 shown]
	v_mov_b32_e32 v9, 18
	s_cmp_lt_i32 s56, 20
	s_waitcnt vmcnt(0)
	ds_write2_b64 v4, v[0:1], v[2:3] offset1:1
	s_waitcnt lgkmcnt(0)
	s_barrier
	buffer_gl0_inv
	ds_read2_b64 v[0:3], v11 offset0:36 offset1:37
	s_cbranch_scc1 .LBB120_450
; %bb.448:
	v_add3_u32 v4, v13, 0, 0x130
	v_mov_b32_e32 v9, 18
	s_mov_b32 s16, 19
	s_inst_prefetch 0x1
	.p2align	6
.LBB120_449:                            ; =>This Inner Loop Header: Depth=1
	s_waitcnt lgkmcnt(0)
	v_cmp_gt_f64_e32 vcc_lo, 0, v[2:3]
	v_cmp_gt_f64_e64 s4, 0, v[0:1]
	ds_read2_b64 v[15:18], v4 offset1:1
	v_xor_b32_e32 v20, 0x80000000, v1
	v_xor_b32_e32 v22, 0x80000000, v3
	v_mov_b32_e32 v19, v0
	v_mov_b32_e32 v21, v2
	v_add_nc_u32_e32 v4, 16, v4
	s_waitcnt lgkmcnt(0)
	v_xor_b32_e32 v24, 0x80000000, v18
	v_cndmask_b32_e64 v20, v1, v20, s4
	v_cndmask_b32_e32 v22, v3, v22, vcc_lo
	v_cmp_gt_f64_e32 vcc_lo, 0, v[17:18]
	v_cmp_gt_f64_e64 s4, 0, v[15:16]
	v_mov_b32_e32 v23, v17
	v_add_f64 v[19:20], v[19:20], v[21:22]
	v_xor_b32_e32 v22, 0x80000000, v16
	v_mov_b32_e32 v21, v15
	v_cndmask_b32_e32 v24, v18, v24, vcc_lo
	v_cndmask_b32_e64 v22, v16, v22, s4
	v_add_f64 v[21:22], v[21:22], v[23:24]
	v_cmp_lt_f64_e32 vcc_lo, v[19:20], v[21:22]
	v_cndmask_b32_e32 v1, v1, v16, vcc_lo
	v_cndmask_b32_e32 v0, v0, v15, vcc_lo
	;; [unrolled: 1-line block ×4, first 2 shown]
	v_cndmask_b32_e64 v9, v9, s16, vcc_lo
	s_add_i32 s16, s16, 1
	s_cmp_lg_u32 s56, s16
	s_cbranch_scc1 .LBB120_449
.LBB120_450:
	s_inst_prefetch 0x2
	s_waitcnt lgkmcnt(0)
	v_cmp_eq_f64_e32 vcc_lo, 0, v[0:1]
	v_cmp_eq_f64_e64 s4, 0, v[2:3]
	s_and_b32 s4, vcc_lo, s4
	s_and_saveexec_b32 s16, s4
	s_xor_b32 s4, exec_lo, s16
; %bb.451:
	v_cmp_ne_u32_e32 vcc_lo, 0, v12
	v_cndmask_b32_e32 v12, 19, v12, vcc_lo
; %bb.452:
	s_andn2_saveexec_b32 s4, s4
	s_cbranch_execz .LBB120_458
; %bb.453:
	v_cmp_ngt_f64_e64 s16, |v[0:1]|, |v[2:3]|
	s_and_saveexec_b32 s17, s16
	s_xor_b32 s16, exec_lo, s17
	s_cbranch_execz .LBB120_455
; %bb.454:
	v_div_scale_f64 v[15:16], null, v[2:3], v[2:3], v[0:1]
	v_div_scale_f64 v[21:22], vcc_lo, v[0:1], v[2:3], v[0:1]
	v_rcp_f64_e32 v[17:18], v[15:16]
	v_fma_f64 v[19:20], -v[15:16], v[17:18], 1.0
	v_fma_f64 v[17:18], v[17:18], v[19:20], v[17:18]
	v_fma_f64 v[19:20], -v[15:16], v[17:18], 1.0
	v_fma_f64 v[17:18], v[17:18], v[19:20], v[17:18]
	v_mul_f64 v[19:20], v[21:22], v[17:18]
	v_fma_f64 v[15:16], -v[15:16], v[19:20], v[21:22]
	v_div_fmas_f64 v[15:16], v[15:16], v[17:18], v[19:20]
	v_div_fixup_f64 v[15:16], v[15:16], v[2:3], v[0:1]
	v_fma_f64 v[0:1], v[0:1], v[15:16], v[2:3]
	v_div_scale_f64 v[2:3], null, v[0:1], v[0:1], 1.0
	v_rcp_f64_e32 v[17:18], v[2:3]
	v_fma_f64 v[19:20], -v[2:3], v[17:18], 1.0
	v_fma_f64 v[17:18], v[17:18], v[19:20], v[17:18]
	v_fma_f64 v[19:20], -v[2:3], v[17:18], 1.0
	v_fma_f64 v[17:18], v[17:18], v[19:20], v[17:18]
	v_div_scale_f64 v[19:20], vcc_lo, 1.0, v[0:1], 1.0
	v_mul_f64 v[21:22], v[19:20], v[17:18]
	v_fma_f64 v[2:3], -v[2:3], v[21:22], v[19:20]
	v_div_fmas_f64 v[2:3], v[2:3], v[17:18], v[21:22]
	v_div_fixup_f64 v[2:3], v[2:3], v[0:1], 1.0
	v_mul_f64 v[0:1], v[15:16], v[2:3]
	v_xor_b32_e32 v3, 0x80000000, v3
.LBB120_455:
	s_andn2_saveexec_b32 s16, s16
	s_cbranch_execz .LBB120_457
; %bb.456:
	v_div_scale_f64 v[15:16], null, v[0:1], v[0:1], v[2:3]
	v_div_scale_f64 v[21:22], vcc_lo, v[2:3], v[0:1], v[2:3]
	v_rcp_f64_e32 v[17:18], v[15:16]
	v_fma_f64 v[19:20], -v[15:16], v[17:18], 1.0
	v_fma_f64 v[17:18], v[17:18], v[19:20], v[17:18]
	v_fma_f64 v[19:20], -v[15:16], v[17:18], 1.0
	v_fma_f64 v[17:18], v[17:18], v[19:20], v[17:18]
	v_mul_f64 v[19:20], v[21:22], v[17:18]
	v_fma_f64 v[15:16], -v[15:16], v[19:20], v[21:22]
	v_div_fmas_f64 v[15:16], v[15:16], v[17:18], v[19:20]
	v_div_fixup_f64 v[15:16], v[15:16], v[0:1], v[2:3]
	v_fma_f64 v[0:1], v[2:3], v[15:16], v[0:1]
	v_div_scale_f64 v[2:3], null, v[0:1], v[0:1], 1.0
	v_rcp_f64_e32 v[17:18], v[2:3]
	v_fma_f64 v[19:20], -v[2:3], v[17:18], 1.0
	v_fma_f64 v[17:18], v[17:18], v[19:20], v[17:18]
	v_fma_f64 v[19:20], -v[2:3], v[17:18], 1.0
	v_fma_f64 v[17:18], v[17:18], v[19:20], v[17:18]
	v_div_scale_f64 v[19:20], vcc_lo, 1.0, v[0:1], 1.0
	v_mul_f64 v[21:22], v[19:20], v[17:18]
	v_fma_f64 v[2:3], -v[2:3], v[21:22], v[19:20]
	v_div_fmas_f64 v[2:3], v[2:3], v[17:18], v[21:22]
	v_div_fixup_f64 v[0:1], v[2:3], v[0:1], 1.0
	v_mul_f64 v[2:3], v[15:16], -v[0:1]
.LBB120_457:
	s_or_b32 exec_lo, exec_lo, s16
.LBB120_458:
	s_or_b32 exec_lo, exec_lo, s4
	s_mov_b32 s4, exec_lo
	v_cmpx_ne_u32_e64 v14, v9
	s_xor_b32 s4, exec_lo, s4
	s_cbranch_execz .LBB120_464
; %bb.459:
	s_mov_b32 s16, exec_lo
	v_cmpx_eq_u32_e32 18, v14
	s_cbranch_execz .LBB120_463
; %bb.460:
	v_cmp_ne_u32_e32 vcc_lo, 18, v9
	s_xor_b32 s17, s20, -1
	s_and_b32 s57, s17, vcc_lo
	s_and_saveexec_b32 s17, s57
	s_cbranch_execz .LBB120_462
; %bb.461:
	v_ashrrev_i32_e32 v10, 31, v9
	v_lshlrev_b64 v[14:15], 2, v[9:10]
	v_add_co_u32 v14, vcc_lo, v7, v14
	v_add_co_ci_u32_e64 v15, null, v8, v15, vcc_lo
	s_clause 0x1
	global_load_dword v4, v[14:15], off
	global_load_dword v10, v[7:8], off offset:72
	s_waitcnt vmcnt(1)
	global_store_dword v[7:8], v4, off offset:72
	s_waitcnt vmcnt(0)
	global_store_dword v[14:15], v10, off
.LBB120_462:
	s_or_b32 exec_lo, exec_lo, s17
	v_mov_b32_e32 v14, v9
	v_mov_b32_e32 v10, v9
.LBB120_463:
	s_or_b32 exec_lo, exec_lo, s16
.LBB120_464:
	s_andn2_saveexec_b32 s4, s4
	s_cbranch_execz .LBB120_468
; %bb.465:
	s_movk_i32 s16, 0x130
.LBB120_466:                            ; =>This Inner Loop Header: Depth=1
	v_mov_b32_e32 v4, s16
	s_clause 0x37
	buffer_load_dword v14, v4, s[0:3], 0 offen
	buffer_load_dword v15, v4, s[0:3], 0 offen offset:4
	buffer_load_dword v16, v4, s[0:3], 0 offen offset:8
	;; [unrolled: 1-line block ×55, first 2 shown]
	v_add_nc_u32_e32 v4, s16, v11
	s_addk_i32 s16, 0xe0
	s_waitcnt vmcnt(52)
	ds_write2_b64 v4, v[14:15], v[16:17] offset1:1
	s_waitcnt vmcnt(48)
	ds_write2_b64 v4, v[18:19], v[20:21] offset0:2 offset1:3
	s_waitcnt vmcnt(44)
	ds_write2_b64 v4, v[22:23], v[24:25] offset0:4 offset1:5
	;; [unrolled: 2-line block ×4, first 2 shown]
	ds_write2_b64 v4, v[34:35], v[32:33] offset0:10 offset1:11
	s_waitcnt vmcnt(24)
	ds_write2_b64 v4, v[44:45], v[38:39] offset0:12 offset1:13
	ds_write2_b64 v4, v[42:43], v[40:41] offset0:14 offset1:15
	s_waitcnt vmcnt(20)
	ds_write2_b64 v4, v[46:47], v[48:49] offset0:16 offset1:17
	s_waitcnt vmcnt(16)
	;; [unrolled: 2-line block ×6, first 2 shown]
	ds_write2_b64 v4, v[66:67], v[68:69] offset0:26 offset1:27
	s_cmpk_eq_i32 s16, 0x3d0
	s_cbranch_scc0 .LBB120_466
; %bb.467:
	v_mov_b32_e32 v14, 18
.LBB120_468:
	s_or_b32 exec_lo, exec_lo, s4
	s_mov_b32 s4, exec_lo
	s_waitcnt lgkmcnt(0)
	s_waitcnt_vscnt null, 0x0
	s_barrier
	buffer_gl0_inv
	v_cmpx_lt_i32_e32 18, v14
	s_cbranch_execz .LBB120_471
; %bb.469:
	s_clause 0x3
	buffer_load_dword v15, off, s[0:3], 0 offset:296
	buffer_load_dword v16, off, s[0:3], 0 offset:300
	;; [unrolled: 1-line block ×4, first 2 shown]
	s_movk_i32 s80, 0x130
	s_waitcnt vmcnt(2)
	v_mul_f64 v[19:20], v[2:3], v[15:16]
	v_mul_f64 v[15:16], v[0:1], v[15:16]
	s_waitcnt vmcnt(0)
	v_fma_f64 v[0:1], v[0:1], v[17:18], -v[19:20]
	v_fma_f64 v[2:3], v[2:3], v[17:18], v[15:16]
	buffer_store_dword v0, off, s[0:3], 0 offset:288
	buffer_store_dword v1, off, s[0:3], 0 offset:292
	;; [unrolled: 1-line block ×4, first 2 shown]
.LBB120_470:                            ; =>This Inner Loop Header: Depth=1
	s_clause 0x3
	buffer_load_dword v19, off, s[0:3], 0 offset:296
	buffer_load_dword v20, off, s[0:3], 0 offset:300
	;; [unrolled: 1-line block ×4, first 2 shown]
	v_mov_b32_e32 v4, s80
	v_add_nc_u32_e32 v9, s80, v11
	s_addk_i32 s80, 0x70
	s_clause 0x3
	buffer_load_dword v23, v4, s[0:3], 0 offen
	buffer_load_dword v24, v4, s[0:3], 0 offen offset:4
	buffer_load_dword v25, v4, s[0:3], 0 offen offset:8
	;; [unrolled: 1-line block ×3, first 2 shown]
	ds_read2_b64 v[0:3], v9 offset1:1
	s_clause 0x3
	buffer_load_dword v27, v4, s[0:3], 0 offen offset:16
	buffer_load_dword v28, v4, s[0:3], 0 offen offset:20
	;; [unrolled: 1-line block ×4, first 2 shown]
	ds_read2_b64 v[15:18], v9 offset0:2 offset1:3
	s_cmpk_lg_i32 s80, 0x3d0
	s_waitcnt vmcnt(10) lgkmcnt(1)
	v_mul_f64 v[31:32], v[2:3], v[19:20]
	v_mul_f64 v[19:20], v[0:1], v[19:20]
	s_waitcnt vmcnt(8)
	v_fma_f64 v[0:1], v[0:1], v[21:22], -v[31:32]
	v_fma_f64 v[2:3], v[2:3], v[21:22], v[19:20]
	s_waitcnt vmcnt(6)
	v_add_f64 v[0:1], v[23:24], -v[0:1]
	s_waitcnt vmcnt(4)
	v_add_f64 v[2:3], v[25:26], -v[2:3]
	buffer_store_dword v1, v4, s[0:3], 0 offen offset:4
	buffer_store_dword v0, v4, s[0:3], 0 offen
	buffer_store_dword v3, v4, s[0:3], 0 offen offset:12
	buffer_store_dword v2, v4, s[0:3], 0 offen offset:8
	s_clause 0x7
	buffer_load_dword v1, off, s[0:3], 0 offset:300
	buffer_load_dword v0, off, s[0:3], 0 offset:296
	;; [unrolled: 1-line block ×4, first 2 shown]
	buffer_load_dword v19, v4, s[0:3], 0 offen offset:32
	buffer_load_dword v20, v4, s[0:3], 0 offen offset:36
	;; [unrolled: 1-line block ×4, first 2 shown]
	s_waitcnt vmcnt(6) lgkmcnt(0)
	v_mul_f64 v[23:24], v[17:18], v[0:1]
	v_mul_f64 v[0:1], v[15:16], v[0:1]
	s_waitcnt vmcnt(4)
	v_fma_f64 v[15:16], v[15:16], v[2:3], -v[23:24]
	v_fma_f64 v[0:1], v[17:18], v[2:3], v[0:1]
	v_add_f64 v[2:3], v[27:28], -v[15:16]
	v_add_f64 v[0:1], v[29:30], -v[0:1]
	buffer_store_dword v3, v4, s[0:3], 0 offen offset:20
	buffer_store_dword v2, v4, s[0:3], 0 offen offset:16
	;; [unrolled: 1-line block ×4, first 2 shown]
	s_clause 0x3
	buffer_load_dword v23, off, s[0:3], 0 offset:296
	buffer_load_dword v24, off, s[0:3], 0 offset:300
	;; [unrolled: 1-line block ×4, first 2 shown]
	ds_read2_b64 v[0:3], v9 offset0:4 offset1:5
	ds_read2_b64 v[15:18], v9 offset0:6 offset1:7
	s_waitcnt vmcnt(2) lgkmcnt(1)
	v_mul_f64 v[27:28], v[2:3], v[23:24]
	v_mul_f64 v[23:24], v[0:1], v[23:24]
	s_waitcnt vmcnt(0)
	v_fma_f64 v[0:1], v[0:1], v[25:26], -v[27:28]
	v_fma_f64 v[2:3], v[2:3], v[25:26], v[23:24]
	v_add_f64 v[0:1], v[19:20], -v[0:1]
	v_add_f64 v[2:3], v[21:22], -v[2:3]
	buffer_store_dword v1, v4, s[0:3], 0 offen offset:36
	buffer_store_dword v0, v4, s[0:3], 0 offen offset:32
	buffer_store_dword v3, v4, s[0:3], 0 offen offset:44
	buffer_store_dword v2, v4, s[0:3], 0 offen offset:40
	s_clause 0x7
	buffer_load_dword v0, off, s[0:3], 0 offset:296
	buffer_load_dword v1, off, s[0:3], 0 offset:300
	;; [unrolled: 1-line block ×4, first 2 shown]
	buffer_load_dword v19, v4, s[0:3], 0 offen offset:48
	buffer_load_dword v20, v4, s[0:3], 0 offen offset:52
	;; [unrolled: 1-line block ×4, first 2 shown]
	s_waitcnt vmcnt(6) lgkmcnt(0)
	v_mul_f64 v[23:24], v[17:18], v[0:1]
	v_mul_f64 v[0:1], v[15:16], v[0:1]
	s_waitcnt vmcnt(4)
	v_fma_f64 v[15:16], v[15:16], v[2:3], -v[23:24]
	v_fma_f64 v[0:1], v[17:18], v[2:3], v[0:1]
	s_waitcnt vmcnt(2)
	v_add_f64 v[2:3], v[19:20], -v[15:16]
	s_waitcnt vmcnt(0)
	v_add_f64 v[0:1], v[21:22], -v[0:1]
	buffer_store_dword v3, v4, s[0:3], 0 offen offset:52
	buffer_store_dword v2, v4, s[0:3], 0 offen offset:48
	;; [unrolled: 1-line block ×4, first 2 shown]
	s_clause 0x7
	buffer_load_dword v19, off, s[0:3], 0 offset:296
	buffer_load_dword v20, off, s[0:3], 0 offset:300
	buffer_load_dword v21, off, s[0:3], 0 offset:288
	buffer_load_dword v22, off, s[0:3], 0 offset:292
	buffer_load_dword v23, v4, s[0:3], 0 offen offset:64
	buffer_load_dword v24, v4, s[0:3], 0 offen offset:68
	;; [unrolled: 1-line block ×4, first 2 shown]
	ds_read2_b64 v[0:3], v9 offset0:8 offset1:9
	ds_read2_b64 v[15:18], v9 offset0:10 offset1:11
	s_waitcnt vmcnt(6) lgkmcnt(1)
	v_mul_f64 v[27:28], v[2:3], v[19:20]
	v_mul_f64 v[19:20], v[0:1], v[19:20]
	s_waitcnt vmcnt(4)
	v_fma_f64 v[0:1], v[0:1], v[21:22], -v[27:28]
	v_fma_f64 v[2:3], v[2:3], v[21:22], v[19:20]
	s_waitcnt vmcnt(2)
	v_add_f64 v[0:1], v[23:24], -v[0:1]
	s_waitcnt vmcnt(0)
	v_add_f64 v[2:3], v[25:26], -v[2:3]
	buffer_store_dword v1, v4, s[0:3], 0 offen offset:68
	buffer_store_dword v0, v4, s[0:3], 0 offen offset:64
	;; [unrolled: 1-line block ×4, first 2 shown]
	s_clause 0x7
	buffer_load_dword v0, off, s[0:3], 0 offset:296
	buffer_load_dword v1, off, s[0:3], 0 offset:300
	;; [unrolled: 1-line block ×4, first 2 shown]
	buffer_load_dword v19, v4, s[0:3], 0 offen offset:80
	buffer_load_dword v20, v4, s[0:3], 0 offen offset:84
	;; [unrolled: 1-line block ×4, first 2 shown]
	s_waitcnt vmcnt(6) lgkmcnt(0)
	v_mul_f64 v[23:24], v[17:18], v[0:1]
	v_mul_f64 v[0:1], v[15:16], v[0:1]
	s_waitcnt vmcnt(4)
	v_fma_f64 v[15:16], v[15:16], v[2:3], -v[23:24]
	v_fma_f64 v[0:1], v[17:18], v[2:3], v[0:1]
	s_waitcnt vmcnt(2)
	v_add_f64 v[2:3], v[19:20], -v[15:16]
	s_waitcnt vmcnt(0)
	v_add_f64 v[0:1], v[21:22], -v[0:1]
	buffer_store_dword v3, v4, s[0:3], 0 offen offset:84
	buffer_store_dword v2, v4, s[0:3], 0 offen offset:80
	buffer_store_dword v1, v4, s[0:3], 0 offen offset:92
	buffer_store_dword v0, v4, s[0:3], 0 offen offset:88
	s_clause 0x7
	buffer_load_dword v15, off, s[0:3], 0 offset:296
	buffer_load_dword v16, off, s[0:3], 0 offset:300
	;; [unrolled: 1-line block ×4, first 2 shown]
	buffer_load_dword v19, v4, s[0:3], 0 offen offset:96
	buffer_load_dword v20, v4, s[0:3], 0 offen offset:100
	;; [unrolled: 1-line block ×4, first 2 shown]
	ds_read2_b64 v[0:3], v9 offset0:12 offset1:13
	s_waitcnt vmcnt(6) lgkmcnt(0)
	v_mul_f64 v[23:24], v[2:3], v[15:16]
	v_mul_f64 v[15:16], v[0:1], v[15:16]
	s_waitcnt vmcnt(4)
	v_fma_f64 v[0:1], v[0:1], v[17:18], -v[23:24]
	v_fma_f64 v[2:3], v[2:3], v[17:18], v[15:16]
	s_waitcnt vmcnt(2)
	v_add_f64 v[0:1], v[19:20], -v[0:1]
	s_waitcnt vmcnt(0)
	v_add_f64 v[2:3], v[21:22], -v[2:3]
	buffer_store_dword v1, v4, s[0:3], 0 offen offset:100
	buffer_store_dword v0, v4, s[0:3], 0 offen offset:96
	;; [unrolled: 1-line block ×4, first 2 shown]
	s_cbranch_scc1 .LBB120_470
.LBB120_471:
	s_or_b32 exec_lo, exec_lo, s4
	v_mov_b32_e32 v3, s62
	s_waitcnt_vscnt null, 0x0
	s_barrier
	buffer_gl0_inv
	v_lshl_add_u32 v4, v14, 4, v11
	s_clause 0x3
	buffer_load_dword v0, v3, s[0:3], 0 offen
	buffer_load_dword v1, v3, s[0:3], 0 offen offset:4
	buffer_load_dword v2, v3, s[0:3], 0 offen offset:8
	buffer_load_dword v3, v3, s[0:3], 0 offen offset:12
	v_mov_b32_e32 v9, 19
	s_cmp_lt_i32 s56, 21
	s_waitcnt vmcnt(0)
	ds_write2_b64 v4, v[0:1], v[2:3] offset1:1
	s_waitcnt lgkmcnt(0)
	s_barrier
	buffer_gl0_inv
	ds_read2_b64 v[0:3], v11 offset0:38 offset1:39
	s_cbranch_scc1 .LBB120_474
; %bb.472:
	v_add3_u32 v4, v13, 0, 0x140
	v_mov_b32_e32 v9, 19
	s_mov_b32 s16, 20
	s_inst_prefetch 0x1
	.p2align	6
.LBB120_473:                            ; =>This Inner Loop Header: Depth=1
	s_waitcnt lgkmcnt(0)
	v_cmp_gt_f64_e32 vcc_lo, 0, v[2:3]
	v_cmp_gt_f64_e64 s4, 0, v[0:1]
	ds_read2_b64 v[15:18], v4 offset1:1
	v_xor_b32_e32 v20, 0x80000000, v1
	v_xor_b32_e32 v22, 0x80000000, v3
	v_mov_b32_e32 v19, v0
	v_mov_b32_e32 v21, v2
	v_add_nc_u32_e32 v4, 16, v4
	s_waitcnt lgkmcnt(0)
	v_xor_b32_e32 v24, 0x80000000, v18
	v_cndmask_b32_e64 v20, v1, v20, s4
	v_cndmask_b32_e32 v22, v3, v22, vcc_lo
	v_cmp_gt_f64_e32 vcc_lo, 0, v[17:18]
	v_cmp_gt_f64_e64 s4, 0, v[15:16]
	v_mov_b32_e32 v23, v17
	v_add_f64 v[19:20], v[19:20], v[21:22]
	v_xor_b32_e32 v22, 0x80000000, v16
	v_mov_b32_e32 v21, v15
	v_cndmask_b32_e32 v24, v18, v24, vcc_lo
	v_cndmask_b32_e64 v22, v16, v22, s4
	v_add_f64 v[21:22], v[21:22], v[23:24]
	v_cmp_lt_f64_e32 vcc_lo, v[19:20], v[21:22]
	v_cndmask_b32_e32 v1, v1, v16, vcc_lo
	v_cndmask_b32_e32 v0, v0, v15, vcc_lo
	;; [unrolled: 1-line block ×4, first 2 shown]
	v_cndmask_b32_e64 v9, v9, s16, vcc_lo
	s_add_i32 s16, s16, 1
	s_cmp_lg_u32 s56, s16
	s_cbranch_scc1 .LBB120_473
.LBB120_474:
	s_inst_prefetch 0x2
	s_waitcnt lgkmcnt(0)
	v_cmp_eq_f64_e32 vcc_lo, 0, v[0:1]
	v_cmp_eq_f64_e64 s4, 0, v[2:3]
	s_and_b32 s4, vcc_lo, s4
	s_and_saveexec_b32 s16, s4
	s_xor_b32 s4, exec_lo, s16
; %bb.475:
	v_cmp_ne_u32_e32 vcc_lo, 0, v12
	v_cndmask_b32_e32 v12, 20, v12, vcc_lo
; %bb.476:
	s_andn2_saveexec_b32 s4, s4
	s_cbranch_execz .LBB120_482
; %bb.477:
	v_cmp_ngt_f64_e64 s16, |v[0:1]|, |v[2:3]|
	s_and_saveexec_b32 s17, s16
	s_xor_b32 s16, exec_lo, s17
	s_cbranch_execz .LBB120_479
; %bb.478:
	v_div_scale_f64 v[15:16], null, v[2:3], v[2:3], v[0:1]
	v_div_scale_f64 v[21:22], vcc_lo, v[0:1], v[2:3], v[0:1]
	v_rcp_f64_e32 v[17:18], v[15:16]
	v_fma_f64 v[19:20], -v[15:16], v[17:18], 1.0
	v_fma_f64 v[17:18], v[17:18], v[19:20], v[17:18]
	v_fma_f64 v[19:20], -v[15:16], v[17:18], 1.0
	v_fma_f64 v[17:18], v[17:18], v[19:20], v[17:18]
	v_mul_f64 v[19:20], v[21:22], v[17:18]
	v_fma_f64 v[15:16], -v[15:16], v[19:20], v[21:22]
	v_div_fmas_f64 v[15:16], v[15:16], v[17:18], v[19:20]
	v_div_fixup_f64 v[15:16], v[15:16], v[2:3], v[0:1]
	v_fma_f64 v[0:1], v[0:1], v[15:16], v[2:3]
	v_div_scale_f64 v[2:3], null, v[0:1], v[0:1], 1.0
	v_rcp_f64_e32 v[17:18], v[2:3]
	v_fma_f64 v[19:20], -v[2:3], v[17:18], 1.0
	v_fma_f64 v[17:18], v[17:18], v[19:20], v[17:18]
	v_fma_f64 v[19:20], -v[2:3], v[17:18], 1.0
	v_fma_f64 v[17:18], v[17:18], v[19:20], v[17:18]
	v_div_scale_f64 v[19:20], vcc_lo, 1.0, v[0:1], 1.0
	v_mul_f64 v[21:22], v[19:20], v[17:18]
	v_fma_f64 v[2:3], -v[2:3], v[21:22], v[19:20]
	v_div_fmas_f64 v[2:3], v[2:3], v[17:18], v[21:22]
	v_div_fixup_f64 v[2:3], v[2:3], v[0:1], 1.0
	v_mul_f64 v[0:1], v[15:16], v[2:3]
	v_xor_b32_e32 v3, 0x80000000, v3
.LBB120_479:
	s_andn2_saveexec_b32 s16, s16
	s_cbranch_execz .LBB120_481
; %bb.480:
	v_div_scale_f64 v[15:16], null, v[0:1], v[0:1], v[2:3]
	v_div_scale_f64 v[21:22], vcc_lo, v[2:3], v[0:1], v[2:3]
	v_rcp_f64_e32 v[17:18], v[15:16]
	v_fma_f64 v[19:20], -v[15:16], v[17:18], 1.0
	v_fma_f64 v[17:18], v[17:18], v[19:20], v[17:18]
	v_fma_f64 v[19:20], -v[15:16], v[17:18], 1.0
	v_fma_f64 v[17:18], v[17:18], v[19:20], v[17:18]
	v_mul_f64 v[19:20], v[21:22], v[17:18]
	v_fma_f64 v[15:16], -v[15:16], v[19:20], v[21:22]
	v_div_fmas_f64 v[15:16], v[15:16], v[17:18], v[19:20]
	v_div_fixup_f64 v[15:16], v[15:16], v[0:1], v[2:3]
	v_fma_f64 v[0:1], v[2:3], v[15:16], v[0:1]
	v_div_scale_f64 v[2:3], null, v[0:1], v[0:1], 1.0
	v_rcp_f64_e32 v[17:18], v[2:3]
	v_fma_f64 v[19:20], -v[2:3], v[17:18], 1.0
	v_fma_f64 v[17:18], v[17:18], v[19:20], v[17:18]
	v_fma_f64 v[19:20], -v[2:3], v[17:18], 1.0
	v_fma_f64 v[17:18], v[17:18], v[19:20], v[17:18]
	v_div_scale_f64 v[19:20], vcc_lo, 1.0, v[0:1], 1.0
	v_mul_f64 v[21:22], v[19:20], v[17:18]
	v_fma_f64 v[2:3], -v[2:3], v[21:22], v[19:20]
	v_div_fmas_f64 v[2:3], v[2:3], v[17:18], v[21:22]
	v_div_fixup_f64 v[0:1], v[2:3], v[0:1], 1.0
	v_mul_f64 v[2:3], v[15:16], -v[0:1]
.LBB120_481:
	s_or_b32 exec_lo, exec_lo, s16
.LBB120_482:
	s_or_b32 exec_lo, exec_lo, s4
	s_mov_b32 s4, exec_lo
	v_cmpx_ne_u32_e64 v14, v9
	s_xor_b32 s4, exec_lo, s4
	s_cbranch_execz .LBB120_488
; %bb.483:
	s_mov_b32 s16, exec_lo
	v_cmpx_eq_u32_e32 19, v14
	s_cbranch_execz .LBB120_487
; %bb.484:
	v_cmp_ne_u32_e32 vcc_lo, 19, v9
	s_xor_b32 s17, s20, -1
	s_and_b32 s57, s17, vcc_lo
	s_and_saveexec_b32 s17, s57
	s_cbranch_execz .LBB120_486
; %bb.485:
	v_ashrrev_i32_e32 v10, 31, v9
	v_lshlrev_b64 v[14:15], 2, v[9:10]
	v_add_co_u32 v14, vcc_lo, v7, v14
	v_add_co_ci_u32_e64 v15, null, v8, v15, vcc_lo
	s_clause 0x1
	global_load_dword v4, v[14:15], off
	global_load_dword v10, v[7:8], off offset:76
	s_waitcnt vmcnt(1)
	global_store_dword v[7:8], v4, off offset:76
	s_waitcnt vmcnt(0)
	global_store_dword v[14:15], v10, off
.LBB120_486:
	s_or_b32 exec_lo, exec_lo, s17
	v_mov_b32_e32 v14, v9
	v_mov_b32_e32 v10, v9
.LBB120_487:
	s_or_b32 exec_lo, exec_lo, s16
.LBB120_488:
	s_andn2_saveexec_b32 s4, s4
	s_cbranch_execz .LBB120_494
; %bb.489:
	s_movk_i32 s16, 0x140
	s_branch .LBB120_491
.LBB120_490:                            ;   in Loop: Header=BB120_491 Depth=1
	s_andn2_b32 vcc_lo, exec_lo, s57
	s_cbranch_vccz .LBB120_493
.LBB120_491:                            ; =>This Inner Loop Header: Depth=1
	v_mov_b32_e32 v4, s16
	s_mov_b32 s17, s16
	s_cmpk_eq_i32 s16, 0x3c0
	s_mov_b32 s57, -1
	s_clause 0x3
	buffer_load_dword v14, v4, s[0:3], 0 offen
	buffer_load_dword v15, v4, s[0:3], 0 offen offset:4
	buffer_load_dword v16, v4, s[0:3], 0 offen offset:8
	buffer_load_dword v17, v4, s[0:3], 0 offen offset:12
	v_add_nc_u32_e32 v4, s16, v11
	s_waitcnt vmcnt(0)
	ds_write2_b64 v4, v[14:15], v[16:17] offset1:1
	s_cbranch_scc1 .LBB120_490
; %bb.492:                              ;   in Loop: Header=BB120_491 Depth=1
	v_mov_b32_e32 v9, s17
	s_addk_i32 s16, 0x80
	s_mov_b32 s57, 0
	s_clause 0x1b
	buffer_load_dword v14, v9, s[0:3], 0 offen offset:16
	buffer_load_dword v15, v9, s[0:3], 0 offen offset:20
	;; [unrolled: 1-line block ×28, first 2 shown]
	s_waitcnt vmcnt(24)
	ds_write2_b64 v4, v[14:15], v[16:17] offset0:2 offset1:3
	s_waitcnt vmcnt(20)
	ds_write2_b64 v4, v[18:19], v[20:21] offset0:4 offset1:5
	;; [unrolled: 2-line block ×5, first 2 shown]
	ds_write2_b64 v4, v[34:35], v[32:33] offset0:12 offset1:13
	s_waitcnt vmcnt(0)
	ds_write2_b64 v4, v[40:41], v[38:39] offset0:14 offset1:15
	s_branch .LBB120_490
.LBB120_493:
	v_mov_b32_e32 v14, 19
.LBB120_494:
	s_or_b32 exec_lo, exec_lo, s4
	s_mov_b32 s4, exec_lo
	s_waitcnt lgkmcnt(0)
	s_waitcnt_vscnt null, 0x0
	s_barrier
	buffer_gl0_inv
	v_cmpx_lt_i32_e32 19, v14
	s_cbranch_execz .LBB120_499
; %bb.495:
	s_clause 0x3
	buffer_load_dword v15, off, s[0:3], 0 offset:312
	buffer_load_dword v16, off, s[0:3], 0 offset:316
	;; [unrolled: 1-line block ×4, first 2 shown]
	s_movk_i32 s80, 0x140
	s_waitcnt vmcnt(2)
	v_mul_f64 v[19:20], v[2:3], v[15:16]
	v_mul_f64 v[15:16], v[0:1], v[15:16]
	s_waitcnt vmcnt(0)
	v_fma_f64 v[0:1], v[0:1], v[17:18], -v[19:20]
	v_fma_f64 v[2:3], v[2:3], v[17:18], v[15:16]
	buffer_store_dword v0, off, s[0:3], 0 offset:304
	buffer_store_dword v1, off, s[0:3], 0 offset:308
	;; [unrolled: 1-line block ×4, first 2 shown]
	s_branch .LBB120_497
.LBB120_496:                            ;   in Loop: Header=BB120_497 Depth=1
	s_andn2_b32 vcc_lo, exec_lo, s17
	s_cbranch_vccz .LBB120_499
.LBB120_497:                            ; =>This Inner Loop Header: Depth=1
	v_mov_b32_e32 v9, s80
	v_add_nc_u32_e32 v4, s80, v11
	s_mov_b32 s16, s80
	s_mov_b32 s17, -1
	s_cmpk_eq_i32 s80, 0x3c0
	s_clause 0x3
	buffer_load_dword v19, v9, s[0:3], 0 offen
	buffer_load_dword v20, v9, s[0:3], 0 offen offset:4
	buffer_load_dword v21, v9, s[0:3], 0 offen offset:8
	buffer_load_dword v22, v9, s[0:3], 0 offen offset:12
	ds_read2_b64 v[15:18], v4 offset1:1
	s_waitcnt vmcnt(4) lgkmcnt(0)
	v_mul_f64 v[23:24], v[17:18], v[2:3]
	v_mul_f64 v[2:3], v[15:16], v[2:3]
	v_fma_f64 v[15:16], v[15:16], v[0:1], -v[23:24]
	v_fma_f64 v[0:1], v[17:18], v[0:1], v[2:3]
	s_waitcnt vmcnt(2)
	v_add_f64 v[2:3], v[19:20], -v[15:16]
	s_waitcnt vmcnt(0)
	v_add_f64 v[0:1], v[21:22], -v[0:1]
	buffer_store_dword v2, v9, s[0:3], 0 offen
	buffer_store_dword v3, v9, s[0:3], 0 offen offset:4
	buffer_store_dword v0, v9, s[0:3], 0 offen offset:8
	;; [unrolled: 1-line block ×3, first 2 shown]
                                        ; implicit-def: $vgpr0_vgpr1
                                        ; implicit-def: $vgpr2_vgpr3
	s_cbranch_scc1 .LBB120_496
; %bb.498:                              ;   in Loop: Header=BB120_497 Depth=1
	s_clause 0x3
	buffer_load_dword v19, off, s[0:3], 0 offset:312
	buffer_load_dword v20, off, s[0:3], 0 offset:316
	;; [unrolled: 1-line block ×4, first 2 shown]
	v_mov_b32_e32 v9, s16
	s_add_i32 s80, s80, 64
	s_mov_b32 s17, 0
	s_clause 0x3
	buffer_load_dword v23, v9, s[0:3], 0 offen offset:16
	buffer_load_dword v24, v9, s[0:3], 0 offen offset:20
	;; [unrolled: 1-line block ×4, first 2 shown]
	ds_read2_b64 v[0:3], v4 offset0:2 offset1:3
	ds_read2_b64 v[15:18], v4 offset0:4 offset1:5
	s_waitcnt vmcnt(6) lgkmcnt(1)
	v_mul_f64 v[27:28], v[2:3], v[19:20]
	v_mul_f64 v[19:20], v[0:1], v[19:20]
	s_waitcnt vmcnt(4)
	v_fma_f64 v[0:1], v[0:1], v[21:22], -v[27:28]
	v_fma_f64 v[2:3], v[2:3], v[21:22], v[19:20]
	s_waitcnt vmcnt(2)
	v_add_f64 v[0:1], v[23:24], -v[0:1]
	s_waitcnt vmcnt(0)
	v_add_f64 v[2:3], v[25:26], -v[2:3]
	buffer_store_dword v1, v9, s[0:3], 0 offen offset:20
	buffer_store_dword v0, v9, s[0:3], 0 offen offset:16
	;; [unrolled: 1-line block ×4, first 2 shown]
	s_clause 0x7
	buffer_load_dword v1, v9, s[0:3], 0 offen offset:36
	buffer_load_dword v2, v9, s[0:3], 0 offen offset:40
	;; [unrolled: 1-line block ×3, first 2 shown]
	buffer_load_dword v20, off, s[0:3], 0 offset:316
	buffer_load_dword v19, off, s[0:3], 0 offset:312
	;; [unrolled: 1-line block ×4, first 2 shown]
	buffer_load_dword v0, v9, s[0:3], 0 offen offset:32
	s_waitcnt vmcnt(3) lgkmcnt(0)
	v_mul_f64 v[23:24], v[17:18], v[19:20]
	v_mul_f64 v[19:20], v[15:16], v[19:20]
	s_waitcnt vmcnt(1)
	v_fma_f64 v[15:16], v[15:16], v[21:22], -v[23:24]
	v_fma_f64 v[17:18], v[17:18], v[21:22], v[19:20]
	s_waitcnt vmcnt(0)
	v_add_f64 v[0:1], v[0:1], -v[15:16]
	v_add_f64 v[2:3], v[2:3], -v[17:18]
	buffer_store_dword v1, v9, s[0:3], 0 offen offset:36
	buffer_store_dword v0, v9, s[0:3], 0 offen offset:32
	;; [unrolled: 1-line block ×4, first 2 shown]
	s_clause 0x7
	buffer_load_dword v16, v9, s[0:3], 0 offen offset:52
	buffer_load_dword v17, v9, s[0:3], 0 offen offset:56
	;; [unrolled: 1-line block ×3, first 2 shown]
	buffer_load_dword v19, off, s[0:3], 0 offset:312
	buffer_load_dword v20, off, s[0:3], 0 offset:316
	;; [unrolled: 1-line block ×4, first 2 shown]
	buffer_load_dword v15, v9, s[0:3], 0 offen offset:48
	ds_read2_b64 v[0:3], v4 offset0:6 offset1:7
	s_waitcnt vmcnt(3) lgkmcnt(0)
	v_mul_f64 v[23:24], v[2:3], v[19:20]
	v_mul_f64 v[19:20], v[0:1], v[19:20]
	s_waitcnt vmcnt(1)
	v_fma_f64 v[0:1], v[0:1], v[21:22], -v[23:24]
	v_fma_f64 v[2:3], v[2:3], v[21:22], v[19:20]
	s_waitcnt vmcnt(0)
	v_add_f64 v[0:1], v[15:16], -v[0:1]
	v_add_f64 v[2:3], v[17:18], -v[2:3]
	buffer_store_dword v1, v9, s[0:3], 0 offen offset:52
	buffer_store_dword v0, v9, s[0:3], 0 offen offset:48
	;; [unrolled: 1-line block ×4, first 2 shown]
	s_clause 0x3
	buffer_load_dword v0, off, s[0:3], 0 offset:304
	buffer_load_dword v1, off, s[0:3], 0 offset:308
	;; [unrolled: 1-line block ×4, first 2 shown]
	s_branch .LBB120_496
.LBB120_499:
	s_or_b32 exec_lo, exec_lo, s4
	s_waitcnt vmcnt(0)
	v_mov_b32_e32 v3, s61
	s_waitcnt_vscnt null, 0x0
	s_barrier
	buffer_gl0_inv
	v_lshl_add_u32 v4, v14, 4, v11
	s_clause 0x3
	buffer_load_dword v0, v3, s[0:3], 0 offen
	buffer_load_dword v1, v3, s[0:3], 0 offen offset:4
	buffer_load_dword v2, v3, s[0:3], 0 offen offset:8
	;; [unrolled: 1-line block ×3, first 2 shown]
	v_mov_b32_e32 v9, 20
	s_cmp_lt_i32 s56, 22
	s_waitcnt vmcnt(0)
	ds_write2_b64 v4, v[0:1], v[2:3] offset1:1
	s_waitcnt lgkmcnt(0)
	s_barrier
	buffer_gl0_inv
	ds_read2_b64 v[0:3], v11 offset0:40 offset1:41
	s_cbranch_scc1 .LBB120_502
; %bb.500:
	v_add3_u32 v4, v13, 0, 0x150
	v_mov_b32_e32 v9, 20
	s_mov_b32 s16, 21
	s_inst_prefetch 0x1
	.p2align	6
.LBB120_501:                            ; =>This Inner Loop Header: Depth=1
	s_waitcnt lgkmcnt(0)
	v_cmp_gt_f64_e32 vcc_lo, 0, v[2:3]
	v_cmp_gt_f64_e64 s4, 0, v[0:1]
	ds_read2_b64 v[15:18], v4 offset1:1
	v_xor_b32_e32 v20, 0x80000000, v1
	v_xor_b32_e32 v22, 0x80000000, v3
	v_mov_b32_e32 v19, v0
	v_mov_b32_e32 v21, v2
	v_add_nc_u32_e32 v4, 16, v4
	s_waitcnt lgkmcnt(0)
	v_xor_b32_e32 v24, 0x80000000, v18
	v_cndmask_b32_e64 v20, v1, v20, s4
	v_cndmask_b32_e32 v22, v3, v22, vcc_lo
	v_cmp_gt_f64_e32 vcc_lo, 0, v[17:18]
	v_cmp_gt_f64_e64 s4, 0, v[15:16]
	v_mov_b32_e32 v23, v17
	v_add_f64 v[19:20], v[19:20], v[21:22]
	v_xor_b32_e32 v22, 0x80000000, v16
	v_mov_b32_e32 v21, v15
	v_cndmask_b32_e32 v24, v18, v24, vcc_lo
	v_cndmask_b32_e64 v22, v16, v22, s4
	v_add_f64 v[21:22], v[21:22], v[23:24]
	v_cmp_lt_f64_e32 vcc_lo, v[19:20], v[21:22]
	v_cndmask_b32_e32 v1, v1, v16, vcc_lo
	v_cndmask_b32_e32 v0, v0, v15, vcc_lo
	;; [unrolled: 1-line block ×4, first 2 shown]
	v_cndmask_b32_e64 v9, v9, s16, vcc_lo
	s_add_i32 s16, s16, 1
	s_cmp_lg_u32 s56, s16
	s_cbranch_scc1 .LBB120_501
.LBB120_502:
	s_inst_prefetch 0x2
	s_waitcnt lgkmcnt(0)
	v_cmp_eq_f64_e32 vcc_lo, 0, v[0:1]
	v_cmp_eq_f64_e64 s4, 0, v[2:3]
	s_and_b32 s4, vcc_lo, s4
	s_and_saveexec_b32 s16, s4
	s_xor_b32 s4, exec_lo, s16
; %bb.503:
	v_cmp_ne_u32_e32 vcc_lo, 0, v12
	v_cndmask_b32_e32 v12, 21, v12, vcc_lo
; %bb.504:
	s_andn2_saveexec_b32 s4, s4
	s_cbranch_execz .LBB120_510
; %bb.505:
	v_cmp_ngt_f64_e64 s16, |v[0:1]|, |v[2:3]|
	s_and_saveexec_b32 s17, s16
	s_xor_b32 s16, exec_lo, s17
	s_cbranch_execz .LBB120_507
; %bb.506:
	v_div_scale_f64 v[15:16], null, v[2:3], v[2:3], v[0:1]
	v_div_scale_f64 v[21:22], vcc_lo, v[0:1], v[2:3], v[0:1]
	v_rcp_f64_e32 v[17:18], v[15:16]
	v_fma_f64 v[19:20], -v[15:16], v[17:18], 1.0
	v_fma_f64 v[17:18], v[17:18], v[19:20], v[17:18]
	v_fma_f64 v[19:20], -v[15:16], v[17:18], 1.0
	v_fma_f64 v[17:18], v[17:18], v[19:20], v[17:18]
	v_mul_f64 v[19:20], v[21:22], v[17:18]
	v_fma_f64 v[15:16], -v[15:16], v[19:20], v[21:22]
	v_div_fmas_f64 v[15:16], v[15:16], v[17:18], v[19:20]
	v_div_fixup_f64 v[15:16], v[15:16], v[2:3], v[0:1]
	v_fma_f64 v[0:1], v[0:1], v[15:16], v[2:3]
	v_div_scale_f64 v[2:3], null, v[0:1], v[0:1], 1.0
	v_rcp_f64_e32 v[17:18], v[2:3]
	v_fma_f64 v[19:20], -v[2:3], v[17:18], 1.0
	v_fma_f64 v[17:18], v[17:18], v[19:20], v[17:18]
	v_fma_f64 v[19:20], -v[2:3], v[17:18], 1.0
	v_fma_f64 v[17:18], v[17:18], v[19:20], v[17:18]
	v_div_scale_f64 v[19:20], vcc_lo, 1.0, v[0:1], 1.0
	v_mul_f64 v[21:22], v[19:20], v[17:18]
	v_fma_f64 v[2:3], -v[2:3], v[21:22], v[19:20]
	v_div_fmas_f64 v[2:3], v[2:3], v[17:18], v[21:22]
	v_div_fixup_f64 v[2:3], v[2:3], v[0:1], 1.0
	v_mul_f64 v[0:1], v[15:16], v[2:3]
	v_xor_b32_e32 v3, 0x80000000, v3
.LBB120_507:
	s_andn2_saveexec_b32 s16, s16
	s_cbranch_execz .LBB120_509
; %bb.508:
	v_div_scale_f64 v[15:16], null, v[0:1], v[0:1], v[2:3]
	v_div_scale_f64 v[21:22], vcc_lo, v[2:3], v[0:1], v[2:3]
	v_rcp_f64_e32 v[17:18], v[15:16]
	v_fma_f64 v[19:20], -v[15:16], v[17:18], 1.0
	v_fma_f64 v[17:18], v[17:18], v[19:20], v[17:18]
	v_fma_f64 v[19:20], -v[15:16], v[17:18], 1.0
	v_fma_f64 v[17:18], v[17:18], v[19:20], v[17:18]
	v_mul_f64 v[19:20], v[21:22], v[17:18]
	v_fma_f64 v[15:16], -v[15:16], v[19:20], v[21:22]
	v_div_fmas_f64 v[15:16], v[15:16], v[17:18], v[19:20]
	v_div_fixup_f64 v[15:16], v[15:16], v[0:1], v[2:3]
	v_fma_f64 v[0:1], v[2:3], v[15:16], v[0:1]
	v_div_scale_f64 v[2:3], null, v[0:1], v[0:1], 1.0
	v_rcp_f64_e32 v[17:18], v[2:3]
	v_fma_f64 v[19:20], -v[2:3], v[17:18], 1.0
	v_fma_f64 v[17:18], v[17:18], v[19:20], v[17:18]
	v_fma_f64 v[19:20], -v[2:3], v[17:18], 1.0
	v_fma_f64 v[17:18], v[17:18], v[19:20], v[17:18]
	v_div_scale_f64 v[19:20], vcc_lo, 1.0, v[0:1], 1.0
	v_mul_f64 v[21:22], v[19:20], v[17:18]
	v_fma_f64 v[2:3], -v[2:3], v[21:22], v[19:20]
	v_div_fmas_f64 v[2:3], v[2:3], v[17:18], v[21:22]
	v_div_fixup_f64 v[0:1], v[2:3], v[0:1], 1.0
	v_mul_f64 v[2:3], v[15:16], -v[0:1]
.LBB120_509:
	s_or_b32 exec_lo, exec_lo, s16
.LBB120_510:
	s_or_b32 exec_lo, exec_lo, s4
	s_mov_b32 s4, exec_lo
	v_cmpx_ne_u32_e64 v14, v9
	s_xor_b32 s4, exec_lo, s4
	s_cbranch_execz .LBB120_516
; %bb.511:
	s_mov_b32 s16, exec_lo
	v_cmpx_eq_u32_e32 20, v14
	s_cbranch_execz .LBB120_515
; %bb.512:
	v_cmp_ne_u32_e32 vcc_lo, 20, v9
	s_xor_b32 s17, s20, -1
	s_and_b32 s57, s17, vcc_lo
	s_and_saveexec_b32 s17, s57
	s_cbranch_execz .LBB120_514
; %bb.513:
	v_ashrrev_i32_e32 v10, 31, v9
	v_lshlrev_b64 v[14:15], 2, v[9:10]
	v_add_co_u32 v14, vcc_lo, v7, v14
	v_add_co_ci_u32_e64 v15, null, v8, v15, vcc_lo
	s_clause 0x1
	global_load_dword v4, v[14:15], off
	global_load_dword v10, v[7:8], off offset:80
	s_waitcnt vmcnt(1)
	global_store_dword v[7:8], v4, off offset:80
	s_waitcnt vmcnt(0)
	global_store_dword v[14:15], v10, off
.LBB120_514:
	s_or_b32 exec_lo, exec_lo, s17
	v_mov_b32_e32 v14, v9
	v_mov_b32_e32 v10, v9
.LBB120_515:
	s_or_b32 exec_lo, exec_lo, s16
.LBB120_516:
	s_andn2_saveexec_b32 s4, s4
	s_cbranch_execz .LBB120_520
; %bb.517:
	s_movk_i32 s16, 0x150
.LBB120_518:                            ; =>This Inner Loop Header: Depth=1
	v_mov_b32_e32 v4, s16
	s_clause 0x27
	buffer_load_dword v14, v4, s[0:3], 0 offen
	buffer_load_dword v15, v4, s[0:3], 0 offen offset:4
	buffer_load_dword v16, v4, s[0:3], 0 offen offset:8
	;; [unrolled: 1-line block ×39, first 2 shown]
	v_add_nc_u32_e32 v4, s16, v11
	s_addk_i32 s16, 0xa0
	s_waitcnt vmcnt(36)
	ds_write2_b64 v4, v[14:15], v[16:17] offset1:1
	s_waitcnt vmcnt(32)
	ds_write2_b64 v4, v[18:19], v[20:21] offset0:2 offset1:3
	s_waitcnt vmcnt(28)
	ds_write2_b64 v4, v[22:23], v[24:25] offset0:4 offset1:5
	;; [unrolled: 2-line block ×4, first 2 shown]
	ds_write2_b64 v4, v[34:35], v[32:33] offset0:10 offset1:11
	s_waitcnt vmcnt(8)
	ds_write2_b64 v4, v[44:45], v[38:39] offset0:12 offset1:13
	ds_write2_b64 v4, v[42:43], v[40:41] offset0:14 offset1:15
	s_waitcnt vmcnt(4)
	ds_write2_b64 v4, v[46:47], v[48:49] offset0:16 offset1:17
	s_waitcnt vmcnt(0)
	ds_write2_b64 v4, v[50:51], v[52:53] offset0:18 offset1:19
	s_cmpk_eq_i32 s16, 0x3d0
	s_cbranch_scc0 .LBB120_518
; %bb.519:
	v_mov_b32_e32 v14, 20
.LBB120_520:
	s_or_b32 exec_lo, exec_lo, s4
	s_mov_b32 s4, exec_lo
	s_waitcnt lgkmcnt(0)
	s_waitcnt_vscnt null, 0x0
	s_barrier
	buffer_gl0_inv
	v_cmpx_lt_i32_e32 20, v14
	s_cbranch_execz .LBB120_523
; %bb.521:
	s_clause 0x3
	buffer_load_dword v15, off, s[0:3], 0 offset:328
	buffer_load_dword v16, off, s[0:3], 0 offset:332
	;; [unrolled: 1-line block ×4, first 2 shown]
	s_movk_i32 s80, 0x150
	s_waitcnt vmcnt(2)
	v_mul_f64 v[19:20], v[2:3], v[15:16]
	v_mul_f64 v[15:16], v[0:1], v[15:16]
	s_waitcnt vmcnt(0)
	v_fma_f64 v[0:1], v[0:1], v[17:18], -v[19:20]
	v_fma_f64 v[2:3], v[2:3], v[17:18], v[15:16]
	buffer_store_dword v0, off, s[0:3], 0 offset:320
	buffer_store_dword v1, off, s[0:3], 0 offset:324
	;; [unrolled: 1-line block ×4, first 2 shown]
.LBB120_522:                            ; =>This Inner Loop Header: Depth=1
	s_clause 0x3
	buffer_load_dword v19, off, s[0:3], 0 offset:328
	buffer_load_dword v20, off, s[0:3], 0 offset:332
	;; [unrolled: 1-line block ×4, first 2 shown]
	v_mov_b32_e32 v4, s80
	v_add_nc_u32_e32 v9, s80, v11
	s_addk_i32 s80, 0x50
	s_clause 0x3
	buffer_load_dword v23, v4, s[0:3], 0 offen
	buffer_load_dword v24, v4, s[0:3], 0 offen offset:4
	buffer_load_dword v25, v4, s[0:3], 0 offen offset:8
	;; [unrolled: 1-line block ×3, first 2 shown]
	ds_read2_b64 v[0:3], v9 offset1:1
	ds_read2_b64 v[15:18], v9 offset0:2 offset1:3
	s_cmpk_lg_i32 s80, 0x3d0
	s_waitcnt vmcnt(6) lgkmcnt(1)
	v_mul_f64 v[27:28], v[2:3], v[19:20]
	v_mul_f64 v[19:20], v[0:1], v[19:20]
	s_waitcnt vmcnt(4)
	v_fma_f64 v[0:1], v[0:1], v[21:22], -v[27:28]
	v_fma_f64 v[2:3], v[2:3], v[21:22], v[19:20]
	s_clause 0x3
	buffer_load_dword v19, v4, s[0:3], 0 offen offset:16
	buffer_load_dword v20, v4, s[0:3], 0 offen offset:20
	;; [unrolled: 1-line block ×4, first 2 shown]
	s_waitcnt vmcnt(6)
	v_add_f64 v[0:1], v[23:24], -v[0:1]
	s_waitcnt vmcnt(4)
	v_add_f64 v[2:3], v[25:26], -v[2:3]
	buffer_store_dword v1, v4, s[0:3], 0 offen offset:4
	buffer_store_dword v0, v4, s[0:3], 0 offen
	buffer_store_dword v3, v4, s[0:3], 0 offen offset:12
	buffer_store_dword v2, v4, s[0:3], 0 offen offset:8
	s_clause 0x3
	buffer_load_dword v1, off, s[0:3], 0 offset:332
	buffer_load_dword v0, off, s[0:3], 0 offset:328
	;; [unrolled: 1-line block ×4, first 2 shown]
	s_waitcnt vmcnt(2) lgkmcnt(0)
	v_mul_f64 v[23:24], v[17:18], v[0:1]
	v_mul_f64 v[0:1], v[15:16], v[0:1]
	s_waitcnt vmcnt(0)
	v_fma_f64 v[15:16], v[15:16], v[2:3], -v[23:24]
	v_fma_f64 v[0:1], v[17:18], v[2:3], v[0:1]
	v_add_f64 v[2:3], v[19:20], -v[15:16]
	v_add_f64 v[0:1], v[21:22], -v[0:1]
	s_clause 0x3
	buffer_load_dword v19, v4, s[0:3], 0 offen offset:32
	buffer_load_dword v20, v4, s[0:3], 0 offen offset:36
	;; [unrolled: 1-line block ×4, first 2 shown]
	buffer_store_dword v3, v4, s[0:3], 0 offen offset:20
	buffer_store_dword v2, v4, s[0:3], 0 offen offset:16
	buffer_store_dword v1, v4, s[0:3], 0 offen offset:28
	buffer_store_dword v0, v4, s[0:3], 0 offen offset:24
	s_clause 0x3
	buffer_load_dword v23, off, s[0:3], 0 offset:328
	buffer_load_dword v24, off, s[0:3], 0 offset:332
	;; [unrolled: 1-line block ×4, first 2 shown]
	ds_read2_b64 v[0:3], v9 offset0:4 offset1:5
	ds_read2_b64 v[15:18], v9 offset0:6 offset1:7
	s_waitcnt vmcnt(2) lgkmcnt(1)
	v_mul_f64 v[27:28], v[2:3], v[23:24]
	v_mul_f64 v[23:24], v[0:1], v[23:24]
	s_waitcnt vmcnt(0)
	v_fma_f64 v[0:1], v[0:1], v[25:26], -v[27:28]
	v_fma_f64 v[2:3], v[2:3], v[25:26], v[23:24]
	v_add_f64 v[0:1], v[19:20], -v[0:1]
	v_add_f64 v[2:3], v[21:22], -v[2:3]
	buffer_store_dword v1, v4, s[0:3], 0 offen offset:36
	buffer_store_dword v0, v4, s[0:3], 0 offen offset:32
	;; [unrolled: 1-line block ×4, first 2 shown]
	s_clause 0x7
	buffer_load_dword v0, off, s[0:3], 0 offset:328
	buffer_load_dword v1, off, s[0:3], 0 offset:332
	;; [unrolled: 1-line block ×4, first 2 shown]
	buffer_load_dword v19, v4, s[0:3], 0 offen offset:48
	buffer_load_dword v20, v4, s[0:3], 0 offen offset:52
	buffer_load_dword v21, v4, s[0:3], 0 offen offset:56
	buffer_load_dword v22, v4, s[0:3], 0 offen offset:60
	s_waitcnt vmcnt(6) lgkmcnt(0)
	v_mul_f64 v[23:24], v[17:18], v[0:1]
	v_mul_f64 v[0:1], v[15:16], v[0:1]
	s_waitcnt vmcnt(4)
	v_fma_f64 v[15:16], v[15:16], v[2:3], -v[23:24]
	v_fma_f64 v[0:1], v[17:18], v[2:3], v[0:1]
	s_waitcnt vmcnt(2)
	v_add_f64 v[2:3], v[19:20], -v[15:16]
	s_waitcnt vmcnt(0)
	v_add_f64 v[0:1], v[21:22], -v[0:1]
	buffer_store_dword v3, v4, s[0:3], 0 offen offset:52
	buffer_store_dword v2, v4, s[0:3], 0 offen offset:48
	;; [unrolled: 1-line block ×4, first 2 shown]
	s_clause 0x7
	buffer_load_dword v15, off, s[0:3], 0 offset:328
	buffer_load_dword v16, off, s[0:3], 0 offset:332
	;; [unrolled: 1-line block ×4, first 2 shown]
	buffer_load_dword v19, v4, s[0:3], 0 offen offset:64
	buffer_load_dword v20, v4, s[0:3], 0 offen offset:68
	;; [unrolled: 1-line block ×4, first 2 shown]
	ds_read2_b64 v[0:3], v9 offset0:8 offset1:9
	s_waitcnt vmcnt(6) lgkmcnt(0)
	v_mul_f64 v[23:24], v[2:3], v[15:16]
	v_mul_f64 v[15:16], v[0:1], v[15:16]
	s_waitcnt vmcnt(4)
	v_fma_f64 v[0:1], v[0:1], v[17:18], -v[23:24]
	v_fma_f64 v[2:3], v[2:3], v[17:18], v[15:16]
	s_waitcnt vmcnt(2)
	v_add_f64 v[0:1], v[19:20], -v[0:1]
	s_waitcnt vmcnt(0)
	v_add_f64 v[2:3], v[21:22], -v[2:3]
	buffer_store_dword v1, v4, s[0:3], 0 offen offset:68
	buffer_store_dword v0, v4, s[0:3], 0 offen offset:64
	;; [unrolled: 1-line block ×4, first 2 shown]
	s_cbranch_scc1 .LBB120_522
.LBB120_523:
	s_or_b32 exec_lo, exec_lo, s4
	v_mov_b32_e32 v3, s60
	s_waitcnt_vscnt null, 0x0
	s_barrier
	buffer_gl0_inv
	v_lshl_add_u32 v4, v14, 4, v11
	s_clause 0x3
	buffer_load_dword v0, v3, s[0:3], 0 offen
	buffer_load_dword v1, v3, s[0:3], 0 offen offset:4
	buffer_load_dword v2, v3, s[0:3], 0 offen offset:8
	buffer_load_dword v3, v3, s[0:3], 0 offen offset:12
	v_mov_b32_e32 v9, 21
	s_cmp_lt_i32 s56, 23
	s_waitcnt vmcnt(0)
	ds_write2_b64 v4, v[0:1], v[2:3] offset1:1
	s_waitcnt lgkmcnt(0)
	s_barrier
	buffer_gl0_inv
	ds_read2_b64 v[0:3], v11 offset0:42 offset1:43
	s_cbranch_scc1 .LBB120_526
; %bb.524:
	v_add3_u32 v4, v13, 0, 0x160
	v_mov_b32_e32 v9, 21
	s_mov_b32 s16, 22
	s_inst_prefetch 0x1
	.p2align	6
.LBB120_525:                            ; =>This Inner Loop Header: Depth=1
	s_waitcnt lgkmcnt(0)
	v_cmp_gt_f64_e32 vcc_lo, 0, v[2:3]
	v_cmp_gt_f64_e64 s4, 0, v[0:1]
	ds_read2_b64 v[15:18], v4 offset1:1
	v_xor_b32_e32 v20, 0x80000000, v1
	v_xor_b32_e32 v22, 0x80000000, v3
	v_mov_b32_e32 v19, v0
	v_mov_b32_e32 v21, v2
	v_add_nc_u32_e32 v4, 16, v4
	s_waitcnt lgkmcnt(0)
	v_xor_b32_e32 v24, 0x80000000, v18
	v_cndmask_b32_e64 v20, v1, v20, s4
	v_cndmask_b32_e32 v22, v3, v22, vcc_lo
	v_cmp_gt_f64_e32 vcc_lo, 0, v[17:18]
	v_cmp_gt_f64_e64 s4, 0, v[15:16]
	v_mov_b32_e32 v23, v17
	v_add_f64 v[19:20], v[19:20], v[21:22]
	v_xor_b32_e32 v22, 0x80000000, v16
	v_mov_b32_e32 v21, v15
	v_cndmask_b32_e32 v24, v18, v24, vcc_lo
	v_cndmask_b32_e64 v22, v16, v22, s4
	v_add_f64 v[21:22], v[21:22], v[23:24]
	v_cmp_lt_f64_e32 vcc_lo, v[19:20], v[21:22]
	v_cndmask_b32_e32 v1, v1, v16, vcc_lo
	v_cndmask_b32_e32 v0, v0, v15, vcc_lo
	;; [unrolled: 1-line block ×4, first 2 shown]
	v_cndmask_b32_e64 v9, v9, s16, vcc_lo
	s_add_i32 s16, s16, 1
	s_cmp_lg_u32 s56, s16
	s_cbranch_scc1 .LBB120_525
.LBB120_526:
	s_inst_prefetch 0x2
	s_waitcnt lgkmcnt(0)
	v_cmp_eq_f64_e32 vcc_lo, 0, v[0:1]
	v_cmp_eq_f64_e64 s4, 0, v[2:3]
	s_and_b32 s4, vcc_lo, s4
	s_and_saveexec_b32 s16, s4
	s_xor_b32 s4, exec_lo, s16
; %bb.527:
	v_cmp_ne_u32_e32 vcc_lo, 0, v12
	v_cndmask_b32_e32 v12, 22, v12, vcc_lo
; %bb.528:
	s_andn2_saveexec_b32 s4, s4
	s_cbranch_execz .LBB120_534
; %bb.529:
	v_cmp_ngt_f64_e64 s16, |v[0:1]|, |v[2:3]|
	s_and_saveexec_b32 s17, s16
	s_xor_b32 s16, exec_lo, s17
	s_cbranch_execz .LBB120_531
; %bb.530:
	v_div_scale_f64 v[15:16], null, v[2:3], v[2:3], v[0:1]
	v_div_scale_f64 v[21:22], vcc_lo, v[0:1], v[2:3], v[0:1]
	v_rcp_f64_e32 v[17:18], v[15:16]
	v_fma_f64 v[19:20], -v[15:16], v[17:18], 1.0
	v_fma_f64 v[17:18], v[17:18], v[19:20], v[17:18]
	v_fma_f64 v[19:20], -v[15:16], v[17:18], 1.0
	v_fma_f64 v[17:18], v[17:18], v[19:20], v[17:18]
	v_mul_f64 v[19:20], v[21:22], v[17:18]
	v_fma_f64 v[15:16], -v[15:16], v[19:20], v[21:22]
	v_div_fmas_f64 v[15:16], v[15:16], v[17:18], v[19:20]
	v_div_fixup_f64 v[15:16], v[15:16], v[2:3], v[0:1]
	v_fma_f64 v[0:1], v[0:1], v[15:16], v[2:3]
	v_div_scale_f64 v[2:3], null, v[0:1], v[0:1], 1.0
	v_rcp_f64_e32 v[17:18], v[2:3]
	v_fma_f64 v[19:20], -v[2:3], v[17:18], 1.0
	v_fma_f64 v[17:18], v[17:18], v[19:20], v[17:18]
	v_fma_f64 v[19:20], -v[2:3], v[17:18], 1.0
	v_fma_f64 v[17:18], v[17:18], v[19:20], v[17:18]
	v_div_scale_f64 v[19:20], vcc_lo, 1.0, v[0:1], 1.0
	v_mul_f64 v[21:22], v[19:20], v[17:18]
	v_fma_f64 v[2:3], -v[2:3], v[21:22], v[19:20]
	v_div_fmas_f64 v[2:3], v[2:3], v[17:18], v[21:22]
	v_div_fixup_f64 v[2:3], v[2:3], v[0:1], 1.0
	v_mul_f64 v[0:1], v[15:16], v[2:3]
	v_xor_b32_e32 v3, 0x80000000, v3
.LBB120_531:
	s_andn2_saveexec_b32 s16, s16
	s_cbranch_execz .LBB120_533
; %bb.532:
	v_div_scale_f64 v[15:16], null, v[0:1], v[0:1], v[2:3]
	v_div_scale_f64 v[21:22], vcc_lo, v[2:3], v[0:1], v[2:3]
	v_rcp_f64_e32 v[17:18], v[15:16]
	v_fma_f64 v[19:20], -v[15:16], v[17:18], 1.0
	v_fma_f64 v[17:18], v[17:18], v[19:20], v[17:18]
	v_fma_f64 v[19:20], -v[15:16], v[17:18], 1.0
	v_fma_f64 v[17:18], v[17:18], v[19:20], v[17:18]
	v_mul_f64 v[19:20], v[21:22], v[17:18]
	v_fma_f64 v[15:16], -v[15:16], v[19:20], v[21:22]
	v_div_fmas_f64 v[15:16], v[15:16], v[17:18], v[19:20]
	v_div_fixup_f64 v[15:16], v[15:16], v[0:1], v[2:3]
	v_fma_f64 v[0:1], v[2:3], v[15:16], v[0:1]
	v_div_scale_f64 v[2:3], null, v[0:1], v[0:1], 1.0
	v_rcp_f64_e32 v[17:18], v[2:3]
	v_fma_f64 v[19:20], -v[2:3], v[17:18], 1.0
	v_fma_f64 v[17:18], v[17:18], v[19:20], v[17:18]
	v_fma_f64 v[19:20], -v[2:3], v[17:18], 1.0
	v_fma_f64 v[17:18], v[17:18], v[19:20], v[17:18]
	v_div_scale_f64 v[19:20], vcc_lo, 1.0, v[0:1], 1.0
	v_mul_f64 v[21:22], v[19:20], v[17:18]
	v_fma_f64 v[2:3], -v[2:3], v[21:22], v[19:20]
	v_div_fmas_f64 v[2:3], v[2:3], v[17:18], v[21:22]
	v_div_fixup_f64 v[0:1], v[2:3], v[0:1], 1.0
	v_mul_f64 v[2:3], v[15:16], -v[0:1]
.LBB120_533:
	s_or_b32 exec_lo, exec_lo, s16
.LBB120_534:
	s_or_b32 exec_lo, exec_lo, s4
	s_mov_b32 s4, exec_lo
	v_cmpx_ne_u32_e64 v14, v9
	s_xor_b32 s4, exec_lo, s4
	s_cbranch_execz .LBB120_540
; %bb.535:
	s_mov_b32 s16, exec_lo
	v_cmpx_eq_u32_e32 21, v14
	s_cbranch_execz .LBB120_539
; %bb.536:
	v_cmp_ne_u32_e32 vcc_lo, 21, v9
	s_xor_b32 s17, s20, -1
	s_and_b32 s57, s17, vcc_lo
	s_and_saveexec_b32 s17, s57
	s_cbranch_execz .LBB120_538
; %bb.537:
	v_ashrrev_i32_e32 v10, 31, v9
	v_lshlrev_b64 v[14:15], 2, v[9:10]
	v_add_co_u32 v14, vcc_lo, v7, v14
	v_add_co_ci_u32_e64 v15, null, v8, v15, vcc_lo
	s_clause 0x1
	global_load_dword v4, v[14:15], off
	global_load_dword v10, v[7:8], off offset:84
	s_waitcnt vmcnt(1)
	global_store_dword v[7:8], v4, off offset:84
	s_waitcnt vmcnt(0)
	global_store_dword v[14:15], v10, off
.LBB120_538:
	s_or_b32 exec_lo, exec_lo, s17
	v_mov_b32_e32 v14, v9
	v_mov_b32_e32 v10, v9
.LBB120_539:
	s_or_b32 exec_lo, exec_lo, s16
.LBB120_540:
	s_andn2_saveexec_b32 s4, s4
	s_cbranch_execz .LBB120_544
; %bb.541:
	s_movk_i32 s16, 0x160
.LBB120_542:                            ; =>This Inner Loop Header: Depth=1
	v_mov_b32_e32 v4, s16
	s_clause 0x33
	buffer_load_dword v14, v4, s[0:3], 0 offen
	buffer_load_dword v15, v4, s[0:3], 0 offen offset:4
	buffer_load_dword v16, v4, s[0:3], 0 offen offset:8
	;; [unrolled: 1-line block ×51, first 2 shown]
	v_add_nc_u32_e32 v4, s16, v11
	s_addk_i32 s16, 0xd0
	s_waitcnt vmcnt(48)
	ds_write2_b64 v4, v[14:15], v[16:17] offset1:1
	s_waitcnt vmcnt(44)
	ds_write2_b64 v4, v[18:19], v[20:21] offset0:2 offset1:3
	s_waitcnt vmcnt(40)
	ds_write2_b64 v4, v[22:23], v[24:25] offset0:4 offset1:5
	;; [unrolled: 2-line block ×4, first 2 shown]
	ds_write2_b64 v4, v[34:35], v[32:33] offset0:10 offset1:11
	s_waitcnt vmcnt(20)
	ds_write2_b64 v4, v[44:45], v[38:39] offset0:12 offset1:13
	ds_write2_b64 v4, v[42:43], v[40:41] offset0:14 offset1:15
	s_waitcnt vmcnt(16)
	ds_write2_b64 v4, v[46:47], v[48:49] offset0:16 offset1:17
	s_waitcnt vmcnt(12)
	;; [unrolled: 2-line block ×5, first 2 shown]
	ds_write2_b64 v4, v[62:63], v[64:65] offset0:24 offset1:25
	s_cmpk_eq_i32 s16, 0x3d0
	s_cbranch_scc0 .LBB120_542
; %bb.543:
	v_mov_b32_e32 v14, 21
.LBB120_544:
	s_or_b32 exec_lo, exec_lo, s4
	s_mov_b32 s4, exec_lo
	s_waitcnt lgkmcnt(0)
	s_waitcnt_vscnt null, 0x0
	s_barrier
	buffer_gl0_inv
	v_cmpx_lt_i32_e32 21, v14
	s_cbranch_execz .LBB120_547
; %bb.545:
	s_clause 0x3
	buffer_load_dword v15, off, s[0:3], 0 offset:344
	buffer_load_dword v16, off, s[0:3], 0 offset:348
	;; [unrolled: 1-line block ×4, first 2 shown]
	s_movk_i32 s16, 0x160
	s_waitcnt vmcnt(2)
	v_mul_f64 v[19:20], v[2:3], v[15:16]
	v_mul_f64 v[15:16], v[0:1], v[15:16]
	s_waitcnt vmcnt(0)
	v_fma_f64 v[0:1], v[0:1], v[17:18], -v[19:20]
	v_fma_f64 v[2:3], v[2:3], v[17:18], v[15:16]
	buffer_store_dword v0, off, s[0:3], 0 offset:336
	buffer_store_dword v1, off, s[0:3], 0 offset:340
	;; [unrolled: 1-line block ×4, first 2 shown]
.LBB120_546:                            ; =>This Inner Loop Header: Depth=1
	s_clause 0x3
	buffer_load_dword v19, off, s[0:3], 0 offset:344
	buffer_load_dword v20, off, s[0:3], 0 offset:348
	;; [unrolled: 1-line block ×4, first 2 shown]
	v_mov_b32_e32 v4, s16
	v_add_nc_u32_e32 v9, s16, v11
	s_add_i32 s16, s16, 48
	s_clause 0x3
	buffer_load_dword v23, v4, s[0:3], 0 offen
	buffer_load_dword v24, v4, s[0:3], 0 offen offset:4
	buffer_load_dword v25, v4, s[0:3], 0 offen offset:8
	;; [unrolled: 1-line block ×3, first 2 shown]
	ds_read2_b64 v[0:3], v9 offset1:1
	ds_read2_b64 v[15:18], v9 offset0:2 offset1:3
	s_cmpk_lg_i32 s16, 0x3d0
	s_waitcnt vmcnt(6) lgkmcnt(1)
	v_mul_f64 v[27:28], v[2:3], v[19:20]
	v_mul_f64 v[19:20], v[0:1], v[19:20]
	s_waitcnt vmcnt(4)
	v_fma_f64 v[0:1], v[0:1], v[21:22], -v[27:28]
	v_fma_f64 v[2:3], v[2:3], v[21:22], v[19:20]
	s_clause 0x3
	buffer_load_dword v19, v4, s[0:3], 0 offen offset:16
	buffer_load_dword v20, v4, s[0:3], 0 offen offset:20
	buffer_load_dword v21, v4, s[0:3], 0 offen offset:24
	buffer_load_dword v22, v4, s[0:3], 0 offen offset:28
	s_waitcnt vmcnt(6)
	v_add_f64 v[0:1], v[23:24], -v[0:1]
	s_waitcnt vmcnt(4)
	v_add_f64 v[2:3], v[25:26], -v[2:3]
	buffer_store_dword v1, v4, s[0:3], 0 offen offset:4
	buffer_store_dword v0, v4, s[0:3], 0 offen
	buffer_store_dword v3, v4, s[0:3], 0 offen offset:12
	buffer_store_dword v2, v4, s[0:3], 0 offen offset:8
	s_clause 0x3
	buffer_load_dword v1, off, s[0:3], 0 offset:348
	buffer_load_dword v0, off, s[0:3], 0 offset:344
	;; [unrolled: 1-line block ×4, first 2 shown]
	s_waitcnt vmcnt(2) lgkmcnt(0)
	v_mul_f64 v[23:24], v[17:18], v[0:1]
	v_mul_f64 v[0:1], v[15:16], v[0:1]
	s_waitcnt vmcnt(0)
	v_fma_f64 v[15:16], v[15:16], v[2:3], -v[23:24]
	v_fma_f64 v[0:1], v[17:18], v[2:3], v[0:1]
	v_add_f64 v[2:3], v[19:20], -v[15:16]
	v_add_f64 v[0:1], v[21:22], -v[0:1]
	s_clause 0x3
	buffer_load_dword v15, v4, s[0:3], 0 offen offset:32
	buffer_load_dword v16, v4, s[0:3], 0 offen offset:36
	;; [unrolled: 1-line block ×4, first 2 shown]
	buffer_store_dword v3, v4, s[0:3], 0 offen offset:20
	buffer_store_dword v2, v4, s[0:3], 0 offen offset:16
	;; [unrolled: 1-line block ×4, first 2 shown]
	s_clause 0x3
	buffer_load_dword v19, off, s[0:3], 0 offset:344
	buffer_load_dword v20, off, s[0:3], 0 offset:348
	;; [unrolled: 1-line block ×4, first 2 shown]
	ds_read2_b64 v[0:3], v9 offset0:4 offset1:5
	s_waitcnt vmcnt(2) lgkmcnt(0)
	v_mul_f64 v[23:24], v[2:3], v[19:20]
	v_mul_f64 v[19:20], v[0:1], v[19:20]
	s_waitcnt vmcnt(0)
	v_fma_f64 v[0:1], v[0:1], v[21:22], -v[23:24]
	v_fma_f64 v[2:3], v[2:3], v[21:22], v[19:20]
	v_add_f64 v[0:1], v[15:16], -v[0:1]
	v_add_f64 v[2:3], v[17:18], -v[2:3]
	buffer_store_dword v1, v4, s[0:3], 0 offen offset:36
	buffer_store_dword v0, v4, s[0:3], 0 offen offset:32
	;; [unrolled: 1-line block ×4, first 2 shown]
	s_cbranch_scc1 .LBB120_546
.LBB120_547:
	s_or_b32 exec_lo, exec_lo, s4
	v_mov_b32_e32 v3, s59
	s_waitcnt_vscnt null, 0x0
	s_barrier
	buffer_gl0_inv
	v_lshl_add_u32 v4, v14, 4, v11
	s_clause 0x3
	buffer_load_dword v0, v3, s[0:3], 0 offen
	buffer_load_dword v1, v3, s[0:3], 0 offen offset:4
	buffer_load_dword v2, v3, s[0:3], 0 offen offset:8
	;; [unrolled: 1-line block ×3, first 2 shown]
	v_mov_b32_e32 v9, 22
	s_cmp_lt_i32 s56, 24
	s_waitcnt vmcnt(0)
	ds_write2_b64 v4, v[0:1], v[2:3] offset1:1
	s_waitcnt lgkmcnt(0)
	s_barrier
	buffer_gl0_inv
	ds_read2_b64 v[0:3], v11 offset0:44 offset1:45
	s_cbranch_scc1 .LBB120_550
; %bb.548:
	v_add3_u32 v4, v13, 0, 0x170
	v_mov_b32_e32 v9, 22
	s_mov_b32 s16, 23
	s_inst_prefetch 0x1
	.p2align	6
.LBB120_549:                            ; =>This Inner Loop Header: Depth=1
	s_waitcnt lgkmcnt(0)
	v_cmp_gt_f64_e32 vcc_lo, 0, v[2:3]
	v_cmp_gt_f64_e64 s4, 0, v[0:1]
	ds_read2_b64 v[15:18], v4 offset1:1
	v_xor_b32_e32 v20, 0x80000000, v1
	v_xor_b32_e32 v22, 0x80000000, v3
	v_mov_b32_e32 v19, v0
	v_mov_b32_e32 v21, v2
	v_add_nc_u32_e32 v4, 16, v4
	s_waitcnt lgkmcnt(0)
	v_xor_b32_e32 v24, 0x80000000, v18
	v_cndmask_b32_e64 v20, v1, v20, s4
	v_cndmask_b32_e32 v22, v3, v22, vcc_lo
	v_cmp_gt_f64_e32 vcc_lo, 0, v[17:18]
	v_cmp_gt_f64_e64 s4, 0, v[15:16]
	v_mov_b32_e32 v23, v17
	v_add_f64 v[19:20], v[19:20], v[21:22]
	v_xor_b32_e32 v22, 0x80000000, v16
	v_mov_b32_e32 v21, v15
	v_cndmask_b32_e32 v24, v18, v24, vcc_lo
	v_cndmask_b32_e64 v22, v16, v22, s4
	v_add_f64 v[21:22], v[21:22], v[23:24]
	v_cmp_lt_f64_e32 vcc_lo, v[19:20], v[21:22]
	v_cndmask_b32_e32 v1, v1, v16, vcc_lo
	v_cndmask_b32_e32 v0, v0, v15, vcc_lo
	v_cndmask_b32_e32 v3, v3, v18, vcc_lo
	v_cndmask_b32_e32 v2, v2, v17, vcc_lo
	v_cndmask_b32_e64 v9, v9, s16, vcc_lo
	s_add_i32 s16, s16, 1
	s_cmp_lg_u32 s56, s16
	s_cbranch_scc1 .LBB120_549
.LBB120_550:
	s_inst_prefetch 0x2
	s_waitcnt lgkmcnt(0)
	v_cmp_eq_f64_e32 vcc_lo, 0, v[0:1]
	v_cmp_eq_f64_e64 s4, 0, v[2:3]
	s_and_b32 s4, vcc_lo, s4
	s_and_saveexec_b32 s16, s4
	s_xor_b32 s4, exec_lo, s16
; %bb.551:
	v_cmp_ne_u32_e32 vcc_lo, 0, v12
	v_cndmask_b32_e32 v12, 23, v12, vcc_lo
; %bb.552:
	s_andn2_saveexec_b32 s4, s4
	s_cbranch_execz .LBB120_558
; %bb.553:
	v_cmp_ngt_f64_e64 s16, |v[0:1]|, |v[2:3]|
	s_and_saveexec_b32 s17, s16
	s_xor_b32 s16, exec_lo, s17
	s_cbranch_execz .LBB120_555
; %bb.554:
	v_div_scale_f64 v[15:16], null, v[2:3], v[2:3], v[0:1]
	v_div_scale_f64 v[21:22], vcc_lo, v[0:1], v[2:3], v[0:1]
	v_rcp_f64_e32 v[17:18], v[15:16]
	v_fma_f64 v[19:20], -v[15:16], v[17:18], 1.0
	v_fma_f64 v[17:18], v[17:18], v[19:20], v[17:18]
	v_fma_f64 v[19:20], -v[15:16], v[17:18], 1.0
	v_fma_f64 v[17:18], v[17:18], v[19:20], v[17:18]
	v_mul_f64 v[19:20], v[21:22], v[17:18]
	v_fma_f64 v[15:16], -v[15:16], v[19:20], v[21:22]
	v_div_fmas_f64 v[15:16], v[15:16], v[17:18], v[19:20]
	v_div_fixup_f64 v[15:16], v[15:16], v[2:3], v[0:1]
	v_fma_f64 v[0:1], v[0:1], v[15:16], v[2:3]
	v_div_scale_f64 v[2:3], null, v[0:1], v[0:1], 1.0
	v_rcp_f64_e32 v[17:18], v[2:3]
	v_fma_f64 v[19:20], -v[2:3], v[17:18], 1.0
	v_fma_f64 v[17:18], v[17:18], v[19:20], v[17:18]
	v_fma_f64 v[19:20], -v[2:3], v[17:18], 1.0
	v_fma_f64 v[17:18], v[17:18], v[19:20], v[17:18]
	v_div_scale_f64 v[19:20], vcc_lo, 1.0, v[0:1], 1.0
	v_mul_f64 v[21:22], v[19:20], v[17:18]
	v_fma_f64 v[2:3], -v[2:3], v[21:22], v[19:20]
	v_div_fmas_f64 v[2:3], v[2:3], v[17:18], v[21:22]
	v_div_fixup_f64 v[2:3], v[2:3], v[0:1], 1.0
	v_mul_f64 v[0:1], v[15:16], v[2:3]
	v_xor_b32_e32 v3, 0x80000000, v3
.LBB120_555:
	s_andn2_saveexec_b32 s16, s16
	s_cbranch_execz .LBB120_557
; %bb.556:
	v_div_scale_f64 v[15:16], null, v[0:1], v[0:1], v[2:3]
	v_div_scale_f64 v[21:22], vcc_lo, v[2:3], v[0:1], v[2:3]
	v_rcp_f64_e32 v[17:18], v[15:16]
	v_fma_f64 v[19:20], -v[15:16], v[17:18], 1.0
	v_fma_f64 v[17:18], v[17:18], v[19:20], v[17:18]
	v_fma_f64 v[19:20], -v[15:16], v[17:18], 1.0
	v_fma_f64 v[17:18], v[17:18], v[19:20], v[17:18]
	v_mul_f64 v[19:20], v[21:22], v[17:18]
	v_fma_f64 v[15:16], -v[15:16], v[19:20], v[21:22]
	v_div_fmas_f64 v[15:16], v[15:16], v[17:18], v[19:20]
	v_div_fixup_f64 v[15:16], v[15:16], v[0:1], v[2:3]
	v_fma_f64 v[0:1], v[2:3], v[15:16], v[0:1]
	v_div_scale_f64 v[2:3], null, v[0:1], v[0:1], 1.0
	v_rcp_f64_e32 v[17:18], v[2:3]
	v_fma_f64 v[19:20], -v[2:3], v[17:18], 1.0
	v_fma_f64 v[17:18], v[17:18], v[19:20], v[17:18]
	v_fma_f64 v[19:20], -v[2:3], v[17:18], 1.0
	v_fma_f64 v[17:18], v[17:18], v[19:20], v[17:18]
	v_div_scale_f64 v[19:20], vcc_lo, 1.0, v[0:1], 1.0
	v_mul_f64 v[21:22], v[19:20], v[17:18]
	v_fma_f64 v[2:3], -v[2:3], v[21:22], v[19:20]
	v_div_fmas_f64 v[2:3], v[2:3], v[17:18], v[21:22]
	v_div_fixup_f64 v[0:1], v[2:3], v[0:1], 1.0
	v_mul_f64 v[2:3], v[15:16], -v[0:1]
.LBB120_557:
	s_or_b32 exec_lo, exec_lo, s16
.LBB120_558:
	s_or_b32 exec_lo, exec_lo, s4
	s_mov_b32 s4, exec_lo
	v_cmpx_ne_u32_e64 v14, v9
	s_xor_b32 s4, exec_lo, s4
	s_cbranch_execz .LBB120_564
; %bb.559:
	s_mov_b32 s16, exec_lo
	v_cmpx_eq_u32_e32 22, v14
	s_cbranch_execz .LBB120_563
; %bb.560:
	v_cmp_ne_u32_e32 vcc_lo, 22, v9
	s_xor_b32 s17, s20, -1
	s_and_b32 s57, s17, vcc_lo
	s_and_saveexec_b32 s17, s57
	s_cbranch_execz .LBB120_562
; %bb.561:
	v_ashrrev_i32_e32 v10, 31, v9
	v_lshlrev_b64 v[14:15], 2, v[9:10]
	v_add_co_u32 v14, vcc_lo, v7, v14
	v_add_co_ci_u32_e64 v15, null, v8, v15, vcc_lo
	s_clause 0x1
	global_load_dword v4, v[14:15], off
	global_load_dword v10, v[7:8], off offset:88
	s_waitcnt vmcnt(1)
	global_store_dword v[7:8], v4, off offset:88
	s_waitcnt vmcnt(0)
	global_store_dword v[14:15], v10, off
.LBB120_562:
	s_or_b32 exec_lo, exec_lo, s17
	v_mov_b32_e32 v14, v9
	v_mov_b32_e32 v10, v9
.LBB120_563:
	s_or_b32 exec_lo, exec_lo, s16
.LBB120_564:
	s_andn2_saveexec_b32 s4, s4
	s_cbranch_execz .LBB120_568
; %bb.565:
	s_movk_i32 s16, 0x170
	.p2align	6
.LBB120_566:                            ; =>This Inner Loop Header: Depth=1
	v_mov_b32_e32 v4, s16
	s_clause 0x7
	buffer_load_dword v14, v4, s[0:3], 0 offen
	buffer_load_dword v15, v4, s[0:3], 0 offen offset:4
	buffer_load_dword v16, v4, s[0:3], 0 offen offset:8
	;; [unrolled: 1-line block ×7, first 2 shown]
	v_add_nc_u32_e32 v4, s16, v11
	s_add_i32 s16, s16, 32
	s_waitcnt vmcnt(4)
	ds_write2_b64 v4, v[14:15], v[16:17] offset1:1
	s_waitcnt vmcnt(0)
	ds_write2_b64 v4, v[18:19], v[20:21] offset0:2 offset1:3
	s_cmpk_eq_i32 s16, 0x3d0
	s_cbranch_scc0 .LBB120_566
; %bb.567:
	v_mov_b32_e32 v14, 22
.LBB120_568:
	s_or_b32 exec_lo, exec_lo, s4
	s_mov_b32 s4, exec_lo
	s_waitcnt lgkmcnt(0)
	s_waitcnt_vscnt null, 0x0
	s_barrier
	buffer_gl0_inv
	v_cmpx_lt_i32_e32 22, v14
	s_cbranch_execz .LBB120_571
; %bb.569:
	s_clause 0x3
	buffer_load_dword v15, off, s[0:3], 0 offset:360
	buffer_load_dword v16, off, s[0:3], 0 offset:364
	;; [unrolled: 1-line block ×4, first 2 shown]
	s_movk_i32 s16, 0x170
	s_waitcnt vmcnt(2)
	v_mul_f64 v[19:20], v[2:3], v[15:16]
	v_mul_f64 v[15:16], v[0:1], v[15:16]
	s_waitcnt vmcnt(0)
	v_fma_f64 v[0:1], v[0:1], v[17:18], -v[19:20]
	v_fma_f64 v[2:3], v[2:3], v[17:18], v[15:16]
	buffer_store_dword v0, off, s[0:3], 0 offset:352
	buffer_store_dword v1, off, s[0:3], 0 offset:356
	;; [unrolled: 1-line block ×4, first 2 shown]
.LBB120_570:                            ; =>This Inner Loop Header: Depth=1
	s_clause 0x3
	buffer_load_dword v19, off, s[0:3], 0 offset:360
	buffer_load_dword v20, off, s[0:3], 0 offset:364
	;; [unrolled: 1-line block ×4, first 2 shown]
	v_mov_b32_e32 v4, s16
	v_add_nc_u32_e32 v9, s16, v11
	s_add_i32 s16, s16, 32
	s_clause 0x3
	buffer_load_dword v23, v4, s[0:3], 0 offen
	buffer_load_dword v24, v4, s[0:3], 0 offen offset:4
	buffer_load_dword v25, v4, s[0:3], 0 offen offset:8
	;; [unrolled: 1-line block ×3, first 2 shown]
	ds_read2_b64 v[0:3], v9 offset1:1
	ds_read2_b64 v[15:18], v9 offset0:2 offset1:3
	s_cmpk_lg_i32 s16, 0x3d0
	s_waitcnt vmcnt(6) lgkmcnt(1)
	v_mul_f64 v[27:28], v[2:3], v[19:20]
	v_mul_f64 v[19:20], v[0:1], v[19:20]
	s_waitcnt vmcnt(4)
	v_fma_f64 v[0:1], v[0:1], v[21:22], -v[27:28]
	v_fma_f64 v[2:3], v[2:3], v[21:22], v[19:20]
	s_clause 0x3
	buffer_load_dword v19, v4, s[0:3], 0 offen offset:16
	buffer_load_dword v20, v4, s[0:3], 0 offen offset:20
	;; [unrolled: 1-line block ×4, first 2 shown]
	s_waitcnt vmcnt(6)
	v_add_f64 v[0:1], v[23:24], -v[0:1]
	s_waitcnt vmcnt(4)
	v_add_f64 v[2:3], v[25:26], -v[2:3]
	buffer_store_dword v1, v4, s[0:3], 0 offen offset:4
	buffer_store_dword v0, v4, s[0:3], 0 offen
	buffer_store_dword v3, v4, s[0:3], 0 offen offset:12
	buffer_store_dword v2, v4, s[0:3], 0 offen offset:8
	s_clause 0x3
	buffer_load_dword v1, off, s[0:3], 0 offset:364
	buffer_load_dword v0, off, s[0:3], 0 offset:360
	;; [unrolled: 1-line block ×4, first 2 shown]
	s_waitcnt vmcnt(2) lgkmcnt(0)
	v_mul_f64 v[23:24], v[17:18], v[0:1]
	v_mul_f64 v[0:1], v[15:16], v[0:1]
	s_waitcnt vmcnt(0)
	v_fma_f64 v[15:16], v[15:16], v[2:3], -v[23:24]
	v_fma_f64 v[0:1], v[17:18], v[2:3], v[0:1]
	v_add_f64 v[2:3], v[19:20], -v[15:16]
	v_add_f64 v[0:1], v[21:22], -v[0:1]
	buffer_store_dword v3, v4, s[0:3], 0 offen offset:20
	buffer_store_dword v2, v4, s[0:3], 0 offen offset:16
	;; [unrolled: 1-line block ×4, first 2 shown]
	s_cbranch_scc1 .LBB120_570
.LBB120_571:
	s_or_b32 exec_lo, exec_lo, s4
	v_mov_b32_e32 v3, s58
	s_waitcnt_vscnt null, 0x0
	s_barrier
	buffer_gl0_inv
	v_lshl_add_u32 v4, v14, 4, v11
	s_clause 0x3
	buffer_load_dword v0, v3, s[0:3], 0 offen
	buffer_load_dword v1, v3, s[0:3], 0 offen offset:4
	buffer_load_dword v2, v3, s[0:3], 0 offen offset:8
	;; [unrolled: 1-line block ×3, first 2 shown]
	v_mov_b32_e32 v9, 23
	s_cmp_lt_i32 s56, 25
	s_waitcnt vmcnt(0)
	ds_write2_b64 v4, v[0:1], v[2:3] offset1:1
	s_waitcnt lgkmcnt(0)
	s_barrier
	buffer_gl0_inv
	ds_read2_b64 v[0:3], v11 offset0:46 offset1:47
	s_cbranch_scc1 .LBB120_574
; %bb.572:
	v_add3_u32 v4, v13, 0, 0x180
	v_mov_b32_e32 v9, 23
	s_mov_b32 s16, 24
	s_inst_prefetch 0x1
	.p2align	6
.LBB120_573:                            ; =>This Inner Loop Header: Depth=1
	s_waitcnt lgkmcnt(0)
	v_cmp_gt_f64_e32 vcc_lo, 0, v[2:3]
	v_cmp_gt_f64_e64 s4, 0, v[0:1]
	ds_read2_b64 v[15:18], v4 offset1:1
	v_xor_b32_e32 v20, 0x80000000, v1
	v_xor_b32_e32 v22, 0x80000000, v3
	v_mov_b32_e32 v19, v0
	v_mov_b32_e32 v21, v2
	v_add_nc_u32_e32 v4, 16, v4
	s_waitcnt lgkmcnt(0)
	v_xor_b32_e32 v24, 0x80000000, v18
	v_cndmask_b32_e64 v20, v1, v20, s4
	v_cndmask_b32_e32 v22, v3, v22, vcc_lo
	v_cmp_gt_f64_e32 vcc_lo, 0, v[17:18]
	v_cmp_gt_f64_e64 s4, 0, v[15:16]
	v_mov_b32_e32 v23, v17
	v_add_f64 v[19:20], v[19:20], v[21:22]
	v_xor_b32_e32 v22, 0x80000000, v16
	v_mov_b32_e32 v21, v15
	v_cndmask_b32_e32 v24, v18, v24, vcc_lo
	v_cndmask_b32_e64 v22, v16, v22, s4
	v_add_f64 v[21:22], v[21:22], v[23:24]
	v_cmp_lt_f64_e32 vcc_lo, v[19:20], v[21:22]
	v_cndmask_b32_e32 v1, v1, v16, vcc_lo
	v_cndmask_b32_e32 v0, v0, v15, vcc_lo
	v_cndmask_b32_e32 v3, v3, v18, vcc_lo
	v_cndmask_b32_e32 v2, v2, v17, vcc_lo
	v_cndmask_b32_e64 v9, v9, s16, vcc_lo
	s_add_i32 s16, s16, 1
	s_cmp_lg_u32 s56, s16
	s_cbranch_scc1 .LBB120_573
.LBB120_574:
	s_inst_prefetch 0x2
	s_waitcnt lgkmcnt(0)
	v_cmp_eq_f64_e32 vcc_lo, 0, v[0:1]
	v_cmp_eq_f64_e64 s4, 0, v[2:3]
	s_and_b32 s4, vcc_lo, s4
	s_and_saveexec_b32 s16, s4
	s_xor_b32 s4, exec_lo, s16
; %bb.575:
	v_cmp_ne_u32_e32 vcc_lo, 0, v12
	v_cndmask_b32_e32 v12, 24, v12, vcc_lo
; %bb.576:
	s_andn2_saveexec_b32 s4, s4
	s_cbranch_execz .LBB120_582
; %bb.577:
	v_cmp_ngt_f64_e64 s16, |v[0:1]|, |v[2:3]|
	s_and_saveexec_b32 s17, s16
	s_xor_b32 s16, exec_lo, s17
	s_cbranch_execz .LBB120_579
; %bb.578:
	v_div_scale_f64 v[15:16], null, v[2:3], v[2:3], v[0:1]
	v_div_scale_f64 v[21:22], vcc_lo, v[0:1], v[2:3], v[0:1]
	v_rcp_f64_e32 v[17:18], v[15:16]
	v_fma_f64 v[19:20], -v[15:16], v[17:18], 1.0
	v_fma_f64 v[17:18], v[17:18], v[19:20], v[17:18]
	v_fma_f64 v[19:20], -v[15:16], v[17:18], 1.0
	v_fma_f64 v[17:18], v[17:18], v[19:20], v[17:18]
	v_mul_f64 v[19:20], v[21:22], v[17:18]
	v_fma_f64 v[15:16], -v[15:16], v[19:20], v[21:22]
	v_div_fmas_f64 v[15:16], v[15:16], v[17:18], v[19:20]
	v_div_fixup_f64 v[15:16], v[15:16], v[2:3], v[0:1]
	v_fma_f64 v[0:1], v[0:1], v[15:16], v[2:3]
	v_div_scale_f64 v[2:3], null, v[0:1], v[0:1], 1.0
	v_rcp_f64_e32 v[17:18], v[2:3]
	v_fma_f64 v[19:20], -v[2:3], v[17:18], 1.0
	v_fma_f64 v[17:18], v[17:18], v[19:20], v[17:18]
	v_fma_f64 v[19:20], -v[2:3], v[17:18], 1.0
	v_fma_f64 v[17:18], v[17:18], v[19:20], v[17:18]
	v_div_scale_f64 v[19:20], vcc_lo, 1.0, v[0:1], 1.0
	v_mul_f64 v[21:22], v[19:20], v[17:18]
	v_fma_f64 v[2:3], -v[2:3], v[21:22], v[19:20]
	v_div_fmas_f64 v[2:3], v[2:3], v[17:18], v[21:22]
	v_div_fixup_f64 v[2:3], v[2:3], v[0:1], 1.0
	v_mul_f64 v[0:1], v[15:16], v[2:3]
	v_xor_b32_e32 v3, 0x80000000, v3
.LBB120_579:
	s_andn2_saveexec_b32 s16, s16
	s_cbranch_execz .LBB120_581
; %bb.580:
	v_div_scale_f64 v[15:16], null, v[0:1], v[0:1], v[2:3]
	v_div_scale_f64 v[21:22], vcc_lo, v[2:3], v[0:1], v[2:3]
	v_rcp_f64_e32 v[17:18], v[15:16]
	v_fma_f64 v[19:20], -v[15:16], v[17:18], 1.0
	v_fma_f64 v[17:18], v[17:18], v[19:20], v[17:18]
	v_fma_f64 v[19:20], -v[15:16], v[17:18], 1.0
	v_fma_f64 v[17:18], v[17:18], v[19:20], v[17:18]
	v_mul_f64 v[19:20], v[21:22], v[17:18]
	v_fma_f64 v[15:16], -v[15:16], v[19:20], v[21:22]
	v_div_fmas_f64 v[15:16], v[15:16], v[17:18], v[19:20]
	v_div_fixup_f64 v[15:16], v[15:16], v[0:1], v[2:3]
	v_fma_f64 v[0:1], v[2:3], v[15:16], v[0:1]
	v_div_scale_f64 v[2:3], null, v[0:1], v[0:1], 1.0
	v_rcp_f64_e32 v[17:18], v[2:3]
	v_fma_f64 v[19:20], -v[2:3], v[17:18], 1.0
	v_fma_f64 v[17:18], v[17:18], v[19:20], v[17:18]
	v_fma_f64 v[19:20], -v[2:3], v[17:18], 1.0
	v_fma_f64 v[17:18], v[17:18], v[19:20], v[17:18]
	v_div_scale_f64 v[19:20], vcc_lo, 1.0, v[0:1], 1.0
	v_mul_f64 v[21:22], v[19:20], v[17:18]
	v_fma_f64 v[2:3], -v[2:3], v[21:22], v[19:20]
	v_div_fmas_f64 v[2:3], v[2:3], v[17:18], v[21:22]
	v_div_fixup_f64 v[0:1], v[2:3], v[0:1], 1.0
	v_mul_f64 v[2:3], v[15:16], -v[0:1]
.LBB120_581:
	s_or_b32 exec_lo, exec_lo, s16
.LBB120_582:
	s_or_b32 exec_lo, exec_lo, s4
	s_mov_b32 s4, exec_lo
	v_cmpx_ne_u32_e64 v14, v9
	s_xor_b32 s4, exec_lo, s4
	s_cbranch_execz .LBB120_588
; %bb.583:
	s_mov_b32 s16, exec_lo
	v_cmpx_eq_u32_e32 23, v14
	s_cbranch_execz .LBB120_587
; %bb.584:
	v_cmp_ne_u32_e32 vcc_lo, 23, v9
	s_xor_b32 s17, s20, -1
	s_and_b32 s57, s17, vcc_lo
	s_and_saveexec_b32 s17, s57
	s_cbranch_execz .LBB120_586
; %bb.585:
	v_ashrrev_i32_e32 v10, 31, v9
	v_lshlrev_b64 v[14:15], 2, v[9:10]
	v_add_co_u32 v14, vcc_lo, v7, v14
	v_add_co_ci_u32_e64 v15, null, v8, v15, vcc_lo
	s_clause 0x1
	global_load_dword v4, v[14:15], off
	global_load_dword v10, v[7:8], off offset:92
	s_waitcnt vmcnt(1)
	global_store_dword v[7:8], v4, off offset:92
	s_waitcnt vmcnt(0)
	global_store_dword v[14:15], v10, off
.LBB120_586:
	s_or_b32 exec_lo, exec_lo, s17
	v_mov_b32_e32 v14, v9
	v_mov_b32_e32 v10, v9
.LBB120_587:
	s_or_b32 exec_lo, exec_lo, s16
.LBB120_588:
	s_andn2_saveexec_b32 s4, s4
	s_cbranch_execz .LBB120_594
; %bb.589:
	v_add3_u32 v4, v13, 0, 0x180
	s_mov_b32 s16, 0
	s_branch .LBB120_591
.LBB120_590:                            ;   in Loop: Header=BB120_591 Depth=1
	s_andn2_b32 vcc_lo, exec_lo, s57
	s_cbranch_vccz .LBB120_593
.LBB120_591:                            ; =>This Inner Loop Header: Depth=1
	s_add_i32 s17, s55, s16
	s_mov_b32 s57, -1
	v_mov_b32_e32 v9, s17
	s_cmpk_eq_i32 s16, 0x200
	s_clause 0x13
	buffer_load_dword v14, v9, s[0:3], 0 offen
	buffer_load_dword v15, v9, s[0:3], 0 offen offset:4
	buffer_load_dword v16, v9, s[0:3], 0 offen offset:8
	;; [unrolled: 1-line block ×19, first 2 shown]
	v_add_nc_u32_e32 v9, s16, v4
	s_waitcnt vmcnt(16)
	ds_write2_b64 v9, v[14:15], v[16:17] offset1:1
	s_waitcnt vmcnt(12)
	ds_write2_b64 v9, v[18:19], v[20:21] offset0:2 offset1:3
	s_waitcnt vmcnt(8)
	ds_write2_b64 v9, v[22:23], v[24:25] offset0:4 offset1:5
	;; [unrolled: 2-line block ×4, first 2 shown]
	s_cbranch_scc1 .LBB120_590
; %bb.592:                              ;   in Loop: Header=BB120_591 Depth=1
	v_mov_b32_e32 v25, s17
	s_addk_i32 s16, 0x80
	s_mov_b32 s57, 0
	s_clause 0xb
	buffer_load_dword v14, v25, s[0:3], 0 offen offset:80
	buffer_load_dword v15, v25, s[0:3], 0 offen offset:84
	;; [unrolled: 1-line block ×12, first 2 shown]
	s_waitcnt vmcnt(8)
	ds_write2_b64 v9, v[14:15], v[16:17] offset0:10 offset1:11
	s_waitcnt vmcnt(4)
	ds_write2_b64 v9, v[18:19], v[20:21] offset0:12 offset1:13
	;; [unrolled: 2-line block ×3, first 2 shown]
	s_branch .LBB120_590
.LBB120_593:
	v_mov_b32_e32 v14, 23
.LBB120_594:
	s_or_b32 exec_lo, exec_lo, s4
	s_mov_b32 s4, exec_lo
	s_waitcnt lgkmcnt(0)
	s_waitcnt_vscnt null, 0x0
	s_barrier
	buffer_gl0_inv
	v_cmpx_lt_i32_e32 23, v14
	s_cbranch_execz .LBB120_599
; %bb.595:
	s_clause 0x3
	buffer_load_dword v15, off, s[0:3], 0 offset:376
	buffer_load_dword v16, off, s[0:3], 0 offset:380
	;; [unrolled: 1-line block ×4, first 2 shown]
	s_movk_i32 s80, 0x180
	s_waitcnt vmcnt(2)
	v_mul_f64 v[19:20], v[2:3], v[15:16]
	v_mul_f64 v[15:16], v[0:1], v[15:16]
	s_waitcnt vmcnt(0)
	v_fma_f64 v[0:1], v[0:1], v[17:18], -v[19:20]
	v_fma_f64 v[2:3], v[2:3], v[17:18], v[15:16]
	buffer_store_dword v0, off, s[0:3], 0 offset:368
	buffer_store_dword v1, off, s[0:3], 0 offset:372
	;; [unrolled: 1-line block ×4, first 2 shown]
	s_branch .LBB120_597
.LBB120_596:                            ;   in Loop: Header=BB120_597 Depth=1
	s_andn2_b32 vcc_lo, exec_lo, s17
	s_cbranch_vccz .LBB120_599
.LBB120_597:                            ; =>This Inner Loop Header: Depth=1
	v_mov_b32_e32 v9, s80
	v_add_nc_u32_e32 v4, s80, v11
	s_mov_b32 s16, s80
	s_mov_b32 s17, -1
	s_cmpk_eq_i32 s80, 0x3c0
	s_clause 0x3
	buffer_load_dword v19, v9, s[0:3], 0 offen
	buffer_load_dword v20, v9, s[0:3], 0 offen offset:4
	buffer_load_dword v21, v9, s[0:3], 0 offen offset:8
	;; [unrolled: 1-line block ×3, first 2 shown]
	ds_read2_b64 v[15:18], v4 offset1:1
	s_waitcnt vmcnt(4) lgkmcnt(0)
	v_mul_f64 v[23:24], v[17:18], v[2:3]
	v_mul_f64 v[2:3], v[15:16], v[2:3]
	v_fma_f64 v[15:16], v[15:16], v[0:1], -v[23:24]
	v_fma_f64 v[0:1], v[17:18], v[0:1], v[2:3]
	s_waitcnt vmcnt(2)
	v_add_f64 v[2:3], v[19:20], -v[15:16]
	s_waitcnt vmcnt(0)
	v_add_f64 v[0:1], v[21:22], -v[0:1]
	buffer_store_dword v2, v9, s[0:3], 0 offen
	buffer_store_dword v3, v9, s[0:3], 0 offen offset:4
	buffer_store_dword v0, v9, s[0:3], 0 offen offset:8
	buffer_store_dword v1, v9, s[0:3], 0 offen offset:12
                                        ; implicit-def: $vgpr0_vgpr1
                                        ; implicit-def: $vgpr2_vgpr3
	s_cbranch_scc1 .LBB120_596
; %bb.598:                              ;   in Loop: Header=BB120_597 Depth=1
	s_clause 0x3
	buffer_load_dword v19, off, s[0:3], 0 offset:376
	buffer_load_dword v20, off, s[0:3], 0 offset:380
	;; [unrolled: 1-line block ×4, first 2 shown]
	v_mov_b32_e32 v9, s16
	s_add_i32 s80, s80, 64
	s_mov_b32 s17, 0
	s_clause 0x3
	buffer_load_dword v23, v9, s[0:3], 0 offen offset:16
	buffer_load_dword v24, v9, s[0:3], 0 offen offset:20
	;; [unrolled: 1-line block ×4, first 2 shown]
	ds_read2_b64 v[0:3], v4 offset0:2 offset1:3
	ds_read2_b64 v[15:18], v4 offset0:4 offset1:5
	s_waitcnt vmcnt(6) lgkmcnt(1)
	v_mul_f64 v[27:28], v[2:3], v[19:20]
	v_mul_f64 v[19:20], v[0:1], v[19:20]
	s_waitcnt vmcnt(4)
	v_fma_f64 v[0:1], v[0:1], v[21:22], -v[27:28]
	v_fma_f64 v[2:3], v[2:3], v[21:22], v[19:20]
	s_waitcnt vmcnt(2)
	v_add_f64 v[0:1], v[23:24], -v[0:1]
	s_waitcnt vmcnt(0)
	v_add_f64 v[2:3], v[25:26], -v[2:3]
	buffer_store_dword v1, v9, s[0:3], 0 offen offset:20
	buffer_store_dword v0, v9, s[0:3], 0 offen offset:16
	;; [unrolled: 1-line block ×4, first 2 shown]
	s_clause 0x7
	buffer_load_dword v1, v9, s[0:3], 0 offen offset:36
	buffer_load_dword v2, v9, s[0:3], 0 offen offset:40
	;; [unrolled: 1-line block ×3, first 2 shown]
	buffer_load_dword v20, off, s[0:3], 0 offset:380
	buffer_load_dword v19, off, s[0:3], 0 offset:376
	;; [unrolled: 1-line block ×4, first 2 shown]
	buffer_load_dword v0, v9, s[0:3], 0 offen offset:32
	s_waitcnt vmcnt(3) lgkmcnt(0)
	v_mul_f64 v[23:24], v[17:18], v[19:20]
	v_mul_f64 v[19:20], v[15:16], v[19:20]
	s_waitcnt vmcnt(1)
	v_fma_f64 v[15:16], v[15:16], v[21:22], -v[23:24]
	v_fma_f64 v[17:18], v[17:18], v[21:22], v[19:20]
	s_waitcnt vmcnt(0)
	v_add_f64 v[0:1], v[0:1], -v[15:16]
	v_add_f64 v[2:3], v[2:3], -v[17:18]
	buffer_store_dword v1, v9, s[0:3], 0 offen offset:36
	buffer_store_dword v0, v9, s[0:3], 0 offen offset:32
	;; [unrolled: 1-line block ×4, first 2 shown]
	s_clause 0x7
	buffer_load_dword v16, v9, s[0:3], 0 offen offset:52
	buffer_load_dword v17, v9, s[0:3], 0 offen offset:56
	;; [unrolled: 1-line block ×3, first 2 shown]
	buffer_load_dword v19, off, s[0:3], 0 offset:376
	buffer_load_dword v20, off, s[0:3], 0 offset:380
	;; [unrolled: 1-line block ×4, first 2 shown]
	buffer_load_dword v15, v9, s[0:3], 0 offen offset:48
	ds_read2_b64 v[0:3], v4 offset0:6 offset1:7
	s_waitcnt vmcnt(3) lgkmcnt(0)
	v_mul_f64 v[23:24], v[2:3], v[19:20]
	v_mul_f64 v[19:20], v[0:1], v[19:20]
	s_waitcnt vmcnt(1)
	v_fma_f64 v[0:1], v[0:1], v[21:22], -v[23:24]
	v_fma_f64 v[2:3], v[2:3], v[21:22], v[19:20]
	s_waitcnt vmcnt(0)
	v_add_f64 v[0:1], v[15:16], -v[0:1]
	v_add_f64 v[2:3], v[17:18], -v[2:3]
	buffer_store_dword v1, v9, s[0:3], 0 offen offset:52
	buffer_store_dword v0, v9, s[0:3], 0 offen offset:48
	;; [unrolled: 1-line block ×4, first 2 shown]
	s_clause 0x3
	buffer_load_dword v0, off, s[0:3], 0 offset:368
	buffer_load_dword v1, off, s[0:3], 0 offset:372
	;; [unrolled: 1-line block ×4, first 2 shown]
	s_branch .LBB120_596
.LBB120_599:
	s_or_b32 exec_lo, exec_lo, s4
	s_waitcnt vmcnt(0)
	v_mov_b32_e32 v3, s55
	s_waitcnt_vscnt null, 0x0
	s_barrier
	buffer_gl0_inv
	v_lshl_add_u32 v4, v14, 4, v11
	s_clause 0x3
	buffer_load_dword v0, v3, s[0:3], 0 offen
	buffer_load_dword v1, v3, s[0:3], 0 offen offset:4
	buffer_load_dword v2, v3, s[0:3], 0 offen offset:8
	;; [unrolled: 1-line block ×3, first 2 shown]
	v_mov_b32_e32 v9, 24
	s_cmp_lt_i32 s56, 26
	s_waitcnt vmcnt(0)
	ds_write2_b64 v4, v[0:1], v[2:3] offset1:1
	s_waitcnt lgkmcnt(0)
	s_barrier
	buffer_gl0_inv
	ds_read2_b64 v[0:3], v11 offset0:48 offset1:49
	s_cbranch_scc1 .LBB120_602
; %bb.600:
	v_add3_u32 v4, v13, 0, 0x190
	v_mov_b32_e32 v9, 24
	s_mov_b32 s16, 25
	s_inst_prefetch 0x1
	.p2align	6
.LBB120_601:                            ; =>This Inner Loop Header: Depth=1
	s_waitcnt lgkmcnt(0)
	v_cmp_gt_f64_e32 vcc_lo, 0, v[2:3]
	v_cmp_gt_f64_e64 s4, 0, v[0:1]
	ds_read2_b64 v[15:18], v4 offset1:1
	v_xor_b32_e32 v20, 0x80000000, v1
	v_xor_b32_e32 v22, 0x80000000, v3
	v_mov_b32_e32 v19, v0
	v_mov_b32_e32 v21, v2
	v_add_nc_u32_e32 v4, 16, v4
	s_waitcnt lgkmcnt(0)
	v_xor_b32_e32 v24, 0x80000000, v18
	v_cndmask_b32_e64 v20, v1, v20, s4
	v_cndmask_b32_e32 v22, v3, v22, vcc_lo
	v_cmp_gt_f64_e32 vcc_lo, 0, v[17:18]
	v_cmp_gt_f64_e64 s4, 0, v[15:16]
	v_mov_b32_e32 v23, v17
	v_add_f64 v[19:20], v[19:20], v[21:22]
	v_xor_b32_e32 v22, 0x80000000, v16
	v_mov_b32_e32 v21, v15
	v_cndmask_b32_e32 v24, v18, v24, vcc_lo
	v_cndmask_b32_e64 v22, v16, v22, s4
	v_add_f64 v[21:22], v[21:22], v[23:24]
	v_cmp_lt_f64_e32 vcc_lo, v[19:20], v[21:22]
	v_cndmask_b32_e32 v1, v1, v16, vcc_lo
	v_cndmask_b32_e32 v0, v0, v15, vcc_lo
	;; [unrolled: 1-line block ×4, first 2 shown]
	v_cndmask_b32_e64 v9, v9, s16, vcc_lo
	s_add_i32 s16, s16, 1
	s_cmp_lg_u32 s56, s16
	s_cbranch_scc1 .LBB120_601
.LBB120_602:
	s_inst_prefetch 0x2
	s_waitcnt lgkmcnt(0)
	v_cmp_eq_f64_e32 vcc_lo, 0, v[0:1]
	v_cmp_eq_f64_e64 s4, 0, v[2:3]
	s_and_b32 s4, vcc_lo, s4
	s_and_saveexec_b32 s16, s4
	s_xor_b32 s4, exec_lo, s16
; %bb.603:
	v_cmp_ne_u32_e32 vcc_lo, 0, v12
	v_cndmask_b32_e32 v12, 25, v12, vcc_lo
; %bb.604:
	s_andn2_saveexec_b32 s4, s4
	s_cbranch_execz .LBB120_610
; %bb.605:
	v_cmp_ngt_f64_e64 s16, |v[0:1]|, |v[2:3]|
	s_and_saveexec_b32 s17, s16
	s_xor_b32 s16, exec_lo, s17
	s_cbranch_execz .LBB120_607
; %bb.606:
	v_div_scale_f64 v[15:16], null, v[2:3], v[2:3], v[0:1]
	v_div_scale_f64 v[21:22], vcc_lo, v[0:1], v[2:3], v[0:1]
	v_rcp_f64_e32 v[17:18], v[15:16]
	v_fma_f64 v[19:20], -v[15:16], v[17:18], 1.0
	v_fma_f64 v[17:18], v[17:18], v[19:20], v[17:18]
	v_fma_f64 v[19:20], -v[15:16], v[17:18], 1.0
	v_fma_f64 v[17:18], v[17:18], v[19:20], v[17:18]
	v_mul_f64 v[19:20], v[21:22], v[17:18]
	v_fma_f64 v[15:16], -v[15:16], v[19:20], v[21:22]
	v_div_fmas_f64 v[15:16], v[15:16], v[17:18], v[19:20]
	v_div_fixup_f64 v[15:16], v[15:16], v[2:3], v[0:1]
	v_fma_f64 v[0:1], v[0:1], v[15:16], v[2:3]
	v_div_scale_f64 v[2:3], null, v[0:1], v[0:1], 1.0
	v_rcp_f64_e32 v[17:18], v[2:3]
	v_fma_f64 v[19:20], -v[2:3], v[17:18], 1.0
	v_fma_f64 v[17:18], v[17:18], v[19:20], v[17:18]
	v_fma_f64 v[19:20], -v[2:3], v[17:18], 1.0
	v_fma_f64 v[17:18], v[17:18], v[19:20], v[17:18]
	v_div_scale_f64 v[19:20], vcc_lo, 1.0, v[0:1], 1.0
	v_mul_f64 v[21:22], v[19:20], v[17:18]
	v_fma_f64 v[2:3], -v[2:3], v[21:22], v[19:20]
	v_div_fmas_f64 v[2:3], v[2:3], v[17:18], v[21:22]
	v_div_fixup_f64 v[2:3], v[2:3], v[0:1], 1.0
	v_mul_f64 v[0:1], v[15:16], v[2:3]
	v_xor_b32_e32 v3, 0x80000000, v3
.LBB120_607:
	s_andn2_saveexec_b32 s16, s16
	s_cbranch_execz .LBB120_609
; %bb.608:
	v_div_scale_f64 v[15:16], null, v[0:1], v[0:1], v[2:3]
	v_div_scale_f64 v[21:22], vcc_lo, v[2:3], v[0:1], v[2:3]
	v_rcp_f64_e32 v[17:18], v[15:16]
	v_fma_f64 v[19:20], -v[15:16], v[17:18], 1.0
	v_fma_f64 v[17:18], v[17:18], v[19:20], v[17:18]
	v_fma_f64 v[19:20], -v[15:16], v[17:18], 1.0
	v_fma_f64 v[17:18], v[17:18], v[19:20], v[17:18]
	v_mul_f64 v[19:20], v[21:22], v[17:18]
	v_fma_f64 v[15:16], -v[15:16], v[19:20], v[21:22]
	v_div_fmas_f64 v[15:16], v[15:16], v[17:18], v[19:20]
	v_div_fixup_f64 v[15:16], v[15:16], v[0:1], v[2:3]
	v_fma_f64 v[0:1], v[2:3], v[15:16], v[0:1]
	v_div_scale_f64 v[2:3], null, v[0:1], v[0:1], 1.0
	v_rcp_f64_e32 v[17:18], v[2:3]
	v_fma_f64 v[19:20], -v[2:3], v[17:18], 1.0
	v_fma_f64 v[17:18], v[17:18], v[19:20], v[17:18]
	v_fma_f64 v[19:20], -v[2:3], v[17:18], 1.0
	v_fma_f64 v[17:18], v[17:18], v[19:20], v[17:18]
	v_div_scale_f64 v[19:20], vcc_lo, 1.0, v[0:1], 1.0
	v_mul_f64 v[21:22], v[19:20], v[17:18]
	v_fma_f64 v[2:3], -v[2:3], v[21:22], v[19:20]
	v_div_fmas_f64 v[2:3], v[2:3], v[17:18], v[21:22]
	v_div_fixup_f64 v[0:1], v[2:3], v[0:1], 1.0
	v_mul_f64 v[2:3], v[15:16], -v[0:1]
.LBB120_609:
	s_or_b32 exec_lo, exec_lo, s16
.LBB120_610:
	s_or_b32 exec_lo, exec_lo, s4
	s_mov_b32 s4, exec_lo
	v_cmpx_ne_u32_e64 v14, v9
	s_xor_b32 s4, exec_lo, s4
	s_cbranch_execz .LBB120_616
; %bb.611:
	s_mov_b32 s16, exec_lo
	v_cmpx_eq_u32_e32 24, v14
	s_cbranch_execz .LBB120_615
; %bb.612:
	v_cmp_ne_u32_e32 vcc_lo, 24, v9
	s_xor_b32 s17, s20, -1
	s_and_b32 s57, s17, vcc_lo
	s_and_saveexec_b32 s17, s57
	s_cbranch_execz .LBB120_614
; %bb.613:
	v_ashrrev_i32_e32 v10, 31, v9
	v_lshlrev_b64 v[14:15], 2, v[9:10]
	v_add_co_u32 v14, vcc_lo, v7, v14
	v_add_co_ci_u32_e64 v15, null, v8, v15, vcc_lo
	s_clause 0x1
	global_load_dword v4, v[14:15], off
	global_load_dword v10, v[7:8], off offset:96
	s_waitcnt vmcnt(1)
	global_store_dword v[7:8], v4, off offset:96
	s_waitcnt vmcnt(0)
	global_store_dword v[14:15], v10, off
.LBB120_614:
	s_or_b32 exec_lo, exec_lo, s17
	v_mov_b32_e32 v14, v9
	v_mov_b32_e32 v10, v9
.LBB120_615:
	s_or_b32 exec_lo, exec_lo, s16
.LBB120_616:
	s_andn2_saveexec_b32 s4, s4
	s_cbranch_execz .LBB120_618
; %bb.617:
	v_mov_b32_e32 v4, s54
	v_mov_b32_e32 v9, s53
	;; [unrolled: 1-line block ×5, first 2 shown]
	s_clause 0x7
	buffer_load_dword v15, v4, s[0:3], 0 offen
	buffer_load_dword v16, v4, s[0:3], 0 offen offset:4
	buffer_load_dword v17, v4, s[0:3], 0 offen offset:8
	buffer_load_dword v18, v4, s[0:3], 0 offen offset:12
	buffer_load_dword v19, v9, s[0:3], 0 offen
	buffer_load_dword v20, v9, s[0:3], 0 offen offset:4
	buffer_load_dword v21, v9, s[0:3], 0 offen offset:8
	buffer_load_dword v22, v9, s[0:3], 0 offen offset:12
	v_mov_b32_e32 v9, s50
	v_mov_b32_e32 v4, s51
	s_clause 0x7
	buffer_load_dword v23, v14, s[0:3], 0 offen
	buffer_load_dword v24, v14, s[0:3], 0 offen offset:4
	buffer_load_dword v25, v14, s[0:3], 0 offen offset:8
	buffer_load_dword v26, v14, s[0:3], 0 offen offset:12
	buffer_load_dword v27, v4, s[0:3], 0 offen
	buffer_load_dword v28, v4, s[0:3], 0 offen offset:4
	buffer_load_dword v29, v4, s[0:3], 0 offen offset:8
	buffer_load_dword v30, v4, s[0:3], 0 offen offset:12
	v_mov_b32_e32 v4, s49
	v_mov_b32_e32 v14, s48
	;; [unrolled: 11-line block ×5, first 2 shown]
	s_clause 0x7
	buffer_load_dword v55, v14, s[0:3], 0 offen
	buffer_load_dword v56, v14, s[0:3], 0 offen offset:4
	buffer_load_dword v57, v14, s[0:3], 0 offen offset:8
	;; [unrolled: 1-line block ×3, first 2 shown]
	buffer_load_dword v59, v4, s[0:3], 0 offen
	buffer_load_dword v60, v4, s[0:3], 0 offen offset:4
	buffer_load_dword v61, v4, s[0:3], 0 offen offset:8
	;; [unrolled: 1-line block ×3, first 2 shown]
	v_mov_b32_e32 v4, s41
	s_clause 0x7
	buffer_load_dword v63, v9, s[0:3], 0 offen
	buffer_load_dword v64, v9, s[0:3], 0 offen offset:4
	buffer_load_dword v65, v9, s[0:3], 0 offen offset:8
	;; [unrolled: 1-line block ×3, first 2 shown]
	buffer_load_dword v67, v4, s[0:3], 0 offen
	buffer_load_dword v68, v4, s[0:3], 0 offen offset:4
	buffer_load_dword v69, v4, s[0:3], 0 offen offset:8
	;; [unrolled: 1-line block ×3, first 2 shown]
	v_mov_b32_e32 v4, s40
	v_mov_b32_e32 v9, s39
	;; [unrolled: 1-line block ×20, first 2 shown]
	s_clause 0x3e
	buffer_load_dword v71, v4, s[0:3], 0 offen
	buffer_load_dword v72, v4, s[0:3], 0 offen offset:4
	buffer_load_dword v73, v4, s[0:3], 0 offen offset:8
	buffer_load_dword v74, v4, s[0:3], 0 offen offset:12
	buffer_load_dword v75, v9, s[0:3], 0 offen
	buffer_load_dword v76, v9, s[0:3], 0 offen offset:4
	buffer_load_dword v77, v9, s[0:3], 0 offen offset:8
	buffer_load_dword v78, v9, s[0:3], 0 offen offset:12
	;; [unrolled: 4-line block ×15, first 2 shown]
	buffer_load_dword v131, v134, s[0:3], 0 offen
	buffer_load_dword v132, v134, s[0:3], 0 offen offset:4
	buffer_load_dword v133, v134, s[0:3], 0 offen offset:8
	s_clause 0x18
	buffer_load_dword v134, v134, s[0:3], 0 offen offset:12
	buffer_load_dword v135, v138, s[0:3], 0 offen
	buffer_load_dword v136, v138, s[0:3], 0 offen offset:4
	buffer_load_dword v137, v138, s[0:3], 0 offen offset:8
	buffer_load_dword v138, v138, s[0:3], 0 offen offset:12
	buffer_load_dword v139, v142, s[0:3], 0 offen
	buffer_load_dword v140, v142, s[0:3], 0 offen offset:4
	buffer_load_dword v141, v142, s[0:3], 0 offen offset:8
	;; [unrolled: 4-line block ×6, first 2 shown]
	buffer_load_dword v161, v161, s[0:3], 0 offen offset:12
	v_mov_b32_e32 v14, 24
	s_waitcnt vmcnt(62)
	ds_write2_b64 v11, v[15:16], v[17:18] offset0:50 offset1:51
	ds_write2_b64 v11, v[19:20], v[21:22] offset0:52 offset1:53
	;; [unrolled: 1-line block ×20, first 2 shown]
	s_waitcnt vmcnt(60)
	ds_write2_b64 v11, v[95:96], v[97:98] offset0:90 offset1:91
	s_waitcnt vmcnt(56)
	ds_write2_b64 v11, v[99:100], v[101:102] offset0:92 offset1:93
	;; [unrolled: 2-line block ×16, first 2 shown]
.LBB120_618:
	s_or_b32 exec_lo, exec_lo, s4
	s_mov_b32 s4, exec_lo
	s_waitcnt lgkmcnt(0)
	s_waitcnt_vscnt null, 0x0
	s_barrier
	buffer_gl0_inv
	v_cmpx_lt_i32_e32 24, v14
	s_cbranch_execz .LBB120_621
; %bb.619:
	s_clause 0x3
	buffer_load_dword v15, off, s[0:3], 0 offset:392
	buffer_load_dword v16, off, s[0:3], 0 offset:396
	;; [unrolled: 1-line block ×4, first 2 shown]
	s_movk_i32 s80, 0x190
	s_waitcnt vmcnt(2)
	v_mul_f64 v[19:20], v[2:3], v[15:16]
	v_mul_f64 v[15:16], v[0:1], v[15:16]
	s_waitcnt vmcnt(0)
	v_fma_f64 v[0:1], v[0:1], v[17:18], -v[19:20]
	v_fma_f64 v[2:3], v[2:3], v[17:18], v[15:16]
	buffer_store_dword v0, off, s[0:3], 0 offset:384
	buffer_store_dword v1, off, s[0:3], 0 offset:388
	;; [unrolled: 1-line block ×4, first 2 shown]
.LBB120_620:                            ; =>This Inner Loop Header: Depth=1
	s_clause 0x3
	buffer_load_dword v19, off, s[0:3], 0 offset:392
	buffer_load_dword v20, off, s[0:3], 0 offset:396
	;; [unrolled: 1-line block ×4, first 2 shown]
	v_mov_b32_e32 v4, s80
	v_add_nc_u32_e32 v9, s80, v11
	s_addk_i32 s80, 0x60
	s_clause 0x3
	buffer_load_dword v23, v4, s[0:3], 0 offen
	buffer_load_dword v24, v4, s[0:3], 0 offen offset:4
	buffer_load_dword v25, v4, s[0:3], 0 offen offset:8
	;; [unrolled: 1-line block ×3, first 2 shown]
	ds_read2_b64 v[0:3], v9 offset1:1
	s_clause 0x3
	buffer_load_dword v27, v4, s[0:3], 0 offen offset:16
	buffer_load_dword v28, v4, s[0:3], 0 offen offset:20
	buffer_load_dword v29, v4, s[0:3], 0 offen offset:24
	buffer_load_dword v30, v4, s[0:3], 0 offen offset:28
	ds_read2_b64 v[15:18], v9 offset0:2 offset1:3
	s_cmpk_lg_i32 s80, 0x3d0
	s_waitcnt vmcnt(10) lgkmcnt(1)
	v_mul_f64 v[31:32], v[2:3], v[19:20]
	v_mul_f64 v[19:20], v[0:1], v[19:20]
	s_waitcnt vmcnt(8)
	v_fma_f64 v[0:1], v[0:1], v[21:22], -v[31:32]
	v_fma_f64 v[2:3], v[2:3], v[21:22], v[19:20]
	s_waitcnt vmcnt(6)
	v_add_f64 v[0:1], v[23:24], -v[0:1]
	s_waitcnt vmcnt(4)
	v_add_f64 v[2:3], v[25:26], -v[2:3]
	buffer_store_dword v1, v4, s[0:3], 0 offen offset:4
	buffer_store_dword v0, v4, s[0:3], 0 offen
	buffer_store_dword v3, v4, s[0:3], 0 offen offset:12
	buffer_store_dword v2, v4, s[0:3], 0 offen offset:8
	s_clause 0x3
	buffer_load_dword v1, off, s[0:3], 0 offset:396
	buffer_load_dword v0, off, s[0:3], 0 offset:392
	;; [unrolled: 1-line block ×4, first 2 shown]
	s_waitcnt vmcnt(2) lgkmcnt(0)
	v_mul_f64 v[19:20], v[17:18], v[0:1]
	v_mul_f64 v[0:1], v[15:16], v[0:1]
	s_waitcnt vmcnt(0)
	v_fma_f64 v[15:16], v[15:16], v[2:3], -v[19:20]
	v_fma_f64 v[0:1], v[17:18], v[2:3], v[0:1]
	s_clause 0x3
	buffer_load_dword v19, v4, s[0:3], 0 offen offset:32
	buffer_load_dword v20, v4, s[0:3], 0 offen offset:36
	;; [unrolled: 1-line block ×4, first 2 shown]
	v_add_f64 v[2:3], v[27:28], -v[15:16]
	v_add_f64 v[0:1], v[29:30], -v[0:1]
	buffer_store_dword v3, v4, s[0:3], 0 offen offset:20
	buffer_store_dword v2, v4, s[0:3], 0 offen offset:16
	;; [unrolled: 1-line block ×4, first 2 shown]
	s_clause 0x3
	buffer_load_dword v23, off, s[0:3], 0 offset:392
	buffer_load_dword v24, off, s[0:3], 0 offset:396
	;; [unrolled: 1-line block ×4, first 2 shown]
	ds_read2_b64 v[0:3], v9 offset0:4 offset1:5
	ds_read2_b64 v[15:18], v9 offset0:6 offset1:7
	s_waitcnt vmcnt(2) lgkmcnt(1)
	v_mul_f64 v[27:28], v[2:3], v[23:24]
	v_mul_f64 v[23:24], v[0:1], v[23:24]
	s_waitcnt vmcnt(0)
	v_fma_f64 v[0:1], v[0:1], v[25:26], -v[27:28]
	v_fma_f64 v[2:3], v[2:3], v[25:26], v[23:24]
	v_add_f64 v[0:1], v[19:20], -v[0:1]
	v_add_f64 v[2:3], v[21:22], -v[2:3]
	buffer_store_dword v1, v4, s[0:3], 0 offen offset:36
	buffer_store_dword v0, v4, s[0:3], 0 offen offset:32
	;; [unrolled: 1-line block ×4, first 2 shown]
	s_clause 0x7
	buffer_load_dword v0, off, s[0:3], 0 offset:392
	buffer_load_dword v1, off, s[0:3], 0 offset:396
	;; [unrolled: 1-line block ×4, first 2 shown]
	buffer_load_dword v19, v4, s[0:3], 0 offen offset:48
	buffer_load_dword v20, v4, s[0:3], 0 offen offset:52
	;; [unrolled: 1-line block ×4, first 2 shown]
	s_waitcnt vmcnt(6) lgkmcnt(0)
	v_mul_f64 v[23:24], v[17:18], v[0:1]
	v_mul_f64 v[0:1], v[15:16], v[0:1]
	s_waitcnt vmcnt(4)
	v_fma_f64 v[15:16], v[15:16], v[2:3], -v[23:24]
	v_fma_f64 v[0:1], v[17:18], v[2:3], v[0:1]
	s_waitcnt vmcnt(2)
	v_add_f64 v[2:3], v[19:20], -v[15:16]
	s_waitcnt vmcnt(0)
	v_add_f64 v[0:1], v[21:22], -v[0:1]
	buffer_store_dword v3, v4, s[0:3], 0 offen offset:52
	buffer_store_dword v2, v4, s[0:3], 0 offen offset:48
	;; [unrolled: 1-line block ×4, first 2 shown]
	s_clause 0x7
	buffer_load_dword v19, off, s[0:3], 0 offset:392
	buffer_load_dword v20, off, s[0:3], 0 offset:396
	;; [unrolled: 1-line block ×4, first 2 shown]
	buffer_load_dword v23, v4, s[0:3], 0 offen offset:64
	buffer_load_dword v24, v4, s[0:3], 0 offen offset:68
	;; [unrolled: 1-line block ×4, first 2 shown]
	ds_read2_b64 v[0:3], v9 offset0:8 offset1:9
	ds_read2_b64 v[15:18], v9 offset0:10 offset1:11
	s_waitcnt vmcnt(6) lgkmcnt(1)
	v_mul_f64 v[27:28], v[2:3], v[19:20]
	v_mul_f64 v[19:20], v[0:1], v[19:20]
	s_waitcnt vmcnt(4)
	v_fma_f64 v[0:1], v[0:1], v[21:22], -v[27:28]
	v_fma_f64 v[2:3], v[2:3], v[21:22], v[19:20]
	s_waitcnt vmcnt(2)
	v_add_f64 v[0:1], v[23:24], -v[0:1]
	s_waitcnt vmcnt(0)
	v_add_f64 v[2:3], v[25:26], -v[2:3]
	buffer_store_dword v1, v4, s[0:3], 0 offen offset:68
	buffer_store_dword v0, v4, s[0:3], 0 offen offset:64
	;; [unrolled: 1-line block ×4, first 2 shown]
	s_clause 0x7
	buffer_load_dword v0, off, s[0:3], 0 offset:392
	buffer_load_dword v1, off, s[0:3], 0 offset:396
	;; [unrolled: 1-line block ×4, first 2 shown]
	buffer_load_dword v19, v4, s[0:3], 0 offen offset:80
	buffer_load_dword v20, v4, s[0:3], 0 offen offset:84
	;; [unrolled: 1-line block ×4, first 2 shown]
	s_waitcnt vmcnt(6) lgkmcnt(0)
	v_mul_f64 v[23:24], v[17:18], v[0:1]
	v_mul_f64 v[0:1], v[15:16], v[0:1]
	s_waitcnt vmcnt(4)
	v_fma_f64 v[15:16], v[15:16], v[2:3], -v[23:24]
	v_fma_f64 v[0:1], v[17:18], v[2:3], v[0:1]
	s_waitcnt vmcnt(2)
	v_add_f64 v[2:3], v[19:20], -v[15:16]
	s_waitcnt vmcnt(0)
	v_add_f64 v[0:1], v[21:22], -v[0:1]
	buffer_store_dword v3, v4, s[0:3], 0 offen offset:84
	buffer_store_dword v2, v4, s[0:3], 0 offen offset:80
	;; [unrolled: 1-line block ×4, first 2 shown]
	s_cbranch_scc1 .LBB120_620
.LBB120_621:
	s_or_b32 exec_lo, exec_lo, s4
	v_mov_b32_e32 v3, s54
	s_waitcnt_vscnt null, 0x0
	s_barrier
	buffer_gl0_inv
	v_lshl_add_u32 v4, v14, 4, v11
	s_clause 0x3
	buffer_load_dword v0, v3, s[0:3], 0 offen
	buffer_load_dword v1, v3, s[0:3], 0 offen offset:4
	buffer_load_dword v2, v3, s[0:3], 0 offen offset:8
	;; [unrolled: 1-line block ×3, first 2 shown]
	v_mov_b32_e32 v9, 25
	s_cmp_lt_i32 s56, 27
	s_waitcnt vmcnt(0)
	ds_write2_b64 v4, v[0:1], v[2:3] offset1:1
	s_waitcnt lgkmcnt(0)
	s_barrier
	buffer_gl0_inv
	ds_read2_b64 v[0:3], v11 offset0:50 offset1:51
	s_cbranch_scc1 .LBB120_624
; %bb.622:
	v_add3_u32 v4, v13, 0, 0x1a0
	v_mov_b32_e32 v9, 25
	s_mov_b32 s16, 26
	s_inst_prefetch 0x1
	.p2align	6
.LBB120_623:                            ; =>This Inner Loop Header: Depth=1
	s_waitcnt lgkmcnt(0)
	v_cmp_gt_f64_e32 vcc_lo, 0, v[2:3]
	v_cmp_gt_f64_e64 s4, 0, v[0:1]
	ds_read2_b64 v[15:18], v4 offset1:1
	v_xor_b32_e32 v20, 0x80000000, v1
	v_xor_b32_e32 v22, 0x80000000, v3
	v_mov_b32_e32 v19, v0
	v_mov_b32_e32 v21, v2
	v_add_nc_u32_e32 v4, 16, v4
	s_waitcnt lgkmcnt(0)
	v_xor_b32_e32 v24, 0x80000000, v18
	v_cndmask_b32_e64 v20, v1, v20, s4
	v_cndmask_b32_e32 v22, v3, v22, vcc_lo
	v_cmp_gt_f64_e32 vcc_lo, 0, v[17:18]
	v_cmp_gt_f64_e64 s4, 0, v[15:16]
	v_mov_b32_e32 v23, v17
	v_add_f64 v[19:20], v[19:20], v[21:22]
	v_xor_b32_e32 v22, 0x80000000, v16
	v_mov_b32_e32 v21, v15
	v_cndmask_b32_e32 v24, v18, v24, vcc_lo
	v_cndmask_b32_e64 v22, v16, v22, s4
	v_add_f64 v[21:22], v[21:22], v[23:24]
	v_cmp_lt_f64_e32 vcc_lo, v[19:20], v[21:22]
	v_cndmask_b32_e32 v1, v1, v16, vcc_lo
	v_cndmask_b32_e32 v0, v0, v15, vcc_lo
	;; [unrolled: 1-line block ×4, first 2 shown]
	v_cndmask_b32_e64 v9, v9, s16, vcc_lo
	s_add_i32 s16, s16, 1
	s_cmp_lg_u32 s56, s16
	s_cbranch_scc1 .LBB120_623
.LBB120_624:
	s_inst_prefetch 0x2
	s_waitcnt lgkmcnt(0)
	v_cmp_eq_f64_e32 vcc_lo, 0, v[0:1]
	v_cmp_eq_f64_e64 s4, 0, v[2:3]
	s_and_b32 s4, vcc_lo, s4
	s_and_saveexec_b32 s16, s4
	s_xor_b32 s4, exec_lo, s16
; %bb.625:
	v_cmp_ne_u32_e32 vcc_lo, 0, v12
	v_cndmask_b32_e32 v12, 26, v12, vcc_lo
; %bb.626:
	s_andn2_saveexec_b32 s4, s4
	s_cbranch_execz .LBB120_632
; %bb.627:
	v_cmp_ngt_f64_e64 s16, |v[0:1]|, |v[2:3]|
	s_and_saveexec_b32 s17, s16
	s_xor_b32 s16, exec_lo, s17
	s_cbranch_execz .LBB120_629
; %bb.628:
	v_div_scale_f64 v[15:16], null, v[2:3], v[2:3], v[0:1]
	v_div_scale_f64 v[21:22], vcc_lo, v[0:1], v[2:3], v[0:1]
	v_rcp_f64_e32 v[17:18], v[15:16]
	v_fma_f64 v[19:20], -v[15:16], v[17:18], 1.0
	v_fma_f64 v[17:18], v[17:18], v[19:20], v[17:18]
	v_fma_f64 v[19:20], -v[15:16], v[17:18], 1.0
	v_fma_f64 v[17:18], v[17:18], v[19:20], v[17:18]
	v_mul_f64 v[19:20], v[21:22], v[17:18]
	v_fma_f64 v[15:16], -v[15:16], v[19:20], v[21:22]
	v_div_fmas_f64 v[15:16], v[15:16], v[17:18], v[19:20]
	v_div_fixup_f64 v[15:16], v[15:16], v[2:3], v[0:1]
	v_fma_f64 v[0:1], v[0:1], v[15:16], v[2:3]
	v_div_scale_f64 v[2:3], null, v[0:1], v[0:1], 1.0
	v_rcp_f64_e32 v[17:18], v[2:3]
	v_fma_f64 v[19:20], -v[2:3], v[17:18], 1.0
	v_fma_f64 v[17:18], v[17:18], v[19:20], v[17:18]
	v_fma_f64 v[19:20], -v[2:3], v[17:18], 1.0
	v_fma_f64 v[17:18], v[17:18], v[19:20], v[17:18]
	v_div_scale_f64 v[19:20], vcc_lo, 1.0, v[0:1], 1.0
	v_mul_f64 v[21:22], v[19:20], v[17:18]
	v_fma_f64 v[2:3], -v[2:3], v[21:22], v[19:20]
	v_div_fmas_f64 v[2:3], v[2:3], v[17:18], v[21:22]
	v_div_fixup_f64 v[2:3], v[2:3], v[0:1], 1.0
	v_mul_f64 v[0:1], v[15:16], v[2:3]
	v_xor_b32_e32 v3, 0x80000000, v3
.LBB120_629:
	s_andn2_saveexec_b32 s16, s16
	s_cbranch_execz .LBB120_631
; %bb.630:
	v_div_scale_f64 v[15:16], null, v[0:1], v[0:1], v[2:3]
	v_div_scale_f64 v[21:22], vcc_lo, v[2:3], v[0:1], v[2:3]
	v_rcp_f64_e32 v[17:18], v[15:16]
	v_fma_f64 v[19:20], -v[15:16], v[17:18], 1.0
	v_fma_f64 v[17:18], v[17:18], v[19:20], v[17:18]
	v_fma_f64 v[19:20], -v[15:16], v[17:18], 1.0
	v_fma_f64 v[17:18], v[17:18], v[19:20], v[17:18]
	v_mul_f64 v[19:20], v[21:22], v[17:18]
	v_fma_f64 v[15:16], -v[15:16], v[19:20], v[21:22]
	v_div_fmas_f64 v[15:16], v[15:16], v[17:18], v[19:20]
	v_div_fixup_f64 v[15:16], v[15:16], v[0:1], v[2:3]
	v_fma_f64 v[0:1], v[2:3], v[15:16], v[0:1]
	v_div_scale_f64 v[2:3], null, v[0:1], v[0:1], 1.0
	v_rcp_f64_e32 v[17:18], v[2:3]
	v_fma_f64 v[19:20], -v[2:3], v[17:18], 1.0
	v_fma_f64 v[17:18], v[17:18], v[19:20], v[17:18]
	v_fma_f64 v[19:20], -v[2:3], v[17:18], 1.0
	v_fma_f64 v[17:18], v[17:18], v[19:20], v[17:18]
	v_div_scale_f64 v[19:20], vcc_lo, 1.0, v[0:1], 1.0
	v_mul_f64 v[21:22], v[19:20], v[17:18]
	v_fma_f64 v[2:3], -v[2:3], v[21:22], v[19:20]
	v_div_fmas_f64 v[2:3], v[2:3], v[17:18], v[21:22]
	v_div_fixup_f64 v[0:1], v[2:3], v[0:1], 1.0
	v_mul_f64 v[2:3], v[15:16], -v[0:1]
.LBB120_631:
	s_or_b32 exec_lo, exec_lo, s16
.LBB120_632:
	s_or_b32 exec_lo, exec_lo, s4
	s_mov_b32 s4, exec_lo
	v_cmpx_ne_u32_e64 v14, v9
	s_xor_b32 s4, exec_lo, s4
	s_cbranch_execz .LBB120_638
; %bb.633:
	s_mov_b32 s16, exec_lo
	v_cmpx_eq_u32_e32 25, v14
	s_cbranch_execz .LBB120_637
; %bb.634:
	v_cmp_ne_u32_e32 vcc_lo, 25, v9
	s_xor_b32 s17, s20, -1
	s_and_b32 s57, s17, vcc_lo
	s_and_saveexec_b32 s17, s57
	s_cbranch_execz .LBB120_636
; %bb.635:
	v_ashrrev_i32_e32 v10, 31, v9
	v_lshlrev_b64 v[14:15], 2, v[9:10]
	v_add_co_u32 v14, vcc_lo, v7, v14
	v_add_co_ci_u32_e64 v15, null, v8, v15, vcc_lo
	s_clause 0x1
	global_load_dword v4, v[14:15], off
	global_load_dword v10, v[7:8], off offset:100
	s_waitcnt vmcnt(1)
	global_store_dword v[7:8], v4, off offset:100
	s_waitcnt vmcnt(0)
	global_store_dword v[14:15], v10, off
.LBB120_636:
	s_or_b32 exec_lo, exec_lo, s17
	v_mov_b32_e32 v14, v9
	v_mov_b32_e32 v10, v9
.LBB120_637:
	s_or_b32 exec_lo, exec_lo, s16
.LBB120_638:
	s_andn2_saveexec_b32 s4, s4
	s_cbranch_execz .LBB120_640
; %bb.639:
	v_mov_b32_e32 v4, s53
	v_mov_b32_e32 v14, s51
	;; [unrolled: 1-line block ×5, first 2 shown]
	s_clause 0x7
	buffer_load_dword v15, v4, s[0:3], 0 offen
	buffer_load_dword v16, v4, s[0:3], 0 offen offset:4
	buffer_load_dword v17, v4, s[0:3], 0 offen offset:8
	buffer_load_dword v18, v4, s[0:3], 0 offen offset:12
	buffer_load_dword v19, v9, s[0:3], 0 offen
	buffer_load_dword v20, v9, s[0:3], 0 offen offset:4
	buffer_load_dword v21, v9, s[0:3], 0 offen offset:8
	;; [unrolled: 1-line block ×3, first 2 shown]
	v_mov_b32_e32 v4, s50
	v_mov_b32_e32 v9, s49
	s_clause 0x7
	buffer_load_dword v23, v14, s[0:3], 0 offen
	buffer_load_dword v24, v14, s[0:3], 0 offen offset:4
	buffer_load_dword v25, v14, s[0:3], 0 offen offset:8
	;; [unrolled: 1-line block ×3, first 2 shown]
	buffer_load_dword v27, v4, s[0:3], 0 offen
	buffer_load_dword v28, v4, s[0:3], 0 offen offset:4
	buffer_load_dword v29, v4, s[0:3], 0 offen offset:8
	;; [unrolled: 1-line block ×3, first 2 shown]
	v_mov_b32_e32 v14, s47
	v_mov_b32_e32 v4, s48
	s_clause 0x7
	buffer_load_dword v31, v9, s[0:3], 0 offen
	buffer_load_dword v32, v9, s[0:3], 0 offen offset:4
	buffer_load_dword v33, v9, s[0:3], 0 offen offset:8
	;; [unrolled: 1-line block ×3, first 2 shown]
	buffer_load_dword v35, v4, s[0:3], 0 offen
	buffer_load_dword v36, v4, s[0:3], 0 offen offset:4
	buffer_load_dword v37, v4, s[0:3], 0 offen offset:8
	;; [unrolled: 1-line block ×3, first 2 shown]
	v_mov_b32_e32 v4, s46
	s_clause 0x7
	buffer_load_dword v39, v14, s[0:3], 0 offen
	buffer_load_dword v40, v14, s[0:3], 0 offen offset:4
	buffer_load_dword v41, v14, s[0:3], 0 offen offset:8
	;; [unrolled: 1-line block ×3, first 2 shown]
	buffer_load_dword v43, v4, s[0:3], 0 offen
	buffer_load_dword v44, v4, s[0:3], 0 offen offset:4
	buffer_load_dword v45, v4, s[0:3], 0 offen offset:8
	;; [unrolled: 1-line block ×3, first 2 shown]
	v_mov_b32_e32 v4, s45
	v_mov_b32_e32 v9, s44
	;; [unrolled: 1-line block ×24, first 2 shown]
	s_clause 0x3e
	buffer_load_dword v47, v4, s[0:3], 0 offen
	buffer_load_dword v48, v4, s[0:3], 0 offen offset:4
	buffer_load_dword v49, v4, s[0:3], 0 offen offset:8
	buffer_load_dword v50, v4, s[0:3], 0 offen offset:12
	buffer_load_dword v51, v9, s[0:3], 0 offen
	buffer_load_dword v52, v9, s[0:3], 0 offen offset:4
	buffer_load_dword v53, v9, s[0:3], 0 offen offset:8
	buffer_load_dword v54, v9, s[0:3], 0 offen offset:12
	;; [unrolled: 4-line block ×15, first 2 shown]
	buffer_load_dword v107, v110, s[0:3], 0 offen
	buffer_load_dword v108, v110, s[0:3], 0 offen offset:4
	buffer_load_dword v109, v110, s[0:3], 0 offen offset:8
	s_clause 0x20
	buffer_load_dword v110, v110, s[0:3], 0 offen offset:12
	buffer_load_dword v111, v114, s[0:3], 0 offen
	buffer_load_dword v112, v114, s[0:3], 0 offen offset:4
	buffer_load_dword v113, v114, s[0:3], 0 offen offset:8
	buffer_load_dword v114, v114, s[0:3], 0 offen offset:12
	buffer_load_dword v115, v118, s[0:3], 0 offen
	buffer_load_dword v116, v118, s[0:3], 0 offen offset:4
	buffer_load_dword v117, v118, s[0:3], 0 offen offset:8
	;; [unrolled: 4-line block ×8, first 2 shown]
	buffer_load_dword v142, v142, s[0:3], 0 offen offset:12
	v_mov_b32_e32 v4, s5
	s_clause 0xb
	buffer_load_dword v146, v143, s[0:3], 0 offen
	buffer_load_dword v147, v143, s[0:3], 0 offen offset:4
	buffer_load_dword v148, v143, s[0:3], 0 offen offset:8
	buffer_load_dword v149, v143, s[0:3], 0 offen offset:12
	buffer_load_dword v150, v153, s[0:3], 0 offen
	buffer_load_dword v151, v153, s[0:3], 0 offen offset:4
	buffer_load_dword v152, v153, s[0:3], 0 offen offset:8
	buffer_load_dword v153, v153, s[0:3], 0 offen offset:12
	;; [unrolled: 4-line block ×3, first 2 shown]
	v_mov_b32_e32 v14, 25
	s_waitcnt vmcnt(62)
	ds_write2_b64 v11, v[15:16], v[17:18] offset0:52 offset1:53
	ds_write2_b64 v11, v[19:20], v[21:22] offset0:54 offset1:55
	ds_write2_b64 v11, v[23:24], v[25:26] offset0:56 offset1:57
	ds_write2_b64 v11, v[27:28], v[29:30] offset0:58 offset1:59
	ds_write2_b64 v11, v[31:32], v[33:34] offset0:60 offset1:61
	ds_write2_b64 v11, v[35:36], v[37:38] offset0:62 offset1:63
	ds_write2_b64 v11, v[39:40], v[41:42] offset0:64 offset1:65
	ds_write2_b64 v11, v[43:44], v[45:46] offset0:66 offset1:67
	ds_write2_b64 v11, v[47:48], v[49:50] offset0:68 offset1:69
	ds_write2_b64 v11, v[51:52], v[53:54] offset0:70 offset1:71
	ds_write2_b64 v11, v[55:56], v[57:58] offset0:72 offset1:73
	ds_write2_b64 v11, v[59:60], v[61:62] offset0:74 offset1:75
	ds_write2_b64 v11, v[63:64], v[65:66] offset0:76 offset1:77
	ds_write2_b64 v11, v[67:68], v[69:70] offset0:78 offset1:79
	ds_write2_b64 v11, v[71:72], v[73:74] offset0:80 offset1:81
	ds_write2_b64 v11, v[75:76], v[77:78] offset0:82 offset1:83
	ds_write2_b64 v11, v[79:80], v[81:82] offset0:84 offset1:85
	ds_write2_b64 v11, v[83:84], v[85:86] offset0:86 offset1:87
	ds_write2_b64 v11, v[87:88], v[89:90] offset0:88 offset1:89
	s_waitcnt vmcnt(60)
	ds_write2_b64 v11, v[91:92], v[93:94] offset0:90 offset1:91
	s_waitcnt vmcnt(56)
	ds_write2_b64 v11, v[95:96], v[97:98] offset0:92 offset1:93
	;; [unrolled: 2-line block ×16, first 2 shown]
.LBB120_640:
	s_or_b32 exec_lo, exec_lo, s4
	s_mov_b32 s4, exec_lo
	s_waitcnt lgkmcnt(0)
	s_waitcnt_vscnt null, 0x0
	s_barrier
	buffer_gl0_inv
	v_cmpx_lt_i32_e32 25, v14
	s_cbranch_execz .LBB120_643
; %bb.641:
	s_clause 0x3
	buffer_load_dword v15, off, s[0:3], 0 offset:408
	buffer_load_dword v16, off, s[0:3], 0 offset:412
	;; [unrolled: 1-line block ×4, first 2 shown]
	s_movk_i32 s80, 0x1a0
	s_waitcnt vmcnt(2)
	v_mul_f64 v[19:20], v[2:3], v[15:16]
	v_mul_f64 v[15:16], v[0:1], v[15:16]
	s_waitcnt vmcnt(0)
	v_fma_f64 v[0:1], v[0:1], v[17:18], -v[19:20]
	v_fma_f64 v[2:3], v[2:3], v[17:18], v[15:16]
	buffer_store_dword v0, off, s[0:3], 0 offset:400
	buffer_store_dword v1, off, s[0:3], 0 offset:404
	;; [unrolled: 1-line block ×4, first 2 shown]
.LBB120_642:                            ; =>This Inner Loop Header: Depth=1
	s_clause 0x3
	buffer_load_dword v19, off, s[0:3], 0 offset:408
	buffer_load_dword v20, off, s[0:3], 0 offset:412
	;; [unrolled: 1-line block ×4, first 2 shown]
	v_mov_b32_e32 v4, s80
	v_add_nc_u32_e32 v9, s80, v11
	s_addk_i32 s80, 0x70
	s_clause 0x3
	buffer_load_dword v23, v4, s[0:3], 0 offen
	buffer_load_dword v24, v4, s[0:3], 0 offen offset:4
	buffer_load_dword v25, v4, s[0:3], 0 offen offset:8
	;; [unrolled: 1-line block ×3, first 2 shown]
	ds_read2_b64 v[0:3], v9 offset1:1
	s_clause 0x3
	buffer_load_dword v27, v4, s[0:3], 0 offen offset:16
	buffer_load_dword v28, v4, s[0:3], 0 offen offset:20
	buffer_load_dword v29, v4, s[0:3], 0 offen offset:24
	buffer_load_dword v30, v4, s[0:3], 0 offen offset:28
	ds_read2_b64 v[15:18], v9 offset0:2 offset1:3
	s_cmpk_lg_i32 s80, 0x3d0
	s_waitcnt vmcnt(10) lgkmcnt(1)
	v_mul_f64 v[31:32], v[2:3], v[19:20]
	v_mul_f64 v[19:20], v[0:1], v[19:20]
	s_waitcnt vmcnt(8)
	v_fma_f64 v[0:1], v[0:1], v[21:22], -v[31:32]
	v_fma_f64 v[2:3], v[2:3], v[21:22], v[19:20]
	s_waitcnt vmcnt(6)
	v_add_f64 v[0:1], v[23:24], -v[0:1]
	s_waitcnt vmcnt(4)
	v_add_f64 v[2:3], v[25:26], -v[2:3]
	buffer_store_dword v1, v4, s[0:3], 0 offen offset:4
	buffer_store_dword v0, v4, s[0:3], 0 offen
	buffer_store_dword v3, v4, s[0:3], 0 offen offset:12
	buffer_store_dword v2, v4, s[0:3], 0 offen offset:8
	s_clause 0x7
	buffer_load_dword v1, off, s[0:3], 0 offset:412
	buffer_load_dword v0, off, s[0:3], 0 offset:408
	;; [unrolled: 1-line block ×4, first 2 shown]
	buffer_load_dword v19, v4, s[0:3], 0 offen offset:32
	buffer_load_dword v20, v4, s[0:3], 0 offen offset:36
	;; [unrolled: 1-line block ×4, first 2 shown]
	s_waitcnt vmcnt(6) lgkmcnt(0)
	v_mul_f64 v[23:24], v[17:18], v[0:1]
	v_mul_f64 v[0:1], v[15:16], v[0:1]
	s_waitcnt vmcnt(4)
	v_fma_f64 v[15:16], v[15:16], v[2:3], -v[23:24]
	v_fma_f64 v[0:1], v[17:18], v[2:3], v[0:1]
	v_add_f64 v[2:3], v[27:28], -v[15:16]
	v_add_f64 v[0:1], v[29:30], -v[0:1]
	buffer_store_dword v3, v4, s[0:3], 0 offen offset:20
	buffer_store_dword v2, v4, s[0:3], 0 offen offset:16
	;; [unrolled: 1-line block ×4, first 2 shown]
	s_clause 0x3
	buffer_load_dword v23, off, s[0:3], 0 offset:408
	buffer_load_dword v24, off, s[0:3], 0 offset:412
	;; [unrolled: 1-line block ×4, first 2 shown]
	ds_read2_b64 v[0:3], v9 offset0:4 offset1:5
	ds_read2_b64 v[15:18], v9 offset0:6 offset1:7
	s_waitcnt vmcnt(2) lgkmcnt(1)
	v_mul_f64 v[27:28], v[2:3], v[23:24]
	v_mul_f64 v[23:24], v[0:1], v[23:24]
	s_waitcnt vmcnt(0)
	v_fma_f64 v[0:1], v[0:1], v[25:26], -v[27:28]
	v_fma_f64 v[2:3], v[2:3], v[25:26], v[23:24]
	v_add_f64 v[0:1], v[19:20], -v[0:1]
	v_add_f64 v[2:3], v[21:22], -v[2:3]
	buffer_store_dword v1, v4, s[0:3], 0 offen offset:36
	buffer_store_dword v0, v4, s[0:3], 0 offen offset:32
	;; [unrolled: 1-line block ×4, first 2 shown]
	s_clause 0x7
	buffer_load_dword v0, off, s[0:3], 0 offset:408
	buffer_load_dword v1, off, s[0:3], 0 offset:412
	;; [unrolled: 1-line block ×4, first 2 shown]
	buffer_load_dword v19, v4, s[0:3], 0 offen offset:48
	buffer_load_dword v20, v4, s[0:3], 0 offen offset:52
	buffer_load_dword v21, v4, s[0:3], 0 offen offset:56
	buffer_load_dword v22, v4, s[0:3], 0 offen offset:60
	s_waitcnt vmcnt(6) lgkmcnt(0)
	v_mul_f64 v[23:24], v[17:18], v[0:1]
	v_mul_f64 v[0:1], v[15:16], v[0:1]
	s_waitcnt vmcnt(4)
	v_fma_f64 v[15:16], v[15:16], v[2:3], -v[23:24]
	v_fma_f64 v[0:1], v[17:18], v[2:3], v[0:1]
	s_waitcnt vmcnt(2)
	v_add_f64 v[2:3], v[19:20], -v[15:16]
	s_waitcnt vmcnt(0)
	v_add_f64 v[0:1], v[21:22], -v[0:1]
	buffer_store_dword v3, v4, s[0:3], 0 offen offset:52
	buffer_store_dword v2, v4, s[0:3], 0 offen offset:48
	;; [unrolled: 1-line block ×4, first 2 shown]
	s_clause 0x7
	buffer_load_dword v19, off, s[0:3], 0 offset:408
	buffer_load_dword v20, off, s[0:3], 0 offset:412
	;; [unrolled: 1-line block ×4, first 2 shown]
	buffer_load_dword v23, v4, s[0:3], 0 offen offset:64
	buffer_load_dword v24, v4, s[0:3], 0 offen offset:68
	;; [unrolled: 1-line block ×4, first 2 shown]
	ds_read2_b64 v[0:3], v9 offset0:8 offset1:9
	ds_read2_b64 v[15:18], v9 offset0:10 offset1:11
	s_waitcnt vmcnt(6) lgkmcnt(1)
	v_mul_f64 v[27:28], v[2:3], v[19:20]
	v_mul_f64 v[19:20], v[0:1], v[19:20]
	s_waitcnt vmcnt(4)
	v_fma_f64 v[0:1], v[0:1], v[21:22], -v[27:28]
	v_fma_f64 v[2:3], v[2:3], v[21:22], v[19:20]
	s_waitcnt vmcnt(2)
	v_add_f64 v[0:1], v[23:24], -v[0:1]
	s_waitcnt vmcnt(0)
	v_add_f64 v[2:3], v[25:26], -v[2:3]
	buffer_store_dword v1, v4, s[0:3], 0 offen offset:68
	buffer_store_dword v0, v4, s[0:3], 0 offen offset:64
	;; [unrolled: 1-line block ×4, first 2 shown]
	s_clause 0x7
	buffer_load_dword v0, off, s[0:3], 0 offset:408
	buffer_load_dword v1, off, s[0:3], 0 offset:412
	;; [unrolled: 1-line block ×4, first 2 shown]
	buffer_load_dword v19, v4, s[0:3], 0 offen offset:80
	buffer_load_dword v20, v4, s[0:3], 0 offen offset:84
	;; [unrolled: 1-line block ×4, first 2 shown]
	s_waitcnt vmcnt(6) lgkmcnt(0)
	v_mul_f64 v[23:24], v[17:18], v[0:1]
	v_mul_f64 v[0:1], v[15:16], v[0:1]
	s_waitcnt vmcnt(4)
	v_fma_f64 v[15:16], v[15:16], v[2:3], -v[23:24]
	v_fma_f64 v[0:1], v[17:18], v[2:3], v[0:1]
	s_waitcnt vmcnt(2)
	v_add_f64 v[2:3], v[19:20], -v[15:16]
	s_waitcnt vmcnt(0)
	v_add_f64 v[0:1], v[21:22], -v[0:1]
	buffer_store_dword v3, v4, s[0:3], 0 offen offset:84
	buffer_store_dword v2, v4, s[0:3], 0 offen offset:80
	;; [unrolled: 1-line block ×4, first 2 shown]
	s_clause 0x7
	buffer_load_dword v15, off, s[0:3], 0 offset:408
	buffer_load_dword v16, off, s[0:3], 0 offset:412
	;; [unrolled: 1-line block ×4, first 2 shown]
	buffer_load_dword v19, v4, s[0:3], 0 offen offset:96
	buffer_load_dword v20, v4, s[0:3], 0 offen offset:100
	;; [unrolled: 1-line block ×4, first 2 shown]
	ds_read2_b64 v[0:3], v9 offset0:12 offset1:13
	s_waitcnt vmcnt(6) lgkmcnt(0)
	v_mul_f64 v[23:24], v[2:3], v[15:16]
	v_mul_f64 v[15:16], v[0:1], v[15:16]
	s_waitcnt vmcnt(4)
	v_fma_f64 v[0:1], v[0:1], v[17:18], -v[23:24]
	v_fma_f64 v[2:3], v[2:3], v[17:18], v[15:16]
	s_waitcnt vmcnt(2)
	v_add_f64 v[0:1], v[19:20], -v[0:1]
	s_waitcnt vmcnt(0)
	v_add_f64 v[2:3], v[21:22], -v[2:3]
	buffer_store_dword v1, v4, s[0:3], 0 offen offset:100
	buffer_store_dword v0, v4, s[0:3], 0 offen offset:96
	;; [unrolled: 1-line block ×4, first 2 shown]
	s_cbranch_scc1 .LBB120_642
.LBB120_643:
	s_or_b32 exec_lo, exec_lo, s4
	v_mov_b32_e32 v3, s53
	s_waitcnt_vscnt null, 0x0
	s_barrier
	buffer_gl0_inv
	v_lshl_add_u32 v4, v14, 4, v11
	s_clause 0x3
	buffer_load_dword v0, v3, s[0:3], 0 offen
	buffer_load_dword v1, v3, s[0:3], 0 offen offset:4
	buffer_load_dword v2, v3, s[0:3], 0 offen offset:8
	;; [unrolled: 1-line block ×3, first 2 shown]
	v_mov_b32_e32 v9, 26
	s_cmp_lt_i32 s56, 28
	s_waitcnt vmcnt(0)
	ds_write2_b64 v4, v[0:1], v[2:3] offset1:1
	s_waitcnt lgkmcnt(0)
	s_barrier
	buffer_gl0_inv
	ds_read2_b64 v[0:3], v11 offset0:52 offset1:53
	s_cbranch_scc1 .LBB120_646
; %bb.644:
	v_add3_u32 v4, v13, 0, 0x1b0
	v_mov_b32_e32 v9, 26
	s_mov_b32 s16, 27
	s_inst_prefetch 0x1
	.p2align	6
.LBB120_645:                            ; =>This Inner Loop Header: Depth=1
	s_waitcnt lgkmcnt(0)
	v_cmp_gt_f64_e32 vcc_lo, 0, v[2:3]
	v_cmp_gt_f64_e64 s4, 0, v[0:1]
	ds_read2_b64 v[15:18], v4 offset1:1
	v_xor_b32_e32 v20, 0x80000000, v1
	v_xor_b32_e32 v22, 0x80000000, v3
	v_mov_b32_e32 v19, v0
	v_mov_b32_e32 v21, v2
	v_add_nc_u32_e32 v4, 16, v4
	s_waitcnt lgkmcnt(0)
	v_xor_b32_e32 v24, 0x80000000, v18
	v_cndmask_b32_e64 v20, v1, v20, s4
	v_cndmask_b32_e32 v22, v3, v22, vcc_lo
	v_cmp_gt_f64_e32 vcc_lo, 0, v[17:18]
	v_cmp_gt_f64_e64 s4, 0, v[15:16]
	v_mov_b32_e32 v23, v17
	v_add_f64 v[19:20], v[19:20], v[21:22]
	v_xor_b32_e32 v22, 0x80000000, v16
	v_mov_b32_e32 v21, v15
	v_cndmask_b32_e32 v24, v18, v24, vcc_lo
	v_cndmask_b32_e64 v22, v16, v22, s4
	v_add_f64 v[21:22], v[21:22], v[23:24]
	v_cmp_lt_f64_e32 vcc_lo, v[19:20], v[21:22]
	v_cndmask_b32_e32 v1, v1, v16, vcc_lo
	v_cndmask_b32_e32 v0, v0, v15, vcc_lo
	v_cndmask_b32_e32 v3, v3, v18, vcc_lo
	v_cndmask_b32_e32 v2, v2, v17, vcc_lo
	v_cndmask_b32_e64 v9, v9, s16, vcc_lo
	s_add_i32 s16, s16, 1
	s_cmp_lg_u32 s56, s16
	s_cbranch_scc1 .LBB120_645
.LBB120_646:
	s_inst_prefetch 0x2
	s_waitcnt lgkmcnt(0)
	v_cmp_eq_f64_e32 vcc_lo, 0, v[0:1]
	v_cmp_eq_f64_e64 s4, 0, v[2:3]
	s_and_b32 s4, vcc_lo, s4
	s_and_saveexec_b32 s16, s4
	s_xor_b32 s4, exec_lo, s16
; %bb.647:
	v_cmp_ne_u32_e32 vcc_lo, 0, v12
	v_cndmask_b32_e32 v12, 27, v12, vcc_lo
; %bb.648:
	s_andn2_saveexec_b32 s4, s4
	s_cbranch_execz .LBB120_654
; %bb.649:
	v_cmp_ngt_f64_e64 s16, |v[0:1]|, |v[2:3]|
	s_and_saveexec_b32 s17, s16
	s_xor_b32 s16, exec_lo, s17
	s_cbranch_execz .LBB120_651
; %bb.650:
	v_div_scale_f64 v[15:16], null, v[2:3], v[2:3], v[0:1]
	v_div_scale_f64 v[21:22], vcc_lo, v[0:1], v[2:3], v[0:1]
	v_rcp_f64_e32 v[17:18], v[15:16]
	v_fma_f64 v[19:20], -v[15:16], v[17:18], 1.0
	v_fma_f64 v[17:18], v[17:18], v[19:20], v[17:18]
	v_fma_f64 v[19:20], -v[15:16], v[17:18], 1.0
	v_fma_f64 v[17:18], v[17:18], v[19:20], v[17:18]
	v_mul_f64 v[19:20], v[21:22], v[17:18]
	v_fma_f64 v[15:16], -v[15:16], v[19:20], v[21:22]
	v_div_fmas_f64 v[15:16], v[15:16], v[17:18], v[19:20]
	v_div_fixup_f64 v[15:16], v[15:16], v[2:3], v[0:1]
	v_fma_f64 v[0:1], v[0:1], v[15:16], v[2:3]
	v_div_scale_f64 v[2:3], null, v[0:1], v[0:1], 1.0
	v_rcp_f64_e32 v[17:18], v[2:3]
	v_fma_f64 v[19:20], -v[2:3], v[17:18], 1.0
	v_fma_f64 v[17:18], v[17:18], v[19:20], v[17:18]
	v_fma_f64 v[19:20], -v[2:3], v[17:18], 1.0
	v_fma_f64 v[17:18], v[17:18], v[19:20], v[17:18]
	v_div_scale_f64 v[19:20], vcc_lo, 1.0, v[0:1], 1.0
	v_mul_f64 v[21:22], v[19:20], v[17:18]
	v_fma_f64 v[2:3], -v[2:3], v[21:22], v[19:20]
	v_div_fmas_f64 v[2:3], v[2:3], v[17:18], v[21:22]
	v_div_fixup_f64 v[2:3], v[2:3], v[0:1], 1.0
	v_mul_f64 v[0:1], v[15:16], v[2:3]
	v_xor_b32_e32 v3, 0x80000000, v3
.LBB120_651:
	s_andn2_saveexec_b32 s16, s16
	s_cbranch_execz .LBB120_653
; %bb.652:
	v_div_scale_f64 v[15:16], null, v[0:1], v[0:1], v[2:3]
	v_div_scale_f64 v[21:22], vcc_lo, v[2:3], v[0:1], v[2:3]
	v_rcp_f64_e32 v[17:18], v[15:16]
	v_fma_f64 v[19:20], -v[15:16], v[17:18], 1.0
	v_fma_f64 v[17:18], v[17:18], v[19:20], v[17:18]
	v_fma_f64 v[19:20], -v[15:16], v[17:18], 1.0
	v_fma_f64 v[17:18], v[17:18], v[19:20], v[17:18]
	v_mul_f64 v[19:20], v[21:22], v[17:18]
	v_fma_f64 v[15:16], -v[15:16], v[19:20], v[21:22]
	v_div_fmas_f64 v[15:16], v[15:16], v[17:18], v[19:20]
	v_div_fixup_f64 v[15:16], v[15:16], v[0:1], v[2:3]
	v_fma_f64 v[0:1], v[2:3], v[15:16], v[0:1]
	v_div_scale_f64 v[2:3], null, v[0:1], v[0:1], 1.0
	v_rcp_f64_e32 v[17:18], v[2:3]
	v_fma_f64 v[19:20], -v[2:3], v[17:18], 1.0
	v_fma_f64 v[17:18], v[17:18], v[19:20], v[17:18]
	v_fma_f64 v[19:20], -v[2:3], v[17:18], 1.0
	v_fma_f64 v[17:18], v[17:18], v[19:20], v[17:18]
	v_div_scale_f64 v[19:20], vcc_lo, 1.0, v[0:1], 1.0
	v_mul_f64 v[21:22], v[19:20], v[17:18]
	v_fma_f64 v[2:3], -v[2:3], v[21:22], v[19:20]
	v_div_fmas_f64 v[2:3], v[2:3], v[17:18], v[21:22]
	v_div_fixup_f64 v[0:1], v[2:3], v[0:1], 1.0
	v_mul_f64 v[2:3], v[15:16], -v[0:1]
.LBB120_653:
	s_or_b32 exec_lo, exec_lo, s16
.LBB120_654:
	s_or_b32 exec_lo, exec_lo, s4
	s_mov_b32 s4, exec_lo
	v_cmpx_ne_u32_e64 v14, v9
	s_xor_b32 s4, exec_lo, s4
	s_cbranch_execz .LBB120_660
; %bb.655:
	s_mov_b32 s16, exec_lo
	v_cmpx_eq_u32_e32 26, v14
	s_cbranch_execz .LBB120_659
; %bb.656:
	v_cmp_ne_u32_e32 vcc_lo, 26, v9
	s_xor_b32 s17, s20, -1
	s_and_b32 s57, s17, vcc_lo
	s_and_saveexec_b32 s17, s57
	s_cbranch_execz .LBB120_658
; %bb.657:
	v_ashrrev_i32_e32 v10, 31, v9
	v_lshlrev_b64 v[14:15], 2, v[9:10]
	v_add_co_u32 v14, vcc_lo, v7, v14
	v_add_co_ci_u32_e64 v15, null, v8, v15, vcc_lo
	s_clause 0x1
	global_load_dword v4, v[14:15], off
	global_load_dword v10, v[7:8], off offset:104
	s_waitcnt vmcnt(1)
	global_store_dword v[7:8], v4, off offset:104
	s_waitcnt vmcnt(0)
	global_store_dword v[14:15], v10, off
.LBB120_658:
	s_or_b32 exec_lo, exec_lo, s17
	v_mov_b32_e32 v14, v9
	v_mov_b32_e32 v10, v9
.LBB120_659:
	s_or_b32 exec_lo, exec_lo, s16
.LBB120_660:
	s_andn2_saveexec_b32 s4, s4
	s_cbranch_execz .LBB120_662
; %bb.661:
	v_mov_b32_e32 v4, s52
	v_mov_b32_e32 v14, s50
	;; [unrolled: 1-line block ×5, first 2 shown]
	s_clause 0x7
	buffer_load_dword v15, v4, s[0:3], 0 offen
	buffer_load_dword v16, v4, s[0:3], 0 offen offset:4
	buffer_load_dword v17, v4, s[0:3], 0 offen offset:8
	;; [unrolled: 1-line block ×3, first 2 shown]
	buffer_load_dword v19, v9, s[0:3], 0 offen
	buffer_load_dword v20, v9, s[0:3], 0 offen offset:4
	buffer_load_dword v21, v9, s[0:3], 0 offen offset:8
	;; [unrolled: 1-line block ×3, first 2 shown]
	v_mov_b32_e32 v4, s49
	s_clause 0x7
	buffer_load_dword v23, v14, s[0:3], 0 offen
	buffer_load_dword v24, v14, s[0:3], 0 offen offset:4
	buffer_load_dword v25, v14, s[0:3], 0 offen offset:8
	;; [unrolled: 1-line block ×3, first 2 shown]
	buffer_load_dword v27, v4, s[0:3], 0 offen
	buffer_load_dword v28, v4, s[0:3], 0 offen offset:4
	buffer_load_dword v29, v4, s[0:3], 0 offen offset:8
	;; [unrolled: 1-line block ×3, first 2 shown]
	v_mov_b32_e32 v4, s48
	v_mov_b32_e32 v9, s47
	;; [unrolled: 1-line block ×28, first 2 shown]
	s_clause 0x3e
	buffer_load_dword v31, v4, s[0:3], 0 offen
	buffer_load_dword v32, v4, s[0:3], 0 offen offset:4
	buffer_load_dword v33, v4, s[0:3], 0 offen offset:8
	buffer_load_dword v34, v4, s[0:3], 0 offen offset:12
	buffer_load_dword v35, v9, s[0:3], 0 offen
	buffer_load_dword v36, v9, s[0:3], 0 offen offset:4
	buffer_load_dword v37, v9, s[0:3], 0 offen offset:8
	buffer_load_dword v38, v9, s[0:3], 0 offen offset:12
	;; [unrolled: 4-line block ×15, first 2 shown]
	buffer_load_dword v91, v94, s[0:3], 0 offen
	buffer_load_dword v92, v94, s[0:3], 0 offen offset:4
	buffer_load_dword v93, v94, s[0:3], 0 offen offset:8
	s_clause 0x38
	buffer_load_dword v94, v94, s[0:3], 0 offen offset:12
	buffer_load_dword v95, v98, s[0:3], 0 offen
	buffer_load_dword v96, v98, s[0:3], 0 offen offset:4
	buffer_load_dword v97, v98, s[0:3], 0 offen offset:8
	buffer_load_dword v98, v98, s[0:3], 0 offen offset:12
	buffer_load_dword v99, v102, s[0:3], 0 offen
	buffer_load_dword v100, v102, s[0:3], 0 offen offset:4
	buffer_load_dword v101, v102, s[0:3], 0 offen offset:8
	;; [unrolled: 4-line block ×14, first 2 shown]
	buffer_load_dword v153, v153, s[0:3], 0 offen offset:12
	v_mov_b32_e32 v14, 26
	s_waitcnt vmcnt(62)
	ds_write2_b64 v11, v[15:16], v[17:18] offset0:54 offset1:55
	ds_write2_b64 v11, v[19:20], v[21:22] offset0:56 offset1:57
	;; [unrolled: 1-line block ×18, first 2 shown]
	s_waitcnt vmcnt(60)
	ds_write2_b64 v11, v[87:88], v[89:90] offset0:90 offset1:91
	s_waitcnt vmcnt(56)
	ds_write2_b64 v11, v[91:92], v[93:94] offset0:92 offset1:93
	;; [unrolled: 2-line block ×16, first 2 shown]
.LBB120_662:
	s_or_b32 exec_lo, exec_lo, s4
	s_mov_b32 s4, exec_lo
	s_waitcnt lgkmcnt(0)
	s_waitcnt_vscnt null, 0x0
	s_barrier
	buffer_gl0_inv
	v_cmpx_lt_i32_e32 26, v14
	s_cbranch_execz .LBB120_665
; %bb.663:
	s_clause 0x3
	buffer_load_dword v15, off, s[0:3], 0 offset:424
	buffer_load_dword v16, off, s[0:3], 0 offset:428
	;; [unrolled: 1-line block ×4, first 2 shown]
	s_movk_i32 s16, 0x1b0
	s_waitcnt vmcnt(2)
	v_mul_f64 v[19:20], v[2:3], v[15:16]
	v_mul_f64 v[15:16], v[0:1], v[15:16]
	s_waitcnt vmcnt(0)
	v_fma_f64 v[0:1], v[0:1], v[17:18], -v[19:20]
	v_fma_f64 v[2:3], v[2:3], v[17:18], v[15:16]
	buffer_store_dword v0, off, s[0:3], 0 offset:416
	buffer_store_dword v1, off, s[0:3], 0 offset:420
	;; [unrolled: 1-line block ×4, first 2 shown]
.LBB120_664:                            ; =>This Inner Loop Header: Depth=1
	s_clause 0x3
	buffer_load_dword v19, off, s[0:3], 0 offset:424
	buffer_load_dword v20, off, s[0:3], 0 offset:428
	;; [unrolled: 1-line block ×4, first 2 shown]
	v_mov_b32_e32 v4, s16
	v_add_nc_u32_e32 v9, s16, v11
	s_add_i32 s16, s16, 32
	s_clause 0x3
	buffer_load_dword v23, v4, s[0:3], 0 offen
	buffer_load_dword v24, v4, s[0:3], 0 offen offset:4
	buffer_load_dword v25, v4, s[0:3], 0 offen offset:8
	;; [unrolled: 1-line block ×3, first 2 shown]
	ds_read2_b64 v[0:3], v9 offset1:1
	ds_read2_b64 v[15:18], v9 offset0:2 offset1:3
	s_cmpk_lg_i32 s16, 0x3d0
	s_waitcnt vmcnt(6) lgkmcnt(1)
	v_mul_f64 v[27:28], v[2:3], v[19:20]
	v_mul_f64 v[19:20], v[0:1], v[19:20]
	s_waitcnt vmcnt(4)
	v_fma_f64 v[0:1], v[0:1], v[21:22], -v[27:28]
	v_fma_f64 v[2:3], v[2:3], v[21:22], v[19:20]
	s_clause 0x3
	buffer_load_dword v19, v4, s[0:3], 0 offen offset:16
	buffer_load_dword v20, v4, s[0:3], 0 offen offset:20
	;; [unrolled: 1-line block ×4, first 2 shown]
	s_waitcnt vmcnt(6)
	v_add_f64 v[0:1], v[23:24], -v[0:1]
	s_waitcnt vmcnt(4)
	v_add_f64 v[2:3], v[25:26], -v[2:3]
	buffer_store_dword v1, v4, s[0:3], 0 offen offset:4
	buffer_store_dword v0, v4, s[0:3], 0 offen
	buffer_store_dword v3, v4, s[0:3], 0 offen offset:12
	buffer_store_dword v2, v4, s[0:3], 0 offen offset:8
	s_clause 0x3
	buffer_load_dword v1, off, s[0:3], 0 offset:428
	buffer_load_dword v0, off, s[0:3], 0 offset:424
	;; [unrolled: 1-line block ×4, first 2 shown]
	s_waitcnt vmcnt(2) lgkmcnt(0)
	v_mul_f64 v[23:24], v[17:18], v[0:1]
	v_mul_f64 v[0:1], v[15:16], v[0:1]
	s_waitcnt vmcnt(0)
	v_fma_f64 v[15:16], v[15:16], v[2:3], -v[23:24]
	v_fma_f64 v[0:1], v[17:18], v[2:3], v[0:1]
	v_add_f64 v[2:3], v[19:20], -v[15:16]
	v_add_f64 v[0:1], v[21:22], -v[0:1]
	buffer_store_dword v3, v4, s[0:3], 0 offen offset:20
	buffer_store_dword v2, v4, s[0:3], 0 offen offset:16
	;; [unrolled: 1-line block ×4, first 2 shown]
	s_cbranch_scc1 .LBB120_664
.LBB120_665:
	s_or_b32 exec_lo, exec_lo, s4
	v_mov_b32_e32 v3, s52
	s_waitcnt_vscnt null, 0x0
	s_barrier
	buffer_gl0_inv
	v_lshl_add_u32 v4, v14, 4, v11
	s_clause 0x3
	buffer_load_dword v0, v3, s[0:3], 0 offen
	buffer_load_dword v1, v3, s[0:3], 0 offen offset:4
	buffer_load_dword v2, v3, s[0:3], 0 offen offset:8
	;; [unrolled: 1-line block ×3, first 2 shown]
	v_mov_b32_e32 v9, 27
	s_cmp_lt_i32 s56, 29
	s_waitcnt vmcnt(0)
	ds_write2_b64 v4, v[0:1], v[2:3] offset1:1
	s_waitcnt lgkmcnt(0)
	s_barrier
	buffer_gl0_inv
	ds_read2_b64 v[0:3], v11 offset0:54 offset1:55
	s_cbranch_scc1 .LBB120_668
; %bb.666:
	v_add3_u32 v4, v13, 0, 0x1c0
	v_mov_b32_e32 v9, 27
	s_mov_b32 s16, 28
	s_inst_prefetch 0x1
	.p2align	6
.LBB120_667:                            ; =>This Inner Loop Header: Depth=1
	s_waitcnt lgkmcnt(0)
	v_cmp_gt_f64_e32 vcc_lo, 0, v[2:3]
	v_cmp_gt_f64_e64 s4, 0, v[0:1]
	ds_read2_b64 v[15:18], v4 offset1:1
	v_xor_b32_e32 v20, 0x80000000, v1
	v_xor_b32_e32 v22, 0x80000000, v3
	v_mov_b32_e32 v19, v0
	v_mov_b32_e32 v21, v2
	v_add_nc_u32_e32 v4, 16, v4
	s_waitcnt lgkmcnt(0)
	v_xor_b32_e32 v24, 0x80000000, v18
	v_cndmask_b32_e64 v20, v1, v20, s4
	v_cndmask_b32_e32 v22, v3, v22, vcc_lo
	v_cmp_gt_f64_e32 vcc_lo, 0, v[17:18]
	v_cmp_gt_f64_e64 s4, 0, v[15:16]
	v_mov_b32_e32 v23, v17
	v_add_f64 v[19:20], v[19:20], v[21:22]
	v_xor_b32_e32 v22, 0x80000000, v16
	v_mov_b32_e32 v21, v15
	v_cndmask_b32_e32 v24, v18, v24, vcc_lo
	v_cndmask_b32_e64 v22, v16, v22, s4
	v_add_f64 v[21:22], v[21:22], v[23:24]
	v_cmp_lt_f64_e32 vcc_lo, v[19:20], v[21:22]
	v_cndmask_b32_e32 v1, v1, v16, vcc_lo
	v_cndmask_b32_e32 v0, v0, v15, vcc_lo
	;; [unrolled: 1-line block ×4, first 2 shown]
	v_cndmask_b32_e64 v9, v9, s16, vcc_lo
	s_add_i32 s16, s16, 1
	s_cmp_lg_u32 s56, s16
	s_cbranch_scc1 .LBB120_667
.LBB120_668:
	s_inst_prefetch 0x2
	s_waitcnt lgkmcnt(0)
	v_cmp_eq_f64_e32 vcc_lo, 0, v[0:1]
	v_cmp_eq_f64_e64 s4, 0, v[2:3]
	s_and_b32 s4, vcc_lo, s4
	s_and_saveexec_b32 s16, s4
	s_xor_b32 s4, exec_lo, s16
; %bb.669:
	v_cmp_ne_u32_e32 vcc_lo, 0, v12
	v_cndmask_b32_e32 v12, 28, v12, vcc_lo
; %bb.670:
	s_andn2_saveexec_b32 s4, s4
	s_cbranch_execz .LBB120_676
; %bb.671:
	v_cmp_ngt_f64_e64 s16, |v[0:1]|, |v[2:3]|
	s_and_saveexec_b32 s17, s16
	s_xor_b32 s16, exec_lo, s17
	s_cbranch_execz .LBB120_673
; %bb.672:
	v_div_scale_f64 v[15:16], null, v[2:3], v[2:3], v[0:1]
	v_div_scale_f64 v[21:22], vcc_lo, v[0:1], v[2:3], v[0:1]
	v_rcp_f64_e32 v[17:18], v[15:16]
	v_fma_f64 v[19:20], -v[15:16], v[17:18], 1.0
	v_fma_f64 v[17:18], v[17:18], v[19:20], v[17:18]
	v_fma_f64 v[19:20], -v[15:16], v[17:18], 1.0
	v_fma_f64 v[17:18], v[17:18], v[19:20], v[17:18]
	v_mul_f64 v[19:20], v[21:22], v[17:18]
	v_fma_f64 v[15:16], -v[15:16], v[19:20], v[21:22]
	v_div_fmas_f64 v[15:16], v[15:16], v[17:18], v[19:20]
	v_div_fixup_f64 v[15:16], v[15:16], v[2:3], v[0:1]
	v_fma_f64 v[0:1], v[0:1], v[15:16], v[2:3]
	v_div_scale_f64 v[2:3], null, v[0:1], v[0:1], 1.0
	v_rcp_f64_e32 v[17:18], v[2:3]
	v_fma_f64 v[19:20], -v[2:3], v[17:18], 1.0
	v_fma_f64 v[17:18], v[17:18], v[19:20], v[17:18]
	v_fma_f64 v[19:20], -v[2:3], v[17:18], 1.0
	v_fma_f64 v[17:18], v[17:18], v[19:20], v[17:18]
	v_div_scale_f64 v[19:20], vcc_lo, 1.0, v[0:1], 1.0
	v_mul_f64 v[21:22], v[19:20], v[17:18]
	v_fma_f64 v[2:3], -v[2:3], v[21:22], v[19:20]
	v_div_fmas_f64 v[2:3], v[2:3], v[17:18], v[21:22]
	v_div_fixup_f64 v[2:3], v[2:3], v[0:1], 1.0
	v_mul_f64 v[0:1], v[15:16], v[2:3]
	v_xor_b32_e32 v3, 0x80000000, v3
.LBB120_673:
	s_andn2_saveexec_b32 s16, s16
	s_cbranch_execz .LBB120_675
; %bb.674:
	v_div_scale_f64 v[15:16], null, v[0:1], v[0:1], v[2:3]
	v_div_scale_f64 v[21:22], vcc_lo, v[2:3], v[0:1], v[2:3]
	v_rcp_f64_e32 v[17:18], v[15:16]
	v_fma_f64 v[19:20], -v[15:16], v[17:18], 1.0
	v_fma_f64 v[17:18], v[17:18], v[19:20], v[17:18]
	v_fma_f64 v[19:20], -v[15:16], v[17:18], 1.0
	v_fma_f64 v[17:18], v[17:18], v[19:20], v[17:18]
	v_mul_f64 v[19:20], v[21:22], v[17:18]
	v_fma_f64 v[15:16], -v[15:16], v[19:20], v[21:22]
	v_div_fmas_f64 v[15:16], v[15:16], v[17:18], v[19:20]
	v_div_fixup_f64 v[15:16], v[15:16], v[0:1], v[2:3]
	v_fma_f64 v[0:1], v[2:3], v[15:16], v[0:1]
	v_div_scale_f64 v[2:3], null, v[0:1], v[0:1], 1.0
	v_rcp_f64_e32 v[17:18], v[2:3]
	v_fma_f64 v[19:20], -v[2:3], v[17:18], 1.0
	v_fma_f64 v[17:18], v[17:18], v[19:20], v[17:18]
	v_fma_f64 v[19:20], -v[2:3], v[17:18], 1.0
	v_fma_f64 v[17:18], v[17:18], v[19:20], v[17:18]
	v_div_scale_f64 v[19:20], vcc_lo, 1.0, v[0:1], 1.0
	v_mul_f64 v[21:22], v[19:20], v[17:18]
	v_fma_f64 v[2:3], -v[2:3], v[21:22], v[19:20]
	v_div_fmas_f64 v[2:3], v[2:3], v[17:18], v[21:22]
	v_div_fixup_f64 v[0:1], v[2:3], v[0:1], 1.0
	v_mul_f64 v[2:3], v[15:16], -v[0:1]
.LBB120_675:
	s_or_b32 exec_lo, exec_lo, s16
.LBB120_676:
	s_or_b32 exec_lo, exec_lo, s4
	s_mov_b32 s4, exec_lo
	v_cmpx_ne_u32_e64 v14, v9
	s_xor_b32 s4, exec_lo, s4
	s_cbranch_execz .LBB120_682
; %bb.677:
	s_mov_b32 s16, exec_lo
	v_cmpx_eq_u32_e32 27, v14
	s_cbranch_execz .LBB120_681
; %bb.678:
	v_cmp_ne_u32_e32 vcc_lo, 27, v9
	s_xor_b32 s17, s20, -1
	s_and_b32 s57, s17, vcc_lo
	s_and_saveexec_b32 s17, s57
	s_cbranch_execz .LBB120_680
; %bb.679:
	v_ashrrev_i32_e32 v10, 31, v9
	v_lshlrev_b64 v[14:15], 2, v[9:10]
	v_add_co_u32 v14, vcc_lo, v7, v14
	v_add_co_ci_u32_e64 v15, null, v8, v15, vcc_lo
	s_clause 0x1
	global_load_dword v4, v[14:15], off
	global_load_dword v10, v[7:8], off offset:108
	s_waitcnt vmcnt(1)
	global_store_dword v[7:8], v4, off offset:108
	s_waitcnt vmcnt(0)
	global_store_dword v[14:15], v10, off
.LBB120_680:
	s_or_b32 exec_lo, exec_lo, s17
	v_mov_b32_e32 v14, v9
	v_mov_b32_e32 v10, v9
.LBB120_681:
	s_or_b32 exec_lo, exec_lo, s16
.LBB120_682:
	s_andn2_saveexec_b32 s4, s4
	s_cbranch_execz .LBB120_684
; %bb.683:
	v_mov_b32_e32 v4, s51
	v_mov_b32_e32 v14, s49
	;; [unrolled: 1-line block ×3, first 2 shown]
	s_clause 0x7
	buffer_load_dword v15, v4, s[0:3], 0 offen
	buffer_load_dword v16, v4, s[0:3], 0 offen offset:4
	buffer_load_dword v17, v4, s[0:3], 0 offen offset:8
	buffer_load_dword v18, v4, s[0:3], 0 offen offset:12
	buffer_load_dword v19, v9, s[0:3], 0 offen
	buffer_load_dword v20, v9, s[0:3], 0 offen offset:4
	buffer_load_dword v21, v9, s[0:3], 0 offen offset:8
	buffer_load_dword v22, v9, s[0:3], 0 offen offset:12
	v_mov_b32_e32 v4, s48
	v_mov_b32_e32 v9, s47
	s_clause 0x7
	buffer_load_dword v23, v14, s[0:3], 0 offen
	buffer_load_dword v24, v14, s[0:3], 0 offen offset:4
	buffer_load_dword v25, v14, s[0:3], 0 offen offset:8
	buffer_load_dword v26, v14, s[0:3], 0 offen offset:12
	buffer_load_dword v27, v4, s[0:3], 0 offen
	buffer_load_dword v28, v4, s[0:3], 0 offen offset:4
	buffer_load_dword v29, v4, s[0:3], 0 offen offset:8
	buffer_load_dword v30, v4, s[0:3], 0 offen offset:12
	v_mov_b32_e32 v14, s45
	v_mov_b32_e32 v4, s46
	;; [unrolled: 11-line block ×15, first 2 shown]
	s_clause 0xb
	buffer_load_dword v135, v14, s[0:3], 0 offen
	buffer_load_dword v136, v14, s[0:3], 0 offen offset:4
	buffer_load_dword v137, v14, s[0:3], 0 offen offset:8
	buffer_load_dword v138, v14, s[0:3], 0 offen offset:12
	buffer_load_dword v139, v4, s[0:3], 0 offen
	buffer_load_dword v140, v4, s[0:3], 0 offen offset:4
	buffer_load_dword v141, v4, s[0:3], 0 offen offset:8
	buffer_load_dword v142, v4, s[0:3], 0 offen offset:12
	;; [unrolled: 4-line block ×3, first 2 shown]
	v_mov_b32_e32 v14, 27
	s_waitcnt vmcnt(62)
	ds_write2_b64 v11, v[15:16], v[17:18] offset0:56 offset1:57
	ds_write2_b64 v11, v[19:20], v[21:22] offset0:58 offset1:59
	;; [unrolled: 1-line block ×17, first 2 shown]
	s_waitcnt vmcnt(60)
	ds_write2_b64 v11, v[83:84], v[85:86] offset0:90 offset1:91
	s_waitcnt vmcnt(56)
	ds_write2_b64 v11, v[87:88], v[89:90] offset0:92 offset1:93
	;; [unrolled: 2-line block ×16, first 2 shown]
.LBB120_684:
	s_or_b32 exec_lo, exec_lo, s4
	s_mov_b32 s4, exec_lo
	s_waitcnt lgkmcnt(0)
	s_waitcnt_vscnt null, 0x0
	s_barrier
	buffer_gl0_inv
	v_cmpx_lt_i32_e32 27, v14
	s_cbranch_execz .LBB120_687
; %bb.685:
	s_clause 0x3
	buffer_load_dword v15, off, s[0:3], 0 offset:440
	buffer_load_dword v16, off, s[0:3], 0 offset:444
	;; [unrolled: 1-line block ×4, first 2 shown]
	s_movk_i32 s16, 0x1c0
	s_waitcnt vmcnt(2)
	v_mul_f64 v[19:20], v[2:3], v[15:16]
	v_mul_f64 v[15:16], v[0:1], v[15:16]
	s_waitcnt vmcnt(0)
	v_fma_f64 v[0:1], v[0:1], v[17:18], -v[19:20]
	v_fma_f64 v[2:3], v[2:3], v[17:18], v[15:16]
	buffer_store_dword v0, off, s[0:3], 0 offset:432
	buffer_store_dword v1, off, s[0:3], 0 offset:436
	;; [unrolled: 1-line block ×4, first 2 shown]
.LBB120_686:                            ; =>This Inner Loop Header: Depth=1
	s_clause 0x3
	buffer_load_dword v19, off, s[0:3], 0 offset:440
	buffer_load_dword v20, off, s[0:3], 0 offset:444
	;; [unrolled: 1-line block ×4, first 2 shown]
	v_mov_b32_e32 v4, s16
	v_add_nc_u32_e32 v9, s16, v11
	s_add_i32 s16, s16, 48
	s_clause 0x3
	buffer_load_dword v23, v4, s[0:3], 0 offen
	buffer_load_dword v24, v4, s[0:3], 0 offen offset:4
	buffer_load_dword v25, v4, s[0:3], 0 offen offset:8
	;; [unrolled: 1-line block ×3, first 2 shown]
	ds_read2_b64 v[0:3], v9 offset1:1
	ds_read2_b64 v[15:18], v9 offset0:2 offset1:3
	s_cmpk_lg_i32 s16, 0x3d0
	s_waitcnt vmcnt(6) lgkmcnt(1)
	v_mul_f64 v[27:28], v[2:3], v[19:20]
	v_mul_f64 v[19:20], v[0:1], v[19:20]
	s_waitcnt vmcnt(4)
	v_fma_f64 v[0:1], v[0:1], v[21:22], -v[27:28]
	v_fma_f64 v[2:3], v[2:3], v[21:22], v[19:20]
	s_clause 0x3
	buffer_load_dword v19, v4, s[0:3], 0 offen offset:16
	buffer_load_dword v20, v4, s[0:3], 0 offen offset:20
	;; [unrolled: 1-line block ×4, first 2 shown]
	s_waitcnt vmcnt(6)
	v_add_f64 v[0:1], v[23:24], -v[0:1]
	s_waitcnt vmcnt(4)
	v_add_f64 v[2:3], v[25:26], -v[2:3]
	buffer_store_dword v1, v4, s[0:3], 0 offen offset:4
	buffer_store_dword v0, v4, s[0:3], 0 offen
	buffer_store_dword v3, v4, s[0:3], 0 offen offset:12
	buffer_store_dword v2, v4, s[0:3], 0 offen offset:8
	s_clause 0x3
	buffer_load_dword v1, off, s[0:3], 0 offset:444
	buffer_load_dword v0, off, s[0:3], 0 offset:440
	;; [unrolled: 1-line block ×4, first 2 shown]
	s_waitcnt vmcnt(2) lgkmcnt(0)
	v_mul_f64 v[23:24], v[17:18], v[0:1]
	v_mul_f64 v[0:1], v[15:16], v[0:1]
	s_waitcnt vmcnt(0)
	v_fma_f64 v[15:16], v[15:16], v[2:3], -v[23:24]
	v_fma_f64 v[0:1], v[17:18], v[2:3], v[0:1]
	v_add_f64 v[2:3], v[19:20], -v[15:16]
	v_add_f64 v[0:1], v[21:22], -v[0:1]
	s_clause 0x3
	buffer_load_dword v15, v4, s[0:3], 0 offen offset:32
	buffer_load_dword v16, v4, s[0:3], 0 offen offset:36
	;; [unrolled: 1-line block ×4, first 2 shown]
	buffer_store_dword v3, v4, s[0:3], 0 offen offset:20
	buffer_store_dword v2, v4, s[0:3], 0 offen offset:16
	buffer_store_dword v1, v4, s[0:3], 0 offen offset:28
	buffer_store_dword v0, v4, s[0:3], 0 offen offset:24
	s_clause 0x3
	buffer_load_dword v19, off, s[0:3], 0 offset:440
	buffer_load_dword v20, off, s[0:3], 0 offset:444
	;; [unrolled: 1-line block ×4, first 2 shown]
	ds_read2_b64 v[0:3], v9 offset0:4 offset1:5
	s_waitcnt vmcnt(2) lgkmcnt(0)
	v_mul_f64 v[23:24], v[2:3], v[19:20]
	v_mul_f64 v[19:20], v[0:1], v[19:20]
	s_waitcnt vmcnt(0)
	v_fma_f64 v[0:1], v[0:1], v[21:22], -v[23:24]
	v_fma_f64 v[2:3], v[2:3], v[21:22], v[19:20]
	v_add_f64 v[0:1], v[15:16], -v[0:1]
	v_add_f64 v[2:3], v[17:18], -v[2:3]
	buffer_store_dword v1, v4, s[0:3], 0 offen offset:36
	buffer_store_dword v0, v4, s[0:3], 0 offen offset:32
	;; [unrolled: 1-line block ×4, first 2 shown]
	s_cbranch_scc1 .LBB120_686
.LBB120_687:
	s_or_b32 exec_lo, exec_lo, s4
	v_mov_b32_e32 v3, s51
	s_waitcnt_vscnt null, 0x0
	s_barrier
	buffer_gl0_inv
	v_lshl_add_u32 v4, v14, 4, v11
	s_clause 0x3
	buffer_load_dword v0, v3, s[0:3], 0 offen
	buffer_load_dword v1, v3, s[0:3], 0 offen offset:4
	buffer_load_dword v2, v3, s[0:3], 0 offen offset:8
	;; [unrolled: 1-line block ×3, first 2 shown]
	v_mov_b32_e32 v9, 28
	s_cmp_lt_i32 s56, 30
	s_waitcnt vmcnt(0)
	ds_write2_b64 v4, v[0:1], v[2:3] offset1:1
	s_waitcnt lgkmcnt(0)
	s_barrier
	buffer_gl0_inv
	ds_read2_b64 v[0:3], v11 offset0:56 offset1:57
	s_cbranch_scc1 .LBB120_690
; %bb.688:
	v_add3_u32 v4, v13, 0, 0x1d0
	v_mov_b32_e32 v9, 28
	s_mov_b32 s16, 29
	s_inst_prefetch 0x1
	.p2align	6
.LBB120_689:                            ; =>This Inner Loop Header: Depth=1
	s_waitcnt lgkmcnt(0)
	v_cmp_gt_f64_e32 vcc_lo, 0, v[2:3]
	v_cmp_gt_f64_e64 s4, 0, v[0:1]
	ds_read2_b64 v[15:18], v4 offset1:1
	v_xor_b32_e32 v20, 0x80000000, v1
	v_xor_b32_e32 v22, 0x80000000, v3
	v_mov_b32_e32 v19, v0
	v_mov_b32_e32 v21, v2
	v_add_nc_u32_e32 v4, 16, v4
	s_waitcnt lgkmcnt(0)
	v_xor_b32_e32 v24, 0x80000000, v18
	v_cndmask_b32_e64 v20, v1, v20, s4
	v_cndmask_b32_e32 v22, v3, v22, vcc_lo
	v_cmp_gt_f64_e32 vcc_lo, 0, v[17:18]
	v_cmp_gt_f64_e64 s4, 0, v[15:16]
	v_mov_b32_e32 v23, v17
	v_add_f64 v[19:20], v[19:20], v[21:22]
	v_xor_b32_e32 v22, 0x80000000, v16
	v_mov_b32_e32 v21, v15
	v_cndmask_b32_e32 v24, v18, v24, vcc_lo
	v_cndmask_b32_e64 v22, v16, v22, s4
	v_add_f64 v[21:22], v[21:22], v[23:24]
	v_cmp_lt_f64_e32 vcc_lo, v[19:20], v[21:22]
	v_cndmask_b32_e32 v1, v1, v16, vcc_lo
	v_cndmask_b32_e32 v0, v0, v15, vcc_lo
	v_cndmask_b32_e32 v3, v3, v18, vcc_lo
	v_cndmask_b32_e32 v2, v2, v17, vcc_lo
	v_cndmask_b32_e64 v9, v9, s16, vcc_lo
	s_add_i32 s16, s16, 1
	s_cmp_lg_u32 s56, s16
	s_cbranch_scc1 .LBB120_689
.LBB120_690:
	s_inst_prefetch 0x2
	s_waitcnt lgkmcnt(0)
	v_cmp_eq_f64_e32 vcc_lo, 0, v[0:1]
	v_cmp_eq_f64_e64 s4, 0, v[2:3]
	s_and_b32 s4, vcc_lo, s4
	s_and_saveexec_b32 s16, s4
	s_xor_b32 s4, exec_lo, s16
; %bb.691:
	v_cmp_ne_u32_e32 vcc_lo, 0, v12
	v_cndmask_b32_e32 v12, 29, v12, vcc_lo
; %bb.692:
	s_andn2_saveexec_b32 s4, s4
	s_cbranch_execz .LBB120_698
; %bb.693:
	v_cmp_ngt_f64_e64 s16, |v[0:1]|, |v[2:3]|
	s_and_saveexec_b32 s17, s16
	s_xor_b32 s16, exec_lo, s17
	s_cbranch_execz .LBB120_695
; %bb.694:
	v_div_scale_f64 v[15:16], null, v[2:3], v[2:3], v[0:1]
	v_div_scale_f64 v[21:22], vcc_lo, v[0:1], v[2:3], v[0:1]
	v_rcp_f64_e32 v[17:18], v[15:16]
	v_fma_f64 v[19:20], -v[15:16], v[17:18], 1.0
	v_fma_f64 v[17:18], v[17:18], v[19:20], v[17:18]
	v_fma_f64 v[19:20], -v[15:16], v[17:18], 1.0
	v_fma_f64 v[17:18], v[17:18], v[19:20], v[17:18]
	v_mul_f64 v[19:20], v[21:22], v[17:18]
	v_fma_f64 v[15:16], -v[15:16], v[19:20], v[21:22]
	v_div_fmas_f64 v[15:16], v[15:16], v[17:18], v[19:20]
	v_div_fixup_f64 v[15:16], v[15:16], v[2:3], v[0:1]
	v_fma_f64 v[0:1], v[0:1], v[15:16], v[2:3]
	v_div_scale_f64 v[2:3], null, v[0:1], v[0:1], 1.0
	v_rcp_f64_e32 v[17:18], v[2:3]
	v_fma_f64 v[19:20], -v[2:3], v[17:18], 1.0
	v_fma_f64 v[17:18], v[17:18], v[19:20], v[17:18]
	v_fma_f64 v[19:20], -v[2:3], v[17:18], 1.0
	v_fma_f64 v[17:18], v[17:18], v[19:20], v[17:18]
	v_div_scale_f64 v[19:20], vcc_lo, 1.0, v[0:1], 1.0
	v_mul_f64 v[21:22], v[19:20], v[17:18]
	v_fma_f64 v[2:3], -v[2:3], v[21:22], v[19:20]
	v_div_fmas_f64 v[2:3], v[2:3], v[17:18], v[21:22]
	v_div_fixup_f64 v[2:3], v[2:3], v[0:1], 1.0
	v_mul_f64 v[0:1], v[15:16], v[2:3]
	v_xor_b32_e32 v3, 0x80000000, v3
.LBB120_695:
	s_andn2_saveexec_b32 s16, s16
	s_cbranch_execz .LBB120_697
; %bb.696:
	v_div_scale_f64 v[15:16], null, v[0:1], v[0:1], v[2:3]
	v_div_scale_f64 v[21:22], vcc_lo, v[2:3], v[0:1], v[2:3]
	v_rcp_f64_e32 v[17:18], v[15:16]
	v_fma_f64 v[19:20], -v[15:16], v[17:18], 1.0
	v_fma_f64 v[17:18], v[17:18], v[19:20], v[17:18]
	v_fma_f64 v[19:20], -v[15:16], v[17:18], 1.0
	v_fma_f64 v[17:18], v[17:18], v[19:20], v[17:18]
	v_mul_f64 v[19:20], v[21:22], v[17:18]
	v_fma_f64 v[15:16], -v[15:16], v[19:20], v[21:22]
	v_div_fmas_f64 v[15:16], v[15:16], v[17:18], v[19:20]
	v_div_fixup_f64 v[15:16], v[15:16], v[0:1], v[2:3]
	v_fma_f64 v[0:1], v[2:3], v[15:16], v[0:1]
	v_div_scale_f64 v[2:3], null, v[0:1], v[0:1], 1.0
	v_rcp_f64_e32 v[17:18], v[2:3]
	v_fma_f64 v[19:20], -v[2:3], v[17:18], 1.0
	v_fma_f64 v[17:18], v[17:18], v[19:20], v[17:18]
	v_fma_f64 v[19:20], -v[2:3], v[17:18], 1.0
	v_fma_f64 v[17:18], v[17:18], v[19:20], v[17:18]
	v_div_scale_f64 v[19:20], vcc_lo, 1.0, v[0:1], 1.0
	v_mul_f64 v[21:22], v[19:20], v[17:18]
	v_fma_f64 v[2:3], -v[2:3], v[21:22], v[19:20]
	v_div_fmas_f64 v[2:3], v[2:3], v[17:18], v[21:22]
	v_div_fixup_f64 v[0:1], v[2:3], v[0:1], 1.0
	v_mul_f64 v[2:3], v[15:16], -v[0:1]
.LBB120_697:
	s_or_b32 exec_lo, exec_lo, s16
.LBB120_698:
	s_or_b32 exec_lo, exec_lo, s4
	s_mov_b32 s4, exec_lo
	v_cmpx_ne_u32_e64 v14, v9
	s_xor_b32 s4, exec_lo, s4
	s_cbranch_execz .LBB120_704
; %bb.699:
	s_mov_b32 s16, exec_lo
	v_cmpx_eq_u32_e32 28, v14
	s_cbranch_execz .LBB120_703
; %bb.700:
	v_cmp_ne_u32_e32 vcc_lo, 28, v9
	s_xor_b32 s17, s20, -1
	s_and_b32 s57, s17, vcc_lo
	s_and_saveexec_b32 s17, s57
	s_cbranch_execz .LBB120_702
; %bb.701:
	v_ashrrev_i32_e32 v10, 31, v9
	v_lshlrev_b64 v[14:15], 2, v[9:10]
	v_add_co_u32 v14, vcc_lo, v7, v14
	v_add_co_ci_u32_e64 v15, null, v8, v15, vcc_lo
	s_clause 0x1
	global_load_dword v4, v[14:15], off
	global_load_dword v10, v[7:8], off offset:112
	s_waitcnt vmcnt(1)
	global_store_dword v[7:8], v4, off offset:112
	s_waitcnt vmcnt(0)
	global_store_dword v[14:15], v10, off
.LBB120_702:
	s_or_b32 exec_lo, exec_lo, s17
	v_mov_b32_e32 v14, v9
	v_mov_b32_e32 v10, v9
.LBB120_703:
	s_or_b32 exec_lo, exec_lo, s16
.LBB120_704:
	s_andn2_saveexec_b32 s4, s4
	s_cbranch_execz .LBB120_706
; %bb.705:
	v_mov_b32_e32 v4, s50
	v_mov_b32_e32 v14, s48
	;; [unrolled: 1-line block ×3, first 2 shown]
	s_clause 0x7
	buffer_load_dword v15, v4, s[0:3], 0 offen
	buffer_load_dword v16, v4, s[0:3], 0 offen offset:4
	buffer_load_dword v17, v4, s[0:3], 0 offen offset:8
	buffer_load_dword v18, v4, s[0:3], 0 offen offset:12
	buffer_load_dword v19, v9, s[0:3], 0 offen
	buffer_load_dword v20, v9, s[0:3], 0 offen offset:4
	buffer_load_dword v21, v9, s[0:3], 0 offen offset:8
	buffer_load_dword v22, v9, s[0:3], 0 offen offset:12
	v_mov_b32_e32 v4, s47
	v_mov_b32_e32 v9, s46
	s_clause 0x7
	buffer_load_dword v23, v14, s[0:3], 0 offen
	buffer_load_dword v24, v14, s[0:3], 0 offen offset:4
	buffer_load_dword v25, v14, s[0:3], 0 offen offset:8
	buffer_load_dword v26, v14, s[0:3], 0 offen offset:12
	buffer_load_dword v27, v4, s[0:3], 0 offen
	buffer_load_dword v28, v4, s[0:3], 0 offen offset:4
	buffer_load_dword v29, v4, s[0:3], 0 offen offset:8
	buffer_load_dword v30, v4, s[0:3], 0 offen offset:12
	v_mov_b32_e32 v14, s44
	v_mov_b32_e32 v4, s45
	s_clause 0x7
	buffer_load_dword v31, v9, s[0:3], 0 offen
	buffer_load_dword v32, v9, s[0:3], 0 offen offset:4
	buffer_load_dword v33, v9, s[0:3], 0 offen offset:8
	buffer_load_dword v34, v9, s[0:3], 0 offen offset:12
	buffer_load_dword v35, v4, s[0:3], 0 offen
	buffer_load_dword v36, v4, s[0:3], 0 offen offset:4
	buffer_load_dword v37, v4, s[0:3], 0 offen offset:8
	buffer_load_dword v38, v4, s[0:3], 0 offen offset:12
	v_mov_b32_e32 v4, s43
	v_mov_b32_e32 v9, s42
	s_clause 0x7
	buffer_load_dword v39, v14, s[0:3], 0 offen
	buffer_load_dword v40, v14, s[0:3], 0 offen offset:4
	buffer_load_dword v41, v14, s[0:3], 0 offen offset:8
	buffer_load_dword v42, v14, s[0:3], 0 offen offset:12
	buffer_load_dword v43, v4, s[0:3], 0 offen
	buffer_load_dword v44, v4, s[0:3], 0 offen offset:4
	buffer_load_dword v45, v4, s[0:3], 0 offen offset:8
	buffer_load_dword v46, v4, s[0:3], 0 offen offset:12
	v_mov_b32_e32 v14, s40
	v_mov_b32_e32 v4, s41
	s_clause 0x7
	buffer_load_dword v47, v9, s[0:3], 0 offen
	buffer_load_dword v48, v9, s[0:3], 0 offen offset:4
	buffer_load_dword v49, v9, s[0:3], 0 offen offset:8
	buffer_load_dword v50, v9, s[0:3], 0 offen offset:12
	buffer_load_dword v51, v4, s[0:3], 0 offen
	buffer_load_dword v52, v4, s[0:3], 0 offen offset:4
	buffer_load_dword v53, v4, s[0:3], 0 offen offset:8
	buffer_load_dword v54, v4, s[0:3], 0 offen offset:12
	v_mov_b32_e32 v4, s39
	v_mov_b32_e32 v9, s38
	s_clause 0x7
	buffer_load_dword v55, v14, s[0:3], 0 offen
	buffer_load_dword v56, v14, s[0:3], 0 offen offset:4
	buffer_load_dword v57, v14, s[0:3], 0 offen offset:8
	buffer_load_dword v58, v14, s[0:3], 0 offen offset:12
	buffer_load_dword v59, v4, s[0:3], 0 offen
	buffer_load_dword v60, v4, s[0:3], 0 offen offset:4
	buffer_load_dword v61, v4, s[0:3], 0 offen offset:8
	buffer_load_dword v62, v4, s[0:3], 0 offen offset:12
	v_mov_b32_e32 v14, s36
	v_mov_b32_e32 v4, s37
	s_clause 0x7
	buffer_load_dword v63, v9, s[0:3], 0 offen
	buffer_load_dword v64, v9, s[0:3], 0 offen offset:4
	buffer_load_dword v65, v9, s[0:3], 0 offen offset:8
	buffer_load_dword v66, v9, s[0:3], 0 offen offset:12
	buffer_load_dword v67, v4, s[0:3], 0 offen
	buffer_load_dword v68, v4, s[0:3], 0 offen offset:4
	buffer_load_dword v69, v4, s[0:3], 0 offen offset:8
	buffer_load_dword v70, v4, s[0:3], 0 offen offset:12
	v_mov_b32_e32 v4, s35
	v_mov_b32_e32 v9, s34
	s_clause 0x7
	buffer_load_dword v71, v14, s[0:3], 0 offen
	buffer_load_dword v72, v14, s[0:3], 0 offen offset:4
	buffer_load_dword v73, v14, s[0:3], 0 offen offset:8
	buffer_load_dword v74, v14, s[0:3], 0 offen offset:12
	buffer_load_dword v75, v4, s[0:3], 0 offen
	buffer_load_dword v76, v4, s[0:3], 0 offen offset:4
	buffer_load_dword v77, v4, s[0:3], 0 offen offset:8
	buffer_load_dword v78, v4, s[0:3], 0 offen offset:12
	v_mov_b32_e32 v14, s31
	v_mov_b32_e32 v4, s33
	s_clause 0x7
	buffer_load_dword v79, v9, s[0:3], 0 offen
	buffer_load_dword v80, v9, s[0:3], 0 offen offset:4
	buffer_load_dword v81, v9, s[0:3], 0 offen offset:8
	buffer_load_dword v82, v9, s[0:3], 0 offen offset:12
	buffer_load_dword v83, v4, s[0:3], 0 offen
	buffer_load_dword v84, v4, s[0:3], 0 offen offset:4
	buffer_load_dword v85, v4, s[0:3], 0 offen offset:8
	buffer_load_dword v86, v4, s[0:3], 0 offen offset:12
	v_mov_b32_e32 v4, s30
	v_mov_b32_e32 v9, s29
	s_clause 0x7
	buffer_load_dword v87, v14, s[0:3], 0 offen
	buffer_load_dword v88, v14, s[0:3], 0 offen offset:4
	buffer_load_dword v89, v14, s[0:3], 0 offen offset:8
	buffer_load_dword v90, v14, s[0:3], 0 offen offset:12
	buffer_load_dword v91, v4, s[0:3], 0 offen
	buffer_load_dword v92, v4, s[0:3], 0 offen offset:4
	buffer_load_dword v93, v4, s[0:3], 0 offen offset:8
	buffer_load_dword v94, v4, s[0:3], 0 offen offset:12
	v_mov_b32_e32 v14, s27
	v_mov_b32_e32 v4, s28
	s_clause 0x7
	buffer_load_dword v95, v9, s[0:3], 0 offen
	buffer_load_dword v96, v9, s[0:3], 0 offen offset:4
	buffer_load_dword v97, v9, s[0:3], 0 offen offset:8
	buffer_load_dword v98, v9, s[0:3], 0 offen offset:12
	buffer_load_dword v99, v4, s[0:3], 0 offen
	buffer_load_dword v100, v4, s[0:3], 0 offen offset:4
	buffer_load_dword v101, v4, s[0:3], 0 offen offset:8
	buffer_load_dword v102, v4, s[0:3], 0 offen offset:12
	v_mov_b32_e32 v4, s26
	v_mov_b32_e32 v9, s25
	s_clause 0x7
	buffer_load_dword v103, v14, s[0:3], 0 offen
	buffer_load_dword v104, v14, s[0:3], 0 offen offset:4
	buffer_load_dword v105, v14, s[0:3], 0 offen offset:8
	buffer_load_dword v106, v14, s[0:3], 0 offen offset:12
	buffer_load_dword v107, v4, s[0:3], 0 offen
	buffer_load_dword v108, v4, s[0:3], 0 offen offset:4
	buffer_load_dword v109, v4, s[0:3], 0 offen offset:8
	buffer_load_dword v110, v4, s[0:3], 0 offen offset:12
	v_mov_b32_e32 v14, s23
	v_mov_b32_e32 v4, s24
	s_clause 0x7
	buffer_load_dword v111, v9, s[0:3], 0 offen
	buffer_load_dword v112, v9, s[0:3], 0 offen offset:4
	buffer_load_dword v113, v9, s[0:3], 0 offen offset:8
	buffer_load_dword v114, v9, s[0:3], 0 offen offset:12
	buffer_load_dword v115, v4, s[0:3], 0 offen
	buffer_load_dword v116, v4, s[0:3], 0 offen offset:4
	buffer_load_dword v117, v4, s[0:3], 0 offen offset:8
	buffer_load_dword v118, v4, s[0:3], 0 offen offset:12
	v_mov_b32_e32 v4, s22
	v_mov_b32_e32 v9, s19
	s_clause 0x7
	buffer_load_dword v119, v14, s[0:3], 0 offen
	buffer_load_dword v120, v14, s[0:3], 0 offen offset:4
	buffer_load_dword v121, v14, s[0:3], 0 offen offset:8
	buffer_load_dword v122, v14, s[0:3], 0 offen offset:12
	buffer_load_dword v123, v4, s[0:3], 0 offen
	buffer_load_dword v124, v4, s[0:3], 0 offen offset:4
	buffer_load_dword v125, v4, s[0:3], 0 offen offset:8
	buffer_load_dword v126, v4, s[0:3], 0 offen offset:12
	v_mov_b32_e32 v14, s7
	v_mov_b32_e32 v4, s18
	s_clause 0x7
	buffer_load_dword v127, v9, s[0:3], 0 offen
	buffer_load_dword v128, v9, s[0:3], 0 offen offset:4
	buffer_load_dword v129, v9, s[0:3], 0 offen offset:8
	;; [unrolled: 1-line block ×3, first 2 shown]
	buffer_load_dword v131, v4, s[0:3], 0 offen
	buffer_load_dword v132, v4, s[0:3], 0 offen offset:4
	buffer_load_dword v133, v4, s[0:3], 0 offen offset:8
	;; [unrolled: 1-line block ×3, first 2 shown]
	v_mov_b32_e32 v4, s5
	s_clause 0x7
	buffer_load_dword v135, v14, s[0:3], 0 offen
	buffer_load_dword v136, v14, s[0:3], 0 offen offset:4
	buffer_load_dword v137, v14, s[0:3], 0 offen offset:8
	;; [unrolled: 1-line block ×3, first 2 shown]
	buffer_load_dword v139, v4, s[0:3], 0 offen
	buffer_load_dword v140, v4, s[0:3], 0 offen offset:4
	buffer_load_dword v141, v4, s[0:3], 0 offen offset:8
	;; [unrolled: 1-line block ×3, first 2 shown]
	v_mov_b32_e32 v14, 28
	s_waitcnt vmcnt(62)
	ds_write2_b64 v11, v[15:16], v[17:18] offset0:58 offset1:59
	ds_write2_b64 v11, v[19:20], v[21:22] offset0:60 offset1:61
	;; [unrolled: 1-line block ×16, first 2 shown]
	s_waitcnt vmcnt(60)
	ds_write2_b64 v11, v[79:80], v[81:82] offset0:90 offset1:91
	s_waitcnt vmcnt(56)
	ds_write2_b64 v11, v[83:84], v[85:86] offset0:92 offset1:93
	;; [unrolled: 2-line block ×16, first 2 shown]
.LBB120_706:
	s_or_b32 exec_lo, exec_lo, s4
	s_mov_b32 s4, exec_lo
	s_waitcnt lgkmcnt(0)
	s_waitcnt_vscnt null, 0x0
	s_barrier
	buffer_gl0_inv
	v_cmpx_lt_i32_e32 28, v14
	s_cbranch_execz .LBB120_709
; %bb.707:
	s_clause 0x3
	buffer_load_dword v15, off, s[0:3], 0 offset:456
	buffer_load_dword v16, off, s[0:3], 0 offset:460
	;; [unrolled: 1-line block ×4, first 2 shown]
	v_add3_u32 v4, v13, 0, 0x1d0
	s_mov_b32 s16, 0
	s_waitcnt vmcnt(2)
	v_mul_f64 v[19:20], v[2:3], v[15:16]
	v_mul_f64 v[15:16], v[0:1], v[15:16]
	s_waitcnt vmcnt(0)
	v_fma_f64 v[0:1], v[0:1], v[17:18], -v[19:20]
	v_fma_f64 v[2:3], v[2:3], v[17:18], v[15:16]
	buffer_store_dword v0, off, s[0:3], 0 offset:448
	buffer_store_dword v1, off, s[0:3], 0 offset:452
	;; [unrolled: 1-line block ×4, first 2 shown]
.LBB120_708:                            ; =>This Inner Loop Header: Depth=1
	v_mov_b32_e32 v9, s16
	v_add_nc_u32_e32 v27, s16, v4
	s_add_i32 s16, s16, 64
	s_clause 0xf
	buffer_load_dword v31, v9, s[0:3], 0 offen offset:464
	buffer_load_dword v32, v9, s[0:3], 0 offen offset:468
	;; [unrolled: 1-line block ×16, first 2 shown]
	ds_read2_b64 v[15:18], v27 offset1:1
	ds_read2_b64 v[19:22], v27 offset0:2 offset1:3
	ds_read2_b64 v[23:26], v27 offset0:4 offset1:5
	;; [unrolled: 1-line block ×3, first 2 shown]
	s_cmpk_lg_i32 s16, 0x200
	s_waitcnt lgkmcnt(3)
	v_mul_f64 v[47:48], v[17:18], v[2:3]
	v_mul_f64 v[49:50], v[15:16], v[2:3]
	s_waitcnt lgkmcnt(2)
	v_mul_f64 v[51:52], v[21:22], v[2:3]
	v_mul_f64 v[53:54], v[19:20], v[2:3]
	;; [unrolled: 3-line block ×4, first 2 shown]
	v_fma_f64 v[15:16], v[15:16], v[0:1], -v[47:48]
	v_fma_f64 v[17:18], v[17:18], v[0:1], v[49:50]
	v_fma_f64 v[19:20], v[19:20], v[0:1], -v[51:52]
	v_fma_f64 v[21:22], v[21:22], v[0:1], v[53:54]
	;; [unrolled: 2-line block ×4, first 2 shown]
	s_waitcnt vmcnt(14)
	v_add_f64 v[15:16], v[31:32], -v[15:16]
	s_waitcnt vmcnt(12)
	v_add_f64 v[17:18], v[33:34], -v[17:18]
	;; [unrolled: 2-line block ×8, first 2 shown]
	buffer_store_dword v15, v9, s[0:3], 0 offen offset:464
	buffer_store_dword v16, v9, s[0:3], 0 offen offset:468
	;; [unrolled: 1-line block ×16, first 2 shown]
	s_cbranch_scc1 .LBB120_708
.LBB120_709:
	s_or_b32 exec_lo, exec_lo, s4
	v_mov_b32_e32 v3, s50
	s_waitcnt_vscnt null, 0x0
	s_barrier
	buffer_gl0_inv
	v_lshl_add_u32 v4, v14, 4, v11
	s_clause 0x3
	buffer_load_dword v0, v3, s[0:3], 0 offen
	buffer_load_dword v1, v3, s[0:3], 0 offen offset:4
	buffer_load_dword v2, v3, s[0:3], 0 offen offset:8
	;; [unrolled: 1-line block ×3, first 2 shown]
	v_mov_b32_e32 v9, 29
	s_cmp_lt_i32 s56, 31
	s_waitcnt vmcnt(0)
	ds_write2_b64 v4, v[0:1], v[2:3] offset1:1
	s_waitcnt lgkmcnt(0)
	s_barrier
	buffer_gl0_inv
	ds_read2_b64 v[0:3], v11 offset0:58 offset1:59
	s_cbranch_scc1 .LBB120_712
; %bb.710:
	v_add3_u32 v4, v13, 0, 0x1e0
	v_mov_b32_e32 v9, 29
	s_mov_b32 s16, 30
	s_inst_prefetch 0x1
	.p2align	6
.LBB120_711:                            ; =>This Inner Loop Header: Depth=1
	s_waitcnt lgkmcnt(0)
	v_cmp_gt_f64_e32 vcc_lo, 0, v[2:3]
	v_cmp_gt_f64_e64 s4, 0, v[0:1]
	ds_read2_b64 v[15:18], v4 offset1:1
	v_xor_b32_e32 v20, 0x80000000, v1
	v_xor_b32_e32 v22, 0x80000000, v3
	v_mov_b32_e32 v19, v0
	v_mov_b32_e32 v21, v2
	v_add_nc_u32_e32 v4, 16, v4
	s_waitcnt lgkmcnt(0)
	v_xor_b32_e32 v24, 0x80000000, v18
	v_cndmask_b32_e64 v20, v1, v20, s4
	v_cndmask_b32_e32 v22, v3, v22, vcc_lo
	v_cmp_gt_f64_e32 vcc_lo, 0, v[17:18]
	v_cmp_gt_f64_e64 s4, 0, v[15:16]
	v_mov_b32_e32 v23, v17
	v_add_f64 v[19:20], v[19:20], v[21:22]
	v_xor_b32_e32 v22, 0x80000000, v16
	v_mov_b32_e32 v21, v15
	v_cndmask_b32_e32 v24, v18, v24, vcc_lo
	v_cndmask_b32_e64 v22, v16, v22, s4
	v_add_f64 v[21:22], v[21:22], v[23:24]
	v_cmp_lt_f64_e32 vcc_lo, v[19:20], v[21:22]
	v_cndmask_b32_e32 v1, v1, v16, vcc_lo
	v_cndmask_b32_e32 v0, v0, v15, vcc_lo
	;; [unrolled: 1-line block ×4, first 2 shown]
	v_cndmask_b32_e64 v9, v9, s16, vcc_lo
	s_add_i32 s16, s16, 1
	s_cmp_lg_u32 s56, s16
	s_cbranch_scc1 .LBB120_711
.LBB120_712:
	s_inst_prefetch 0x2
	s_waitcnt lgkmcnt(0)
	v_cmp_eq_f64_e32 vcc_lo, 0, v[0:1]
	v_cmp_eq_f64_e64 s4, 0, v[2:3]
	s_and_b32 s4, vcc_lo, s4
	s_and_saveexec_b32 s16, s4
	s_xor_b32 s4, exec_lo, s16
; %bb.713:
	v_cmp_ne_u32_e32 vcc_lo, 0, v12
	v_cndmask_b32_e32 v12, 30, v12, vcc_lo
; %bb.714:
	s_andn2_saveexec_b32 s4, s4
	s_cbranch_execz .LBB120_720
; %bb.715:
	v_cmp_ngt_f64_e64 s16, |v[0:1]|, |v[2:3]|
	s_and_saveexec_b32 s17, s16
	s_xor_b32 s16, exec_lo, s17
	s_cbranch_execz .LBB120_717
; %bb.716:
	v_div_scale_f64 v[15:16], null, v[2:3], v[2:3], v[0:1]
	v_div_scale_f64 v[21:22], vcc_lo, v[0:1], v[2:3], v[0:1]
	v_rcp_f64_e32 v[17:18], v[15:16]
	v_fma_f64 v[19:20], -v[15:16], v[17:18], 1.0
	v_fma_f64 v[17:18], v[17:18], v[19:20], v[17:18]
	v_fma_f64 v[19:20], -v[15:16], v[17:18], 1.0
	v_fma_f64 v[17:18], v[17:18], v[19:20], v[17:18]
	v_mul_f64 v[19:20], v[21:22], v[17:18]
	v_fma_f64 v[15:16], -v[15:16], v[19:20], v[21:22]
	v_div_fmas_f64 v[15:16], v[15:16], v[17:18], v[19:20]
	v_div_fixup_f64 v[15:16], v[15:16], v[2:3], v[0:1]
	v_fma_f64 v[0:1], v[0:1], v[15:16], v[2:3]
	v_div_scale_f64 v[2:3], null, v[0:1], v[0:1], 1.0
	v_rcp_f64_e32 v[17:18], v[2:3]
	v_fma_f64 v[19:20], -v[2:3], v[17:18], 1.0
	v_fma_f64 v[17:18], v[17:18], v[19:20], v[17:18]
	v_fma_f64 v[19:20], -v[2:3], v[17:18], 1.0
	v_fma_f64 v[17:18], v[17:18], v[19:20], v[17:18]
	v_div_scale_f64 v[19:20], vcc_lo, 1.0, v[0:1], 1.0
	v_mul_f64 v[21:22], v[19:20], v[17:18]
	v_fma_f64 v[2:3], -v[2:3], v[21:22], v[19:20]
	v_div_fmas_f64 v[2:3], v[2:3], v[17:18], v[21:22]
	v_div_fixup_f64 v[2:3], v[2:3], v[0:1], 1.0
	v_mul_f64 v[0:1], v[15:16], v[2:3]
	v_xor_b32_e32 v3, 0x80000000, v3
.LBB120_717:
	s_andn2_saveexec_b32 s16, s16
	s_cbranch_execz .LBB120_719
; %bb.718:
	v_div_scale_f64 v[15:16], null, v[0:1], v[0:1], v[2:3]
	v_div_scale_f64 v[21:22], vcc_lo, v[2:3], v[0:1], v[2:3]
	v_rcp_f64_e32 v[17:18], v[15:16]
	v_fma_f64 v[19:20], -v[15:16], v[17:18], 1.0
	v_fma_f64 v[17:18], v[17:18], v[19:20], v[17:18]
	v_fma_f64 v[19:20], -v[15:16], v[17:18], 1.0
	v_fma_f64 v[17:18], v[17:18], v[19:20], v[17:18]
	v_mul_f64 v[19:20], v[21:22], v[17:18]
	v_fma_f64 v[15:16], -v[15:16], v[19:20], v[21:22]
	v_div_fmas_f64 v[15:16], v[15:16], v[17:18], v[19:20]
	v_div_fixup_f64 v[15:16], v[15:16], v[0:1], v[2:3]
	v_fma_f64 v[0:1], v[2:3], v[15:16], v[0:1]
	v_div_scale_f64 v[2:3], null, v[0:1], v[0:1], 1.0
	v_rcp_f64_e32 v[17:18], v[2:3]
	v_fma_f64 v[19:20], -v[2:3], v[17:18], 1.0
	v_fma_f64 v[17:18], v[17:18], v[19:20], v[17:18]
	v_fma_f64 v[19:20], -v[2:3], v[17:18], 1.0
	v_fma_f64 v[17:18], v[17:18], v[19:20], v[17:18]
	v_div_scale_f64 v[19:20], vcc_lo, 1.0, v[0:1], 1.0
	v_mul_f64 v[21:22], v[19:20], v[17:18]
	v_fma_f64 v[2:3], -v[2:3], v[21:22], v[19:20]
	v_div_fmas_f64 v[2:3], v[2:3], v[17:18], v[21:22]
	v_div_fixup_f64 v[0:1], v[2:3], v[0:1], 1.0
	v_mul_f64 v[2:3], v[15:16], -v[0:1]
.LBB120_719:
	s_or_b32 exec_lo, exec_lo, s16
.LBB120_720:
	s_or_b32 exec_lo, exec_lo, s4
	s_mov_b32 s4, exec_lo
	v_cmpx_ne_u32_e64 v14, v9
	s_xor_b32 s4, exec_lo, s4
	s_cbranch_execz .LBB120_726
; %bb.721:
	s_mov_b32 s16, exec_lo
	v_cmpx_eq_u32_e32 29, v14
	s_cbranch_execz .LBB120_725
; %bb.722:
	v_cmp_ne_u32_e32 vcc_lo, 29, v9
	s_xor_b32 s17, s20, -1
	s_and_b32 s57, s17, vcc_lo
	s_and_saveexec_b32 s17, s57
	s_cbranch_execz .LBB120_724
; %bb.723:
	v_ashrrev_i32_e32 v10, 31, v9
	v_lshlrev_b64 v[14:15], 2, v[9:10]
	v_add_co_u32 v14, vcc_lo, v7, v14
	v_add_co_ci_u32_e64 v15, null, v8, v15, vcc_lo
	s_clause 0x1
	global_load_dword v4, v[14:15], off
	global_load_dword v10, v[7:8], off offset:116
	s_waitcnt vmcnt(1)
	global_store_dword v[7:8], v4, off offset:116
	s_waitcnt vmcnt(0)
	global_store_dword v[14:15], v10, off
.LBB120_724:
	s_or_b32 exec_lo, exec_lo, s17
	v_mov_b32_e32 v14, v9
	v_mov_b32_e32 v10, v9
.LBB120_725:
	s_or_b32 exec_lo, exec_lo, s16
.LBB120_726:
	s_andn2_saveexec_b32 s4, s4
	s_cbranch_execz .LBB120_728
; %bb.727:
	v_mov_b32_e32 v4, s49
	v_mov_b32_e32 v9, s48
	;; [unrolled: 1-line block ×3, first 2 shown]
	s_clause 0x7
	buffer_load_dword v15, v4, s[0:3], 0 offen
	buffer_load_dword v16, v4, s[0:3], 0 offen offset:4
	buffer_load_dword v17, v4, s[0:3], 0 offen offset:8
	buffer_load_dword v18, v4, s[0:3], 0 offen offset:12
	buffer_load_dword v19, v9, s[0:3], 0 offen
	buffer_load_dword v20, v9, s[0:3], 0 offen offset:4
	buffer_load_dword v21, v9, s[0:3], 0 offen offset:8
	buffer_load_dword v22, v9, s[0:3], 0 offen offset:12
	v_mov_b32_e32 v9, s45
	v_mov_b32_e32 v4, s46
	s_clause 0x7
	buffer_load_dword v23, v14, s[0:3], 0 offen
	buffer_load_dword v24, v14, s[0:3], 0 offen offset:4
	buffer_load_dword v25, v14, s[0:3], 0 offen offset:8
	buffer_load_dword v26, v14, s[0:3], 0 offen offset:12
	buffer_load_dword v27, v4, s[0:3], 0 offen
	buffer_load_dword v28, v4, s[0:3], 0 offen offset:4
	buffer_load_dword v29, v4, s[0:3], 0 offen offset:8
	buffer_load_dword v30, v4, s[0:3], 0 offen offset:12
	v_mov_b32_e32 v4, s44
	v_mov_b32_e32 v14, s43
	s_clause 0x7
	buffer_load_dword v31, v9, s[0:3], 0 offen
	buffer_load_dword v32, v9, s[0:3], 0 offen offset:4
	buffer_load_dword v33, v9, s[0:3], 0 offen offset:8
	buffer_load_dword v34, v9, s[0:3], 0 offen offset:12
	buffer_load_dword v35, v4, s[0:3], 0 offen
	buffer_load_dword v36, v4, s[0:3], 0 offen offset:4
	buffer_load_dword v37, v4, s[0:3], 0 offen offset:8
	buffer_load_dword v38, v4, s[0:3], 0 offen offset:12
	v_mov_b32_e32 v9, s41
	v_mov_b32_e32 v4, s42
	s_clause 0x7
	buffer_load_dword v39, v14, s[0:3], 0 offen
	buffer_load_dword v40, v14, s[0:3], 0 offen offset:4
	buffer_load_dword v41, v14, s[0:3], 0 offen offset:8
	buffer_load_dword v42, v14, s[0:3], 0 offen offset:12
	buffer_load_dword v43, v4, s[0:3], 0 offen
	buffer_load_dword v44, v4, s[0:3], 0 offen offset:4
	buffer_load_dword v45, v4, s[0:3], 0 offen offset:8
	buffer_load_dword v46, v4, s[0:3], 0 offen offset:12
	v_mov_b32_e32 v4, s40
	v_mov_b32_e32 v14, s39
	s_clause 0x7
	buffer_load_dword v47, v9, s[0:3], 0 offen
	buffer_load_dword v48, v9, s[0:3], 0 offen offset:4
	buffer_load_dword v49, v9, s[0:3], 0 offen offset:8
	buffer_load_dword v50, v9, s[0:3], 0 offen offset:12
	buffer_load_dword v51, v4, s[0:3], 0 offen
	buffer_load_dword v52, v4, s[0:3], 0 offen offset:4
	buffer_load_dword v53, v4, s[0:3], 0 offen offset:8
	buffer_load_dword v54, v4, s[0:3], 0 offen offset:12
	v_mov_b32_e32 v9, s37
	v_mov_b32_e32 v4, s38
	s_clause 0x7
	buffer_load_dword v55, v14, s[0:3], 0 offen
	buffer_load_dword v56, v14, s[0:3], 0 offen offset:4
	buffer_load_dword v57, v14, s[0:3], 0 offen offset:8
	buffer_load_dword v58, v14, s[0:3], 0 offen offset:12
	buffer_load_dword v59, v4, s[0:3], 0 offen
	buffer_load_dword v60, v4, s[0:3], 0 offen offset:4
	buffer_load_dword v61, v4, s[0:3], 0 offen offset:8
	buffer_load_dword v62, v4, s[0:3], 0 offen offset:12
	v_mov_b32_e32 v4, s36
	v_mov_b32_e32 v14, s35
	s_clause 0x7
	buffer_load_dword v63, v9, s[0:3], 0 offen
	buffer_load_dword v64, v9, s[0:3], 0 offen offset:4
	buffer_load_dword v65, v9, s[0:3], 0 offen offset:8
	buffer_load_dword v66, v9, s[0:3], 0 offen offset:12
	buffer_load_dword v67, v4, s[0:3], 0 offen
	buffer_load_dword v68, v4, s[0:3], 0 offen offset:4
	buffer_load_dword v69, v4, s[0:3], 0 offen offset:8
	buffer_load_dword v70, v4, s[0:3], 0 offen offset:12
	v_mov_b32_e32 v9, s33
	v_mov_b32_e32 v4, s34
	s_clause 0x7
	buffer_load_dword v71, v14, s[0:3], 0 offen
	buffer_load_dword v72, v14, s[0:3], 0 offen offset:4
	buffer_load_dword v73, v14, s[0:3], 0 offen offset:8
	buffer_load_dword v74, v14, s[0:3], 0 offen offset:12
	buffer_load_dword v75, v4, s[0:3], 0 offen
	buffer_load_dword v76, v4, s[0:3], 0 offen offset:4
	buffer_load_dword v77, v4, s[0:3], 0 offen offset:8
	buffer_load_dword v78, v4, s[0:3], 0 offen offset:12
	v_mov_b32_e32 v4, s31
	v_mov_b32_e32 v14, s30
	s_clause 0x7
	buffer_load_dword v79, v9, s[0:3], 0 offen
	buffer_load_dword v80, v9, s[0:3], 0 offen offset:4
	buffer_load_dword v81, v9, s[0:3], 0 offen offset:8
	buffer_load_dword v82, v9, s[0:3], 0 offen offset:12
	buffer_load_dword v83, v4, s[0:3], 0 offen
	buffer_load_dword v84, v4, s[0:3], 0 offen offset:4
	buffer_load_dword v85, v4, s[0:3], 0 offen offset:8
	buffer_load_dword v86, v4, s[0:3], 0 offen offset:12
	v_mov_b32_e32 v9, s28
	v_mov_b32_e32 v4, s29
	s_clause 0x7
	buffer_load_dword v87, v14, s[0:3], 0 offen
	buffer_load_dword v88, v14, s[0:3], 0 offen offset:4
	buffer_load_dword v89, v14, s[0:3], 0 offen offset:8
	buffer_load_dword v90, v14, s[0:3], 0 offen offset:12
	buffer_load_dword v91, v4, s[0:3], 0 offen
	buffer_load_dword v92, v4, s[0:3], 0 offen offset:4
	buffer_load_dword v93, v4, s[0:3], 0 offen offset:8
	buffer_load_dword v94, v4, s[0:3], 0 offen offset:12
	v_mov_b32_e32 v4, s27
	v_mov_b32_e32 v14, s26
	s_clause 0x7
	buffer_load_dword v95, v9, s[0:3], 0 offen
	buffer_load_dword v96, v9, s[0:3], 0 offen offset:4
	buffer_load_dword v97, v9, s[0:3], 0 offen offset:8
	buffer_load_dword v98, v9, s[0:3], 0 offen offset:12
	buffer_load_dword v99, v4, s[0:3], 0 offen
	buffer_load_dword v100, v4, s[0:3], 0 offen offset:4
	buffer_load_dword v101, v4, s[0:3], 0 offen offset:8
	buffer_load_dword v102, v4, s[0:3], 0 offen offset:12
	v_mov_b32_e32 v9, s24
	v_mov_b32_e32 v4, s25
	s_clause 0x7
	buffer_load_dword v103, v14, s[0:3], 0 offen
	buffer_load_dword v104, v14, s[0:3], 0 offen offset:4
	buffer_load_dword v105, v14, s[0:3], 0 offen offset:8
	buffer_load_dword v106, v14, s[0:3], 0 offen offset:12
	buffer_load_dword v107, v4, s[0:3], 0 offen
	buffer_load_dword v108, v4, s[0:3], 0 offen offset:4
	buffer_load_dword v109, v4, s[0:3], 0 offen offset:8
	buffer_load_dword v110, v4, s[0:3], 0 offen offset:12
	v_mov_b32_e32 v4, s23
	v_mov_b32_e32 v14, s22
	s_clause 0x7
	buffer_load_dword v111, v9, s[0:3], 0 offen
	buffer_load_dword v112, v9, s[0:3], 0 offen offset:4
	buffer_load_dword v113, v9, s[0:3], 0 offen offset:8
	buffer_load_dword v114, v9, s[0:3], 0 offen offset:12
	buffer_load_dword v115, v4, s[0:3], 0 offen
	buffer_load_dword v116, v4, s[0:3], 0 offen offset:4
	buffer_load_dword v117, v4, s[0:3], 0 offen offset:8
	buffer_load_dword v118, v4, s[0:3], 0 offen offset:12
	v_mov_b32_e32 v9, s18
	v_mov_b32_e32 v4, s19
	s_clause 0x7
	buffer_load_dword v119, v14, s[0:3], 0 offen
	buffer_load_dword v120, v14, s[0:3], 0 offen offset:4
	buffer_load_dword v121, v14, s[0:3], 0 offen offset:8
	buffer_load_dword v122, v14, s[0:3], 0 offen offset:12
	buffer_load_dword v123, v4, s[0:3], 0 offen
	buffer_load_dword v124, v4, s[0:3], 0 offen offset:4
	buffer_load_dword v125, v4, s[0:3], 0 offen offset:8
	buffer_load_dword v126, v4, s[0:3], 0 offen offset:12
	v_mov_b32_e32 v4, s7
	v_mov_b32_e32 v14, s5
	s_clause 0xb
	buffer_load_dword v127, v9, s[0:3], 0 offen
	buffer_load_dword v128, v9, s[0:3], 0 offen offset:4
	buffer_load_dword v129, v9, s[0:3], 0 offen offset:8
	buffer_load_dword v130, v9, s[0:3], 0 offen offset:12
	buffer_load_dword v131, v4, s[0:3], 0 offen
	buffer_load_dword v132, v4, s[0:3], 0 offen offset:4
	buffer_load_dword v133, v4, s[0:3], 0 offen offset:8
	buffer_load_dword v134, v4, s[0:3], 0 offen offset:12
	;; [unrolled: 4-line block ×3, first 2 shown]
	v_mov_b32_e32 v14, 29
	s_waitcnt vmcnt(62)
	ds_write2_b64 v11, v[15:16], v[17:18] offset0:60 offset1:61
	ds_write2_b64 v11, v[19:20], v[21:22] offset0:62 offset1:63
	;; [unrolled: 1-line block ×15, first 2 shown]
	s_waitcnt vmcnt(60)
	ds_write2_b64 v11, v[75:76], v[77:78] offset0:90 offset1:91
	s_waitcnt vmcnt(56)
	ds_write2_b64 v11, v[79:80], v[81:82] offset0:92 offset1:93
	;; [unrolled: 2-line block ×16, first 2 shown]
.LBB120_728:
	s_or_b32 exec_lo, exec_lo, s4
	s_mov_b32 s4, exec_lo
	s_waitcnt lgkmcnt(0)
	s_waitcnt_vscnt null, 0x0
	s_barrier
	buffer_gl0_inv
	v_cmpx_lt_i32_e32 29, v14
	s_cbranch_execz .LBB120_733
; %bb.729:
	s_clause 0x3
	buffer_load_dword v15, off, s[0:3], 0 offset:472
	buffer_load_dword v16, off, s[0:3], 0 offset:476
	buffer_load_dword v17, off, s[0:3], 0 offset:464
	buffer_load_dword v18, off, s[0:3], 0 offset:468
	v_add3_u32 v4, v13, 0, 0x1e0
	s_mov_b32 s16, 0
	s_waitcnt vmcnt(2)
	v_mul_f64 v[19:20], v[2:3], v[15:16]
	v_mul_f64 v[15:16], v[0:1], v[15:16]
	s_waitcnt vmcnt(0)
	v_fma_f64 v[0:1], v[0:1], v[17:18], -v[19:20]
	v_fma_f64 v[2:3], v[2:3], v[17:18], v[15:16]
	buffer_store_dword v0, off, s[0:3], 0 offset:464
	buffer_store_dword v1, off, s[0:3], 0 offset:468
	;; [unrolled: 1-line block ×4, first 2 shown]
	s_branch .LBB120_731
.LBB120_730:                            ;   in Loop: Header=BB120_731 Depth=1
	s_andn2_b32 vcc_lo, exec_lo, s57
	s_cbranch_vccz .LBB120_733
.LBB120_731:                            ; =>This Inner Loop Header: Depth=1
	v_mov_b32_e32 v51, s16
	v_add_nc_u32_e32 v9, s16, v4
	s_mov_b32 s17, s16
	s_mov_b32 s57, -1
	s_cmpk_eq_i32 s16, 0x1c0
	s_clause 0xb
	buffer_load_dword v27, v51, s[0:3], 0 offen offset:480
	buffer_load_dword v28, v51, s[0:3], 0 offen offset:484
	;; [unrolled: 1-line block ×12, first 2 shown]
	ds_read2_b64 v[15:18], v9 offset1:1
	ds_read2_b64 v[19:22], v9 offset0:2 offset1:3
	ds_read2_b64 v[23:26], v9 offset0:4 offset1:5
	s_waitcnt lgkmcnt(2)
	v_mul_f64 v[39:40], v[17:18], v[2:3]
	v_mul_f64 v[41:42], v[15:16], v[2:3]
	s_waitcnt lgkmcnt(1)
	v_mul_f64 v[43:44], v[21:22], v[2:3]
	v_mul_f64 v[45:46], v[19:20], v[2:3]
	;; [unrolled: 3-line block ×3, first 2 shown]
	v_fma_f64 v[15:16], v[15:16], v[0:1], -v[39:40]
	v_fma_f64 v[17:18], v[17:18], v[0:1], v[41:42]
	v_fma_f64 v[19:20], v[19:20], v[0:1], -v[43:44]
	v_fma_f64 v[21:22], v[21:22], v[0:1], v[45:46]
	;; [unrolled: 2-line block ×3, first 2 shown]
	s_waitcnt vmcnt(10)
	v_add_f64 v[15:16], v[27:28], -v[15:16]
	s_waitcnt vmcnt(8)
	v_add_f64 v[17:18], v[29:30], -v[17:18]
	;; [unrolled: 2-line block ×6, first 2 shown]
	buffer_store_dword v15, v51, s[0:3], 0 offen offset:480
	buffer_store_dword v16, v51, s[0:3], 0 offen offset:484
	;; [unrolled: 1-line block ×12, first 2 shown]
	s_cbranch_scc1 .LBB120_730
; %bb.732:                              ;   in Loop: Header=BB120_731 Depth=1
	v_mov_b32_e32 v27, s17
	s_add_i32 s16, s16, 64
	s_mov_b32 s57, 0
	s_clause 0x3
	buffer_load_dword v19, v27, s[0:3], 0 offen offset:528
	buffer_load_dword v20, v27, s[0:3], 0 offen offset:532
	;; [unrolled: 1-line block ×4, first 2 shown]
	ds_read2_b64 v[15:18], v9 offset0:6 offset1:7
	s_waitcnt lgkmcnt(0)
	v_mul_f64 v[23:24], v[17:18], v[2:3]
	v_mul_f64 v[25:26], v[15:16], v[2:3]
	v_fma_f64 v[15:16], v[15:16], v[0:1], -v[23:24]
	v_fma_f64 v[17:18], v[17:18], v[0:1], v[25:26]
	s_waitcnt vmcnt(2)
	v_add_f64 v[15:16], v[19:20], -v[15:16]
	s_waitcnt vmcnt(0)
	v_add_f64 v[17:18], v[21:22], -v[17:18]
	buffer_store_dword v15, v27, s[0:3], 0 offen offset:528
	buffer_store_dword v16, v27, s[0:3], 0 offen offset:532
	;; [unrolled: 1-line block ×4, first 2 shown]
	s_branch .LBB120_730
.LBB120_733:
	s_or_b32 exec_lo, exec_lo, s4
	v_mov_b32_e32 v3, s49
	s_waitcnt_vscnt null, 0x0
	s_barrier
	buffer_gl0_inv
	v_lshl_add_u32 v4, v14, 4, v11
	s_clause 0x3
	buffer_load_dword v0, v3, s[0:3], 0 offen
	buffer_load_dword v1, v3, s[0:3], 0 offen offset:4
	buffer_load_dword v2, v3, s[0:3], 0 offen offset:8
	;; [unrolled: 1-line block ×3, first 2 shown]
	v_mov_b32_e32 v9, 30
	s_cmp_lt_i32 s56, 32
	s_waitcnt vmcnt(0)
	ds_write2_b64 v4, v[0:1], v[2:3] offset1:1
	s_waitcnt lgkmcnt(0)
	s_barrier
	buffer_gl0_inv
	ds_read2_b64 v[0:3], v11 offset0:60 offset1:61
	s_cbranch_scc1 .LBB120_736
; %bb.734:
	v_add3_u32 v4, v13, 0, 0x1f0
	v_mov_b32_e32 v9, 30
	s_mov_b32 s16, 31
	s_inst_prefetch 0x1
	.p2align	6
.LBB120_735:                            ; =>This Inner Loop Header: Depth=1
	s_waitcnt lgkmcnt(0)
	v_cmp_gt_f64_e32 vcc_lo, 0, v[2:3]
	v_cmp_gt_f64_e64 s4, 0, v[0:1]
	ds_read2_b64 v[15:18], v4 offset1:1
	v_xor_b32_e32 v20, 0x80000000, v1
	v_xor_b32_e32 v22, 0x80000000, v3
	v_mov_b32_e32 v19, v0
	v_mov_b32_e32 v21, v2
	v_add_nc_u32_e32 v4, 16, v4
	s_waitcnt lgkmcnt(0)
	v_xor_b32_e32 v24, 0x80000000, v18
	v_cndmask_b32_e64 v20, v1, v20, s4
	v_cndmask_b32_e32 v22, v3, v22, vcc_lo
	v_cmp_gt_f64_e32 vcc_lo, 0, v[17:18]
	v_cmp_gt_f64_e64 s4, 0, v[15:16]
	v_mov_b32_e32 v23, v17
	v_add_f64 v[19:20], v[19:20], v[21:22]
	v_xor_b32_e32 v22, 0x80000000, v16
	v_mov_b32_e32 v21, v15
	v_cndmask_b32_e32 v24, v18, v24, vcc_lo
	v_cndmask_b32_e64 v22, v16, v22, s4
	v_add_f64 v[21:22], v[21:22], v[23:24]
	v_cmp_lt_f64_e32 vcc_lo, v[19:20], v[21:22]
	v_cndmask_b32_e32 v1, v1, v16, vcc_lo
	v_cndmask_b32_e32 v0, v0, v15, vcc_lo
	;; [unrolled: 1-line block ×4, first 2 shown]
	v_cndmask_b32_e64 v9, v9, s16, vcc_lo
	s_add_i32 s16, s16, 1
	s_cmp_lg_u32 s56, s16
	s_cbranch_scc1 .LBB120_735
.LBB120_736:
	s_inst_prefetch 0x2
	s_waitcnt lgkmcnt(0)
	v_cmp_eq_f64_e32 vcc_lo, 0, v[0:1]
	v_cmp_eq_f64_e64 s4, 0, v[2:3]
	s_and_b32 s4, vcc_lo, s4
	s_and_saveexec_b32 s16, s4
	s_xor_b32 s4, exec_lo, s16
; %bb.737:
	v_cmp_ne_u32_e32 vcc_lo, 0, v12
	v_cndmask_b32_e32 v12, 31, v12, vcc_lo
; %bb.738:
	s_andn2_saveexec_b32 s4, s4
	s_cbranch_execz .LBB120_744
; %bb.739:
	v_cmp_ngt_f64_e64 s16, |v[0:1]|, |v[2:3]|
	s_and_saveexec_b32 s17, s16
	s_xor_b32 s16, exec_lo, s17
	s_cbranch_execz .LBB120_741
; %bb.740:
	v_div_scale_f64 v[15:16], null, v[2:3], v[2:3], v[0:1]
	v_div_scale_f64 v[21:22], vcc_lo, v[0:1], v[2:3], v[0:1]
	v_rcp_f64_e32 v[17:18], v[15:16]
	v_fma_f64 v[19:20], -v[15:16], v[17:18], 1.0
	v_fma_f64 v[17:18], v[17:18], v[19:20], v[17:18]
	v_fma_f64 v[19:20], -v[15:16], v[17:18], 1.0
	v_fma_f64 v[17:18], v[17:18], v[19:20], v[17:18]
	v_mul_f64 v[19:20], v[21:22], v[17:18]
	v_fma_f64 v[15:16], -v[15:16], v[19:20], v[21:22]
	v_div_fmas_f64 v[15:16], v[15:16], v[17:18], v[19:20]
	v_div_fixup_f64 v[15:16], v[15:16], v[2:3], v[0:1]
	v_fma_f64 v[0:1], v[0:1], v[15:16], v[2:3]
	v_div_scale_f64 v[2:3], null, v[0:1], v[0:1], 1.0
	v_rcp_f64_e32 v[17:18], v[2:3]
	v_fma_f64 v[19:20], -v[2:3], v[17:18], 1.0
	v_fma_f64 v[17:18], v[17:18], v[19:20], v[17:18]
	v_fma_f64 v[19:20], -v[2:3], v[17:18], 1.0
	v_fma_f64 v[17:18], v[17:18], v[19:20], v[17:18]
	v_div_scale_f64 v[19:20], vcc_lo, 1.0, v[0:1], 1.0
	v_mul_f64 v[21:22], v[19:20], v[17:18]
	v_fma_f64 v[2:3], -v[2:3], v[21:22], v[19:20]
	v_div_fmas_f64 v[2:3], v[2:3], v[17:18], v[21:22]
	v_div_fixup_f64 v[2:3], v[2:3], v[0:1], 1.0
	v_mul_f64 v[0:1], v[15:16], v[2:3]
	v_xor_b32_e32 v3, 0x80000000, v3
.LBB120_741:
	s_andn2_saveexec_b32 s16, s16
	s_cbranch_execz .LBB120_743
; %bb.742:
	v_div_scale_f64 v[15:16], null, v[0:1], v[0:1], v[2:3]
	v_div_scale_f64 v[21:22], vcc_lo, v[2:3], v[0:1], v[2:3]
	v_rcp_f64_e32 v[17:18], v[15:16]
	v_fma_f64 v[19:20], -v[15:16], v[17:18], 1.0
	v_fma_f64 v[17:18], v[17:18], v[19:20], v[17:18]
	v_fma_f64 v[19:20], -v[15:16], v[17:18], 1.0
	v_fma_f64 v[17:18], v[17:18], v[19:20], v[17:18]
	v_mul_f64 v[19:20], v[21:22], v[17:18]
	v_fma_f64 v[15:16], -v[15:16], v[19:20], v[21:22]
	v_div_fmas_f64 v[15:16], v[15:16], v[17:18], v[19:20]
	v_div_fixup_f64 v[15:16], v[15:16], v[0:1], v[2:3]
	v_fma_f64 v[0:1], v[2:3], v[15:16], v[0:1]
	v_div_scale_f64 v[2:3], null, v[0:1], v[0:1], 1.0
	v_rcp_f64_e32 v[17:18], v[2:3]
	v_fma_f64 v[19:20], -v[2:3], v[17:18], 1.0
	v_fma_f64 v[17:18], v[17:18], v[19:20], v[17:18]
	v_fma_f64 v[19:20], -v[2:3], v[17:18], 1.0
	v_fma_f64 v[17:18], v[17:18], v[19:20], v[17:18]
	v_div_scale_f64 v[19:20], vcc_lo, 1.0, v[0:1], 1.0
	v_mul_f64 v[21:22], v[19:20], v[17:18]
	v_fma_f64 v[2:3], -v[2:3], v[21:22], v[19:20]
	v_div_fmas_f64 v[2:3], v[2:3], v[17:18], v[21:22]
	v_div_fixup_f64 v[0:1], v[2:3], v[0:1], 1.0
	v_mul_f64 v[2:3], v[15:16], -v[0:1]
.LBB120_743:
	s_or_b32 exec_lo, exec_lo, s16
.LBB120_744:
	s_or_b32 exec_lo, exec_lo, s4
	s_mov_b32 s4, exec_lo
	v_cmpx_ne_u32_e64 v14, v9
	s_xor_b32 s4, exec_lo, s4
	s_cbranch_execz .LBB120_750
; %bb.745:
	s_mov_b32 s16, exec_lo
	v_cmpx_eq_u32_e32 30, v14
	s_cbranch_execz .LBB120_749
; %bb.746:
	v_cmp_ne_u32_e32 vcc_lo, 30, v9
	s_xor_b32 s17, s20, -1
	s_and_b32 s57, s17, vcc_lo
	s_and_saveexec_b32 s17, s57
	s_cbranch_execz .LBB120_748
; %bb.747:
	v_ashrrev_i32_e32 v10, 31, v9
	v_lshlrev_b64 v[14:15], 2, v[9:10]
	v_add_co_u32 v14, vcc_lo, v7, v14
	v_add_co_ci_u32_e64 v15, null, v8, v15, vcc_lo
	s_clause 0x1
	global_load_dword v4, v[14:15], off
	global_load_dword v10, v[7:8], off offset:120
	s_waitcnt vmcnt(1)
	global_store_dword v[7:8], v4, off offset:120
	s_waitcnt vmcnt(0)
	global_store_dword v[14:15], v10, off
.LBB120_748:
	s_or_b32 exec_lo, exec_lo, s17
	v_mov_b32_e32 v14, v9
	v_mov_b32_e32 v10, v9
.LBB120_749:
	s_or_b32 exec_lo, exec_lo, s16
.LBB120_750:
	s_andn2_saveexec_b32 s4, s4
	s_cbranch_execz .LBB120_752
; %bb.751:
	v_mov_b32_e32 v4, s48
	v_mov_b32_e32 v9, s47
	;; [unrolled: 1-line block ×3, first 2 shown]
	s_clause 0x7
	buffer_load_dword v15, v4, s[0:3], 0 offen
	buffer_load_dword v16, v4, s[0:3], 0 offen offset:4
	buffer_load_dword v17, v4, s[0:3], 0 offen offset:8
	buffer_load_dword v18, v4, s[0:3], 0 offen offset:12
	buffer_load_dword v19, v9, s[0:3], 0 offen
	buffer_load_dword v20, v9, s[0:3], 0 offen offset:4
	buffer_load_dword v21, v9, s[0:3], 0 offen offset:8
	buffer_load_dword v22, v9, s[0:3], 0 offen offset:12
	v_mov_b32_e32 v9, s44
	v_mov_b32_e32 v4, s45
	s_clause 0x7
	buffer_load_dword v23, v14, s[0:3], 0 offen
	buffer_load_dword v24, v14, s[0:3], 0 offen offset:4
	buffer_load_dword v25, v14, s[0:3], 0 offen offset:8
	buffer_load_dword v26, v14, s[0:3], 0 offen offset:12
	buffer_load_dword v27, v4, s[0:3], 0 offen
	buffer_load_dword v28, v4, s[0:3], 0 offen offset:4
	buffer_load_dword v29, v4, s[0:3], 0 offen offset:8
	buffer_load_dword v30, v4, s[0:3], 0 offen offset:12
	v_mov_b32_e32 v4, s43
	v_mov_b32_e32 v14, s42
	;; [unrolled: 11-line block ×13, first 2 shown]
	s_clause 0x7
	buffer_load_dword v119, v14, s[0:3], 0 offen
	buffer_load_dword v120, v14, s[0:3], 0 offen offset:4
	buffer_load_dword v121, v14, s[0:3], 0 offen offset:8
	;; [unrolled: 1-line block ×3, first 2 shown]
	buffer_load_dword v123, v4, s[0:3], 0 offen
	buffer_load_dword v124, v4, s[0:3], 0 offen offset:4
	buffer_load_dword v125, v4, s[0:3], 0 offen offset:8
	;; [unrolled: 1-line block ×3, first 2 shown]
	v_mov_b32_e32 v4, s5
	s_clause 0x7
	buffer_load_dword v127, v9, s[0:3], 0 offen
	buffer_load_dword v128, v9, s[0:3], 0 offen offset:4
	buffer_load_dword v129, v9, s[0:3], 0 offen offset:8
	;; [unrolled: 1-line block ×3, first 2 shown]
	buffer_load_dword v131, v4, s[0:3], 0 offen
	buffer_load_dword v132, v4, s[0:3], 0 offen offset:4
	buffer_load_dword v133, v4, s[0:3], 0 offen offset:8
	;; [unrolled: 1-line block ×3, first 2 shown]
	v_mov_b32_e32 v14, 30
	s_waitcnt vmcnt(62)
	ds_write2_b64 v11, v[15:16], v[17:18] offset0:62 offset1:63
	ds_write2_b64 v11, v[19:20], v[21:22] offset0:64 offset1:65
	;; [unrolled: 1-line block ×14, first 2 shown]
	s_waitcnt vmcnt(60)
	ds_write2_b64 v11, v[71:72], v[73:74] offset0:90 offset1:91
	s_waitcnt vmcnt(56)
	ds_write2_b64 v11, v[75:76], v[77:78] offset0:92 offset1:93
	;; [unrolled: 2-line block ×16, first 2 shown]
.LBB120_752:
	s_or_b32 exec_lo, exec_lo, s4
	s_mov_b32 s4, exec_lo
	s_waitcnt lgkmcnt(0)
	s_waitcnt_vscnt null, 0x0
	s_barrier
	buffer_gl0_inv
	v_cmpx_lt_i32_e32 30, v14
	s_cbranch_execz .LBB120_755
; %bb.753:
	s_clause 0x3
	buffer_load_dword v15, off, s[0:3], 0 offset:488
	buffer_load_dword v16, off, s[0:3], 0 offset:492
	;; [unrolled: 1-line block ×4, first 2 shown]
	v_add3_u32 v4, v13, 0, 0x1f0
	s_mov_b32 s80, 0
	s_waitcnt vmcnt(2)
	v_mul_f64 v[19:20], v[2:3], v[15:16]
	v_mul_f64 v[15:16], v[0:1], v[15:16]
	s_waitcnt vmcnt(0)
	v_fma_f64 v[0:1], v[0:1], v[17:18], -v[19:20]
	v_fma_f64 v[2:3], v[2:3], v[17:18], v[15:16]
	buffer_store_dword v0, off, s[0:3], 0 offset:480
	buffer_store_dword v1, off, s[0:3], 0 offset:484
	;; [unrolled: 1-line block ×4, first 2 shown]
.LBB120_754:                            ; =>This Inner Loop Header: Depth=1
	v_mov_b32_e32 v9, s80
	v_add_nc_u32_e32 v35, s80, v4
	s_addk_i32 s80, 0x60
	s_clause 0x17
	buffer_load_dword v39, v9, s[0:3], 0 offen offset:496
	buffer_load_dword v40, v9, s[0:3], 0 offen offset:500
	;; [unrolled: 1-line block ×24, first 2 shown]
	ds_read2_b64 v[15:18], v35 offset1:1
	ds_read2_b64 v[19:22], v35 offset0:2 offset1:3
	ds_read2_b64 v[23:26], v35 offset0:4 offset1:5
	;; [unrolled: 1-line block ×5, first 2 shown]
	s_cmpk_lg_i32 s80, 0x1e0
	s_waitcnt lgkmcnt(5)
	v_mul_f64 v[63:64], v[17:18], v[2:3]
	v_mul_f64 v[65:66], v[15:16], v[2:3]
	s_waitcnt lgkmcnt(4)
	v_mul_f64 v[67:68], v[21:22], v[2:3]
	v_mul_f64 v[69:70], v[19:20], v[2:3]
	;; [unrolled: 3-line block ×6, first 2 shown]
	v_fma_f64 v[15:16], v[15:16], v[0:1], -v[63:64]
	v_fma_f64 v[17:18], v[17:18], v[0:1], v[65:66]
	v_fma_f64 v[19:20], v[19:20], v[0:1], -v[67:68]
	v_fma_f64 v[21:22], v[21:22], v[0:1], v[69:70]
	;; [unrolled: 2-line block ×6, first 2 shown]
	s_waitcnt vmcnt(22)
	v_add_f64 v[15:16], v[39:40], -v[15:16]
	s_waitcnt vmcnt(20)
	v_add_f64 v[17:18], v[41:42], -v[17:18]
	;; [unrolled: 2-line block ×12, first 2 shown]
	buffer_store_dword v15, v9, s[0:3], 0 offen offset:496
	buffer_store_dword v16, v9, s[0:3], 0 offen offset:500
	;; [unrolled: 1-line block ×24, first 2 shown]
	s_cbranch_scc1 .LBB120_754
.LBB120_755:
	s_or_b32 exec_lo, exec_lo, s4
	v_mov_b32_e32 v3, s48
	s_waitcnt_vscnt null, 0x0
	s_barrier
	buffer_gl0_inv
	v_lshl_add_u32 v4, v14, 4, v11
	s_clause 0x3
	buffer_load_dword v0, v3, s[0:3], 0 offen
	buffer_load_dword v1, v3, s[0:3], 0 offen offset:4
	buffer_load_dword v2, v3, s[0:3], 0 offen offset:8
	;; [unrolled: 1-line block ×3, first 2 shown]
	v_mov_b32_e32 v9, 31
	s_cmp_lt_i32 s56, 33
	s_waitcnt vmcnt(0)
	ds_write2_b64 v4, v[0:1], v[2:3] offset1:1
	s_waitcnt lgkmcnt(0)
	s_barrier
	buffer_gl0_inv
	ds_read2_b64 v[0:3], v11 offset0:62 offset1:63
	s_cbranch_scc1 .LBB120_758
; %bb.756:
	v_add3_u32 v4, v13, 0, 0x200
	v_mov_b32_e32 v9, 31
	s_mov_b32 s16, 32
	s_inst_prefetch 0x1
	.p2align	6
.LBB120_757:                            ; =>This Inner Loop Header: Depth=1
	s_waitcnt lgkmcnt(0)
	v_cmp_gt_f64_e32 vcc_lo, 0, v[2:3]
	v_cmp_gt_f64_e64 s4, 0, v[0:1]
	ds_read2_b64 v[15:18], v4 offset1:1
	v_xor_b32_e32 v20, 0x80000000, v1
	v_xor_b32_e32 v22, 0x80000000, v3
	v_mov_b32_e32 v19, v0
	v_mov_b32_e32 v21, v2
	v_add_nc_u32_e32 v4, 16, v4
	s_waitcnt lgkmcnt(0)
	v_xor_b32_e32 v24, 0x80000000, v18
	v_cndmask_b32_e64 v20, v1, v20, s4
	v_cndmask_b32_e32 v22, v3, v22, vcc_lo
	v_cmp_gt_f64_e32 vcc_lo, 0, v[17:18]
	v_cmp_gt_f64_e64 s4, 0, v[15:16]
	v_mov_b32_e32 v23, v17
	v_add_f64 v[19:20], v[19:20], v[21:22]
	v_xor_b32_e32 v22, 0x80000000, v16
	v_mov_b32_e32 v21, v15
	v_cndmask_b32_e32 v24, v18, v24, vcc_lo
	v_cndmask_b32_e64 v22, v16, v22, s4
	v_add_f64 v[21:22], v[21:22], v[23:24]
	v_cmp_lt_f64_e32 vcc_lo, v[19:20], v[21:22]
	v_cndmask_b32_e32 v1, v1, v16, vcc_lo
	v_cndmask_b32_e32 v0, v0, v15, vcc_lo
	;; [unrolled: 1-line block ×4, first 2 shown]
	v_cndmask_b32_e64 v9, v9, s16, vcc_lo
	s_add_i32 s16, s16, 1
	s_cmp_lg_u32 s56, s16
	s_cbranch_scc1 .LBB120_757
.LBB120_758:
	s_inst_prefetch 0x2
	s_waitcnt lgkmcnt(0)
	v_cmp_eq_f64_e32 vcc_lo, 0, v[0:1]
	v_cmp_eq_f64_e64 s4, 0, v[2:3]
	s_and_b32 s4, vcc_lo, s4
	s_and_saveexec_b32 s16, s4
	s_xor_b32 s4, exec_lo, s16
; %bb.759:
	v_cmp_ne_u32_e32 vcc_lo, 0, v12
	v_cndmask_b32_e32 v12, 32, v12, vcc_lo
; %bb.760:
	s_andn2_saveexec_b32 s4, s4
	s_cbranch_execz .LBB120_766
; %bb.761:
	v_cmp_ngt_f64_e64 s16, |v[0:1]|, |v[2:3]|
	s_and_saveexec_b32 s17, s16
	s_xor_b32 s16, exec_lo, s17
	s_cbranch_execz .LBB120_763
; %bb.762:
	v_div_scale_f64 v[15:16], null, v[2:3], v[2:3], v[0:1]
	v_div_scale_f64 v[21:22], vcc_lo, v[0:1], v[2:3], v[0:1]
	v_rcp_f64_e32 v[17:18], v[15:16]
	v_fma_f64 v[19:20], -v[15:16], v[17:18], 1.0
	v_fma_f64 v[17:18], v[17:18], v[19:20], v[17:18]
	v_fma_f64 v[19:20], -v[15:16], v[17:18], 1.0
	v_fma_f64 v[17:18], v[17:18], v[19:20], v[17:18]
	v_mul_f64 v[19:20], v[21:22], v[17:18]
	v_fma_f64 v[15:16], -v[15:16], v[19:20], v[21:22]
	v_div_fmas_f64 v[15:16], v[15:16], v[17:18], v[19:20]
	v_div_fixup_f64 v[15:16], v[15:16], v[2:3], v[0:1]
	v_fma_f64 v[0:1], v[0:1], v[15:16], v[2:3]
	v_div_scale_f64 v[2:3], null, v[0:1], v[0:1], 1.0
	v_rcp_f64_e32 v[17:18], v[2:3]
	v_fma_f64 v[19:20], -v[2:3], v[17:18], 1.0
	v_fma_f64 v[17:18], v[17:18], v[19:20], v[17:18]
	v_fma_f64 v[19:20], -v[2:3], v[17:18], 1.0
	v_fma_f64 v[17:18], v[17:18], v[19:20], v[17:18]
	v_div_scale_f64 v[19:20], vcc_lo, 1.0, v[0:1], 1.0
	v_mul_f64 v[21:22], v[19:20], v[17:18]
	v_fma_f64 v[2:3], -v[2:3], v[21:22], v[19:20]
	v_div_fmas_f64 v[2:3], v[2:3], v[17:18], v[21:22]
	v_div_fixup_f64 v[2:3], v[2:3], v[0:1], 1.0
	v_mul_f64 v[0:1], v[15:16], v[2:3]
	v_xor_b32_e32 v3, 0x80000000, v3
.LBB120_763:
	s_andn2_saveexec_b32 s16, s16
	s_cbranch_execz .LBB120_765
; %bb.764:
	v_div_scale_f64 v[15:16], null, v[0:1], v[0:1], v[2:3]
	v_div_scale_f64 v[21:22], vcc_lo, v[2:3], v[0:1], v[2:3]
	v_rcp_f64_e32 v[17:18], v[15:16]
	v_fma_f64 v[19:20], -v[15:16], v[17:18], 1.0
	v_fma_f64 v[17:18], v[17:18], v[19:20], v[17:18]
	v_fma_f64 v[19:20], -v[15:16], v[17:18], 1.0
	v_fma_f64 v[17:18], v[17:18], v[19:20], v[17:18]
	v_mul_f64 v[19:20], v[21:22], v[17:18]
	v_fma_f64 v[15:16], -v[15:16], v[19:20], v[21:22]
	v_div_fmas_f64 v[15:16], v[15:16], v[17:18], v[19:20]
	v_div_fixup_f64 v[15:16], v[15:16], v[0:1], v[2:3]
	v_fma_f64 v[0:1], v[2:3], v[15:16], v[0:1]
	v_div_scale_f64 v[2:3], null, v[0:1], v[0:1], 1.0
	v_rcp_f64_e32 v[17:18], v[2:3]
	v_fma_f64 v[19:20], -v[2:3], v[17:18], 1.0
	v_fma_f64 v[17:18], v[17:18], v[19:20], v[17:18]
	v_fma_f64 v[19:20], -v[2:3], v[17:18], 1.0
	v_fma_f64 v[17:18], v[17:18], v[19:20], v[17:18]
	v_div_scale_f64 v[19:20], vcc_lo, 1.0, v[0:1], 1.0
	v_mul_f64 v[21:22], v[19:20], v[17:18]
	v_fma_f64 v[2:3], -v[2:3], v[21:22], v[19:20]
	v_div_fmas_f64 v[2:3], v[2:3], v[17:18], v[21:22]
	v_div_fixup_f64 v[0:1], v[2:3], v[0:1], 1.0
	v_mul_f64 v[2:3], v[15:16], -v[0:1]
.LBB120_765:
	s_or_b32 exec_lo, exec_lo, s16
.LBB120_766:
	s_or_b32 exec_lo, exec_lo, s4
	s_mov_b32 s4, exec_lo
	v_cmpx_ne_u32_e64 v14, v9
	s_xor_b32 s4, exec_lo, s4
	s_cbranch_execz .LBB120_772
; %bb.767:
	s_mov_b32 s16, exec_lo
	v_cmpx_eq_u32_e32 31, v14
	s_cbranch_execz .LBB120_771
; %bb.768:
	v_cmp_ne_u32_e32 vcc_lo, 31, v9
	s_xor_b32 s17, s20, -1
	s_and_b32 s57, s17, vcc_lo
	s_and_saveexec_b32 s17, s57
	s_cbranch_execz .LBB120_770
; %bb.769:
	v_ashrrev_i32_e32 v10, 31, v9
	v_lshlrev_b64 v[14:15], 2, v[9:10]
	v_add_co_u32 v14, vcc_lo, v7, v14
	v_add_co_ci_u32_e64 v15, null, v8, v15, vcc_lo
	s_clause 0x1
	global_load_dword v4, v[14:15], off
	global_load_dword v10, v[7:8], off offset:124
	s_waitcnt vmcnt(1)
	global_store_dword v[7:8], v4, off offset:124
	s_waitcnt vmcnt(0)
	global_store_dword v[14:15], v10, off
.LBB120_770:
	s_or_b32 exec_lo, exec_lo, s17
	v_mov_b32_e32 v14, v9
	v_mov_b32_e32 v10, v9
.LBB120_771:
	s_or_b32 exec_lo, exec_lo, s16
.LBB120_772:
	s_andn2_saveexec_b32 s4, s4
	s_cbranch_execz .LBB120_774
; %bb.773:
	v_mov_b32_e32 v4, s47
	v_mov_b32_e32 v14, s45
	;; [unrolled: 1-line block ×3, first 2 shown]
	s_clause 0x7
	buffer_load_dword v15, v4, s[0:3], 0 offen
	buffer_load_dword v16, v4, s[0:3], 0 offen offset:4
	buffer_load_dword v17, v4, s[0:3], 0 offen offset:8
	buffer_load_dword v18, v4, s[0:3], 0 offen offset:12
	buffer_load_dword v19, v9, s[0:3], 0 offen
	buffer_load_dword v20, v9, s[0:3], 0 offen offset:4
	buffer_load_dword v21, v9, s[0:3], 0 offen offset:8
	buffer_load_dword v22, v9, s[0:3], 0 offen offset:12
	v_mov_b32_e32 v4, s44
	v_mov_b32_e32 v9, s43
	s_clause 0x7
	buffer_load_dword v23, v14, s[0:3], 0 offen
	buffer_load_dword v24, v14, s[0:3], 0 offen offset:4
	buffer_load_dword v25, v14, s[0:3], 0 offen offset:8
	buffer_load_dword v26, v14, s[0:3], 0 offen offset:12
	buffer_load_dword v27, v4, s[0:3], 0 offen
	buffer_load_dword v28, v4, s[0:3], 0 offen offset:4
	buffer_load_dword v29, v4, s[0:3], 0 offen offset:8
	buffer_load_dword v30, v4, s[0:3], 0 offen offset:12
	v_mov_b32_e32 v14, s41
	v_mov_b32_e32 v4, s42
	s_clause 0x7
	buffer_load_dword v31, v9, s[0:3], 0 offen
	buffer_load_dword v32, v9, s[0:3], 0 offen offset:4
	buffer_load_dword v33, v9, s[0:3], 0 offen offset:8
	buffer_load_dword v34, v9, s[0:3], 0 offen offset:12
	buffer_load_dword v35, v4, s[0:3], 0 offen
	buffer_load_dword v36, v4, s[0:3], 0 offen offset:4
	buffer_load_dword v37, v4, s[0:3], 0 offen offset:8
	buffer_load_dword v38, v4, s[0:3], 0 offen offset:12
	v_mov_b32_e32 v4, s40
	v_mov_b32_e32 v9, s39
	s_clause 0x7
	buffer_load_dword v39, v14, s[0:3], 0 offen
	buffer_load_dword v40, v14, s[0:3], 0 offen offset:4
	buffer_load_dword v41, v14, s[0:3], 0 offen offset:8
	buffer_load_dword v42, v14, s[0:3], 0 offen offset:12
	buffer_load_dword v43, v4, s[0:3], 0 offen
	buffer_load_dword v44, v4, s[0:3], 0 offen offset:4
	buffer_load_dword v45, v4, s[0:3], 0 offen offset:8
	buffer_load_dword v46, v4, s[0:3], 0 offen offset:12
	v_mov_b32_e32 v14, s37
	v_mov_b32_e32 v4, s38
	s_clause 0x7
	buffer_load_dword v47, v9, s[0:3], 0 offen
	buffer_load_dword v48, v9, s[0:3], 0 offen offset:4
	buffer_load_dword v49, v9, s[0:3], 0 offen offset:8
	buffer_load_dword v50, v9, s[0:3], 0 offen offset:12
	buffer_load_dword v51, v4, s[0:3], 0 offen
	buffer_load_dword v52, v4, s[0:3], 0 offen offset:4
	buffer_load_dword v53, v4, s[0:3], 0 offen offset:8
	buffer_load_dword v54, v4, s[0:3], 0 offen offset:12
	v_mov_b32_e32 v4, s36
	v_mov_b32_e32 v9, s35
	s_clause 0x7
	buffer_load_dword v55, v14, s[0:3], 0 offen
	buffer_load_dword v56, v14, s[0:3], 0 offen offset:4
	buffer_load_dword v57, v14, s[0:3], 0 offen offset:8
	buffer_load_dword v58, v14, s[0:3], 0 offen offset:12
	buffer_load_dword v59, v4, s[0:3], 0 offen
	buffer_load_dword v60, v4, s[0:3], 0 offen offset:4
	buffer_load_dword v61, v4, s[0:3], 0 offen offset:8
	buffer_load_dword v62, v4, s[0:3], 0 offen offset:12
	v_mov_b32_e32 v14, s33
	v_mov_b32_e32 v4, s34
	s_clause 0x7
	buffer_load_dword v63, v9, s[0:3], 0 offen
	buffer_load_dword v64, v9, s[0:3], 0 offen offset:4
	buffer_load_dword v65, v9, s[0:3], 0 offen offset:8
	buffer_load_dword v66, v9, s[0:3], 0 offen offset:12
	buffer_load_dword v67, v4, s[0:3], 0 offen
	buffer_load_dword v68, v4, s[0:3], 0 offen offset:4
	buffer_load_dword v69, v4, s[0:3], 0 offen offset:8
	buffer_load_dword v70, v4, s[0:3], 0 offen offset:12
	v_mov_b32_e32 v4, s31
	v_mov_b32_e32 v9, s30
	s_clause 0x7
	buffer_load_dword v71, v14, s[0:3], 0 offen
	buffer_load_dword v72, v14, s[0:3], 0 offen offset:4
	buffer_load_dword v73, v14, s[0:3], 0 offen offset:8
	buffer_load_dword v74, v14, s[0:3], 0 offen offset:12
	buffer_load_dword v75, v4, s[0:3], 0 offen
	buffer_load_dword v76, v4, s[0:3], 0 offen offset:4
	buffer_load_dword v77, v4, s[0:3], 0 offen offset:8
	buffer_load_dword v78, v4, s[0:3], 0 offen offset:12
	v_mov_b32_e32 v14, s28
	v_mov_b32_e32 v4, s29
	s_clause 0x7
	buffer_load_dword v79, v9, s[0:3], 0 offen
	buffer_load_dword v80, v9, s[0:3], 0 offen offset:4
	buffer_load_dword v81, v9, s[0:3], 0 offen offset:8
	buffer_load_dword v82, v9, s[0:3], 0 offen offset:12
	buffer_load_dword v83, v4, s[0:3], 0 offen
	buffer_load_dword v84, v4, s[0:3], 0 offen offset:4
	buffer_load_dword v85, v4, s[0:3], 0 offen offset:8
	buffer_load_dword v86, v4, s[0:3], 0 offen offset:12
	v_mov_b32_e32 v4, s27
	v_mov_b32_e32 v9, s26
	s_clause 0x7
	buffer_load_dword v87, v14, s[0:3], 0 offen
	buffer_load_dword v88, v14, s[0:3], 0 offen offset:4
	buffer_load_dword v89, v14, s[0:3], 0 offen offset:8
	buffer_load_dword v90, v14, s[0:3], 0 offen offset:12
	buffer_load_dword v91, v4, s[0:3], 0 offen
	buffer_load_dword v92, v4, s[0:3], 0 offen offset:4
	buffer_load_dword v93, v4, s[0:3], 0 offen offset:8
	buffer_load_dword v94, v4, s[0:3], 0 offen offset:12
	v_mov_b32_e32 v14, s24
	v_mov_b32_e32 v4, s25
	s_clause 0x7
	buffer_load_dword v95, v9, s[0:3], 0 offen
	buffer_load_dword v96, v9, s[0:3], 0 offen offset:4
	buffer_load_dword v97, v9, s[0:3], 0 offen offset:8
	buffer_load_dword v98, v9, s[0:3], 0 offen offset:12
	buffer_load_dword v99, v4, s[0:3], 0 offen
	buffer_load_dword v100, v4, s[0:3], 0 offen offset:4
	buffer_load_dword v101, v4, s[0:3], 0 offen offset:8
	buffer_load_dword v102, v4, s[0:3], 0 offen offset:12
	v_mov_b32_e32 v4, s23
	v_mov_b32_e32 v9, s22
	s_clause 0x7
	buffer_load_dword v103, v14, s[0:3], 0 offen
	buffer_load_dword v104, v14, s[0:3], 0 offen offset:4
	buffer_load_dword v105, v14, s[0:3], 0 offen offset:8
	buffer_load_dword v106, v14, s[0:3], 0 offen offset:12
	buffer_load_dword v107, v4, s[0:3], 0 offen
	buffer_load_dword v108, v4, s[0:3], 0 offen offset:4
	buffer_load_dword v109, v4, s[0:3], 0 offen offset:8
	buffer_load_dword v110, v4, s[0:3], 0 offen offset:12
	v_mov_b32_e32 v14, s18
	v_mov_b32_e32 v4, s19
	s_clause 0x7
	buffer_load_dword v111, v9, s[0:3], 0 offen
	buffer_load_dword v112, v9, s[0:3], 0 offen offset:4
	buffer_load_dword v113, v9, s[0:3], 0 offen offset:8
	buffer_load_dword v114, v9, s[0:3], 0 offen offset:12
	buffer_load_dword v115, v4, s[0:3], 0 offen
	buffer_load_dword v116, v4, s[0:3], 0 offen offset:4
	buffer_load_dword v117, v4, s[0:3], 0 offen offset:8
	buffer_load_dword v118, v4, s[0:3], 0 offen offset:12
	v_mov_b32_e32 v4, s7
	v_mov_b32_e32 v9, s5
	s_clause 0xb
	buffer_load_dword v119, v14, s[0:3], 0 offen
	buffer_load_dword v120, v14, s[0:3], 0 offen offset:4
	buffer_load_dword v121, v14, s[0:3], 0 offen offset:8
	buffer_load_dword v122, v14, s[0:3], 0 offen offset:12
	buffer_load_dword v123, v4, s[0:3], 0 offen
	buffer_load_dword v124, v4, s[0:3], 0 offen offset:4
	buffer_load_dword v125, v4, s[0:3], 0 offen offset:8
	buffer_load_dword v126, v4, s[0:3], 0 offen offset:12
	buffer_load_dword v127, v9, s[0:3], 0 offen
	buffer_load_dword v128, v9, s[0:3], 0 offen offset:4
	buffer_load_dword v129, v9, s[0:3], 0 offen offset:8
	buffer_load_dword v130, v9, s[0:3], 0 offen offset:12
	v_mov_b32_e32 v14, 31
	s_waitcnt vmcnt(62)
	ds_write2_b64 v11, v[15:16], v[17:18] offset0:64 offset1:65
	ds_write2_b64 v11, v[19:20], v[21:22] offset0:66 offset1:67
	;; [unrolled: 1-line block ×13, first 2 shown]
	s_waitcnt vmcnt(60)
	ds_write2_b64 v11, v[67:68], v[69:70] offset0:90 offset1:91
	s_waitcnt vmcnt(56)
	ds_write2_b64 v11, v[71:72], v[73:74] offset0:92 offset1:93
	s_waitcnt vmcnt(52)
	ds_write2_b64 v11, v[75:76], v[77:78] offset0:94 offset1:95
	s_waitcnt vmcnt(48)
	ds_write2_b64 v11, v[79:80], v[81:82] offset0:96 offset1:97
	s_waitcnt vmcnt(44)
	ds_write2_b64 v11, v[83:84], v[85:86] offset0:98 offset1:99
	s_waitcnt vmcnt(40)
	ds_write2_b64 v11, v[87:88], v[89:90] offset0:100 offset1:101
	s_waitcnt vmcnt(36)
	ds_write2_b64 v11, v[91:92], v[93:94] offset0:102 offset1:103
	s_waitcnt vmcnt(32)
	ds_write2_b64 v11, v[95:96], v[97:98] offset0:104 offset1:105
	s_waitcnt vmcnt(28)
	ds_write2_b64 v11, v[99:100], v[101:102] offset0:106 offset1:107
	s_waitcnt vmcnt(24)
	ds_write2_b64 v11, v[103:104], v[105:106] offset0:108 offset1:109
	s_waitcnt vmcnt(20)
	ds_write2_b64 v11, v[107:108], v[109:110] offset0:110 offset1:111
	s_waitcnt vmcnt(16)
	ds_write2_b64 v11, v[111:112], v[113:114] offset0:112 offset1:113
	s_waitcnt vmcnt(12)
	ds_write2_b64 v11, v[115:116], v[117:118] offset0:114 offset1:115
	s_waitcnt vmcnt(8)
	ds_write2_b64 v11, v[119:120], v[121:122] offset0:116 offset1:117
	s_waitcnt vmcnt(4)
	ds_write2_b64 v11, v[123:124], v[125:126] offset0:118 offset1:119
	s_waitcnt vmcnt(0)
	ds_write2_b64 v11, v[127:128], v[129:130] offset0:120 offset1:121
.LBB120_774:
	s_or_b32 exec_lo, exec_lo, s4
	s_mov_b32 s4, exec_lo
	s_waitcnt lgkmcnt(0)
	s_waitcnt_vscnt null, 0x0
	s_barrier
	buffer_gl0_inv
	v_cmpx_lt_i32_e32 31, v14
	s_cbranch_execz .LBB120_779
; %bb.775:
	s_clause 0x3
	buffer_load_dword v15, off, s[0:3], 0 offset:504
	buffer_load_dword v16, off, s[0:3], 0 offset:508
	;; [unrolled: 1-line block ×4, first 2 shown]
	v_add3_u32 v4, v13, 0, 0x200
	s_mov_b32 s16, 0
	s_waitcnt vmcnt(2)
	v_mul_f64 v[19:20], v[2:3], v[15:16]
	v_mul_f64 v[15:16], v[0:1], v[15:16]
	s_waitcnt vmcnt(0)
	v_fma_f64 v[0:1], v[0:1], v[17:18], -v[19:20]
	v_fma_f64 v[2:3], v[2:3], v[17:18], v[15:16]
	buffer_store_dword v0, off, s[0:3], 0 offset:496
	buffer_store_dword v1, off, s[0:3], 0 offset:500
	;; [unrolled: 1-line block ×4, first 2 shown]
	s_branch .LBB120_777
.LBB120_776:                            ;   in Loop: Header=BB120_777 Depth=1
	s_andn2_b32 vcc_lo, exec_lo, s57
	s_cbranch_vccz .LBB120_779
.LBB120_777:                            ; =>This Inner Loop Header: Depth=1
	v_mov_b32_e32 v27, s16
	v_add_nc_u32_e32 v9, s16, v4
	s_mov_b32 s17, s16
	s_mov_b32 s57, -1
	s_cmpk_eq_i32 s16, 0x1c0
	s_clause 0x3
	buffer_load_dword v19, v27, s[0:3], 0 offen offset:512
	buffer_load_dword v20, v27, s[0:3], 0 offen offset:516
	buffer_load_dword v21, v27, s[0:3], 0 offen offset:520
	buffer_load_dword v22, v27, s[0:3], 0 offen offset:524
	ds_read2_b64 v[15:18], v9 offset1:1
	s_waitcnt lgkmcnt(0)
	v_mul_f64 v[23:24], v[17:18], v[2:3]
	v_mul_f64 v[25:26], v[15:16], v[2:3]
	v_fma_f64 v[15:16], v[15:16], v[0:1], -v[23:24]
	v_fma_f64 v[17:18], v[17:18], v[0:1], v[25:26]
	s_waitcnt vmcnt(2)
	v_add_f64 v[15:16], v[19:20], -v[15:16]
	s_waitcnt vmcnt(0)
	v_add_f64 v[17:18], v[21:22], -v[17:18]
	buffer_store_dword v15, v27, s[0:3], 0 offen offset:512
	buffer_store_dword v16, v27, s[0:3], 0 offen offset:516
	;; [unrolled: 1-line block ×4, first 2 shown]
	s_cbranch_scc1 .LBB120_776
; %bb.778:                              ;   in Loop: Header=BB120_777 Depth=1
	v_mov_b32_e32 v51, s17
	s_add_i32 s16, s16, 64
	s_mov_b32 s57, 0
	s_clause 0xb
	buffer_load_dword v27, v51, s[0:3], 0 offen offset:528
	buffer_load_dword v28, v51, s[0:3], 0 offen offset:532
	;; [unrolled: 1-line block ×12, first 2 shown]
	ds_read2_b64 v[15:18], v9 offset0:2 offset1:3
	ds_read2_b64 v[19:22], v9 offset0:4 offset1:5
	;; [unrolled: 1-line block ×3, first 2 shown]
	s_waitcnt lgkmcnt(2)
	v_mul_f64 v[39:40], v[17:18], v[2:3]
	v_mul_f64 v[41:42], v[15:16], v[2:3]
	s_waitcnt lgkmcnt(1)
	v_mul_f64 v[43:44], v[21:22], v[2:3]
	v_mul_f64 v[45:46], v[19:20], v[2:3]
	;; [unrolled: 3-line block ×3, first 2 shown]
	v_fma_f64 v[15:16], v[15:16], v[0:1], -v[39:40]
	v_fma_f64 v[17:18], v[17:18], v[0:1], v[41:42]
	v_fma_f64 v[19:20], v[19:20], v[0:1], -v[43:44]
	v_fma_f64 v[21:22], v[21:22], v[0:1], v[45:46]
	;; [unrolled: 2-line block ×3, first 2 shown]
	s_waitcnt vmcnt(10)
	v_add_f64 v[15:16], v[27:28], -v[15:16]
	s_waitcnt vmcnt(8)
	v_add_f64 v[17:18], v[29:30], -v[17:18]
	;; [unrolled: 2-line block ×6, first 2 shown]
	buffer_store_dword v15, v51, s[0:3], 0 offen offset:528
	buffer_store_dword v16, v51, s[0:3], 0 offen offset:532
	;; [unrolled: 1-line block ×12, first 2 shown]
	s_branch .LBB120_776
.LBB120_779:
	s_or_b32 exec_lo, exec_lo, s4
	v_mov_b32_e32 v3, s47
	s_waitcnt_vscnt null, 0x0
	s_barrier
	buffer_gl0_inv
	v_lshl_add_u32 v4, v14, 4, v11
	s_clause 0x3
	buffer_load_dword v0, v3, s[0:3], 0 offen
	buffer_load_dword v1, v3, s[0:3], 0 offen offset:4
	buffer_load_dword v2, v3, s[0:3], 0 offen offset:8
	;; [unrolled: 1-line block ×3, first 2 shown]
	v_mov_b32_e32 v9, 32
	s_cmp_lt_i32 s56, 34
	s_waitcnt vmcnt(0)
	ds_write2_b64 v4, v[0:1], v[2:3] offset1:1
	s_waitcnt lgkmcnt(0)
	s_barrier
	buffer_gl0_inv
	ds_read2_b64 v[0:3], v11 offset0:64 offset1:65
	s_cbranch_scc1 .LBB120_782
; %bb.780:
	v_add3_u32 v4, v13, 0, 0x210
	v_mov_b32_e32 v9, 32
	s_mov_b32 s16, 33
	s_inst_prefetch 0x1
	.p2align	6
.LBB120_781:                            ; =>This Inner Loop Header: Depth=1
	s_waitcnt lgkmcnt(0)
	v_cmp_gt_f64_e32 vcc_lo, 0, v[2:3]
	v_cmp_gt_f64_e64 s4, 0, v[0:1]
	ds_read2_b64 v[15:18], v4 offset1:1
	v_xor_b32_e32 v20, 0x80000000, v1
	v_xor_b32_e32 v22, 0x80000000, v3
	v_mov_b32_e32 v19, v0
	v_mov_b32_e32 v21, v2
	v_add_nc_u32_e32 v4, 16, v4
	s_waitcnt lgkmcnt(0)
	v_xor_b32_e32 v24, 0x80000000, v18
	v_cndmask_b32_e64 v20, v1, v20, s4
	v_cndmask_b32_e32 v22, v3, v22, vcc_lo
	v_cmp_gt_f64_e32 vcc_lo, 0, v[17:18]
	v_cmp_gt_f64_e64 s4, 0, v[15:16]
	v_mov_b32_e32 v23, v17
	v_add_f64 v[19:20], v[19:20], v[21:22]
	v_xor_b32_e32 v22, 0x80000000, v16
	v_mov_b32_e32 v21, v15
	v_cndmask_b32_e32 v24, v18, v24, vcc_lo
	v_cndmask_b32_e64 v22, v16, v22, s4
	v_add_f64 v[21:22], v[21:22], v[23:24]
	v_cmp_lt_f64_e32 vcc_lo, v[19:20], v[21:22]
	v_cndmask_b32_e32 v1, v1, v16, vcc_lo
	v_cndmask_b32_e32 v0, v0, v15, vcc_lo
	;; [unrolled: 1-line block ×4, first 2 shown]
	v_cndmask_b32_e64 v9, v9, s16, vcc_lo
	s_add_i32 s16, s16, 1
	s_cmp_lg_u32 s56, s16
	s_cbranch_scc1 .LBB120_781
.LBB120_782:
	s_inst_prefetch 0x2
	s_waitcnt lgkmcnt(0)
	v_cmp_eq_f64_e32 vcc_lo, 0, v[0:1]
	v_cmp_eq_f64_e64 s4, 0, v[2:3]
	s_and_b32 s4, vcc_lo, s4
	s_and_saveexec_b32 s16, s4
	s_xor_b32 s4, exec_lo, s16
; %bb.783:
	v_cmp_ne_u32_e32 vcc_lo, 0, v12
	v_cndmask_b32_e32 v12, 33, v12, vcc_lo
; %bb.784:
	s_andn2_saveexec_b32 s4, s4
	s_cbranch_execz .LBB120_790
; %bb.785:
	v_cmp_ngt_f64_e64 s16, |v[0:1]|, |v[2:3]|
	s_and_saveexec_b32 s17, s16
	s_xor_b32 s16, exec_lo, s17
	s_cbranch_execz .LBB120_787
; %bb.786:
	v_div_scale_f64 v[15:16], null, v[2:3], v[2:3], v[0:1]
	v_div_scale_f64 v[21:22], vcc_lo, v[0:1], v[2:3], v[0:1]
	v_rcp_f64_e32 v[17:18], v[15:16]
	v_fma_f64 v[19:20], -v[15:16], v[17:18], 1.0
	v_fma_f64 v[17:18], v[17:18], v[19:20], v[17:18]
	v_fma_f64 v[19:20], -v[15:16], v[17:18], 1.0
	v_fma_f64 v[17:18], v[17:18], v[19:20], v[17:18]
	v_mul_f64 v[19:20], v[21:22], v[17:18]
	v_fma_f64 v[15:16], -v[15:16], v[19:20], v[21:22]
	v_div_fmas_f64 v[15:16], v[15:16], v[17:18], v[19:20]
	v_div_fixup_f64 v[15:16], v[15:16], v[2:3], v[0:1]
	v_fma_f64 v[0:1], v[0:1], v[15:16], v[2:3]
	v_div_scale_f64 v[2:3], null, v[0:1], v[0:1], 1.0
	v_rcp_f64_e32 v[17:18], v[2:3]
	v_fma_f64 v[19:20], -v[2:3], v[17:18], 1.0
	v_fma_f64 v[17:18], v[17:18], v[19:20], v[17:18]
	v_fma_f64 v[19:20], -v[2:3], v[17:18], 1.0
	v_fma_f64 v[17:18], v[17:18], v[19:20], v[17:18]
	v_div_scale_f64 v[19:20], vcc_lo, 1.0, v[0:1], 1.0
	v_mul_f64 v[21:22], v[19:20], v[17:18]
	v_fma_f64 v[2:3], -v[2:3], v[21:22], v[19:20]
	v_div_fmas_f64 v[2:3], v[2:3], v[17:18], v[21:22]
	v_div_fixup_f64 v[2:3], v[2:3], v[0:1], 1.0
	v_mul_f64 v[0:1], v[15:16], v[2:3]
	v_xor_b32_e32 v3, 0x80000000, v3
.LBB120_787:
	s_andn2_saveexec_b32 s16, s16
	s_cbranch_execz .LBB120_789
; %bb.788:
	v_div_scale_f64 v[15:16], null, v[0:1], v[0:1], v[2:3]
	v_div_scale_f64 v[21:22], vcc_lo, v[2:3], v[0:1], v[2:3]
	v_rcp_f64_e32 v[17:18], v[15:16]
	v_fma_f64 v[19:20], -v[15:16], v[17:18], 1.0
	v_fma_f64 v[17:18], v[17:18], v[19:20], v[17:18]
	v_fma_f64 v[19:20], -v[15:16], v[17:18], 1.0
	v_fma_f64 v[17:18], v[17:18], v[19:20], v[17:18]
	v_mul_f64 v[19:20], v[21:22], v[17:18]
	v_fma_f64 v[15:16], -v[15:16], v[19:20], v[21:22]
	v_div_fmas_f64 v[15:16], v[15:16], v[17:18], v[19:20]
	v_div_fixup_f64 v[15:16], v[15:16], v[0:1], v[2:3]
	v_fma_f64 v[0:1], v[2:3], v[15:16], v[0:1]
	v_div_scale_f64 v[2:3], null, v[0:1], v[0:1], 1.0
	v_rcp_f64_e32 v[17:18], v[2:3]
	v_fma_f64 v[19:20], -v[2:3], v[17:18], 1.0
	v_fma_f64 v[17:18], v[17:18], v[19:20], v[17:18]
	v_fma_f64 v[19:20], -v[2:3], v[17:18], 1.0
	v_fma_f64 v[17:18], v[17:18], v[19:20], v[17:18]
	v_div_scale_f64 v[19:20], vcc_lo, 1.0, v[0:1], 1.0
	v_mul_f64 v[21:22], v[19:20], v[17:18]
	v_fma_f64 v[2:3], -v[2:3], v[21:22], v[19:20]
	v_div_fmas_f64 v[2:3], v[2:3], v[17:18], v[21:22]
	v_div_fixup_f64 v[0:1], v[2:3], v[0:1], 1.0
	v_mul_f64 v[2:3], v[15:16], -v[0:1]
.LBB120_789:
	s_or_b32 exec_lo, exec_lo, s16
.LBB120_790:
	s_or_b32 exec_lo, exec_lo, s4
	s_mov_b32 s4, exec_lo
	v_cmpx_ne_u32_e64 v14, v9
	s_xor_b32 s4, exec_lo, s4
	s_cbranch_execz .LBB120_796
; %bb.791:
	s_mov_b32 s16, exec_lo
	v_cmpx_eq_u32_e32 32, v14
	s_cbranch_execz .LBB120_795
; %bb.792:
	v_cmp_ne_u32_e32 vcc_lo, 32, v9
	s_xor_b32 s17, s20, -1
	s_and_b32 s57, s17, vcc_lo
	s_and_saveexec_b32 s17, s57
	s_cbranch_execz .LBB120_794
; %bb.793:
	v_ashrrev_i32_e32 v10, 31, v9
	v_lshlrev_b64 v[14:15], 2, v[9:10]
	v_add_co_u32 v14, vcc_lo, v7, v14
	v_add_co_ci_u32_e64 v15, null, v8, v15, vcc_lo
	s_clause 0x1
	global_load_dword v4, v[14:15], off
	global_load_dword v10, v[7:8], off offset:128
	s_waitcnt vmcnt(1)
	global_store_dword v[7:8], v4, off offset:128
	s_waitcnt vmcnt(0)
	global_store_dword v[14:15], v10, off
.LBB120_794:
	s_or_b32 exec_lo, exec_lo, s17
	v_mov_b32_e32 v14, v9
	v_mov_b32_e32 v10, v9
.LBB120_795:
	s_or_b32 exec_lo, exec_lo, s16
.LBB120_796:
	s_andn2_saveexec_b32 s4, s4
	s_cbranch_execz .LBB120_798
; %bb.797:
	v_mov_b32_e32 v4, s46
	v_mov_b32_e32 v14, s44
	;; [unrolled: 1-line block ×3, first 2 shown]
	s_clause 0x7
	buffer_load_dword v15, v4, s[0:3], 0 offen
	buffer_load_dword v16, v4, s[0:3], 0 offen offset:4
	buffer_load_dword v17, v4, s[0:3], 0 offen offset:8
	buffer_load_dword v18, v4, s[0:3], 0 offen offset:12
	buffer_load_dword v19, v9, s[0:3], 0 offen
	buffer_load_dword v20, v9, s[0:3], 0 offen offset:4
	buffer_load_dword v21, v9, s[0:3], 0 offen offset:8
	buffer_load_dword v22, v9, s[0:3], 0 offen offset:12
	v_mov_b32_e32 v4, s43
	v_mov_b32_e32 v9, s42
	s_clause 0x7
	buffer_load_dword v23, v14, s[0:3], 0 offen
	buffer_load_dword v24, v14, s[0:3], 0 offen offset:4
	buffer_load_dword v25, v14, s[0:3], 0 offen offset:8
	buffer_load_dword v26, v14, s[0:3], 0 offen offset:12
	buffer_load_dword v27, v4, s[0:3], 0 offen
	buffer_load_dword v28, v4, s[0:3], 0 offen offset:4
	buffer_load_dword v29, v4, s[0:3], 0 offen offset:8
	buffer_load_dword v30, v4, s[0:3], 0 offen offset:12
	v_mov_b32_e32 v14, s40
	v_mov_b32_e32 v4, s41
	;; [unrolled: 11-line block ×12, first 2 shown]
	s_clause 0x7
	buffer_load_dword v111, v9, s[0:3], 0 offen
	buffer_load_dword v112, v9, s[0:3], 0 offen offset:4
	buffer_load_dword v113, v9, s[0:3], 0 offen offset:8
	;; [unrolled: 1-line block ×3, first 2 shown]
	buffer_load_dword v115, v4, s[0:3], 0 offen
	buffer_load_dword v116, v4, s[0:3], 0 offen offset:4
	buffer_load_dword v117, v4, s[0:3], 0 offen offset:8
	;; [unrolled: 1-line block ×3, first 2 shown]
	v_mov_b32_e32 v4, s5
	s_clause 0x7
	buffer_load_dword v119, v14, s[0:3], 0 offen
	buffer_load_dword v120, v14, s[0:3], 0 offen offset:4
	buffer_load_dword v121, v14, s[0:3], 0 offen offset:8
	;; [unrolled: 1-line block ×3, first 2 shown]
	buffer_load_dword v123, v4, s[0:3], 0 offen
	buffer_load_dword v124, v4, s[0:3], 0 offen offset:4
	buffer_load_dword v125, v4, s[0:3], 0 offen offset:8
	;; [unrolled: 1-line block ×3, first 2 shown]
	v_mov_b32_e32 v14, 32
	s_waitcnt vmcnt(62)
	ds_write2_b64 v11, v[15:16], v[17:18] offset0:66 offset1:67
	ds_write2_b64 v11, v[19:20], v[21:22] offset0:68 offset1:69
	;; [unrolled: 1-line block ×12, first 2 shown]
	s_waitcnt vmcnt(60)
	ds_write2_b64 v11, v[63:64], v[65:66] offset0:90 offset1:91
	s_waitcnt vmcnt(56)
	ds_write2_b64 v11, v[67:68], v[69:70] offset0:92 offset1:93
	;; [unrolled: 2-line block ×16, first 2 shown]
.LBB120_798:
	s_or_b32 exec_lo, exec_lo, s4
	s_mov_b32 s4, exec_lo
	s_waitcnt lgkmcnt(0)
	s_waitcnt_vscnt null, 0x0
	s_barrier
	buffer_gl0_inv
	v_cmpx_lt_i32_e32 32, v14
	s_cbranch_execz .LBB120_801
; %bb.799:
	s_clause 0x3
	buffer_load_dword v15, off, s[0:3], 0 offset:520
	buffer_load_dword v16, off, s[0:3], 0 offset:524
	;; [unrolled: 1-line block ×4, first 2 shown]
	v_add3_u32 v4, v13, 0, 0x210
	s_mov_b32 s80, 0
	s_waitcnt vmcnt(2)
	v_mul_f64 v[19:20], v[2:3], v[15:16]
	v_mul_f64 v[15:16], v[0:1], v[15:16]
	s_waitcnt vmcnt(0)
	v_fma_f64 v[0:1], v[0:1], v[17:18], -v[19:20]
	v_fma_f64 v[2:3], v[2:3], v[17:18], v[15:16]
	buffer_store_dword v0, off, s[0:3], 0 offset:512
	buffer_store_dword v1, off, s[0:3], 0 offset:516
	;; [unrolled: 1-line block ×4, first 2 shown]
.LBB120_800:                            ; =>This Inner Loop Header: Depth=1
	v_add_nc_u32_e32 v9, s80, v4
	v_mov_b32_e32 v75, s80
	s_addk_i32 s80, 0x70
	ds_read2_b64 v[15:18], v9 offset1:1
	ds_read2_b64 v[19:22], v9 offset0:2 offset1:3
	ds_read2_b64 v[23:26], v9 offset0:4 offset1:5
	;; [unrolled: 1-line block ×5, first 2 shown]
	s_cmpk_lg_i32 s80, 0x1c0
	s_waitcnt lgkmcnt(5)
	v_mul_f64 v[39:40], v[17:18], v[2:3]
	v_mul_f64 v[41:42], v[15:16], v[2:3]
	s_waitcnt lgkmcnt(4)
	v_mul_f64 v[43:44], v[21:22], v[2:3]
	v_mul_f64 v[45:46], v[19:20], v[2:3]
	;; [unrolled: 3-line block ×6, first 2 shown]
	s_clause 0x5
	buffer_load_dword v63, v75, s[0:3], 0 offen offset:528
	buffer_load_dword v64, v75, s[0:3], 0 offen offset:532
	;; [unrolled: 1-line block ×4, first 2 shown]
	buffer_load_dword v2, off, s[0:3], 0 offset:520
	buffer_load_dword v3, off, s[0:3], 0 offset:524
	v_fma_f64 v[39:40], v[15:16], v[0:1], -v[39:40]
	v_fma_f64 v[41:42], v[17:18], v[0:1], v[41:42]
	v_fma_f64 v[19:20], v[19:20], v[0:1], -v[43:44]
	v_fma_f64 v[21:22], v[21:22], v[0:1], v[45:46]
	;; [unrolled: 2-line block ×6, first 2 shown]
	s_clause 0x19
	buffer_load_dword v0, off, s[0:3], 0 offset:512
	buffer_load_dword v1, off, s[0:3], 0 offset:516
	buffer_load_dword v43, v75, s[0:3], 0 offen offset:544
	buffer_load_dword v44, v75, s[0:3], 0 offen offset:548
	;; [unrolled: 1-line block ×24, first 2 shown]
	ds_read2_b64 v[15:18], v9 offset0:12 offset1:13
	s_waitcnt vmcnt(30)
	v_add_f64 v[39:40], v[63:64], -v[39:40]
	s_waitcnt vmcnt(28)
	v_add_f64 v[41:42], v[65:66], -v[41:42]
	s_waitcnt vmcnt(26) lgkmcnt(0)
	v_mul_f64 v[71:72], v[17:18], v[2:3]
	v_mul_f64 v[73:74], v[15:16], v[2:3]
	s_waitcnt vmcnt(20)
	v_add_f64 v[21:22], v[45:46], -v[21:22]
	v_add_f64 v[19:20], v[43:44], -v[19:20]
	s_waitcnt vmcnt(18)
	v_add_f64 v[23:24], v[47:48], -v[23:24]
	buffer_store_dword v39, v75, s[0:3], 0 offen offset:528
	buffer_store_dword v40, v75, s[0:3], 0 offen offset:532
	;; [unrolled: 1-line block ×6, first 2 shown]
	v_fma_f64 v[15:16], v[15:16], v[0:1], -v[71:72]
	v_fma_f64 v[17:18], v[17:18], v[0:1], v[73:74]
	s_waitcnt vmcnt(16)
	v_add_f64 v[25:26], v[49:50], -v[25:26]
	s_waitcnt vmcnt(14)
	v_add_f64 v[27:28], v[51:52], -v[27:28]
	;; [unrolled: 2-line block ×9, first 2 shown]
	buffer_store_dword v21, v75, s[0:3], 0 offen offset:552
	buffer_store_dword v22, v75, s[0:3], 0 offen offset:556
	;; [unrolled: 1-line block ×22, first 2 shown]
	s_cbranch_scc1 .LBB120_800
.LBB120_801:
	s_or_b32 exec_lo, exec_lo, s4
	v_mov_b32_e32 v3, s46
	s_waitcnt_vscnt null, 0x0
	s_barrier
	buffer_gl0_inv
	v_lshl_add_u32 v4, v14, 4, v11
	s_clause 0x3
	buffer_load_dword v0, v3, s[0:3], 0 offen
	buffer_load_dword v1, v3, s[0:3], 0 offen offset:4
	buffer_load_dword v2, v3, s[0:3], 0 offen offset:8
	;; [unrolled: 1-line block ×3, first 2 shown]
	v_mov_b32_e32 v9, 33
	s_cmp_lt_i32 s56, 35
	s_waitcnt vmcnt(0)
	ds_write2_b64 v4, v[0:1], v[2:3] offset1:1
	s_waitcnt lgkmcnt(0)
	s_barrier
	buffer_gl0_inv
	ds_read2_b64 v[0:3], v11 offset0:66 offset1:67
	s_cbranch_scc1 .LBB120_804
; %bb.802:
	v_add3_u32 v4, v13, 0, 0x220
	v_mov_b32_e32 v9, 33
	s_mov_b32 s16, 34
	s_inst_prefetch 0x1
	.p2align	6
.LBB120_803:                            ; =>This Inner Loop Header: Depth=1
	s_waitcnt lgkmcnt(0)
	v_cmp_gt_f64_e32 vcc_lo, 0, v[2:3]
	v_cmp_gt_f64_e64 s4, 0, v[0:1]
	ds_read2_b64 v[15:18], v4 offset1:1
	v_xor_b32_e32 v20, 0x80000000, v1
	v_xor_b32_e32 v22, 0x80000000, v3
	v_mov_b32_e32 v19, v0
	v_mov_b32_e32 v21, v2
	v_add_nc_u32_e32 v4, 16, v4
	s_waitcnt lgkmcnt(0)
	v_xor_b32_e32 v24, 0x80000000, v18
	v_cndmask_b32_e64 v20, v1, v20, s4
	v_cndmask_b32_e32 v22, v3, v22, vcc_lo
	v_cmp_gt_f64_e32 vcc_lo, 0, v[17:18]
	v_cmp_gt_f64_e64 s4, 0, v[15:16]
	v_mov_b32_e32 v23, v17
	v_add_f64 v[19:20], v[19:20], v[21:22]
	v_xor_b32_e32 v22, 0x80000000, v16
	v_mov_b32_e32 v21, v15
	v_cndmask_b32_e32 v24, v18, v24, vcc_lo
	v_cndmask_b32_e64 v22, v16, v22, s4
	v_add_f64 v[21:22], v[21:22], v[23:24]
	v_cmp_lt_f64_e32 vcc_lo, v[19:20], v[21:22]
	v_cndmask_b32_e32 v1, v1, v16, vcc_lo
	v_cndmask_b32_e32 v0, v0, v15, vcc_lo
	;; [unrolled: 1-line block ×4, first 2 shown]
	v_cndmask_b32_e64 v9, v9, s16, vcc_lo
	s_add_i32 s16, s16, 1
	s_cmp_lg_u32 s56, s16
	s_cbranch_scc1 .LBB120_803
.LBB120_804:
	s_inst_prefetch 0x2
	s_waitcnt lgkmcnt(0)
	v_cmp_eq_f64_e32 vcc_lo, 0, v[0:1]
	v_cmp_eq_f64_e64 s4, 0, v[2:3]
	s_and_b32 s4, vcc_lo, s4
	s_and_saveexec_b32 s16, s4
	s_xor_b32 s4, exec_lo, s16
; %bb.805:
	v_cmp_ne_u32_e32 vcc_lo, 0, v12
	v_cndmask_b32_e32 v12, 34, v12, vcc_lo
; %bb.806:
	s_andn2_saveexec_b32 s4, s4
	s_cbranch_execz .LBB120_812
; %bb.807:
	v_cmp_ngt_f64_e64 s16, |v[0:1]|, |v[2:3]|
	s_and_saveexec_b32 s17, s16
	s_xor_b32 s16, exec_lo, s17
	s_cbranch_execz .LBB120_809
; %bb.808:
	v_div_scale_f64 v[15:16], null, v[2:3], v[2:3], v[0:1]
	v_div_scale_f64 v[21:22], vcc_lo, v[0:1], v[2:3], v[0:1]
	v_rcp_f64_e32 v[17:18], v[15:16]
	v_fma_f64 v[19:20], -v[15:16], v[17:18], 1.0
	v_fma_f64 v[17:18], v[17:18], v[19:20], v[17:18]
	v_fma_f64 v[19:20], -v[15:16], v[17:18], 1.0
	v_fma_f64 v[17:18], v[17:18], v[19:20], v[17:18]
	v_mul_f64 v[19:20], v[21:22], v[17:18]
	v_fma_f64 v[15:16], -v[15:16], v[19:20], v[21:22]
	v_div_fmas_f64 v[15:16], v[15:16], v[17:18], v[19:20]
	v_div_fixup_f64 v[15:16], v[15:16], v[2:3], v[0:1]
	v_fma_f64 v[0:1], v[0:1], v[15:16], v[2:3]
	v_div_scale_f64 v[2:3], null, v[0:1], v[0:1], 1.0
	v_rcp_f64_e32 v[17:18], v[2:3]
	v_fma_f64 v[19:20], -v[2:3], v[17:18], 1.0
	v_fma_f64 v[17:18], v[17:18], v[19:20], v[17:18]
	v_fma_f64 v[19:20], -v[2:3], v[17:18], 1.0
	v_fma_f64 v[17:18], v[17:18], v[19:20], v[17:18]
	v_div_scale_f64 v[19:20], vcc_lo, 1.0, v[0:1], 1.0
	v_mul_f64 v[21:22], v[19:20], v[17:18]
	v_fma_f64 v[2:3], -v[2:3], v[21:22], v[19:20]
	v_div_fmas_f64 v[2:3], v[2:3], v[17:18], v[21:22]
	v_div_fixup_f64 v[2:3], v[2:3], v[0:1], 1.0
	v_mul_f64 v[0:1], v[15:16], v[2:3]
	v_xor_b32_e32 v3, 0x80000000, v3
.LBB120_809:
	s_andn2_saveexec_b32 s16, s16
	s_cbranch_execz .LBB120_811
; %bb.810:
	v_div_scale_f64 v[15:16], null, v[0:1], v[0:1], v[2:3]
	v_div_scale_f64 v[21:22], vcc_lo, v[2:3], v[0:1], v[2:3]
	v_rcp_f64_e32 v[17:18], v[15:16]
	v_fma_f64 v[19:20], -v[15:16], v[17:18], 1.0
	v_fma_f64 v[17:18], v[17:18], v[19:20], v[17:18]
	v_fma_f64 v[19:20], -v[15:16], v[17:18], 1.0
	v_fma_f64 v[17:18], v[17:18], v[19:20], v[17:18]
	v_mul_f64 v[19:20], v[21:22], v[17:18]
	v_fma_f64 v[15:16], -v[15:16], v[19:20], v[21:22]
	v_div_fmas_f64 v[15:16], v[15:16], v[17:18], v[19:20]
	v_div_fixup_f64 v[15:16], v[15:16], v[0:1], v[2:3]
	v_fma_f64 v[0:1], v[2:3], v[15:16], v[0:1]
	v_div_scale_f64 v[2:3], null, v[0:1], v[0:1], 1.0
	v_rcp_f64_e32 v[17:18], v[2:3]
	v_fma_f64 v[19:20], -v[2:3], v[17:18], 1.0
	v_fma_f64 v[17:18], v[17:18], v[19:20], v[17:18]
	v_fma_f64 v[19:20], -v[2:3], v[17:18], 1.0
	v_fma_f64 v[17:18], v[17:18], v[19:20], v[17:18]
	v_div_scale_f64 v[19:20], vcc_lo, 1.0, v[0:1], 1.0
	v_mul_f64 v[21:22], v[19:20], v[17:18]
	v_fma_f64 v[2:3], -v[2:3], v[21:22], v[19:20]
	v_div_fmas_f64 v[2:3], v[2:3], v[17:18], v[21:22]
	v_div_fixup_f64 v[0:1], v[2:3], v[0:1], 1.0
	v_mul_f64 v[2:3], v[15:16], -v[0:1]
.LBB120_811:
	s_or_b32 exec_lo, exec_lo, s16
.LBB120_812:
	s_or_b32 exec_lo, exec_lo, s4
	s_mov_b32 s4, exec_lo
	v_cmpx_ne_u32_e64 v14, v9
	s_xor_b32 s4, exec_lo, s4
	s_cbranch_execz .LBB120_818
; %bb.813:
	s_mov_b32 s16, exec_lo
	v_cmpx_eq_u32_e32 33, v14
	s_cbranch_execz .LBB120_817
; %bb.814:
	v_cmp_ne_u32_e32 vcc_lo, 33, v9
	s_xor_b32 s17, s20, -1
	s_and_b32 s57, s17, vcc_lo
	s_and_saveexec_b32 s17, s57
	s_cbranch_execz .LBB120_816
; %bb.815:
	v_ashrrev_i32_e32 v10, 31, v9
	v_lshlrev_b64 v[14:15], 2, v[9:10]
	v_add_co_u32 v14, vcc_lo, v7, v14
	v_add_co_ci_u32_e64 v15, null, v8, v15, vcc_lo
	s_clause 0x1
	global_load_dword v4, v[14:15], off
	global_load_dword v10, v[7:8], off offset:132
	s_waitcnt vmcnt(1)
	global_store_dword v[7:8], v4, off offset:132
	s_waitcnt vmcnt(0)
	global_store_dword v[14:15], v10, off
.LBB120_816:
	s_or_b32 exec_lo, exec_lo, s17
	v_mov_b32_e32 v14, v9
	v_mov_b32_e32 v10, v9
.LBB120_817:
	s_or_b32 exec_lo, exec_lo, s16
.LBB120_818:
	s_andn2_saveexec_b32 s4, s4
	s_cbranch_execz .LBB120_820
; %bb.819:
	v_mov_b32_e32 v4, s45
	v_mov_b32_e32 v9, s44
	;; [unrolled: 1-line block ×3, first 2 shown]
	s_clause 0x7
	buffer_load_dword v15, v4, s[0:3], 0 offen
	buffer_load_dword v16, v4, s[0:3], 0 offen offset:4
	buffer_load_dword v17, v4, s[0:3], 0 offen offset:8
	buffer_load_dword v18, v4, s[0:3], 0 offen offset:12
	buffer_load_dword v19, v9, s[0:3], 0 offen
	buffer_load_dword v20, v9, s[0:3], 0 offen offset:4
	buffer_load_dword v21, v9, s[0:3], 0 offen offset:8
	buffer_load_dword v22, v9, s[0:3], 0 offen offset:12
	v_mov_b32_e32 v9, s41
	v_mov_b32_e32 v4, s42
	s_clause 0x7
	buffer_load_dword v23, v14, s[0:3], 0 offen
	buffer_load_dword v24, v14, s[0:3], 0 offen offset:4
	buffer_load_dword v25, v14, s[0:3], 0 offen offset:8
	buffer_load_dword v26, v14, s[0:3], 0 offen offset:12
	buffer_load_dword v27, v4, s[0:3], 0 offen
	buffer_load_dword v28, v4, s[0:3], 0 offen offset:4
	buffer_load_dword v29, v4, s[0:3], 0 offen offset:8
	buffer_load_dword v30, v4, s[0:3], 0 offen offset:12
	v_mov_b32_e32 v4, s40
	v_mov_b32_e32 v14, s39
	;; [unrolled: 11-line block ×12, first 2 shown]
	s_clause 0xb
	buffer_load_dword v111, v9, s[0:3], 0 offen
	buffer_load_dword v112, v9, s[0:3], 0 offen offset:4
	buffer_load_dword v113, v9, s[0:3], 0 offen offset:8
	buffer_load_dword v114, v9, s[0:3], 0 offen offset:12
	buffer_load_dword v115, v4, s[0:3], 0 offen
	buffer_load_dword v116, v4, s[0:3], 0 offen offset:4
	buffer_load_dword v117, v4, s[0:3], 0 offen offset:8
	buffer_load_dword v118, v4, s[0:3], 0 offen offset:12
	;; [unrolled: 4-line block ×3, first 2 shown]
	v_mov_b32_e32 v14, 33
	s_waitcnt vmcnt(62)
	ds_write2_b64 v11, v[15:16], v[17:18] offset0:68 offset1:69
	ds_write2_b64 v11, v[19:20], v[21:22] offset0:70 offset1:71
	;; [unrolled: 1-line block ×11, first 2 shown]
	s_waitcnt vmcnt(60)
	ds_write2_b64 v11, v[59:60], v[61:62] offset0:90 offset1:91
	s_waitcnt vmcnt(56)
	ds_write2_b64 v11, v[63:64], v[65:66] offset0:92 offset1:93
	;; [unrolled: 2-line block ×16, first 2 shown]
.LBB120_820:
	s_or_b32 exec_lo, exec_lo, s4
	s_mov_b32 s4, exec_lo
	s_waitcnt lgkmcnt(0)
	s_waitcnt_vscnt null, 0x0
	s_barrier
	buffer_gl0_inv
	v_cmpx_lt_i32_e32 33, v14
	s_cbranch_execz .LBB120_823
; %bb.821:
	s_clause 0x3
	buffer_load_dword v15, off, s[0:3], 0 offset:536
	buffer_load_dword v16, off, s[0:3], 0 offset:540
	;; [unrolled: 1-line block ×4, first 2 shown]
	v_add3_u32 v4, v13, 0, 0x220
	s_mov_b32 s16, 0
	s_waitcnt vmcnt(2)
	v_mul_f64 v[19:20], v[2:3], v[15:16]
	v_mul_f64 v[15:16], v[0:1], v[15:16]
	s_waitcnt vmcnt(0)
	v_fma_f64 v[0:1], v[0:1], v[17:18], -v[19:20]
	v_fma_f64 v[2:3], v[2:3], v[17:18], v[15:16]
	buffer_store_dword v0, off, s[0:3], 0 offset:528
	buffer_store_dword v1, off, s[0:3], 0 offset:532
	;; [unrolled: 1-line block ×4, first 2 shown]
.LBB120_822:                            ; =>This Inner Loop Header: Depth=1
	v_mov_b32_e32 v9, s16
	v_add_nc_u32_e32 v23, s16, v4
	s_add_i32 s16, s16, 48
	s_clause 0xb
	buffer_load_dword v27, v9, s[0:3], 0 offen offset:544
	buffer_load_dword v28, v9, s[0:3], 0 offen offset:548
	;; [unrolled: 1-line block ×12, first 2 shown]
	ds_read2_b64 v[15:18], v23 offset1:1
	ds_read2_b64 v[19:22], v23 offset0:2 offset1:3
	ds_read2_b64 v[23:26], v23 offset0:4 offset1:5
	s_cmpk_lg_i32 s16, 0x1b0
	s_waitcnt lgkmcnt(2)
	v_mul_f64 v[39:40], v[17:18], v[2:3]
	v_mul_f64 v[41:42], v[15:16], v[2:3]
	s_waitcnt lgkmcnt(1)
	v_mul_f64 v[43:44], v[21:22], v[2:3]
	v_mul_f64 v[45:46], v[19:20], v[2:3]
	;; [unrolled: 3-line block ×3, first 2 shown]
	v_fma_f64 v[15:16], v[15:16], v[0:1], -v[39:40]
	v_fma_f64 v[17:18], v[17:18], v[0:1], v[41:42]
	v_fma_f64 v[19:20], v[19:20], v[0:1], -v[43:44]
	v_fma_f64 v[21:22], v[21:22], v[0:1], v[45:46]
	;; [unrolled: 2-line block ×3, first 2 shown]
	s_waitcnt vmcnt(10)
	v_add_f64 v[15:16], v[27:28], -v[15:16]
	s_waitcnt vmcnt(8)
	v_add_f64 v[17:18], v[29:30], -v[17:18]
	s_waitcnt vmcnt(6)
	v_add_f64 v[19:20], v[31:32], -v[19:20]
	s_waitcnt vmcnt(4)
	v_add_f64 v[21:22], v[33:34], -v[21:22]
	s_waitcnt vmcnt(2)
	v_add_f64 v[23:24], v[35:36], -v[23:24]
	s_waitcnt vmcnt(0)
	v_add_f64 v[25:26], v[37:38], -v[25:26]
	buffer_store_dword v15, v9, s[0:3], 0 offen offset:544
	buffer_store_dword v16, v9, s[0:3], 0 offen offset:548
	;; [unrolled: 1-line block ×12, first 2 shown]
	s_cbranch_scc1 .LBB120_822
.LBB120_823:
	s_or_b32 exec_lo, exec_lo, s4
	v_mov_b32_e32 v3, s45
	s_waitcnt_vscnt null, 0x0
	s_barrier
	buffer_gl0_inv
	v_lshl_add_u32 v4, v14, 4, v11
	s_clause 0x3
	buffer_load_dword v0, v3, s[0:3], 0 offen
	buffer_load_dword v1, v3, s[0:3], 0 offen offset:4
	buffer_load_dword v2, v3, s[0:3], 0 offen offset:8
	buffer_load_dword v3, v3, s[0:3], 0 offen offset:12
	v_mov_b32_e32 v9, 34
	s_cmp_lt_i32 s56, 36
	s_waitcnt vmcnt(0)
	ds_write2_b64 v4, v[0:1], v[2:3] offset1:1
	s_waitcnt lgkmcnt(0)
	s_barrier
	buffer_gl0_inv
	ds_read2_b64 v[0:3], v11 offset0:68 offset1:69
	s_cbranch_scc1 .LBB120_826
; %bb.824:
	v_add3_u32 v4, v13, 0, 0x230
	v_mov_b32_e32 v9, 34
	s_mov_b32 s16, 35
	s_inst_prefetch 0x1
	.p2align	6
.LBB120_825:                            ; =>This Inner Loop Header: Depth=1
	s_waitcnt lgkmcnt(0)
	v_cmp_gt_f64_e32 vcc_lo, 0, v[2:3]
	v_cmp_gt_f64_e64 s4, 0, v[0:1]
	ds_read2_b64 v[15:18], v4 offset1:1
	v_xor_b32_e32 v20, 0x80000000, v1
	v_xor_b32_e32 v22, 0x80000000, v3
	v_mov_b32_e32 v19, v0
	v_mov_b32_e32 v21, v2
	v_add_nc_u32_e32 v4, 16, v4
	s_waitcnt lgkmcnt(0)
	v_xor_b32_e32 v24, 0x80000000, v18
	v_cndmask_b32_e64 v20, v1, v20, s4
	v_cndmask_b32_e32 v22, v3, v22, vcc_lo
	v_cmp_gt_f64_e32 vcc_lo, 0, v[17:18]
	v_cmp_gt_f64_e64 s4, 0, v[15:16]
	v_mov_b32_e32 v23, v17
	v_add_f64 v[19:20], v[19:20], v[21:22]
	v_xor_b32_e32 v22, 0x80000000, v16
	v_mov_b32_e32 v21, v15
	v_cndmask_b32_e32 v24, v18, v24, vcc_lo
	v_cndmask_b32_e64 v22, v16, v22, s4
	v_add_f64 v[21:22], v[21:22], v[23:24]
	v_cmp_lt_f64_e32 vcc_lo, v[19:20], v[21:22]
	v_cndmask_b32_e32 v1, v1, v16, vcc_lo
	v_cndmask_b32_e32 v0, v0, v15, vcc_lo
	;; [unrolled: 1-line block ×4, first 2 shown]
	v_cndmask_b32_e64 v9, v9, s16, vcc_lo
	s_add_i32 s16, s16, 1
	s_cmp_lg_u32 s56, s16
	s_cbranch_scc1 .LBB120_825
.LBB120_826:
	s_inst_prefetch 0x2
	s_waitcnt lgkmcnt(0)
	v_cmp_eq_f64_e32 vcc_lo, 0, v[0:1]
	v_cmp_eq_f64_e64 s4, 0, v[2:3]
	s_and_b32 s4, vcc_lo, s4
	s_and_saveexec_b32 s16, s4
	s_xor_b32 s4, exec_lo, s16
; %bb.827:
	v_cmp_ne_u32_e32 vcc_lo, 0, v12
	v_cndmask_b32_e32 v12, 35, v12, vcc_lo
; %bb.828:
	s_andn2_saveexec_b32 s4, s4
	s_cbranch_execz .LBB120_834
; %bb.829:
	v_cmp_ngt_f64_e64 s16, |v[0:1]|, |v[2:3]|
	s_and_saveexec_b32 s17, s16
	s_xor_b32 s16, exec_lo, s17
	s_cbranch_execz .LBB120_831
; %bb.830:
	v_div_scale_f64 v[15:16], null, v[2:3], v[2:3], v[0:1]
	v_div_scale_f64 v[21:22], vcc_lo, v[0:1], v[2:3], v[0:1]
	v_rcp_f64_e32 v[17:18], v[15:16]
	v_fma_f64 v[19:20], -v[15:16], v[17:18], 1.0
	v_fma_f64 v[17:18], v[17:18], v[19:20], v[17:18]
	v_fma_f64 v[19:20], -v[15:16], v[17:18], 1.0
	v_fma_f64 v[17:18], v[17:18], v[19:20], v[17:18]
	v_mul_f64 v[19:20], v[21:22], v[17:18]
	v_fma_f64 v[15:16], -v[15:16], v[19:20], v[21:22]
	v_div_fmas_f64 v[15:16], v[15:16], v[17:18], v[19:20]
	v_div_fixup_f64 v[15:16], v[15:16], v[2:3], v[0:1]
	v_fma_f64 v[0:1], v[0:1], v[15:16], v[2:3]
	v_div_scale_f64 v[2:3], null, v[0:1], v[0:1], 1.0
	v_rcp_f64_e32 v[17:18], v[2:3]
	v_fma_f64 v[19:20], -v[2:3], v[17:18], 1.0
	v_fma_f64 v[17:18], v[17:18], v[19:20], v[17:18]
	v_fma_f64 v[19:20], -v[2:3], v[17:18], 1.0
	v_fma_f64 v[17:18], v[17:18], v[19:20], v[17:18]
	v_div_scale_f64 v[19:20], vcc_lo, 1.0, v[0:1], 1.0
	v_mul_f64 v[21:22], v[19:20], v[17:18]
	v_fma_f64 v[2:3], -v[2:3], v[21:22], v[19:20]
	v_div_fmas_f64 v[2:3], v[2:3], v[17:18], v[21:22]
	v_div_fixup_f64 v[2:3], v[2:3], v[0:1], 1.0
	v_mul_f64 v[0:1], v[15:16], v[2:3]
	v_xor_b32_e32 v3, 0x80000000, v3
.LBB120_831:
	s_andn2_saveexec_b32 s16, s16
	s_cbranch_execz .LBB120_833
; %bb.832:
	v_div_scale_f64 v[15:16], null, v[0:1], v[0:1], v[2:3]
	v_div_scale_f64 v[21:22], vcc_lo, v[2:3], v[0:1], v[2:3]
	v_rcp_f64_e32 v[17:18], v[15:16]
	v_fma_f64 v[19:20], -v[15:16], v[17:18], 1.0
	v_fma_f64 v[17:18], v[17:18], v[19:20], v[17:18]
	v_fma_f64 v[19:20], -v[15:16], v[17:18], 1.0
	v_fma_f64 v[17:18], v[17:18], v[19:20], v[17:18]
	v_mul_f64 v[19:20], v[21:22], v[17:18]
	v_fma_f64 v[15:16], -v[15:16], v[19:20], v[21:22]
	v_div_fmas_f64 v[15:16], v[15:16], v[17:18], v[19:20]
	v_div_fixup_f64 v[15:16], v[15:16], v[0:1], v[2:3]
	v_fma_f64 v[0:1], v[2:3], v[15:16], v[0:1]
	v_div_scale_f64 v[2:3], null, v[0:1], v[0:1], 1.0
	v_rcp_f64_e32 v[17:18], v[2:3]
	v_fma_f64 v[19:20], -v[2:3], v[17:18], 1.0
	v_fma_f64 v[17:18], v[17:18], v[19:20], v[17:18]
	v_fma_f64 v[19:20], -v[2:3], v[17:18], 1.0
	v_fma_f64 v[17:18], v[17:18], v[19:20], v[17:18]
	v_div_scale_f64 v[19:20], vcc_lo, 1.0, v[0:1], 1.0
	v_mul_f64 v[21:22], v[19:20], v[17:18]
	v_fma_f64 v[2:3], -v[2:3], v[21:22], v[19:20]
	v_div_fmas_f64 v[2:3], v[2:3], v[17:18], v[21:22]
	v_div_fixup_f64 v[0:1], v[2:3], v[0:1], 1.0
	v_mul_f64 v[2:3], v[15:16], -v[0:1]
.LBB120_833:
	s_or_b32 exec_lo, exec_lo, s16
.LBB120_834:
	s_or_b32 exec_lo, exec_lo, s4
	s_mov_b32 s4, exec_lo
	v_cmpx_ne_u32_e64 v14, v9
	s_xor_b32 s4, exec_lo, s4
	s_cbranch_execz .LBB120_840
; %bb.835:
	s_mov_b32 s16, exec_lo
	v_cmpx_eq_u32_e32 34, v14
	s_cbranch_execz .LBB120_839
; %bb.836:
	v_cmp_ne_u32_e32 vcc_lo, 34, v9
	s_xor_b32 s17, s20, -1
	s_and_b32 s57, s17, vcc_lo
	s_and_saveexec_b32 s17, s57
	s_cbranch_execz .LBB120_838
; %bb.837:
	v_ashrrev_i32_e32 v10, 31, v9
	v_lshlrev_b64 v[14:15], 2, v[9:10]
	v_add_co_u32 v14, vcc_lo, v7, v14
	v_add_co_ci_u32_e64 v15, null, v8, v15, vcc_lo
	s_clause 0x1
	global_load_dword v4, v[14:15], off
	global_load_dword v10, v[7:8], off offset:136
	s_waitcnt vmcnt(1)
	global_store_dword v[7:8], v4, off offset:136
	s_waitcnt vmcnt(0)
	global_store_dword v[14:15], v10, off
.LBB120_838:
	s_or_b32 exec_lo, exec_lo, s17
	v_mov_b32_e32 v14, v9
	v_mov_b32_e32 v10, v9
.LBB120_839:
	s_or_b32 exec_lo, exec_lo, s16
.LBB120_840:
	s_andn2_saveexec_b32 s4, s4
	s_cbranch_execz .LBB120_842
; %bb.841:
	v_mov_b32_e32 v4, s44
	v_mov_b32_e32 v9, s43
	;; [unrolled: 1-line block ×3, first 2 shown]
	s_clause 0x7
	buffer_load_dword v15, v4, s[0:3], 0 offen
	buffer_load_dword v16, v4, s[0:3], 0 offen offset:4
	buffer_load_dword v17, v4, s[0:3], 0 offen offset:8
	buffer_load_dword v18, v4, s[0:3], 0 offen offset:12
	buffer_load_dword v19, v9, s[0:3], 0 offen
	buffer_load_dword v20, v9, s[0:3], 0 offen offset:4
	buffer_load_dword v21, v9, s[0:3], 0 offen offset:8
	buffer_load_dword v22, v9, s[0:3], 0 offen offset:12
	v_mov_b32_e32 v9, s40
	v_mov_b32_e32 v4, s41
	s_clause 0x7
	buffer_load_dword v23, v14, s[0:3], 0 offen
	buffer_load_dword v24, v14, s[0:3], 0 offen offset:4
	buffer_load_dword v25, v14, s[0:3], 0 offen offset:8
	buffer_load_dword v26, v14, s[0:3], 0 offen offset:12
	buffer_load_dword v27, v4, s[0:3], 0 offen
	buffer_load_dword v28, v4, s[0:3], 0 offen offset:4
	buffer_load_dword v29, v4, s[0:3], 0 offen offset:8
	buffer_load_dword v30, v4, s[0:3], 0 offen offset:12
	v_mov_b32_e32 v4, s39
	v_mov_b32_e32 v14, s38
	;; [unrolled: 11-line block ×11, first 2 shown]
	s_clause 0x7
	buffer_load_dword v103, v14, s[0:3], 0 offen
	buffer_load_dword v104, v14, s[0:3], 0 offen offset:4
	buffer_load_dword v105, v14, s[0:3], 0 offen offset:8
	;; [unrolled: 1-line block ×3, first 2 shown]
	buffer_load_dword v107, v4, s[0:3], 0 offen
	buffer_load_dword v108, v4, s[0:3], 0 offen offset:4
	buffer_load_dword v109, v4, s[0:3], 0 offen offset:8
	;; [unrolled: 1-line block ×3, first 2 shown]
	v_mov_b32_e32 v4, s5
	s_clause 0x7
	buffer_load_dword v111, v9, s[0:3], 0 offen
	buffer_load_dword v112, v9, s[0:3], 0 offen offset:4
	buffer_load_dword v113, v9, s[0:3], 0 offen offset:8
	;; [unrolled: 1-line block ×3, first 2 shown]
	buffer_load_dword v115, v4, s[0:3], 0 offen
	buffer_load_dword v116, v4, s[0:3], 0 offen offset:4
	buffer_load_dword v117, v4, s[0:3], 0 offen offset:8
	;; [unrolled: 1-line block ×3, first 2 shown]
	v_mov_b32_e32 v14, 34
	s_waitcnt vmcnt(62)
	ds_write2_b64 v11, v[15:16], v[17:18] offset0:70 offset1:71
	ds_write2_b64 v11, v[19:20], v[21:22] offset0:72 offset1:73
	;; [unrolled: 1-line block ×10, first 2 shown]
	s_waitcnt vmcnt(60)
	ds_write2_b64 v11, v[55:56], v[57:58] offset0:90 offset1:91
	s_waitcnt vmcnt(56)
	ds_write2_b64 v11, v[59:60], v[61:62] offset0:92 offset1:93
	;; [unrolled: 2-line block ×16, first 2 shown]
.LBB120_842:
	s_or_b32 exec_lo, exec_lo, s4
	s_mov_b32 s4, exec_lo
	s_waitcnt lgkmcnt(0)
	s_waitcnt_vscnt null, 0x0
	s_barrier
	buffer_gl0_inv
	v_cmpx_lt_i32_e32 34, v14
	s_cbranch_execz .LBB120_845
; %bb.843:
	s_clause 0x3
	buffer_load_dword v15, off, s[0:3], 0 offset:552
	buffer_load_dword v16, off, s[0:3], 0 offset:556
	;; [unrolled: 1-line block ×4, first 2 shown]
	v_add3_u32 v4, v13, 0, 0x230
	s_mov_b32 s16, 0
	s_waitcnt vmcnt(2)
	v_mul_f64 v[19:20], v[2:3], v[15:16]
	v_mul_f64 v[15:16], v[0:1], v[15:16]
	s_waitcnt vmcnt(0)
	v_fma_f64 v[0:1], v[0:1], v[17:18], -v[19:20]
	v_fma_f64 v[2:3], v[2:3], v[17:18], v[15:16]
	buffer_store_dword v0, off, s[0:3], 0 offset:544
	buffer_store_dword v1, off, s[0:3], 0 offset:548
	;; [unrolled: 1-line block ×4, first 2 shown]
.LBB120_844:                            ; =>This Inner Loop Header: Depth=1
	v_mov_b32_e32 v9, s16
	v_add_nc_u32_e32 v19, s16, v4
	s_add_i32 s16, s16, 32
	s_clause 0x7
	buffer_load_dword v23, v9, s[0:3], 0 offen offset:560
	buffer_load_dword v24, v9, s[0:3], 0 offen offset:564
	;; [unrolled: 1-line block ×8, first 2 shown]
	ds_read2_b64 v[15:18], v19 offset1:1
	ds_read2_b64 v[19:22], v19 offset0:2 offset1:3
	s_cmpk_lg_i32 s16, 0x1a0
	s_waitcnt lgkmcnt(1)
	v_mul_f64 v[31:32], v[17:18], v[2:3]
	v_mul_f64 v[33:34], v[15:16], v[2:3]
	s_waitcnt lgkmcnt(0)
	v_mul_f64 v[35:36], v[21:22], v[2:3]
	v_mul_f64 v[37:38], v[19:20], v[2:3]
	v_fma_f64 v[15:16], v[15:16], v[0:1], -v[31:32]
	v_fma_f64 v[17:18], v[17:18], v[0:1], v[33:34]
	v_fma_f64 v[19:20], v[19:20], v[0:1], -v[35:36]
	v_fma_f64 v[21:22], v[21:22], v[0:1], v[37:38]
	s_waitcnt vmcnt(6)
	v_add_f64 v[15:16], v[23:24], -v[15:16]
	s_waitcnt vmcnt(4)
	v_add_f64 v[17:18], v[25:26], -v[17:18]
	s_waitcnt vmcnt(2)
	v_add_f64 v[19:20], v[27:28], -v[19:20]
	s_waitcnt vmcnt(0)
	v_add_f64 v[21:22], v[29:30], -v[21:22]
	buffer_store_dword v15, v9, s[0:3], 0 offen offset:560
	buffer_store_dword v16, v9, s[0:3], 0 offen offset:564
	;; [unrolled: 1-line block ×8, first 2 shown]
	s_cbranch_scc1 .LBB120_844
.LBB120_845:
	s_or_b32 exec_lo, exec_lo, s4
	v_mov_b32_e32 v3, s44
	s_waitcnt_vscnt null, 0x0
	s_barrier
	buffer_gl0_inv
	v_lshl_add_u32 v4, v14, 4, v11
	s_clause 0x3
	buffer_load_dword v0, v3, s[0:3], 0 offen
	buffer_load_dword v1, v3, s[0:3], 0 offen offset:4
	buffer_load_dword v2, v3, s[0:3], 0 offen offset:8
	;; [unrolled: 1-line block ×3, first 2 shown]
	v_mov_b32_e32 v9, 35
	s_cmp_lt_i32 s56, 37
	s_waitcnt vmcnt(0)
	ds_write2_b64 v4, v[0:1], v[2:3] offset1:1
	s_waitcnt lgkmcnt(0)
	s_barrier
	buffer_gl0_inv
	ds_read2_b64 v[0:3], v11 offset0:70 offset1:71
	s_cbranch_scc1 .LBB120_848
; %bb.846:
	v_add3_u32 v4, v13, 0, 0x240
	v_mov_b32_e32 v9, 35
	s_mov_b32 s16, 36
	s_inst_prefetch 0x1
	.p2align	6
.LBB120_847:                            ; =>This Inner Loop Header: Depth=1
	s_waitcnt lgkmcnt(0)
	v_cmp_gt_f64_e32 vcc_lo, 0, v[2:3]
	v_cmp_gt_f64_e64 s4, 0, v[0:1]
	ds_read2_b64 v[15:18], v4 offset1:1
	v_xor_b32_e32 v20, 0x80000000, v1
	v_xor_b32_e32 v22, 0x80000000, v3
	v_mov_b32_e32 v19, v0
	v_mov_b32_e32 v21, v2
	v_add_nc_u32_e32 v4, 16, v4
	s_waitcnt lgkmcnt(0)
	v_xor_b32_e32 v24, 0x80000000, v18
	v_cndmask_b32_e64 v20, v1, v20, s4
	v_cndmask_b32_e32 v22, v3, v22, vcc_lo
	v_cmp_gt_f64_e32 vcc_lo, 0, v[17:18]
	v_cmp_gt_f64_e64 s4, 0, v[15:16]
	v_mov_b32_e32 v23, v17
	v_add_f64 v[19:20], v[19:20], v[21:22]
	v_xor_b32_e32 v22, 0x80000000, v16
	v_mov_b32_e32 v21, v15
	v_cndmask_b32_e32 v24, v18, v24, vcc_lo
	v_cndmask_b32_e64 v22, v16, v22, s4
	v_add_f64 v[21:22], v[21:22], v[23:24]
	v_cmp_lt_f64_e32 vcc_lo, v[19:20], v[21:22]
	v_cndmask_b32_e32 v1, v1, v16, vcc_lo
	v_cndmask_b32_e32 v0, v0, v15, vcc_lo
	;; [unrolled: 1-line block ×4, first 2 shown]
	v_cndmask_b32_e64 v9, v9, s16, vcc_lo
	s_add_i32 s16, s16, 1
	s_cmp_lg_u32 s56, s16
	s_cbranch_scc1 .LBB120_847
.LBB120_848:
	s_inst_prefetch 0x2
	s_waitcnt lgkmcnt(0)
	v_cmp_eq_f64_e32 vcc_lo, 0, v[0:1]
	v_cmp_eq_f64_e64 s4, 0, v[2:3]
	s_and_b32 s4, vcc_lo, s4
	s_and_saveexec_b32 s16, s4
	s_xor_b32 s4, exec_lo, s16
; %bb.849:
	v_cmp_ne_u32_e32 vcc_lo, 0, v12
	v_cndmask_b32_e32 v12, 36, v12, vcc_lo
; %bb.850:
	s_andn2_saveexec_b32 s4, s4
	s_cbranch_execz .LBB120_856
; %bb.851:
	v_cmp_ngt_f64_e64 s16, |v[0:1]|, |v[2:3]|
	s_and_saveexec_b32 s17, s16
	s_xor_b32 s16, exec_lo, s17
	s_cbranch_execz .LBB120_853
; %bb.852:
	v_div_scale_f64 v[15:16], null, v[2:3], v[2:3], v[0:1]
	v_div_scale_f64 v[21:22], vcc_lo, v[0:1], v[2:3], v[0:1]
	v_rcp_f64_e32 v[17:18], v[15:16]
	v_fma_f64 v[19:20], -v[15:16], v[17:18], 1.0
	v_fma_f64 v[17:18], v[17:18], v[19:20], v[17:18]
	v_fma_f64 v[19:20], -v[15:16], v[17:18], 1.0
	v_fma_f64 v[17:18], v[17:18], v[19:20], v[17:18]
	v_mul_f64 v[19:20], v[21:22], v[17:18]
	v_fma_f64 v[15:16], -v[15:16], v[19:20], v[21:22]
	v_div_fmas_f64 v[15:16], v[15:16], v[17:18], v[19:20]
	v_div_fixup_f64 v[15:16], v[15:16], v[2:3], v[0:1]
	v_fma_f64 v[0:1], v[0:1], v[15:16], v[2:3]
	v_div_scale_f64 v[2:3], null, v[0:1], v[0:1], 1.0
	v_rcp_f64_e32 v[17:18], v[2:3]
	v_fma_f64 v[19:20], -v[2:3], v[17:18], 1.0
	v_fma_f64 v[17:18], v[17:18], v[19:20], v[17:18]
	v_fma_f64 v[19:20], -v[2:3], v[17:18], 1.0
	v_fma_f64 v[17:18], v[17:18], v[19:20], v[17:18]
	v_div_scale_f64 v[19:20], vcc_lo, 1.0, v[0:1], 1.0
	v_mul_f64 v[21:22], v[19:20], v[17:18]
	v_fma_f64 v[2:3], -v[2:3], v[21:22], v[19:20]
	v_div_fmas_f64 v[2:3], v[2:3], v[17:18], v[21:22]
	v_div_fixup_f64 v[2:3], v[2:3], v[0:1], 1.0
	v_mul_f64 v[0:1], v[15:16], v[2:3]
	v_xor_b32_e32 v3, 0x80000000, v3
.LBB120_853:
	s_andn2_saveexec_b32 s16, s16
	s_cbranch_execz .LBB120_855
; %bb.854:
	v_div_scale_f64 v[15:16], null, v[0:1], v[0:1], v[2:3]
	v_div_scale_f64 v[21:22], vcc_lo, v[2:3], v[0:1], v[2:3]
	v_rcp_f64_e32 v[17:18], v[15:16]
	v_fma_f64 v[19:20], -v[15:16], v[17:18], 1.0
	v_fma_f64 v[17:18], v[17:18], v[19:20], v[17:18]
	v_fma_f64 v[19:20], -v[15:16], v[17:18], 1.0
	v_fma_f64 v[17:18], v[17:18], v[19:20], v[17:18]
	v_mul_f64 v[19:20], v[21:22], v[17:18]
	v_fma_f64 v[15:16], -v[15:16], v[19:20], v[21:22]
	v_div_fmas_f64 v[15:16], v[15:16], v[17:18], v[19:20]
	v_div_fixup_f64 v[15:16], v[15:16], v[0:1], v[2:3]
	v_fma_f64 v[0:1], v[2:3], v[15:16], v[0:1]
	v_div_scale_f64 v[2:3], null, v[0:1], v[0:1], 1.0
	v_rcp_f64_e32 v[17:18], v[2:3]
	v_fma_f64 v[19:20], -v[2:3], v[17:18], 1.0
	v_fma_f64 v[17:18], v[17:18], v[19:20], v[17:18]
	v_fma_f64 v[19:20], -v[2:3], v[17:18], 1.0
	v_fma_f64 v[17:18], v[17:18], v[19:20], v[17:18]
	v_div_scale_f64 v[19:20], vcc_lo, 1.0, v[0:1], 1.0
	v_mul_f64 v[21:22], v[19:20], v[17:18]
	v_fma_f64 v[2:3], -v[2:3], v[21:22], v[19:20]
	v_div_fmas_f64 v[2:3], v[2:3], v[17:18], v[21:22]
	v_div_fixup_f64 v[0:1], v[2:3], v[0:1], 1.0
	v_mul_f64 v[2:3], v[15:16], -v[0:1]
.LBB120_855:
	s_or_b32 exec_lo, exec_lo, s16
.LBB120_856:
	s_or_b32 exec_lo, exec_lo, s4
	s_mov_b32 s4, exec_lo
	v_cmpx_ne_u32_e64 v14, v9
	s_xor_b32 s4, exec_lo, s4
	s_cbranch_execz .LBB120_862
; %bb.857:
	s_mov_b32 s16, exec_lo
	v_cmpx_eq_u32_e32 35, v14
	s_cbranch_execz .LBB120_861
; %bb.858:
	v_cmp_ne_u32_e32 vcc_lo, 35, v9
	s_xor_b32 s17, s20, -1
	s_and_b32 s57, s17, vcc_lo
	s_and_saveexec_b32 s17, s57
	s_cbranch_execz .LBB120_860
; %bb.859:
	v_ashrrev_i32_e32 v10, 31, v9
	v_lshlrev_b64 v[14:15], 2, v[9:10]
	v_add_co_u32 v14, vcc_lo, v7, v14
	v_add_co_ci_u32_e64 v15, null, v8, v15, vcc_lo
	s_clause 0x1
	global_load_dword v4, v[14:15], off
	global_load_dword v10, v[7:8], off offset:140
	s_waitcnt vmcnt(1)
	global_store_dword v[7:8], v4, off offset:140
	s_waitcnt vmcnt(0)
	global_store_dword v[14:15], v10, off
.LBB120_860:
	s_or_b32 exec_lo, exec_lo, s17
	v_mov_b32_e32 v14, v9
	v_mov_b32_e32 v10, v9
.LBB120_861:
	s_or_b32 exec_lo, exec_lo, s16
.LBB120_862:
	s_andn2_saveexec_b32 s4, s4
	s_cbranch_execz .LBB120_864
; %bb.863:
	v_mov_b32_e32 v4, s43
	v_mov_b32_e32 v14, s41
	v_mov_b32_e32 v9, s42
	s_clause 0x7
	buffer_load_dword v15, v4, s[0:3], 0 offen
	buffer_load_dword v16, v4, s[0:3], 0 offen offset:4
	buffer_load_dword v17, v4, s[0:3], 0 offen offset:8
	buffer_load_dword v18, v4, s[0:3], 0 offen offset:12
	buffer_load_dword v19, v9, s[0:3], 0 offen
	buffer_load_dword v20, v9, s[0:3], 0 offen offset:4
	buffer_load_dword v21, v9, s[0:3], 0 offen offset:8
	buffer_load_dword v22, v9, s[0:3], 0 offen offset:12
	v_mov_b32_e32 v4, s40
	v_mov_b32_e32 v9, s39
	s_clause 0x7
	buffer_load_dword v23, v14, s[0:3], 0 offen
	buffer_load_dword v24, v14, s[0:3], 0 offen offset:4
	buffer_load_dword v25, v14, s[0:3], 0 offen offset:8
	buffer_load_dword v26, v14, s[0:3], 0 offen offset:12
	buffer_load_dword v27, v4, s[0:3], 0 offen
	buffer_load_dword v28, v4, s[0:3], 0 offen offset:4
	buffer_load_dword v29, v4, s[0:3], 0 offen offset:8
	buffer_load_dword v30, v4, s[0:3], 0 offen offset:12
	v_mov_b32_e32 v14, s37
	v_mov_b32_e32 v4, s38
	;; [unrolled: 11-line block ×11, first 2 shown]
	s_clause 0xb
	buffer_load_dword v103, v14, s[0:3], 0 offen
	buffer_load_dword v104, v14, s[0:3], 0 offen offset:4
	buffer_load_dword v105, v14, s[0:3], 0 offen offset:8
	buffer_load_dword v106, v14, s[0:3], 0 offen offset:12
	buffer_load_dword v107, v4, s[0:3], 0 offen
	buffer_load_dword v108, v4, s[0:3], 0 offen offset:4
	buffer_load_dword v109, v4, s[0:3], 0 offen offset:8
	buffer_load_dword v110, v4, s[0:3], 0 offen offset:12
	buffer_load_dword v111, v9, s[0:3], 0 offen
	buffer_load_dword v112, v9, s[0:3], 0 offen offset:4
	buffer_load_dword v113, v9, s[0:3], 0 offen offset:8
	buffer_load_dword v114, v9, s[0:3], 0 offen offset:12
	v_mov_b32_e32 v14, 35
	s_waitcnt vmcnt(62)
	ds_write2_b64 v11, v[15:16], v[17:18] offset0:72 offset1:73
	ds_write2_b64 v11, v[19:20], v[21:22] offset0:74 offset1:75
	;; [unrolled: 1-line block ×9, first 2 shown]
	s_waitcnt vmcnt(60)
	ds_write2_b64 v11, v[51:52], v[53:54] offset0:90 offset1:91
	s_waitcnt vmcnt(56)
	ds_write2_b64 v11, v[55:56], v[57:58] offset0:92 offset1:93
	;; [unrolled: 2-line block ×16, first 2 shown]
.LBB120_864:
	s_or_b32 exec_lo, exec_lo, s4
	s_mov_b32 s4, exec_lo
	s_waitcnt lgkmcnt(0)
	s_waitcnt_vscnt null, 0x0
	s_barrier
	buffer_gl0_inv
	v_cmpx_lt_i32_e32 35, v14
	s_cbranch_execz .LBB120_867
; %bb.865:
	s_clause 0x3
	buffer_load_dword v15, off, s[0:3], 0 offset:568
	buffer_load_dword v16, off, s[0:3], 0 offset:572
	;; [unrolled: 1-line block ×4, first 2 shown]
	v_add3_u32 v4, v13, 0, 0x240
	s_mov_b32 s80, 0
	s_waitcnt vmcnt(2)
	v_mul_f64 v[19:20], v[2:3], v[15:16]
	v_mul_f64 v[15:16], v[0:1], v[15:16]
	s_waitcnt vmcnt(0)
	v_fma_f64 v[0:1], v[0:1], v[17:18], -v[19:20]
	v_fma_f64 v[2:3], v[2:3], v[17:18], v[15:16]
	buffer_store_dword v0, off, s[0:3], 0 offset:560
	buffer_store_dword v1, off, s[0:3], 0 offset:564
	;; [unrolled: 1-line block ×4, first 2 shown]
.LBB120_866:                            ; =>This Inner Loop Header: Depth=1
	v_mov_b32_e32 v9, s80
	v_add_nc_u32_e32 v31, s80, v4
	s_addk_i32 s80, 0x50
	s_clause 0x13
	buffer_load_dword v35, v9, s[0:3], 0 offen offset:576
	buffer_load_dword v36, v9, s[0:3], 0 offen offset:580
	;; [unrolled: 1-line block ×20, first 2 shown]
	ds_read2_b64 v[15:18], v31 offset1:1
	ds_read2_b64 v[19:22], v31 offset0:2 offset1:3
	ds_read2_b64 v[23:26], v31 offset0:4 offset1:5
	;; [unrolled: 1-line block ×4, first 2 shown]
	s_cmpk_lg_i32 s80, 0x190
	s_waitcnt lgkmcnt(4)
	v_mul_f64 v[55:56], v[17:18], v[2:3]
	v_mul_f64 v[57:58], v[15:16], v[2:3]
	s_waitcnt lgkmcnt(3)
	v_mul_f64 v[59:60], v[21:22], v[2:3]
	v_mul_f64 v[61:62], v[19:20], v[2:3]
	;; [unrolled: 3-line block ×5, first 2 shown]
	v_fma_f64 v[15:16], v[15:16], v[0:1], -v[55:56]
	v_fma_f64 v[17:18], v[17:18], v[0:1], v[57:58]
	v_fma_f64 v[19:20], v[19:20], v[0:1], -v[59:60]
	v_fma_f64 v[21:22], v[21:22], v[0:1], v[61:62]
	;; [unrolled: 2-line block ×5, first 2 shown]
	s_waitcnt vmcnt(18)
	v_add_f64 v[15:16], v[35:36], -v[15:16]
	s_waitcnt vmcnt(16)
	v_add_f64 v[17:18], v[37:38], -v[17:18]
	;; [unrolled: 2-line block ×10, first 2 shown]
	buffer_store_dword v15, v9, s[0:3], 0 offen offset:576
	buffer_store_dword v16, v9, s[0:3], 0 offen offset:580
	buffer_store_dword v17, v9, s[0:3], 0 offen offset:584
	buffer_store_dword v18, v9, s[0:3], 0 offen offset:588
	buffer_store_dword v19, v9, s[0:3], 0 offen offset:592
	buffer_store_dword v20, v9, s[0:3], 0 offen offset:596
	buffer_store_dword v21, v9, s[0:3], 0 offen offset:600
	buffer_store_dword v22, v9, s[0:3], 0 offen offset:604
	buffer_store_dword v23, v9, s[0:3], 0 offen offset:608
	buffer_store_dword v24, v9, s[0:3], 0 offen offset:612
	buffer_store_dword v25, v9, s[0:3], 0 offen offset:616
	buffer_store_dword v26, v9, s[0:3], 0 offen offset:620
	buffer_store_dword v28, v9, s[0:3], 0 offen offset:628
	buffer_store_dword v27, v9, s[0:3], 0 offen offset:624
	buffer_store_dword v29, v9, s[0:3], 0 offen offset:632
	buffer_store_dword v30, v9, s[0:3], 0 offen offset:636
	buffer_store_dword v32, v9, s[0:3], 0 offen offset:644
	buffer_store_dword v31, v9, s[0:3], 0 offen offset:640
	buffer_store_dword v34, v9, s[0:3], 0 offen offset:652
	buffer_store_dword v33, v9, s[0:3], 0 offen offset:648
	s_cbranch_scc1 .LBB120_866
.LBB120_867:
	s_or_b32 exec_lo, exec_lo, s4
	v_mov_b32_e32 v3, s43
	s_waitcnt_vscnt null, 0x0
	s_barrier
	buffer_gl0_inv
	v_lshl_add_u32 v4, v14, 4, v11
	s_clause 0x3
	buffer_load_dword v0, v3, s[0:3], 0 offen
	buffer_load_dword v1, v3, s[0:3], 0 offen offset:4
	buffer_load_dword v2, v3, s[0:3], 0 offen offset:8
	;; [unrolled: 1-line block ×3, first 2 shown]
	v_mov_b32_e32 v9, 36
	s_cmp_lt_i32 s56, 38
	s_waitcnt vmcnt(0)
	ds_write2_b64 v4, v[0:1], v[2:3] offset1:1
	s_waitcnt lgkmcnt(0)
	s_barrier
	buffer_gl0_inv
	ds_read2_b64 v[0:3], v11 offset0:72 offset1:73
	s_cbranch_scc1 .LBB120_870
; %bb.868:
	v_add3_u32 v4, v13, 0, 0x250
	v_mov_b32_e32 v9, 36
	s_mov_b32 s16, 37
	s_inst_prefetch 0x1
	.p2align	6
.LBB120_869:                            ; =>This Inner Loop Header: Depth=1
	s_waitcnt lgkmcnt(0)
	v_cmp_gt_f64_e32 vcc_lo, 0, v[2:3]
	v_cmp_gt_f64_e64 s4, 0, v[0:1]
	ds_read2_b64 v[15:18], v4 offset1:1
	v_xor_b32_e32 v20, 0x80000000, v1
	v_xor_b32_e32 v22, 0x80000000, v3
	v_mov_b32_e32 v19, v0
	v_mov_b32_e32 v21, v2
	v_add_nc_u32_e32 v4, 16, v4
	s_waitcnt lgkmcnt(0)
	v_xor_b32_e32 v24, 0x80000000, v18
	v_cndmask_b32_e64 v20, v1, v20, s4
	v_cndmask_b32_e32 v22, v3, v22, vcc_lo
	v_cmp_gt_f64_e32 vcc_lo, 0, v[17:18]
	v_cmp_gt_f64_e64 s4, 0, v[15:16]
	v_mov_b32_e32 v23, v17
	v_add_f64 v[19:20], v[19:20], v[21:22]
	v_xor_b32_e32 v22, 0x80000000, v16
	v_mov_b32_e32 v21, v15
	v_cndmask_b32_e32 v24, v18, v24, vcc_lo
	v_cndmask_b32_e64 v22, v16, v22, s4
	v_add_f64 v[21:22], v[21:22], v[23:24]
	v_cmp_lt_f64_e32 vcc_lo, v[19:20], v[21:22]
	v_cndmask_b32_e32 v1, v1, v16, vcc_lo
	v_cndmask_b32_e32 v0, v0, v15, vcc_lo
	;; [unrolled: 1-line block ×4, first 2 shown]
	v_cndmask_b32_e64 v9, v9, s16, vcc_lo
	s_add_i32 s16, s16, 1
	s_cmp_lg_u32 s56, s16
	s_cbranch_scc1 .LBB120_869
.LBB120_870:
	s_inst_prefetch 0x2
	s_waitcnt lgkmcnt(0)
	v_cmp_eq_f64_e32 vcc_lo, 0, v[0:1]
	v_cmp_eq_f64_e64 s4, 0, v[2:3]
	s_and_b32 s4, vcc_lo, s4
	s_and_saveexec_b32 s16, s4
	s_xor_b32 s4, exec_lo, s16
; %bb.871:
	v_cmp_ne_u32_e32 vcc_lo, 0, v12
	v_cndmask_b32_e32 v12, 37, v12, vcc_lo
; %bb.872:
	s_andn2_saveexec_b32 s4, s4
	s_cbranch_execz .LBB120_878
; %bb.873:
	v_cmp_ngt_f64_e64 s16, |v[0:1]|, |v[2:3]|
	s_and_saveexec_b32 s17, s16
	s_xor_b32 s16, exec_lo, s17
	s_cbranch_execz .LBB120_875
; %bb.874:
	v_div_scale_f64 v[15:16], null, v[2:3], v[2:3], v[0:1]
	v_div_scale_f64 v[21:22], vcc_lo, v[0:1], v[2:3], v[0:1]
	v_rcp_f64_e32 v[17:18], v[15:16]
	v_fma_f64 v[19:20], -v[15:16], v[17:18], 1.0
	v_fma_f64 v[17:18], v[17:18], v[19:20], v[17:18]
	v_fma_f64 v[19:20], -v[15:16], v[17:18], 1.0
	v_fma_f64 v[17:18], v[17:18], v[19:20], v[17:18]
	v_mul_f64 v[19:20], v[21:22], v[17:18]
	v_fma_f64 v[15:16], -v[15:16], v[19:20], v[21:22]
	v_div_fmas_f64 v[15:16], v[15:16], v[17:18], v[19:20]
	v_div_fixup_f64 v[15:16], v[15:16], v[2:3], v[0:1]
	v_fma_f64 v[0:1], v[0:1], v[15:16], v[2:3]
	v_div_scale_f64 v[2:3], null, v[0:1], v[0:1], 1.0
	v_rcp_f64_e32 v[17:18], v[2:3]
	v_fma_f64 v[19:20], -v[2:3], v[17:18], 1.0
	v_fma_f64 v[17:18], v[17:18], v[19:20], v[17:18]
	v_fma_f64 v[19:20], -v[2:3], v[17:18], 1.0
	v_fma_f64 v[17:18], v[17:18], v[19:20], v[17:18]
	v_div_scale_f64 v[19:20], vcc_lo, 1.0, v[0:1], 1.0
	v_mul_f64 v[21:22], v[19:20], v[17:18]
	v_fma_f64 v[2:3], -v[2:3], v[21:22], v[19:20]
	v_div_fmas_f64 v[2:3], v[2:3], v[17:18], v[21:22]
	v_div_fixup_f64 v[2:3], v[2:3], v[0:1], 1.0
	v_mul_f64 v[0:1], v[15:16], v[2:3]
	v_xor_b32_e32 v3, 0x80000000, v3
.LBB120_875:
	s_andn2_saveexec_b32 s16, s16
	s_cbranch_execz .LBB120_877
; %bb.876:
	v_div_scale_f64 v[15:16], null, v[0:1], v[0:1], v[2:3]
	v_div_scale_f64 v[21:22], vcc_lo, v[2:3], v[0:1], v[2:3]
	v_rcp_f64_e32 v[17:18], v[15:16]
	v_fma_f64 v[19:20], -v[15:16], v[17:18], 1.0
	v_fma_f64 v[17:18], v[17:18], v[19:20], v[17:18]
	v_fma_f64 v[19:20], -v[15:16], v[17:18], 1.0
	v_fma_f64 v[17:18], v[17:18], v[19:20], v[17:18]
	v_mul_f64 v[19:20], v[21:22], v[17:18]
	v_fma_f64 v[15:16], -v[15:16], v[19:20], v[21:22]
	v_div_fmas_f64 v[15:16], v[15:16], v[17:18], v[19:20]
	v_div_fixup_f64 v[15:16], v[15:16], v[0:1], v[2:3]
	v_fma_f64 v[0:1], v[2:3], v[15:16], v[0:1]
	v_div_scale_f64 v[2:3], null, v[0:1], v[0:1], 1.0
	v_rcp_f64_e32 v[17:18], v[2:3]
	v_fma_f64 v[19:20], -v[2:3], v[17:18], 1.0
	v_fma_f64 v[17:18], v[17:18], v[19:20], v[17:18]
	v_fma_f64 v[19:20], -v[2:3], v[17:18], 1.0
	v_fma_f64 v[17:18], v[17:18], v[19:20], v[17:18]
	v_div_scale_f64 v[19:20], vcc_lo, 1.0, v[0:1], 1.0
	v_mul_f64 v[21:22], v[19:20], v[17:18]
	v_fma_f64 v[2:3], -v[2:3], v[21:22], v[19:20]
	v_div_fmas_f64 v[2:3], v[2:3], v[17:18], v[21:22]
	v_div_fixup_f64 v[0:1], v[2:3], v[0:1], 1.0
	v_mul_f64 v[2:3], v[15:16], -v[0:1]
.LBB120_877:
	s_or_b32 exec_lo, exec_lo, s16
.LBB120_878:
	s_or_b32 exec_lo, exec_lo, s4
	s_mov_b32 s4, exec_lo
	v_cmpx_ne_u32_e64 v14, v9
	s_xor_b32 s4, exec_lo, s4
	s_cbranch_execz .LBB120_884
; %bb.879:
	s_mov_b32 s16, exec_lo
	v_cmpx_eq_u32_e32 36, v14
	s_cbranch_execz .LBB120_883
; %bb.880:
	v_cmp_ne_u32_e32 vcc_lo, 36, v9
	s_xor_b32 s17, s20, -1
	s_and_b32 s57, s17, vcc_lo
	s_and_saveexec_b32 s17, s57
	s_cbranch_execz .LBB120_882
; %bb.881:
	v_ashrrev_i32_e32 v10, 31, v9
	v_lshlrev_b64 v[14:15], 2, v[9:10]
	v_add_co_u32 v14, vcc_lo, v7, v14
	v_add_co_ci_u32_e64 v15, null, v8, v15, vcc_lo
	s_clause 0x1
	global_load_dword v4, v[14:15], off
	global_load_dword v10, v[7:8], off offset:144
	s_waitcnt vmcnt(1)
	global_store_dword v[7:8], v4, off offset:144
	s_waitcnt vmcnt(0)
	global_store_dword v[14:15], v10, off
.LBB120_882:
	s_or_b32 exec_lo, exec_lo, s17
	v_mov_b32_e32 v14, v9
	v_mov_b32_e32 v10, v9
.LBB120_883:
	s_or_b32 exec_lo, exec_lo, s16
.LBB120_884:
	s_andn2_saveexec_b32 s4, s4
	s_cbranch_execz .LBB120_886
; %bb.885:
	v_mov_b32_e32 v4, s42
	v_mov_b32_e32 v14, s40
	v_mov_b32_e32 v9, s41
	s_clause 0x7
	buffer_load_dword v15, v4, s[0:3], 0 offen
	buffer_load_dword v16, v4, s[0:3], 0 offen offset:4
	buffer_load_dword v17, v4, s[0:3], 0 offen offset:8
	buffer_load_dword v18, v4, s[0:3], 0 offen offset:12
	buffer_load_dword v19, v9, s[0:3], 0 offen
	buffer_load_dword v20, v9, s[0:3], 0 offen offset:4
	buffer_load_dword v21, v9, s[0:3], 0 offen offset:8
	buffer_load_dword v22, v9, s[0:3], 0 offen offset:12
	v_mov_b32_e32 v4, s39
	v_mov_b32_e32 v9, s38
	s_clause 0x7
	buffer_load_dword v23, v14, s[0:3], 0 offen
	buffer_load_dword v24, v14, s[0:3], 0 offen offset:4
	buffer_load_dword v25, v14, s[0:3], 0 offen offset:8
	buffer_load_dword v26, v14, s[0:3], 0 offen offset:12
	buffer_load_dword v27, v4, s[0:3], 0 offen
	buffer_load_dword v28, v4, s[0:3], 0 offen offset:4
	buffer_load_dword v29, v4, s[0:3], 0 offen offset:8
	buffer_load_dword v30, v4, s[0:3], 0 offen offset:12
	v_mov_b32_e32 v14, s36
	v_mov_b32_e32 v4, s37
	;; [unrolled: 11-line block ×10, first 2 shown]
	s_clause 0x7
	buffer_load_dword v95, v9, s[0:3], 0 offen
	buffer_load_dword v96, v9, s[0:3], 0 offen offset:4
	buffer_load_dword v97, v9, s[0:3], 0 offen offset:8
	;; [unrolled: 1-line block ×3, first 2 shown]
	buffer_load_dword v99, v4, s[0:3], 0 offen
	buffer_load_dword v100, v4, s[0:3], 0 offen offset:4
	buffer_load_dword v101, v4, s[0:3], 0 offen offset:8
	;; [unrolled: 1-line block ×3, first 2 shown]
	v_mov_b32_e32 v4, s5
	s_clause 0x7
	buffer_load_dword v103, v14, s[0:3], 0 offen
	buffer_load_dword v104, v14, s[0:3], 0 offen offset:4
	buffer_load_dword v105, v14, s[0:3], 0 offen offset:8
	;; [unrolled: 1-line block ×3, first 2 shown]
	buffer_load_dword v107, v4, s[0:3], 0 offen
	buffer_load_dword v108, v4, s[0:3], 0 offen offset:4
	buffer_load_dword v109, v4, s[0:3], 0 offen offset:8
	;; [unrolled: 1-line block ×3, first 2 shown]
	v_mov_b32_e32 v14, 36
	s_waitcnt vmcnt(62)
	ds_write2_b64 v11, v[15:16], v[17:18] offset0:74 offset1:75
	ds_write2_b64 v11, v[19:20], v[21:22] offset0:76 offset1:77
	;; [unrolled: 1-line block ×8, first 2 shown]
	s_waitcnt vmcnt(60)
	ds_write2_b64 v11, v[47:48], v[49:50] offset0:90 offset1:91
	s_waitcnt vmcnt(56)
	ds_write2_b64 v11, v[51:52], v[53:54] offset0:92 offset1:93
	;; [unrolled: 2-line block ×16, first 2 shown]
.LBB120_886:
	s_or_b32 exec_lo, exec_lo, s4
	s_mov_b32 s4, exec_lo
	s_waitcnt lgkmcnt(0)
	s_waitcnt_vscnt null, 0x0
	s_barrier
	buffer_gl0_inv
	v_cmpx_lt_i32_e32 36, v14
	s_cbranch_execz .LBB120_889
; %bb.887:
	s_clause 0x3
	buffer_load_dword v15, off, s[0:3], 0 offset:584
	buffer_load_dword v16, off, s[0:3], 0 offset:588
	;; [unrolled: 1-line block ×4, first 2 shown]
	v_add3_u32 v4, v13, 0, 0x250
	s_mov_b32 s80, 0
	s_waitcnt vmcnt(2)
	v_mul_f64 v[19:20], v[2:3], v[15:16]
	v_mul_f64 v[15:16], v[0:1], v[15:16]
	s_waitcnt vmcnt(0)
	v_fma_f64 v[0:1], v[0:1], v[17:18], -v[19:20]
	v_fma_f64 v[2:3], v[2:3], v[17:18], v[15:16]
	buffer_store_dword v0, off, s[0:3], 0 offset:576
	buffer_store_dword v1, off, s[0:3], 0 offset:580
	;; [unrolled: 1-line block ×4, first 2 shown]
.LBB120_888:                            ; =>This Inner Loop Header: Depth=1
	v_mov_b32_e32 v9, s80
	v_add_nc_u32_e32 v35, s80, v4
	s_addk_i32 s80, 0x60
	s_clause 0x17
	buffer_load_dword v39, v9, s[0:3], 0 offen offset:592
	buffer_load_dword v40, v9, s[0:3], 0 offen offset:596
	;; [unrolled: 1-line block ×24, first 2 shown]
	ds_read2_b64 v[15:18], v35 offset1:1
	ds_read2_b64 v[19:22], v35 offset0:2 offset1:3
	ds_read2_b64 v[23:26], v35 offset0:4 offset1:5
	;; [unrolled: 1-line block ×5, first 2 shown]
	s_cmpk_lg_i32 s80, 0x180
	s_waitcnt lgkmcnt(5)
	v_mul_f64 v[63:64], v[17:18], v[2:3]
	v_mul_f64 v[65:66], v[15:16], v[2:3]
	s_waitcnt lgkmcnt(4)
	v_mul_f64 v[67:68], v[21:22], v[2:3]
	v_mul_f64 v[69:70], v[19:20], v[2:3]
	;; [unrolled: 3-line block ×6, first 2 shown]
	v_fma_f64 v[15:16], v[15:16], v[0:1], -v[63:64]
	v_fma_f64 v[17:18], v[17:18], v[0:1], v[65:66]
	v_fma_f64 v[19:20], v[19:20], v[0:1], -v[67:68]
	v_fma_f64 v[21:22], v[21:22], v[0:1], v[69:70]
	;; [unrolled: 2-line block ×6, first 2 shown]
	s_waitcnt vmcnt(22)
	v_add_f64 v[15:16], v[39:40], -v[15:16]
	s_waitcnt vmcnt(20)
	v_add_f64 v[17:18], v[41:42], -v[17:18]
	;; [unrolled: 2-line block ×12, first 2 shown]
	buffer_store_dword v15, v9, s[0:3], 0 offen offset:592
	buffer_store_dword v16, v9, s[0:3], 0 offen offset:596
	;; [unrolled: 1-line block ×24, first 2 shown]
	s_cbranch_scc1 .LBB120_888
.LBB120_889:
	s_or_b32 exec_lo, exec_lo, s4
	v_mov_b32_e32 v3, s42
	s_waitcnt_vscnt null, 0x0
	s_barrier
	buffer_gl0_inv
	v_lshl_add_u32 v4, v14, 4, v11
	s_clause 0x3
	buffer_load_dword v0, v3, s[0:3], 0 offen
	buffer_load_dword v1, v3, s[0:3], 0 offen offset:4
	buffer_load_dword v2, v3, s[0:3], 0 offen offset:8
	buffer_load_dword v3, v3, s[0:3], 0 offen offset:12
	v_mov_b32_e32 v9, 37
	s_cmp_lt_i32 s56, 39
	s_waitcnt vmcnt(0)
	ds_write2_b64 v4, v[0:1], v[2:3] offset1:1
	s_waitcnt lgkmcnt(0)
	s_barrier
	buffer_gl0_inv
	ds_read2_b64 v[0:3], v11 offset0:74 offset1:75
	s_cbranch_scc1 .LBB120_892
; %bb.890:
	v_add3_u32 v4, v13, 0, 0x260
	v_mov_b32_e32 v9, 37
	s_mov_b32 s16, 38
	s_inst_prefetch 0x1
	.p2align	6
.LBB120_891:                            ; =>This Inner Loop Header: Depth=1
	s_waitcnt lgkmcnt(0)
	v_cmp_gt_f64_e32 vcc_lo, 0, v[2:3]
	v_cmp_gt_f64_e64 s4, 0, v[0:1]
	ds_read2_b64 v[15:18], v4 offset1:1
	v_xor_b32_e32 v20, 0x80000000, v1
	v_xor_b32_e32 v22, 0x80000000, v3
	v_mov_b32_e32 v19, v0
	v_mov_b32_e32 v21, v2
	v_add_nc_u32_e32 v4, 16, v4
	s_waitcnt lgkmcnt(0)
	v_xor_b32_e32 v24, 0x80000000, v18
	v_cndmask_b32_e64 v20, v1, v20, s4
	v_cndmask_b32_e32 v22, v3, v22, vcc_lo
	v_cmp_gt_f64_e32 vcc_lo, 0, v[17:18]
	v_cmp_gt_f64_e64 s4, 0, v[15:16]
	v_mov_b32_e32 v23, v17
	v_add_f64 v[19:20], v[19:20], v[21:22]
	v_xor_b32_e32 v22, 0x80000000, v16
	v_mov_b32_e32 v21, v15
	v_cndmask_b32_e32 v24, v18, v24, vcc_lo
	v_cndmask_b32_e64 v22, v16, v22, s4
	v_add_f64 v[21:22], v[21:22], v[23:24]
	v_cmp_lt_f64_e32 vcc_lo, v[19:20], v[21:22]
	v_cndmask_b32_e32 v1, v1, v16, vcc_lo
	v_cndmask_b32_e32 v0, v0, v15, vcc_lo
	;; [unrolled: 1-line block ×4, first 2 shown]
	v_cndmask_b32_e64 v9, v9, s16, vcc_lo
	s_add_i32 s16, s16, 1
	s_cmp_lg_u32 s56, s16
	s_cbranch_scc1 .LBB120_891
.LBB120_892:
	s_inst_prefetch 0x2
	s_waitcnt lgkmcnt(0)
	v_cmp_eq_f64_e32 vcc_lo, 0, v[0:1]
	v_cmp_eq_f64_e64 s4, 0, v[2:3]
	s_and_b32 s4, vcc_lo, s4
	s_and_saveexec_b32 s16, s4
	s_xor_b32 s4, exec_lo, s16
; %bb.893:
	v_cmp_ne_u32_e32 vcc_lo, 0, v12
	v_cndmask_b32_e32 v12, 38, v12, vcc_lo
; %bb.894:
	s_andn2_saveexec_b32 s4, s4
	s_cbranch_execz .LBB120_900
; %bb.895:
	v_cmp_ngt_f64_e64 s16, |v[0:1]|, |v[2:3]|
	s_and_saveexec_b32 s17, s16
	s_xor_b32 s16, exec_lo, s17
	s_cbranch_execz .LBB120_897
; %bb.896:
	v_div_scale_f64 v[15:16], null, v[2:3], v[2:3], v[0:1]
	v_div_scale_f64 v[21:22], vcc_lo, v[0:1], v[2:3], v[0:1]
	v_rcp_f64_e32 v[17:18], v[15:16]
	v_fma_f64 v[19:20], -v[15:16], v[17:18], 1.0
	v_fma_f64 v[17:18], v[17:18], v[19:20], v[17:18]
	v_fma_f64 v[19:20], -v[15:16], v[17:18], 1.0
	v_fma_f64 v[17:18], v[17:18], v[19:20], v[17:18]
	v_mul_f64 v[19:20], v[21:22], v[17:18]
	v_fma_f64 v[15:16], -v[15:16], v[19:20], v[21:22]
	v_div_fmas_f64 v[15:16], v[15:16], v[17:18], v[19:20]
	v_div_fixup_f64 v[15:16], v[15:16], v[2:3], v[0:1]
	v_fma_f64 v[0:1], v[0:1], v[15:16], v[2:3]
	v_div_scale_f64 v[2:3], null, v[0:1], v[0:1], 1.0
	v_rcp_f64_e32 v[17:18], v[2:3]
	v_fma_f64 v[19:20], -v[2:3], v[17:18], 1.0
	v_fma_f64 v[17:18], v[17:18], v[19:20], v[17:18]
	v_fma_f64 v[19:20], -v[2:3], v[17:18], 1.0
	v_fma_f64 v[17:18], v[17:18], v[19:20], v[17:18]
	v_div_scale_f64 v[19:20], vcc_lo, 1.0, v[0:1], 1.0
	v_mul_f64 v[21:22], v[19:20], v[17:18]
	v_fma_f64 v[2:3], -v[2:3], v[21:22], v[19:20]
	v_div_fmas_f64 v[2:3], v[2:3], v[17:18], v[21:22]
	v_div_fixup_f64 v[2:3], v[2:3], v[0:1], 1.0
	v_mul_f64 v[0:1], v[15:16], v[2:3]
	v_xor_b32_e32 v3, 0x80000000, v3
.LBB120_897:
	s_andn2_saveexec_b32 s16, s16
	s_cbranch_execz .LBB120_899
; %bb.898:
	v_div_scale_f64 v[15:16], null, v[0:1], v[0:1], v[2:3]
	v_div_scale_f64 v[21:22], vcc_lo, v[2:3], v[0:1], v[2:3]
	v_rcp_f64_e32 v[17:18], v[15:16]
	v_fma_f64 v[19:20], -v[15:16], v[17:18], 1.0
	v_fma_f64 v[17:18], v[17:18], v[19:20], v[17:18]
	v_fma_f64 v[19:20], -v[15:16], v[17:18], 1.0
	v_fma_f64 v[17:18], v[17:18], v[19:20], v[17:18]
	v_mul_f64 v[19:20], v[21:22], v[17:18]
	v_fma_f64 v[15:16], -v[15:16], v[19:20], v[21:22]
	v_div_fmas_f64 v[15:16], v[15:16], v[17:18], v[19:20]
	v_div_fixup_f64 v[15:16], v[15:16], v[0:1], v[2:3]
	v_fma_f64 v[0:1], v[2:3], v[15:16], v[0:1]
	v_div_scale_f64 v[2:3], null, v[0:1], v[0:1], 1.0
	v_rcp_f64_e32 v[17:18], v[2:3]
	v_fma_f64 v[19:20], -v[2:3], v[17:18], 1.0
	v_fma_f64 v[17:18], v[17:18], v[19:20], v[17:18]
	v_fma_f64 v[19:20], -v[2:3], v[17:18], 1.0
	v_fma_f64 v[17:18], v[17:18], v[19:20], v[17:18]
	v_div_scale_f64 v[19:20], vcc_lo, 1.0, v[0:1], 1.0
	v_mul_f64 v[21:22], v[19:20], v[17:18]
	v_fma_f64 v[2:3], -v[2:3], v[21:22], v[19:20]
	v_div_fmas_f64 v[2:3], v[2:3], v[17:18], v[21:22]
	v_div_fixup_f64 v[0:1], v[2:3], v[0:1], 1.0
	v_mul_f64 v[2:3], v[15:16], -v[0:1]
.LBB120_899:
	s_or_b32 exec_lo, exec_lo, s16
.LBB120_900:
	s_or_b32 exec_lo, exec_lo, s4
	s_mov_b32 s4, exec_lo
	v_cmpx_ne_u32_e64 v14, v9
	s_xor_b32 s4, exec_lo, s4
	s_cbranch_execz .LBB120_906
; %bb.901:
	s_mov_b32 s16, exec_lo
	v_cmpx_eq_u32_e32 37, v14
	s_cbranch_execz .LBB120_905
; %bb.902:
	v_cmp_ne_u32_e32 vcc_lo, 37, v9
	s_xor_b32 s17, s20, -1
	s_and_b32 s57, s17, vcc_lo
	s_and_saveexec_b32 s17, s57
	s_cbranch_execz .LBB120_904
; %bb.903:
	v_ashrrev_i32_e32 v10, 31, v9
	v_lshlrev_b64 v[14:15], 2, v[9:10]
	v_add_co_u32 v14, vcc_lo, v7, v14
	v_add_co_ci_u32_e64 v15, null, v8, v15, vcc_lo
	s_clause 0x1
	global_load_dword v4, v[14:15], off
	global_load_dword v10, v[7:8], off offset:148
	s_waitcnt vmcnt(1)
	global_store_dword v[7:8], v4, off offset:148
	s_waitcnt vmcnt(0)
	global_store_dword v[14:15], v10, off
.LBB120_904:
	s_or_b32 exec_lo, exec_lo, s17
	v_mov_b32_e32 v14, v9
	v_mov_b32_e32 v10, v9
.LBB120_905:
	s_or_b32 exec_lo, exec_lo, s16
.LBB120_906:
	s_andn2_saveexec_b32 s4, s4
	s_cbranch_execz .LBB120_908
; %bb.907:
	v_mov_b32_e32 v4, s41
	v_mov_b32_e32 v9, s40
	v_mov_b32_e32 v14, s39
	s_clause 0x7
	buffer_load_dword v15, v4, s[0:3], 0 offen
	buffer_load_dword v16, v4, s[0:3], 0 offen offset:4
	buffer_load_dword v17, v4, s[0:3], 0 offen offset:8
	buffer_load_dword v18, v4, s[0:3], 0 offen offset:12
	buffer_load_dword v19, v9, s[0:3], 0 offen
	buffer_load_dword v20, v9, s[0:3], 0 offen offset:4
	buffer_load_dword v21, v9, s[0:3], 0 offen offset:8
	buffer_load_dword v22, v9, s[0:3], 0 offen offset:12
	v_mov_b32_e32 v9, s37
	v_mov_b32_e32 v4, s38
	s_clause 0x7
	buffer_load_dword v23, v14, s[0:3], 0 offen
	buffer_load_dword v24, v14, s[0:3], 0 offen offset:4
	buffer_load_dword v25, v14, s[0:3], 0 offen offset:8
	buffer_load_dword v26, v14, s[0:3], 0 offen offset:12
	buffer_load_dword v27, v4, s[0:3], 0 offen
	buffer_load_dword v28, v4, s[0:3], 0 offen offset:4
	buffer_load_dword v29, v4, s[0:3], 0 offen offset:8
	buffer_load_dword v30, v4, s[0:3], 0 offen offset:12
	v_mov_b32_e32 v4, s36
	v_mov_b32_e32 v14, s35
	;; [unrolled: 11-line block ×10, first 2 shown]
	s_clause 0xb
	buffer_load_dword v95, v9, s[0:3], 0 offen
	buffer_load_dword v96, v9, s[0:3], 0 offen offset:4
	buffer_load_dword v97, v9, s[0:3], 0 offen offset:8
	buffer_load_dword v98, v9, s[0:3], 0 offen offset:12
	buffer_load_dword v99, v4, s[0:3], 0 offen
	buffer_load_dword v100, v4, s[0:3], 0 offen offset:4
	buffer_load_dword v101, v4, s[0:3], 0 offen offset:8
	buffer_load_dword v102, v4, s[0:3], 0 offen offset:12
	;; [unrolled: 4-line block ×3, first 2 shown]
	v_mov_b32_e32 v14, 37
	s_waitcnt vmcnt(62)
	ds_write2_b64 v11, v[15:16], v[17:18] offset0:76 offset1:77
	ds_write2_b64 v11, v[19:20], v[21:22] offset0:78 offset1:79
	;; [unrolled: 1-line block ×7, first 2 shown]
	s_waitcnt vmcnt(60)
	ds_write2_b64 v11, v[43:44], v[45:46] offset0:90 offset1:91
	s_waitcnt vmcnt(56)
	ds_write2_b64 v11, v[47:48], v[49:50] offset0:92 offset1:93
	;; [unrolled: 2-line block ×16, first 2 shown]
.LBB120_908:
	s_or_b32 exec_lo, exec_lo, s4
	s_mov_b32 s4, exec_lo
	s_waitcnt lgkmcnt(0)
	s_waitcnt_vscnt null, 0x0
	s_barrier
	buffer_gl0_inv
	v_cmpx_lt_i32_e32 37, v14
	s_cbranch_execz .LBB120_913
; %bb.909:
	s_clause 0x3
	buffer_load_dword v15, off, s[0:3], 0 offset:600
	buffer_load_dword v16, off, s[0:3], 0 offset:604
	;; [unrolled: 1-line block ×4, first 2 shown]
	v_add3_u32 v4, v13, 0, 0x260
	s_mov_b32 s16, 0
	s_waitcnt vmcnt(2)
	v_mul_f64 v[19:20], v[2:3], v[15:16]
	v_mul_f64 v[15:16], v[0:1], v[15:16]
	s_waitcnt vmcnt(0)
	v_fma_f64 v[0:1], v[0:1], v[17:18], -v[19:20]
	v_fma_f64 v[2:3], v[2:3], v[17:18], v[15:16]
	buffer_store_dword v0, off, s[0:3], 0 offset:592
	buffer_store_dword v1, off, s[0:3], 0 offset:596
	;; [unrolled: 1-line block ×4, first 2 shown]
	s_branch .LBB120_911
.LBB120_910:                            ;   in Loop: Header=BB120_911 Depth=1
	s_andn2_b32 vcc_lo, exec_lo, s57
	s_cbranch_vccz .LBB120_913
.LBB120_911:                            ; =>This Inner Loop Header: Depth=1
	v_mov_b32_e32 v51, s16
	v_add_nc_u32_e32 v9, s16, v4
	s_mov_b32 s17, s16
	s_mov_b32 s57, -1
	s_cmpk_eq_i32 s16, 0x140
	s_clause 0xb
	buffer_load_dword v27, v51, s[0:3], 0 offen offset:608
	buffer_load_dword v28, v51, s[0:3], 0 offen offset:612
	;; [unrolled: 1-line block ×12, first 2 shown]
	ds_read2_b64 v[15:18], v9 offset1:1
	ds_read2_b64 v[19:22], v9 offset0:2 offset1:3
	ds_read2_b64 v[23:26], v9 offset0:4 offset1:5
	s_waitcnt lgkmcnt(2)
	v_mul_f64 v[39:40], v[17:18], v[2:3]
	v_mul_f64 v[41:42], v[15:16], v[2:3]
	s_waitcnt lgkmcnt(1)
	v_mul_f64 v[43:44], v[21:22], v[2:3]
	v_mul_f64 v[45:46], v[19:20], v[2:3]
	;; [unrolled: 3-line block ×3, first 2 shown]
	v_fma_f64 v[15:16], v[15:16], v[0:1], -v[39:40]
	v_fma_f64 v[17:18], v[17:18], v[0:1], v[41:42]
	v_fma_f64 v[19:20], v[19:20], v[0:1], -v[43:44]
	v_fma_f64 v[21:22], v[21:22], v[0:1], v[45:46]
	v_fma_f64 v[23:24], v[23:24], v[0:1], -v[47:48]
	v_fma_f64 v[25:26], v[25:26], v[0:1], v[49:50]
	s_waitcnt vmcnt(10)
	v_add_f64 v[15:16], v[27:28], -v[15:16]
	s_waitcnt vmcnt(8)
	v_add_f64 v[17:18], v[29:30], -v[17:18]
	;; [unrolled: 2-line block ×6, first 2 shown]
	buffer_store_dword v15, v51, s[0:3], 0 offen offset:608
	buffer_store_dword v16, v51, s[0:3], 0 offen offset:612
	buffer_store_dword v17, v51, s[0:3], 0 offen offset:616
	buffer_store_dword v18, v51, s[0:3], 0 offen offset:620
	buffer_store_dword v19, v51, s[0:3], 0 offen offset:624
	buffer_store_dword v20, v51, s[0:3], 0 offen offset:628
	buffer_store_dword v21, v51, s[0:3], 0 offen offset:632
	buffer_store_dword v22, v51, s[0:3], 0 offen offset:636
	buffer_store_dword v23, v51, s[0:3], 0 offen offset:640
	buffer_store_dword v24, v51, s[0:3], 0 offen offset:644
	buffer_store_dword v25, v51, s[0:3], 0 offen offset:648
	buffer_store_dword v26, v51, s[0:3], 0 offen offset:652
	s_cbranch_scc1 .LBB120_910
; %bb.912:                              ;   in Loop: Header=BB120_911 Depth=1
	v_mov_b32_e32 v27, s17
	s_add_i32 s16, s16, 64
	s_mov_b32 s57, 0
	s_clause 0x3
	buffer_load_dword v19, v27, s[0:3], 0 offen offset:656
	buffer_load_dword v20, v27, s[0:3], 0 offen offset:660
	;; [unrolled: 1-line block ×4, first 2 shown]
	ds_read2_b64 v[15:18], v9 offset0:6 offset1:7
	s_waitcnt lgkmcnt(0)
	v_mul_f64 v[23:24], v[17:18], v[2:3]
	v_mul_f64 v[25:26], v[15:16], v[2:3]
	v_fma_f64 v[15:16], v[15:16], v[0:1], -v[23:24]
	v_fma_f64 v[17:18], v[17:18], v[0:1], v[25:26]
	s_waitcnt vmcnt(2)
	v_add_f64 v[15:16], v[19:20], -v[15:16]
	s_waitcnt vmcnt(0)
	v_add_f64 v[17:18], v[21:22], -v[17:18]
	buffer_store_dword v15, v27, s[0:3], 0 offen offset:656
	buffer_store_dword v16, v27, s[0:3], 0 offen offset:660
	;; [unrolled: 1-line block ×4, first 2 shown]
	s_branch .LBB120_910
.LBB120_913:
	s_or_b32 exec_lo, exec_lo, s4
	v_mov_b32_e32 v3, s41
	s_waitcnt_vscnt null, 0x0
	s_barrier
	buffer_gl0_inv
	v_lshl_add_u32 v4, v14, 4, v11
	s_clause 0x3
	buffer_load_dword v0, v3, s[0:3], 0 offen
	buffer_load_dword v1, v3, s[0:3], 0 offen offset:4
	buffer_load_dword v2, v3, s[0:3], 0 offen offset:8
	buffer_load_dword v3, v3, s[0:3], 0 offen offset:12
	v_mov_b32_e32 v9, 38
	s_cmp_lt_i32 s56, 40
	s_waitcnt vmcnt(0)
	ds_write2_b64 v4, v[0:1], v[2:3] offset1:1
	s_waitcnt lgkmcnt(0)
	s_barrier
	buffer_gl0_inv
	ds_read2_b64 v[0:3], v11 offset0:76 offset1:77
	s_cbranch_scc1 .LBB120_916
; %bb.914:
	v_add3_u32 v4, v13, 0, 0x270
	v_mov_b32_e32 v9, 38
	s_mov_b32 s16, 39
	s_inst_prefetch 0x1
	.p2align	6
.LBB120_915:                            ; =>This Inner Loop Header: Depth=1
	s_waitcnt lgkmcnt(0)
	v_cmp_gt_f64_e32 vcc_lo, 0, v[2:3]
	v_cmp_gt_f64_e64 s4, 0, v[0:1]
	ds_read2_b64 v[15:18], v4 offset1:1
	v_xor_b32_e32 v20, 0x80000000, v1
	v_xor_b32_e32 v22, 0x80000000, v3
	v_mov_b32_e32 v19, v0
	v_mov_b32_e32 v21, v2
	v_add_nc_u32_e32 v4, 16, v4
	s_waitcnt lgkmcnt(0)
	v_xor_b32_e32 v24, 0x80000000, v18
	v_cndmask_b32_e64 v20, v1, v20, s4
	v_cndmask_b32_e32 v22, v3, v22, vcc_lo
	v_cmp_gt_f64_e32 vcc_lo, 0, v[17:18]
	v_cmp_gt_f64_e64 s4, 0, v[15:16]
	v_mov_b32_e32 v23, v17
	v_add_f64 v[19:20], v[19:20], v[21:22]
	v_xor_b32_e32 v22, 0x80000000, v16
	v_mov_b32_e32 v21, v15
	v_cndmask_b32_e32 v24, v18, v24, vcc_lo
	v_cndmask_b32_e64 v22, v16, v22, s4
	v_add_f64 v[21:22], v[21:22], v[23:24]
	v_cmp_lt_f64_e32 vcc_lo, v[19:20], v[21:22]
	v_cndmask_b32_e32 v1, v1, v16, vcc_lo
	v_cndmask_b32_e32 v0, v0, v15, vcc_lo
	;; [unrolled: 1-line block ×4, first 2 shown]
	v_cndmask_b32_e64 v9, v9, s16, vcc_lo
	s_add_i32 s16, s16, 1
	s_cmp_lg_u32 s56, s16
	s_cbranch_scc1 .LBB120_915
.LBB120_916:
	s_inst_prefetch 0x2
	s_waitcnt lgkmcnt(0)
	v_cmp_eq_f64_e32 vcc_lo, 0, v[0:1]
	v_cmp_eq_f64_e64 s4, 0, v[2:3]
	s_and_b32 s4, vcc_lo, s4
	s_and_saveexec_b32 s16, s4
	s_xor_b32 s4, exec_lo, s16
; %bb.917:
	v_cmp_ne_u32_e32 vcc_lo, 0, v12
	v_cndmask_b32_e32 v12, 39, v12, vcc_lo
; %bb.918:
	s_andn2_saveexec_b32 s4, s4
	s_cbranch_execz .LBB120_924
; %bb.919:
	v_cmp_ngt_f64_e64 s16, |v[0:1]|, |v[2:3]|
	s_and_saveexec_b32 s17, s16
	s_xor_b32 s16, exec_lo, s17
	s_cbranch_execz .LBB120_921
; %bb.920:
	v_div_scale_f64 v[15:16], null, v[2:3], v[2:3], v[0:1]
	v_div_scale_f64 v[21:22], vcc_lo, v[0:1], v[2:3], v[0:1]
	v_rcp_f64_e32 v[17:18], v[15:16]
	v_fma_f64 v[19:20], -v[15:16], v[17:18], 1.0
	v_fma_f64 v[17:18], v[17:18], v[19:20], v[17:18]
	v_fma_f64 v[19:20], -v[15:16], v[17:18], 1.0
	v_fma_f64 v[17:18], v[17:18], v[19:20], v[17:18]
	v_mul_f64 v[19:20], v[21:22], v[17:18]
	v_fma_f64 v[15:16], -v[15:16], v[19:20], v[21:22]
	v_div_fmas_f64 v[15:16], v[15:16], v[17:18], v[19:20]
	v_div_fixup_f64 v[15:16], v[15:16], v[2:3], v[0:1]
	v_fma_f64 v[0:1], v[0:1], v[15:16], v[2:3]
	v_div_scale_f64 v[2:3], null, v[0:1], v[0:1], 1.0
	v_rcp_f64_e32 v[17:18], v[2:3]
	v_fma_f64 v[19:20], -v[2:3], v[17:18], 1.0
	v_fma_f64 v[17:18], v[17:18], v[19:20], v[17:18]
	v_fma_f64 v[19:20], -v[2:3], v[17:18], 1.0
	v_fma_f64 v[17:18], v[17:18], v[19:20], v[17:18]
	v_div_scale_f64 v[19:20], vcc_lo, 1.0, v[0:1], 1.0
	v_mul_f64 v[21:22], v[19:20], v[17:18]
	v_fma_f64 v[2:3], -v[2:3], v[21:22], v[19:20]
	v_div_fmas_f64 v[2:3], v[2:3], v[17:18], v[21:22]
	v_div_fixup_f64 v[2:3], v[2:3], v[0:1], 1.0
	v_mul_f64 v[0:1], v[15:16], v[2:3]
	v_xor_b32_e32 v3, 0x80000000, v3
.LBB120_921:
	s_andn2_saveexec_b32 s16, s16
	s_cbranch_execz .LBB120_923
; %bb.922:
	v_div_scale_f64 v[15:16], null, v[0:1], v[0:1], v[2:3]
	v_div_scale_f64 v[21:22], vcc_lo, v[2:3], v[0:1], v[2:3]
	v_rcp_f64_e32 v[17:18], v[15:16]
	v_fma_f64 v[19:20], -v[15:16], v[17:18], 1.0
	v_fma_f64 v[17:18], v[17:18], v[19:20], v[17:18]
	v_fma_f64 v[19:20], -v[15:16], v[17:18], 1.0
	v_fma_f64 v[17:18], v[17:18], v[19:20], v[17:18]
	v_mul_f64 v[19:20], v[21:22], v[17:18]
	v_fma_f64 v[15:16], -v[15:16], v[19:20], v[21:22]
	v_div_fmas_f64 v[15:16], v[15:16], v[17:18], v[19:20]
	v_div_fixup_f64 v[15:16], v[15:16], v[0:1], v[2:3]
	v_fma_f64 v[0:1], v[2:3], v[15:16], v[0:1]
	v_div_scale_f64 v[2:3], null, v[0:1], v[0:1], 1.0
	v_rcp_f64_e32 v[17:18], v[2:3]
	v_fma_f64 v[19:20], -v[2:3], v[17:18], 1.0
	v_fma_f64 v[17:18], v[17:18], v[19:20], v[17:18]
	v_fma_f64 v[19:20], -v[2:3], v[17:18], 1.0
	v_fma_f64 v[17:18], v[17:18], v[19:20], v[17:18]
	v_div_scale_f64 v[19:20], vcc_lo, 1.0, v[0:1], 1.0
	v_mul_f64 v[21:22], v[19:20], v[17:18]
	v_fma_f64 v[2:3], -v[2:3], v[21:22], v[19:20]
	v_div_fmas_f64 v[2:3], v[2:3], v[17:18], v[21:22]
	v_div_fixup_f64 v[0:1], v[2:3], v[0:1], 1.0
	v_mul_f64 v[2:3], v[15:16], -v[0:1]
.LBB120_923:
	s_or_b32 exec_lo, exec_lo, s16
.LBB120_924:
	s_or_b32 exec_lo, exec_lo, s4
	s_mov_b32 s4, exec_lo
	v_cmpx_ne_u32_e64 v14, v9
	s_xor_b32 s4, exec_lo, s4
	s_cbranch_execz .LBB120_930
; %bb.925:
	s_mov_b32 s16, exec_lo
	v_cmpx_eq_u32_e32 38, v14
	s_cbranch_execz .LBB120_929
; %bb.926:
	v_cmp_ne_u32_e32 vcc_lo, 38, v9
	s_xor_b32 s17, s20, -1
	s_and_b32 s57, s17, vcc_lo
	s_and_saveexec_b32 s17, s57
	s_cbranch_execz .LBB120_928
; %bb.927:
	v_ashrrev_i32_e32 v10, 31, v9
	v_lshlrev_b64 v[14:15], 2, v[9:10]
	v_add_co_u32 v14, vcc_lo, v7, v14
	v_add_co_ci_u32_e64 v15, null, v8, v15, vcc_lo
	s_clause 0x1
	global_load_dword v4, v[14:15], off
	global_load_dword v10, v[7:8], off offset:152
	s_waitcnt vmcnt(1)
	global_store_dword v[7:8], v4, off offset:152
	s_waitcnt vmcnt(0)
	global_store_dword v[14:15], v10, off
.LBB120_928:
	s_or_b32 exec_lo, exec_lo, s17
	v_mov_b32_e32 v14, v9
	v_mov_b32_e32 v10, v9
.LBB120_929:
	s_or_b32 exec_lo, exec_lo, s16
.LBB120_930:
	s_andn2_saveexec_b32 s4, s4
	s_cbranch_execz .LBB120_932
; %bb.931:
	v_mov_b32_e32 v4, s40
	v_mov_b32_e32 v9, s39
	;; [unrolled: 1-line block ×3, first 2 shown]
	s_clause 0x7
	buffer_load_dword v15, v4, s[0:3], 0 offen
	buffer_load_dword v16, v4, s[0:3], 0 offen offset:4
	buffer_load_dword v17, v4, s[0:3], 0 offen offset:8
	buffer_load_dword v18, v4, s[0:3], 0 offen offset:12
	buffer_load_dword v19, v9, s[0:3], 0 offen
	buffer_load_dword v20, v9, s[0:3], 0 offen offset:4
	buffer_load_dword v21, v9, s[0:3], 0 offen offset:8
	buffer_load_dword v22, v9, s[0:3], 0 offen offset:12
	v_mov_b32_e32 v9, s36
	v_mov_b32_e32 v4, s37
	s_clause 0x7
	buffer_load_dword v23, v14, s[0:3], 0 offen
	buffer_load_dword v24, v14, s[0:3], 0 offen offset:4
	buffer_load_dword v25, v14, s[0:3], 0 offen offset:8
	buffer_load_dword v26, v14, s[0:3], 0 offen offset:12
	buffer_load_dword v27, v4, s[0:3], 0 offen
	buffer_load_dword v28, v4, s[0:3], 0 offen offset:4
	buffer_load_dword v29, v4, s[0:3], 0 offen offset:8
	buffer_load_dword v30, v4, s[0:3], 0 offen offset:12
	v_mov_b32_e32 v4, s35
	v_mov_b32_e32 v14, s34
	;; [unrolled: 11-line block ×9, first 2 shown]
	s_clause 0x7
	buffer_load_dword v87, v14, s[0:3], 0 offen
	buffer_load_dword v88, v14, s[0:3], 0 offen offset:4
	buffer_load_dword v89, v14, s[0:3], 0 offen offset:8
	;; [unrolled: 1-line block ×3, first 2 shown]
	buffer_load_dword v91, v4, s[0:3], 0 offen
	buffer_load_dword v92, v4, s[0:3], 0 offen offset:4
	buffer_load_dword v93, v4, s[0:3], 0 offen offset:8
	;; [unrolled: 1-line block ×3, first 2 shown]
	v_mov_b32_e32 v4, s5
	s_clause 0x7
	buffer_load_dword v95, v9, s[0:3], 0 offen
	buffer_load_dword v96, v9, s[0:3], 0 offen offset:4
	buffer_load_dword v97, v9, s[0:3], 0 offen offset:8
	;; [unrolled: 1-line block ×3, first 2 shown]
	buffer_load_dword v99, v4, s[0:3], 0 offen
	buffer_load_dword v100, v4, s[0:3], 0 offen offset:4
	buffer_load_dword v101, v4, s[0:3], 0 offen offset:8
	buffer_load_dword v102, v4, s[0:3], 0 offen offset:12
	v_mov_b32_e32 v14, 38
	s_waitcnt vmcnt(62)
	ds_write2_b64 v11, v[15:16], v[17:18] offset0:78 offset1:79
	ds_write2_b64 v11, v[19:20], v[21:22] offset0:80 offset1:81
	;; [unrolled: 1-line block ×6, first 2 shown]
	s_waitcnt vmcnt(60)
	ds_write2_b64 v11, v[39:40], v[41:42] offset0:90 offset1:91
	s_waitcnt vmcnt(56)
	ds_write2_b64 v11, v[43:44], v[45:46] offset0:92 offset1:93
	;; [unrolled: 2-line block ×16, first 2 shown]
.LBB120_932:
	s_or_b32 exec_lo, exec_lo, s4
	s_mov_b32 s4, exec_lo
	s_waitcnt lgkmcnt(0)
	s_waitcnt_vscnt null, 0x0
	s_barrier
	buffer_gl0_inv
	v_cmpx_lt_i32_e32 38, v14
	s_cbranch_execz .LBB120_935
; %bb.933:
	s_clause 0x3
	buffer_load_dword v15, off, s[0:3], 0 offset:616
	buffer_load_dword v16, off, s[0:3], 0 offset:620
	;; [unrolled: 1-line block ×4, first 2 shown]
	v_add3_u32 v4, v13, 0, 0x270
	s_mov_b32 s16, 0
	s_waitcnt vmcnt(2)
	v_mul_f64 v[19:20], v[2:3], v[15:16]
	v_mul_f64 v[15:16], v[0:1], v[15:16]
	s_waitcnt vmcnt(0)
	v_fma_f64 v[0:1], v[0:1], v[17:18], -v[19:20]
	v_fma_f64 v[2:3], v[2:3], v[17:18], v[15:16]
	buffer_store_dword v0, off, s[0:3], 0 offset:608
	buffer_store_dword v1, off, s[0:3], 0 offset:612
	;; [unrolled: 1-line block ×4, first 2 shown]
.LBB120_934:                            ; =>This Inner Loop Header: Depth=1
	v_mov_b32_e32 v9, s16
	v_add_nc_u32_e32 v19, s16, v4
	s_add_i32 s16, s16, 32
	s_clause 0x7
	buffer_load_dword v23, v9, s[0:3], 0 offen offset:624
	buffer_load_dword v24, v9, s[0:3], 0 offen offset:628
	;; [unrolled: 1-line block ×8, first 2 shown]
	ds_read2_b64 v[15:18], v19 offset1:1
	ds_read2_b64 v[19:22], v19 offset0:2 offset1:3
	s_cmpk_lg_i32 s16, 0x160
	s_waitcnt lgkmcnt(1)
	v_mul_f64 v[31:32], v[17:18], v[2:3]
	v_mul_f64 v[33:34], v[15:16], v[2:3]
	s_waitcnt lgkmcnt(0)
	v_mul_f64 v[35:36], v[21:22], v[2:3]
	v_mul_f64 v[37:38], v[19:20], v[2:3]
	v_fma_f64 v[15:16], v[15:16], v[0:1], -v[31:32]
	v_fma_f64 v[17:18], v[17:18], v[0:1], v[33:34]
	v_fma_f64 v[19:20], v[19:20], v[0:1], -v[35:36]
	v_fma_f64 v[21:22], v[21:22], v[0:1], v[37:38]
	s_waitcnt vmcnt(6)
	v_add_f64 v[15:16], v[23:24], -v[15:16]
	s_waitcnt vmcnt(4)
	v_add_f64 v[17:18], v[25:26], -v[17:18]
	;; [unrolled: 2-line block ×4, first 2 shown]
	buffer_store_dword v15, v9, s[0:3], 0 offen offset:624
	buffer_store_dword v16, v9, s[0:3], 0 offen offset:628
	;; [unrolled: 1-line block ×8, first 2 shown]
	s_cbranch_scc1 .LBB120_934
.LBB120_935:
	s_or_b32 exec_lo, exec_lo, s4
	v_mov_b32_e32 v3, s40
	s_waitcnt_vscnt null, 0x0
	s_barrier
	buffer_gl0_inv
	v_lshl_add_u32 v4, v14, 4, v11
	s_clause 0x3
	buffer_load_dword v0, v3, s[0:3], 0 offen
	buffer_load_dword v1, v3, s[0:3], 0 offen offset:4
	buffer_load_dword v2, v3, s[0:3], 0 offen offset:8
	;; [unrolled: 1-line block ×3, first 2 shown]
	v_mov_b32_e32 v9, 39
	s_cmp_lt_i32 s56, 41
	s_waitcnt vmcnt(0)
	ds_write2_b64 v4, v[0:1], v[2:3] offset1:1
	s_waitcnt lgkmcnt(0)
	s_barrier
	buffer_gl0_inv
	ds_read2_b64 v[0:3], v11 offset0:78 offset1:79
	s_cbranch_scc1 .LBB120_938
; %bb.936:
	v_add3_u32 v4, v13, 0, 0x280
	v_mov_b32_e32 v9, 39
	s_mov_b32 s16, 40
	s_inst_prefetch 0x1
	.p2align	6
.LBB120_937:                            ; =>This Inner Loop Header: Depth=1
	s_waitcnt lgkmcnt(0)
	v_cmp_gt_f64_e32 vcc_lo, 0, v[2:3]
	v_cmp_gt_f64_e64 s4, 0, v[0:1]
	ds_read2_b64 v[15:18], v4 offset1:1
	v_xor_b32_e32 v20, 0x80000000, v1
	v_xor_b32_e32 v22, 0x80000000, v3
	v_mov_b32_e32 v19, v0
	v_mov_b32_e32 v21, v2
	v_add_nc_u32_e32 v4, 16, v4
	s_waitcnt lgkmcnt(0)
	v_xor_b32_e32 v24, 0x80000000, v18
	v_cndmask_b32_e64 v20, v1, v20, s4
	v_cndmask_b32_e32 v22, v3, v22, vcc_lo
	v_cmp_gt_f64_e32 vcc_lo, 0, v[17:18]
	v_cmp_gt_f64_e64 s4, 0, v[15:16]
	v_mov_b32_e32 v23, v17
	v_add_f64 v[19:20], v[19:20], v[21:22]
	v_xor_b32_e32 v22, 0x80000000, v16
	v_mov_b32_e32 v21, v15
	v_cndmask_b32_e32 v24, v18, v24, vcc_lo
	v_cndmask_b32_e64 v22, v16, v22, s4
	v_add_f64 v[21:22], v[21:22], v[23:24]
	v_cmp_lt_f64_e32 vcc_lo, v[19:20], v[21:22]
	v_cndmask_b32_e32 v1, v1, v16, vcc_lo
	v_cndmask_b32_e32 v0, v0, v15, vcc_lo
	;; [unrolled: 1-line block ×4, first 2 shown]
	v_cndmask_b32_e64 v9, v9, s16, vcc_lo
	s_add_i32 s16, s16, 1
	s_cmp_lg_u32 s56, s16
	s_cbranch_scc1 .LBB120_937
.LBB120_938:
	s_inst_prefetch 0x2
	s_waitcnt lgkmcnt(0)
	v_cmp_eq_f64_e32 vcc_lo, 0, v[0:1]
	v_cmp_eq_f64_e64 s4, 0, v[2:3]
	s_and_b32 s4, vcc_lo, s4
	s_and_saveexec_b32 s16, s4
	s_xor_b32 s4, exec_lo, s16
; %bb.939:
	v_cmp_ne_u32_e32 vcc_lo, 0, v12
	v_cndmask_b32_e32 v12, 40, v12, vcc_lo
; %bb.940:
	s_andn2_saveexec_b32 s4, s4
	s_cbranch_execz .LBB120_946
; %bb.941:
	v_cmp_ngt_f64_e64 s16, |v[0:1]|, |v[2:3]|
	s_and_saveexec_b32 s17, s16
	s_xor_b32 s16, exec_lo, s17
	s_cbranch_execz .LBB120_943
; %bb.942:
	v_div_scale_f64 v[15:16], null, v[2:3], v[2:3], v[0:1]
	v_div_scale_f64 v[21:22], vcc_lo, v[0:1], v[2:3], v[0:1]
	v_rcp_f64_e32 v[17:18], v[15:16]
	v_fma_f64 v[19:20], -v[15:16], v[17:18], 1.0
	v_fma_f64 v[17:18], v[17:18], v[19:20], v[17:18]
	v_fma_f64 v[19:20], -v[15:16], v[17:18], 1.0
	v_fma_f64 v[17:18], v[17:18], v[19:20], v[17:18]
	v_mul_f64 v[19:20], v[21:22], v[17:18]
	v_fma_f64 v[15:16], -v[15:16], v[19:20], v[21:22]
	v_div_fmas_f64 v[15:16], v[15:16], v[17:18], v[19:20]
	v_div_fixup_f64 v[15:16], v[15:16], v[2:3], v[0:1]
	v_fma_f64 v[0:1], v[0:1], v[15:16], v[2:3]
	v_div_scale_f64 v[2:3], null, v[0:1], v[0:1], 1.0
	v_rcp_f64_e32 v[17:18], v[2:3]
	v_fma_f64 v[19:20], -v[2:3], v[17:18], 1.0
	v_fma_f64 v[17:18], v[17:18], v[19:20], v[17:18]
	v_fma_f64 v[19:20], -v[2:3], v[17:18], 1.0
	v_fma_f64 v[17:18], v[17:18], v[19:20], v[17:18]
	v_div_scale_f64 v[19:20], vcc_lo, 1.0, v[0:1], 1.0
	v_mul_f64 v[21:22], v[19:20], v[17:18]
	v_fma_f64 v[2:3], -v[2:3], v[21:22], v[19:20]
	v_div_fmas_f64 v[2:3], v[2:3], v[17:18], v[21:22]
	v_div_fixup_f64 v[2:3], v[2:3], v[0:1], 1.0
	v_mul_f64 v[0:1], v[15:16], v[2:3]
	v_xor_b32_e32 v3, 0x80000000, v3
.LBB120_943:
	s_andn2_saveexec_b32 s16, s16
	s_cbranch_execz .LBB120_945
; %bb.944:
	v_div_scale_f64 v[15:16], null, v[0:1], v[0:1], v[2:3]
	v_div_scale_f64 v[21:22], vcc_lo, v[2:3], v[0:1], v[2:3]
	v_rcp_f64_e32 v[17:18], v[15:16]
	v_fma_f64 v[19:20], -v[15:16], v[17:18], 1.0
	v_fma_f64 v[17:18], v[17:18], v[19:20], v[17:18]
	v_fma_f64 v[19:20], -v[15:16], v[17:18], 1.0
	v_fma_f64 v[17:18], v[17:18], v[19:20], v[17:18]
	v_mul_f64 v[19:20], v[21:22], v[17:18]
	v_fma_f64 v[15:16], -v[15:16], v[19:20], v[21:22]
	v_div_fmas_f64 v[15:16], v[15:16], v[17:18], v[19:20]
	v_div_fixup_f64 v[15:16], v[15:16], v[0:1], v[2:3]
	v_fma_f64 v[0:1], v[2:3], v[15:16], v[0:1]
	v_div_scale_f64 v[2:3], null, v[0:1], v[0:1], 1.0
	v_rcp_f64_e32 v[17:18], v[2:3]
	v_fma_f64 v[19:20], -v[2:3], v[17:18], 1.0
	v_fma_f64 v[17:18], v[17:18], v[19:20], v[17:18]
	v_fma_f64 v[19:20], -v[2:3], v[17:18], 1.0
	v_fma_f64 v[17:18], v[17:18], v[19:20], v[17:18]
	v_div_scale_f64 v[19:20], vcc_lo, 1.0, v[0:1], 1.0
	v_mul_f64 v[21:22], v[19:20], v[17:18]
	v_fma_f64 v[2:3], -v[2:3], v[21:22], v[19:20]
	v_div_fmas_f64 v[2:3], v[2:3], v[17:18], v[21:22]
	v_div_fixup_f64 v[0:1], v[2:3], v[0:1], 1.0
	v_mul_f64 v[2:3], v[15:16], -v[0:1]
.LBB120_945:
	s_or_b32 exec_lo, exec_lo, s16
.LBB120_946:
	s_or_b32 exec_lo, exec_lo, s4
	s_mov_b32 s4, exec_lo
	v_cmpx_ne_u32_e64 v14, v9
	s_xor_b32 s4, exec_lo, s4
	s_cbranch_execz .LBB120_952
; %bb.947:
	s_mov_b32 s16, exec_lo
	v_cmpx_eq_u32_e32 39, v14
	s_cbranch_execz .LBB120_951
; %bb.948:
	v_cmp_ne_u32_e32 vcc_lo, 39, v9
	s_xor_b32 s17, s20, -1
	s_and_b32 s57, s17, vcc_lo
	s_and_saveexec_b32 s17, s57
	s_cbranch_execz .LBB120_950
; %bb.949:
	v_ashrrev_i32_e32 v10, 31, v9
	v_lshlrev_b64 v[14:15], 2, v[9:10]
	v_add_co_u32 v14, vcc_lo, v7, v14
	v_add_co_ci_u32_e64 v15, null, v8, v15, vcc_lo
	s_clause 0x1
	global_load_dword v4, v[14:15], off
	global_load_dword v10, v[7:8], off offset:156
	s_waitcnt vmcnt(1)
	global_store_dword v[7:8], v4, off offset:156
	s_waitcnt vmcnt(0)
	global_store_dword v[14:15], v10, off
.LBB120_950:
	s_or_b32 exec_lo, exec_lo, s17
	v_mov_b32_e32 v14, v9
	v_mov_b32_e32 v10, v9
.LBB120_951:
	s_or_b32 exec_lo, exec_lo, s16
.LBB120_952:
	s_andn2_saveexec_b32 s4, s4
	s_cbranch_execz .LBB120_954
; %bb.953:
	v_mov_b32_e32 v4, s39
	v_mov_b32_e32 v14, s37
	;; [unrolled: 1-line block ×3, first 2 shown]
	s_clause 0x7
	buffer_load_dword v15, v4, s[0:3], 0 offen
	buffer_load_dword v16, v4, s[0:3], 0 offen offset:4
	buffer_load_dword v17, v4, s[0:3], 0 offen offset:8
	buffer_load_dword v18, v4, s[0:3], 0 offen offset:12
	buffer_load_dword v19, v9, s[0:3], 0 offen
	buffer_load_dword v20, v9, s[0:3], 0 offen offset:4
	buffer_load_dword v21, v9, s[0:3], 0 offen offset:8
	buffer_load_dword v22, v9, s[0:3], 0 offen offset:12
	v_mov_b32_e32 v4, s36
	v_mov_b32_e32 v9, s35
	s_clause 0x7
	buffer_load_dword v23, v14, s[0:3], 0 offen
	buffer_load_dword v24, v14, s[0:3], 0 offen offset:4
	buffer_load_dword v25, v14, s[0:3], 0 offen offset:8
	buffer_load_dword v26, v14, s[0:3], 0 offen offset:12
	buffer_load_dword v27, v4, s[0:3], 0 offen
	buffer_load_dword v28, v4, s[0:3], 0 offen offset:4
	buffer_load_dword v29, v4, s[0:3], 0 offen offset:8
	buffer_load_dword v30, v4, s[0:3], 0 offen offset:12
	v_mov_b32_e32 v14, s33
	v_mov_b32_e32 v4, s34
	;; [unrolled: 11-line block ×9, first 2 shown]
	s_clause 0xb
	buffer_load_dword v87, v14, s[0:3], 0 offen
	buffer_load_dword v88, v14, s[0:3], 0 offen offset:4
	buffer_load_dword v89, v14, s[0:3], 0 offen offset:8
	buffer_load_dword v90, v14, s[0:3], 0 offen offset:12
	buffer_load_dword v91, v4, s[0:3], 0 offen
	buffer_load_dword v92, v4, s[0:3], 0 offen offset:4
	buffer_load_dword v93, v4, s[0:3], 0 offen offset:8
	buffer_load_dword v94, v4, s[0:3], 0 offen offset:12
	;; [unrolled: 4-line block ×3, first 2 shown]
	v_mov_b32_e32 v14, 39
	s_waitcnt vmcnt(62)
	ds_write2_b64 v11, v[15:16], v[17:18] offset0:80 offset1:81
	ds_write2_b64 v11, v[19:20], v[21:22] offset0:82 offset1:83
	;; [unrolled: 1-line block ×5, first 2 shown]
	s_waitcnt vmcnt(60)
	ds_write2_b64 v11, v[35:36], v[37:38] offset0:90 offset1:91
	s_waitcnt vmcnt(56)
	ds_write2_b64 v11, v[39:40], v[41:42] offset0:92 offset1:93
	;; [unrolled: 2-line block ×16, first 2 shown]
.LBB120_954:
	s_or_b32 exec_lo, exec_lo, s4
	s_mov_b32 s4, exec_lo
	s_waitcnt lgkmcnt(0)
	s_waitcnt_vscnt null, 0x0
	s_barrier
	buffer_gl0_inv
	v_cmpx_lt_i32_e32 39, v14
	s_cbranch_execz .LBB120_957
; %bb.955:
	s_clause 0x3
	buffer_load_dword v15, off, s[0:3], 0 offset:632
	buffer_load_dword v16, off, s[0:3], 0 offset:636
	;; [unrolled: 1-line block ×4, first 2 shown]
	v_add3_u32 v4, v13, 0, 0x280
	s_mov_b32 s80, 0
	s_waitcnt vmcnt(2)
	v_mul_f64 v[19:20], v[2:3], v[15:16]
	v_mul_f64 v[15:16], v[0:1], v[15:16]
	s_waitcnt vmcnt(0)
	v_fma_f64 v[0:1], v[0:1], v[17:18], -v[19:20]
	v_fma_f64 v[2:3], v[2:3], v[17:18], v[15:16]
	buffer_store_dword v0, off, s[0:3], 0 offset:624
	buffer_store_dword v1, off, s[0:3], 0 offset:628
	;; [unrolled: 1-line block ×4, first 2 shown]
.LBB120_956:                            ; =>This Inner Loop Header: Depth=1
	v_add_nc_u32_e32 v9, s80, v4
	v_mov_b32_e32 v75, s80
	s_addk_i32 s80, 0x70
	ds_read2_b64 v[15:18], v9 offset1:1
	ds_read2_b64 v[19:22], v9 offset0:2 offset1:3
	ds_read2_b64 v[23:26], v9 offset0:4 offset1:5
	;; [unrolled: 1-line block ×5, first 2 shown]
	s_cmpk_lg_i32 s80, 0x150
	s_waitcnt lgkmcnt(5)
	v_mul_f64 v[39:40], v[17:18], v[2:3]
	v_mul_f64 v[41:42], v[15:16], v[2:3]
	s_waitcnt lgkmcnt(4)
	v_mul_f64 v[43:44], v[21:22], v[2:3]
	v_mul_f64 v[45:46], v[19:20], v[2:3]
	;; [unrolled: 3-line block ×6, first 2 shown]
	s_clause 0x5
	buffer_load_dword v63, v75, s[0:3], 0 offen offset:640
	buffer_load_dword v64, v75, s[0:3], 0 offen offset:644
	;; [unrolled: 1-line block ×4, first 2 shown]
	buffer_load_dword v2, off, s[0:3], 0 offset:632
	buffer_load_dword v3, off, s[0:3], 0 offset:636
	v_fma_f64 v[39:40], v[15:16], v[0:1], -v[39:40]
	v_fma_f64 v[41:42], v[17:18], v[0:1], v[41:42]
	v_fma_f64 v[19:20], v[19:20], v[0:1], -v[43:44]
	v_fma_f64 v[21:22], v[21:22], v[0:1], v[45:46]
	;; [unrolled: 2-line block ×6, first 2 shown]
	s_clause 0x19
	buffer_load_dword v0, off, s[0:3], 0 offset:624
	buffer_load_dword v1, off, s[0:3], 0 offset:628
	buffer_load_dword v43, v75, s[0:3], 0 offen offset:656
	buffer_load_dword v44, v75, s[0:3], 0 offen offset:660
	;; [unrolled: 1-line block ×24, first 2 shown]
	ds_read2_b64 v[15:18], v9 offset0:12 offset1:13
	s_waitcnt vmcnt(30)
	v_add_f64 v[39:40], v[63:64], -v[39:40]
	s_waitcnt vmcnt(28)
	v_add_f64 v[41:42], v[65:66], -v[41:42]
	s_waitcnt vmcnt(26) lgkmcnt(0)
	v_mul_f64 v[71:72], v[17:18], v[2:3]
	v_mul_f64 v[73:74], v[15:16], v[2:3]
	s_waitcnt vmcnt(20)
	v_add_f64 v[21:22], v[45:46], -v[21:22]
	v_add_f64 v[19:20], v[43:44], -v[19:20]
	s_waitcnt vmcnt(18)
	v_add_f64 v[23:24], v[47:48], -v[23:24]
	buffer_store_dword v39, v75, s[0:3], 0 offen offset:640
	buffer_store_dword v40, v75, s[0:3], 0 offen offset:644
	;; [unrolled: 1-line block ×6, first 2 shown]
	v_fma_f64 v[15:16], v[15:16], v[0:1], -v[71:72]
	v_fma_f64 v[17:18], v[17:18], v[0:1], v[73:74]
	s_waitcnt vmcnt(16)
	v_add_f64 v[25:26], v[49:50], -v[25:26]
	s_waitcnt vmcnt(14)
	v_add_f64 v[27:28], v[51:52], -v[27:28]
	;; [unrolled: 2-line block ×9, first 2 shown]
	buffer_store_dword v21, v75, s[0:3], 0 offen offset:664
	buffer_store_dword v22, v75, s[0:3], 0 offen offset:668
	;; [unrolled: 1-line block ×22, first 2 shown]
	s_cbranch_scc1 .LBB120_956
.LBB120_957:
	s_or_b32 exec_lo, exec_lo, s4
	v_mov_b32_e32 v3, s39
	s_waitcnt_vscnt null, 0x0
	s_barrier
	buffer_gl0_inv
	v_lshl_add_u32 v4, v14, 4, v11
	s_clause 0x3
	buffer_load_dword v0, v3, s[0:3], 0 offen
	buffer_load_dword v1, v3, s[0:3], 0 offen offset:4
	buffer_load_dword v2, v3, s[0:3], 0 offen offset:8
	;; [unrolled: 1-line block ×3, first 2 shown]
	v_mov_b32_e32 v9, 40
	s_cmp_lt_i32 s56, 42
	s_waitcnt vmcnt(0)
	ds_write2_b64 v4, v[0:1], v[2:3] offset1:1
	s_waitcnt lgkmcnt(0)
	s_barrier
	buffer_gl0_inv
	ds_read2_b64 v[0:3], v11 offset0:80 offset1:81
	s_cbranch_scc1 .LBB120_960
; %bb.958:
	v_add3_u32 v4, v13, 0, 0x290
	v_mov_b32_e32 v9, 40
	s_mov_b32 s16, 41
	s_inst_prefetch 0x1
	.p2align	6
.LBB120_959:                            ; =>This Inner Loop Header: Depth=1
	s_waitcnt lgkmcnt(0)
	v_cmp_gt_f64_e32 vcc_lo, 0, v[2:3]
	v_cmp_gt_f64_e64 s4, 0, v[0:1]
	ds_read2_b64 v[15:18], v4 offset1:1
	v_xor_b32_e32 v20, 0x80000000, v1
	v_xor_b32_e32 v22, 0x80000000, v3
	v_mov_b32_e32 v19, v0
	v_mov_b32_e32 v21, v2
	v_add_nc_u32_e32 v4, 16, v4
	s_waitcnt lgkmcnt(0)
	v_xor_b32_e32 v24, 0x80000000, v18
	v_cndmask_b32_e64 v20, v1, v20, s4
	v_cndmask_b32_e32 v22, v3, v22, vcc_lo
	v_cmp_gt_f64_e32 vcc_lo, 0, v[17:18]
	v_cmp_gt_f64_e64 s4, 0, v[15:16]
	v_mov_b32_e32 v23, v17
	v_add_f64 v[19:20], v[19:20], v[21:22]
	v_xor_b32_e32 v22, 0x80000000, v16
	v_mov_b32_e32 v21, v15
	v_cndmask_b32_e32 v24, v18, v24, vcc_lo
	v_cndmask_b32_e64 v22, v16, v22, s4
	v_add_f64 v[21:22], v[21:22], v[23:24]
	v_cmp_lt_f64_e32 vcc_lo, v[19:20], v[21:22]
	v_cndmask_b32_e32 v1, v1, v16, vcc_lo
	v_cndmask_b32_e32 v0, v0, v15, vcc_lo
	;; [unrolled: 1-line block ×4, first 2 shown]
	v_cndmask_b32_e64 v9, v9, s16, vcc_lo
	s_add_i32 s16, s16, 1
	s_cmp_lg_u32 s56, s16
	s_cbranch_scc1 .LBB120_959
.LBB120_960:
	s_inst_prefetch 0x2
	s_waitcnt lgkmcnt(0)
	v_cmp_eq_f64_e32 vcc_lo, 0, v[0:1]
	v_cmp_eq_f64_e64 s4, 0, v[2:3]
	s_and_b32 s4, vcc_lo, s4
	s_and_saveexec_b32 s16, s4
	s_xor_b32 s4, exec_lo, s16
; %bb.961:
	v_cmp_ne_u32_e32 vcc_lo, 0, v12
	v_cndmask_b32_e32 v12, 41, v12, vcc_lo
; %bb.962:
	s_andn2_saveexec_b32 s4, s4
	s_cbranch_execz .LBB120_968
; %bb.963:
	v_cmp_ngt_f64_e64 s16, |v[0:1]|, |v[2:3]|
	s_and_saveexec_b32 s17, s16
	s_xor_b32 s16, exec_lo, s17
	s_cbranch_execz .LBB120_965
; %bb.964:
	v_div_scale_f64 v[15:16], null, v[2:3], v[2:3], v[0:1]
	v_div_scale_f64 v[21:22], vcc_lo, v[0:1], v[2:3], v[0:1]
	v_rcp_f64_e32 v[17:18], v[15:16]
	v_fma_f64 v[19:20], -v[15:16], v[17:18], 1.0
	v_fma_f64 v[17:18], v[17:18], v[19:20], v[17:18]
	v_fma_f64 v[19:20], -v[15:16], v[17:18], 1.0
	v_fma_f64 v[17:18], v[17:18], v[19:20], v[17:18]
	v_mul_f64 v[19:20], v[21:22], v[17:18]
	v_fma_f64 v[15:16], -v[15:16], v[19:20], v[21:22]
	v_div_fmas_f64 v[15:16], v[15:16], v[17:18], v[19:20]
	v_div_fixup_f64 v[15:16], v[15:16], v[2:3], v[0:1]
	v_fma_f64 v[0:1], v[0:1], v[15:16], v[2:3]
	v_div_scale_f64 v[2:3], null, v[0:1], v[0:1], 1.0
	v_rcp_f64_e32 v[17:18], v[2:3]
	v_fma_f64 v[19:20], -v[2:3], v[17:18], 1.0
	v_fma_f64 v[17:18], v[17:18], v[19:20], v[17:18]
	v_fma_f64 v[19:20], -v[2:3], v[17:18], 1.0
	v_fma_f64 v[17:18], v[17:18], v[19:20], v[17:18]
	v_div_scale_f64 v[19:20], vcc_lo, 1.0, v[0:1], 1.0
	v_mul_f64 v[21:22], v[19:20], v[17:18]
	v_fma_f64 v[2:3], -v[2:3], v[21:22], v[19:20]
	v_div_fmas_f64 v[2:3], v[2:3], v[17:18], v[21:22]
	v_div_fixup_f64 v[2:3], v[2:3], v[0:1], 1.0
	v_mul_f64 v[0:1], v[15:16], v[2:3]
	v_xor_b32_e32 v3, 0x80000000, v3
.LBB120_965:
	s_andn2_saveexec_b32 s16, s16
	s_cbranch_execz .LBB120_967
; %bb.966:
	v_div_scale_f64 v[15:16], null, v[0:1], v[0:1], v[2:3]
	v_div_scale_f64 v[21:22], vcc_lo, v[2:3], v[0:1], v[2:3]
	v_rcp_f64_e32 v[17:18], v[15:16]
	v_fma_f64 v[19:20], -v[15:16], v[17:18], 1.0
	v_fma_f64 v[17:18], v[17:18], v[19:20], v[17:18]
	v_fma_f64 v[19:20], -v[15:16], v[17:18], 1.0
	v_fma_f64 v[17:18], v[17:18], v[19:20], v[17:18]
	v_mul_f64 v[19:20], v[21:22], v[17:18]
	v_fma_f64 v[15:16], -v[15:16], v[19:20], v[21:22]
	v_div_fmas_f64 v[15:16], v[15:16], v[17:18], v[19:20]
	v_div_fixup_f64 v[15:16], v[15:16], v[0:1], v[2:3]
	v_fma_f64 v[0:1], v[2:3], v[15:16], v[0:1]
	v_div_scale_f64 v[2:3], null, v[0:1], v[0:1], 1.0
	v_rcp_f64_e32 v[17:18], v[2:3]
	v_fma_f64 v[19:20], -v[2:3], v[17:18], 1.0
	v_fma_f64 v[17:18], v[17:18], v[19:20], v[17:18]
	v_fma_f64 v[19:20], -v[2:3], v[17:18], 1.0
	v_fma_f64 v[17:18], v[17:18], v[19:20], v[17:18]
	v_div_scale_f64 v[19:20], vcc_lo, 1.0, v[0:1], 1.0
	v_mul_f64 v[21:22], v[19:20], v[17:18]
	v_fma_f64 v[2:3], -v[2:3], v[21:22], v[19:20]
	v_div_fmas_f64 v[2:3], v[2:3], v[17:18], v[21:22]
	v_div_fixup_f64 v[0:1], v[2:3], v[0:1], 1.0
	v_mul_f64 v[2:3], v[15:16], -v[0:1]
.LBB120_967:
	s_or_b32 exec_lo, exec_lo, s16
.LBB120_968:
	s_or_b32 exec_lo, exec_lo, s4
	s_mov_b32 s4, exec_lo
	v_cmpx_ne_u32_e64 v14, v9
	s_xor_b32 s4, exec_lo, s4
	s_cbranch_execz .LBB120_974
; %bb.969:
	s_mov_b32 s16, exec_lo
	v_cmpx_eq_u32_e32 40, v14
	s_cbranch_execz .LBB120_973
; %bb.970:
	v_cmp_ne_u32_e32 vcc_lo, 40, v9
	s_xor_b32 s17, s20, -1
	s_and_b32 s57, s17, vcc_lo
	s_and_saveexec_b32 s17, s57
	s_cbranch_execz .LBB120_972
; %bb.971:
	v_ashrrev_i32_e32 v10, 31, v9
	v_lshlrev_b64 v[14:15], 2, v[9:10]
	v_add_co_u32 v14, vcc_lo, v7, v14
	v_add_co_ci_u32_e64 v15, null, v8, v15, vcc_lo
	s_clause 0x1
	global_load_dword v4, v[14:15], off
	global_load_dword v10, v[7:8], off offset:160
	s_waitcnt vmcnt(1)
	global_store_dword v[7:8], v4, off offset:160
	s_waitcnt vmcnt(0)
	global_store_dword v[14:15], v10, off
.LBB120_972:
	s_or_b32 exec_lo, exec_lo, s17
	v_mov_b32_e32 v14, v9
	v_mov_b32_e32 v10, v9
.LBB120_973:
	s_or_b32 exec_lo, exec_lo, s16
.LBB120_974:
	s_andn2_saveexec_b32 s4, s4
	s_cbranch_execz .LBB120_976
; %bb.975:
	v_mov_b32_e32 v4, s38
	v_mov_b32_e32 v14, s36
	;; [unrolled: 1-line block ×3, first 2 shown]
	s_clause 0x7
	buffer_load_dword v15, v4, s[0:3], 0 offen
	buffer_load_dword v16, v4, s[0:3], 0 offen offset:4
	buffer_load_dword v17, v4, s[0:3], 0 offen offset:8
	buffer_load_dword v18, v4, s[0:3], 0 offen offset:12
	buffer_load_dword v19, v9, s[0:3], 0 offen
	buffer_load_dword v20, v9, s[0:3], 0 offen offset:4
	buffer_load_dword v21, v9, s[0:3], 0 offen offset:8
	buffer_load_dword v22, v9, s[0:3], 0 offen offset:12
	v_mov_b32_e32 v4, s35
	v_mov_b32_e32 v9, s34
	s_clause 0x7
	buffer_load_dword v23, v14, s[0:3], 0 offen
	buffer_load_dword v24, v14, s[0:3], 0 offen offset:4
	buffer_load_dword v25, v14, s[0:3], 0 offen offset:8
	buffer_load_dword v26, v14, s[0:3], 0 offen offset:12
	buffer_load_dword v27, v4, s[0:3], 0 offen
	buffer_load_dword v28, v4, s[0:3], 0 offen offset:4
	buffer_load_dword v29, v4, s[0:3], 0 offen offset:8
	buffer_load_dword v30, v4, s[0:3], 0 offen offset:12
	v_mov_b32_e32 v14, s31
	v_mov_b32_e32 v4, s33
	s_clause 0x7
	buffer_load_dword v31, v9, s[0:3], 0 offen
	buffer_load_dword v32, v9, s[0:3], 0 offen offset:4
	buffer_load_dword v33, v9, s[0:3], 0 offen offset:8
	buffer_load_dword v34, v9, s[0:3], 0 offen offset:12
	buffer_load_dword v35, v4, s[0:3], 0 offen
	buffer_load_dword v36, v4, s[0:3], 0 offen offset:4
	buffer_load_dword v37, v4, s[0:3], 0 offen offset:8
	buffer_load_dword v38, v4, s[0:3], 0 offen offset:12
	v_mov_b32_e32 v4, s30
	v_mov_b32_e32 v9, s29
	s_clause 0x7
	buffer_load_dword v39, v14, s[0:3], 0 offen
	buffer_load_dword v40, v14, s[0:3], 0 offen offset:4
	buffer_load_dword v41, v14, s[0:3], 0 offen offset:8
	buffer_load_dword v42, v14, s[0:3], 0 offen offset:12
	buffer_load_dword v43, v4, s[0:3], 0 offen
	buffer_load_dword v44, v4, s[0:3], 0 offen offset:4
	buffer_load_dword v45, v4, s[0:3], 0 offen offset:8
	buffer_load_dword v46, v4, s[0:3], 0 offen offset:12
	v_mov_b32_e32 v14, s27
	v_mov_b32_e32 v4, s28
	s_clause 0x7
	buffer_load_dword v47, v9, s[0:3], 0 offen
	buffer_load_dword v48, v9, s[0:3], 0 offen offset:4
	buffer_load_dword v49, v9, s[0:3], 0 offen offset:8
	buffer_load_dword v50, v9, s[0:3], 0 offen offset:12
	buffer_load_dword v51, v4, s[0:3], 0 offen
	buffer_load_dword v52, v4, s[0:3], 0 offen offset:4
	buffer_load_dword v53, v4, s[0:3], 0 offen offset:8
	buffer_load_dword v54, v4, s[0:3], 0 offen offset:12
	v_mov_b32_e32 v4, s26
	v_mov_b32_e32 v9, s25
	s_clause 0x7
	buffer_load_dword v55, v14, s[0:3], 0 offen
	buffer_load_dword v56, v14, s[0:3], 0 offen offset:4
	buffer_load_dword v57, v14, s[0:3], 0 offen offset:8
	buffer_load_dword v58, v14, s[0:3], 0 offen offset:12
	buffer_load_dword v59, v4, s[0:3], 0 offen
	buffer_load_dword v60, v4, s[0:3], 0 offen offset:4
	buffer_load_dword v61, v4, s[0:3], 0 offen offset:8
	buffer_load_dword v62, v4, s[0:3], 0 offen offset:12
	v_mov_b32_e32 v14, s23
	v_mov_b32_e32 v4, s24
	s_clause 0x7
	buffer_load_dword v63, v9, s[0:3], 0 offen
	buffer_load_dword v64, v9, s[0:3], 0 offen offset:4
	buffer_load_dword v65, v9, s[0:3], 0 offen offset:8
	buffer_load_dword v66, v9, s[0:3], 0 offen offset:12
	buffer_load_dword v67, v4, s[0:3], 0 offen
	buffer_load_dword v68, v4, s[0:3], 0 offen offset:4
	buffer_load_dword v69, v4, s[0:3], 0 offen offset:8
	buffer_load_dword v70, v4, s[0:3], 0 offen offset:12
	v_mov_b32_e32 v4, s22
	v_mov_b32_e32 v9, s19
	s_clause 0x7
	buffer_load_dword v71, v14, s[0:3], 0 offen
	buffer_load_dword v72, v14, s[0:3], 0 offen offset:4
	buffer_load_dword v73, v14, s[0:3], 0 offen offset:8
	buffer_load_dword v74, v14, s[0:3], 0 offen offset:12
	buffer_load_dword v75, v4, s[0:3], 0 offen
	buffer_load_dword v76, v4, s[0:3], 0 offen offset:4
	buffer_load_dword v77, v4, s[0:3], 0 offen offset:8
	buffer_load_dword v78, v4, s[0:3], 0 offen offset:12
	v_mov_b32_e32 v14, s7
	v_mov_b32_e32 v4, s18
	s_clause 0x7
	buffer_load_dword v79, v9, s[0:3], 0 offen
	buffer_load_dword v80, v9, s[0:3], 0 offen offset:4
	buffer_load_dword v81, v9, s[0:3], 0 offen offset:8
	;; [unrolled: 1-line block ×3, first 2 shown]
	buffer_load_dword v83, v4, s[0:3], 0 offen
	buffer_load_dword v84, v4, s[0:3], 0 offen offset:4
	buffer_load_dword v85, v4, s[0:3], 0 offen offset:8
	;; [unrolled: 1-line block ×3, first 2 shown]
	v_mov_b32_e32 v4, s5
	s_clause 0x7
	buffer_load_dword v87, v14, s[0:3], 0 offen
	buffer_load_dword v88, v14, s[0:3], 0 offen offset:4
	buffer_load_dword v89, v14, s[0:3], 0 offen offset:8
	;; [unrolled: 1-line block ×3, first 2 shown]
	buffer_load_dword v91, v4, s[0:3], 0 offen
	buffer_load_dword v92, v4, s[0:3], 0 offen offset:4
	buffer_load_dword v93, v4, s[0:3], 0 offen offset:8
	;; [unrolled: 1-line block ×3, first 2 shown]
	v_mov_b32_e32 v14, 40
	s_waitcnt vmcnt(62)
	ds_write2_b64 v11, v[15:16], v[17:18] offset0:82 offset1:83
	ds_write2_b64 v11, v[19:20], v[21:22] offset0:84 offset1:85
	;; [unrolled: 1-line block ×4, first 2 shown]
	s_waitcnt vmcnt(60)
	ds_write2_b64 v11, v[31:32], v[33:34] offset0:90 offset1:91
	s_waitcnt vmcnt(56)
	ds_write2_b64 v11, v[35:36], v[37:38] offset0:92 offset1:93
	;; [unrolled: 2-line block ×16, first 2 shown]
.LBB120_976:
	s_or_b32 exec_lo, exec_lo, s4
	s_mov_b32 s4, exec_lo
	s_waitcnt lgkmcnt(0)
	s_waitcnt_vscnt null, 0x0
	s_barrier
	buffer_gl0_inv
	v_cmpx_lt_i32_e32 40, v14
	s_cbranch_execz .LBB120_979
; %bb.977:
	s_clause 0x3
	buffer_load_dword v15, off, s[0:3], 0 offset:648
	buffer_load_dword v16, off, s[0:3], 0 offset:652
	;; [unrolled: 1-line block ×4, first 2 shown]
	v_add3_u32 v4, v13, 0, 0x290
	s_mov_b32 s80, 0
	s_waitcnt vmcnt(2)
	v_mul_f64 v[19:20], v[2:3], v[15:16]
	v_mul_f64 v[15:16], v[0:1], v[15:16]
	s_waitcnt vmcnt(0)
	v_fma_f64 v[0:1], v[0:1], v[17:18], -v[19:20]
	v_fma_f64 v[2:3], v[2:3], v[17:18], v[15:16]
	buffer_store_dword v0, off, s[0:3], 0 offset:640
	buffer_store_dword v1, off, s[0:3], 0 offset:644
	;; [unrolled: 1-line block ×4, first 2 shown]
.LBB120_978:                            ; =>This Inner Loop Header: Depth=1
	v_mov_b32_e32 v9, s80
	v_add_nc_u32_e32 v31, s80, v4
	s_addk_i32 s80, 0x50
	s_clause 0x13
	buffer_load_dword v35, v9, s[0:3], 0 offen offset:656
	buffer_load_dword v36, v9, s[0:3], 0 offen offset:660
	;; [unrolled: 1-line block ×20, first 2 shown]
	ds_read2_b64 v[15:18], v31 offset1:1
	ds_read2_b64 v[19:22], v31 offset0:2 offset1:3
	ds_read2_b64 v[23:26], v31 offset0:4 offset1:5
	;; [unrolled: 1-line block ×4, first 2 shown]
	s_cmpk_lg_i32 s80, 0x140
	s_waitcnt lgkmcnt(4)
	v_mul_f64 v[55:56], v[17:18], v[2:3]
	v_mul_f64 v[57:58], v[15:16], v[2:3]
	s_waitcnt lgkmcnt(3)
	v_mul_f64 v[59:60], v[21:22], v[2:3]
	v_mul_f64 v[61:62], v[19:20], v[2:3]
	s_waitcnt lgkmcnt(2)
	v_mul_f64 v[63:64], v[25:26], v[2:3]
	v_mul_f64 v[65:66], v[23:24], v[2:3]
	s_waitcnt lgkmcnt(1)
	v_mul_f64 v[67:68], v[29:30], v[2:3]
	v_mul_f64 v[69:70], v[27:28], v[2:3]
	s_waitcnt lgkmcnt(0)
	v_mul_f64 v[71:72], v[33:34], v[2:3]
	v_mul_f64 v[73:74], v[31:32], v[2:3]
	v_fma_f64 v[15:16], v[15:16], v[0:1], -v[55:56]
	v_fma_f64 v[17:18], v[17:18], v[0:1], v[57:58]
	v_fma_f64 v[19:20], v[19:20], v[0:1], -v[59:60]
	v_fma_f64 v[21:22], v[21:22], v[0:1], v[61:62]
	;; [unrolled: 2-line block ×5, first 2 shown]
	s_waitcnt vmcnt(18)
	v_add_f64 v[15:16], v[35:36], -v[15:16]
	s_waitcnt vmcnt(16)
	v_add_f64 v[17:18], v[37:38], -v[17:18]
	;; [unrolled: 2-line block ×10, first 2 shown]
	buffer_store_dword v15, v9, s[0:3], 0 offen offset:656
	buffer_store_dword v16, v9, s[0:3], 0 offen offset:660
	;; [unrolled: 1-line block ×20, first 2 shown]
	s_cbranch_scc1 .LBB120_978
.LBB120_979:
	s_or_b32 exec_lo, exec_lo, s4
	v_mov_b32_e32 v3, s38
	s_waitcnt_vscnt null, 0x0
	s_barrier
	buffer_gl0_inv
	v_lshl_add_u32 v4, v14, 4, v11
	s_clause 0x3
	buffer_load_dword v0, v3, s[0:3], 0 offen
	buffer_load_dword v1, v3, s[0:3], 0 offen offset:4
	buffer_load_dword v2, v3, s[0:3], 0 offen offset:8
	buffer_load_dword v3, v3, s[0:3], 0 offen offset:12
	v_mov_b32_e32 v9, 41
	s_cmp_lt_i32 s56, 43
	s_waitcnt vmcnt(0)
	ds_write2_b64 v4, v[0:1], v[2:3] offset1:1
	s_waitcnt lgkmcnt(0)
	s_barrier
	buffer_gl0_inv
	ds_read2_b64 v[0:3], v11 offset0:82 offset1:83
	s_cbranch_scc1 .LBB120_982
; %bb.980:
	v_add3_u32 v4, v13, 0, 0x2a0
	v_mov_b32_e32 v9, 41
	s_mov_b32 s16, 42
	s_inst_prefetch 0x1
	.p2align	6
.LBB120_981:                            ; =>This Inner Loop Header: Depth=1
	s_waitcnt lgkmcnt(0)
	v_cmp_gt_f64_e32 vcc_lo, 0, v[2:3]
	v_cmp_gt_f64_e64 s4, 0, v[0:1]
	ds_read2_b64 v[15:18], v4 offset1:1
	v_xor_b32_e32 v20, 0x80000000, v1
	v_xor_b32_e32 v22, 0x80000000, v3
	v_mov_b32_e32 v19, v0
	v_mov_b32_e32 v21, v2
	v_add_nc_u32_e32 v4, 16, v4
	s_waitcnt lgkmcnt(0)
	v_xor_b32_e32 v24, 0x80000000, v18
	v_cndmask_b32_e64 v20, v1, v20, s4
	v_cndmask_b32_e32 v22, v3, v22, vcc_lo
	v_cmp_gt_f64_e32 vcc_lo, 0, v[17:18]
	v_cmp_gt_f64_e64 s4, 0, v[15:16]
	v_mov_b32_e32 v23, v17
	v_add_f64 v[19:20], v[19:20], v[21:22]
	v_xor_b32_e32 v22, 0x80000000, v16
	v_mov_b32_e32 v21, v15
	v_cndmask_b32_e32 v24, v18, v24, vcc_lo
	v_cndmask_b32_e64 v22, v16, v22, s4
	v_add_f64 v[21:22], v[21:22], v[23:24]
	v_cmp_lt_f64_e32 vcc_lo, v[19:20], v[21:22]
	v_cndmask_b32_e32 v1, v1, v16, vcc_lo
	v_cndmask_b32_e32 v0, v0, v15, vcc_lo
	;; [unrolled: 1-line block ×4, first 2 shown]
	v_cndmask_b32_e64 v9, v9, s16, vcc_lo
	s_add_i32 s16, s16, 1
	s_cmp_lg_u32 s56, s16
	s_cbranch_scc1 .LBB120_981
.LBB120_982:
	s_inst_prefetch 0x2
	s_waitcnt lgkmcnt(0)
	v_cmp_eq_f64_e32 vcc_lo, 0, v[0:1]
	v_cmp_eq_f64_e64 s4, 0, v[2:3]
	s_and_b32 s4, vcc_lo, s4
	s_and_saveexec_b32 s16, s4
	s_xor_b32 s4, exec_lo, s16
; %bb.983:
	v_cmp_ne_u32_e32 vcc_lo, 0, v12
	v_cndmask_b32_e32 v12, 42, v12, vcc_lo
; %bb.984:
	s_andn2_saveexec_b32 s4, s4
	s_cbranch_execz .LBB120_990
; %bb.985:
	v_cmp_ngt_f64_e64 s16, |v[0:1]|, |v[2:3]|
	s_and_saveexec_b32 s17, s16
	s_xor_b32 s16, exec_lo, s17
	s_cbranch_execz .LBB120_987
; %bb.986:
	v_div_scale_f64 v[15:16], null, v[2:3], v[2:3], v[0:1]
	v_div_scale_f64 v[21:22], vcc_lo, v[0:1], v[2:3], v[0:1]
	v_rcp_f64_e32 v[17:18], v[15:16]
	v_fma_f64 v[19:20], -v[15:16], v[17:18], 1.0
	v_fma_f64 v[17:18], v[17:18], v[19:20], v[17:18]
	v_fma_f64 v[19:20], -v[15:16], v[17:18], 1.0
	v_fma_f64 v[17:18], v[17:18], v[19:20], v[17:18]
	v_mul_f64 v[19:20], v[21:22], v[17:18]
	v_fma_f64 v[15:16], -v[15:16], v[19:20], v[21:22]
	v_div_fmas_f64 v[15:16], v[15:16], v[17:18], v[19:20]
	v_div_fixup_f64 v[15:16], v[15:16], v[2:3], v[0:1]
	v_fma_f64 v[0:1], v[0:1], v[15:16], v[2:3]
	v_div_scale_f64 v[2:3], null, v[0:1], v[0:1], 1.0
	v_rcp_f64_e32 v[17:18], v[2:3]
	v_fma_f64 v[19:20], -v[2:3], v[17:18], 1.0
	v_fma_f64 v[17:18], v[17:18], v[19:20], v[17:18]
	v_fma_f64 v[19:20], -v[2:3], v[17:18], 1.0
	v_fma_f64 v[17:18], v[17:18], v[19:20], v[17:18]
	v_div_scale_f64 v[19:20], vcc_lo, 1.0, v[0:1], 1.0
	v_mul_f64 v[21:22], v[19:20], v[17:18]
	v_fma_f64 v[2:3], -v[2:3], v[21:22], v[19:20]
	v_div_fmas_f64 v[2:3], v[2:3], v[17:18], v[21:22]
	v_div_fixup_f64 v[2:3], v[2:3], v[0:1], 1.0
	v_mul_f64 v[0:1], v[15:16], v[2:3]
	v_xor_b32_e32 v3, 0x80000000, v3
.LBB120_987:
	s_andn2_saveexec_b32 s16, s16
	s_cbranch_execz .LBB120_989
; %bb.988:
	v_div_scale_f64 v[15:16], null, v[0:1], v[0:1], v[2:3]
	v_div_scale_f64 v[21:22], vcc_lo, v[2:3], v[0:1], v[2:3]
	v_rcp_f64_e32 v[17:18], v[15:16]
	v_fma_f64 v[19:20], -v[15:16], v[17:18], 1.0
	v_fma_f64 v[17:18], v[17:18], v[19:20], v[17:18]
	v_fma_f64 v[19:20], -v[15:16], v[17:18], 1.0
	v_fma_f64 v[17:18], v[17:18], v[19:20], v[17:18]
	v_mul_f64 v[19:20], v[21:22], v[17:18]
	v_fma_f64 v[15:16], -v[15:16], v[19:20], v[21:22]
	v_div_fmas_f64 v[15:16], v[15:16], v[17:18], v[19:20]
	v_div_fixup_f64 v[15:16], v[15:16], v[0:1], v[2:3]
	v_fma_f64 v[0:1], v[2:3], v[15:16], v[0:1]
	v_div_scale_f64 v[2:3], null, v[0:1], v[0:1], 1.0
	v_rcp_f64_e32 v[17:18], v[2:3]
	v_fma_f64 v[19:20], -v[2:3], v[17:18], 1.0
	v_fma_f64 v[17:18], v[17:18], v[19:20], v[17:18]
	v_fma_f64 v[19:20], -v[2:3], v[17:18], 1.0
	v_fma_f64 v[17:18], v[17:18], v[19:20], v[17:18]
	v_div_scale_f64 v[19:20], vcc_lo, 1.0, v[0:1], 1.0
	v_mul_f64 v[21:22], v[19:20], v[17:18]
	v_fma_f64 v[2:3], -v[2:3], v[21:22], v[19:20]
	v_div_fmas_f64 v[2:3], v[2:3], v[17:18], v[21:22]
	v_div_fixup_f64 v[0:1], v[2:3], v[0:1], 1.0
	v_mul_f64 v[2:3], v[15:16], -v[0:1]
.LBB120_989:
	s_or_b32 exec_lo, exec_lo, s16
.LBB120_990:
	s_or_b32 exec_lo, exec_lo, s4
	s_mov_b32 s4, exec_lo
	v_cmpx_ne_u32_e64 v14, v9
	s_xor_b32 s4, exec_lo, s4
	s_cbranch_execz .LBB120_996
; %bb.991:
	s_mov_b32 s16, exec_lo
	v_cmpx_eq_u32_e32 41, v14
	s_cbranch_execz .LBB120_995
; %bb.992:
	v_cmp_ne_u32_e32 vcc_lo, 41, v9
	s_xor_b32 s17, s20, -1
	s_and_b32 s57, s17, vcc_lo
	s_and_saveexec_b32 s17, s57
	s_cbranch_execz .LBB120_994
; %bb.993:
	v_ashrrev_i32_e32 v10, 31, v9
	v_lshlrev_b64 v[14:15], 2, v[9:10]
	v_add_co_u32 v14, vcc_lo, v7, v14
	v_add_co_ci_u32_e64 v15, null, v8, v15, vcc_lo
	s_clause 0x1
	global_load_dword v4, v[14:15], off
	global_load_dword v10, v[7:8], off offset:164
	s_waitcnt vmcnt(1)
	global_store_dword v[7:8], v4, off offset:164
	s_waitcnt vmcnt(0)
	global_store_dword v[14:15], v10, off
.LBB120_994:
	s_or_b32 exec_lo, exec_lo, s17
	v_mov_b32_e32 v14, v9
	v_mov_b32_e32 v10, v9
.LBB120_995:
	s_or_b32 exec_lo, exec_lo, s16
.LBB120_996:
	s_andn2_saveexec_b32 s4, s4
	s_cbranch_execz .LBB120_998
; %bb.997:
	v_mov_b32_e32 v4, s37
	v_mov_b32_e32 v9, s36
	;; [unrolled: 1-line block ×3, first 2 shown]
	s_clause 0x7
	buffer_load_dword v15, v4, s[0:3], 0 offen
	buffer_load_dword v16, v4, s[0:3], 0 offen offset:4
	buffer_load_dword v17, v4, s[0:3], 0 offen offset:8
	buffer_load_dword v18, v4, s[0:3], 0 offen offset:12
	buffer_load_dword v19, v9, s[0:3], 0 offen
	buffer_load_dword v20, v9, s[0:3], 0 offen offset:4
	buffer_load_dword v21, v9, s[0:3], 0 offen offset:8
	buffer_load_dword v22, v9, s[0:3], 0 offen offset:12
	v_mov_b32_e32 v9, s33
	v_mov_b32_e32 v4, s34
	s_clause 0x7
	buffer_load_dword v23, v14, s[0:3], 0 offen
	buffer_load_dword v24, v14, s[0:3], 0 offen offset:4
	buffer_load_dword v25, v14, s[0:3], 0 offen offset:8
	buffer_load_dword v26, v14, s[0:3], 0 offen offset:12
	buffer_load_dword v27, v4, s[0:3], 0 offen
	buffer_load_dword v28, v4, s[0:3], 0 offen offset:4
	buffer_load_dword v29, v4, s[0:3], 0 offen offset:8
	buffer_load_dword v30, v4, s[0:3], 0 offen offset:12
	v_mov_b32_e32 v4, s31
	v_mov_b32_e32 v14, s30
	s_clause 0x7
	buffer_load_dword v31, v9, s[0:3], 0 offen
	buffer_load_dword v32, v9, s[0:3], 0 offen offset:4
	buffer_load_dword v33, v9, s[0:3], 0 offen offset:8
	buffer_load_dword v34, v9, s[0:3], 0 offen offset:12
	buffer_load_dword v35, v4, s[0:3], 0 offen
	buffer_load_dword v36, v4, s[0:3], 0 offen offset:4
	buffer_load_dword v37, v4, s[0:3], 0 offen offset:8
	buffer_load_dword v38, v4, s[0:3], 0 offen offset:12
	v_mov_b32_e32 v9, s28
	v_mov_b32_e32 v4, s29
	s_clause 0x7
	buffer_load_dword v39, v14, s[0:3], 0 offen
	buffer_load_dword v40, v14, s[0:3], 0 offen offset:4
	buffer_load_dword v41, v14, s[0:3], 0 offen offset:8
	buffer_load_dword v42, v14, s[0:3], 0 offen offset:12
	buffer_load_dword v43, v4, s[0:3], 0 offen
	buffer_load_dword v44, v4, s[0:3], 0 offen offset:4
	buffer_load_dword v45, v4, s[0:3], 0 offen offset:8
	buffer_load_dword v46, v4, s[0:3], 0 offen offset:12
	v_mov_b32_e32 v4, s27
	v_mov_b32_e32 v14, s26
	s_clause 0x7
	buffer_load_dword v47, v9, s[0:3], 0 offen
	buffer_load_dword v48, v9, s[0:3], 0 offen offset:4
	buffer_load_dword v49, v9, s[0:3], 0 offen offset:8
	buffer_load_dword v50, v9, s[0:3], 0 offen offset:12
	buffer_load_dword v51, v4, s[0:3], 0 offen
	buffer_load_dword v52, v4, s[0:3], 0 offen offset:4
	buffer_load_dword v53, v4, s[0:3], 0 offen offset:8
	buffer_load_dword v54, v4, s[0:3], 0 offen offset:12
	v_mov_b32_e32 v9, s24
	v_mov_b32_e32 v4, s25
	s_clause 0x7
	buffer_load_dword v55, v14, s[0:3], 0 offen
	buffer_load_dword v56, v14, s[0:3], 0 offen offset:4
	buffer_load_dword v57, v14, s[0:3], 0 offen offset:8
	buffer_load_dword v58, v14, s[0:3], 0 offen offset:12
	buffer_load_dword v59, v4, s[0:3], 0 offen
	buffer_load_dword v60, v4, s[0:3], 0 offen offset:4
	buffer_load_dword v61, v4, s[0:3], 0 offen offset:8
	buffer_load_dword v62, v4, s[0:3], 0 offen offset:12
	v_mov_b32_e32 v4, s23
	v_mov_b32_e32 v14, s22
	s_clause 0x7
	buffer_load_dword v63, v9, s[0:3], 0 offen
	buffer_load_dword v64, v9, s[0:3], 0 offen offset:4
	buffer_load_dword v65, v9, s[0:3], 0 offen offset:8
	buffer_load_dword v66, v9, s[0:3], 0 offen offset:12
	buffer_load_dword v67, v4, s[0:3], 0 offen
	buffer_load_dword v68, v4, s[0:3], 0 offen offset:4
	buffer_load_dword v69, v4, s[0:3], 0 offen offset:8
	buffer_load_dword v70, v4, s[0:3], 0 offen offset:12
	v_mov_b32_e32 v9, s18
	v_mov_b32_e32 v4, s19
	s_clause 0x7
	buffer_load_dword v71, v14, s[0:3], 0 offen
	buffer_load_dword v72, v14, s[0:3], 0 offen offset:4
	buffer_load_dword v73, v14, s[0:3], 0 offen offset:8
	buffer_load_dword v74, v14, s[0:3], 0 offen offset:12
	buffer_load_dword v75, v4, s[0:3], 0 offen
	buffer_load_dword v76, v4, s[0:3], 0 offen offset:4
	buffer_load_dword v77, v4, s[0:3], 0 offen offset:8
	buffer_load_dword v78, v4, s[0:3], 0 offen offset:12
	v_mov_b32_e32 v4, s7
	v_mov_b32_e32 v14, s5
	s_clause 0xb
	buffer_load_dword v79, v9, s[0:3], 0 offen
	buffer_load_dword v80, v9, s[0:3], 0 offen offset:4
	buffer_load_dword v81, v9, s[0:3], 0 offen offset:8
	buffer_load_dword v82, v9, s[0:3], 0 offen offset:12
	buffer_load_dword v83, v4, s[0:3], 0 offen
	buffer_load_dword v84, v4, s[0:3], 0 offen offset:4
	buffer_load_dword v85, v4, s[0:3], 0 offen offset:8
	buffer_load_dword v86, v4, s[0:3], 0 offen offset:12
	;; [unrolled: 4-line block ×3, first 2 shown]
	v_mov_b32_e32 v14, 41
	s_waitcnt vmcnt(62)
	ds_write2_b64 v11, v[15:16], v[17:18] offset0:84 offset1:85
	ds_write2_b64 v11, v[19:20], v[21:22] offset0:86 offset1:87
	;; [unrolled: 1-line block ×3, first 2 shown]
	s_waitcnt vmcnt(60)
	ds_write2_b64 v11, v[27:28], v[29:30] offset0:90 offset1:91
	s_waitcnt vmcnt(56)
	ds_write2_b64 v11, v[31:32], v[33:34] offset0:92 offset1:93
	;; [unrolled: 2-line block ×16, first 2 shown]
.LBB120_998:
	s_or_b32 exec_lo, exec_lo, s4
	s_mov_b32 s4, exec_lo
	s_waitcnt lgkmcnt(0)
	s_waitcnt_vscnt null, 0x0
	s_barrier
	buffer_gl0_inv
	v_cmpx_lt_i32_e32 41, v14
	s_cbranch_execz .LBB120_1003
; %bb.999:
	s_clause 0x3
	buffer_load_dword v15, off, s[0:3], 0 offset:664
	buffer_load_dword v16, off, s[0:3], 0 offset:668
	;; [unrolled: 1-line block ×4, first 2 shown]
	v_add3_u32 v4, v13, 0, 0x2a0
	s_mov_b32 s16, 0
	s_waitcnt vmcnt(2)
	v_mul_f64 v[19:20], v[2:3], v[15:16]
	v_mul_f64 v[15:16], v[0:1], v[15:16]
	s_waitcnt vmcnt(0)
	v_fma_f64 v[0:1], v[0:1], v[17:18], -v[19:20]
	v_fma_f64 v[2:3], v[2:3], v[17:18], v[15:16]
	buffer_store_dword v0, off, s[0:3], 0 offset:656
	buffer_store_dword v1, off, s[0:3], 0 offset:660
	;; [unrolled: 1-line block ×4, first 2 shown]
	s_branch .LBB120_1001
.LBB120_1000:                           ;   in Loop: Header=BB120_1001 Depth=1
	s_andn2_b32 vcc_lo, exec_lo, s57
	s_cbranch_vccz .LBB120_1003
.LBB120_1001:                           ; =>This Inner Loop Header: Depth=1
	v_mov_b32_e32 v51, s16
	v_add_nc_u32_e32 v9, s16, v4
	s_mov_b32 s17, s16
	s_mov_b32 s57, -1
	s_cmpk_eq_i32 s16, 0x100
	s_clause 0xb
	buffer_load_dword v27, v51, s[0:3], 0 offen offset:672
	buffer_load_dword v28, v51, s[0:3], 0 offen offset:676
	;; [unrolled: 1-line block ×12, first 2 shown]
	ds_read2_b64 v[15:18], v9 offset1:1
	ds_read2_b64 v[19:22], v9 offset0:2 offset1:3
	ds_read2_b64 v[23:26], v9 offset0:4 offset1:5
	s_waitcnt lgkmcnt(2)
	v_mul_f64 v[39:40], v[17:18], v[2:3]
	v_mul_f64 v[41:42], v[15:16], v[2:3]
	s_waitcnt lgkmcnt(1)
	v_mul_f64 v[43:44], v[21:22], v[2:3]
	v_mul_f64 v[45:46], v[19:20], v[2:3]
	;; [unrolled: 3-line block ×3, first 2 shown]
	v_fma_f64 v[15:16], v[15:16], v[0:1], -v[39:40]
	v_fma_f64 v[17:18], v[17:18], v[0:1], v[41:42]
	v_fma_f64 v[19:20], v[19:20], v[0:1], -v[43:44]
	v_fma_f64 v[21:22], v[21:22], v[0:1], v[45:46]
	;; [unrolled: 2-line block ×3, first 2 shown]
	s_waitcnt vmcnt(10)
	v_add_f64 v[15:16], v[27:28], -v[15:16]
	s_waitcnt vmcnt(8)
	v_add_f64 v[17:18], v[29:30], -v[17:18]
	s_waitcnt vmcnt(6)
	v_add_f64 v[19:20], v[31:32], -v[19:20]
	s_waitcnt vmcnt(4)
	v_add_f64 v[21:22], v[33:34], -v[21:22]
	s_waitcnt vmcnt(2)
	v_add_f64 v[23:24], v[35:36], -v[23:24]
	s_waitcnt vmcnt(0)
	v_add_f64 v[25:26], v[37:38], -v[25:26]
	buffer_store_dword v15, v51, s[0:3], 0 offen offset:672
	buffer_store_dword v16, v51, s[0:3], 0 offen offset:676
	;; [unrolled: 1-line block ×12, first 2 shown]
	s_cbranch_scc1 .LBB120_1000
; %bb.1002:                             ;   in Loop: Header=BB120_1001 Depth=1
	v_mov_b32_e32 v27, s17
	s_add_i32 s16, s16, 64
	s_mov_b32 s57, 0
	s_clause 0x3
	buffer_load_dword v19, v27, s[0:3], 0 offen offset:720
	buffer_load_dword v20, v27, s[0:3], 0 offen offset:724
	;; [unrolled: 1-line block ×4, first 2 shown]
	ds_read2_b64 v[15:18], v9 offset0:6 offset1:7
	s_waitcnt lgkmcnt(0)
	v_mul_f64 v[23:24], v[17:18], v[2:3]
	v_mul_f64 v[25:26], v[15:16], v[2:3]
	v_fma_f64 v[15:16], v[15:16], v[0:1], -v[23:24]
	v_fma_f64 v[17:18], v[17:18], v[0:1], v[25:26]
	s_waitcnt vmcnt(2)
	v_add_f64 v[15:16], v[19:20], -v[15:16]
	s_waitcnt vmcnt(0)
	v_add_f64 v[17:18], v[21:22], -v[17:18]
	buffer_store_dword v15, v27, s[0:3], 0 offen offset:720
	buffer_store_dword v16, v27, s[0:3], 0 offen offset:724
	;; [unrolled: 1-line block ×4, first 2 shown]
	s_branch .LBB120_1000
.LBB120_1003:
	s_or_b32 exec_lo, exec_lo, s4
	v_mov_b32_e32 v3, s37
	s_waitcnt_vscnt null, 0x0
	s_barrier
	buffer_gl0_inv
	v_lshl_add_u32 v4, v14, 4, v11
	s_clause 0x3
	buffer_load_dword v0, v3, s[0:3], 0 offen
	buffer_load_dword v1, v3, s[0:3], 0 offen offset:4
	buffer_load_dword v2, v3, s[0:3], 0 offen offset:8
	;; [unrolled: 1-line block ×3, first 2 shown]
	v_mov_b32_e32 v9, 42
	s_cmp_lt_i32 s56, 44
	s_waitcnt vmcnt(0)
	ds_write2_b64 v4, v[0:1], v[2:3] offset1:1
	s_waitcnt lgkmcnt(0)
	s_barrier
	buffer_gl0_inv
	ds_read2_b64 v[0:3], v11 offset0:84 offset1:85
	s_cbranch_scc1 .LBB120_1006
; %bb.1004:
	v_add3_u32 v4, v13, 0, 0x2b0
	v_mov_b32_e32 v9, 42
	s_mov_b32 s16, 43
	s_inst_prefetch 0x1
	.p2align	6
.LBB120_1005:                           ; =>This Inner Loop Header: Depth=1
	s_waitcnt lgkmcnt(0)
	v_cmp_gt_f64_e32 vcc_lo, 0, v[2:3]
	v_cmp_gt_f64_e64 s4, 0, v[0:1]
	ds_read2_b64 v[15:18], v4 offset1:1
	v_xor_b32_e32 v20, 0x80000000, v1
	v_xor_b32_e32 v22, 0x80000000, v3
	v_mov_b32_e32 v19, v0
	v_mov_b32_e32 v21, v2
	v_add_nc_u32_e32 v4, 16, v4
	s_waitcnt lgkmcnt(0)
	v_xor_b32_e32 v24, 0x80000000, v18
	v_cndmask_b32_e64 v20, v1, v20, s4
	v_cndmask_b32_e32 v22, v3, v22, vcc_lo
	v_cmp_gt_f64_e32 vcc_lo, 0, v[17:18]
	v_cmp_gt_f64_e64 s4, 0, v[15:16]
	v_mov_b32_e32 v23, v17
	v_add_f64 v[19:20], v[19:20], v[21:22]
	v_xor_b32_e32 v22, 0x80000000, v16
	v_mov_b32_e32 v21, v15
	v_cndmask_b32_e32 v24, v18, v24, vcc_lo
	v_cndmask_b32_e64 v22, v16, v22, s4
	v_add_f64 v[21:22], v[21:22], v[23:24]
	v_cmp_lt_f64_e32 vcc_lo, v[19:20], v[21:22]
	v_cndmask_b32_e32 v1, v1, v16, vcc_lo
	v_cndmask_b32_e32 v0, v0, v15, vcc_lo
	;; [unrolled: 1-line block ×4, first 2 shown]
	v_cndmask_b32_e64 v9, v9, s16, vcc_lo
	s_add_i32 s16, s16, 1
	s_cmp_lg_u32 s56, s16
	s_cbranch_scc1 .LBB120_1005
.LBB120_1006:
	s_inst_prefetch 0x2
	s_waitcnt lgkmcnt(0)
	v_cmp_eq_f64_e32 vcc_lo, 0, v[0:1]
	v_cmp_eq_f64_e64 s4, 0, v[2:3]
	s_and_b32 s4, vcc_lo, s4
	s_and_saveexec_b32 s16, s4
	s_xor_b32 s4, exec_lo, s16
; %bb.1007:
	v_cmp_ne_u32_e32 vcc_lo, 0, v12
	v_cndmask_b32_e32 v12, 43, v12, vcc_lo
; %bb.1008:
	s_andn2_saveexec_b32 s4, s4
	s_cbranch_execz .LBB120_1014
; %bb.1009:
	v_cmp_ngt_f64_e64 s16, |v[0:1]|, |v[2:3]|
	s_and_saveexec_b32 s17, s16
	s_xor_b32 s16, exec_lo, s17
	s_cbranch_execz .LBB120_1011
; %bb.1010:
	v_div_scale_f64 v[15:16], null, v[2:3], v[2:3], v[0:1]
	v_div_scale_f64 v[21:22], vcc_lo, v[0:1], v[2:3], v[0:1]
	v_rcp_f64_e32 v[17:18], v[15:16]
	v_fma_f64 v[19:20], -v[15:16], v[17:18], 1.0
	v_fma_f64 v[17:18], v[17:18], v[19:20], v[17:18]
	v_fma_f64 v[19:20], -v[15:16], v[17:18], 1.0
	v_fma_f64 v[17:18], v[17:18], v[19:20], v[17:18]
	v_mul_f64 v[19:20], v[21:22], v[17:18]
	v_fma_f64 v[15:16], -v[15:16], v[19:20], v[21:22]
	v_div_fmas_f64 v[15:16], v[15:16], v[17:18], v[19:20]
	v_div_fixup_f64 v[15:16], v[15:16], v[2:3], v[0:1]
	v_fma_f64 v[0:1], v[0:1], v[15:16], v[2:3]
	v_div_scale_f64 v[2:3], null, v[0:1], v[0:1], 1.0
	v_rcp_f64_e32 v[17:18], v[2:3]
	v_fma_f64 v[19:20], -v[2:3], v[17:18], 1.0
	v_fma_f64 v[17:18], v[17:18], v[19:20], v[17:18]
	v_fma_f64 v[19:20], -v[2:3], v[17:18], 1.0
	v_fma_f64 v[17:18], v[17:18], v[19:20], v[17:18]
	v_div_scale_f64 v[19:20], vcc_lo, 1.0, v[0:1], 1.0
	v_mul_f64 v[21:22], v[19:20], v[17:18]
	v_fma_f64 v[2:3], -v[2:3], v[21:22], v[19:20]
	v_div_fmas_f64 v[2:3], v[2:3], v[17:18], v[21:22]
	v_div_fixup_f64 v[2:3], v[2:3], v[0:1], 1.0
	v_mul_f64 v[0:1], v[15:16], v[2:3]
	v_xor_b32_e32 v3, 0x80000000, v3
.LBB120_1011:
	s_andn2_saveexec_b32 s16, s16
	s_cbranch_execz .LBB120_1013
; %bb.1012:
	v_div_scale_f64 v[15:16], null, v[0:1], v[0:1], v[2:3]
	v_div_scale_f64 v[21:22], vcc_lo, v[2:3], v[0:1], v[2:3]
	v_rcp_f64_e32 v[17:18], v[15:16]
	v_fma_f64 v[19:20], -v[15:16], v[17:18], 1.0
	v_fma_f64 v[17:18], v[17:18], v[19:20], v[17:18]
	v_fma_f64 v[19:20], -v[15:16], v[17:18], 1.0
	v_fma_f64 v[17:18], v[17:18], v[19:20], v[17:18]
	v_mul_f64 v[19:20], v[21:22], v[17:18]
	v_fma_f64 v[15:16], -v[15:16], v[19:20], v[21:22]
	v_div_fmas_f64 v[15:16], v[15:16], v[17:18], v[19:20]
	v_div_fixup_f64 v[15:16], v[15:16], v[0:1], v[2:3]
	v_fma_f64 v[0:1], v[2:3], v[15:16], v[0:1]
	v_div_scale_f64 v[2:3], null, v[0:1], v[0:1], 1.0
	v_rcp_f64_e32 v[17:18], v[2:3]
	v_fma_f64 v[19:20], -v[2:3], v[17:18], 1.0
	v_fma_f64 v[17:18], v[17:18], v[19:20], v[17:18]
	v_fma_f64 v[19:20], -v[2:3], v[17:18], 1.0
	v_fma_f64 v[17:18], v[17:18], v[19:20], v[17:18]
	v_div_scale_f64 v[19:20], vcc_lo, 1.0, v[0:1], 1.0
	v_mul_f64 v[21:22], v[19:20], v[17:18]
	v_fma_f64 v[2:3], -v[2:3], v[21:22], v[19:20]
	v_div_fmas_f64 v[2:3], v[2:3], v[17:18], v[21:22]
	v_div_fixup_f64 v[0:1], v[2:3], v[0:1], 1.0
	v_mul_f64 v[2:3], v[15:16], -v[0:1]
.LBB120_1013:
	s_or_b32 exec_lo, exec_lo, s16
.LBB120_1014:
	s_or_b32 exec_lo, exec_lo, s4
	s_mov_b32 s4, exec_lo
	v_cmpx_ne_u32_e64 v14, v9
	s_xor_b32 s4, exec_lo, s4
	s_cbranch_execz .LBB120_1020
; %bb.1015:
	s_mov_b32 s16, exec_lo
	v_cmpx_eq_u32_e32 42, v14
	s_cbranch_execz .LBB120_1019
; %bb.1016:
	v_cmp_ne_u32_e32 vcc_lo, 42, v9
	s_xor_b32 s17, s20, -1
	s_and_b32 s57, s17, vcc_lo
	s_and_saveexec_b32 s17, s57
	s_cbranch_execz .LBB120_1018
; %bb.1017:
	v_ashrrev_i32_e32 v10, 31, v9
	v_lshlrev_b64 v[14:15], 2, v[9:10]
	v_add_co_u32 v14, vcc_lo, v7, v14
	v_add_co_ci_u32_e64 v15, null, v8, v15, vcc_lo
	s_clause 0x1
	global_load_dword v4, v[14:15], off
	global_load_dword v10, v[7:8], off offset:168
	s_waitcnt vmcnt(1)
	global_store_dword v[7:8], v4, off offset:168
	s_waitcnt vmcnt(0)
	global_store_dword v[14:15], v10, off
.LBB120_1018:
	s_or_b32 exec_lo, exec_lo, s17
	v_mov_b32_e32 v14, v9
	v_mov_b32_e32 v10, v9
.LBB120_1019:
	s_or_b32 exec_lo, exec_lo, s16
.LBB120_1020:
	s_andn2_saveexec_b32 s4, s4
	s_cbranch_execz .LBB120_1022
; %bb.1021:
	v_mov_b32_e32 v4, s36
	v_mov_b32_e32 v9, s35
	;; [unrolled: 1-line block ×3, first 2 shown]
	s_clause 0x7
	buffer_load_dword v15, v4, s[0:3], 0 offen
	buffer_load_dword v16, v4, s[0:3], 0 offen offset:4
	buffer_load_dword v17, v4, s[0:3], 0 offen offset:8
	buffer_load_dword v18, v4, s[0:3], 0 offen offset:12
	buffer_load_dword v19, v9, s[0:3], 0 offen
	buffer_load_dword v20, v9, s[0:3], 0 offen offset:4
	buffer_load_dword v21, v9, s[0:3], 0 offen offset:8
	buffer_load_dword v22, v9, s[0:3], 0 offen offset:12
	v_mov_b32_e32 v9, s31
	v_mov_b32_e32 v4, s33
	s_clause 0x7
	buffer_load_dword v23, v14, s[0:3], 0 offen
	buffer_load_dword v24, v14, s[0:3], 0 offen offset:4
	buffer_load_dword v25, v14, s[0:3], 0 offen offset:8
	buffer_load_dword v26, v14, s[0:3], 0 offen offset:12
	buffer_load_dword v27, v4, s[0:3], 0 offen
	buffer_load_dword v28, v4, s[0:3], 0 offen offset:4
	buffer_load_dword v29, v4, s[0:3], 0 offen offset:8
	buffer_load_dword v30, v4, s[0:3], 0 offen offset:12
	v_mov_b32_e32 v4, s30
	v_mov_b32_e32 v14, s29
	;; [unrolled: 11-line block ×7, first 2 shown]
	s_clause 0x7
	buffer_load_dword v71, v14, s[0:3], 0 offen
	buffer_load_dword v72, v14, s[0:3], 0 offen offset:4
	buffer_load_dword v73, v14, s[0:3], 0 offen offset:8
	;; [unrolled: 1-line block ×3, first 2 shown]
	buffer_load_dword v75, v4, s[0:3], 0 offen
	buffer_load_dword v76, v4, s[0:3], 0 offen offset:4
	buffer_load_dword v77, v4, s[0:3], 0 offen offset:8
	;; [unrolled: 1-line block ×3, first 2 shown]
	v_mov_b32_e32 v4, s5
	s_clause 0x7
	buffer_load_dword v79, v9, s[0:3], 0 offen
	buffer_load_dword v80, v9, s[0:3], 0 offen offset:4
	buffer_load_dword v81, v9, s[0:3], 0 offen offset:8
	;; [unrolled: 1-line block ×3, first 2 shown]
	buffer_load_dword v83, v4, s[0:3], 0 offen
	buffer_load_dword v84, v4, s[0:3], 0 offen offset:4
	buffer_load_dword v85, v4, s[0:3], 0 offen offset:8
	;; [unrolled: 1-line block ×3, first 2 shown]
	v_mov_b32_e32 v14, 42
	s_waitcnt vmcnt(62)
	ds_write2_b64 v11, v[15:16], v[17:18] offset0:86 offset1:87
	ds_write2_b64 v11, v[19:20], v[21:22] offset0:88 offset1:89
	s_waitcnt vmcnt(60)
	ds_write2_b64 v11, v[23:24], v[25:26] offset0:90 offset1:91
	s_waitcnt vmcnt(56)
	;; [unrolled: 2-line block ×16, first 2 shown]
	ds_write2_b64 v11, v[83:84], v[85:86] offset0:120 offset1:121
.LBB120_1022:
	s_or_b32 exec_lo, exec_lo, s4
	s_mov_b32 s4, exec_lo
	s_waitcnt lgkmcnt(0)
	s_waitcnt_vscnt null, 0x0
	s_barrier
	buffer_gl0_inv
	v_cmpx_lt_i32_e32 42, v14
	s_cbranch_execz .LBB120_1025
; %bb.1023:
	s_clause 0x3
	buffer_load_dword v15, off, s[0:3], 0 offset:680
	buffer_load_dword v16, off, s[0:3], 0 offset:684
	;; [unrolled: 1-line block ×4, first 2 shown]
	v_add3_u32 v4, v13, 0, 0x2b0
	s_mov_b32 s80, 0
	s_waitcnt vmcnt(2)
	v_mul_f64 v[19:20], v[2:3], v[15:16]
	v_mul_f64 v[15:16], v[0:1], v[15:16]
	s_waitcnt vmcnt(0)
	v_fma_f64 v[0:1], v[0:1], v[17:18], -v[19:20]
	v_fma_f64 v[2:3], v[2:3], v[17:18], v[15:16]
	buffer_store_dword v0, off, s[0:3], 0 offset:672
	buffer_store_dword v1, off, s[0:3], 0 offset:676
	;; [unrolled: 1-line block ×4, first 2 shown]
.LBB120_1024:                           ; =>This Inner Loop Header: Depth=1
	v_mov_b32_e32 v9, s80
	v_add_nc_u32_e32 v35, s80, v4
	s_addk_i32 s80, 0x60
	s_clause 0x17
	buffer_load_dword v39, v9, s[0:3], 0 offen offset:688
	buffer_load_dword v40, v9, s[0:3], 0 offen offset:692
	;; [unrolled: 1-line block ×24, first 2 shown]
	ds_read2_b64 v[15:18], v35 offset1:1
	ds_read2_b64 v[19:22], v35 offset0:2 offset1:3
	ds_read2_b64 v[23:26], v35 offset0:4 offset1:5
	;; [unrolled: 1-line block ×5, first 2 shown]
	s_cmpk_lg_i32 s80, 0x120
	s_waitcnt lgkmcnt(5)
	v_mul_f64 v[63:64], v[17:18], v[2:3]
	v_mul_f64 v[65:66], v[15:16], v[2:3]
	s_waitcnt lgkmcnt(4)
	v_mul_f64 v[67:68], v[21:22], v[2:3]
	v_mul_f64 v[69:70], v[19:20], v[2:3]
	;; [unrolled: 3-line block ×6, first 2 shown]
	v_fma_f64 v[15:16], v[15:16], v[0:1], -v[63:64]
	v_fma_f64 v[17:18], v[17:18], v[0:1], v[65:66]
	v_fma_f64 v[19:20], v[19:20], v[0:1], -v[67:68]
	v_fma_f64 v[21:22], v[21:22], v[0:1], v[69:70]
	;; [unrolled: 2-line block ×6, first 2 shown]
	s_waitcnt vmcnt(22)
	v_add_f64 v[15:16], v[39:40], -v[15:16]
	s_waitcnt vmcnt(20)
	v_add_f64 v[17:18], v[41:42], -v[17:18]
	;; [unrolled: 2-line block ×12, first 2 shown]
	buffer_store_dword v15, v9, s[0:3], 0 offen offset:688
	buffer_store_dword v16, v9, s[0:3], 0 offen offset:692
	;; [unrolled: 1-line block ×24, first 2 shown]
	s_cbranch_scc1 .LBB120_1024
.LBB120_1025:
	s_or_b32 exec_lo, exec_lo, s4
	v_mov_b32_e32 v3, s36
	s_waitcnt_vscnt null, 0x0
	s_barrier
	buffer_gl0_inv
	v_lshl_add_u32 v4, v14, 4, v11
	s_clause 0x3
	buffer_load_dword v0, v3, s[0:3], 0 offen
	buffer_load_dword v1, v3, s[0:3], 0 offen offset:4
	buffer_load_dword v2, v3, s[0:3], 0 offen offset:8
	;; [unrolled: 1-line block ×3, first 2 shown]
	v_readlane_b32 s16, v162, 0
	v_readlane_b32 s17, v162, 1
	v_mov_b32_e32 v9, 43
	s_cmp_lt_i32 s56, 45
	s_mov_b32 s21, s17
	s_waitcnt vmcnt(0)
	ds_write2_b64 v4, v[0:1], v[2:3] offset1:1
	s_waitcnt lgkmcnt(0)
	s_barrier
	buffer_gl0_inv
	ds_read2_b64 v[0:3], v11 offset0:86 offset1:87
	s_cbranch_scc1 .LBB120_1028
; %bb.1026:
	v_add3_u32 v4, v13, 0, 0x2c0
	v_mov_b32_e32 v9, 43
	s_mov_b32 s16, 44
	s_inst_prefetch 0x1
	.p2align	6
.LBB120_1027:                           ; =>This Inner Loop Header: Depth=1
	s_waitcnt lgkmcnt(0)
	v_cmp_gt_f64_e32 vcc_lo, 0, v[2:3]
	v_cmp_gt_f64_e64 s4, 0, v[0:1]
	ds_read2_b64 v[15:18], v4 offset1:1
	v_xor_b32_e32 v20, 0x80000000, v1
	v_xor_b32_e32 v22, 0x80000000, v3
	v_mov_b32_e32 v19, v0
	v_mov_b32_e32 v21, v2
	v_add_nc_u32_e32 v4, 16, v4
	s_waitcnt lgkmcnt(0)
	v_xor_b32_e32 v24, 0x80000000, v18
	v_cndmask_b32_e64 v20, v1, v20, s4
	v_cndmask_b32_e32 v22, v3, v22, vcc_lo
	v_cmp_gt_f64_e32 vcc_lo, 0, v[17:18]
	v_cmp_gt_f64_e64 s4, 0, v[15:16]
	v_mov_b32_e32 v23, v17
	v_add_f64 v[19:20], v[19:20], v[21:22]
	v_xor_b32_e32 v22, 0x80000000, v16
	v_mov_b32_e32 v21, v15
	v_cndmask_b32_e32 v24, v18, v24, vcc_lo
	v_cndmask_b32_e64 v22, v16, v22, s4
	v_add_f64 v[21:22], v[21:22], v[23:24]
	v_cmp_lt_f64_e32 vcc_lo, v[19:20], v[21:22]
	v_cndmask_b32_e32 v1, v1, v16, vcc_lo
	v_cndmask_b32_e32 v0, v0, v15, vcc_lo
	;; [unrolled: 1-line block ×4, first 2 shown]
	v_cndmask_b32_e64 v9, v9, s16, vcc_lo
	s_add_i32 s16, s16, 1
	s_cmp_lg_u32 s56, s16
	s_cbranch_scc1 .LBB120_1027
.LBB120_1028:
	s_inst_prefetch 0x2
	s_waitcnt lgkmcnt(0)
	v_cmp_eq_f64_e32 vcc_lo, 0, v[0:1]
	v_cmp_eq_f64_e64 s4, 0, v[2:3]
	s_and_b32 s4, vcc_lo, s4
	s_and_saveexec_b32 s16, s4
	s_xor_b32 s4, exec_lo, s16
; %bb.1029:
	v_cmp_ne_u32_e32 vcc_lo, 0, v12
	v_cndmask_b32_e32 v12, 44, v12, vcc_lo
; %bb.1030:
	s_andn2_saveexec_b32 s4, s4
	s_cbranch_execz .LBB120_1036
; %bb.1031:
	v_cmp_ngt_f64_e64 s16, |v[0:1]|, |v[2:3]|
	s_and_saveexec_b32 s17, s16
	s_xor_b32 s16, exec_lo, s17
	s_cbranch_execz .LBB120_1033
; %bb.1032:
	v_div_scale_f64 v[15:16], null, v[2:3], v[2:3], v[0:1]
	v_div_scale_f64 v[21:22], vcc_lo, v[0:1], v[2:3], v[0:1]
	v_rcp_f64_e32 v[17:18], v[15:16]
	v_fma_f64 v[19:20], -v[15:16], v[17:18], 1.0
	v_fma_f64 v[17:18], v[17:18], v[19:20], v[17:18]
	v_fma_f64 v[19:20], -v[15:16], v[17:18], 1.0
	v_fma_f64 v[17:18], v[17:18], v[19:20], v[17:18]
	v_mul_f64 v[19:20], v[21:22], v[17:18]
	v_fma_f64 v[15:16], -v[15:16], v[19:20], v[21:22]
	v_div_fmas_f64 v[15:16], v[15:16], v[17:18], v[19:20]
	v_div_fixup_f64 v[15:16], v[15:16], v[2:3], v[0:1]
	v_fma_f64 v[0:1], v[0:1], v[15:16], v[2:3]
	v_div_scale_f64 v[2:3], null, v[0:1], v[0:1], 1.0
	v_rcp_f64_e32 v[17:18], v[2:3]
	v_fma_f64 v[19:20], -v[2:3], v[17:18], 1.0
	v_fma_f64 v[17:18], v[17:18], v[19:20], v[17:18]
	v_fma_f64 v[19:20], -v[2:3], v[17:18], 1.0
	v_fma_f64 v[17:18], v[17:18], v[19:20], v[17:18]
	v_div_scale_f64 v[19:20], vcc_lo, 1.0, v[0:1], 1.0
	v_mul_f64 v[21:22], v[19:20], v[17:18]
	v_fma_f64 v[2:3], -v[2:3], v[21:22], v[19:20]
	v_div_fmas_f64 v[2:3], v[2:3], v[17:18], v[21:22]
	v_div_fixup_f64 v[2:3], v[2:3], v[0:1], 1.0
	v_mul_f64 v[0:1], v[15:16], v[2:3]
	v_xor_b32_e32 v3, 0x80000000, v3
.LBB120_1033:
	s_andn2_saveexec_b32 s16, s16
	s_cbranch_execz .LBB120_1035
; %bb.1034:
	v_div_scale_f64 v[15:16], null, v[0:1], v[0:1], v[2:3]
	v_div_scale_f64 v[21:22], vcc_lo, v[2:3], v[0:1], v[2:3]
	v_rcp_f64_e32 v[17:18], v[15:16]
	v_fma_f64 v[19:20], -v[15:16], v[17:18], 1.0
	v_fma_f64 v[17:18], v[17:18], v[19:20], v[17:18]
	v_fma_f64 v[19:20], -v[15:16], v[17:18], 1.0
	v_fma_f64 v[17:18], v[17:18], v[19:20], v[17:18]
	v_mul_f64 v[19:20], v[21:22], v[17:18]
	v_fma_f64 v[15:16], -v[15:16], v[19:20], v[21:22]
	v_div_fmas_f64 v[15:16], v[15:16], v[17:18], v[19:20]
	v_div_fixup_f64 v[15:16], v[15:16], v[0:1], v[2:3]
	v_fma_f64 v[0:1], v[2:3], v[15:16], v[0:1]
	v_div_scale_f64 v[2:3], null, v[0:1], v[0:1], 1.0
	v_rcp_f64_e32 v[17:18], v[2:3]
	v_fma_f64 v[19:20], -v[2:3], v[17:18], 1.0
	v_fma_f64 v[17:18], v[17:18], v[19:20], v[17:18]
	v_fma_f64 v[19:20], -v[2:3], v[17:18], 1.0
	v_fma_f64 v[17:18], v[17:18], v[19:20], v[17:18]
	v_div_scale_f64 v[19:20], vcc_lo, 1.0, v[0:1], 1.0
	v_mul_f64 v[21:22], v[19:20], v[17:18]
	v_fma_f64 v[2:3], -v[2:3], v[21:22], v[19:20]
	v_div_fmas_f64 v[2:3], v[2:3], v[17:18], v[21:22]
	v_div_fixup_f64 v[0:1], v[2:3], v[0:1], 1.0
	v_mul_f64 v[2:3], v[15:16], -v[0:1]
.LBB120_1035:
	s_or_b32 exec_lo, exec_lo, s16
.LBB120_1036:
	s_or_b32 exec_lo, exec_lo, s4
	s_mov_b32 s4, exec_lo
	v_cmpx_ne_u32_e64 v14, v9
	s_xor_b32 s4, exec_lo, s4
	s_cbranch_execz .LBB120_1042
; %bb.1037:
	s_mov_b32 s16, exec_lo
	v_cmpx_eq_u32_e32 43, v14
	s_cbranch_execz .LBB120_1041
; %bb.1038:
	v_cmp_ne_u32_e32 vcc_lo, 43, v9
	s_xor_b32 s17, s20, -1
	s_and_b32 s57, s17, vcc_lo
	s_and_saveexec_b32 s17, s57
	s_cbranch_execz .LBB120_1040
; %bb.1039:
	v_ashrrev_i32_e32 v10, 31, v9
	v_lshlrev_b64 v[14:15], 2, v[9:10]
	v_add_co_u32 v14, vcc_lo, v7, v14
	v_add_co_ci_u32_e64 v15, null, v8, v15, vcc_lo
	s_clause 0x1
	global_load_dword v4, v[14:15], off
	global_load_dword v10, v[7:8], off offset:172
	s_waitcnt vmcnt(1)
	global_store_dword v[7:8], v4, off offset:172
	s_waitcnt vmcnt(0)
	global_store_dword v[14:15], v10, off
.LBB120_1040:
	s_or_b32 exec_lo, exec_lo, s17
	v_mov_b32_e32 v14, v9
	v_mov_b32_e32 v10, v9
.LBB120_1041:
	s_or_b32 exec_lo, exec_lo, s16
.LBB120_1042:
	s_andn2_saveexec_b32 s4, s4
	s_cbranch_execz .LBB120_1044
; %bb.1043:
	v_mov_b32_e32 v4, s35
	v_mov_b32_e32 v14, s33
	;; [unrolled: 1-line block ×3, first 2 shown]
	s_clause 0x7
	buffer_load_dword v15, v4, s[0:3], 0 offen
	buffer_load_dword v16, v4, s[0:3], 0 offen offset:4
	buffer_load_dword v17, v4, s[0:3], 0 offen offset:8
	buffer_load_dword v18, v4, s[0:3], 0 offen offset:12
	buffer_load_dword v19, v9, s[0:3], 0 offen
	buffer_load_dword v20, v9, s[0:3], 0 offen offset:4
	buffer_load_dword v21, v9, s[0:3], 0 offen offset:8
	buffer_load_dword v22, v9, s[0:3], 0 offen offset:12
	v_mov_b32_e32 v4, s31
	v_mov_b32_e32 v9, s30
	s_clause 0x7
	buffer_load_dword v23, v14, s[0:3], 0 offen
	buffer_load_dword v24, v14, s[0:3], 0 offen offset:4
	buffer_load_dword v25, v14, s[0:3], 0 offen offset:8
	buffer_load_dword v26, v14, s[0:3], 0 offen offset:12
	buffer_load_dword v27, v4, s[0:3], 0 offen
	buffer_load_dword v28, v4, s[0:3], 0 offen offset:4
	buffer_load_dword v29, v4, s[0:3], 0 offen offset:8
	buffer_load_dword v30, v4, s[0:3], 0 offen offset:12
	v_mov_b32_e32 v14, s28
	v_mov_b32_e32 v4, s29
	;; [unrolled: 11-line block ×7, first 2 shown]
	s_clause 0xb
	buffer_load_dword v71, v14, s[0:3], 0 offen
	buffer_load_dword v72, v14, s[0:3], 0 offen offset:4
	buffer_load_dword v73, v14, s[0:3], 0 offen offset:8
	buffer_load_dword v74, v14, s[0:3], 0 offen offset:12
	buffer_load_dword v75, v4, s[0:3], 0 offen
	buffer_load_dword v76, v4, s[0:3], 0 offen offset:4
	buffer_load_dword v77, v4, s[0:3], 0 offen offset:8
	buffer_load_dword v78, v4, s[0:3], 0 offen offset:12
	;; [unrolled: 4-line block ×3, first 2 shown]
	v_mov_b32_e32 v14, 43
	s_waitcnt vmcnt(62)
	ds_write2_b64 v11, v[15:16], v[17:18] offset0:88 offset1:89
	s_waitcnt vmcnt(60)
	ds_write2_b64 v11, v[19:20], v[21:22] offset0:90 offset1:91
	;; [unrolled: 2-line block ×17, first 2 shown]
.LBB120_1044:
	s_or_b32 exec_lo, exec_lo, s4
	s_mov_b32 s4, exec_lo
	s_waitcnt lgkmcnt(0)
	s_waitcnt_vscnt null, 0x0
	s_barrier
	buffer_gl0_inv
	v_cmpx_lt_i32_e32 43, v14
	s_cbranch_execz .LBB120_1046
; %bb.1045:
	s_clause 0x1b
	buffer_load_dword v15, off, s[0:3], 0 offset:696
	buffer_load_dword v16, off, s[0:3], 0 offset:700
	;; [unrolled: 1-line block ×28, first 2 shown]
	s_waitcnt vmcnt(26)
	v_mul_f64 v[19:20], v[0:1], v[15:16]
	v_mul_f64 v[15:16], v[2:3], v[15:16]
	s_waitcnt vmcnt(24)
	v_fma_f64 v[59:60], v[2:3], v[17:18], v[19:20]
	v_fma_f64 v[61:62], v[0:1], v[17:18], -v[15:16]
	buffer_store_dword v59, off, s[0:3], 0 offset:696
	buffer_store_dword v60, off, s[0:3], 0 offset:700
	s_clause 0x3
	buffer_load_dword v63, off, s[0:3], 0 offset:696
	buffer_load_dword v64, off, s[0:3], 0 offset:700
	;; [unrolled: 1-line block ×4, first 2 shown]
	buffer_store_dword v61, off, s[0:3], 0 offset:688
	buffer_store_dword v62, off, s[0:3], 0 offset:692
	s_clause 0x2f
	buffer_load_dword v67, off, s[0:3], 0 offset:688
	buffer_load_dword v68, off, s[0:3], 0 offset:692
	;; [unrolled: 1-line block ×48, first 2 shown]
	ds_read2_b64 v[0:3], v11 offset0:88 offset1:89
	ds_read2_b64 v[15:18], v11 offset0:90 offset1:91
	;; [unrolled: 1-line block ×6, first 2 shown]
	s_waitcnt lgkmcnt(5)
	v_mul_f64 v[115:116], v[2:3], v[59:60]
	v_mul_f64 v[117:118], v[0:1], v[59:60]
	s_waitcnt lgkmcnt(4)
	v_mul_f64 v[119:120], v[17:18], v[59:60]
	v_mul_f64 v[121:122], v[15:16], v[59:60]
	;; [unrolled: 3-line block ×6, first 2 shown]
	v_fma_f64 v[0:1], v[0:1], v[61:62], -v[115:116]
	v_fma_f64 v[115:116], v[2:3], v[61:62], v[117:118]
	v_fma_f64 v[117:118], v[15:16], v[61:62], -v[119:120]
	v_fma_f64 v[119:120], v[17:18], v[61:62], v[121:122]
	;; [unrolled: 2-line block ×6, first 2 shown]
	s_waitcnt vmcnt(62)
	v_add_f64 v[61:62], v[35:36], -v[0:1]
	v_add_f64 v[115:116], v[37:38], -v[115:116]
	ds_read2_b64 v[0:3], v11 offset0:100 offset1:101
	ds_read2_b64 v[15:18], v11 offset0:102 offset1:103
	v_add_f64 v[117:118], v[39:40], -v[117:118]
	v_add_f64 v[119:120], v[41:42], -v[119:120]
	;; [unrolled: 1-line block ×4, first 2 shown]
	ds_read2_b64 v[19:22], v11 offset0:104 offset1:105
	ds_read2_b64 v[23:26], v11 offset0:106 offset1:107
	v_add_f64 v[125:126], v[47:48], -v[125:126]
	s_waitcnt vmcnt(60)
	v_add_f64 v[127:128], v[49:50], -v[127:128]
	s_waitcnt vmcnt(58)
	;; [unrolled: 2-line block ×3, first 2 shown]
	v_add_f64 v[131:132], v[53:54], -v[131:132]
	ds_read2_b64 v[27:30], v11 offset0:108 offset1:109
	ds_read2_b64 v[31:34], v11 offset0:110 offset1:111
	s_waitcnt vmcnt(54)
	v_add_f64 v[55:56], v[55:56], -v[133:134]
	ds_read2_b64 v[35:38], v11 offset0:112 offset1:113
	ds_read2_b64 v[39:42], v11 offset0:114 offset1:115
	;; [unrolled: 1-line block ×5, first 2 shown]
	s_waitcnt vmcnt(52)
	v_add_f64 v[57:58], v[57:58], -v[59:60]
	buffer_store_dword v61, off, s[0:3], 0 offset:704
	buffer_store_dword v62, off, s[0:3], 0 offset:708
	;; [unrolled: 1-line block ×24, first 2 shown]
	s_waitcnt vmcnt(50) lgkmcnt(10)
	v_mul_f64 v[55:56], v[2:3], v[63:64]
	v_mul_f64 v[57:58], v[0:1], v[63:64]
	s_waitcnt lgkmcnt(9)
	v_mul_f64 v[59:60], v[17:18], v[63:64]
	v_mul_f64 v[61:62], v[15:16], v[63:64]
	s_waitcnt lgkmcnt(8)
	;; [unrolled: 3-line block ×5, first 2 shown]
	v_mul_f64 v[127:128], v[33:34], v[63:64]
	v_mul_f64 v[63:64], v[31:32], v[63:64]
	s_waitcnt vmcnt(48) lgkmcnt(4)
	v_mul_f64 v[129:130], v[37:38], v[65:66]
	v_mul_f64 v[131:132], v[35:36], v[65:66]
	s_waitcnt lgkmcnt(3)
	v_mul_f64 v[133:134], v[41:42], v[65:66]
	v_mul_f64 v[135:136], v[39:40], v[65:66]
	s_waitcnt lgkmcnt(2)
	;; [unrolled: 3-line block ×4, first 2 shown]
	v_mul_f64 v[148:149], v[53:54], v[65:66]
	v_mul_f64 v[65:66], v[51:52], v[65:66]
	s_waitcnt vmcnt(46)
	v_fma_f64 v[0:1], v[0:1], v[67:68], -v[55:56]
	v_fma_f64 v[2:3], v[2:3], v[67:68], v[57:58]
	v_fma_f64 v[15:16], v[15:16], v[67:68], -v[59:60]
	v_fma_f64 v[17:18], v[17:18], v[67:68], v[61:62]
	;; [unrolled: 2-line block ×6, first 2 shown]
	s_waitcnt vmcnt(32)
	v_fma_f64 v[35:36], v[35:36], v[81:82], -v[129:130]
	v_fma_f64 v[37:38], v[37:38], v[81:82], v[131:132]
	v_fma_f64 v[39:40], v[39:40], v[81:82], -v[133:134]
	v_fma_f64 v[41:42], v[41:42], v[81:82], v[135:136]
	;; [unrolled: 2-line block ×5, first 2 shown]
	v_add_f64 v[0:1], v[69:70], -v[0:1]
	v_add_f64 v[2:3], v[71:72], -v[2:3]
	v_add_f64 v[15:16], v[73:74], -v[15:16]
	v_add_f64 v[17:18], v[75:76], -v[17:18]
	v_add_f64 v[19:20], v[77:78], -v[19:20]
	v_add_f64 v[21:22], v[79:80], -v[21:22]
	s_waitcnt vmcnt(30)
	v_add_f64 v[23:24], v[83:84], -v[23:24]
	s_waitcnt vmcnt(28)
	v_add_f64 v[25:26], v[85:86], -v[25:26]
	;; [unrolled: 2-line block ×7, first 2 shown]
	v_add_f64 v[37:38], v[97:98], -v[37:38]
	s_waitcnt vmcnt(14)
	v_add_f64 v[39:40], v[99:100], -v[39:40]
	s_waitcnt vmcnt(12)
	;; [unrolled: 2-line block ×8, first 2 shown]
	v_add_f64 v[53:54], v[113:114], -v[53:54]
	buffer_store_dword v1, off, s[0:3], 0 offset:804
	buffer_store_dword v0, off, s[0:3], 0 offset:800
	;; [unrolled: 1-line block ×44, first 2 shown]
.LBB120_1046:
	s_or_b32 exec_lo, exec_lo, s4
	v_mov_b32_e32 v3, s35
	s_waitcnt_vscnt null, 0x0
	s_barrier
	buffer_gl0_inv
	v_lshl_add_u32 v4, v14, 4, v11
	s_clause 0x3
	buffer_load_dword v0, v3, s[0:3], 0 offen
	buffer_load_dword v1, v3, s[0:3], 0 offen offset:4
	buffer_load_dword v2, v3, s[0:3], 0 offen offset:8
	;; [unrolled: 1-line block ×3, first 2 shown]
	v_mov_b32_e32 v9, 44
	s_cmp_lt_i32 s56, 46
	s_waitcnt vmcnt(0)
	ds_write2_b64 v4, v[0:1], v[2:3] offset1:1
	s_waitcnt lgkmcnt(0)
	s_barrier
	buffer_gl0_inv
	ds_read2_b64 v[0:3], v11 offset0:88 offset1:89
	s_cbranch_scc1 .LBB120_1049
; %bb.1047:
	v_add3_u32 v4, v13, 0, 0x2d0
	v_mov_b32_e32 v9, 44
	s_mov_b32 s16, 45
	s_inst_prefetch 0x1
	.p2align	6
.LBB120_1048:                           ; =>This Inner Loop Header: Depth=1
	s_waitcnt lgkmcnt(0)
	v_cmp_gt_f64_e32 vcc_lo, 0, v[2:3]
	v_cmp_gt_f64_e64 s4, 0, v[0:1]
	ds_read2_b64 v[15:18], v4 offset1:1
	v_xor_b32_e32 v20, 0x80000000, v1
	v_xor_b32_e32 v22, 0x80000000, v3
	v_mov_b32_e32 v19, v0
	v_mov_b32_e32 v21, v2
	v_add_nc_u32_e32 v4, 16, v4
	s_waitcnt lgkmcnt(0)
	v_xor_b32_e32 v24, 0x80000000, v18
	v_cndmask_b32_e64 v20, v1, v20, s4
	v_cndmask_b32_e32 v22, v3, v22, vcc_lo
	v_cmp_gt_f64_e32 vcc_lo, 0, v[17:18]
	v_cmp_gt_f64_e64 s4, 0, v[15:16]
	v_mov_b32_e32 v23, v17
	v_add_f64 v[19:20], v[19:20], v[21:22]
	v_xor_b32_e32 v22, 0x80000000, v16
	v_mov_b32_e32 v21, v15
	v_cndmask_b32_e32 v24, v18, v24, vcc_lo
	v_cndmask_b32_e64 v22, v16, v22, s4
	v_add_f64 v[21:22], v[21:22], v[23:24]
	v_cmp_lt_f64_e32 vcc_lo, v[19:20], v[21:22]
	v_cndmask_b32_e32 v1, v1, v16, vcc_lo
	v_cndmask_b32_e32 v0, v0, v15, vcc_lo
	;; [unrolled: 1-line block ×4, first 2 shown]
	v_cndmask_b32_e64 v9, v9, s16, vcc_lo
	s_add_i32 s16, s16, 1
	s_cmp_lg_u32 s56, s16
	s_cbranch_scc1 .LBB120_1048
.LBB120_1049:
	s_inst_prefetch 0x2
	s_waitcnt lgkmcnt(0)
	v_cmp_eq_f64_e32 vcc_lo, 0, v[0:1]
	v_cmp_eq_f64_e64 s4, 0, v[2:3]
	s_and_b32 s4, vcc_lo, s4
	s_and_saveexec_b32 s16, s4
	s_xor_b32 s4, exec_lo, s16
; %bb.1050:
	v_cmp_ne_u32_e32 vcc_lo, 0, v12
	v_cndmask_b32_e32 v12, 45, v12, vcc_lo
; %bb.1051:
	s_andn2_saveexec_b32 s4, s4
	s_cbranch_execz .LBB120_1057
; %bb.1052:
	v_cmp_ngt_f64_e64 s16, |v[0:1]|, |v[2:3]|
	s_and_saveexec_b32 s17, s16
	s_xor_b32 s16, exec_lo, s17
	s_cbranch_execz .LBB120_1054
; %bb.1053:
	v_div_scale_f64 v[15:16], null, v[2:3], v[2:3], v[0:1]
	v_div_scale_f64 v[21:22], vcc_lo, v[0:1], v[2:3], v[0:1]
	v_rcp_f64_e32 v[17:18], v[15:16]
	v_fma_f64 v[19:20], -v[15:16], v[17:18], 1.0
	v_fma_f64 v[17:18], v[17:18], v[19:20], v[17:18]
	v_fma_f64 v[19:20], -v[15:16], v[17:18], 1.0
	v_fma_f64 v[17:18], v[17:18], v[19:20], v[17:18]
	v_mul_f64 v[19:20], v[21:22], v[17:18]
	v_fma_f64 v[15:16], -v[15:16], v[19:20], v[21:22]
	v_div_fmas_f64 v[15:16], v[15:16], v[17:18], v[19:20]
	v_div_fixup_f64 v[15:16], v[15:16], v[2:3], v[0:1]
	v_fma_f64 v[0:1], v[0:1], v[15:16], v[2:3]
	v_div_scale_f64 v[2:3], null, v[0:1], v[0:1], 1.0
	v_rcp_f64_e32 v[17:18], v[2:3]
	v_fma_f64 v[19:20], -v[2:3], v[17:18], 1.0
	v_fma_f64 v[17:18], v[17:18], v[19:20], v[17:18]
	v_fma_f64 v[19:20], -v[2:3], v[17:18], 1.0
	v_fma_f64 v[17:18], v[17:18], v[19:20], v[17:18]
	v_div_scale_f64 v[19:20], vcc_lo, 1.0, v[0:1], 1.0
	v_mul_f64 v[21:22], v[19:20], v[17:18]
	v_fma_f64 v[2:3], -v[2:3], v[21:22], v[19:20]
	v_div_fmas_f64 v[2:3], v[2:3], v[17:18], v[21:22]
	v_div_fixup_f64 v[2:3], v[2:3], v[0:1], 1.0
	v_mul_f64 v[0:1], v[15:16], v[2:3]
	v_xor_b32_e32 v3, 0x80000000, v3
.LBB120_1054:
	s_andn2_saveexec_b32 s16, s16
	s_cbranch_execz .LBB120_1056
; %bb.1055:
	v_div_scale_f64 v[15:16], null, v[0:1], v[0:1], v[2:3]
	v_div_scale_f64 v[21:22], vcc_lo, v[2:3], v[0:1], v[2:3]
	v_rcp_f64_e32 v[17:18], v[15:16]
	v_fma_f64 v[19:20], -v[15:16], v[17:18], 1.0
	v_fma_f64 v[17:18], v[17:18], v[19:20], v[17:18]
	v_fma_f64 v[19:20], -v[15:16], v[17:18], 1.0
	v_fma_f64 v[17:18], v[17:18], v[19:20], v[17:18]
	v_mul_f64 v[19:20], v[21:22], v[17:18]
	v_fma_f64 v[15:16], -v[15:16], v[19:20], v[21:22]
	v_div_fmas_f64 v[15:16], v[15:16], v[17:18], v[19:20]
	v_div_fixup_f64 v[15:16], v[15:16], v[0:1], v[2:3]
	v_fma_f64 v[0:1], v[2:3], v[15:16], v[0:1]
	v_div_scale_f64 v[2:3], null, v[0:1], v[0:1], 1.0
	v_rcp_f64_e32 v[17:18], v[2:3]
	v_fma_f64 v[19:20], -v[2:3], v[17:18], 1.0
	v_fma_f64 v[17:18], v[17:18], v[19:20], v[17:18]
	v_fma_f64 v[19:20], -v[2:3], v[17:18], 1.0
	v_fma_f64 v[17:18], v[17:18], v[19:20], v[17:18]
	v_div_scale_f64 v[19:20], vcc_lo, 1.0, v[0:1], 1.0
	v_mul_f64 v[21:22], v[19:20], v[17:18]
	v_fma_f64 v[2:3], -v[2:3], v[21:22], v[19:20]
	v_div_fmas_f64 v[2:3], v[2:3], v[17:18], v[21:22]
	v_div_fixup_f64 v[0:1], v[2:3], v[0:1], 1.0
	v_mul_f64 v[2:3], v[15:16], -v[0:1]
.LBB120_1056:
	s_or_b32 exec_lo, exec_lo, s16
.LBB120_1057:
	s_or_b32 exec_lo, exec_lo, s4
	s_mov_b32 s4, exec_lo
	v_cmpx_ne_u32_e64 v14, v9
	s_xor_b32 s4, exec_lo, s4
	s_cbranch_execz .LBB120_1063
; %bb.1058:
	s_mov_b32 s16, exec_lo
	v_cmpx_eq_u32_e32 44, v14
	s_cbranch_execz .LBB120_1062
; %bb.1059:
	v_cmp_ne_u32_e32 vcc_lo, 44, v9
	s_xor_b32 s17, s20, -1
	s_and_b32 s57, s17, vcc_lo
	s_and_saveexec_b32 s17, s57
	s_cbranch_execz .LBB120_1061
; %bb.1060:
	v_ashrrev_i32_e32 v10, 31, v9
	v_lshlrev_b64 v[14:15], 2, v[9:10]
	v_add_co_u32 v14, vcc_lo, v7, v14
	v_add_co_ci_u32_e64 v15, null, v8, v15, vcc_lo
	s_clause 0x1
	global_load_dword v4, v[14:15], off
	global_load_dword v10, v[7:8], off offset:176
	s_waitcnt vmcnt(1)
	global_store_dword v[7:8], v4, off offset:176
	s_waitcnt vmcnt(0)
	global_store_dword v[14:15], v10, off
.LBB120_1061:
	s_or_b32 exec_lo, exec_lo, s17
	v_mov_b32_e32 v14, v9
	v_mov_b32_e32 v10, v9
.LBB120_1062:
	s_or_b32 exec_lo, exec_lo, s16
.LBB120_1063:
	s_andn2_saveexec_b32 s4, s4
	s_cbranch_execz .LBB120_1065
; %bb.1064:
	v_mov_b32_e32 v4, s34
	v_mov_b32_e32 v14, s31
	v_mov_b32_e32 v9, s33
	s_clause 0x7
	buffer_load_dword v15, v4, s[0:3], 0 offen
	buffer_load_dword v16, v4, s[0:3], 0 offen offset:4
	buffer_load_dword v17, v4, s[0:3], 0 offen offset:8
	buffer_load_dword v18, v4, s[0:3], 0 offen offset:12
	buffer_load_dword v19, v9, s[0:3], 0 offen
	buffer_load_dword v20, v9, s[0:3], 0 offen offset:4
	buffer_load_dword v21, v9, s[0:3], 0 offen offset:8
	buffer_load_dword v22, v9, s[0:3], 0 offen offset:12
	v_mov_b32_e32 v4, s30
	v_mov_b32_e32 v9, s29
	s_clause 0x7
	buffer_load_dword v23, v14, s[0:3], 0 offen
	buffer_load_dword v24, v14, s[0:3], 0 offen offset:4
	buffer_load_dword v25, v14, s[0:3], 0 offen offset:8
	buffer_load_dword v26, v14, s[0:3], 0 offen offset:12
	buffer_load_dword v27, v4, s[0:3], 0 offen
	buffer_load_dword v28, v4, s[0:3], 0 offen offset:4
	buffer_load_dword v29, v4, s[0:3], 0 offen offset:8
	buffer_load_dword v30, v4, s[0:3], 0 offen offset:12
	v_mov_b32_e32 v14, s27
	v_mov_b32_e32 v4, s28
	;; [unrolled: 11-line block ×6, first 2 shown]
	s_clause 0x7
	buffer_load_dword v63, v9, s[0:3], 0 offen
	buffer_load_dword v64, v9, s[0:3], 0 offen offset:4
	buffer_load_dword v65, v9, s[0:3], 0 offen offset:8
	;; [unrolled: 1-line block ×3, first 2 shown]
	buffer_load_dword v67, v4, s[0:3], 0 offen
	buffer_load_dword v68, v4, s[0:3], 0 offen offset:4
	buffer_load_dword v69, v4, s[0:3], 0 offen offset:8
	;; [unrolled: 1-line block ×3, first 2 shown]
	v_mov_b32_e32 v4, s5
	s_clause 0x7
	buffer_load_dword v71, v14, s[0:3], 0 offen
	buffer_load_dword v72, v14, s[0:3], 0 offen offset:4
	buffer_load_dword v73, v14, s[0:3], 0 offen offset:8
	;; [unrolled: 1-line block ×3, first 2 shown]
	buffer_load_dword v75, v4, s[0:3], 0 offen
	buffer_load_dword v76, v4, s[0:3], 0 offen offset:4
	buffer_load_dword v77, v4, s[0:3], 0 offen offset:8
	;; [unrolled: 1-line block ×3, first 2 shown]
	v_mov_b32_e32 v14, 44
	s_waitcnt vmcnt(60)
	ds_write2_b64 v11, v[15:16], v[17:18] offset0:90 offset1:91
	s_waitcnt vmcnt(56)
	ds_write2_b64 v11, v[19:20], v[21:22] offset0:92 offset1:93
	;; [unrolled: 2-line block ×16, first 2 shown]
.LBB120_1065:
	s_or_b32 exec_lo, exec_lo, s4
	s_mov_b32 s4, exec_lo
	s_waitcnt lgkmcnt(0)
	s_waitcnt_vscnt null, 0x0
	s_barrier
	buffer_gl0_inv
	v_cmpx_lt_i32_e32 44, v14
	s_cbranch_execz .LBB120_1067
; %bb.1066:
	s_clause 0x1b
	buffer_load_dword v15, off, s[0:3], 0 offset:712
	buffer_load_dword v16, off, s[0:3], 0 offset:716
	;; [unrolled: 1-line block ×28, first 2 shown]
	s_waitcnt vmcnt(26)
	v_mul_f64 v[19:20], v[0:1], v[15:16]
	v_mul_f64 v[15:16], v[2:3], v[15:16]
	s_waitcnt vmcnt(24)
	v_fma_f64 v[47:48], v[2:3], v[17:18], v[19:20]
	v_fma_f64 v[61:62], v[0:1], v[17:18], -v[15:16]
	buffer_store_dword v47, off, s[0:3], 0 offset:712
	buffer_store_dword v48, off, s[0:3], 0 offset:716
	s_clause 0x3
	buffer_load_dword v63, off, s[0:3], 0 offset:712
	buffer_load_dword v64, off, s[0:3], 0 offset:716
	buffer_load_dword v66, off, s[0:3], 0 offset:716
	buffer_load_dword v65, off, s[0:3], 0 offset:712
	buffer_store_dword v61, off, s[0:3], 0 offset:704
	buffer_store_dword v62, off, s[0:3], 0 offset:708
	s_clause 0x2b
	buffer_load_dword v67, off, s[0:3], 0 offset:704
	buffer_load_dword v68, off, s[0:3], 0 offset:708
	;; [unrolled: 1-line block ×44, first 2 shown]
	ds_read2_b64 v[0:3], v11 offset0:90 offset1:91
	ds_read2_b64 v[15:18], v11 offset0:92 offset1:93
	ds_read2_b64 v[19:22], v11 offset0:94 offset1:95
	ds_read2_b64 v[23:26], v11 offset0:96 offset1:97
	ds_read2_b64 v[27:30], v11 offset0:98 offset1:99
	ds_read2_b64 v[31:34], v11 offset0:100 offset1:101
	s_waitcnt lgkmcnt(5)
	v_mul_f64 v[111:112], v[2:3], v[47:48]
	v_mul_f64 v[113:114], v[0:1], v[47:48]
	s_waitcnt lgkmcnt(4)
	v_mul_f64 v[115:116], v[17:18], v[47:48]
	v_mul_f64 v[117:118], v[15:16], v[47:48]
	s_waitcnt lgkmcnt(3)
	v_mul_f64 v[121:122], v[19:20], v[47:48]
	s_waitcnt lgkmcnt(2)
	;; [unrolled: 2-line block ×3, first 2 shown]
	v_mul_f64 v[129:130], v[27:28], v[47:48]
	v_mul_f64 v[119:120], v[21:22], v[47:48]
	;; [unrolled: 1-line block ×4, first 2 shown]
	s_waitcnt lgkmcnt(0)
	v_mul_f64 v[131:132], v[33:34], v[47:48]
	v_mul_f64 v[47:48], v[31:32], v[47:48]
	v_fma_f64 v[0:1], v[0:1], v[61:62], -v[111:112]
	v_fma_f64 v[2:3], v[2:3], v[61:62], v[113:114]
	v_fma_f64 v[111:112], v[15:16], v[61:62], -v[115:116]
	v_fma_f64 v[113:114], v[17:18], v[61:62], v[117:118]
	v_fma_f64 v[117:118], v[21:22], v[61:62], v[121:122]
	;; [unrolled: 1-line block ×4, first 2 shown]
	v_fma_f64 v[115:116], v[19:20], v[61:62], -v[119:120]
	v_fma_f64 v[119:120], v[23:24], v[61:62], -v[123:124]
	;; [unrolled: 1-line block ×4, first 2 shown]
	v_fma_f64 v[61:62], v[33:34], v[61:62], v[47:48]
	s_waitcnt vmcnt(62)
	v_add_f64 v[129:130], v[35:36], -v[0:1]
	v_add_f64 v[131:132], v[37:38], -v[2:3]
	ds_read2_b64 v[0:3], v11 offset0:102 offset1:103
	ds_read2_b64 v[15:18], v11 offset0:104 offset1:105
	v_add_f64 v[111:112], v[39:40], -v[111:112]
	v_add_f64 v[113:114], v[41:42], -v[113:114]
	s_waitcnt vmcnt(60)
	v_add_f64 v[117:118], v[45:46], -v[117:118]
	s_waitcnt vmcnt(52)
	v_add_f64 v[55:56], v[55:56], -v[125:126]
	v_add_f64 v[115:116], v[43:44], -v[115:116]
	ds_read2_b64 v[19:22], v11 offset0:106 offset1:107
	ds_read2_b64 v[23:26], v11 offset0:108 offset1:109
	v_add_f64 v[119:120], v[49:50], -v[119:120]
	v_add_f64 v[51:52], v[51:52], -v[121:122]
	;; [unrolled: 1-line block ×3, first 2 shown]
	ds_read2_b64 v[27:30], v11 offset0:110 offset1:111
	ds_read2_b64 v[31:34], v11 offset0:112 offset1:113
	ds_read2_b64 v[35:38], v11 offset0:114 offset1:115
	ds_read2_b64 v[39:42], v11 offset0:116 offset1:117
	ds_read2_b64 v[43:46], v11 offset0:118 offset1:119
	ds_read2_b64 v[47:50], v11 offset0:120 offset1:121
	s_waitcnt vmcnt(48)
	v_add_f64 v[59:60], v[59:60], -v[61:62]
	v_add_f64 v[57:58], v[57:58], -v[127:128]
	buffer_store_dword v129, off, s[0:3], 0 offset:720
	buffer_store_dword v130, off, s[0:3], 0 offset:724
	;; [unrolled: 1-line block ×24, first 2 shown]
	s_waitcnt vmcnt(46) lgkmcnt(9)
	v_mul_f64 v[51:52], v[2:3], v[63:64]
	v_mul_f64 v[53:54], v[0:1], v[63:64]
	s_waitcnt lgkmcnt(8)
	v_mul_f64 v[55:56], v[17:18], v[63:64]
	v_mul_f64 v[61:62], v[15:16], v[63:64]
	s_waitcnt lgkmcnt(7)
	;; [unrolled: 3-line block ×5, first 2 shown]
	v_mul_f64 v[123:124], v[33:34], v[63:64]
	v_mul_f64 v[63:64], v[31:32], v[63:64]
	s_waitcnt vmcnt(44) lgkmcnt(3)
	v_mul_f64 v[125:126], v[37:38], v[65:66]
	v_mul_f64 v[127:128], v[35:36], v[65:66]
	s_waitcnt lgkmcnt(2)
	v_mul_f64 v[129:130], v[41:42], v[65:66]
	v_mul_f64 v[131:132], v[39:40], v[65:66]
	s_waitcnt lgkmcnt(1)
	;; [unrolled: 3-line block ×3, first 2 shown]
	v_mul_f64 v[137:138], v[49:50], v[65:66]
	v_mul_f64 v[65:66], v[47:48], v[65:66]
	s_waitcnt vmcnt(42)
	v_fma_f64 v[0:1], v[0:1], v[67:68], -v[51:52]
	v_fma_f64 v[2:3], v[2:3], v[67:68], v[53:54]
	v_fma_f64 v[15:16], v[15:16], v[67:68], -v[55:56]
	v_fma_f64 v[17:18], v[17:18], v[67:68], v[61:62]
	v_fma_f64 v[19:20], v[19:20], v[67:68], -v[111:112]
	v_fma_f64 v[21:22], v[21:22], v[67:68], v[113:114]
	v_fma_f64 v[23:24], v[23:24], v[67:68], -v[115:116]
	v_fma_f64 v[25:26], v[25:26], v[67:68], v[117:118]
	v_fma_f64 v[27:28], v[27:28], v[67:68], -v[119:120]
	v_fma_f64 v[29:30], v[29:30], v[67:68], v[121:122]
	v_fma_f64 v[31:32], v[31:32], v[67:68], -v[123:124]
	v_fma_f64 v[33:34], v[33:34], v[67:68], v[63:64]
	s_waitcnt vmcnt(36)
	v_fma_f64 v[35:36], v[35:36], v[73:74], -v[125:126]
	v_fma_f64 v[37:38], v[37:38], v[73:74], v[127:128]
	v_fma_f64 v[39:40], v[39:40], v[73:74], -v[129:130]
	v_fma_f64 v[41:42], v[41:42], v[73:74], v[131:132]
	;; [unrolled: 2-line block ×4, first 2 shown]
	v_add_f64 v[0:1], v[69:70], -v[0:1]
	v_add_f64 v[2:3], v[71:72], -v[2:3]
	s_waitcnt vmcnt(34)
	v_add_f64 v[15:16], v[75:76], -v[15:16]
	s_waitcnt vmcnt(32)
	;; [unrolled: 2-line block ×11, first 2 shown]
	v_add_f64 v[35:36], v[95:96], -v[35:36]
	v_add_f64 v[37:38], v[97:98], -v[37:38]
	s_waitcnt vmcnt(10)
	v_add_f64 v[39:40], v[99:100], -v[39:40]
	s_waitcnt vmcnt(8)
	;; [unrolled: 2-line block ×6, first 2 shown]
	v_add_f64 v[49:50], v[109:110], -v[49:50]
	buffer_store_dword v1, off, s[0:3], 0 offset:820
	buffer_store_dword v0, off, s[0:3], 0 offset:816
	;; [unrolled: 1-line block ×40, first 2 shown]
.LBB120_1067:
	s_or_b32 exec_lo, exec_lo, s4
	v_mov_b32_e32 v3, s34
	s_waitcnt_vscnt null, 0x0
	s_barrier
	buffer_gl0_inv
	v_lshl_add_u32 v4, v14, 4, v11
	s_clause 0x3
	buffer_load_dword v0, v3, s[0:3], 0 offen
	buffer_load_dword v1, v3, s[0:3], 0 offen offset:4
	buffer_load_dword v2, v3, s[0:3], 0 offen offset:8
	buffer_load_dword v3, v3, s[0:3], 0 offen offset:12
	v_mov_b32_e32 v9, 45
	s_cmp_lt_i32 s56, 47
	s_waitcnt vmcnt(0)
	ds_write2_b64 v4, v[0:1], v[2:3] offset1:1
	s_waitcnt lgkmcnt(0)
	s_barrier
	buffer_gl0_inv
	ds_read2_b64 v[0:3], v11 offset0:90 offset1:91
	s_cbranch_scc1 .LBB120_1070
; %bb.1068:
	v_add3_u32 v4, v13, 0, 0x2e0
	v_mov_b32_e32 v9, 45
	s_mov_b32 s16, 46
	s_inst_prefetch 0x1
	.p2align	6
.LBB120_1069:                           ; =>This Inner Loop Header: Depth=1
	s_waitcnt lgkmcnt(0)
	v_cmp_gt_f64_e32 vcc_lo, 0, v[2:3]
	v_cmp_gt_f64_e64 s4, 0, v[0:1]
	ds_read2_b64 v[15:18], v4 offset1:1
	v_xor_b32_e32 v20, 0x80000000, v1
	v_xor_b32_e32 v22, 0x80000000, v3
	v_mov_b32_e32 v19, v0
	v_mov_b32_e32 v21, v2
	v_add_nc_u32_e32 v4, 16, v4
	s_waitcnt lgkmcnt(0)
	v_xor_b32_e32 v24, 0x80000000, v18
	v_cndmask_b32_e64 v20, v1, v20, s4
	v_cndmask_b32_e32 v22, v3, v22, vcc_lo
	v_cmp_gt_f64_e32 vcc_lo, 0, v[17:18]
	v_cmp_gt_f64_e64 s4, 0, v[15:16]
	v_mov_b32_e32 v23, v17
	v_add_f64 v[19:20], v[19:20], v[21:22]
	v_xor_b32_e32 v22, 0x80000000, v16
	v_mov_b32_e32 v21, v15
	v_cndmask_b32_e32 v24, v18, v24, vcc_lo
	v_cndmask_b32_e64 v22, v16, v22, s4
	v_add_f64 v[21:22], v[21:22], v[23:24]
	v_cmp_lt_f64_e32 vcc_lo, v[19:20], v[21:22]
	v_cndmask_b32_e32 v1, v1, v16, vcc_lo
	v_cndmask_b32_e32 v0, v0, v15, vcc_lo
	;; [unrolled: 1-line block ×4, first 2 shown]
	v_cndmask_b32_e64 v9, v9, s16, vcc_lo
	s_add_i32 s16, s16, 1
	s_cmp_lg_u32 s56, s16
	s_cbranch_scc1 .LBB120_1069
.LBB120_1070:
	s_inst_prefetch 0x2
	s_waitcnt lgkmcnt(0)
	v_cmp_eq_f64_e32 vcc_lo, 0, v[0:1]
	v_cmp_eq_f64_e64 s4, 0, v[2:3]
	s_and_b32 s4, vcc_lo, s4
	s_and_saveexec_b32 s16, s4
	s_xor_b32 s4, exec_lo, s16
; %bb.1071:
	v_cmp_ne_u32_e32 vcc_lo, 0, v12
	v_cndmask_b32_e32 v12, 46, v12, vcc_lo
; %bb.1072:
	s_andn2_saveexec_b32 s4, s4
	s_cbranch_execz .LBB120_1078
; %bb.1073:
	v_cmp_ngt_f64_e64 s16, |v[0:1]|, |v[2:3]|
	s_and_saveexec_b32 s17, s16
	s_xor_b32 s16, exec_lo, s17
	s_cbranch_execz .LBB120_1075
; %bb.1074:
	v_div_scale_f64 v[15:16], null, v[2:3], v[2:3], v[0:1]
	v_div_scale_f64 v[21:22], vcc_lo, v[0:1], v[2:3], v[0:1]
	v_rcp_f64_e32 v[17:18], v[15:16]
	v_fma_f64 v[19:20], -v[15:16], v[17:18], 1.0
	v_fma_f64 v[17:18], v[17:18], v[19:20], v[17:18]
	v_fma_f64 v[19:20], -v[15:16], v[17:18], 1.0
	v_fma_f64 v[17:18], v[17:18], v[19:20], v[17:18]
	v_mul_f64 v[19:20], v[21:22], v[17:18]
	v_fma_f64 v[15:16], -v[15:16], v[19:20], v[21:22]
	v_div_fmas_f64 v[15:16], v[15:16], v[17:18], v[19:20]
	v_div_fixup_f64 v[15:16], v[15:16], v[2:3], v[0:1]
	v_fma_f64 v[0:1], v[0:1], v[15:16], v[2:3]
	v_div_scale_f64 v[2:3], null, v[0:1], v[0:1], 1.0
	v_rcp_f64_e32 v[17:18], v[2:3]
	v_fma_f64 v[19:20], -v[2:3], v[17:18], 1.0
	v_fma_f64 v[17:18], v[17:18], v[19:20], v[17:18]
	v_fma_f64 v[19:20], -v[2:3], v[17:18], 1.0
	v_fma_f64 v[17:18], v[17:18], v[19:20], v[17:18]
	v_div_scale_f64 v[19:20], vcc_lo, 1.0, v[0:1], 1.0
	v_mul_f64 v[21:22], v[19:20], v[17:18]
	v_fma_f64 v[2:3], -v[2:3], v[21:22], v[19:20]
	v_div_fmas_f64 v[2:3], v[2:3], v[17:18], v[21:22]
	v_div_fixup_f64 v[2:3], v[2:3], v[0:1], 1.0
	v_mul_f64 v[0:1], v[15:16], v[2:3]
	v_xor_b32_e32 v3, 0x80000000, v3
.LBB120_1075:
	s_andn2_saveexec_b32 s16, s16
	s_cbranch_execz .LBB120_1077
; %bb.1076:
	v_div_scale_f64 v[15:16], null, v[0:1], v[0:1], v[2:3]
	v_div_scale_f64 v[21:22], vcc_lo, v[2:3], v[0:1], v[2:3]
	v_rcp_f64_e32 v[17:18], v[15:16]
	v_fma_f64 v[19:20], -v[15:16], v[17:18], 1.0
	v_fma_f64 v[17:18], v[17:18], v[19:20], v[17:18]
	v_fma_f64 v[19:20], -v[15:16], v[17:18], 1.0
	v_fma_f64 v[17:18], v[17:18], v[19:20], v[17:18]
	v_mul_f64 v[19:20], v[21:22], v[17:18]
	v_fma_f64 v[15:16], -v[15:16], v[19:20], v[21:22]
	v_div_fmas_f64 v[15:16], v[15:16], v[17:18], v[19:20]
	v_div_fixup_f64 v[15:16], v[15:16], v[0:1], v[2:3]
	v_fma_f64 v[0:1], v[2:3], v[15:16], v[0:1]
	v_div_scale_f64 v[2:3], null, v[0:1], v[0:1], 1.0
	v_rcp_f64_e32 v[17:18], v[2:3]
	v_fma_f64 v[19:20], -v[2:3], v[17:18], 1.0
	v_fma_f64 v[17:18], v[17:18], v[19:20], v[17:18]
	v_fma_f64 v[19:20], -v[2:3], v[17:18], 1.0
	v_fma_f64 v[17:18], v[17:18], v[19:20], v[17:18]
	v_div_scale_f64 v[19:20], vcc_lo, 1.0, v[0:1], 1.0
	v_mul_f64 v[21:22], v[19:20], v[17:18]
	v_fma_f64 v[2:3], -v[2:3], v[21:22], v[19:20]
	v_div_fmas_f64 v[2:3], v[2:3], v[17:18], v[21:22]
	v_div_fixup_f64 v[0:1], v[2:3], v[0:1], 1.0
	v_mul_f64 v[2:3], v[15:16], -v[0:1]
.LBB120_1077:
	s_or_b32 exec_lo, exec_lo, s16
.LBB120_1078:
	s_or_b32 exec_lo, exec_lo, s4
	s_mov_b32 s4, exec_lo
	v_cmpx_ne_u32_e64 v14, v9
	s_xor_b32 s4, exec_lo, s4
	s_cbranch_execz .LBB120_1084
; %bb.1079:
	s_mov_b32 s16, exec_lo
	v_cmpx_eq_u32_e32 45, v14
	s_cbranch_execz .LBB120_1083
; %bb.1080:
	v_cmp_ne_u32_e32 vcc_lo, 45, v9
	s_xor_b32 s17, s20, -1
	s_and_b32 s57, s17, vcc_lo
	s_and_saveexec_b32 s17, s57
	s_cbranch_execz .LBB120_1082
; %bb.1081:
	v_ashrrev_i32_e32 v10, 31, v9
	v_lshlrev_b64 v[14:15], 2, v[9:10]
	v_add_co_u32 v14, vcc_lo, v7, v14
	v_add_co_ci_u32_e64 v15, null, v8, v15, vcc_lo
	s_clause 0x1
	global_load_dword v4, v[14:15], off
	global_load_dword v10, v[7:8], off offset:180
	s_waitcnt vmcnt(1)
	global_store_dword v[7:8], v4, off offset:180
	s_waitcnt vmcnt(0)
	global_store_dword v[14:15], v10, off
.LBB120_1082:
	s_or_b32 exec_lo, exec_lo, s17
	v_mov_b32_e32 v14, v9
	v_mov_b32_e32 v10, v9
.LBB120_1083:
	s_or_b32 exec_lo, exec_lo, s16
.LBB120_1084:
	s_andn2_saveexec_b32 s4, s4
	s_cbranch_execz .LBB120_1086
; %bb.1085:
	v_mov_b32_e32 v4, s33
	v_mov_b32_e32 v9, s31
	v_mov_b32_e32 v14, s30
	s_clause 0x7
	buffer_load_dword v15, v4, s[0:3], 0 offen
	buffer_load_dword v16, v4, s[0:3], 0 offen offset:4
	buffer_load_dword v17, v4, s[0:3], 0 offen offset:8
	buffer_load_dword v18, v4, s[0:3], 0 offen offset:12
	buffer_load_dword v19, v9, s[0:3], 0 offen
	buffer_load_dword v20, v9, s[0:3], 0 offen offset:4
	buffer_load_dword v21, v9, s[0:3], 0 offen offset:8
	buffer_load_dword v22, v9, s[0:3], 0 offen offset:12
	v_mov_b32_e32 v9, s28
	v_mov_b32_e32 v4, s29
	s_clause 0x7
	buffer_load_dword v23, v14, s[0:3], 0 offen
	buffer_load_dword v24, v14, s[0:3], 0 offen offset:4
	buffer_load_dword v25, v14, s[0:3], 0 offen offset:8
	buffer_load_dword v26, v14, s[0:3], 0 offen offset:12
	buffer_load_dword v27, v4, s[0:3], 0 offen
	buffer_load_dword v28, v4, s[0:3], 0 offen offset:4
	buffer_load_dword v29, v4, s[0:3], 0 offen offset:8
	buffer_load_dword v30, v4, s[0:3], 0 offen offset:12
	v_mov_b32_e32 v4, s27
	v_mov_b32_e32 v14, s26
	;; [unrolled: 11-line block ×6, first 2 shown]
	s_clause 0xb
	buffer_load_dword v63, v9, s[0:3], 0 offen
	buffer_load_dword v64, v9, s[0:3], 0 offen offset:4
	buffer_load_dword v65, v9, s[0:3], 0 offen offset:8
	buffer_load_dword v66, v9, s[0:3], 0 offen offset:12
	buffer_load_dword v67, v4, s[0:3], 0 offen
	buffer_load_dword v68, v4, s[0:3], 0 offen offset:4
	buffer_load_dword v69, v4, s[0:3], 0 offen offset:8
	buffer_load_dword v70, v4, s[0:3], 0 offen offset:12
	;; [unrolled: 4-line block ×3, first 2 shown]
	v_mov_b32_e32 v14, 45
	s_waitcnt vmcnt(56)
	ds_write2_b64 v11, v[15:16], v[17:18] offset0:92 offset1:93
	s_waitcnt vmcnt(52)
	ds_write2_b64 v11, v[19:20], v[21:22] offset0:94 offset1:95
	;; [unrolled: 2-line block ×15, first 2 shown]
.LBB120_1086:
	s_or_b32 exec_lo, exec_lo, s4
	s_mov_b32 s4, exec_lo
	s_waitcnt lgkmcnt(0)
	s_waitcnt_vscnt null, 0x0
	s_barrier
	buffer_gl0_inv
	v_cmpx_lt_i32_e32 45, v14
	s_cbranch_execz .LBB120_1088
; %bb.1087:
	s_clause 0x1b
	buffer_load_dword v15, off, s[0:3], 0 offset:728
	buffer_load_dword v16, off, s[0:3], 0 offset:732
	buffer_load_dword v17, off, s[0:3], 0 offset:720
	buffer_load_dword v18, off, s[0:3], 0 offset:724
	buffer_load_dword v35, off, s[0:3], 0 offset:736
	buffer_load_dword v36, off, s[0:3], 0 offset:740
	buffer_load_dword v37, off, s[0:3], 0 offset:744
	buffer_load_dword v38, off, s[0:3], 0 offset:748
	buffer_load_dword v39, off, s[0:3], 0 offset:752
	buffer_load_dword v40, off, s[0:3], 0 offset:756
	buffer_load_dword v41, off, s[0:3], 0 offset:760
	buffer_load_dword v42, off, s[0:3], 0 offset:764
	buffer_load_dword v43, off, s[0:3], 0 offset:768
	buffer_load_dword v44, off, s[0:3], 0 offset:772
	buffer_load_dword v45, off, s[0:3], 0 offset:776
	buffer_load_dword v46, off, s[0:3], 0 offset:780
	buffer_load_dword v49, off, s[0:3], 0 offset:784
	buffer_load_dword v50, off, s[0:3], 0 offset:788
	buffer_load_dword v51, off, s[0:3], 0 offset:792
	buffer_load_dword v52, off, s[0:3], 0 offset:796
	buffer_load_dword v53, off, s[0:3], 0 offset:800
	buffer_load_dword v54, off, s[0:3], 0 offset:804
	buffer_load_dword v55, off, s[0:3], 0 offset:808
	buffer_load_dword v56, off, s[0:3], 0 offset:812
	buffer_load_dword v57, off, s[0:3], 0 offset:816
	buffer_load_dword v58, off, s[0:3], 0 offset:820
	buffer_load_dword v59, off, s[0:3], 0 offset:824
	buffer_load_dword v60, off, s[0:3], 0 offset:828
	s_waitcnt vmcnt(26)
	v_mul_f64 v[19:20], v[0:1], v[15:16]
	v_mul_f64 v[15:16], v[2:3], v[15:16]
	s_waitcnt vmcnt(24)
	v_fma_f64 v[47:48], v[2:3], v[17:18], v[19:20]
	v_fma_f64 v[61:62], v[0:1], v[17:18], -v[15:16]
	buffer_store_dword v47, off, s[0:3], 0 offset:728
	buffer_store_dword v48, off, s[0:3], 0 offset:732
	s_clause 0x3
	buffer_load_dword v63, off, s[0:3], 0 offset:728
	buffer_load_dword v64, off, s[0:3], 0 offset:732
	;; [unrolled: 1-line block ×4, first 2 shown]
	buffer_store_dword v61, off, s[0:3], 0 offset:720
	buffer_store_dword v62, off, s[0:3], 0 offset:724
	s_clause 0x27
	buffer_load_dword v67, off, s[0:3], 0 offset:720
	buffer_load_dword v68, off, s[0:3], 0 offset:724
	;; [unrolled: 1-line block ×40, first 2 shown]
	ds_read2_b64 v[0:3], v11 offset0:92 offset1:93
	ds_read2_b64 v[15:18], v11 offset0:94 offset1:95
	;; [unrolled: 1-line block ×6, first 2 shown]
	s_waitcnt lgkmcnt(5)
	v_mul_f64 v[107:108], v[2:3], v[47:48]
	v_mul_f64 v[109:110], v[0:1], v[47:48]
	s_waitcnt lgkmcnt(4)
	v_mul_f64 v[111:112], v[17:18], v[47:48]
	s_waitcnt lgkmcnt(2)
	v_mul_f64 v[119:120], v[25:26], v[47:48]
	v_mul_f64 v[113:114], v[15:16], v[47:48]
	;; [unrolled: 1-line block ×5, first 2 shown]
	s_waitcnt lgkmcnt(1)
	v_mul_f64 v[123:124], v[29:30], v[47:48]
	v_mul_f64 v[125:126], v[27:28], v[47:48]
	s_waitcnt lgkmcnt(0)
	v_mul_f64 v[127:128], v[33:34], v[47:48]
	v_mul_f64 v[47:48], v[31:32], v[47:48]
	v_fma_f64 v[0:1], v[0:1], v[61:62], -v[107:108]
	v_fma_f64 v[2:3], v[2:3], v[61:62], v[109:110]
	v_fma_f64 v[15:16], v[15:16], v[61:62], -v[111:112]
	v_fma_f64 v[111:112], v[23:24], v[61:62], -v[119:120]
	v_fma_f64 v[107:108], v[17:18], v[61:62], v[113:114]
	v_fma_f64 v[113:114], v[25:26], v[61:62], v[121:122]
	v_fma_f64 v[19:20], v[19:20], v[61:62], -v[115:116]
	v_fma_f64 v[109:110], v[21:22], v[61:62], v[117:118]
	v_fma_f64 v[115:116], v[27:28], v[61:62], -v[123:124]
	;; [unrolled: 2-line block ×3, first 2 shown]
	v_fma_f64 v[47:48], v[33:34], v[61:62], v[47:48]
	s_waitcnt vmcnt(62)
	v_add_f64 v[61:62], v[35:36], -v[0:1]
	v_add_f64 v[121:122], v[37:38], -v[2:3]
	;; [unrolled: 1-line block ×3, first 2 shown]
	ds_read2_b64 v[0:3], v11 offset0:104 offset1:105
	ds_read2_b64 v[15:18], v11 offset0:106 offset1:107
	s_waitcnt vmcnt(54)
	v_add_f64 v[49:50], v[49:50], -v[111:112]
	v_add_f64 v[107:108], v[41:42], -v[107:108]
	s_waitcnt vmcnt(52)
	v_add_f64 v[51:52], v[51:52], -v[113:114]
	v_add_f64 v[125:126], v[43:44], -v[19:20]
	ds_read2_b64 v[19:22], v11 offset0:108 offset1:109
	ds_read2_b64 v[23:26], v11 offset0:110 offset1:111
	v_add_f64 v[109:110], v[45:46], -v[109:110]
	ds_read2_b64 v[27:30], v11 offset0:112 offset1:113
	ds_read2_b64 v[31:34], v11 offset0:114 offset1:115
	s_waitcnt vmcnt(44)
	v_add_f64 v[47:48], v[59:60], -v[47:48]
	ds_read2_b64 v[35:38], v11 offset0:116 offset1:117
	ds_read2_b64 v[39:42], v11 offset0:118 offset1:119
	;; [unrolled: 1-line block ×3, first 2 shown]
	v_add_f64 v[53:54], v[53:54], -v[115:116]
	v_add_f64 v[55:56], v[55:56], -v[117:118]
	;; [unrolled: 1-line block ×3, first 2 shown]
	buffer_store_dword v61, off, s[0:3], 0 offset:736
	buffer_store_dword v62, off, s[0:3], 0 offset:740
	;; [unrolled: 1-line block ×24, first 2 shown]
	s_waitcnt vmcnt(42) lgkmcnt(8)
	v_mul_f64 v[59:60], v[2:3], v[63:64]
	v_mul_f64 v[61:62], v[0:1], v[63:64]
	s_waitcnt lgkmcnt(7)
	v_mul_f64 v[49:50], v[17:18], v[63:64]
	v_mul_f64 v[107:108], v[15:16], v[63:64]
	s_waitcnt lgkmcnt(6)
	v_mul_f64 v[51:52], v[21:22], v[63:64]
	v_mul_f64 v[109:110], v[19:20], v[63:64]
	s_waitcnt lgkmcnt(5)
	v_mul_f64 v[111:112], v[25:26], v[63:64]
	v_mul_f64 v[113:114], v[23:24], v[63:64]
	s_waitcnt lgkmcnt(4)
	v_mul_f64 v[115:116], v[29:30], v[63:64]
	v_mul_f64 v[117:118], v[27:28], v[63:64]
	s_waitcnt lgkmcnt(3)
	v_mul_f64 v[119:120], v[33:34], v[63:64]
	v_mul_f64 v[63:64], v[31:32], v[63:64]
	s_waitcnt vmcnt(40) lgkmcnt(2)
	v_mul_f64 v[121:122], v[37:38], v[65:66]
	v_mul_f64 v[123:124], v[35:36], v[65:66]
	s_waitcnt lgkmcnt(1)
	v_mul_f64 v[125:126], v[41:42], v[65:66]
	v_mul_f64 v[127:128], v[39:40], v[65:66]
	s_waitcnt lgkmcnt(0)
	v_mul_f64 v[129:130], v[45:46], v[65:66]
	v_mul_f64 v[65:66], v[43:44], v[65:66]
	s_waitcnt vmcnt(38)
	v_fma_f64 v[0:1], v[0:1], v[67:68], -v[59:60]
	v_fma_f64 v[2:3], v[2:3], v[67:68], v[61:62]
	v_fma_f64 v[15:16], v[15:16], v[67:68], -v[49:50]
	v_fma_f64 v[17:18], v[17:18], v[67:68], v[107:108]
	;; [unrolled: 2-line block ×6, first 2 shown]
	s_waitcnt vmcnt(32)
	v_fma_f64 v[35:36], v[35:36], v[73:74], -v[121:122]
	v_fma_f64 v[37:38], v[37:38], v[73:74], v[123:124]
	v_fma_f64 v[39:40], v[39:40], v[73:74], -v[125:126]
	v_fma_f64 v[41:42], v[41:42], v[73:74], v[127:128]
	;; [unrolled: 2-line block ×3, first 2 shown]
	v_add_f64 v[0:1], v[69:70], -v[0:1]
	v_add_f64 v[2:3], v[71:72], -v[2:3]
	s_waitcnt vmcnt(30)
	v_add_f64 v[15:16], v[75:76], -v[15:16]
	s_waitcnt vmcnt(28)
	;; [unrolled: 2-line block ×11, first 2 shown]
	v_add_f64 v[35:36], v[95:96], -v[35:36]
	v_add_f64 v[37:38], v[97:98], -v[37:38]
	s_waitcnt vmcnt(6)
	v_add_f64 v[39:40], v[99:100], -v[39:40]
	s_waitcnt vmcnt(4)
	;; [unrolled: 2-line block ×4, first 2 shown]
	v_add_f64 v[45:46], v[105:106], -v[45:46]
	buffer_store_dword v1, off, s[0:3], 0 offset:836
	buffer_store_dword v0, off, s[0:3], 0 offset:832
	buffer_store_dword v3, off, s[0:3], 0 offset:844
	buffer_store_dword v2, off, s[0:3], 0 offset:840
	buffer_store_dword v16, off, s[0:3], 0 offset:852
	buffer_store_dword v15, off, s[0:3], 0 offset:848
	buffer_store_dword v18, off, s[0:3], 0 offset:860
	buffer_store_dword v17, off, s[0:3], 0 offset:856
	buffer_store_dword v20, off, s[0:3], 0 offset:868
	buffer_store_dword v19, off, s[0:3], 0 offset:864
	buffer_store_dword v22, off, s[0:3], 0 offset:876
	buffer_store_dword v21, off, s[0:3], 0 offset:872
	buffer_store_dword v24, off, s[0:3], 0 offset:884
	buffer_store_dword v23, off, s[0:3], 0 offset:880
	buffer_store_dword v26, off, s[0:3], 0 offset:892
	buffer_store_dword v25, off, s[0:3], 0 offset:888
	buffer_store_dword v28, off, s[0:3], 0 offset:900
	buffer_store_dword v27, off, s[0:3], 0 offset:896
	buffer_store_dword v30, off, s[0:3], 0 offset:908
	buffer_store_dword v29, off, s[0:3], 0 offset:904
	buffer_store_dword v32, off, s[0:3], 0 offset:916
	buffer_store_dword v31, off, s[0:3], 0 offset:912
	buffer_store_dword v34, off, s[0:3], 0 offset:924
	buffer_store_dword v33, off, s[0:3], 0 offset:920
	buffer_store_dword v36, off, s[0:3], 0 offset:932
	buffer_store_dword v35, off, s[0:3], 0 offset:928
	buffer_store_dword v38, off, s[0:3], 0 offset:940
	buffer_store_dword v37, off, s[0:3], 0 offset:936
	buffer_store_dword v40, off, s[0:3], 0 offset:948
	buffer_store_dword v39, off, s[0:3], 0 offset:944
	buffer_store_dword v42, off, s[0:3], 0 offset:956
	buffer_store_dword v41, off, s[0:3], 0 offset:952
	buffer_store_dword v44, off, s[0:3], 0 offset:964
	buffer_store_dword v43, off, s[0:3], 0 offset:960
	buffer_store_dword v46, off, s[0:3], 0 offset:972
	buffer_store_dword v45, off, s[0:3], 0 offset:968
.LBB120_1088:
	s_or_b32 exec_lo, exec_lo, s4
	v_mov_b32_e32 v3, s33
	s_waitcnt_vscnt null, 0x0
	s_barrier
	buffer_gl0_inv
	v_lshl_add_u32 v4, v14, 4, v11
	s_clause 0x3
	buffer_load_dword v0, v3, s[0:3], 0 offen
	buffer_load_dword v1, v3, s[0:3], 0 offen offset:4
	buffer_load_dword v2, v3, s[0:3], 0 offen offset:8
	;; [unrolled: 1-line block ×3, first 2 shown]
	v_mov_b32_e32 v9, 46
	s_cmp_lt_i32 s56, 48
	s_waitcnt vmcnt(0)
	ds_write2_b64 v4, v[0:1], v[2:3] offset1:1
	s_waitcnt lgkmcnt(0)
	s_barrier
	buffer_gl0_inv
	ds_read2_b64 v[0:3], v11 offset0:92 offset1:93
	s_cbranch_scc1 .LBB120_1091
; %bb.1089:
	v_add3_u32 v4, v13, 0, 0x2f0
	v_mov_b32_e32 v9, 46
	s_mov_b32 s16, 47
	s_inst_prefetch 0x1
	.p2align	6
.LBB120_1090:                           ; =>This Inner Loop Header: Depth=1
	s_waitcnt lgkmcnt(0)
	v_cmp_gt_f64_e32 vcc_lo, 0, v[2:3]
	v_cmp_gt_f64_e64 s4, 0, v[0:1]
	ds_read2_b64 v[15:18], v4 offset1:1
	v_xor_b32_e32 v20, 0x80000000, v1
	v_xor_b32_e32 v22, 0x80000000, v3
	v_mov_b32_e32 v19, v0
	v_mov_b32_e32 v21, v2
	v_add_nc_u32_e32 v4, 16, v4
	s_waitcnt lgkmcnt(0)
	v_xor_b32_e32 v24, 0x80000000, v18
	v_cndmask_b32_e64 v20, v1, v20, s4
	v_cndmask_b32_e32 v22, v3, v22, vcc_lo
	v_cmp_gt_f64_e32 vcc_lo, 0, v[17:18]
	v_cmp_gt_f64_e64 s4, 0, v[15:16]
	v_mov_b32_e32 v23, v17
	v_add_f64 v[19:20], v[19:20], v[21:22]
	v_xor_b32_e32 v22, 0x80000000, v16
	v_mov_b32_e32 v21, v15
	v_cndmask_b32_e32 v24, v18, v24, vcc_lo
	v_cndmask_b32_e64 v22, v16, v22, s4
	v_add_f64 v[21:22], v[21:22], v[23:24]
	v_cmp_lt_f64_e32 vcc_lo, v[19:20], v[21:22]
	v_cndmask_b32_e32 v1, v1, v16, vcc_lo
	v_cndmask_b32_e32 v0, v0, v15, vcc_lo
	;; [unrolled: 1-line block ×4, first 2 shown]
	v_cndmask_b32_e64 v9, v9, s16, vcc_lo
	s_add_i32 s16, s16, 1
	s_cmp_lg_u32 s56, s16
	s_cbranch_scc1 .LBB120_1090
.LBB120_1091:
	s_inst_prefetch 0x2
	s_waitcnt lgkmcnt(0)
	v_cmp_eq_f64_e32 vcc_lo, 0, v[0:1]
	v_cmp_eq_f64_e64 s4, 0, v[2:3]
	s_and_b32 s4, vcc_lo, s4
	s_and_saveexec_b32 s16, s4
	s_xor_b32 s4, exec_lo, s16
; %bb.1092:
	v_cmp_ne_u32_e32 vcc_lo, 0, v12
	v_cndmask_b32_e32 v12, 47, v12, vcc_lo
; %bb.1093:
	s_andn2_saveexec_b32 s4, s4
	s_cbranch_execz .LBB120_1099
; %bb.1094:
	v_cmp_ngt_f64_e64 s16, |v[0:1]|, |v[2:3]|
	s_and_saveexec_b32 s17, s16
	s_xor_b32 s16, exec_lo, s17
	s_cbranch_execz .LBB120_1096
; %bb.1095:
	v_div_scale_f64 v[15:16], null, v[2:3], v[2:3], v[0:1]
	v_div_scale_f64 v[21:22], vcc_lo, v[0:1], v[2:3], v[0:1]
	v_rcp_f64_e32 v[17:18], v[15:16]
	v_fma_f64 v[19:20], -v[15:16], v[17:18], 1.0
	v_fma_f64 v[17:18], v[17:18], v[19:20], v[17:18]
	v_fma_f64 v[19:20], -v[15:16], v[17:18], 1.0
	v_fma_f64 v[17:18], v[17:18], v[19:20], v[17:18]
	v_mul_f64 v[19:20], v[21:22], v[17:18]
	v_fma_f64 v[15:16], -v[15:16], v[19:20], v[21:22]
	v_div_fmas_f64 v[15:16], v[15:16], v[17:18], v[19:20]
	v_div_fixup_f64 v[15:16], v[15:16], v[2:3], v[0:1]
	v_fma_f64 v[0:1], v[0:1], v[15:16], v[2:3]
	v_div_scale_f64 v[2:3], null, v[0:1], v[0:1], 1.0
	v_rcp_f64_e32 v[17:18], v[2:3]
	v_fma_f64 v[19:20], -v[2:3], v[17:18], 1.0
	v_fma_f64 v[17:18], v[17:18], v[19:20], v[17:18]
	v_fma_f64 v[19:20], -v[2:3], v[17:18], 1.0
	v_fma_f64 v[17:18], v[17:18], v[19:20], v[17:18]
	v_div_scale_f64 v[19:20], vcc_lo, 1.0, v[0:1], 1.0
	v_mul_f64 v[21:22], v[19:20], v[17:18]
	v_fma_f64 v[2:3], -v[2:3], v[21:22], v[19:20]
	v_div_fmas_f64 v[2:3], v[2:3], v[17:18], v[21:22]
	v_div_fixup_f64 v[2:3], v[2:3], v[0:1], 1.0
	v_mul_f64 v[0:1], v[15:16], v[2:3]
	v_xor_b32_e32 v3, 0x80000000, v3
.LBB120_1096:
	s_andn2_saveexec_b32 s16, s16
	s_cbranch_execz .LBB120_1098
; %bb.1097:
	v_div_scale_f64 v[15:16], null, v[0:1], v[0:1], v[2:3]
	v_div_scale_f64 v[21:22], vcc_lo, v[2:3], v[0:1], v[2:3]
	v_rcp_f64_e32 v[17:18], v[15:16]
	v_fma_f64 v[19:20], -v[15:16], v[17:18], 1.0
	v_fma_f64 v[17:18], v[17:18], v[19:20], v[17:18]
	v_fma_f64 v[19:20], -v[15:16], v[17:18], 1.0
	v_fma_f64 v[17:18], v[17:18], v[19:20], v[17:18]
	v_mul_f64 v[19:20], v[21:22], v[17:18]
	v_fma_f64 v[15:16], -v[15:16], v[19:20], v[21:22]
	v_div_fmas_f64 v[15:16], v[15:16], v[17:18], v[19:20]
	v_div_fixup_f64 v[15:16], v[15:16], v[0:1], v[2:3]
	v_fma_f64 v[0:1], v[2:3], v[15:16], v[0:1]
	v_div_scale_f64 v[2:3], null, v[0:1], v[0:1], 1.0
	v_rcp_f64_e32 v[17:18], v[2:3]
	v_fma_f64 v[19:20], -v[2:3], v[17:18], 1.0
	v_fma_f64 v[17:18], v[17:18], v[19:20], v[17:18]
	v_fma_f64 v[19:20], -v[2:3], v[17:18], 1.0
	v_fma_f64 v[17:18], v[17:18], v[19:20], v[17:18]
	v_div_scale_f64 v[19:20], vcc_lo, 1.0, v[0:1], 1.0
	v_mul_f64 v[21:22], v[19:20], v[17:18]
	v_fma_f64 v[2:3], -v[2:3], v[21:22], v[19:20]
	v_div_fmas_f64 v[2:3], v[2:3], v[17:18], v[21:22]
	v_div_fixup_f64 v[0:1], v[2:3], v[0:1], 1.0
	v_mul_f64 v[2:3], v[15:16], -v[0:1]
.LBB120_1098:
	s_or_b32 exec_lo, exec_lo, s16
.LBB120_1099:
	s_or_b32 exec_lo, exec_lo, s4
	s_mov_b32 s4, exec_lo
	v_cmpx_ne_u32_e64 v14, v9
	s_xor_b32 s4, exec_lo, s4
	s_cbranch_execz .LBB120_1105
; %bb.1100:
	s_mov_b32 s16, exec_lo
	v_cmpx_eq_u32_e32 46, v14
	s_cbranch_execz .LBB120_1104
; %bb.1101:
	v_cmp_ne_u32_e32 vcc_lo, 46, v9
	s_xor_b32 s17, s20, -1
	s_and_b32 s57, s17, vcc_lo
	s_and_saveexec_b32 s17, s57
	s_cbranch_execz .LBB120_1103
; %bb.1102:
	v_ashrrev_i32_e32 v10, 31, v9
	v_lshlrev_b64 v[14:15], 2, v[9:10]
	v_add_co_u32 v14, vcc_lo, v7, v14
	v_add_co_ci_u32_e64 v15, null, v8, v15, vcc_lo
	s_clause 0x1
	global_load_dword v4, v[14:15], off
	global_load_dword v10, v[7:8], off offset:184
	s_waitcnt vmcnt(1)
	global_store_dword v[7:8], v4, off offset:184
	s_waitcnt vmcnt(0)
	global_store_dword v[14:15], v10, off
.LBB120_1103:
	s_or_b32 exec_lo, exec_lo, s17
	v_mov_b32_e32 v14, v9
	v_mov_b32_e32 v10, v9
.LBB120_1104:
	s_or_b32 exec_lo, exec_lo, s16
.LBB120_1105:
	s_andn2_saveexec_b32 s4, s4
	s_cbranch_execz .LBB120_1107
; %bb.1106:
	v_mov_b32_e32 v4, s31
	v_mov_b32_e32 v9, s30
	;; [unrolled: 1-line block ×3, first 2 shown]
	s_clause 0x7
	buffer_load_dword v15, v4, s[0:3], 0 offen
	buffer_load_dword v16, v4, s[0:3], 0 offen offset:4
	buffer_load_dword v17, v4, s[0:3], 0 offen offset:8
	buffer_load_dword v18, v4, s[0:3], 0 offen offset:12
	buffer_load_dword v19, v9, s[0:3], 0 offen
	buffer_load_dword v20, v9, s[0:3], 0 offen offset:4
	buffer_load_dword v21, v9, s[0:3], 0 offen offset:8
	buffer_load_dword v22, v9, s[0:3], 0 offen offset:12
	v_mov_b32_e32 v9, s27
	v_mov_b32_e32 v4, s28
	s_clause 0x7
	buffer_load_dword v23, v14, s[0:3], 0 offen
	buffer_load_dword v24, v14, s[0:3], 0 offen offset:4
	buffer_load_dword v25, v14, s[0:3], 0 offen offset:8
	buffer_load_dword v26, v14, s[0:3], 0 offen offset:12
	buffer_load_dword v27, v4, s[0:3], 0 offen
	buffer_load_dword v28, v4, s[0:3], 0 offen offset:4
	buffer_load_dword v29, v4, s[0:3], 0 offen offset:8
	buffer_load_dword v30, v4, s[0:3], 0 offen offset:12
	v_mov_b32_e32 v4, s26
	v_mov_b32_e32 v14, s25
	;; [unrolled: 11-line block ×5, first 2 shown]
	s_clause 0x7
	buffer_load_dword v55, v14, s[0:3], 0 offen
	buffer_load_dword v56, v14, s[0:3], 0 offen offset:4
	buffer_load_dword v57, v14, s[0:3], 0 offen offset:8
	;; [unrolled: 1-line block ×3, first 2 shown]
	buffer_load_dword v59, v4, s[0:3], 0 offen
	buffer_load_dword v60, v4, s[0:3], 0 offen offset:4
	buffer_load_dword v61, v4, s[0:3], 0 offen offset:8
	;; [unrolled: 1-line block ×3, first 2 shown]
	v_mov_b32_e32 v4, s5
	s_clause 0x7
	buffer_load_dword v63, v9, s[0:3], 0 offen
	buffer_load_dword v64, v9, s[0:3], 0 offen offset:4
	buffer_load_dword v65, v9, s[0:3], 0 offen offset:8
	;; [unrolled: 1-line block ×3, first 2 shown]
	buffer_load_dword v67, v4, s[0:3], 0 offen
	buffer_load_dword v68, v4, s[0:3], 0 offen offset:4
	buffer_load_dword v69, v4, s[0:3], 0 offen offset:8
	;; [unrolled: 1-line block ×3, first 2 shown]
	v_mov_b32_e32 v14, 46
	s_waitcnt vmcnt(52)
	ds_write2_b64 v11, v[15:16], v[17:18] offset0:94 offset1:95
	s_waitcnt vmcnt(48)
	ds_write2_b64 v11, v[19:20], v[21:22] offset0:96 offset1:97
	s_waitcnt vmcnt(44)
	ds_write2_b64 v11, v[23:24], v[25:26] offset0:98 offset1:99
	s_waitcnt vmcnt(40)
	ds_write2_b64 v11, v[27:28], v[29:30] offset0:100 offset1:101
	s_waitcnt vmcnt(36)
	ds_write2_b64 v11, v[31:32], v[33:34] offset0:102 offset1:103
	s_waitcnt vmcnt(32)
	ds_write2_b64 v11, v[35:36], v[37:38] offset0:104 offset1:105
	s_waitcnt vmcnt(28)
	ds_write2_b64 v11, v[39:40], v[41:42] offset0:106 offset1:107
	s_waitcnt vmcnt(24)
	ds_write2_b64 v11, v[43:44], v[45:46] offset0:108 offset1:109
	s_waitcnt vmcnt(20)
	ds_write2_b64 v11, v[47:48], v[49:50] offset0:110 offset1:111
	s_waitcnt vmcnt(16)
	ds_write2_b64 v11, v[51:52], v[53:54] offset0:112 offset1:113
	s_waitcnt vmcnt(12)
	ds_write2_b64 v11, v[55:56], v[57:58] offset0:114 offset1:115
	s_waitcnt vmcnt(8)
	ds_write2_b64 v11, v[59:60], v[61:62] offset0:116 offset1:117
	s_waitcnt vmcnt(4)
	ds_write2_b64 v11, v[63:64], v[65:66] offset0:118 offset1:119
	s_waitcnt vmcnt(0)
	ds_write2_b64 v11, v[67:68], v[69:70] offset0:120 offset1:121
.LBB120_1107:
	s_or_b32 exec_lo, exec_lo, s4
	s_mov_b32 s4, exec_lo
	s_waitcnt lgkmcnt(0)
	s_waitcnt_vscnt null, 0x0
	s_barrier
	buffer_gl0_inv
	v_cmpx_lt_i32_e32 46, v14
	s_cbranch_execz .LBB120_1109
; %bb.1108:
	s_clause 0x1b
	buffer_load_dword v15, off, s[0:3], 0 offset:744
	buffer_load_dword v16, off, s[0:3], 0 offset:748
	;; [unrolled: 1-line block ×28, first 2 shown]
	s_waitcnt vmcnt(26)
	v_mul_f64 v[19:20], v[0:1], v[15:16]
	v_mul_f64 v[15:16], v[2:3], v[15:16]
	s_waitcnt vmcnt(24)
	v_fma_f64 v[39:40], v[2:3], v[17:18], v[19:20]
	v_fma_f64 v[61:62], v[0:1], v[17:18], -v[15:16]
	buffer_store_dword v39, off, s[0:3], 0 offset:744
	buffer_store_dword v40, off, s[0:3], 0 offset:748
	s_clause 0x3
	buffer_load_dword v63, off, s[0:3], 0 offset:744
	buffer_load_dword v64, off, s[0:3], 0 offset:748
	;; [unrolled: 1-line block ×4, first 2 shown]
	buffer_store_dword v61, off, s[0:3], 0 offset:736
	buffer_store_dword v62, off, s[0:3], 0 offset:740
	s_clause 0x23
	buffer_load_dword v67, off, s[0:3], 0 offset:736
	buffer_load_dword v68, off, s[0:3], 0 offset:740
	;; [unrolled: 1-line block ×36, first 2 shown]
	ds_read2_b64 v[0:3], v11 offset0:94 offset1:95
	ds_read2_b64 v[15:18], v11 offset0:96 offset1:97
	;; [unrolled: 1-line block ×6, first 2 shown]
	s_waitcnt lgkmcnt(5)
	v_mul_f64 v[103:104], v[2:3], v[39:40]
	v_mul_f64 v[105:106], v[0:1], v[39:40]
	s_waitcnt lgkmcnt(4)
	v_mul_f64 v[107:108], v[17:18], v[39:40]
	v_mul_f64 v[109:110], v[15:16], v[39:40]
	s_waitcnt lgkmcnt(3)
	v_mul_f64 v[111:112], v[21:22], v[39:40]
	v_mul_f64 v[113:114], v[19:20], v[39:40]
	s_waitcnt lgkmcnt(2)
	v_mul_f64 v[115:116], v[25:26], v[39:40]
	v_mul_f64 v[117:118], v[23:24], v[39:40]
	s_waitcnt lgkmcnt(1)
	v_mul_f64 v[119:120], v[29:30], v[39:40]
	v_mul_f64 v[121:122], v[27:28], v[39:40]
	s_waitcnt lgkmcnt(0)
	v_mul_f64 v[123:124], v[33:34], v[39:40]
	v_mul_f64 v[39:40], v[31:32], v[39:40]
	v_fma_f64 v[0:1], v[0:1], v[61:62], -v[103:104]
	v_fma_f64 v[2:3], v[2:3], v[61:62], v[105:106]
	v_fma_f64 v[15:16], v[15:16], v[61:62], -v[107:108]
	v_fma_f64 v[103:104], v[17:18], v[61:62], v[109:110]
	;; [unrolled: 2-line block ×6, first 2 shown]
	s_waitcnt vmcnt(62)
	v_add_f64 v[119:120], v[35:36], -v[0:1]
	s_waitcnt vmcnt(60)
	v_add_f64 v[121:122], v[37:38], -v[2:3]
	;; [unrolled: 2-line block ×3, first 2 shown]
	ds_read2_b64 v[0:3], v11 offset0:106 offset1:107
	ds_read2_b64 v[15:18], v11 offset0:108 offset1:109
	s_waitcnt vmcnt(56)
	v_add_f64 v[43:44], v[43:44], -v[103:104]
	s_waitcnt vmcnt(54)
	v_add_f64 v[45:46], v[45:46], -v[105:106]
	ds_read2_b64 v[19:22], v11 offset0:110 offset1:111
	ds_read2_b64 v[23:26], v11 offset0:112 offset1:113
	s_waitcnt vmcnt(52)
	v_add_f64 v[47:48], v[47:48], -v[107:108]
	ds_read2_b64 v[27:30], v11 offset0:114 offset1:115
	ds_read2_b64 v[31:34], v11 offset0:116 offset1:117
	;; [unrolled: 1-line block ×4, first 2 shown]
	s_waitcnt vmcnt(50)
	v_add_f64 v[49:50], v[49:50], -v[109:110]
	s_waitcnt vmcnt(48)
	v_add_f64 v[51:52], v[51:52], -v[111:112]
	s_waitcnt vmcnt(40)
	v_add_f64 v[59:60], v[59:60], -v[61:62]
	v_add_f64 v[53:54], v[53:54], -v[113:114]
	v_add_f64 v[55:56], v[55:56], -v[115:116]
	;; [unrolled: 1-line block ×3, first 2 shown]
	buffer_store_dword v119, off, s[0:3], 0 offset:752
	buffer_store_dword v120, off, s[0:3], 0 offset:756
	;; [unrolled: 1-line block ×24, first 2 shown]
	s_waitcnt vmcnt(38) lgkmcnt(7)
	v_mul_f64 v[61:62], v[2:3], v[63:64]
	v_mul_f64 v[103:104], v[0:1], v[63:64]
	s_waitcnt lgkmcnt(6)
	v_mul_f64 v[43:44], v[17:18], v[63:64]
	v_mul_f64 v[105:106], v[15:16], v[63:64]
	s_waitcnt lgkmcnt(5)
	;; [unrolled: 3-line block ×5, first 2 shown]
	v_mul_f64 v[115:116], v[33:34], v[63:64]
	v_mul_f64 v[63:64], v[31:32], v[63:64]
	s_waitcnt vmcnt(36) lgkmcnt(1)
	v_mul_f64 v[117:118], v[37:38], v[65:66]
	v_mul_f64 v[119:120], v[35:36], v[65:66]
	s_waitcnt lgkmcnt(0)
	v_mul_f64 v[121:122], v[41:42], v[65:66]
	v_mul_f64 v[65:66], v[39:40], v[65:66]
	s_waitcnt vmcnt(34)
	v_fma_f64 v[0:1], v[0:1], v[67:68], -v[61:62]
	v_fma_f64 v[2:3], v[2:3], v[67:68], v[103:104]
	v_fma_f64 v[15:16], v[15:16], v[67:68], -v[43:44]
	v_fma_f64 v[17:18], v[17:18], v[67:68], v[105:106]
	;; [unrolled: 2-line block ×6, first 2 shown]
	s_waitcnt vmcnt(28)
	v_fma_f64 v[35:36], v[35:36], v[73:74], -v[117:118]
	v_fma_f64 v[37:38], v[37:38], v[73:74], v[119:120]
	v_fma_f64 v[39:40], v[39:40], v[73:74], -v[121:122]
	v_fma_f64 v[41:42], v[41:42], v[73:74], v[65:66]
	v_add_f64 v[0:1], v[69:70], -v[0:1]
	v_add_f64 v[2:3], v[71:72], -v[2:3]
	s_waitcnt vmcnt(26)
	v_add_f64 v[15:16], v[75:76], -v[15:16]
	s_waitcnt vmcnt(24)
	;; [unrolled: 2-line block ×11, first 2 shown]
	v_add_f64 v[35:36], v[95:96], -v[35:36]
	v_add_f64 v[37:38], v[97:98], -v[37:38]
	s_waitcnt vmcnt(2)
	v_add_f64 v[39:40], v[99:100], -v[39:40]
	s_waitcnt vmcnt(0)
	v_add_f64 v[41:42], v[101:102], -v[41:42]
	buffer_store_dword v1, off, s[0:3], 0 offset:852
	buffer_store_dword v0, off, s[0:3], 0 offset:848
	buffer_store_dword v3, off, s[0:3], 0 offset:860
	buffer_store_dword v2, off, s[0:3], 0 offset:856
	buffer_store_dword v16, off, s[0:3], 0 offset:868
	buffer_store_dword v15, off, s[0:3], 0 offset:864
	buffer_store_dword v18, off, s[0:3], 0 offset:876
	buffer_store_dword v17, off, s[0:3], 0 offset:872
	buffer_store_dword v20, off, s[0:3], 0 offset:884
	buffer_store_dword v19, off, s[0:3], 0 offset:880
	buffer_store_dword v22, off, s[0:3], 0 offset:892
	buffer_store_dword v21, off, s[0:3], 0 offset:888
	buffer_store_dword v24, off, s[0:3], 0 offset:900
	buffer_store_dword v23, off, s[0:3], 0 offset:896
	buffer_store_dword v26, off, s[0:3], 0 offset:908
	buffer_store_dword v25, off, s[0:3], 0 offset:904
	buffer_store_dword v28, off, s[0:3], 0 offset:916
	buffer_store_dword v27, off, s[0:3], 0 offset:912
	buffer_store_dword v30, off, s[0:3], 0 offset:924
	buffer_store_dword v29, off, s[0:3], 0 offset:920
	buffer_store_dword v32, off, s[0:3], 0 offset:932
	buffer_store_dword v31, off, s[0:3], 0 offset:928
	buffer_store_dword v34, off, s[0:3], 0 offset:940
	buffer_store_dword v33, off, s[0:3], 0 offset:936
	buffer_store_dword v36, off, s[0:3], 0 offset:948
	buffer_store_dword v35, off, s[0:3], 0 offset:944
	buffer_store_dword v38, off, s[0:3], 0 offset:956
	buffer_store_dword v37, off, s[0:3], 0 offset:952
	buffer_store_dword v40, off, s[0:3], 0 offset:964
	buffer_store_dword v39, off, s[0:3], 0 offset:960
	buffer_store_dword v42, off, s[0:3], 0 offset:972
	buffer_store_dword v41, off, s[0:3], 0 offset:968
.LBB120_1109:
	s_or_b32 exec_lo, exec_lo, s4
	v_mov_b32_e32 v3, s31
	s_waitcnt_vscnt null, 0x0
	s_barrier
	buffer_gl0_inv
	v_lshl_add_u32 v4, v14, 4, v11
	s_clause 0x3
	buffer_load_dword v0, v3, s[0:3], 0 offen
	buffer_load_dword v1, v3, s[0:3], 0 offen offset:4
	buffer_load_dword v2, v3, s[0:3], 0 offen offset:8
	;; [unrolled: 1-line block ×3, first 2 shown]
	v_mov_b32_e32 v9, 47
	s_cmp_lt_i32 s56, 49
	s_waitcnt vmcnt(0)
	ds_write2_b64 v4, v[0:1], v[2:3] offset1:1
	s_waitcnt lgkmcnt(0)
	s_barrier
	buffer_gl0_inv
	ds_read2_b64 v[0:3], v11 offset0:94 offset1:95
	s_cbranch_scc1 .LBB120_1112
; %bb.1110:
	v_add3_u32 v4, v13, 0, 0x300
	v_mov_b32_e32 v9, 47
	s_mov_b32 s16, 48
	s_inst_prefetch 0x1
	.p2align	6
.LBB120_1111:                           ; =>This Inner Loop Header: Depth=1
	s_waitcnt lgkmcnt(0)
	v_cmp_gt_f64_e32 vcc_lo, 0, v[2:3]
	v_cmp_gt_f64_e64 s4, 0, v[0:1]
	ds_read2_b64 v[15:18], v4 offset1:1
	v_xor_b32_e32 v20, 0x80000000, v1
	v_xor_b32_e32 v22, 0x80000000, v3
	v_mov_b32_e32 v19, v0
	v_mov_b32_e32 v21, v2
	v_add_nc_u32_e32 v4, 16, v4
	s_waitcnt lgkmcnt(0)
	v_xor_b32_e32 v24, 0x80000000, v18
	v_cndmask_b32_e64 v20, v1, v20, s4
	v_cndmask_b32_e32 v22, v3, v22, vcc_lo
	v_cmp_gt_f64_e32 vcc_lo, 0, v[17:18]
	v_cmp_gt_f64_e64 s4, 0, v[15:16]
	v_mov_b32_e32 v23, v17
	v_add_f64 v[19:20], v[19:20], v[21:22]
	v_xor_b32_e32 v22, 0x80000000, v16
	v_mov_b32_e32 v21, v15
	v_cndmask_b32_e32 v24, v18, v24, vcc_lo
	v_cndmask_b32_e64 v22, v16, v22, s4
	v_add_f64 v[21:22], v[21:22], v[23:24]
	v_cmp_lt_f64_e32 vcc_lo, v[19:20], v[21:22]
	v_cndmask_b32_e32 v1, v1, v16, vcc_lo
	v_cndmask_b32_e32 v0, v0, v15, vcc_lo
	;; [unrolled: 1-line block ×4, first 2 shown]
	v_cndmask_b32_e64 v9, v9, s16, vcc_lo
	s_add_i32 s16, s16, 1
	s_cmp_lg_u32 s56, s16
	s_cbranch_scc1 .LBB120_1111
.LBB120_1112:
	s_inst_prefetch 0x2
	s_waitcnt lgkmcnt(0)
	v_cmp_eq_f64_e32 vcc_lo, 0, v[0:1]
	v_cmp_eq_f64_e64 s4, 0, v[2:3]
	s_and_b32 s4, vcc_lo, s4
	s_and_saveexec_b32 s16, s4
	s_xor_b32 s4, exec_lo, s16
; %bb.1113:
	v_cmp_ne_u32_e32 vcc_lo, 0, v12
	v_cndmask_b32_e32 v12, 48, v12, vcc_lo
; %bb.1114:
	s_andn2_saveexec_b32 s4, s4
	s_cbranch_execz .LBB120_1120
; %bb.1115:
	v_cmp_ngt_f64_e64 s16, |v[0:1]|, |v[2:3]|
	s_and_saveexec_b32 s17, s16
	s_xor_b32 s16, exec_lo, s17
	s_cbranch_execz .LBB120_1117
; %bb.1116:
	v_div_scale_f64 v[15:16], null, v[2:3], v[2:3], v[0:1]
	v_div_scale_f64 v[21:22], vcc_lo, v[0:1], v[2:3], v[0:1]
	v_rcp_f64_e32 v[17:18], v[15:16]
	v_fma_f64 v[19:20], -v[15:16], v[17:18], 1.0
	v_fma_f64 v[17:18], v[17:18], v[19:20], v[17:18]
	v_fma_f64 v[19:20], -v[15:16], v[17:18], 1.0
	v_fma_f64 v[17:18], v[17:18], v[19:20], v[17:18]
	v_mul_f64 v[19:20], v[21:22], v[17:18]
	v_fma_f64 v[15:16], -v[15:16], v[19:20], v[21:22]
	v_div_fmas_f64 v[15:16], v[15:16], v[17:18], v[19:20]
	v_div_fixup_f64 v[15:16], v[15:16], v[2:3], v[0:1]
	v_fma_f64 v[0:1], v[0:1], v[15:16], v[2:3]
	v_div_scale_f64 v[2:3], null, v[0:1], v[0:1], 1.0
	v_rcp_f64_e32 v[17:18], v[2:3]
	v_fma_f64 v[19:20], -v[2:3], v[17:18], 1.0
	v_fma_f64 v[17:18], v[17:18], v[19:20], v[17:18]
	v_fma_f64 v[19:20], -v[2:3], v[17:18], 1.0
	v_fma_f64 v[17:18], v[17:18], v[19:20], v[17:18]
	v_div_scale_f64 v[19:20], vcc_lo, 1.0, v[0:1], 1.0
	v_mul_f64 v[21:22], v[19:20], v[17:18]
	v_fma_f64 v[2:3], -v[2:3], v[21:22], v[19:20]
	v_div_fmas_f64 v[2:3], v[2:3], v[17:18], v[21:22]
	v_div_fixup_f64 v[2:3], v[2:3], v[0:1], 1.0
	v_mul_f64 v[0:1], v[15:16], v[2:3]
	v_xor_b32_e32 v3, 0x80000000, v3
.LBB120_1117:
	s_andn2_saveexec_b32 s16, s16
	s_cbranch_execz .LBB120_1119
; %bb.1118:
	v_div_scale_f64 v[15:16], null, v[0:1], v[0:1], v[2:3]
	v_div_scale_f64 v[21:22], vcc_lo, v[2:3], v[0:1], v[2:3]
	v_rcp_f64_e32 v[17:18], v[15:16]
	v_fma_f64 v[19:20], -v[15:16], v[17:18], 1.0
	v_fma_f64 v[17:18], v[17:18], v[19:20], v[17:18]
	v_fma_f64 v[19:20], -v[15:16], v[17:18], 1.0
	v_fma_f64 v[17:18], v[17:18], v[19:20], v[17:18]
	v_mul_f64 v[19:20], v[21:22], v[17:18]
	v_fma_f64 v[15:16], -v[15:16], v[19:20], v[21:22]
	v_div_fmas_f64 v[15:16], v[15:16], v[17:18], v[19:20]
	v_div_fixup_f64 v[15:16], v[15:16], v[0:1], v[2:3]
	v_fma_f64 v[0:1], v[2:3], v[15:16], v[0:1]
	v_div_scale_f64 v[2:3], null, v[0:1], v[0:1], 1.0
	v_rcp_f64_e32 v[17:18], v[2:3]
	v_fma_f64 v[19:20], -v[2:3], v[17:18], 1.0
	v_fma_f64 v[17:18], v[17:18], v[19:20], v[17:18]
	v_fma_f64 v[19:20], -v[2:3], v[17:18], 1.0
	v_fma_f64 v[17:18], v[17:18], v[19:20], v[17:18]
	v_div_scale_f64 v[19:20], vcc_lo, 1.0, v[0:1], 1.0
	v_mul_f64 v[21:22], v[19:20], v[17:18]
	v_fma_f64 v[2:3], -v[2:3], v[21:22], v[19:20]
	v_div_fmas_f64 v[2:3], v[2:3], v[17:18], v[21:22]
	v_div_fixup_f64 v[0:1], v[2:3], v[0:1], 1.0
	v_mul_f64 v[2:3], v[15:16], -v[0:1]
.LBB120_1119:
	s_or_b32 exec_lo, exec_lo, s16
.LBB120_1120:
	s_or_b32 exec_lo, exec_lo, s4
	s_mov_b32 s4, exec_lo
	v_cmpx_ne_u32_e64 v14, v9
	s_xor_b32 s4, exec_lo, s4
	s_cbranch_execz .LBB120_1126
; %bb.1121:
	s_mov_b32 s16, exec_lo
	v_cmpx_eq_u32_e32 47, v14
	s_cbranch_execz .LBB120_1125
; %bb.1122:
	v_cmp_ne_u32_e32 vcc_lo, 47, v9
	s_xor_b32 s17, s20, -1
	s_and_b32 s57, s17, vcc_lo
	s_and_saveexec_b32 s17, s57
	s_cbranch_execz .LBB120_1124
; %bb.1123:
	v_ashrrev_i32_e32 v10, 31, v9
	v_lshlrev_b64 v[14:15], 2, v[9:10]
	v_add_co_u32 v14, vcc_lo, v7, v14
	v_add_co_ci_u32_e64 v15, null, v8, v15, vcc_lo
	s_clause 0x1
	global_load_dword v4, v[14:15], off
	global_load_dword v10, v[7:8], off offset:188
	s_waitcnt vmcnt(1)
	global_store_dword v[7:8], v4, off offset:188
	s_waitcnt vmcnt(0)
	global_store_dword v[14:15], v10, off
.LBB120_1124:
	s_or_b32 exec_lo, exec_lo, s17
	v_mov_b32_e32 v14, v9
	v_mov_b32_e32 v10, v9
.LBB120_1125:
	s_or_b32 exec_lo, exec_lo, s16
.LBB120_1126:
	s_andn2_saveexec_b32 s4, s4
	s_cbranch_execz .LBB120_1128
; %bb.1127:
	v_mov_b32_e32 v4, s30
	v_mov_b32_e32 v14, s28
	v_mov_b32_e32 v9, s29
	s_clause 0x7
	buffer_load_dword v15, v4, s[0:3], 0 offen
	buffer_load_dword v16, v4, s[0:3], 0 offen offset:4
	buffer_load_dword v17, v4, s[0:3], 0 offen offset:8
	buffer_load_dword v18, v4, s[0:3], 0 offen offset:12
	buffer_load_dword v19, v9, s[0:3], 0 offen
	buffer_load_dword v20, v9, s[0:3], 0 offen offset:4
	buffer_load_dword v21, v9, s[0:3], 0 offen offset:8
	buffer_load_dword v22, v9, s[0:3], 0 offen offset:12
	v_mov_b32_e32 v4, s27
	v_mov_b32_e32 v9, s26
	s_clause 0x7
	buffer_load_dword v23, v14, s[0:3], 0 offen
	buffer_load_dword v24, v14, s[0:3], 0 offen offset:4
	buffer_load_dword v25, v14, s[0:3], 0 offen offset:8
	buffer_load_dword v26, v14, s[0:3], 0 offen offset:12
	buffer_load_dword v27, v4, s[0:3], 0 offen
	buffer_load_dword v28, v4, s[0:3], 0 offen offset:4
	buffer_load_dword v29, v4, s[0:3], 0 offen offset:8
	buffer_load_dword v30, v4, s[0:3], 0 offen offset:12
	v_mov_b32_e32 v14, s24
	v_mov_b32_e32 v4, s25
	;; [unrolled: 11-line block ×5, first 2 shown]
	s_clause 0xb
	buffer_load_dword v55, v14, s[0:3], 0 offen
	buffer_load_dword v56, v14, s[0:3], 0 offen offset:4
	buffer_load_dword v57, v14, s[0:3], 0 offen offset:8
	buffer_load_dword v58, v14, s[0:3], 0 offen offset:12
	buffer_load_dword v59, v4, s[0:3], 0 offen
	buffer_load_dword v60, v4, s[0:3], 0 offen offset:4
	buffer_load_dword v61, v4, s[0:3], 0 offen offset:8
	buffer_load_dword v62, v4, s[0:3], 0 offen offset:12
	;; [unrolled: 4-line block ×3, first 2 shown]
	v_mov_b32_e32 v14, 47
	s_waitcnt vmcnt(48)
	ds_write2_b64 v11, v[15:16], v[17:18] offset0:96 offset1:97
	s_waitcnt vmcnt(44)
	ds_write2_b64 v11, v[19:20], v[21:22] offset0:98 offset1:99
	;; [unrolled: 2-line block ×13, first 2 shown]
.LBB120_1128:
	s_or_b32 exec_lo, exec_lo, s4
	s_mov_b32 s4, exec_lo
	s_waitcnt lgkmcnt(0)
	s_waitcnt_vscnt null, 0x0
	s_barrier
	buffer_gl0_inv
	v_cmpx_lt_i32_e32 47, v14
	s_cbranch_execz .LBB120_1130
; %bb.1129:
	s_clause 0x1b
	buffer_load_dword v15, off, s[0:3], 0 offset:760
	buffer_load_dword v16, off, s[0:3], 0 offset:764
	;; [unrolled: 1-line block ×28, first 2 shown]
	s_waitcnt vmcnt(26)
	v_mul_f64 v[19:20], v[0:1], v[15:16]
	v_mul_f64 v[15:16], v[2:3], v[15:16]
	s_waitcnt vmcnt(24)
	v_fma_f64 v[39:40], v[2:3], v[17:18], v[19:20]
	v_fma_f64 v[57:58], v[0:1], v[17:18], -v[15:16]
	buffer_store_dword v39, off, s[0:3], 0 offset:760
	buffer_store_dword v40, off, s[0:3], 0 offset:764
	s_clause 0x1
	buffer_load_dword v63, off, s[0:3], 0 offset:760
	buffer_load_dword v64, off, s[0:3], 0 offset:764
	buffer_store_dword v57, off, s[0:3], 0 offset:752
	buffer_store_dword v58, off, s[0:3], 0 offset:756
	s_clause 0x21
	buffer_load_dword v66, off, s[0:3], 0 offset:764
	buffer_load_dword v65, off, s[0:3], 0 offset:760
	;; [unrolled: 1-line block ×34, first 2 shown]
	ds_read2_b64 v[0:3], v11 offset0:96 offset1:97
	ds_read2_b64 v[15:18], v11 offset0:98 offset1:99
	;; [unrolled: 1-line block ×6, first 2 shown]
	s_waitcnt lgkmcnt(5)
	v_mul_f64 v[99:100], v[2:3], v[39:40]
	v_mul_f64 v[101:102], v[0:1], v[39:40]
	s_waitcnt lgkmcnt(4)
	v_mul_f64 v[103:104], v[17:18], v[39:40]
	v_mul_f64 v[105:106], v[15:16], v[39:40]
	;; [unrolled: 3-line block ×6, first 2 shown]
	v_fma_f64 v[0:1], v[0:1], v[57:58], -v[99:100]
	v_fma_f64 v[99:100], v[2:3], v[57:58], v[101:102]
	v_fma_f64 v[101:102], v[15:16], v[57:58], -v[103:104]
	v_fma_f64 v[103:104], v[17:18], v[57:58], v[105:106]
	;; [unrolled: 2-line block ×6, first 2 shown]
	s_waitcnt vmcnt(58)
	v_add_f64 v[57:58], v[35:36], -v[0:1]
	ds_read2_b64 v[0:3], v11 offset0:108 offset1:109
	s_waitcnt vmcnt(56)
	v_add_f64 v[99:100], v[37:38], -v[99:100]
	ds_read2_b64 v[15:18], v11 offset0:110 offset1:111
	ds_read2_b64 v[19:22], v11 offset0:112 offset1:113
	;; [unrolled: 1-line block ×3, first 2 shown]
	s_waitcnt vmcnt(54)
	v_add_f64 v[41:42], v[41:42], -v[101:102]
	s_waitcnt vmcnt(52)
	v_add_f64 v[43:44], v[43:44], -v[103:104]
	ds_read2_b64 v[27:30], v11 offset0:116 offset1:117
	ds_read2_b64 v[31:34], v11 offset0:118 offset1:119
	;; [unrolled: 1-line block ×3, first 2 shown]
	s_waitcnt vmcnt(50)
	v_add_f64 v[45:46], v[45:46], -v[105:106]
	s_waitcnt vmcnt(48)
	v_add_f64 v[47:48], v[47:48], -v[107:108]
	;; [unrolled: 2-line block ×5, first 2 shown]
	v_add_f64 v[53:54], v[53:54], -v[113:114]
	v_add_f64 v[55:56], v[55:56], -v[115:116]
	;; [unrolled: 1-line block ×3, first 2 shown]
	buffer_store_dword v57, off, s[0:3], 0 offset:768
	buffer_store_dword v58, off, s[0:3], 0 offset:772
	;; [unrolled: 1-line block ×24, first 2 shown]
	s_waitcnt vmcnt(32) lgkmcnt(0)
	v_mul_f64 v[113:114], v[37:38], v[65:66]
	v_mul_f64 v[65:66], v[35:36], v[65:66]
	s_waitcnt vmcnt(24)
	v_fma_f64 v[35:36], v[35:36], v[73:74], -v[113:114]
	v_fma_f64 v[37:38], v[37:38], v[73:74], v[65:66]
	v_mul_f64 v[61:62], v[2:3], v[63:64]
	v_mul_f64 v[101:102], v[0:1], v[63:64]
	;; [unrolled: 1-line block ×12, first 2 shown]
	s_waitcnt vmcnt(1)
	v_add_f64 v[35:36], v[95:96], -v[35:36]
	s_waitcnt vmcnt(0)
	v_add_f64 v[37:38], v[97:98], -v[37:38]
	v_fma_f64 v[0:1], v[0:1], v[67:68], -v[61:62]
	v_fma_f64 v[2:3], v[2:3], v[67:68], v[101:102]
	v_fma_f64 v[15:16], v[15:16], v[67:68], -v[57:58]
	v_fma_f64 v[17:18], v[17:18], v[67:68], v[103:104]
	;; [unrolled: 2-line block ×6, first 2 shown]
	v_add_f64 v[0:1], v[69:70], -v[0:1]
	v_add_f64 v[2:3], v[71:72], -v[2:3]
	v_add_f64 v[15:16], v[75:76], -v[15:16]
	v_add_f64 v[17:18], v[77:78], -v[17:18]
	v_add_f64 v[19:20], v[79:80], -v[19:20]
	v_add_f64 v[21:22], v[81:82], -v[21:22]
	v_add_f64 v[23:24], v[83:84], -v[23:24]
	v_add_f64 v[25:26], v[85:86], -v[25:26]
	v_add_f64 v[27:28], v[87:88], -v[27:28]
	v_add_f64 v[29:30], v[89:90], -v[29:30]
	v_add_f64 v[31:32], v[91:92], -v[31:32]
	v_add_f64 v[33:34], v[93:94], -v[33:34]
	buffer_store_dword v1, off, s[0:3], 0 offset:868
	buffer_store_dword v0, off, s[0:3], 0 offset:864
	buffer_store_dword v3, off, s[0:3], 0 offset:876
	buffer_store_dword v2, off, s[0:3], 0 offset:872
	buffer_store_dword v16, off, s[0:3], 0 offset:884
	buffer_store_dword v15, off, s[0:3], 0 offset:880
	buffer_store_dword v18, off, s[0:3], 0 offset:892
	buffer_store_dword v17, off, s[0:3], 0 offset:888
	buffer_store_dword v20, off, s[0:3], 0 offset:900
	buffer_store_dword v19, off, s[0:3], 0 offset:896
	buffer_store_dword v22, off, s[0:3], 0 offset:908
	buffer_store_dword v21, off, s[0:3], 0 offset:904
	buffer_store_dword v24, off, s[0:3], 0 offset:916
	buffer_store_dword v23, off, s[0:3], 0 offset:912
	buffer_store_dword v26, off, s[0:3], 0 offset:924
	buffer_store_dword v25, off, s[0:3], 0 offset:920
	buffer_store_dword v28, off, s[0:3], 0 offset:932
	buffer_store_dword v27, off, s[0:3], 0 offset:928
	buffer_store_dword v30, off, s[0:3], 0 offset:940
	buffer_store_dword v29, off, s[0:3], 0 offset:936
	buffer_store_dword v32, off, s[0:3], 0 offset:948
	buffer_store_dword v31, off, s[0:3], 0 offset:944
	buffer_store_dword v34, off, s[0:3], 0 offset:956
	buffer_store_dword v33, off, s[0:3], 0 offset:952
	buffer_store_dword v36, off, s[0:3], 0 offset:964
	buffer_store_dword v35, off, s[0:3], 0 offset:960
	buffer_store_dword v38, off, s[0:3], 0 offset:972
	buffer_store_dword v37, off, s[0:3], 0 offset:968
.LBB120_1130:
	s_or_b32 exec_lo, exec_lo, s4
	v_mov_b32_e32 v3, s30
	s_waitcnt_vscnt null, 0x0
	s_barrier
	buffer_gl0_inv
	v_lshl_add_u32 v4, v14, 4, v11
	s_clause 0x3
	buffer_load_dword v0, v3, s[0:3], 0 offen
	buffer_load_dword v1, v3, s[0:3], 0 offen offset:4
	buffer_load_dword v2, v3, s[0:3], 0 offen offset:8
	;; [unrolled: 1-line block ×3, first 2 shown]
	v_mov_b32_e32 v9, 48
	s_cmp_lt_i32 s56, 50
	s_waitcnt vmcnt(0)
	ds_write2_b64 v4, v[0:1], v[2:3] offset1:1
	s_waitcnt lgkmcnt(0)
	s_barrier
	buffer_gl0_inv
	ds_read2_b64 v[0:3], v11 offset0:96 offset1:97
	s_cbranch_scc1 .LBB120_1133
; %bb.1131:
	v_add3_u32 v4, v13, 0, 0x310
	v_mov_b32_e32 v9, 48
	s_mov_b32 s16, 49
	s_inst_prefetch 0x1
	.p2align	6
.LBB120_1132:                           ; =>This Inner Loop Header: Depth=1
	s_waitcnt lgkmcnt(0)
	v_cmp_gt_f64_e32 vcc_lo, 0, v[2:3]
	v_cmp_gt_f64_e64 s4, 0, v[0:1]
	ds_read2_b64 v[15:18], v4 offset1:1
	v_xor_b32_e32 v20, 0x80000000, v1
	v_xor_b32_e32 v22, 0x80000000, v3
	v_mov_b32_e32 v19, v0
	v_mov_b32_e32 v21, v2
	v_add_nc_u32_e32 v4, 16, v4
	s_waitcnt lgkmcnt(0)
	v_xor_b32_e32 v24, 0x80000000, v18
	v_cndmask_b32_e64 v20, v1, v20, s4
	v_cndmask_b32_e32 v22, v3, v22, vcc_lo
	v_cmp_gt_f64_e32 vcc_lo, 0, v[17:18]
	v_cmp_gt_f64_e64 s4, 0, v[15:16]
	v_mov_b32_e32 v23, v17
	v_add_f64 v[19:20], v[19:20], v[21:22]
	v_xor_b32_e32 v22, 0x80000000, v16
	v_mov_b32_e32 v21, v15
	v_cndmask_b32_e32 v24, v18, v24, vcc_lo
	v_cndmask_b32_e64 v22, v16, v22, s4
	v_add_f64 v[21:22], v[21:22], v[23:24]
	v_cmp_lt_f64_e32 vcc_lo, v[19:20], v[21:22]
	v_cndmask_b32_e32 v1, v1, v16, vcc_lo
	v_cndmask_b32_e32 v0, v0, v15, vcc_lo
	;; [unrolled: 1-line block ×4, first 2 shown]
	v_cndmask_b32_e64 v9, v9, s16, vcc_lo
	s_add_i32 s16, s16, 1
	s_cmp_lg_u32 s56, s16
	s_cbranch_scc1 .LBB120_1132
.LBB120_1133:
	s_inst_prefetch 0x2
	s_waitcnt lgkmcnt(0)
	v_cmp_eq_f64_e32 vcc_lo, 0, v[0:1]
	v_cmp_eq_f64_e64 s4, 0, v[2:3]
	s_and_b32 s4, vcc_lo, s4
	s_and_saveexec_b32 s16, s4
	s_xor_b32 s4, exec_lo, s16
; %bb.1134:
	v_cmp_ne_u32_e32 vcc_lo, 0, v12
	v_cndmask_b32_e32 v12, 49, v12, vcc_lo
; %bb.1135:
	s_andn2_saveexec_b32 s4, s4
	s_cbranch_execz .LBB120_1141
; %bb.1136:
	v_cmp_ngt_f64_e64 s16, |v[0:1]|, |v[2:3]|
	s_and_saveexec_b32 s17, s16
	s_xor_b32 s16, exec_lo, s17
	s_cbranch_execz .LBB120_1138
; %bb.1137:
	v_div_scale_f64 v[15:16], null, v[2:3], v[2:3], v[0:1]
	v_div_scale_f64 v[21:22], vcc_lo, v[0:1], v[2:3], v[0:1]
	v_rcp_f64_e32 v[17:18], v[15:16]
	v_fma_f64 v[19:20], -v[15:16], v[17:18], 1.0
	v_fma_f64 v[17:18], v[17:18], v[19:20], v[17:18]
	v_fma_f64 v[19:20], -v[15:16], v[17:18], 1.0
	v_fma_f64 v[17:18], v[17:18], v[19:20], v[17:18]
	v_mul_f64 v[19:20], v[21:22], v[17:18]
	v_fma_f64 v[15:16], -v[15:16], v[19:20], v[21:22]
	v_div_fmas_f64 v[15:16], v[15:16], v[17:18], v[19:20]
	v_div_fixup_f64 v[15:16], v[15:16], v[2:3], v[0:1]
	v_fma_f64 v[0:1], v[0:1], v[15:16], v[2:3]
	v_div_scale_f64 v[2:3], null, v[0:1], v[0:1], 1.0
	v_rcp_f64_e32 v[17:18], v[2:3]
	v_fma_f64 v[19:20], -v[2:3], v[17:18], 1.0
	v_fma_f64 v[17:18], v[17:18], v[19:20], v[17:18]
	v_fma_f64 v[19:20], -v[2:3], v[17:18], 1.0
	v_fma_f64 v[17:18], v[17:18], v[19:20], v[17:18]
	v_div_scale_f64 v[19:20], vcc_lo, 1.0, v[0:1], 1.0
	v_mul_f64 v[21:22], v[19:20], v[17:18]
	v_fma_f64 v[2:3], -v[2:3], v[21:22], v[19:20]
	v_div_fmas_f64 v[2:3], v[2:3], v[17:18], v[21:22]
	v_div_fixup_f64 v[2:3], v[2:3], v[0:1], 1.0
	v_mul_f64 v[0:1], v[15:16], v[2:3]
	v_xor_b32_e32 v3, 0x80000000, v3
.LBB120_1138:
	s_andn2_saveexec_b32 s16, s16
	s_cbranch_execz .LBB120_1140
; %bb.1139:
	v_div_scale_f64 v[15:16], null, v[0:1], v[0:1], v[2:3]
	v_div_scale_f64 v[21:22], vcc_lo, v[2:3], v[0:1], v[2:3]
	v_rcp_f64_e32 v[17:18], v[15:16]
	v_fma_f64 v[19:20], -v[15:16], v[17:18], 1.0
	v_fma_f64 v[17:18], v[17:18], v[19:20], v[17:18]
	v_fma_f64 v[19:20], -v[15:16], v[17:18], 1.0
	v_fma_f64 v[17:18], v[17:18], v[19:20], v[17:18]
	v_mul_f64 v[19:20], v[21:22], v[17:18]
	v_fma_f64 v[15:16], -v[15:16], v[19:20], v[21:22]
	v_div_fmas_f64 v[15:16], v[15:16], v[17:18], v[19:20]
	v_div_fixup_f64 v[15:16], v[15:16], v[0:1], v[2:3]
	v_fma_f64 v[0:1], v[2:3], v[15:16], v[0:1]
	v_div_scale_f64 v[2:3], null, v[0:1], v[0:1], 1.0
	v_rcp_f64_e32 v[17:18], v[2:3]
	v_fma_f64 v[19:20], -v[2:3], v[17:18], 1.0
	v_fma_f64 v[17:18], v[17:18], v[19:20], v[17:18]
	v_fma_f64 v[19:20], -v[2:3], v[17:18], 1.0
	v_fma_f64 v[17:18], v[17:18], v[19:20], v[17:18]
	v_div_scale_f64 v[19:20], vcc_lo, 1.0, v[0:1], 1.0
	v_mul_f64 v[21:22], v[19:20], v[17:18]
	v_fma_f64 v[2:3], -v[2:3], v[21:22], v[19:20]
	v_div_fmas_f64 v[2:3], v[2:3], v[17:18], v[21:22]
	v_div_fixup_f64 v[0:1], v[2:3], v[0:1], 1.0
	v_mul_f64 v[2:3], v[15:16], -v[0:1]
.LBB120_1140:
	s_or_b32 exec_lo, exec_lo, s16
.LBB120_1141:
	s_or_b32 exec_lo, exec_lo, s4
	s_mov_b32 s4, exec_lo
	v_cmpx_ne_u32_e64 v14, v9
	s_xor_b32 s4, exec_lo, s4
	s_cbranch_execz .LBB120_1147
; %bb.1142:
	s_mov_b32 s16, exec_lo
	v_cmpx_eq_u32_e32 48, v14
	s_cbranch_execz .LBB120_1146
; %bb.1143:
	v_cmp_ne_u32_e32 vcc_lo, 48, v9
	s_xor_b32 s17, s20, -1
	s_and_b32 s57, s17, vcc_lo
	s_and_saveexec_b32 s17, s57
	s_cbranch_execz .LBB120_1145
; %bb.1144:
	v_ashrrev_i32_e32 v10, 31, v9
	v_lshlrev_b64 v[14:15], 2, v[9:10]
	v_add_co_u32 v14, vcc_lo, v7, v14
	v_add_co_ci_u32_e64 v15, null, v8, v15, vcc_lo
	s_clause 0x1
	global_load_dword v4, v[14:15], off
	global_load_dword v10, v[7:8], off offset:192
	s_waitcnt vmcnt(1)
	global_store_dword v[7:8], v4, off offset:192
	s_waitcnt vmcnt(0)
	global_store_dword v[14:15], v10, off
.LBB120_1145:
	s_or_b32 exec_lo, exec_lo, s17
	v_mov_b32_e32 v14, v9
	v_mov_b32_e32 v10, v9
.LBB120_1146:
	s_or_b32 exec_lo, exec_lo, s16
.LBB120_1147:
	s_andn2_saveexec_b32 s4, s4
	s_cbranch_execz .LBB120_1149
; %bb.1148:
	v_mov_b32_e32 v4, s29
	v_mov_b32_e32 v14, s27
	;; [unrolled: 1-line block ×3, first 2 shown]
	s_clause 0x7
	buffer_load_dword v15, v4, s[0:3], 0 offen
	buffer_load_dword v16, v4, s[0:3], 0 offen offset:4
	buffer_load_dword v17, v4, s[0:3], 0 offen offset:8
	buffer_load_dword v18, v4, s[0:3], 0 offen offset:12
	buffer_load_dword v19, v9, s[0:3], 0 offen
	buffer_load_dword v20, v9, s[0:3], 0 offen offset:4
	buffer_load_dword v21, v9, s[0:3], 0 offen offset:8
	buffer_load_dword v22, v9, s[0:3], 0 offen offset:12
	v_mov_b32_e32 v4, s26
	v_mov_b32_e32 v9, s25
	s_clause 0x7
	buffer_load_dword v23, v14, s[0:3], 0 offen
	buffer_load_dword v24, v14, s[0:3], 0 offen offset:4
	buffer_load_dword v25, v14, s[0:3], 0 offen offset:8
	buffer_load_dword v26, v14, s[0:3], 0 offen offset:12
	buffer_load_dword v27, v4, s[0:3], 0 offen
	buffer_load_dword v28, v4, s[0:3], 0 offen offset:4
	buffer_load_dword v29, v4, s[0:3], 0 offen offset:8
	buffer_load_dword v30, v4, s[0:3], 0 offen offset:12
	v_mov_b32_e32 v14, s23
	v_mov_b32_e32 v4, s24
	;; [unrolled: 11-line block ×4, first 2 shown]
	s_clause 0x7
	buffer_load_dword v47, v9, s[0:3], 0 offen
	buffer_load_dword v48, v9, s[0:3], 0 offen offset:4
	buffer_load_dword v49, v9, s[0:3], 0 offen offset:8
	;; [unrolled: 1-line block ×3, first 2 shown]
	buffer_load_dword v51, v4, s[0:3], 0 offen
	buffer_load_dword v52, v4, s[0:3], 0 offen offset:4
	buffer_load_dword v53, v4, s[0:3], 0 offen offset:8
	;; [unrolled: 1-line block ×3, first 2 shown]
	v_mov_b32_e32 v4, s5
	s_clause 0x7
	buffer_load_dword v55, v14, s[0:3], 0 offen
	buffer_load_dword v56, v14, s[0:3], 0 offen offset:4
	buffer_load_dword v57, v14, s[0:3], 0 offen offset:8
	;; [unrolled: 1-line block ×3, first 2 shown]
	buffer_load_dword v59, v4, s[0:3], 0 offen
	buffer_load_dword v60, v4, s[0:3], 0 offen offset:4
	buffer_load_dword v61, v4, s[0:3], 0 offen offset:8
	;; [unrolled: 1-line block ×3, first 2 shown]
	v_mov_b32_e32 v14, 48
	s_waitcnt vmcnt(44)
	ds_write2_b64 v11, v[15:16], v[17:18] offset0:98 offset1:99
	s_waitcnt vmcnt(40)
	ds_write2_b64 v11, v[19:20], v[21:22] offset0:100 offset1:101
	;; [unrolled: 2-line block ×12, first 2 shown]
.LBB120_1149:
	s_or_b32 exec_lo, exec_lo, s4
	s_mov_b32 s4, exec_lo
	s_waitcnt lgkmcnt(0)
	s_waitcnt_vscnt null, 0x0
	s_barrier
	buffer_gl0_inv
	v_cmpx_lt_i32_e32 48, v14
	s_cbranch_execz .LBB120_1151
; %bb.1150:
	s_clause 0x7
	buffer_load_dword v15, off, s[0:3], 0 offset:776
	buffer_load_dword v16, off, s[0:3], 0 offset:780
	;; [unrolled: 1-line block ×8, first 2 shown]
	s_waitcnt vmcnt(6)
	v_mul_f64 v[19:20], v[0:1], v[15:16]
	v_mul_f64 v[15:16], v[2:3], v[15:16]
	s_waitcnt vmcnt(4)
	v_fma_f64 v[43:44], v[2:3], v[17:18], v[19:20]
	v_fma_f64 v[45:46], v[0:1], v[17:18], -v[15:16]
	buffer_store_dword v43, off, s[0:3], 0 offset:776
	buffer_store_dword v44, off, s[0:3], 0 offset:780
	s_clause 0x15
	buffer_load_dword v36, off, s[0:3], 0 offset:788
	buffer_load_dword v38, off, s[0:3], 0 offset:796
	;; [unrolled: 1-line block ×22, first 2 shown]
	buffer_store_dword v45, off, s[0:3], 0 offset:768
	buffer_store_dword v46, off, s[0:3], 0 offset:772
	s_clause 0x19
	buffer_load_dword v65, off, s[0:3], 0 offset:768
	buffer_load_dword v66, off, s[0:3], 0 offset:772
	;; [unrolled: 1-line block ×26, first 2 shown]
	ds_read2_b64 v[0:3], v11 offset0:98 offset1:99
	ds_read2_b64 v[15:18], v11 offset0:100 offset1:101
	;; [unrolled: 1-line block ×6, first 2 shown]
	s_waitcnt lgkmcnt(5)
	v_mul_f64 v[91:92], v[2:3], v[43:44]
	v_mul_f64 v[93:94], v[0:1], v[43:44]
	s_waitcnt lgkmcnt(3)
	v_mul_f64 v[99:100], v[21:22], v[43:44]
	v_mul_f64 v[101:102], v[19:20], v[43:44]
	;; [unrolled: 1-line block ×4, first 2 shown]
	s_waitcnt lgkmcnt(2)
	v_mul_f64 v[103:104], v[25:26], v[43:44]
	v_mul_f64 v[105:106], v[23:24], v[43:44]
	s_waitcnt lgkmcnt(1)
	v_mul_f64 v[107:108], v[29:30], v[43:44]
	v_mul_f64 v[109:110], v[27:28], v[43:44]
	;; [unrolled: 3-line block ×3, first 2 shown]
	v_fma_f64 v[91:92], v[0:1], v[45:46], -v[91:92]
	v_fma_f64 v[93:94], v[2:3], v[45:46], v[93:94]
	v_fma_f64 v[99:100], v[19:20], v[45:46], -v[99:100]
	v_fma_f64 v[101:102], v[21:22], v[45:46], v[101:102]
	ds_read2_b64 v[0:3], v11 offset0:110 offset1:111
	v_fma_f64 v[95:96], v[15:16], v[45:46], -v[95:96]
	v_fma_f64 v[97:98], v[17:18], v[45:46], v[97:98]
	ds_read2_b64 v[15:18], v11 offset0:112 offset1:113
	ds_read2_b64 v[19:22], v11 offset0:114 offset1:115
	v_fma_f64 v[103:104], v[23:24], v[45:46], -v[103:104]
	v_fma_f64 v[105:106], v[25:26], v[45:46], v[105:106]
	v_fma_f64 v[43:44], v[33:34], v[45:46], v[43:44]
	v_fma_f64 v[107:108], v[27:28], v[45:46], -v[107:108]
	v_fma_f64 v[109:110], v[29:30], v[45:46], v[109:110]
	v_fma_f64 v[111:112], v[31:32], v[45:46], -v[111:112]
	ds_read2_b64 v[23:26], v11 offset0:116 offset1:117
	ds_read2_b64 v[27:30], v11 offset0:118 offset1:119
	;; [unrolled: 1-line block ×3, first 2 shown]
	s_waitcnt vmcnt(47)
	v_add_f64 v[35:36], v[35:36], -v[91:92]
	s_waitcnt vmcnt(46)
	v_add_f64 v[37:38], v[37:38], -v[93:94]
	;; [unrolled: 2-line block ×4, first 2 shown]
	s_waitcnt vmcnt(42) lgkmcnt(5)
	v_mul_f64 v[91:92], v[0:1], v[47:48]
	s_waitcnt lgkmcnt(4)
	v_mul_f64 v[93:94], v[17:18], v[47:48]
	s_waitcnt vmcnt(40)
	v_add_f64 v[45:46], v[49:50], -v[99:100]
	v_mul_f64 v[95:96], v[15:16], v[47:48]
	s_waitcnt vmcnt(38)
	v_add_f64 v[49:50], v[51:52], -v[101:102]
	v_mul_f64 v[51:52], v[2:3], v[47:48]
	s_waitcnt lgkmcnt(3)
	v_mul_f64 v[97:98], v[21:22], v[47:48]
	v_mul_f64 v[99:100], v[19:20], v[47:48]
	s_waitcnt lgkmcnt(2)
	v_mul_f64 v[101:102], v[23:24], v[47:48]
	s_waitcnt vmcnt(36)
	v_add_f64 v[53:54], v[53:54], -v[103:104]
	s_waitcnt lgkmcnt(1)
	v_mul_f64 v[103:104], v[27:28], v[47:48]
	s_waitcnt vmcnt(34)
	v_add_f64 v[55:56], v[55:56], -v[105:106]
	s_waitcnt vmcnt(32)
	v_add_f64 v[57:58], v[57:58], -v[107:108]
	s_waitcnt vmcnt(30)
	v_add_f64 v[59:60], v[59:60], -v[109:110]
	s_waitcnt vmcnt(28)
	v_add_f64 v[61:62], v[61:62], -v[111:112]
	s_waitcnt vmcnt(26)
	v_add_f64 v[43:44], v[63:64], -v[43:44]
	v_mul_f64 v[63:64], v[25:26], v[47:48]
	buffer_store_dword v35, off, s[0:3], 0 offset:784
	buffer_store_dword v36, off, s[0:3], 0 offset:788
	v_mul_f64 v[35:36], v[29:30], v[47:48]
	buffer_store_dword v37, off, s[0:3], 0 offset:792
	buffer_store_dword v38, off, s[0:3], 0 offset:796
	s_waitcnt lgkmcnt(0)
	v_mul_f64 v[37:38], v[33:34], v[47:48]
	v_mul_f64 v[47:48], v[31:32], v[47:48]
	s_waitcnt vmcnt(24)
	v_fma_f64 v[2:3], v[2:3], v[65:66], v[91:92]
	v_fma_f64 v[15:16], v[15:16], v[65:66], -v[93:94]
	v_fma_f64 v[0:1], v[0:1], v[65:66], -v[51:52]
	v_fma_f64 v[17:18], v[17:18], v[65:66], v[95:96]
	v_fma_f64 v[19:20], v[19:20], v[65:66], -v[97:98]
	v_fma_f64 v[21:22], v[21:22], v[65:66], v[99:100]
	v_fma_f64 v[25:26], v[25:26], v[65:66], v[101:102]
	;; [unrolled: 1-line block ×3, first 2 shown]
	buffer_store_dword v39, off, s[0:3], 0 offset:800
	buffer_store_dword v40, off, s[0:3], 0 offset:804
	;; [unrolled: 1-line block ×6, first 2 shown]
	v_fma_f64 v[23:24], v[23:24], v[65:66], -v[63:64]
	buffer_store_dword v49, off, s[0:3], 0 offset:824
	buffer_store_dword v50, off, s[0:3], 0 offset:828
	v_fma_f64 v[27:28], v[27:28], v[65:66], -v[35:36]
	buffer_store_dword v54, off, s[0:3], 0 offset:836
	buffer_store_dword v53, off, s[0:3], 0 offset:832
	v_fma_f64 v[31:32], v[31:32], v[65:66], -v[37:38]
	v_fma_f64 v[33:34], v[33:34], v[65:66], v[47:48]
	s_waitcnt vmcnt(16)
	v_add_f64 v[2:3], v[73:74], -v[2:3]
	v_add_f64 v[15:16], v[69:70], -v[15:16]
	;; [unrolled: 1-line block ×4, first 2 shown]
	s_waitcnt vmcnt(14)
	v_add_f64 v[19:20], v[75:76], -v[19:20]
	s_waitcnt vmcnt(12)
	v_add_f64 v[21:22], v[77:78], -v[21:22]
	;; [unrolled: 2-line block ×4, first 2 shown]
	buffer_store_dword v56, off, s[0:3], 0 offset:844
	buffer_store_dword v55, off, s[0:3], 0 offset:840
	;; [unrolled: 1-line block ×6, first 2 shown]
	v_add_f64 v[23:24], v[79:80], -v[23:24]
	buffer_store_dword v62, off, s[0:3], 0 offset:868
	buffer_store_dword v61, off, s[0:3], 0 offset:864
	v_add_f64 v[27:28], v[83:84], -v[27:28]
	buffer_store_dword v44, off, s[0:3], 0 offset:876
	buffer_store_dword v43, off, s[0:3], 0 offset:872
	s_waitcnt vmcnt(2)
	v_add_f64 v[31:32], v[87:88], -v[31:32]
	s_waitcnt vmcnt(0)
	v_add_f64 v[33:34], v[89:90], -v[33:34]
	buffer_store_dword v1, off, s[0:3], 0 offset:884
	buffer_store_dword v0, off, s[0:3], 0 offset:880
	;; [unrolled: 1-line block ×24, first 2 shown]
.LBB120_1151:
	s_or_b32 exec_lo, exec_lo, s4
	v_mov_b32_e32 v3, s29
	s_waitcnt_vscnt null, 0x0
	s_barrier
	buffer_gl0_inv
	v_lshl_add_u32 v4, v14, 4, v11
	s_clause 0x3
	buffer_load_dword v0, v3, s[0:3], 0 offen
	buffer_load_dword v1, v3, s[0:3], 0 offen offset:4
	buffer_load_dword v2, v3, s[0:3], 0 offen offset:8
	;; [unrolled: 1-line block ×3, first 2 shown]
	v_mov_b32_e32 v9, 49
	s_cmp_lt_i32 s56, 51
	s_waitcnt vmcnt(0)
	ds_write2_b64 v4, v[0:1], v[2:3] offset1:1
	s_waitcnt lgkmcnt(0)
	s_barrier
	buffer_gl0_inv
	ds_read2_b64 v[0:3], v11 offset0:98 offset1:99
	s_cbranch_scc1 .LBB120_1154
; %bb.1152:
	v_add3_u32 v4, v13, 0, 0x320
	v_mov_b32_e32 v9, 49
	s_mov_b32 s16, 50
	s_inst_prefetch 0x1
	.p2align	6
.LBB120_1153:                           ; =>This Inner Loop Header: Depth=1
	s_waitcnt lgkmcnt(0)
	v_cmp_gt_f64_e32 vcc_lo, 0, v[2:3]
	v_cmp_gt_f64_e64 s4, 0, v[0:1]
	ds_read2_b64 v[15:18], v4 offset1:1
	v_xor_b32_e32 v20, 0x80000000, v1
	v_xor_b32_e32 v22, 0x80000000, v3
	v_mov_b32_e32 v19, v0
	v_mov_b32_e32 v21, v2
	v_add_nc_u32_e32 v4, 16, v4
	s_waitcnt lgkmcnt(0)
	v_xor_b32_e32 v24, 0x80000000, v18
	v_cndmask_b32_e64 v20, v1, v20, s4
	v_cndmask_b32_e32 v22, v3, v22, vcc_lo
	v_cmp_gt_f64_e32 vcc_lo, 0, v[17:18]
	v_cmp_gt_f64_e64 s4, 0, v[15:16]
	v_mov_b32_e32 v23, v17
	v_add_f64 v[19:20], v[19:20], v[21:22]
	v_xor_b32_e32 v22, 0x80000000, v16
	v_mov_b32_e32 v21, v15
	v_cndmask_b32_e32 v24, v18, v24, vcc_lo
	v_cndmask_b32_e64 v22, v16, v22, s4
	v_add_f64 v[21:22], v[21:22], v[23:24]
	v_cmp_lt_f64_e32 vcc_lo, v[19:20], v[21:22]
	v_cndmask_b32_e32 v1, v1, v16, vcc_lo
	v_cndmask_b32_e32 v0, v0, v15, vcc_lo
	;; [unrolled: 1-line block ×4, first 2 shown]
	v_cndmask_b32_e64 v9, v9, s16, vcc_lo
	s_add_i32 s16, s16, 1
	s_cmp_lg_u32 s56, s16
	s_cbranch_scc1 .LBB120_1153
.LBB120_1154:
	s_inst_prefetch 0x2
	s_waitcnt lgkmcnt(0)
	v_cmp_eq_f64_e32 vcc_lo, 0, v[0:1]
	v_cmp_eq_f64_e64 s4, 0, v[2:3]
	s_and_b32 s4, vcc_lo, s4
	s_and_saveexec_b32 s16, s4
	s_xor_b32 s4, exec_lo, s16
; %bb.1155:
	v_cmp_ne_u32_e32 vcc_lo, 0, v12
	v_cndmask_b32_e32 v12, 50, v12, vcc_lo
; %bb.1156:
	s_andn2_saveexec_b32 s4, s4
	s_cbranch_execz .LBB120_1162
; %bb.1157:
	v_cmp_ngt_f64_e64 s16, |v[0:1]|, |v[2:3]|
	s_and_saveexec_b32 s17, s16
	s_xor_b32 s16, exec_lo, s17
	s_cbranch_execz .LBB120_1159
; %bb.1158:
	v_div_scale_f64 v[15:16], null, v[2:3], v[2:3], v[0:1]
	v_div_scale_f64 v[21:22], vcc_lo, v[0:1], v[2:3], v[0:1]
	v_rcp_f64_e32 v[17:18], v[15:16]
	v_fma_f64 v[19:20], -v[15:16], v[17:18], 1.0
	v_fma_f64 v[17:18], v[17:18], v[19:20], v[17:18]
	v_fma_f64 v[19:20], -v[15:16], v[17:18], 1.0
	v_fma_f64 v[17:18], v[17:18], v[19:20], v[17:18]
	v_mul_f64 v[19:20], v[21:22], v[17:18]
	v_fma_f64 v[15:16], -v[15:16], v[19:20], v[21:22]
	v_div_fmas_f64 v[15:16], v[15:16], v[17:18], v[19:20]
	v_div_fixup_f64 v[15:16], v[15:16], v[2:3], v[0:1]
	v_fma_f64 v[0:1], v[0:1], v[15:16], v[2:3]
	v_div_scale_f64 v[2:3], null, v[0:1], v[0:1], 1.0
	v_rcp_f64_e32 v[17:18], v[2:3]
	v_fma_f64 v[19:20], -v[2:3], v[17:18], 1.0
	v_fma_f64 v[17:18], v[17:18], v[19:20], v[17:18]
	v_fma_f64 v[19:20], -v[2:3], v[17:18], 1.0
	v_fma_f64 v[17:18], v[17:18], v[19:20], v[17:18]
	v_div_scale_f64 v[19:20], vcc_lo, 1.0, v[0:1], 1.0
	v_mul_f64 v[21:22], v[19:20], v[17:18]
	v_fma_f64 v[2:3], -v[2:3], v[21:22], v[19:20]
	v_div_fmas_f64 v[2:3], v[2:3], v[17:18], v[21:22]
	v_div_fixup_f64 v[2:3], v[2:3], v[0:1], 1.0
	v_mul_f64 v[0:1], v[15:16], v[2:3]
	v_xor_b32_e32 v3, 0x80000000, v3
.LBB120_1159:
	s_andn2_saveexec_b32 s16, s16
	s_cbranch_execz .LBB120_1161
; %bb.1160:
	v_div_scale_f64 v[15:16], null, v[0:1], v[0:1], v[2:3]
	v_div_scale_f64 v[21:22], vcc_lo, v[2:3], v[0:1], v[2:3]
	v_rcp_f64_e32 v[17:18], v[15:16]
	v_fma_f64 v[19:20], -v[15:16], v[17:18], 1.0
	v_fma_f64 v[17:18], v[17:18], v[19:20], v[17:18]
	v_fma_f64 v[19:20], -v[15:16], v[17:18], 1.0
	v_fma_f64 v[17:18], v[17:18], v[19:20], v[17:18]
	v_mul_f64 v[19:20], v[21:22], v[17:18]
	v_fma_f64 v[15:16], -v[15:16], v[19:20], v[21:22]
	v_div_fmas_f64 v[15:16], v[15:16], v[17:18], v[19:20]
	v_div_fixup_f64 v[15:16], v[15:16], v[0:1], v[2:3]
	v_fma_f64 v[0:1], v[2:3], v[15:16], v[0:1]
	v_div_scale_f64 v[2:3], null, v[0:1], v[0:1], 1.0
	v_rcp_f64_e32 v[17:18], v[2:3]
	v_fma_f64 v[19:20], -v[2:3], v[17:18], 1.0
	v_fma_f64 v[17:18], v[17:18], v[19:20], v[17:18]
	v_fma_f64 v[19:20], -v[2:3], v[17:18], 1.0
	v_fma_f64 v[17:18], v[17:18], v[19:20], v[17:18]
	v_div_scale_f64 v[19:20], vcc_lo, 1.0, v[0:1], 1.0
	v_mul_f64 v[21:22], v[19:20], v[17:18]
	v_fma_f64 v[2:3], -v[2:3], v[21:22], v[19:20]
	v_div_fmas_f64 v[2:3], v[2:3], v[17:18], v[21:22]
	v_div_fixup_f64 v[0:1], v[2:3], v[0:1], 1.0
	v_mul_f64 v[2:3], v[15:16], -v[0:1]
.LBB120_1161:
	s_or_b32 exec_lo, exec_lo, s16
.LBB120_1162:
	s_or_b32 exec_lo, exec_lo, s4
	s_mov_b32 s4, exec_lo
	v_cmpx_ne_u32_e64 v14, v9
	s_xor_b32 s4, exec_lo, s4
	s_cbranch_execz .LBB120_1168
; %bb.1163:
	s_mov_b32 s16, exec_lo
	v_cmpx_eq_u32_e32 49, v14
	s_cbranch_execz .LBB120_1167
; %bb.1164:
	v_cmp_ne_u32_e32 vcc_lo, 49, v9
	s_xor_b32 s17, s20, -1
	s_and_b32 s57, s17, vcc_lo
	s_and_saveexec_b32 s17, s57
	s_cbranch_execz .LBB120_1166
; %bb.1165:
	v_ashrrev_i32_e32 v10, 31, v9
	v_lshlrev_b64 v[14:15], 2, v[9:10]
	v_add_co_u32 v14, vcc_lo, v7, v14
	v_add_co_ci_u32_e64 v15, null, v8, v15, vcc_lo
	s_clause 0x1
	global_load_dword v4, v[14:15], off
	global_load_dword v10, v[7:8], off offset:196
	s_waitcnt vmcnt(1)
	global_store_dword v[7:8], v4, off offset:196
	s_waitcnt vmcnt(0)
	global_store_dword v[14:15], v10, off
.LBB120_1166:
	s_or_b32 exec_lo, exec_lo, s17
	v_mov_b32_e32 v14, v9
	v_mov_b32_e32 v10, v9
.LBB120_1167:
	s_or_b32 exec_lo, exec_lo, s16
.LBB120_1168:
	s_andn2_saveexec_b32 s4, s4
	s_cbranch_execz .LBB120_1170
; %bb.1169:
	v_mov_b32_e32 v4, s28
	v_mov_b32_e32 v9, s27
	;; [unrolled: 1-line block ×3, first 2 shown]
	s_clause 0x7
	buffer_load_dword v15, v4, s[0:3], 0 offen
	buffer_load_dword v16, v4, s[0:3], 0 offen offset:4
	buffer_load_dword v17, v4, s[0:3], 0 offen offset:8
	buffer_load_dword v18, v4, s[0:3], 0 offen offset:12
	buffer_load_dword v19, v9, s[0:3], 0 offen
	buffer_load_dword v20, v9, s[0:3], 0 offen offset:4
	buffer_load_dword v21, v9, s[0:3], 0 offen offset:8
	buffer_load_dword v22, v9, s[0:3], 0 offen offset:12
	v_mov_b32_e32 v9, s24
	v_mov_b32_e32 v4, s25
	s_clause 0x7
	buffer_load_dword v23, v14, s[0:3], 0 offen
	buffer_load_dword v24, v14, s[0:3], 0 offen offset:4
	buffer_load_dword v25, v14, s[0:3], 0 offen offset:8
	buffer_load_dword v26, v14, s[0:3], 0 offen offset:12
	buffer_load_dword v27, v4, s[0:3], 0 offen
	buffer_load_dword v28, v4, s[0:3], 0 offen offset:4
	buffer_load_dword v29, v4, s[0:3], 0 offen offset:8
	buffer_load_dword v30, v4, s[0:3], 0 offen offset:12
	v_mov_b32_e32 v4, s23
	v_mov_b32_e32 v14, s22
	;; [unrolled: 11-line block ×4, first 2 shown]
	s_clause 0xb
	buffer_load_dword v47, v9, s[0:3], 0 offen
	buffer_load_dword v48, v9, s[0:3], 0 offen offset:4
	buffer_load_dword v49, v9, s[0:3], 0 offen offset:8
	buffer_load_dword v50, v9, s[0:3], 0 offen offset:12
	buffer_load_dword v51, v4, s[0:3], 0 offen
	buffer_load_dword v52, v4, s[0:3], 0 offen offset:4
	buffer_load_dword v53, v4, s[0:3], 0 offen offset:8
	buffer_load_dword v54, v4, s[0:3], 0 offen offset:12
	;; [unrolled: 4-line block ×3, first 2 shown]
	v_mov_b32_e32 v14, 49
	s_waitcnt vmcnt(40)
	ds_write2_b64 v11, v[15:16], v[17:18] offset0:100 offset1:101
	s_waitcnt vmcnt(36)
	ds_write2_b64 v11, v[19:20], v[21:22] offset0:102 offset1:103
	;; [unrolled: 2-line block ×11, first 2 shown]
.LBB120_1170:
	s_or_b32 exec_lo, exec_lo, s4
	s_mov_b32 s4, exec_lo
	s_waitcnt lgkmcnt(0)
	s_waitcnt_vscnt null, 0x0
	s_barrier
	buffer_gl0_inv
	v_cmpx_lt_i32_e32 49, v14
	s_cbranch_execz .LBB120_1172
; %bb.1171:
	s_clause 0x7
	buffer_load_dword v15, off, s[0:3], 0 offset:792
	buffer_load_dword v16, off, s[0:3], 0 offset:796
	;; [unrolled: 1-line block ×8, first 2 shown]
	s_waitcnt vmcnt(6)
	v_mul_f64 v[19:20], v[0:1], v[15:16]
	v_mul_f64 v[15:16], v[2:3], v[15:16]
	s_waitcnt vmcnt(4)
	v_fma_f64 v[35:36], v[2:3], v[17:18], v[19:20]
	v_fma_f64 v[47:48], v[0:1], v[17:18], -v[15:16]
	buffer_store_dword v35, off, s[0:3], 0 offset:792
	buffer_store_dword v36, off, s[0:3], 0 offset:796
	s_clause 0xd
	buffer_load_dword v42, off, s[0:3], 0 offset:812
	buffer_load_dword v44, off, s[0:3], 0 offset:820
	;; [unrolled: 1-line block ×14, first 2 shown]
	buffer_store_dword v47, off, s[0:3], 0 offset:784
	buffer_store_dword v48, off, s[0:3], 0 offset:788
	s_clause 0x1d
	buffer_load_dword v59, off, s[0:3], 0 offset:864
	buffer_load_dword v60, off, s[0:3], 0 offset:868
	;; [unrolled: 1-line block ×30, first 2 shown]
	ds_read2_b64 v[0:3], v11 offset0:100 offset1:101
	ds_read2_b64 v[15:18], v11 offset0:102 offset1:103
	;; [unrolled: 1-line block ×6, first 2 shown]
	s_waitcnt lgkmcnt(5)
	v_mul_f64 v[37:38], v[2:3], v[35:36]
	v_mul_f64 v[89:90], v[0:1], v[35:36]
	s_waitcnt lgkmcnt(4)
	v_mul_f64 v[91:92], v[17:18], v[35:36]
	v_mul_f64 v[93:94], v[15:16], v[35:36]
	;; [unrolled: 3-line block ×6, first 2 shown]
	v_fma_f64 v[111:112], v[0:1], v[47:48], -v[37:38]
	ds_read2_b64 v[35:38], v11 offset0:112 offset1:113
	v_fma_f64 v[89:90], v[2:3], v[47:48], v[89:90]
	v_fma_f64 v[91:92], v[15:16], v[47:48], -v[91:92]
	ds_read2_b64 v[0:3], v11 offset0:114 offset1:115
	v_fma_f64 v[93:94], v[17:18], v[47:48], v[93:94]
	v_fma_f64 v[95:96], v[19:20], v[47:48], -v[95:96]
	ds_read2_b64 v[15:18], v11 offset0:116 offset1:117
	v_fma_f64 v[97:98], v[21:22], v[47:48], v[97:98]
	v_fma_f64 v[99:100], v[23:24], v[47:48], -v[99:100]
	ds_read2_b64 v[19:22], v11 offset0:118 offset1:119
	v_fma_f64 v[101:102], v[25:26], v[47:48], v[101:102]
	ds_read2_b64 v[23:26], v11 offset0:120 offset1:121
	v_fma_f64 v[27:28], v[27:28], v[47:48], -v[103:104]
	v_fma_f64 v[29:30], v[29:30], v[47:48], v[105:106]
	v_fma_f64 v[31:32], v[31:32], v[47:48], -v[107:108]
	v_fma_f64 v[33:34], v[33:34], v[47:48], v[109:110]
	s_waitcnt vmcnt(28)
	v_add_f64 v[27:28], v[59:60], -v[27:28]
	s_waitcnt vmcnt(26)
	v_add_f64 v[29:30], v[61:62], -v[29:30]
	;; [unrolled: 2-line block ×4, first 2 shown]
	v_add_f64 v[41:42], v[41:42], -v[89:90]
	v_add_f64 v[43:44], v[43:44], -v[91:92]
	;; [unrolled: 1-line block ×3, first 2 shown]
	s_waitcnt lgkmcnt(4)
	v_mul_f64 v[47:48], v[37:38], v[49:50]
	v_mul_f64 v[103:104], v[35:36], v[49:50]
	s_waitcnt lgkmcnt(3)
	v_mul_f64 v[89:90], v[2:3], v[49:50]
	v_mul_f64 v[91:92], v[0:1], v[49:50]
	s_waitcnt lgkmcnt(2)
	v_mul_f64 v[93:94], v[17:18], v[49:50]
	v_add_f64 v[51:52], v[51:52], -v[95:96]
	v_mul_f64 v[95:96], v[15:16], v[49:50]
	v_add_f64 v[53:54], v[53:54], -v[97:98]
	s_waitcnt lgkmcnt(1)
	v_mul_f64 v[97:98], v[21:22], v[49:50]
	v_add_f64 v[55:56], v[55:56], -v[99:100]
	v_mul_f64 v[99:100], v[19:20], v[49:50]
	v_add_f64 v[57:58], v[57:58], -v[101:102]
	s_waitcnt lgkmcnt(0)
	v_mul_f64 v[101:102], v[25:26], v[49:50]
	v_mul_f64 v[49:50], v[23:24], v[49:50]
	v_add_f64 v[39:40], v[39:40], -v[111:112]
	buffer_store_dword v41, off, s[0:3], 0 offset:808
	buffer_store_dword v42, off, s[0:3], 0 offset:812
	;; [unrolled: 1-line block ×4, first 2 shown]
	s_waitcnt vmcnt(20)
	v_fma_f64 v[35:36], v[35:36], v[67:68], -v[47:48]
	v_fma_f64 v[37:38], v[37:38], v[67:68], v[103:104]
	v_fma_f64 v[0:1], v[0:1], v[67:68], -v[89:90]
	v_fma_f64 v[2:3], v[2:3], v[67:68], v[91:92]
	v_fma_f64 v[15:16], v[15:16], v[67:68], -v[93:94]
	buffer_store_dword v45, off, s[0:3], 0 offset:824
	v_fma_f64 v[17:18], v[17:18], v[67:68], v[95:96]
	buffer_store_dword v46, off, s[0:3], 0 offset:828
	v_fma_f64 v[19:20], v[19:20], v[67:68], -v[97:98]
	buffer_store_dword v52, off, s[0:3], 0 offset:836
	v_fma_f64 v[21:22], v[21:22], v[67:68], v[99:100]
	v_fma_f64 v[23:24], v[23:24], v[67:68], -v[101:102]
	v_fma_f64 v[25:26], v[25:26], v[67:68], v[49:50]
	buffer_store_dword v39, off, s[0:3], 0 offset:800
	buffer_store_dword v40, off, s[0:3], 0 offset:804
	;; [unrolled: 1-line block ×10, first 2 shown]
	s_waitcnt vmcnt(13)
	v_add_f64 v[35:36], v[69:70], -v[35:36]
	s_waitcnt vmcnt(12)
	v_add_f64 v[37:38], v[75:76], -v[37:38]
	v_add_f64 v[0:1], v[71:72], -v[0:1]
	;; [unrolled: 1-line block ×3, first 2 shown]
	s_waitcnt vmcnt(10)
	v_add_f64 v[15:16], v[77:78], -v[15:16]
	buffer_store_dword v27, off, s[0:3], 0 offset:864
	s_waitcnt vmcnt(8)
	v_add_f64 v[17:18], v[79:80], -v[17:18]
	buffer_store_dword v30, off, s[0:3], 0 offset:876
	;; [unrolled: 3-line block ×4, first 2 shown]
	s_waitcnt vmcnt(2)
	v_add_f64 v[23:24], v[85:86], -v[23:24]
	s_waitcnt vmcnt(0)
	v_add_f64 v[25:26], v[87:88], -v[25:26]
	buffer_store_dword v31, off, s[0:3], 0 offset:880
	buffer_store_dword v34, off, s[0:3], 0 offset:892
	;; [unrolled: 1-line block ×23, first 2 shown]
.LBB120_1172:
	s_or_b32 exec_lo, exec_lo, s4
	v_mov_b32_e32 v3, s28
	s_waitcnt_vscnt null, 0x0
	s_barrier
	buffer_gl0_inv
	v_lshl_add_u32 v4, v14, 4, v11
	s_clause 0x3
	buffer_load_dword v0, v3, s[0:3], 0 offen
	buffer_load_dword v1, v3, s[0:3], 0 offen offset:4
	buffer_load_dword v2, v3, s[0:3], 0 offen offset:8
	;; [unrolled: 1-line block ×3, first 2 shown]
	v_mov_b32_e32 v9, 50
	s_cmp_lt_i32 s56, 52
	s_waitcnt vmcnt(0)
	ds_write2_b64 v4, v[0:1], v[2:3] offset1:1
	s_waitcnt lgkmcnt(0)
	s_barrier
	buffer_gl0_inv
	ds_read2_b64 v[0:3], v11 offset0:100 offset1:101
	s_cbranch_scc1 .LBB120_1175
; %bb.1173:
	v_add3_u32 v4, v13, 0, 0x330
	v_mov_b32_e32 v9, 50
	s_mov_b32 s16, 51
	s_inst_prefetch 0x1
	.p2align	6
.LBB120_1174:                           ; =>This Inner Loop Header: Depth=1
	s_waitcnt lgkmcnt(0)
	v_cmp_gt_f64_e32 vcc_lo, 0, v[2:3]
	v_cmp_gt_f64_e64 s4, 0, v[0:1]
	ds_read2_b64 v[15:18], v4 offset1:1
	v_xor_b32_e32 v20, 0x80000000, v1
	v_xor_b32_e32 v22, 0x80000000, v3
	v_mov_b32_e32 v19, v0
	v_mov_b32_e32 v21, v2
	v_add_nc_u32_e32 v4, 16, v4
	s_waitcnt lgkmcnt(0)
	v_xor_b32_e32 v24, 0x80000000, v18
	v_cndmask_b32_e64 v20, v1, v20, s4
	v_cndmask_b32_e32 v22, v3, v22, vcc_lo
	v_cmp_gt_f64_e32 vcc_lo, 0, v[17:18]
	v_cmp_gt_f64_e64 s4, 0, v[15:16]
	v_mov_b32_e32 v23, v17
	v_add_f64 v[19:20], v[19:20], v[21:22]
	v_xor_b32_e32 v22, 0x80000000, v16
	v_mov_b32_e32 v21, v15
	v_cndmask_b32_e32 v24, v18, v24, vcc_lo
	v_cndmask_b32_e64 v22, v16, v22, s4
	v_add_f64 v[21:22], v[21:22], v[23:24]
	v_cmp_lt_f64_e32 vcc_lo, v[19:20], v[21:22]
	v_cndmask_b32_e32 v1, v1, v16, vcc_lo
	v_cndmask_b32_e32 v0, v0, v15, vcc_lo
	;; [unrolled: 1-line block ×4, first 2 shown]
	v_cndmask_b32_e64 v9, v9, s16, vcc_lo
	s_add_i32 s16, s16, 1
	s_cmp_lg_u32 s56, s16
	s_cbranch_scc1 .LBB120_1174
.LBB120_1175:
	s_inst_prefetch 0x2
	s_waitcnt lgkmcnt(0)
	v_cmp_eq_f64_e32 vcc_lo, 0, v[0:1]
	v_cmp_eq_f64_e64 s4, 0, v[2:3]
	s_and_b32 s4, vcc_lo, s4
	s_and_saveexec_b32 s16, s4
	s_xor_b32 s4, exec_lo, s16
; %bb.1176:
	v_cmp_ne_u32_e32 vcc_lo, 0, v12
	v_cndmask_b32_e32 v12, 51, v12, vcc_lo
; %bb.1177:
	s_andn2_saveexec_b32 s4, s4
	s_cbranch_execz .LBB120_1183
; %bb.1178:
	v_cmp_ngt_f64_e64 s16, |v[0:1]|, |v[2:3]|
	s_and_saveexec_b32 s17, s16
	s_xor_b32 s16, exec_lo, s17
	s_cbranch_execz .LBB120_1180
; %bb.1179:
	v_div_scale_f64 v[15:16], null, v[2:3], v[2:3], v[0:1]
	v_div_scale_f64 v[21:22], vcc_lo, v[0:1], v[2:3], v[0:1]
	v_rcp_f64_e32 v[17:18], v[15:16]
	v_fma_f64 v[19:20], -v[15:16], v[17:18], 1.0
	v_fma_f64 v[17:18], v[17:18], v[19:20], v[17:18]
	v_fma_f64 v[19:20], -v[15:16], v[17:18], 1.0
	v_fma_f64 v[17:18], v[17:18], v[19:20], v[17:18]
	v_mul_f64 v[19:20], v[21:22], v[17:18]
	v_fma_f64 v[15:16], -v[15:16], v[19:20], v[21:22]
	v_div_fmas_f64 v[15:16], v[15:16], v[17:18], v[19:20]
	v_div_fixup_f64 v[15:16], v[15:16], v[2:3], v[0:1]
	v_fma_f64 v[0:1], v[0:1], v[15:16], v[2:3]
	v_div_scale_f64 v[2:3], null, v[0:1], v[0:1], 1.0
	v_rcp_f64_e32 v[17:18], v[2:3]
	v_fma_f64 v[19:20], -v[2:3], v[17:18], 1.0
	v_fma_f64 v[17:18], v[17:18], v[19:20], v[17:18]
	v_fma_f64 v[19:20], -v[2:3], v[17:18], 1.0
	v_fma_f64 v[17:18], v[17:18], v[19:20], v[17:18]
	v_div_scale_f64 v[19:20], vcc_lo, 1.0, v[0:1], 1.0
	v_mul_f64 v[21:22], v[19:20], v[17:18]
	v_fma_f64 v[2:3], -v[2:3], v[21:22], v[19:20]
	v_div_fmas_f64 v[2:3], v[2:3], v[17:18], v[21:22]
	v_div_fixup_f64 v[2:3], v[2:3], v[0:1], 1.0
	v_mul_f64 v[0:1], v[15:16], v[2:3]
	v_xor_b32_e32 v3, 0x80000000, v3
.LBB120_1180:
	s_andn2_saveexec_b32 s16, s16
	s_cbranch_execz .LBB120_1182
; %bb.1181:
	v_div_scale_f64 v[15:16], null, v[0:1], v[0:1], v[2:3]
	v_div_scale_f64 v[21:22], vcc_lo, v[2:3], v[0:1], v[2:3]
	v_rcp_f64_e32 v[17:18], v[15:16]
	v_fma_f64 v[19:20], -v[15:16], v[17:18], 1.0
	v_fma_f64 v[17:18], v[17:18], v[19:20], v[17:18]
	v_fma_f64 v[19:20], -v[15:16], v[17:18], 1.0
	v_fma_f64 v[17:18], v[17:18], v[19:20], v[17:18]
	v_mul_f64 v[19:20], v[21:22], v[17:18]
	v_fma_f64 v[15:16], -v[15:16], v[19:20], v[21:22]
	v_div_fmas_f64 v[15:16], v[15:16], v[17:18], v[19:20]
	v_div_fixup_f64 v[15:16], v[15:16], v[0:1], v[2:3]
	v_fma_f64 v[0:1], v[2:3], v[15:16], v[0:1]
	v_div_scale_f64 v[2:3], null, v[0:1], v[0:1], 1.0
	v_rcp_f64_e32 v[17:18], v[2:3]
	v_fma_f64 v[19:20], -v[2:3], v[17:18], 1.0
	v_fma_f64 v[17:18], v[17:18], v[19:20], v[17:18]
	v_fma_f64 v[19:20], -v[2:3], v[17:18], 1.0
	v_fma_f64 v[17:18], v[17:18], v[19:20], v[17:18]
	v_div_scale_f64 v[19:20], vcc_lo, 1.0, v[0:1], 1.0
	v_mul_f64 v[21:22], v[19:20], v[17:18]
	v_fma_f64 v[2:3], -v[2:3], v[21:22], v[19:20]
	v_div_fmas_f64 v[2:3], v[2:3], v[17:18], v[21:22]
	v_div_fixup_f64 v[0:1], v[2:3], v[0:1], 1.0
	v_mul_f64 v[2:3], v[15:16], -v[0:1]
.LBB120_1182:
	s_or_b32 exec_lo, exec_lo, s16
.LBB120_1183:
	s_or_b32 exec_lo, exec_lo, s4
	s_mov_b32 s4, exec_lo
	v_cmpx_ne_u32_e64 v14, v9
	s_xor_b32 s4, exec_lo, s4
	s_cbranch_execz .LBB120_1189
; %bb.1184:
	s_mov_b32 s16, exec_lo
	v_cmpx_eq_u32_e32 50, v14
	s_cbranch_execz .LBB120_1188
; %bb.1185:
	v_cmp_ne_u32_e32 vcc_lo, 50, v9
	s_xor_b32 s17, s20, -1
	s_and_b32 s57, s17, vcc_lo
	s_and_saveexec_b32 s17, s57
	s_cbranch_execz .LBB120_1187
; %bb.1186:
	v_ashrrev_i32_e32 v10, 31, v9
	v_lshlrev_b64 v[14:15], 2, v[9:10]
	v_add_co_u32 v14, vcc_lo, v7, v14
	v_add_co_ci_u32_e64 v15, null, v8, v15, vcc_lo
	s_clause 0x1
	global_load_dword v4, v[14:15], off
	global_load_dword v10, v[7:8], off offset:200
	s_waitcnt vmcnt(1)
	global_store_dword v[7:8], v4, off offset:200
	s_waitcnt vmcnt(0)
	global_store_dword v[14:15], v10, off
.LBB120_1187:
	s_or_b32 exec_lo, exec_lo, s17
	v_mov_b32_e32 v14, v9
	v_mov_b32_e32 v10, v9
.LBB120_1188:
	s_or_b32 exec_lo, exec_lo, s16
.LBB120_1189:
	s_andn2_saveexec_b32 s4, s4
	s_cbranch_execz .LBB120_1191
; %bb.1190:
	v_mov_b32_e32 v4, s27
	v_mov_b32_e32 v9, s26
	;; [unrolled: 1-line block ×3, first 2 shown]
	s_clause 0x7
	buffer_load_dword v15, v4, s[0:3], 0 offen
	buffer_load_dword v16, v4, s[0:3], 0 offen offset:4
	buffer_load_dword v17, v4, s[0:3], 0 offen offset:8
	buffer_load_dword v18, v4, s[0:3], 0 offen offset:12
	buffer_load_dword v19, v9, s[0:3], 0 offen
	buffer_load_dword v20, v9, s[0:3], 0 offen offset:4
	buffer_load_dword v21, v9, s[0:3], 0 offen offset:8
	buffer_load_dword v22, v9, s[0:3], 0 offen offset:12
	v_mov_b32_e32 v9, s23
	v_mov_b32_e32 v4, s24
	s_clause 0x7
	buffer_load_dword v23, v14, s[0:3], 0 offen
	buffer_load_dword v24, v14, s[0:3], 0 offen offset:4
	buffer_load_dword v25, v14, s[0:3], 0 offen offset:8
	buffer_load_dword v26, v14, s[0:3], 0 offen offset:12
	buffer_load_dword v27, v4, s[0:3], 0 offen
	buffer_load_dword v28, v4, s[0:3], 0 offen offset:4
	buffer_load_dword v29, v4, s[0:3], 0 offen offset:8
	buffer_load_dword v30, v4, s[0:3], 0 offen offset:12
	v_mov_b32_e32 v4, s22
	v_mov_b32_e32 v14, s19
	;; [unrolled: 11-line block ×3, first 2 shown]
	s_clause 0x7
	buffer_load_dword v39, v14, s[0:3], 0 offen
	buffer_load_dword v40, v14, s[0:3], 0 offen offset:4
	buffer_load_dword v41, v14, s[0:3], 0 offen offset:8
	;; [unrolled: 1-line block ×3, first 2 shown]
	buffer_load_dword v43, v4, s[0:3], 0 offen
	buffer_load_dword v44, v4, s[0:3], 0 offen offset:4
	buffer_load_dword v45, v4, s[0:3], 0 offen offset:8
	;; [unrolled: 1-line block ×3, first 2 shown]
	v_mov_b32_e32 v4, s5
	s_clause 0x7
	buffer_load_dword v47, v9, s[0:3], 0 offen
	buffer_load_dword v48, v9, s[0:3], 0 offen offset:4
	buffer_load_dword v49, v9, s[0:3], 0 offen offset:8
	;; [unrolled: 1-line block ×3, first 2 shown]
	buffer_load_dword v51, v4, s[0:3], 0 offen
	buffer_load_dword v52, v4, s[0:3], 0 offen offset:4
	buffer_load_dword v53, v4, s[0:3], 0 offen offset:8
	;; [unrolled: 1-line block ×3, first 2 shown]
	v_mov_b32_e32 v14, 50
	s_waitcnt vmcnt(36)
	ds_write2_b64 v11, v[15:16], v[17:18] offset0:102 offset1:103
	s_waitcnt vmcnt(32)
	ds_write2_b64 v11, v[19:20], v[21:22] offset0:104 offset1:105
	;; [unrolled: 2-line block ×10, first 2 shown]
.LBB120_1191:
	s_or_b32 exec_lo, exec_lo, s4
	s_mov_b32 s4, exec_lo
	s_waitcnt lgkmcnt(0)
	s_waitcnt_vscnt null, 0x0
	s_barrier
	buffer_gl0_inv
	v_cmpx_lt_i32_e32 50, v14
	s_cbranch_execz .LBB120_1193
; %bb.1192:
	s_clause 0x7
	buffer_load_dword v15, off, s[0:3], 0 offset:808
	buffer_load_dword v16, off, s[0:3], 0 offset:812
	;; [unrolled: 1-line block ×8, first 2 shown]
	s_waitcnt vmcnt(6)
	v_mul_f64 v[19:20], v[0:1], v[15:16]
	v_mul_f64 v[15:16], v[2:3], v[15:16]
	s_waitcnt vmcnt(4)
	v_fma_f64 v[43:44], v[2:3], v[17:18], v[19:20]
	v_fma_f64 v[55:56], v[0:1], v[17:18], -v[15:16]
	buffer_store_dword v43, off, s[0:3], 0 offset:808
	buffer_store_dword v44, off, s[0:3], 0 offset:812
	s_clause 0x5
	buffer_load_dword v50, off, s[0:3], 0 offset:828
	buffer_load_dword v52, off, s[0:3], 0 offset:836
	;; [unrolled: 1-line block ×6, first 2 shown]
	buffer_store_dword v55, off, s[0:3], 0 offset:800
	buffer_store_dword v56, off, s[0:3], 0 offset:804
	s_clause 0x21
	buffer_load_dword v59, off, s[0:3], 0 offset:800
	buffer_load_dword v60, off, s[0:3], 0 offset:804
	buffer_load_dword v61, off, s[0:3], 0 offset:848
	buffer_load_dword v62, off, s[0:3], 0 offset:852
	buffer_load_dword v63, off, s[0:3], 0 offset:856
	buffer_load_dword v64, off, s[0:3], 0 offset:860
	buffer_load_dword v65, off, s[0:3], 0 offset:864
	buffer_load_dword v66, off, s[0:3], 0 offset:868
	buffer_load_dword v67, off, s[0:3], 0 offset:872
	buffer_load_dword v68, off, s[0:3], 0 offset:876
	buffer_load_dword v69, off, s[0:3], 0 offset:880
	buffer_load_dword v70, off, s[0:3], 0 offset:884
	buffer_load_dword v71, off, s[0:3], 0 offset:888
	buffer_load_dword v72, off, s[0:3], 0 offset:892
	buffer_load_dword v73, off, s[0:3], 0 offset:896
	buffer_load_dword v74, off, s[0:3], 0 offset:900
	buffer_load_dword v75, off, s[0:3], 0 offset:904
	buffer_load_dword v76, off, s[0:3], 0 offset:908
	buffer_load_dword v78, off, s[0:3], 0 offset:916
	buffer_load_dword v79, off, s[0:3], 0 offset:928
	buffer_load_dword v80, off, s[0:3], 0 offset:932
	buffer_load_dword v81, off, s[0:3], 0 offset:936
	buffer_load_dword v82, off, s[0:3], 0 offset:940
	buffer_load_dword v83, off, s[0:3], 0 offset:920
	buffer_load_dword v77, off, s[0:3], 0 offset:912
	buffer_load_dword v84, off, s[0:3], 0 offset:924
	buffer_load_dword v85, off, s[0:3], 0 offset:944
	buffer_load_dword v86, off, s[0:3], 0 offset:948
	buffer_load_dword v87, off, s[0:3], 0 offset:952
	buffer_load_dword v88, off, s[0:3], 0 offset:956
	buffer_load_dword v89, off, s[0:3], 0 offset:960
	buffer_load_dword v90, off, s[0:3], 0 offset:964
	buffer_load_dword v91, off, s[0:3], 0 offset:968
	buffer_load_dword v92, off, s[0:3], 0 offset:972
	ds_read2_b64 v[0:3], v11 offset0:102 offset1:103
	ds_read2_b64 v[15:18], v11 offset0:104 offset1:105
	;; [unrolled: 1-line block ×8, first 2 shown]
	s_waitcnt lgkmcnt(7)
	v_mul_f64 v[45:46], v[2:3], v[43:44]
	v_mul_f64 v[93:94], v[0:1], v[43:44]
	s_waitcnt lgkmcnt(6)
	v_mul_f64 v[95:96], v[17:18], v[43:44]
	v_mul_f64 v[97:98], v[15:16], v[43:44]
	;; [unrolled: 3-line block ×6, first 2 shown]
	v_fma_f64 v[115:116], v[0:1], v[55:56], -v[45:46]
	ds_read2_b64 v[43:46], v11 offset0:118 offset1:119
	v_fma_f64 v[93:94], v[2:3], v[55:56], v[93:94]
	ds_read2_b64 v[0:3], v11 offset0:120 offset1:121
	v_fma_f64 v[15:16], v[15:16], v[55:56], -v[95:96]
	v_fma_f64 v[17:18], v[17:18], v[55:56], v[97:98]
	v_fma_f64 v[19:20], v[19:20], v[55:56], -v[99:100]
	v_fma_f64 v[21:22], v[21:22], v[55:56], v[101:102]
	;; [unrolled: 2-line block ×5, first 2 shown]
	s_waitcnt vmcnt(30)
	v_add_f64 v[19:20], v[61:62], -v[19:20]
	s_waitcnt vmcnt(28)
	v_add_f64 v[21:22], v[63:64], -v[21:22]
	s_waitcnt vmcnt(26)
	v_add_f64 v[23:24], v[65:66], -v[23:24]
	s_waitcnt vmcnt(24)
	v_add_f64 v[25:26], v[67:68], -v[25:26]
	s_waitcnt vmcnt(22)
	v_add_f64 v[27:28], v[69:70], -v[27:28]
	s_waitcnt vmcnt(20)
	v_add_f64 v[29:30], v[71:72], -v[29:30]
	s_waitcnt vmcnt(18)
	v_add_f64 v[31:32], v[73:74], -v[31:32]
	s_waitcnt vmcnt(16)
	v_add_f64 v[33:34], v[75:76], -v[33:34]
	v_add_f64 v[49:50], v[49:50], -v[93:94]
	v_add_f64 v[15:16], v[51:52], -v[15:16]
	;; [unrolled: 1-line block ×3, first 2 shown]
	s_waitcnt lgkmcnt(3)
	v_mul_f64 v[95:96], v[37:38], v[57:58]
	v_mul_f64 v[97:98], v[35:36], v[57:58]
	s_waitcnt lgkmcnt(2)
	v_mul_f64 v[99:100], v[41:42], v[57:58]
	v_mul_f64 v[101:102], v[39:40], v[57:58]
	;; [unrolled: 3-line block ×4, first 2 shown]
	v_add_f64 v[47:48], v[47:48], -v[115:116]
	buffer_store_dword v49, off, s[0:3], 0 offset:824
	v_fma_f64 v[35:36], v[35:36], v[59:60], -v[95:96]
	v_fma_f64 v[37:38], v[37:38], v[59:60], v[97:98]
	v_fma_f64 v[39:40], v[39:40], v[59:60], -v[99:100]
	v_fma_f64 v[41:42], v[41:42], v[59:60], v[101:102]
	;; [unrolled: 2-line block ×4, first 2 shown]
	buffer_store_dword v47, off, s[0:3], 0 offset:816
	buffer_store_dword v48, off, s[0:3], 0 offset:820
	;; [unrolled: 1-line block ×16, first 2 shown]
	s_waitcnt vmcnt(9)
	v_add_f64 v[15:16], v[77:78], -v[35:36]
	s_waitcnt vmcnt(8)
	v_add_f64 v[17:18], v[83:84], -v[37:38]
	v_add_f64 v[19:20], v[79:80], -v[39:40]
	;; [unrolled: 1-line block ×3, first 2 shown]
	s_waitcnt vmcnt(6)
	v_add_f64 v[23:24], v[85:86], -v[43:44]
	s_waitcnt vmcnt(4)
	v_add_f64 v[35:36], v[87:88], -v[45:46]
	;; [unrolled: 2-line block ×4, first 2 shown]
	buffer_store_dword v27, off, s[0:3], 0 offset:880
	buffer_store_dword v30, off, s[0:3], 0 offset:892
	;; [unrolled: 1-line block ×23, first 2 shown]
.LBB120_1193:
	s_or_b32 exec_lo, exec_lo, s4
	v_mov_b32_e32 v3, s27
	s_waitcnt_vscnt null, 0x0
	s_barrier
	buffer_gl0_inv
	v_lshl_add_u32 v4, v14, 4, v11
	s_clause 0x3
	buffer_load_dword v0, v3, s[0:3], 0 offen
	buffer_load_dword v1, v3, s[0:3], 0 offen offset:4
	buffer_load_dword v2, v3, s[0:3], 0 offen offset:8
	;; [unrolled: 1-line block ×3, first 2 shown]
	v_mov_b32_e32 v9, 51
	s_cmp_lt_i32 s56, 53
	s_waitcnt vmcnt(0)
	ds_write2_b64 v4, v[0:1], v[2:3] offset1:1
	s_waitcnt lgkmcnt(0)
	s_barrier
	buffer_gl0_inv
	ds_read2_b64 v[0:3], v11 offset0:102 offset1:103
	s_cbranch_scc1 .LBB120_1196
; %bb.1194:
	v_add3_u32 v4, v13, 0, 0x340
	v_mov_b32_e32 v9, 51
	s_mov_b32 s16, 52
	s_inst_prefetch 0x1
	.p2align	6
.LBB120_1195:                           ; =>This Inner Loop Header: Depth=1
	s_waitcnt lgkmcnt(0)
	v_cmp_gt_f64_e32 vcc_lo, 0, v[2:3]
	v_cmp_gt_f64_e64 s4, 0, v[0:1]
	ds_read2_b64 v[15:18], v4 offset1:1
	v_xor_b32_e32 v20, 0x80000000, v1
	v_xor_b32_e32 v22, 0x80000000, v3
	v_mov_b32_e32 v19, v0
	v_mov_b32_e32 v21, v2
	v_add_nc_u32_e32 v4, 16, v4
	s_waitcnt lgkmcnt(0)
	v_xor_b32_e32 v24, 0x80000000, v18
	v_cndmask_b32_e64 v20, v1, v20, s4
	v_cndmask_b32_e32 v22, v3, v22, vcc_lo
	v_cmp_gt_f64_e32 vcc_lo, 0, v[17:18]
	v_cmp_gt_f64_e64 s4, 0, v[15:16]
	v_mov_b32_e32 v23, v17
	v_add_f64 v[19:20], v[19:20], v[21:22]
	v_xor_b32_e32 v22, 0x80000000, v16
	v_mov_b32_e32 v21, v15
	v_cndmask_b32_e32 v24, v18, v24, vcc_lo
	v_cndmask_b32_e64 v22, v16, v22, s4
	v_add_f64 v[21:22], v[21:22], v[23:24]
	v_cmp_lt_f64_e32 vcc_lo, v[19:20], v[21:22]
	v_cndmask_b32_e32 v1, v1, v16, vcc_lo
	v_cndmask_b32_e32 v0, v0, v15, vcc_lo
	;; [unrolled: 1-line block ×4, first 2 shown]
	v_cndmask_b32_e64 v9, v9, s16, vcc_lo
	s_add_i32 s16, s16, 1
	s_cmp_lg_u32 s56, s16
	s_cbranch_scc1 .LBB120_1195
.LBB120_1196:
	s_inst_prefetch 0x2
	s_waitcnt lgkmcnt(0)
	v_cmp_eq_f64_e32 vcc_lo, 0, v[0:1]
	v_cmp_eq_f64_e64 s4, 0, v[2:3]
	s_and_b32 s4, vcc_lo, s4
	s_and_saveexec_b32 s16, s4
	s_xor_b32 s4, exec_lo, s16
; %bb.1197:
	v_cmp_ne_u32_e32 vcc_lo, 0, v12
	v_cndmask_b32_e32 v12, 52, v12, vcc_lo
; %bb.1198:
	s_andn2_saveexec_b32 s4, s4
	s_cbranch_execz .LBB120_1204
; %bb.1199:
	v_cmp_ngt_f64_e64 s16, |v[0:1]|, |v[2:3]|
	s_and_saveexec_b32 s17, s16
	s_xor_b32 s16, exec_lo, s17
	s_cbranch_execz .LBB120_1201
; %bb.1200:
	v_div_scale_f64 v[15:16], null, v[2:3], v[2:3], v[0:1]
	v_div_scale_f64 v[21:22], vcc_lo, v[0:1], v[2:3], v[0:1]
	v_rcp_f64_e32 v[17:18], v[15:16]
	v_fma_f64 v[19:20], -v[15:16], v[17:18], 1.0
	v_fma_f64 v[17:18], v[17:18], v[19:20], v[17:18]
	v_fma_f64 v[19:20], -v[15:16], v[17:18], 1.0
	v_fma_f64 v[17:18], v[17:18], v[19:20], v[17:18]
	v_mul_f64 v[19:20], v[21:22], v[17:18]
	v_fma_f64 v[15:16], -v[15:16], v[19:20], v[21:22]
	v_div_fmas_f64 v[15:16], v[15:16], v[17:18], v[19:20]
	v_div_fixup_f64 v[15:16], v[15:16], v[2:3], v[0:1]
	v_fma_f64 v[0:1], v[0:1], v[15:16], v[2:3]
	v_div_scale_f64 v[2:3], null, v[0:1], v[0:1], 1.0
	v_rcp_f64_e32 v[17:18], v[2:3]
	v_fma_f64 v[19:20], -v[2:3], v[17:18], 1.0
	v_fma_f64 v[17:18], v[17:18], v[19:20], v[17:18]
	v_fma_f64 v[19:20], -v[2:3], v[17:18], 1.0
	v_fma_f64 v[17:18], v[17:18], v[19:20], v[17:18]
	v_div_scale_f64 v[19:20], vcc_lo, 1.0, v[0:1], 1.0
	v_mul_f64 v[21:22], v[19:20], v[17:18]
	v_fma_f64 v[2:3], -v[2:3], v[21:22], v[19:20]
	v_div_fmas_f64 v[2:3], v[2:3], v[17:18], v[21:22]
	v_div_fixup_f64 v[2:3], v[2:3], v[0:1], 1.0
	v_mul_f64 v[0:1], v[15:16], v[2:3]
	v_xor_b32_e32 v3, 0x80000000, v3
.LBB120_1201:
	s_andn2_saveexec_b32 s16, s16
	s_cbranch_execz .LBB120_1203
; %bb.1202:
	v_div_scale_f64 v[15:16], null, v[0:1], v[0:1], v[2:3]
	v_div_scale_f64 v[21:22], vcc_lo, v[2:3], v[0:1], v[2:3]
	v_rcp_f64_e32 v[17:18], v[15:16]
	v_fma_f64 v[19:20], -v[15:16], v[17:18], 1.0
	v_fma_f64 v[17:18], v[17:18], v[19:20], v[17:18]
	v_fma_f64 v[19:20], -v[15:16], v[17:18], 1.0
	v_fma_f64 v[17:18], v[17:18], v[19:20], v[17:18]
	v_mul_f64 v[19:20], v[21:22], v[17:18]
	v_fma_f64 v[15:16], -v[15:16], v[19:20], v[21:22]
	v_div_fmas_f64 v[15:16], v[15:16], v[17:18], v[19:20]
	v_div_fixup_f64 v[15:16], v[15:16], v[0:1], v[2:3]
	v_fma_f64 v[0:1], v[2:3], v[15:16], v[0:1]
	v_div_scale_f64 v[2:3], null, v[0:1], v[0:1], 1.0
	v_rcp_f64_e32 v[17:18], v[2:3]
	v_fma_f64 v[19:20], -v[2:3], v[17:18], 1.0
	v_fma_f64 v[17:18], v[17:18], v[19:20], v[17:18]
	v_fma_f64 v[19:20], -v[2:3], v[17:18], 1.0
	v_fma_f64 v[17:18], v[17:18], v[19:20], v[17:18]
	v_div_scale_f64 v[19:20], vcc_lo, 1.0, v[0:1], 1.0
	v_mul_f64 v[21:22], v[19:20], v[17:18]
	v_fma_f64 v[2:3], -v[2:3], v[21:22], v[19:20]
	v_div_fmas_f64 v[2:3], v[2:3], v[17:18], v[21:22]
	v_div_fixup_f64 v[0:1], v[2:3], v[0:1], 1.0
	v_mul_f64 v[2:3], v[15:16], -v[0:1]
.LBB120_1203:
	s_or_b32 exec_lo, exec_lo, s16
.LBB120_1204:
	s_or_b32 exec_lo, exec_lo, s4
	s_mov_b32 s4, exec_lo
	v_cmpx_ne_u32_e64 v14, v9
	s_xor_b32 s4, exec_lo, s4
	s_cbranch_execz .LBB120_1210
; %bb.1205:
	s_mov_b32 s16, exec_lo
	v_cmpx_eq_u32_e32 51, v14
	s_cbranch_execz .LBB120_1209
; %bb.1206:
	v_cmp_ne_u32_e32 vcc_lo, 51, v9
	s_xor_b32 s17, s20, -1
	s_and_b32 s57, s17, vcc_lo
	s_and_saveexec_b32 s17, s57
	s_cbranch_execz .LBB120_1208
; %bb.1207:
	v_ashrrev_i32_e32 v10, 31, v9
	v_lshlrev_b64 v[14:15], 2, v[9:10]
	v_add_co_u32 v14, vcc_lo, v7, v14
	v_add_co_ci_u32_e64 v15, null, v8, v15, vcc_lo
	s_clause 0x1
	global_load_dword v4, v[14:15], off
	global_load_dword v10, v[7:8], off offset:204
	s_waitcnt vmcnt(1)
	global_store_dword v[7:8], v4, off offset:204
	s_waitcnt vmcnt(0)
	global_store_dword v[14:15], v10, off
.LBB120_1208:
	s_or_b32 exec_lo, exec_lo, s17
	v_mov_b32_e32 v14, v9
	v_mov_b32_e32 v10, v9
.LBB120_1209:
	s_or_b32 exec_lo, exec_lo, s16
.LBB120_1210:
	s_andn2_saveexec_b32 s4, s4
	s_cbranch_execz .LBB120_1212
; %bb.1211:
	v_mov_b32_e32 v4, s26
	v_mov_b32_e32 v14, s24
	;; [unrolled: 1-line block ×3, first 2 shown]
	s_clause 0x7
	buffer_load_dword v15, v4, s[0:3], 0 offen
	buffer_load_dword v16, v4, s[0:3], 0 offen offset:4
	buffer_load_dword v17, v4, s[0:3], 0 offen offset:8
	buffer_load_dword v18, v4, s[0:3], 0 offen offset:12
	buffer_load_dword v19, v9, s[0:3], 0 offen
	buffer_load_dword v20, v9, s[0:3], 0 offen offset:4
	buffer_load_dword v21, v9, s[0:3], 0 offen offset:8
	buffer_load_dword v22, v9, s[0:3], 0 offen offset:12
	v_mov_b32_e32 v4, s23
	v_mov_b32_e32 v9, s22
	s_clause 0x7
	buffer_load_dword v23, v14, s[0:3], 0 offen
	buffer_load_dword v24, v14, s[0:3], 0 offen offset:4
	buffer_load_dword v25, v14, s[0:3], 0 offen offset:8
	buffer_load_dword v26, v14, s[0:3], 0 offen offset:12
	buffer_load_dword v27, v4, s[0:3], 0 offen
	buffer_load_dword v28, v4, s[0:3], 0 offen offset:4
	buffer_load_dword v29, v4, s[0:3], 0 offen offset:8
	buffer_load_dword v30, v4, s[0:3], 0 offen offset:12
	v_mov_b32_e32 v14, s18
	v_mov_b32_e32 v4, s19
	;; [unrolled: 11-line block ×3, first 2 shown]
	s_clause 0xb
	buffer_load_dword v39, v14, s[0:3], 0 offen
	buffer_load_dword v40, v14, s[0:3], 0 offen offset:4
	buffer_load_dword v41, v14, s[0:3], 0 offen offset:8
	buffer_load_dword v42, v14, s[0:3], 0 offen offset:12
	buffer_load_dword v43, v4, s[0:3], 0 offen
	buffer_load_dword v44, v4, s[0:3], 0 offen offset:4
	buffer_load_dword v45, v4, s[0:3], 0 offen offset:8
	buffer_load_dword v46, v4, s[0:3], 0 offen offset:12
	buffer_load_dword v47, v9, s[0:3], 0 offen
	buffer_load_dword v48, v9, s[0:3], 0 offen offset:4
	buffer_load_dword v49, v9, s[0:3], 0 offen offset:8
	buffer_load_dword v50, v9, s[0:3], 0 offen offset:12
	v_mov_b32_e32 v14, 51
	s_waitcnt vmcnt(32)
	ds_write2_b64 v11, v[15:16], v[17:18] offset0:104 offset1:105
	s_waitcnt vmcnt(28)
	ds_write2_b64 v11, v[19:20], v[21:22] offset0:106 offset1:107
	;; [unrolled: 2-line block ×9, first 2 shown]
.LBB120_1212:
	s_or_b32 exec_lo, exec_lo, s4
	s_mov_b32 s4, exec_lo
	s_waitcnt lgkmcnt(0)
	s_waitcnt_vscnt null, 0x0
	s_barrier
	buffer_gl0_inv
	v_cmpx_lt_i32_e32 51, v14
	s_cbranch_execz .LBB120_1214
; %bb.1213:
	s_clause 0x7
	buffer_load_dword v15, off, s[0:3], 0 offset:824
	buffer_load_dword v16, off, s[0:3], 0 offset:828
	;; [unrolled: 1-line block ×8, first 2 shown]
	s_waitcnt vmcnt(6)
	v_mul_f64 v[19:20], v[0:1], v[15:16]
	v_mul_f64 v[15:16], v[2:3], v[15:16]
	s_waitcnt vmcnt(4)
	v_fma_f64 v[55:56], v[2:3], v[17:18], v[19:20]
	v_fma_f64 v[57:58], v[0:1], v[17:18], -v[15:16]
	buffer_store_dword v55, off, s[0:3], 0 offset:824
	buffer_store_dword v56, off, s[0:3], 0 offset:828
	s_clause 0x5
	buffer_load_dword v50, off, s[0:3], 0 offset:844
	buffer_load_dword v52, off, s[0:3], 0 offset:852
	;; [unrolled: 1-line block ×6, first 2 shown]
	buffer_store_dword v57, off, s[0:3], 0 offset:816
	buffer_store_dword v58, off, s[0:3], 0 offset:820
	s_clause 0x1d
	buffer_load_dword v61, off, s[0:3], 0 offset:816
	buffer_load_dword v62, off, s[0:3], 0 offset:820
	;; [unrolled: 1-line block ×30, first 2 shown]
	ds_read2_b64 v[0:3], v11 offset0:104 offset1:105
	ds_read2_b64 v[15:18], v11 offset0:106 offset1:107
	;; [unrolled: 1-line block ×9, first 2 shown]
	s_waitcnt lgkmcnt(8)
	v_mul_f64 v[91:92], v[2:3], v[55:56]
	v_mul_f64 v[93:94], v[0:1], v[55:56]
	s_waitcnt lgkmcnt(7)
	v_mul_f64 v[95:96], v[17:18], v[55:56]
	v_mul_f64 v[97:98], v[15:16], v[55:56]
	s_waitcnt lgkmcnt(6)
	v_mul_f64 v[99:100], v[21:22], v[55:56]
	v_mul_f64 v[101:102], v[19:20], v[55:56]
	s_waitcnt lgkmcnt(5)
	v_mul_f64 v[103:104], v[25:26], v[55:56]
	v_mul_f64 v[105:106], v[23:24], v[55:56]
	s_waitcnt lgkmcnt(4)
	v_mul_f64 v[107:108], v[29:30], v[55:56]
	v_mul_f64 v[109:110], v[27:28], v[55:56]
	s_waitcnt lgkmcnt(3)
	v_mul_f64 v[111:112], v[33:34], v[55:56]
	v_mul_f64 v[55:56], v[31:32], v[55:56]
	v_fma_f64 v[0:1], v[0:1], v[57:58], -v[91:92]
	v_fma_f64 v[2:3], v[2:3], v[57:58], v[93:94]
	v_fma_f64 v[15:16], v[15:16], v[57:58], -v[95:96]
	v_fma_f64 v[17:18], v[17:18], v[57:58], v[97:98]
	;; [unrolled: 2-line block ×6, first 2 shown]
	s_waitcnt vmcnt(26)
	v_add_f64 v[19:20], v[63:64], -v[19:20]
	s_waitcnt vmcnt(24)
	v_add_f64 v[21:22], v[65:66], -v[21:22]
	s_waitcnt vmcnt(22)
	v_add_f64 v[23:24], v[67:68], -v[23:24]
	s_waitcnt vmcnt(20)
	v_add_f64 v[25:26], v[69:70], -v[25:26]
	s_waitcnt vmcnt(18)
	v_add_f64 v[27:28], v[71:72], -v[27:28]
	s_waitcnt vmcnt(16)
	v_add_f64 v[29:30], v[73:74], -v[29:30]
	s_waitcnt vmcnt(14)
	v_add_f64 v[31:32], v[75:76], -v[31:32]
	s_waitcnt vmcnt(12)
	v_add_f64 v[33:34], v[77:78], -v[33:34]
	v_add_f64 v[2:3], v[49:50], -v[2:3]
	v_add_f64 v[15:16], v[51:52], -v[15:16]
	;; [unrolled: 1-line block ×3, first 2 shown]
	s_waitcnt lgkmcnt(2)
	v_mul_f64 v[91:92], v[37:38], v[59:60]
	v_mul_f64 v[93:94], v[35:36], v[59:60]
	s_waitcnt lgkmcnt(1)
	v_mul_f64 v[95:96], v[41:42], v[59:60]
	v_mul_f64 v[97:98], v[39:40], v[59:60]
	;; [unrolled: 3-line block ×3, first 2 shown]
	v_add_f64 v[0:1], v[47:48], -v[0:1]
	buffer_store_dword v0, off, s[0:3], 0 offset:832
	buffer_store_dword v1, off, s[0:3], 0 offset:836
	;; [unrolled: 1-line block ×8, first 2 shown]
	v_fma_f64 v[35:36], v[35:36], v[61:62], -v[91:92]
	v_fma_f64 v[37:38], v[37:38], v[61:62], v[93:94]
	v_fma_f64 v[39:40], v[39:40], v[61:62], -v[95:96]
	v_fma_f64 v[41:42], v[41:42], v[61:62], v[97:98]
	;; [unrolled: 2-line block ×3, first 2 shown]
	buffer_store_dword v20, off, s[0:3], 0 offset:868
	buffer_store_dword v19, off, s[0:3], 0 offset:864
	;; [unrolled: 1-line block ×5, first 2 shown]
	s_waitcnt vmcnt(5)
	v_add_f64 v[0:1], v[79:80], -v[35:36]
	s_waitcnt vmcnt(4)
	v_add_f64 v[2:3], v[85:86], -v[37:38]
	v_add_f64 v[15:16], v[81:82], -v[39:40]
	;; [unrolled: 1-line block ×3, first 2 shown]
	s_waitcnt vmcnt(2)
	v_add_f64 v[19:20], v[87:88], -v[43:44]
	s_waitcnt vmcnt(0)
	v_add_f64 v[21:22], v[89:90], -v[45:46]
	buffer_store_dword v23, off, s[0:3], 0 offset:880
	buffer_store_dword v26, off, s[0:3], 0 offset:892
	;; [unrolled: 1-line block ×23, first 2 shown]
.LBB120_1214:
	s_or_b32 exec_lo, exec_lo, s4
	v_mov_b32_e32 v3, s26
	s_waitcnt_vscnt null, 0x0
	s_barrier
	buffer_gl0_inv
	v_lshl_add_u32 v4, v14, 4, v11
	s_clause 0x3
	buffer_load_dword v0, v3, s[0:3], 0 offen
	buffer_load_dword v1, v3, s[0:3], 0 offen offset:4
	buffer_load_dword v2, v3, s[0:3], 0 offen offset:8
	;; [unrolled: 1-line block ×3, first 2 shown]
	v_mov_b32_e32 v9, 52
	s_cmp_lt_i32 s56, 54
	s_waitcnt vmcnt(0)
	ds_write2_b64 v4, v[0:1], v[2:3] offset1:1
	s_waitcnt lgkmcnt(0)
	s_barrier
	buffer_gl0_inv
	ds_read2_b64 v[0:3], v11 offset0:104 offset1:105
	s_cbranch_scc1 .LBB120_1217
; %bb.1215:
	v_add3_u32 v4, v13, 0, 0x350
	v_mov_b32_e32 v9, 52
	s_mov_b32 s16, 53
	s_inst_prefetch 0x1
	.p2align	6
.LBB120_1216:                           ; =>This Inner Loop Header: Depth=1
	s_waitcnt lgkmcnt(0)
	v_cmp_gt_f64_e32 vcc_lo, 0, v[2:3]
	v_cmp_gt_f64_e64 s4, 0, v[0:1]
	ds_read2_b64 v[15:18], v4 offset1:1
	v_xor_b32_e32 v20, 0x80000000, v1
	v_xor_b32_e32 v22, 0x80000000, v3
	v_mov_b32_e32 v19, v0
	v_mov_b32_e32 v21, v2
	v_add_nc_u32_e32 v4, 16, v4
	s_waitcnt lgkmcnt(0)
	v_xor_b32_e32 v24, 0x80000000, v18
	v_cndmask_b32_e64 v20, v1, v20, s4
	v_cndmask_b32_e32 v22, v3, v22, vcc_lo
	v_cmp_gt_f64_e32 vcc_lo, 0, v[17:18]
	v_cmp_gt_f64_e64 s4, 0, v[15:16]
	v_mov_b32_e32 v23, v17
	v_add_f64 v[19:20], v[19:20], v[21:22]
	v_xor_b32_e32 v22, 0x80000000, v16
	v_mov_b32_e32 v21, v15
	v_cndmask_b32_e32 v24, v18, v24, vcc_lo
	v_cndmask_b32_e64 v22, v16, v22, s4
	v_add_f64 v[21:22], v[21:22], v[23:24]
	v_cmp_lt_f64_e32 vcc_lo, v[19:20], v[21:22]
	v_cndmask_b32_e32 v1, v1, v16, vcc_lo
	v_cndmask_b32_e32 v0, v0, v15, vcc_lo
	;; [unrolled: 1-line block ×4, first 2 shown]
	v_cndmask_b32_e64 v9, v9, s16, vcc_lo
	s_add_i32 s16, s16, 1
	s_cmp_lg_u32 s56, s16
	s_cbranch_scc1 .LBB120_1216
.LBB120_1217:
	s_inst_prefetch 0x2
	s_waitcnt lgkmcnt(0)
	v_cmp_eq_f64_e32 vcc_lo, 0, v[0:1]
	v_cmp_eq_f64_e64 s4, 0, v[2:3]
	s_and_b32 s4, vcc_lo, s4
	s_and_saveexec_b32 s16, s4
	s_xor_b32 s4, exec_lo, s16
; %bb.1218:
	v_cmp_ne_u32_e32 vcc_lo, 0, v12
	v_cndmask_b32_e32 v12, 53, v12, vcc_lo
; %bb.1219:
	s_andn2_saveexec_b32 s4, s4
	s_cbranch_execz .LBB120_1225
; %bb.1220:
	v_cmp_ngt_f64_e64 s16, |v[0:1]|, |v[2:3]|
	s_and_saveexec_b32 s17, s16
	s_xor_b32 s16, exec_lo, s17
	s_cbranch_execz .LBB120_1222
; %bb.1221:
	v_div_scale_f64 v[15:16], null, v[2:3], v[2:3], v[0:1]
	v_div_scale_f64 v[21:22], vcc_lo, v[0:1], v[2:3], v[0:1]
	v_rcp_f64_e32 v[17:18], v[15:16]
	v_fma_f64 v[19:20], -v[15:16], v[17:18], 1.0
	v_fma_f64 v[17:18], v[17:18], v[19:20], v[17:18]
	v_fma_f64 v[19:20], -v[15:16], v[17:18], 1.0
	v_fma_f64 v[17:18], v[17:18], v[19:20], v[17:18]
	v_mul_f64 v[19:20], v[21:22], v[17:18]
	v_fma_f64 v[15:16], -v[15:16], v[19:20], v[21:22]
	v_div_fmas_f64 v[15:16], v[15:16], v[17:18], v[19:20]
	v_div_fixup_f64 v[15:16], v[15:16], v[2:3], v[0:1]
	v_fma_f64 v[0:1], v[0:1], v[15:16], v[2:3]
	v_div_scale_f64 v[2:3], null, v[0:1], v[0:1], 1.0
	v_rcp_f64_e32 v[17:18], v[2:3]
	v_fma_f64 v[19:20], -v[2:3], v[17:18], 1.0
	v_fma_f64 v[17:18], v[17:18], v[19:20], v[17:18]
	v_fma_f64 v[19:20], -v[2:3], v[17:18], 1.0
	v_fma_f64 v[17:18], v[17:18], v[19:20], v[17:18]
	v_div_scale_f64 v[19:20], vcc_lo, 1.0, v[0:1], 1.0
	v_mul_f64 v[21:22], v[19:20], v[17:18]
	v_fma_f64 v[2:3], -v[2:3], v[21:22], v[19:20]
	v_div_fmas_f64 v[2:3], v[2:3], v[17:18], v[21:22]
	v_div_fixup_f64 v[2:3], v[2:3], v[0:1], 1.0
	v_mul_f64 v[0:1], v[15:16], v[2:3]
	v_xor_b32_e32 v3, 0x80000000, v3
.LBB120_1222:
	s_andn2_saveexec_b32 s16, s16
	s_cbranch_execz .LBB120_1224
; %bb.1223:
	v_div_scale_f64 v[15:16], null, v[0:1], v[0:1], v[2:3]
	v_div_scale_f64 v[21:22], vcc_lo, v[2:3], v[0:1], v[2:3]
	v_rcp_f64_e32 v[17:18], v[15:16]
	v_fma_f64 v[19:20], -v[15:16], v[17:18], 1.0
	v_fma_f64 v[17:18], v[17:18], v[19:20], v[17:18]
	v_fma_f64 v[19:20], -v[15:16], v[17:18], 1.0
	v_fma_f64 v[17:18], v[17:18], v[19:20], v[17:18]
	v_mul_f64 v[19:20], v[21:22], v[17:18]
	v_fma_f64 v[15:16], -v[15:16], v[19:20], v[21:22]
	v_div_fmas_f64 v[15:16], v[15:16], v[17:18], v[19:20]
	v_div_fixup_f64 v[15:16], v[15:16], v[0:1], v[2:3]
	v_fma_f64 v[0:1], v[2:3], v[15:16], v[0:1]
	v_div_scale_f64 v[2:3], null, v[0:1], v[0:1], 1.0
	v_rcp_f64_e32 v[17:18], v[2:3]
	v_fma_f64 v[19:20], -v[2:3], v[17:18], 1.0
	v_fma_f64 v[17:18], v[17:18], v[19:20], v[17:18]
	v_fma_f64 v[19:20], -v[2:3], v[17:18], 1.0
	v_fma_f64 v[17:18], v[17:18], v[19:20], v[17:18]
	v_div_scale_f64 v[19:20], vcc_lo, 1.0, v[0:1], 1.0
	v_mul_f64 v[21:22], v[19:20], v[17:18]
	v_fma_f64 v[2:3], -v[2:3], v[21:22], v[19:20]
	v_div_fmas_f64 v[2:3], v[2:3], v[17:18], v[21:22]
	v_div_fixup_f64 v[0:1], v[2:3], v[0:1], 1.0
	v_mul_f64 v[2:3], v[15:16], -v[0:1]
.LBB120_1224:
	s_or_b32 exec_lo, exec_lo, s16
.LBB120_1225:
	s_or_b32 exec_lo, exec_lo, s4
	s_mov_b32 s4, exec_lo
	v_cmpx_ne_u32_e64 v14, v9
	s_xor_b32 s4, exec_lo, s4
	s_cbranch_execz .LBB120_1231
; %bb.1226:
	s_mov_b32 s16, exec_lo
	v_cmpx_eq_u32_e32 52, v14
	s_cbranch_execz .LBB120_1230
; %bb.1227:
	v_cmp_ne_u32_e32 vcc_lo, 52, v9
	s_xor_b32 s17, s20, -1
	s_and_b32 s57, s17, vcc_lo
	s_and_saveexec_b32 s17, s57
	s_cbranch_execz .LBB120_1229
; %bb.1228:
	v_ashrrev_i32_e32 v10, 31, v9
	v_lshlrev_b64 v[14:15], 2, v[9:10]
	v_add_co_u32 v14, vcc_lo, v7, v14
	v_add_co_ci_u32_e64 v15, null, v8, v15, vcc_lo
	s_clause 0x1
	global_load_dword v4, v[14:15], off
	global_load_dword v10, v[7:8], off offset:208
	s_waitcnt vmcnt(1)
	global_store_dword v[7:8], v4, off offset:208
	s_waitcnt vmcnt(0)
	global_store_dword v[14:15], v10, off
.LBB120_1229:
	s_or_b32 exec_lo, exec_lo, s17
	v_mov_b32_e32 v14, v9
	v_mov_b32_e32 v10, v9
.LBB120_1230:
	s_or_b32 exec_lo, exec_lo, s16
.LBB120_1231:
	s_andn2_saveexec_b32 s4, s4
	s_cbranch_execz .LBB120_1233
; %bb.1232:
	v_mov_b32_e32 v4, s25
	v_mov_b32_e32 v14, s23
	;; [unrolled: 1-line block ×3, first 2 shown]
	s_clause 0x7
	buffer_load_dword v15, v4, s[0:3], 0 offen
	buffer_load_dword v16, v4, s[0:3], 0 offen offset:4
	buffer_load_dword v17, v4, s[0:3], 0 offen offset:8
	;; [unrolled: 1-line block ×3, first 2 shown]
	buffer_load_dword v19, v9, s[0:3], 0 offen
	buffer_load_dword v20, v9, s[0:3], 0 offen offset:4
	buffer_load_dword v21, v9, s[0:3], 0 offen offset:8
	;; [unrolled: 1-line block ×3, first 2 shown]
	v_mov_b32_e32 v4, s22
	v_mov_b32_e32 v9, s19
	s_clause 0x7
	buffer_load_dword v23, v14, s[0:3], 0 offen
	buffer_load_dword v24, v14, s[0:3], 0 offen offset:4
	buffer_load_dword v25, v14, s[0:3], 0 offen offset:8
	;; [unrolled: 1-line block ×3, first 2 shown]
	buffer_load_dword v27, v4, s[0:3], 0 offen
	buffer_load_dword v28, v4, s[0:3], 0 offen offset:4
	buffer_load_dword v29, v4, s[0:3], 0 offen offset:8
	;; [unrolled: 1-line block ×3, first 2 shown]
	v_mov_b32_e32 v14, s7
	v_mov_b32_e32 v4, s18
	s_clause 0x7
	buffer_load_dword v31, v9, s[0:3], 0 offen
	buffer_load_dword v32, v9, s[0:3], 0 offen offset:4
	buffer_load_dword v33, v9, s[0:3], 0 offen offset:8
	;; [unrolled: 1-line block ×3, first 2 shown]
	buffer_load_dword v35, v4, s[0:3], 0 offen
	buffer_load_dword v36, v4, s[0:3], 0 offen offset:4
	buffer_load_dword v37, v4, s[0:3], 0 offen offset:8
	;; [unrolled: 1-line block ×3, first 2 shown]
	v_mov_b32_e32 v4, s5
	s_clause 0x7
	buffer_load_dword v39, v14, s[0:3], 0 offen
	buffer_load_dword v40, v14, s[0:3], 0 offen offset:4
	buffer_load_dword v41, v14, s[0:3], 0 offen offset:8
	;; [unrolled: 1-line block ×3, first 2 shown]
	buffer_load_dword v43, v4, s[0:3], 0 offen
	buffer_load_dword v44, v4, s[0:3], 0 offen offset:4
	buffer_load_dword v45, v4, s[0:3], 0 offen offset:8
	;; [unrolled: 1-line block ×3, first 2 shown]
	v_mov_b32_e32 v14, 52
	s_waitcnt vmcnt(28)
	ds_write2_b64 v11, v[15:16], v[17:18] offset0:106 offset1:107
	s_waitcnt vmcnt(24)
	ds_write2_b64 v11, v[19:20], v[21:22] offset0:108 offset1:109
	;; [unrolled: 2-line block ×8, first 2 shown]
.LBB120_1233:
	s_or_b32 exec_lo, exec_lo, s4
	s_mov_b32 s4, exec_lo
	s_waitcnt lgkmcnt(0)
	s_waitcnt_vscnt null, 0x0
	s_barrier
	buffer_gl0_inv
	v_cmpx_lt_i32_e32 52, v14
	s_cbranch_execz .LBB120_1235
; %bb.1234:
	s_clause 0x7
	buffer_load_dword v15, off, s[0:3], 0 offset:840
	buffer_load_dword v16, off, s[0:3], 0 offset:844
	;; [unrolled: 1-line block ×8, first 2 shown]
	s_waitcnt vmcnt(6)
	v_mul_f64 v[19:20], v[0:1], v[15:16]
	v_mul_f64 v[15:16], v[2:3], v[15:16]
	s_waitcnt vmcnt(4)
	v_fma_f64 v[51:52], v[2:3], v[17:18], v[19:20]
	v_fma_f64 v[53:54], v[0:1], v[17:18], -v[15:16]
	buffer_store_dword v51, off, s[0:3], 0 offset:840
	buffer_store_dword v52, off, s[0:3], 0 offset:844
	s_clause 0x5
	buffer_load_dword v46, off, s[0:3], 0 offset:860
	buffer_load_dword v48, off, s[0:3], 0 offset:868
	;; [unrolled: 1-line block ×6, first 2 shown]
	buffer_store_dword v53, off, s[0:3], 0 offset:832
	buffer_store_dword v54, off, s[0:3], 0 offset:836
	s_clause 0x19
	buffer_load_dword v57, off, s[0:3], 0 offset:832
	buffer_load_dword v58, off, s[0:3], 0 offset:836
	;; [unrolled: 1-line block ×26, first 2 shown]
	ds_read2_b64 v[0:3], v11 offset0:106 offset1:107
	ds_read2_b64 v[15:18], v11 offset0:108 offset1:109
	;; [unrolled: 1-line block ×8, first 2 shown]
	s_waitcnt lgkmcnt(7)
	v_mul_f64 v[83:84], v[2:3], v[51:52]
	v_mul_f64 v[85:86], v[0:1], v[51:52]
	s_waitcnt lgkmcnt(6)
	v_mul_f64 v[87:88], v[17:18], v[51:52]
	v_mul_f64 v[89:90], v[15:16], v[51:52]
	;; [unrolled: 3-line block ×6, first 2 shown]
	v_fma_f64 v[0:1], v[0:1], v[53:54], -v[83:84]
	v_fma_f64 v[2:3], v[2:3], v[53:54], v[85:86]
	v_fma_f64 v[15:16], v[15:16], v[53:54], -v[87:88]
	v_fma_f64 v[17:18], v[17:18], v[53:54], v[89:90]
	;; [unrolled: 2-line block ×6, first 2 shown]
	s_waitcnt vmcnt(22)
	v_add_f64 v[19:20], v[59:60], -v[19:20]
	s_waitcnt vmcnt(20)
	v_add_f64 v[21:22], v[61:62], -v[21:22]
	;; [unrolled: 2-line block ×8, first 2 shown]
	v_add_f64 v[2:3], v[45:46], -v[2:3]
	v_add_f64 v[15:16], v[47:48], -v[15:16]
	;; [unrolled: 1-line block ×3, first 2 shown]
	s_waitcnt lgkmcnt(1)
	v_mul_f64 v[83:84], v[37:38], v[55:56]
	v_mul_f64 v[85:86], v[35:36], v[55:56]
	s_waitcnt lgkmcnt(0)
	v_mul_f64 v[87:88], v[41:42], v[55:56]
	v_mul_f64 v[55:56], v[39:40], v[55:56]
	v_add_f64 v[0:1], v[43:44], -v[0:1]
	buffer_store_dword v0, off, s[0:3], 0 offset:848
	buffer_store_dword v1, off, s[0:3], 0 offset:852
	;; [unrolled: 1-line block ×6, first 2 shown]
	v_fma_f64 v[35:36], v[35:36], v[57:58], -v[83:84]
	v_fma_f64 v[37:38], v[37:38], v[57:58], v[85:86]
	v_fma_f64 v[39:40], v[39:40], v[57:58], -v[87:88]
	v_fma_f64 v[41:42], v[41:42], v[57:58], v[55:56]
	buffer_store_dword v17, off, s[0:3], 0 offset:872
	buffer_store_dword v18, off, s[0:3], 0 offset:876
	;; [unrolled: 1-line block ×3, first 2 shown]
	s_waitcnt vmcnt(1)
	v_add_f64 v[0:1], v[75:76], -v[35:36]
	s_waitcnt vmcnt(0)
	v_add_f64 v[2:3], v[81:82], -v[37:38]
	v_add_f64 v[15:16], v[77:78], -v[39:40]
	;; [unrolled: 1-line block ×3, first 2 shown]
	buffer_store_dword v19, off, s[0:3], 0 offset:880
	buffer_store_dword v21, off, s[0:3], 0 offset:888
	;; [unrolled: 1-line block ×23, first 2 shown]
.LBB120_1235:
	s_or_b32 exec_lo, exec_lo, s4
	v_mov_b32_e32 v3, s25
	s_waitcnt_vscnt null, 0x0
	s_barrier
	buffer_gl0_inv
	v_lshl_add_u32 v4, v14, 4, v11
	s_clause 0x3
	buffer_load_dword v0, v3, s[0:3], 0 offen
	buffer_load_dword v1, v3, s[0:3], 0 offen offset:4
	buffer_load_dword v2, v3, s[0:3], 0 offen offset:8
	buffer_load_dword v3, v3, s[0:3], 0 offen offset:12
	v_mov_b32_e32 v9, 53
	s_cmp_lt_i32 s56, 55
	s_waitcnt vmcnt(0)
	ds_write2_b64 v4, v[0:1], v[2:3] offset1:1
	s_waitcnt lgkmcnt(0)
	s_barrier
	buffer_gl0_inv
	ds_read2_b64 v[0:3], v11 offset0:106 offset1:107
	s_cbranch_scc1 .LBB120_1238
; %bb.1236:
	v_add3_u32 v4, v13, 0, 0x360
	v_mov_b32_e32 v9, 53
	s_mov_b32 s16, 54
	s_inst_prefetch 0x1
	.p2align	6
.LBB120_1237:                           ; =>This Inner Loop Header: Depth=1
	s_waitcnt lgkmcnt(0)
	v_cmp_gt_f64_e32 vcc_lo, 0, v[2:3]
	v_cmp_gt_f64_e64 s4, 0, v[0:1]
	ds_read2_b64 v[15:18], v4 offset1:1
	v_xor_b32_e32 v20, 0x80000000, v1
	v_xor_b32_e32 v22, 0x80000000, v3
	v_mov_b32_e32 v19, v0
	v_mov_b32_e32 v21, v2
	v_add_nc_u32_e32 v4, 16, v4
	s_waitcnt lgkmcnt(0)
	v_xor_b32_e32 v24, 0x80000000, v18
	v_cndmask_b32_e64 v20, v1, v20, s4
	v_cndmask_b32_e32 v22, v3, v22, vcc_lo
	v_cmp_gt_f64_e32 vcc_lo, 0, v[17:18]
	v_cmp_gt_f64_e64 s4, 0, v[15:16]
	v_mov_b32_e32 v23, v17
	v_add_f64 v[19:20], v[19:20], v[21:22]
	v_xor_b32_e32 v22, 0x80000000, v16
	v_mov_b32_e32 v21, v15
	v_cndmask_b32_e32 v24, v18, v24, vcc_lo
	v_cndmask_b32_e64 v22, v16, v22, s4
	v_add_f64 v[21:22], v[21:22], v[23:24]
	v_cmp_lt_f64_e32 vcc_lo, v[19:20], v[21:22]
	v_cndmask_b32_e32 v1, v1, v16, vcc_lo
	v_cndmask_b32_e32 v0, v0, v15, vcc_lo
	;; [unrolled: 1-line block ×4, first 2 shown]
	v_cndmask_b32_e64 v9, v9, s16, vcc_lo
	s_add_i32 s16, s16, 1
	s_cmp_lg_u32 s56, s16
	s_cbranch_scc1 .LBB120_1237
.LBB120_1238:
	s_inst_prefetch 0x2
	s_waitcnt lgkmcnt(0)
	v_cmp_eq_f64_e32 vcc_lo, 0, v[0:1]
	v_cmp_eq_f64_e64 s4, 0, v[2:3]
	s_and_b32 s4, vcc_lo, s4
	s_and_saveexec_b32 s16, s4
	s_xor_b32 s4, exec_lo, s16
; %bb.1239:
	v_cmp_ne_u32_e32 vcc_lo, 0, v12
	v_cndmask_b32_e32 v12, 54, v12, vcc_lo
; %bb.1240:
	s_andn2_saveexec_b32 s4, s4
	s_cbranch_execz .LBB120_1246
; %bb.1241:
	v_cmp_ngt_f64_e64 s16, |v[0:1]|, |v[2:3]|
	s_and_saveexec_b32 s17, s16
	s_xor_b32 s16, exec_lo, s17
	s_cbranch_execz .LBB120_1243
; %bb.1242:
	v_div_scale_f64 v[15:16], null, v[2:3], v[2:3], v[0:1]
	v_div_scale_f64 v[21:22], vcc_lo, v[0:1], v[2:3], v[0:1]
	v_rcp_f64_e32 v[17:18], v[15:16]
	v_fma_f64 v[19:20], -v[15:16], v[17:18], 1.0
	v_fma_f64 v[17:18], v[17:18], v[19:20], v[17:18]
	v_fma_f64 v[19:20], -v[15:16], v[17:18], 1.0
	v_fma_f64 v[17:18], v[17:18], v[19:20], v[17:18]
	v_mul_f64 v[19:20], v[21:22], v[17:18]
	v_fma_f64 v[15:16], -v[15:16], v[19:20], v[21:22]
	v_div_fmas_f64 v[15:16], v[15:16], v[17:18], v[19:20]
	v_div_fixup_f64 v[15:16], v[15:16], v[2:3], v[0:1]
	v_fma_f64 v[0:1], v[0:1], v[15:16], v[2:3]
	v_div_scale_f64 v[2:3], null, v[0:1], v[0:1], 1.0
	v_rcp_f64_e32 v[17:18], v[2:3]
	v_fma_f64 v[19:20], -v[2:3], v[17:18], 1.0
	v_fma_f64 v[17:18], v[17:18], v[19:20], v[17:18]
	v_fma_f64 v[19:20], -v[2:3], v[17:18], 1.0
	v_fma_f64 v[17:18], v[17:18], v[19:20], v[17:18]
	v_div_scale_f64 v[19:20], vcc_lo, 1.0, v[0:1], 1.0
	v_mul_f64 v[21:22], v[19:20], v[17:18]
	v_fma_f64 v[2:3], -v[2:3], v[21:22], v[19:20]
	v_div_fmas_f64 v[2:3], v[2:3], v[17:18], v[21:22]
	v_div_fixup_f64 v[2:3], v[2:3], v[0:1], 1.0
	v_mul_f64 v[0:1], v[15:16], v[2:3]
	v_xor_b32_e32 v3, 0x80000000, v3
.LBB120_1243:
	s_andn2_saveexec_b32 s16, s16
	s_cbranch_execz .LBB120_1245
; %bb.1244:
	v_div_scale_f64 v[15:16], null, v[0:1], v[0:1], v[2:3]
	v_div_scale_f64 v[21:22], vcc_lo, v[2:3], v[0:1], v[2:3]
	v_rcp_f64_e32 v[17:18], v[15:16]
	v_fma_f64 v[19:20], -v[15:16], v[17:18], 1.0
	v_fma_f64 v[17:18], v[17:18], v[19:20], v[17:18]
	v_fma_f64 v[19:20], -v[15:16], v[17:18], 1.0
	v_fma_f64 v[17:18], v[17:18], v[19:20], v[17:18]
	v_mul_f64 v[19:20], v[21:22], v[17:18]
	v_fma_f64 v[15:16], -v[15:16], v[19:20], v[21:22]
	v_div_fmas_f64 v[15:16], v[15:16], v[17:18], v[19:20]
	v_div_fixup_f64 v[15:16], v[15:16], v[0:1], v[2:3]
	v_fma_f64 v[0:1], v[2:3], v[15:16], v[0:1]
	v_div_scale_f64 v[2:3], null, v[0:1], v[0:1], 1.0
	v_rcp_f64_e32 v[17:18], v[2:3]
	v_fma_f64 v[19:20], -v[2:3], v[17:18], 1.0
	v_fma_f64 v[17:18], v[17:18], v[19:20], v[17:18]
	v_fma_f64 v[19:20], -v[2:3], v[17:18], 1.0
	v_fma_f64 v[17:18], v[17:18], v[19:20], v[17:18]
	v_div_scale_f64 v[19:20], vcc_lo, 1.0, v[0:1], 1.0
	v_mul_f64 v[21:22], v[19:20], v[17:18]
	v_fma_f64 v[2:3], -v[2:3], v[21:22], v[19:20]
	v_div_fmas_f64 v[2:3], v[2:3], v[17:18], v[21:22]
	v_div_fixup_f64 v[0:1], v[2:3], v[0:1], 1.0
	v_mul_f64 v[2:3], v[15:16], -v[0:1]
.LBB120_1245:
	s_or_b32 exec_lo, exec_lo, s16
.LBB120_1246:
	s_or_b32 exec_lo, exec_lo, s4
	s_mov_b32 s4, exec_lo
	v_cmpx_ne_u32_e64 v14, v9
	s_xor_b32 s4, exec_lo, s4
	s_cbranch_execz .LBB120_1252
; %bb.1247:
	s_mov_b32 s16, exec_lo
	v_cmpx_eq_u32_e32 53, v14
	s_cbranch_execz .LBB120_1251
; %bb.1248:
	v_cmp_ne_u32_e32 vcc_lo, 53, v9
	s_xor_b32 s17, s20, -1
	s_and_b32 s57, s17, vcc_lo
	s_and_saveexec_b32 s17, s57
	s_cbranch_execz .LBB120_1250
; %bb.1249:
	v_ashrrev_i32_e32 v10, 31, v9
	v_lshlrev_b64 v[14:15], 2, v[9:10]
	v_add_co_u32 v14, vcc_lo, v7, v14
	v_add_co_ci_u32_e64 v15, null, v8, v15, vcc_lo
	s_clause 0x1
	global_load_dword v4, v[14:15], off
	global_load_dword v10, v[7:8], off offset:212
	s_waitcnt vmcnt(1)
	global_store_dword v[7:8], v4, off offset:212
	s_waitcnt vmcnt(0)
	global_store_dword v[14:15], v10, off
.LBB120_1250:
	s_or_b32 exec_lo, exec_lo, s17
	v_mov_b32_e32 v14, v9
	v_mov_b32_e32 v10, v9
.LBB120_1251:
	s_or_b32 exec_lo, exec_lo, s16
.LBB120_1252:
	s_andn2_saveexec_b32 s4, s4
	s_cbranch_execz .LBB120_1254
; %bb.1253:
	v_mov_b32_e32 v4, s24
	v_mov_b32_e32 v9, s23
	;; [unrolled: 1-line block ×3, first 2 shown]
	s_clause 0x7
	buffer_load_dword v15, v4, s[0:3], 0 offen
	buffer_load_dword v16, v4, s[0:3], 0 offen offset:4
	buffer_load_dword v17, v4, s[0:3], 0 offen offset:8
	;; [unrolled: 1-line block ×3, first 2 shown]
	buffer_load_dword v19, v9, s[0:3], 0 offen
	buffer_load_dword v20, v9, s[0:3], 0 offen offset:4
	buffer_load_dword v21, v9, s[0:3], 0 offen offset:8
	;; [unrolled: 1-line block ×3, first 2 shown]
	v_mov_b32_e32 v9, s18
	v_mov_b32_e32 v4, s19
	s_clause 0x7
	buffer_load_dword v23, v14, s[0:3], 0 offen
	buffer_load_dword v24, v14, s[0:3], 0 offen offset:4
	buffer_load_dword v25, v14, s[0:3], 0 offen offset:8
	;; [unrolled: 1-line block ×3, first 2 shown]
	buffer_load_dword v27, v4, s[0:3], 0 offen
	buffer_load_dword v28, v4, s[0:3], 0 offen offset:4
	buffer_load_dword v29, v4, s[0:3], 0 offen offset:8
	;; [unrolled: 1-line block ×3, first 2 shown]
	v_mov_b32_e32 v4, s7
	v_mov_b32_e32 v14, s5
	s_clause 0xb
	buffer_load_dword v31, v9, s[0:3], 0 offen
	buffer_load_dword v32, v9, s[0:3], 0 offen offset:4
	buffer_load_dword v33, v9, s[0:3], 0 offen offset:8
	buffer_load_dword v34, v9, s[0:3], 0 offen offset:12
	buffer_load_dword v35, v4, s[0:3], 0 offen
	buffer_load_dword v36, v4, s[0:3], 0 offen offset:4
	buffer_load_dword v37, v4, s[0:3], 0 offen offset:8
	buffer_load_dword v38, v4, s[0:3], 0 offen offset:12
	;; [unrolled: 4-line block ×3, first 2 shown]
	v_mov_b32_e32 v14, 53
	s_waitcnt vmcnt(24)
	ds_write2_b64 v11, v[15:16], v[17:18] offset0:108 offset1:109
	s_waitcnt vmcnt(20)
	ds_write2_b64 v11, v[19:20], v[21:22] offset0:110 offset1:111
	;; [unrolled: 2-line block ×7, first 2 shown]
.LBB120_1254:
	s_or_b32 exec_lo, exec_lo, s4
	s_mov_b32 s4, exec_lo
	s_waitcnt lgkmcnt(0)
	s_waitcnt_vscnt null, 0x0
	s_barrier
	buffer_gl0_inv
	v_cmpx_lt_i32_e32 53, v14
	s_cbranch_execz .LBB120_1256
; %bb.1255:
	s_clause 0x7
	buffer_load_dword v15, off, s[0:3], 0 offset:856
	buffer_load_dword v16, off, s[0:3], 0 offset:860
	;; [unrolled: 1-line block ×8, first 2 shown]
	s_waitcnt vmcnt(6)
	v_mul_f64 v[19:20], v[0:1], v[15:16]
	v_mul_f64 v[15:16], v[2:3], v[15:16]
	s_waitcnt vmcnt(4)
	v_fma_f64 v[47:48], v[2:3], v[17:18], v[19:20]
	v_fma_f64 v[49:50], v[0:1], v[17:18], -v[15:16]
	buffer_store_dword v47, off, s[0:3], 0 offset:856
	buffer_store_dword v48, off, s[0:3], 0 offset:860
	s_clause 0x5
	buffer_load_dword v42, off, s[0:3], 0 offset:876
	buffer_load_dword v44, off, s[0:3], 0 offset:884
	buffer_load_dword v46, off, s[0:3], 0 offset:892
	buffer_load_dword v51, off, s[0:3], 0 offset:856
	buffer_load_dword v52, off, s[0:3], 0 offset:860
	buffer_load_dword v40, off, s[0:3], 0 offset:868
	buffer_store_dword v49, off, s[0:3], 0 offset:848
	buffer_store_dword v50, off, s[0:3], 0 offset:852
	s_clause 0x15
	buffer_load_dword v53, off, s[0:3], 0 offset:848
	buffer_load_dword v54, off, s[0:3], 0 offset:852
	;; [unrolled: 1-line block ×22, first 2 shown]
	ds_read2_b64 v[0:3], v11 offset0:108 offset1:109
	ds_read2_b64 v[15:18], v11 offset0:110 offset1:111
	;; [unrolled: 1-line block ×7, first 2 shown]
	s_waitcnt lgkmcnt(6)
	v_mul_f64 v[75:76], v[2:3], v[47:48]
	v_mul_f64 v[77:78], v[0:1], v[47:48]
	s_waitcnt lgkmcnt(5)
	v_mul_f64 v[79:80], v[17:18], v[47:48]
	v_mul_f64 v[81:82], v[15:16], v[47:48]
	;; [unrolled: 3-line block ×6, first 2 shown]
	v_fma_f64 v[0:1], v[0:1], v[49:50], -v[75:76]
	v_fma_f64 v[2:3], v[2:3], v[49:50], v[77:78]
	v_fma_f64 v[15:16], v[15:16], v[49:50], -v[79:80]
	v_fma_f64 v[17:18], v[17:18], v[49:50], v[81:82]
	v_fma_f64 v[19:20], v[19:20], v[49:50], -v[83:84]
	v_fma_f64 v[21:22], v[21:22], v[49:50], v[85:86]
	v_fma_f64 v[23:24], v[23:24], v[49:50], -v[87:88]
	v_fma_f64 v[25:26], v[25:26], v[49:50], v[89:90]
	v_fma_f64 v[27:28], v[27:28], v[49:50], -v[91:92]
	v_fma_f64 v[29:30], v[29:30], v[49:50], v[93:94]
	v_fma_f64 v[31:32], v[31:32], v[49:50], -v[95:96]
	v_fma_f64 v[33:34], v[33:34], v[49:50], v[47:48]
	s_waitcnt vmcnt(18)
	v_add_f64 v[19:20], v[55:56], -v[19:20]
	s_waitcnt vmcnt(16)
	v_add_f64 v[21:22], v[57:58], -v[21:22]
	;; [unrolled: 2-line block ×6, first 2 shown]
	v_add_f64 v[2:3], v[41:42], -v[2:3]
	v_add_f64 v[15:16], v[43:44], -v[15:16]
	;; [unrolled: 1-line block ×3, first 2 shown]
	s_waitcnt vmcnt(6)
	v_add_f64 v[31:32], v[67:68], -v[31:32]
	s_waitcnt lgkmcnt(0)
	v_mul_f64 v[75:76], v[37:38], v[51:52]
	v_mul_f64 v[51:52], v[35:36], v[51:52]
	v_add_f64 v[0:1], v[39:40], -v[0:1]
	s_waitcnt vmcnt(4)
	v_add_f64 v[33:34], v[69:70], -v[33:34]
	buffer_store_dword v0, off, s[0:3], 0 offset:864
	buffer_store_dword v1, off, s[0:3], 0 offset:868
	;; [unrolled: 1-line block ×4, first 2 shown]
	v_fma_f64 v[35:36], v[35:36], v[53:54], -v[75:76]
	v_fma_f64 v[37:38], v[37:38], v[53:54], v[51:52]
	buffer_store_dword v15, off, s[0:3], 0 offset:880
	s_waitcnt vmcnt(1)
	v_add_f64 v[0:1], v[71:72], -v[35:36]
	s_waitcnt vmcnt(0)
	v_add_f64 v[2:3], v[73:74], -v[37:38]
	buffer_store_dword v16, off, s[0:3], 0 offset:884
	buffer_store_dword v17, off, s[0:3], 0 offset:888
	;; [unrolled: 1-line block ×23, first 2 shown]
.LBB120_1256:
	s_or_b32 exec_lo, exec_lo, s4
	v_mov_b32_e32 v3, s24
	s_waitcnt_vscnt null, 0x0
	s_barrier
	buffer_gl0_inv
	v_lshl_add_u32 v4, v14, 4, v11
	s_clause 0x3
	buffer_load_dword v0, v3, s[0:3], 0 offen
	buffer_load_dword v1, v3, s[0:3], 0 offen offset:4
	buffer_load_dword v2, v3, s[0:3], 0 offen offset:8
	;; [unrolled: 1-line block ×3, first 2 shown]
	v_mov_b32_e32 v9, 54
	s_cmp_lt_i32 s56, 56
	s_waitcnt vmcnt(0)
	ds_write2_b64 v4, v[0:1], v[2:3] offset1:1
	s_waitcnt lgkmcnt(0)
	s_barrier
	buffer_gl0_inv
	ds_read2_b64 v[0:3], v11 offset0:108 offset1:109
	s_cbranch_scc1 .LBB120_1259
; %bb.1257:
	v_add3_u32 v4, v13, 0, 0x370
	v_mov_b32_e32 v9, 54
	s_mov_b32 s16, 55
	s_inst_prefetch 0x1
	.p2align	6
.LBB120_1258:                           ; =>This Inner Loop Header: Depth=1
	s_waitcnt lgkmcnt(0)
	v_cmp_gt_f64_e32 vcc_lo, 0, v[2:3]
	v_cmp_gt_f64_e64 s4, 0, v[0:1]
	ds_read2_b64 v[15:18], v4 offset1:1
	v_xor_b32_e32 v20, 0x80000000, v1
	v_xor_b32_e32 v22, 0x80000000, v3
	v_mov_b32_e32 v19, v0
	v_mov_b32_e32 v21, v2
	v_add_nc_u32_e32 v4, 16, v4
	s_waitcnt lgkmcnt(0)
	v_xor_b32_e32 v24, 0x80000000, v18
	v_cndmask_b32_e64 v20, v1, v20, s4
	v_cndmask_b32_e32 v22, v3, v22, vcc_lo
	v_cmp_gt_f64_e32 vcc_lo, 0, v[17:18]
	v_cmp_gt_f64_e64 s4, 0, v[15:16]
	v_mov_b32_e32 v23, v17
	v_add_f64 v[19:20], v[19:20], v[21:22]
	v_xor_b32_e32 v22, 0x80000000, v16
	v_mov_b32_e32 v21, v15
	v_cndmask_b32_e32 v24, v18, v24, vcc_lo
	v_cndmask_b32_e64 v22, v16, v22, s4
	v_add_f64 v[21:22], v[21:22], v[23:24]
	v_cmp_lt_f64_e32 vcc_lo, v[19:20], v[21:22]
	v_cndmask_b32_e32 v1, v1, v16, vcc_lo
	v_cndmask_b32_e32 v0, v0, v15, vcc_lo
	v_cndmask_b32_e32 v3, v3, v18, vcc_lo
	v_cndmask_b32_e32 v2, v2, v17, vcc_lo
	v_cndmask_b32_e64 v9, v9, s16, vcc_lo
	s_add_i32 s16, s16, 1
	s_cmp_lg_u32 s56, s16
	s_cbranch_scc1 .LBB120_1258
.LBB120_1259:
	s_inst_prefetch 0x2
	s_waitcnt lgkmcnt(0)
	v_cmp_eq_f64_e32 vcc_lo, 0, v[0:1]
	v_cmp_eq_f64_e64 s4, 0, v[2:3]
	s_and_b32 s4, vcc_lo, s4
	s_and_saveexec_b32 s16, s4
	s_xor_b32 s4, exec_lo, s16
; %bb.1260:
	v_cmp_ne_u32_e32 vcc_lo, 0, v12
	v_cndmask_b32_e32 v12, 55, v12, vcc_lo
; %bb.1261:
	s_andn2_saveexec_b32 s4, s4
	s_cbranch_execz .LBB120_1267
; %bb.1262:
	v_cmp_ngt_f64_e64 s16, |v[0:1]|, |v[2:3]|
	s_and_saveexec_b32 s17, s16
	s_xor_b32 s16, exec_lo, s17
	s_cbranch_execz .LBB120_1264
; %bb.1263:
	v_div_scale_f64 v[15:16], null, v[2:3], v[2:3], v[0:1]
	v_div_scale_f64 v[21:22], vcc_lo, v[0:1], v[2:3], v[0:1]
	v_rcp_f64_e32 v[17:18], v[15:16]
	v_fma_f64 v[19:20], -v[15:16], v[17:18], 1.0
	v_fma_f64 v[17:18], v[17:18], v[19:20], v[17:18]
	v_fma_f64 v[19:20], -v[15:16], v[17:18], 1.0
	v_fma_f64 v[17:18], v[17:18], v[19:20], v[17:18]
	v_mul_f64 v[19:20], v[21:22], v[17:18]
	v_fma_f64 v[15:16], -v[15:16], v[19:20], v[21:22]
	v_div_fmas_f64 v[15:16], v[15:16], v[17:18], v[19:20]
	v_div_fixup_f64 v[15:16], v[15:16], v[2:3], v[0:1]
	v_fma_f64 v[0:1], v[0:1], v[15:16], v[2:3]
	v_div_scale_f64 v[2:3], null, v[0:1], v[0:1], 1.0
	v_rcp_f64_e32 v[17:18], v[2:3]
	v_fma_f64 v[19:20], -v[2:3], v[17:18], 1.0
	v_fma_f64 v[17:18], v[17:18], v[19:20], v[17:18]
	v_fma_f64 v[19:20], -v[2:3], v[17:18], 1.0
	v_fma_f64 v[17:18], v[17:18], v[19:20], v[17:18]
	v_div_scale_f64 v[19:20], vcc_lo, 1.0, v[0:1], 1.0
	v_mul_f64 v[21:22], v[19:20], v[17:18]
	v_fma_f64 v[2:3], -v[2:3], v[21:22], v[19:20]
	v_div_fmas_f64 v[2:3], v[2:3], v[17:18], v[21:22]
	v_div_fixup_f64 v[2:3], v[2:3], v[0:1], 1.0
	v_mul_f64 v[0:1], v[15:16], v[2:3]
	v_xor_b32_e32 v3, 0x80000000, v3
.LBB120_1264:
	s_andn2_saveexec_b32 s16, s16
	s_cbranch_execz .LBB120_1266
; %bb.1265:
	v_div_scale_f64 v[15:16], null, v[0:1], v[0:1], v[2:3]
	v_div_scale_f64 v[21:22], vcc_lo, v[2:3], v[0:1], v[2:3]
	v_rcp_f64_e32 v[17:18], v[15:16]
	v_fma_f64 v[19:20], -v[15:16], v[17:18], 1.0
	v_fma_f64 v[17:18], v[17:18], v[19:20], v[17:18]
	v_fma_f64 v[19:20], -v[15:16], v[17:18], 1.0
	v_fma_f64 v[17:18], v[17:18], v[19:20], v[17:18]
	v_mul_f64 v[19:20], v[21:22], v[17:18]
	v_fma_f64 v[15:16], -v[15:16], v[19:20], v[21:22]
	v_div_fmas_f64 v[15:16], v[15:16], v[17:18], v[19:20]
	v_div_fixup_f64 v[15:16], v[15:16], v[0:1], v[2:3]
	v_fma_f64 v[0:1], v[2:3], v[15:16], v[0:1]
	v_div_scale_f64 v[2:3], null, v[0:1], v[0:1], 1.0
	v_rcp_f64_e32 v[17:18], v[2:3]
	v_fma_f64 v[19:20], -v[2:3], v[17:18], 1.0
	v_fma_f64 v[17:18], v[17:18], v[19:20], v[17:18]
	v_fma_f64 v[19:20], -v[2:3], v[17:18], 1.0
	v_fma_f64 v[17:18], v[17:18], v[19:20], v[17:18]
	v_div_scale_f64 v[19:20], vcc_lo, 1.0, v[0:1], 1.0
	v_mul_f64 v[21:22], v[19:20], v[17:18]
	v_fma_f64 v[2:3], -v[2:3], v[21:22], v[19:20]
	v_div_fmas_f64 v[2:3], v[2:3], v[17:18], v[21:22]
	v_div_fixup_f64 v[0:1], v[2:3], v[0:1], 1.0
	v_mul_f64 v[2:3], v[15:16], -v[0:1]
.LBB120_1266:
	s_or_b32 exec_lo, exec_lo, s16
.LBB120_1267:
	s_or_b32 exec_lo, exec_lo, s4
	s_mov_b32 s4, exec_lo
	v_cmpx_ne_u32_e64 v14, v9
	s_xor_b32 s4, exec_lo, s4
	s_cbranch_execz .LBB120_1273
; %bb.1268:
	s_mov_b32 s16, exec_lo
	v_cmpx_eq_u32_e32 54, v14
	s_cbranch_execz .LBB120_1272
; %bb.1269:
	v_cmp_ne_u32_e32 vcc_lo, 54, v9
	s_xor_b32 s17, s20, -1
	s_and_b32 s57, s17, vcc_lo
	s_and_saveexec_b32 s17, s57
	s_cbranch_execz .LBB120_1271
; %bb.1270:
	v_ashrrev_i32_e32 v10, 31, v9
	v_lshlrev_b64 v[14:15], 2, v[9:10]
	v_add_co_u32 v14, vcc_lo, v7, v14
	v_add_co_ci_u32_e64 v15, null, v8, v15, vcc_lo
	s_clause 0x1
	global_load_dword v4, v[14:15], off
	global_load_dword v10, v[7:8], off offset:216
	s_waitcnt vmcnt(1)
	global_store_dword v[7:8], v4, off offset:216
	s_waitcnt vmcnt(0)
	global_store_dword v[14:15], v10, off
.LBB120_1271:
	s_or_b32 exec_lo, exec_lo, s17
	v_mov_b32_e32 v14, v9
	v_mov_b32_e32 v10, v9
.LBB120_1272:
	s_or_b32 exec_lo, exec_lo, s16
.LBB120_1273:
	s_andn2_saveexec_b32 s4, s4
	s_cbranch_execz .LBB120_1275
; %bb.1274:
	v_mov_b32_e32 v4, s23
	v_mov_b32_e32 v9, s22
	;; [unrolled: 1-line block ×3, first 2 shown]
	s_clause 0x7
	buffer_load_dword v15, v4, s[0:3], 0 offen
	buffer_load_dword v16, v4, s[0:3], 0 offen offset:4
	buffer_load_dword v17, v4, s[0:3], 0 offen offset:8
	;; [unrolled: 1-line block ×3, first 2 shown]
	buffer_load_dword v19, v9, s[0:3], 0 offen
	buffer_load_dword v20, v9, s[0:3], 0 offen offset:4
	buffer_load_dword v21, v9, s[0:3], 0 offen offset:8
	;; [unrolled: 1-line block ×3, first 2 shown]
	v_mov_b32_e32 v9, s7
	v_mov_b32_e32 v4, s18
	s_clause 0x7
	buffer_load_dword v23, v14, s[0:3], 0 offen
	buffer_load_dword v24, v14, s[0:3], 0 offen offset:4
	buffer_load_dword v25, v14, s[0:3], 0 offen offset:8
	;; [unrolled: 1-line block ×3, first 2 shown]
	buffer_load_dword v27, v4, s[0:3], 0 offen
	buffer_load_dword v28, v4, s[0:3], 0 offen offset:4
	buffer_load_dword v29, v4, s[0:3], 0 offen offset:8
	;; [unrolled: 1-line block ×3, first 2 shown]
	v_mov_b32_e32 v4, s5
	s_clause 0x7
	buffer_load_dword v31, v9, s[0:3], 0 offen
	buffer_load_dword v32, v9, s[0:3], 0 offen offset:4
	buffer_load_dword v33, v9, s[0:3], 0 offen offset:8
	;; [unrolled: 1-line block ×3, first 2 shown]
	buffer_load_dword v35, v4, s[0:3], 0 offen
	buffer_load_dword v36, v4, s[0:3], 0 offen offset:4
	buffer_load_dword v37, v4, s[0:3], 0 offen offset:8
	;; [unrolled: 1-line block ×3, first 2 shown]
	v_mov_b32_e32 v14, 54
	s_waitcnt vmcnt(20)
	ds_write2_b64 v11, v[15:16], v[17:18] offset0:110 offset1:111
	s_waitcnt vmcnt(16)
	ds_write2_b64 v11, v[19:20], v[21:22] offset0:112 offset1:113
	;; [unrolled: 2-line block ×6, first 2 shown]
.LBB120_1275:
	s_or_b32 exec_lo, exec_lo, s4
	s_mov_b32 s4, exec_lo
	s_waitcnt lgkmcnt(0)
	s_waitcnt_vscnt null, 0x0
	s_barrier
	buffer_gl0_inv
	v_cmpx_lt_i32_e32 54, v14
	s_cbranch_execz .LBB120_1277
; %bb.1276:
	s_clause 0x1b
	buffer_load_dword v15, off, s[0:3], 0 offset:872
	buffer_load_dword v16, off, s[0:3], 0 offset:876
	;; [unrolled: 1-line block ×28, first 2 shown]
	s_waitcnt vmcnt(26)
	v_mul_f64 v[17:18], v[0:1], v[15:16]
	v_mul_f64 v[65:66], v[2:3], v[15:16]
	s_waitcnt vmcnt(24)
	v_fma_f64 v[2:3], v[2:3], v[39:40], v[17:18]
	ds_read2_b64 v[15:18], v11 offset0:110 offset1:111
	ds_read2_b64 v[19:22], v11 offset0:112 offset1:113
	ds_read2_b64 v[23:26], v11 offset0:114 offset1:115
	ds_read2_b64 v[27:30], v11 offset0:116 offset1:117
	ds_read2_b64 v[31:34], v11 offset0:118 offset1:119
	ds_read2_b64 v[35:38], v11 offset0:120 offset1:121
	v_fma_f64 v[0:1], v[0:1], v[39:40], -v[65:66]
	s_waitcnt lgkmcnt(5)
	v_mul_f64 v[39:40], v[17:18], v[2:3]
	v_mul_f64 v[65:66], v[15:16], v[2:3]
	s_waitcnt lgkmcnt(4)
	v_mul_f64 v[67:68], v[21:22], v[2:3]
	v_mul_f64 v[69:70], v[19:20], v[2:3]
	;; [unrolled: 3-line block ×6, first 2 shown]
	buffer_store_dword v0, off, s[0:3], 0 offset:864
	buffer_store_dword v1, off, s[0:3], 0 offset:868
	;; [unrolled: 1-line block ×4, first 2 shown]
	v_fma_f64 v[15:16], v[15:16], v[0:1], -v[39:40]
	v_fma_f64 v[17:18], v[17:18], v[0:1], v[65:66]
	v_fma_f64 v[19:20], v[19:20], v[0:1], -v[67:68]
	v_fma_f64 v[21:22], v[21:22], v[0:1], v[69:70]
	;; [unrolled: 2-line block ×6, first 2 shown]
	s_waitcnt vmcnt(22)
	v_add_f64 v[15:16], v[41:42], -v[15:16]
	s_waitcnt vmcnt(20)
	v_add_f64 v[17:18], v[43:44], -v[17:18]
	;; [unrolled: 2-line block ×12, first 2 shown]
	buffer_store_dword v15, off, s[0:3], 0 offset:880
	buffer_store_dword v16, off, s[0:3], 0 offset:884
	;; [unrolled: 1-line block ×24, first 2 shown]
.LBB120_1277:
	s_or_b32 exec_lo, exec_lo, s4
	v_mov_b32_e32 v3, s23
	s_waitcnt_vscnt null, 0x0
	s_barrier
	buffer_gl0_inv
	v_lshl_add_u32 v4, v14, 4, v11
	s_clause 0x3
	buffer_load_dword v0, v3, s[0:3], 0 offen
	buffer_load_dword v1, v3, s[0:3], 0 offen offset:4
	buffer_load_dword v2, v3, s[0:3], 0 offen offset:8
	;; [unrolled: 1-line block ×3, first 2 shown]
	v_mov_b32_e32 v9, 55
	s_cmp_lt_i32 s56, 57
	s_waitcnt vmcnt(0)
	ds_write2_b64 v4, v[0:1], v[2:3] offset1:1
	s_waitcnt lgkmcnt(0)
	s_barrier
	buffer_gl0_inv
	ds_read2_b64 v[0:3], v11 offset0:110 offset1:111
	s_cbranch_scc1 .LBB120_1280
; %bb.1278:
	v_add3_u32 v4, v13, 0, 0x380
	v_mov_b32_e32 v9, 55
	s_mov_b32 s16, 56
	s_inst_prefetch 0x1
	.p2align	6
.LBB120_1279:                           ; =>This Inner Loop Header: Depth=1
	s_waitcnt lgkmcnt(0)
	v_cmp_gt_f64_e32 vcc_lo, 0, v[2:3]
	v_cmp_gt_f64_e64 s4, 0, v[0:1]
	ds_read2_b64 v[15:18], v4 offset1:1
	v_xor_b32_e32 v20, 0x80000000, v1
	v_xor_b32_e32 v22, 0x80000000, v3
	v_mov_b32_e32 v19, v0
	v_mov_b32_e32 v21, v2
	v_add_nc_u32_e32 v4, 16, v4
	s_waitcnt lgkmcnt(0)
	v_xor_b32_e32 v24, 0x80000000, v18
	v_cndmask_b32_e64 v20, v1, v20, s4
	v_cndmask_b32_e32 v22, v3, v22, vcc_lo
	v_cmp_gt_f64_e32 vcc_lo, 0, v[17:18]
	v_cmp_gt_f64_e64 s4, 0, v[15:16]
	v_mov_b32_e32 v23, v17
	v_add_f64 v[19:20], v[19:20], v[21:22]
	v_xor_b32_e32 v22, 0x80000000, v16
	v_mov_b32_e32 v21, v15
	v_cndmask_b32_e32 v24, v18, v24, vcc_lo
	v_cndmask_b32_e64 v22, v16, v22, s4
	v_add_f64 v[21:22], v[21:22], v[23:24]
	v_cmp_lt_f64_e32 vcc_lo, v[19:20], v[21:22]
	v_cndmask_b32_e32 v1, v1, v16, vcc_lo
	v_cndmask_b32_e32 v0, v0, v15, vcc_lo
	;; [unrolled: 1-line block ×4, first 2 shown]
	v_cndmask_b32_e64 v9, v9, s16, vcc_lo
	s_add_i32 s16, s16, 1
	s_cmp_lg_u32 s56, s16
	s_cbranch_scc1 .LBB120_1279
.LBB120_1280:
	s_inst_prefetch 0x2
	s_waitcnt lgkmcnt(0)
	v_cmp_eq_f64_e32 vcc_lo, 0, v[0:1]
	v_cmp_eq_f64_e64 s4, 0, v[2:3]
	s_and_b32 s4, vcc_lo, s4
	s_and_saveexec_b32 s16, s4
	s_xor_b32 s4, exec_lo, s16
; %bb.1281:
	v_cmp_ne_u32_e32 vcc_lo, 0, v12
	v_cndmask_b32_e32 v12, 56, v12, vcc_lo
; %bb.1282:
	s_andn2_saveexec_b32 s4, s4
	s_cbranch_execz .LBB120_1288
; %bb.1283:
	v_cmp_ngt_f64_e64 s16, |v[0:1]|, |v[2:3]|
	s_and_saveexec_b32 s17, s16
	s_xor_b32 s16, exec_lo, s17
	s_cbranch_execz .LBB120_1285
; %bb.1284:
	v_div_scale_f64 v[15:16], null, v[2:3], v[2:3], v[0:1]
	v_div_scale_f64 v[21:22], vcc_lo, v[0:1], v[2:3], v[0:1]
	v_rcp_f64_e32 v[17:18], v[15:16]
	v_fma_f64 v[19:20], -v[15:16], v[17:18], 1.0
	v_fma_f64 v[17:18], v[17:18], v[19:20], v[17:18]
	v_fma_f64 v[19:20], -v[15:16], v[17:18], 1.0
	v_fma_f64 v[17:18], v[17:18], v[19:20], v[17:18]
	v_mul_f64 v[19:20], v[21:22], v[17:18]
	v_fma_f64 v[15:16], -v[15:16], v[19:20], v[21:22]
	v_div_fmas_f64 v[15:16], v[15:16], v[17:18], v[19:20]
	v_div_fixup_f64 v[15:16], v[15:16], v[2:3], v[0:1]
	v_fma_f64 v[0:1], v[0:1], v[15:16], v[2:3]
	v_div_scale_f64 v[2:3], null, v[0:1], v[0:1], 1.0
	v_rcp_f64_e32 v[17:18], v[2:3]
	v_fma_f64 v[19:20], -v[2:3], v[17:18], 1.0
	v_fma_f64 v[17:18], v[17:18], v[19:20], v[17:18]
	v_fma_f64 v[19:20], -v[2:3], v[17:18], 1.0
	v_fma_f64 v[17:18], v[17:18], v[19:20], v[17:18]
	v_div_scale_f64 v[19:20], vcc_lo, 1.0, v[0:1], 1.0
	v_mul_f64 v[21:22], v[19:20], v[17:18]
	v_fma_f64 v[2:3], -v[2:3], v[21:22], v[19:20]
	v_div_fmas_f64 v[2:3], v[2:3], v[17:18], v[21:22]
	v_div_fixup_f64 v[2:3], v[2:3], v[0:1], 1.0
	v_mul_f64 v[0:1], v[15:16], v[2:3]
	v_xor_b32_e32 v3, 0x80000000, v3
.LBB120_1285:
	s_andn2_saveexec_b32 s16, s16
	s_cbranch_execz .LBB120_1287
; %bb.1286:
	v_div_scale_f64 v[15:16], null, v[0:1], v[0:1], v[2:3]
	v_div_scale_f64 v[21:22], vcc_lo, v[2:3], v[0:1], v[2:3]
	v_rcp_f64_e32 v[17:18], v[15:16]
	v_fma_f64 v[19:20], -v[15:16], v[17:18], 1.0
	v_fma_f64 v[17:18], v[17:18], v[19:20], v[17:18]
	v_fma_f64 v[19:20], -v[15:16], v[17:18], 1.0
	v_fma_f64 v[17:18], v[17:18], v[19:20], v[17:18]
	v_mul_f64 v[19:20], v[21:22], v[17:18]
	v_fma_f64 v[15:16], -v[15:16], v[19:20], v[21:22]
	v_div_fmas_f64 v[15:16], v[15:16], v[17:18], v[19:20]
	v_div_fixup_f64 v[15:16], v[15:16], v[0:1], v[2:3]
	v_fma_f64 v[0:1], v[2:3], v[15:16], v[0:1]
	v_div_scale_f64 v[2:3], null, v[0:1], v[0:1], 1.0
	v_rcp_f64_e32 v[17:18], v[2:3]
	v_fma_f64 v[19:20], -v[2:3], v[17:18], 1.0
	v_fma_f64 v[17:18], v[17:18], v[19:20], v[17:18]
	v_fma_f64 v[19:20], -v[2:3], v[17:18], 1.0
	v_fma_f64 v[17:18], v[17:18], v[19:20], v[17:18]
	v_div_scale_f64 v[19:20], vcc_lo, 1.0, v[0:1], 1.0
	v_mul_f64 v[21:22], v[19:20], v[17:18]
	v_fma_f64 v[2:3], -v[2:3], v[21:22], v[19:20]
	v_div_fmas_f64 v[2:3], v[2:3], v[17:18], v[21:22]
	v_div_fixup_f64 v[0:1], v[2:3], v[0:1], 1.0
	v_mul_f64 v[2:3], v[15:16], -v[0:1]
.LBB120_1287:
	s_or_b32 exec_lo, exec_lo, s16
.LBB120_1288:
	s_or_b32 exec_lo, exec_lo, s4
	s_mov_b32 s4, exec_lo
	v_cmpx_ne_u32_e64 v14, v9
	s_xor_b32 s4, exec_lo, s4
	s_cbranch_execz .LBB120_1294
; %bb.1289:
	s_mov_b32 s16, exec_lo
	v_cmpx_eq_u32_e32 55, v14
	s_cbranch_execz .LBB120_1293
; %bb.1290:
	v_cmp_ne_u32_e32 vcc_lo, 55, v9
	s_xor_b32 s17, s20, -1
	s_and_b32 s57, s17, vcc_lo
	s_and_saveexec_b32 s17, s57
	s_cbranch_execz .LBB120_1292
; %bb.1291:
	v_ashrrev_i32_e32 v10, 31, v9
	v_lshlrev_b64 v[14:15], 2, v[9:10]
	v_add_co_u32 v14, vcc_lo, v7, v14
	v_add_co_ci_u32_e64 v15, null, v8, v15, vcc_lo
	s_clause 0x1
	global_load_dword v4, v[14:15], off
	global_load_dword v10, v[7:8], off offset:220
	s_waitcnt vmcnt(1)
	global_store_dword v[7:8], v4, off offset:220
	s_waitcnt vmcnt(0)
	global_store_dword v[14:15], v10, off
.LBB120_1292:
	s_or_b32 exec_lo, exec_lo, s17
	v_mov_b32_e32 v14, v9
	v_mov_b32_e32 v10, v9
.LBB120_1293:
	s_or_b32 exec_lo, exec_lo, s16
.LBB120_1294:
	s_andn2_saveexec_b32 s4, s4
	s_cbranch_execz .LBB120_1296
; %bb.1295:
	v_mov_b32_e32 v4, s22
	v_mov_b32_e32 v14, s18
	;; [unrolled: 1-line block ×3, first 2 shown]
	s_clause 0x7
	buffer_load_dword v15, v4, s[0:3], 0 offen
	buffer_load_dword v16, v4, s[0:3], 0 offen offset:4
	buffer_load_dword v17, v4, s[0:3], 0 offen offset:8
	;; [unrolled: 1-line block ×3, first 2 shown]
	buffer_load_dword v19, v9, s[0:3], 0 offen
	buffer_load_dword v20, v9, s[0:3], 0 offen offset:4
	buffer_load_dword v21, v9, s[0:3], 0 offen offset:8
	;; [unrolled: 1-line block ×3, first 2 shown]
	v_mov_b32_e32 v4, s7
	v_mov_b32_e32 v9, s5
	s_clause 0xb
	buffer_load_dword v23, v14, s[0:3], 0 offen
	buffer_load_dword v24, v14, s[0:3], 0 offen offset:4
	buffer_load_dword v25, v14, s[0:3], 0 offen offset:8
	buffer_load_dword v26, v14, s[0:3], 0 offen offset:12
	buffer_load_dword v27, v4, s[0:3], 0 offen
	buffer_load_dword v28, v4, s[0:3], 0 offen offset:4
	buffer_load_dword v29, v4, s[0:3], 0 offen offset:8
	buffer_load_dword v30, v4, s[0:3], 0 offen offset:12
	;; [unrolled: 4-line block ×3, first 2 shown]
	v_mov_b32_e32 v14, 55
	s_waitcnt vmcnt(16)
	ds_write2_b64 v11, v[15:16], v[17:18] offset0:112 offset1:113
	s_waitcnt vmcnt(12)
	ds_write2_b64 v11, v[19:20], v[21:22] offset0:114 offset1:115
	;; [unrolled: 2-line block ×5, first 2 shown]
.LBB120_1296:
	s_or_b32 exec_lo, exec_lo, s4
	s_mov_b32 s4, exec_lo
	s_waitcnt lgkmcnt(0)
	s_waitcnt_vscnt null, 0x0
	s_barrier
	buffer_gl0_inv
	v_cmpx_lt_i32_e32 55, v14
	s_cbranch_execz .LBB120_1298
; %bb.1297:
	s_clause 0x17
	buffer_load_dword v15, off, s[0:3], 0 offset:888
	buffer_load_dword v16, off, s[0:3], 0 offset:892
	;; [unrolled: 1-line block ×24, first 2 shown]
	s_waitcnt vmcnt(22)
	v_mul_f64 v[17:18], v[0:1], v[15:16]
	v_mul_f64 v[57:58], v[2:3], v[15:16]
	s_waitcnt vmcnt(20)
	v_fma_f64 v[2:3], v[2:3], v[35:36], v[17:18]
	ds_read2_b64 v[15:18], v11 offset0:112 offset1:113
	ds_read2_b64 v[19:22], v11 offset0:114 offset1:115
	;; [unrolled: 1-line block ×5, first 2 shown]
	v_fma_f64 v[0:1], v[0:1], v[35:36], -v[57:58]
	s_waitcnt lgkmcnt(4)
	v_mul_f64 v[35:36], v[17:18], v[2:3]
	v_mul_f64 v[57:58], v[15:16], v[2:3]
	s_waitcnt lgkmcnt(3)
	v_mul_f64 v[59:60], v[21:22], v[2:3]
	v_mul_f64 v[61:62], v[19:20], v[2:3]
	;; [unrolled: 3-line block ×5, first 2 shown]
	buffer_store_dword v0, off, s[0:3], 0 offset:880
	v_fma_f64 v[15:16], v[15:16], v[0:1], -v[35:36]
	v_fma_f64 v[17:18], v[17:18], v[0:1], v[57:58]
	v_fma_f64 v[19:20], v[19:20], v[0:1], -v[59:60]
	v_fma_f64 v[21:22], v[21:22], v[0:1], v[61:62]
	;; [unrolled: 2-line block ×5, first 2 shown]
	s_waitcnt vmcnt(18)
	v_add_f64 v[15:16], v[37:38], -v[15:16]
	s_waitcnt vmcnt(16)
	v_add_f64 v[17:18], v[39:40], -v[17:18]
	;; [unrolled: 2-line block ×10, first 2 shown]
	buffer_store_dword v1, off, s[0:3], 0 offset:884
	buffer_store_dword v2, off, s[0:3], 0 offset:888
	;; [unrolled: 1-line block ×23, first 2 shown]
.LBB120_1298:
	s_or_b32 exec_lo, exec_lo, s4
	v_mov_b32_e32 v3, s22
	s_waitcnt_vscnt null, 0x0
	s_barrier
	buffer_gl0_inv
	v_lshl_add_u32 v4, v14, 4, v11
	s_clause 0x3
	buffer_load_dword v0, v3, s[0:3], 0 offen
	buffer_load_dword v1, v3, s[0:3], 0 offen offset:4
	buffer_load_dword v2, v3, s[0:3], 0 offen offset:8
	;; [unrolled: 1-line block ×3, first 2 shown]
	v_mov_b32_e32 v9, 56
	s_cmp_lt_i32 s56, 58
	s_waitcnt vmcnt(0)
	ds_write2_b64 v4, v[0:1], v[2:3] offset1:1
	s_waitcnt lgkmcnt(0)
	s_barrier
	buffer_gl0_inv
	ds_read2_b64 v[0:3], v11 offset0:112 offset1:113
	s_cbranch_scc1 .LBB120_1301
; %bb.1299:
	v_add3_u32 v4, v13, 0, 0x390
	v_mov_b32_e32 v9, 56
	s_mov_b32 s16, 57
	s_inst_prefetch 0x1
	.p2align	6
.LBB120_1300:                           ; =>This Inner Loop Header: Depth=1
	s_waitcnt lgkmcnt(0)
	v_cmp_gt_f64_e32 vcc_lo, 0, v[2:3]
	v_cmp_gt_f64_e64 s4, 0, v[0:1]
	ds_read2_b64 v[15:18], v4 offset1:1
	v_xor_b32_e32 v20, 0x80000000, v1
	v_xor_b32_e32 v22, 0x80000000, v3
	v_mov_b32_e32 v19, v0
	v_mov_b32_e32 v21, v2
	v_add_nc_u32_e32 v4, 16, v4
	s_waitcnt lgkmcnt(0)
	v_xor_b32_e32 v24, 0x80000000, v18
	v_cndmask_b32_e64 v20, v1, v20, s4
	v_cndmask_b32_e32 v22, v3, v22, vcc_lo
	v_cmp_gt_f64_e32 vcc_lo, 0, v[17:18]
	v_cmp_gt_f64_e64 s4, 0, v[15:16]
	v_mov_b32_e32 v23, v17
	v_add_f64 v[19:20], v[19:20], v[21:22]
	v_xor_b32_e32 v22, 0x80000000, v16
	v_mov_b32_e32 v21, v15
	v_cndmask_b32_e32 v24, v18, v24, vcc_lo
	v_cndmask_b32_e64 v22, v16, v22, s4
	v_add_f64 v[21:22], v[21:22], v[23:24]
	v_cmp_lt_f64_e32 vcc_lo, v[19:20], v[21:22]
	v_cndmask_b32_e32 v1, v1, v16, vcc_lo
	v_cndmask_b32_e32 v0, v0, v15, vcc_lo
	;; [unrolled: 1-line block ×4, first 2 shown]
	v_cndmask_b32_e64 v9, v9, s16, vcc_lo
	s_add_i32 s16, s16, 1
	s_cmp_lg_u32 s56, s16
	s_cbranch_scc1 .LBB120_1300
.LBB120_1301:
	s_inst_prefetch 0x2
	s_waitcnt lgkmcnt(0)
	v_cmp_eq_f64_e32 vcc_lo, 0, v[0:1]
	v_cmp_eq_f64_e64 s4, 0, v[2:3]
	s_and_b32 s4, vcc_lo, s4
	s_and_saveexec_b32 s16, s4
	s_xor_b32 s4, exec_lo, s16
; %bb.1302:
	v_cmp_ne_u32_e32 vcc_lo, 0, v12
	v_cndmask_b32_e32 v12, 57, v12, vcc_lo
; %bb.1303:
	s_andn2_saveexec_b32 s4, s4
	s_cbranch_execz .LBB120_1309
; %bb.1304:
	v_cmp_ngt_f64_e64 s16, |v[0:1]|, |v[2:3]|
	s_and_saveexec_b32 s17, s16
	s_xor_b32 s16, exec_lo, s17
	s_cbranch_execz .LBB120_1306
; %bb.1305:
	v_div_scale_f64 v[15:16], null, v[2:3], v[2:3], v[0:1]
	v_div_scale_f64 v[21:22], vcc_lo, v[0:1], v[2:3], v[0:1]
	v_rcp_f64_e32 v[17:18], v[15:16]
	v_fma_f64 v[19:20], -v[15:16], v[17:18], 1.0
	v_fma_f64 v[17:18], v[17:18], v[19:20], v[17:18]
	v_fma_f64 v[19:20], -v[15:16], v[17:18], 1.0
	v_fma_f64 v[17:18], v[17:18], v[19:20], v[17:18]
	v_mul_f64 v[19:20], v[21:22], v[17:18]
	v_fma_f64 v[15:16], -v[15:16], v[19:20], v[21:22]
	v_div_fmas_f64 v[15:16], v[15:16], v[17:18], v[19:20]
	v_div_fixup_f64 v[15:16], v[15:16], v[2:3], v[0:1]
	v_fma_f64 v[0:1], v[0:1], v[15:16], v[2:3]
	v_div_scale_f64 v[2:3], null, v[0:1], v[0:1], 1.0
	v_rcp_f64_e32 v[17:18], v[2:3]
	v_fma_f64 v[19:20], -v[2:3], v[17:18], 1.0
	v_fma_f64 v[17:18], v[17:18], v[19:20], v[17:18]
	v_fma_f64 v[19:20], -v[2:3], v[17:18], 1.0
	v_fma_f64 v[17:18], v[17:18], v[19:20], v[17:18]
	v_div_scale_f64 v[19:20], vcc_lo, 1.0, v[0:1], 1.0
	v_mul_f64 v[21:22], v[19:20], v[17:18]
	v_fma_f64 v[2:3], -v[2:3], v[21:22], v[19:20]
	v_div_fmas_f64 v[2:3], v[2:3], v[17:18], v[21:22]
	v_div_fixup_f64 v[2:3], v[2:3], v[0:1], 1.0
	v_mul_f64 v[0:1], v[15:16], v[2:3]
	v_xor_b32_e32 v3, 0x80000000, v3
.LBB120_1306:
	s_andn2_saveexec_b32 s16, s16
	s_cbranch_execz .LBB120_1308
; %bb.1307:
	v_div_scale_f64 v[15:16], null, v[0:1], v[0:1], v[2:3]
	v_div_scale_f64 v[21:22], vcc_lo, v[2:3], v[0:1], v[2:3]
	v_rcp_f64_e32 v[17:18], v[15:16]
	v_fma_f64 v[19:20], -v[15:16], v[17:18], 1.0
	v_fma_f64 v[17:18], v[17:18], v[19:20], v[17:18]
	v_fma_f64 v[19:20], -v[15:16], v[17:18], 1.0
	v_fma_f64 v[17:18], v[17:18], v[19:20], v[17:18]
	v_mul_f64 v[19:20], v[21:22], v[17:18]
	v_fma_f64 v[15:16], -v[15:16], v[19:20], v[21:22]
	v_div_fmas_f64 v[15:16], v[15:16], v[17:18], v[19:20]
	v_div_fixup_f64 v[15:16], v[15:16], v[0:1], v[2:3]
	v_fma_f64 v[0:1], v[2:3], v[15:16], v[0:1]
	v_div_scale_f64 v[2:3], null, v[0:1], v[0:1], 1.0
	v_rcp_f64_e32 v[17:18], v[2:3]
	v_fma_f64 v[19:20], -v[2:3], v[17:18], 1.0
	v_fma_f64 v[17:18], v[17:18], v[19:20], v[17:18]
	v_fma_f64 v[19:20], -v[2:3], v[17:18], 1.0
	v_fma_f64 v[17:18], v[17:18], v[19:20], v[17:18]
	v_div_scale_f64 v[19:20], vcc_lo, 1.0, v[0:1], 1.0
	v_mul_f64 v[21:22], v[19:20], v[17:18]
	v_fma_f64 v[2:3], -v[2:3], v[21:22], v[19:20]
	v_div_fmas_f64 v[2:3], v[2:3], v[17:18], v[21:22]
	v_div_fixup_f64 v[0:1], v[2:3], v[0:1], 1.0
	v_mul_f64 v[2:3], v[15:16], -v[0:1]
.LBB120_1308:
	s_or_b32 exec_lo, exec_lo, s16
.LBB120_1309:
	s_or_b32 exec_lo, exec_lo, s4
	s_mov_b32 s4, exec_lo
	v_cmpx_ne_u32_e64 v14, v9
	s_xor_b32 s4, exec_lo, s4
	s_cbranch_execz .LBB120_1315
; %bb.1310:
	s_mov_b32 s16, exec_lo
	v_cmpx_eq_u32_e32 56, v14
	s_cbranch_execz .LBB120_1314
; %bb.1311:
	v_cmp_ne_u32_e32 vcc_lo, 56, v9
	s_xor_b32 s17, s20, -1
	s_and_b32 s57, s17, vcc_lo
	s_and_saveexec_b32 s17, s57
	s_cbranch_execz .LBB120_1313
; %bb.1312:
	v_ashrrev_i32_e32 v10, 31, v9
	v_lshlrev_b64 v[14:15], 2, v[9:10]
	v_add_co_u32 v14, vcc_lo, v7, v14
	v_add_co_ci_u32_e64 v15, null, v8, v15, vcc_lo
	s_clause 0x1
	global_load_dword v4, v[14:15], off
	global_load_dword v10, v[7:8], off offset:224
	s_waitcnt vmcnt(1)
	global_store_dword v[7:8], v4, off offset:224
	s_waitcnt vmcnt(0)
	global_store_dword v[14:15], v10, off
.LBB120_1313:
	s_or_b32 exec_lo, exec_lo, s17
	v_mov_b32_e32 v14, v9
	v_mov_b32_e32 v10, v9
.LBB120_1314:
	s_or_b32 exec_lo, exec_lo, s16
.LBB120_1315:
	s_andn2_saveexec_b32 s4, s4
	s_cbranch_execz .LBB120_1317
; %bb.1316:
	v_mov_b32_e32 v4, s19
	v_mov_b32_e32 v14, s7
	;; [unrolled: 1-line block ×3, first 2 shown]
	s_clause 0x7
	buffer_load_dword v15, v4, s[0:3], 0 offen
	buffer_load_dword v16, v4, s[0:3], 0 offen offset:4
	buffer_load_dword v17, v4, s[0:3], 0 offen offset:8
	;; [unrolled: 1-line block ×3, first 2 shown]
	buffer_load_dword v19, v9, s[0:3], 0 offen
	buffer_load_dword v20, v9, s[0:3], 0 offen offset:4
	buffer_load_dword v21, v9, s[0:3], 0 offen offset:8
	buffer_load_dword v22, v9, s[0:3], 0 offen offset:12
	v_mov_b32_e32 v4, s5
	s_clause 0x7
	buffer_load_dword v23, v14, s[0:3], 0 offen
	buffer_load_dword v24, v14, s[0:3], 0 offen offset:4
	buffer_load_dword v25, v14, s[0:3], 0 offen offset:8
	;; [unrolled: 1-line block ×3, first 2 shown]
	buffer_load_dword v27, v4, s[0:3], 0 offen
	buffer_load_dword v28, v4, s[0:3], 0 offen offset:4
	buffer_load_dword v29, v4, s[0:3], 0 offen offset:8
	;; [unrolled: 1-line block ×3, first 2 shown]
	v_mov_b32_e32 v14, 56
	s_waitcnt vmcnt(12)
	ds_write2_b64 v11, v[15:16], v[17:18] offset0:114 offset1:115
	s_waitcnt vmcnt(8)
	ds_write2_b64 v11, v[19:20], v[21:22] offset0:116 offset1:117
	;; [unrolled: 2-line block ×4, first 2 shown]
.LBB120_1317:
	s_or_b32 exec_lo, exec_lo, s4
	s_mov_b32 s4, exec_lo
	s_waitcnt lgkmcnt(0)
	s_waitcnt_vscnt null, 0x0
	s_barrier
	buffer_gl0_inv
	v_cmpx_lt_i32_e32 56, v14
	s_cbranch_execz .LBB120_1319
; %bb.1318:
	s_clause 0x13
	buffer_load_dword v15, off, s[0:3], 0 offset:904
	buffer_load_dword v16, off, s[0:3], 0 offset:908
	;; [unrolled: 1-line block ×20, first 2 shown]
	s_waitcnt vmcnt(18)
	v_mul_f64 v[17:18], v[0:1], v[15:16]
	v_mul_f64 v[49:50], v[2:3], v[15:16]
	s_waitcnt vmcnt(16)
	v_fma_f64 v[2:3], v[2:3], v[31:32], v[17:18]
	ds_read2_b64 v[15:18], v11 offset0:114 offset1:115
	ds_read2_b64 v[19:22], v11 offset0:116 offset1:117
	;; [unrolled: 1-line block ×4, first 2 shown]
	v_fma_f64 v[0:1], v[0:1], v[31:32], -v[49:50]
	s_waitcnt lgkmcnt(3)
	v_mul_f64 v[31:32], v[17:18], v[2:3]
	v_mul_f64 v[49:50], v[15:16], v[2:3]
	s_waitcnt lgkmcnt(2)
	v_mul_f64 v[51:52], v[21:22], v[2:3]
	v_mul_f64 v[53:54], v[19:20], v[2:3]
	s_waitcnt lgkmcnt(1)
	v_mul_f64 v[55:56], v[25:26], v[2:3]
	v_mul_f64 v[57:58], v[23:24], v[2:3]
	s_waitcnt lgkmcnt(0)
	v_mul_f64 v[59:60], v[29:30], v[2:3]
	v_mul_f64 v[61:62], v[27:28], v[2:3]
	v_fma_f64 v[15:16], v[15:16], v[0:1], -v[31:32]
	v_fma_f64 v[17:18], v[17:18], v[0:1], v[49:50]
	v_fma_f64 v[19:20], v[19:20], v[0:1], -v[51:52]
	v_fma_f64 v[21:22], v[21:22], v[0:1], v[53:54]
	;; [unrolled: 2-line block ×4, first 2 shown]
	s_waitcnt vmcnt(14)
	v_add_f64 v[15:16], v[33:34], -v[15:16]
	s_waitcnt vmcnt(12)
	v_add_f64 v[17:18], v[35:36], -v[17:18]
	;; [unrolled: 2-line block ×8, first 2 shown]
	buffer_store_dword v0, off, s[0:3], 0 offset:896
	buffer_store_dword v1, off, s[0:3], 0 offset:900
	;; [unrolled: 1-line block ×20, first 2 shown]
.LBB120_1319:
	s_or_b32 exec_lo, exec_lo, s4
	v_mov_b32_e32 v3, s19
	s_waitcnt_vscnt null, 0x0
	s_barrier
	buffer_gl0_inv
	v_lshl_add_u32 v4, v14, 4, v11
	s_clause 0x3
	buffer_load_dword v0, v3, s[0:3], 0 offen
	buffer_load_dword v1, v3, s[0:3], 0 offen offset:4
	buffer_load_dword v2, v3, s[0:3], 0 offen offset:8
	;; [unrolled: 1-line block ×3, first 2 shown]
	v_mov_b32_e32 v9, 57
	s_cmp_lt_i32 s56, 59
	s_waitcnt vmcnt(0)
	ds_write2_b64 v4, v[0:1], v[2:3] offset1:1
	s_waitcnt lgkmcnt(0)
	s_barrier
	buffer_gl0_inv
	ds_read2_b64 v[0:3], v11 offset0:114 offset1:115
	s_cbranch_scc1 .LBB120_1322
; %bb.1320:
	v_add3_u32 v4, v13, 0, 0x3a0
	v_mov_b32_e32 v9, 57
	s_mov_b32 s16, 58
	s_inst_prefetch 0x1
	.p2align	6
.LBB120_1321:                           ; =>This Inner Loop Header: Depth=1
	s_waitcnt lgkmcnt(0)
	v_cmp_gt_f64_e32 vcc_lo, 0, v[2:3]
	v_cmp_gt_f64_e64 s4, 0, v[0:1]
	ds_read2_b64 v[15:18], v4 offset1:1
	v_xor_b32_e32 v20, 0x80000000, v1
	v_xor_b32_e32 v22, 0x80000000, v3
	v_mov_b32_e32 v19, v0
	v_mov_b32_e32 v21, v2
	v_add_nc_u32_e32 v4, 16, v4
	s_waitcnt lgkmcnt(0)
	v_xor_b32_e32 v24, 0x80000000, v18
	v_cndmask_b32_e64 v20, v1, v20, s4
	v_cndmask_b32_e32 v22, v3, v22, vcc_lo
	v_cmp_gt_f64_e32 vcc_lo, 0, v[17:18]
	v_cmp_gt_f64_e64 s4, 0, v[15:16]
	v_mov_b32_e32 v23, v17
	v_add_f64 v[19:20], v[19:20], v[21:22]
	v_xor_b32_e32 v22, 0x80000000, v16
	v_mov_b32_e32 v21, v15
	v_cndmask_b32_e32 v24, v18, v24, vcc_lo
	v_cndmask_b32_e64 v22, v16, v22, s4
	v_add_f64 v[21:22], v[21:22], v[23:24]
	v_cmp_lt_f64_e32 vcc_lo, v[19:20], v[21:22]
	v_cndmask_b32_e32 v1, v1, v16, vcc_lo
	v_cndmask_b32_e32 v0, v0, v15, vcc_lo
	;; [unrolled: 1-line block ×4, first 2 shown]
	v_cndmask_b32_e64 v9, v9, s16, vcc_lo
	s_add_i32 s16, s16, 1
	s_cmp_lg_u32 s56, s16
	s_cbranch_scc1 .LBB120_1321
.LBB120_1322:
	s_inst_prefetch 0x2
	s_waitcnt lgkmcnt(0)
	v_cmp_eq_f64_e32 vcc_lo, 0, v[0:1]
	v_cmp_eq_f64_e64 s4, 0, v[2:3]
	s_and_b32 s4, vcc_lo, s4
	s_and_saveexec_b32 s16, s4
	s_xor_b32 s4, exec_lo, s16
; %bb.1323:
	v_cmp_ne_u32_e32 vcc_lo, 0, v12
	v_cndmask_b32_e32 v12, 58, v12, vcc_lo
; %bb.1324:
	s_andn2_saveexec_b32 s4, s4
	s_cbranch_execz .LBB120_1330
; %bb.1325:
	v_cmp_ngt_f64_e64 s16, |v[0:1]|, |v[2:3]|
	s_and_saveexec_b32 s17, s16
	s_xor_b32 s16, exec_lo, s17
	s_cbranch_execz .LBB120_1327
; %bb.1326:
	v_div_scale_f64 v[15:16], null, v[2:3], v[2:3], v[0:1]
	v_div_scale_f64 v[21:22], vcc_lo, v[0:1], v[2:3], v[0:1]
	v_rcp_f64_e32 v[17:18], v[15:16]
	v_fma_f64 v[19:20], -v[15:16], v[17:18], 1.0
	v_fma_f64 v[17:18], v[17:18], v[19:20], v[17:18]
	v_fma_f64 v[19:20], -v[15:16], v[17:18], 1.0
	v_fma_f64 v[17:18], v[17:18], v[19:20], v[17:18]
	v_mul_f64 v[19:20], v[21:22], v[17:18]
	v_fma_f64 v[15:16], -v[15:16], v[19:20], v[21:22]
	v_div_fmas_f64 v[15:16], v[15:16], v[17:18], v[19:20]
	v_div_fixup_f64 v[15:16], v[15:16], v[2:3], v[0:1]
	v_fma_f64 v[0:1], v[0:1], v[15:16], v[2:3]
	v_div_scale_f64 v[2:3], null, v[0:1], v[0:1], 1.0
	v_rcp_f64_e32 v[17:18], v[2:3]
	v_fma_f64 v[19:20], -v[2:3], v[17:18], 1.0
	v_fma_f64 v[17:18], v[17:18], v[19:20], v[17:18]
	v_fma_f64 v[19:20], -v[2:3], v[17:18], 1.0
	v_fma_f64 v[17:18], v[17:18], v[19:20], v[17:18]
	v_div_scale_f64 v[19:20], vcc_lo, 1.0, v[0:1], 1.0
	v_mul_f64 v[21:22], v[19:20], v[17:18]
	v_fma_f64 v[2:3], -v[2:3], v[21:22], v[19:20]
	v_div_fmas_f64 v[2:3], v[2:3], v[17:18], v[21:22]
	v_div_fixup_f64 v[2:3], v[2:3], v[0:1], 1.0
	v_mul_f64 v[0:1], v[15:16], v[2:3]
	v_xor_b32_e32 v3, 0x80000000, v3
.LBB120_1327:
	s_andn2_saveexec_b32 s16, s16
	s_cbranch_execz .LBB120_1329
; %bb.1328:
	v_div_scale_f64 v[15:16], null, v[0:1], v[0:1], v[2:3]
	v_div_scale_f64 v[21:22], vcc_lo, v[2:3], v[0:1], v[2:3]
	v_rcp_f64_e32 v[17:18], v[15:16]
	v_fma_f64 v[19:20], -v[15:16], v[17:18], 1.0
	v_fma_f64 v[17:18], v[17:18], v[19:20], v[17:18]
	v_fma_f64 v[19:20], -v[15:16], v[17:18], 1.0
	v_fma_f64 v[17:18], v[17:18], v[19:20], v[17:18]
	v_mul_f64 v[19:20], v[21:22], v[17:18]
	v_fma_f64 v[15:16], -v[15:16], v[19:20], v[21:22]
	v_div_fmas_f64 v[15:16], v[15:16], v[17:18], v[19:20]
	v_div_fixup_f64 v[15:16], v[15:16], v[0:1], v[2:3]
	v_fma_f64 v[0:1], v[2:3], v[15:16], v[0:1]
	v_div_scale_f64 v[2:3], null, v[0:1], v[0:1], 1.0
	v_rcp_f64_e32 v[17:18], v[2:3]
	v_fma_f64 v[19:20], -v[2:3], v[17:18], 1.0
	v_fma_f64 v[17:18], v[17:18], v[19:20], v[17:18]
	v_fma_f64 v[19:20], -v[2:3], v[17:18], 1.0
	v_fma_f64 v[17:18], v[17:18], v[19:20], v[17:18]
	v_div_scale_f64 v[19:20], vcc_lo, 1.0, v[0:1], 1.0
	v_mul_f64 v[21:22], v[19:20], v[17:18]
	v_fma_f64 v[2:3], -v[2:3], v[21:22], v[19:20]
	v_div_fmas_f64 v[2:3], v[2:3], v[17:18], v[21:22]
	v_div_fixup_f64 v[0:1], v[2:3], v[0:1], 1.0
	v_mul_f64 v[2:3], v[15:16], -v[0:1]
.LBB120_1329:
	s_or_b32 exec_lo, exec_lo, s16
.LBB120_1330:
	s_or_b32 exec_lo, exec_lo, s4
	s_mov_b32 s4, exec_lo
	v_cmpx_ne_u32_e64 v14, v9
	s_xor_b32 s4, exec_lo, s4
	s_cbranch_execz .LBB120_1336
; %bb.1331:
	s_mov_b32 s16, exec_lo
	v_cmpx_eq_u32_e32 57, v14
	s_cbranch_execz .LBB120_1335
; %bb.1332:
	v_cmp_ne_u32_e32 vcc_lo, 57, v9
	s_xor_b32 s17, s20, -1
	s_and_b32 s57, s17, vcc_lo
	s_and_saveexec_b32 s17, s57
	s_cbranch_execz .LBB120_1334
; %bb.1333:
	v_ashrrev_i32_e32 v10, 31, v9
	v_lshlrev_b64 v[14:15], 2, v[9:10]
	v_add_co_u32 v14, vcc_lo, v7, v14
	v_add_co_ci_u32_e64 v15, null, v8, v15, vcc_lo
	s_clause 0x1
	global_load_dword v4, v[14:15], off
	global_load_dword v10, v[7:8], off offset:228
	s_waitcnt vmcnt(1)
	global_store_dword v[7:8], v4, off offset:228
	s_waitcnt vmcnt(0)
	global_store_dword v[14:15], v10, off
.LBB120_1334:
	s_or_b32 exec_lo, exec_lo, s17
	v_mov_b32_e32 v14, v9
	v_mov_b32_e32 v10, v9
.LBB120_1335:
	s_or_b32 exec_lo, exec_lo, s16
.LBB120_1336:
	s_andn2_saveexec_b32 s4, s4
	s_cbranch_execz .LBB120_1338
; %bb.1337:
	v_mov_b32_e32 v4, s18
	v_mov_b32_e32 v9, s7
	;; [unrolled: 1-line block ×3, first 2 shown]
	s_clause 0xb
	buffer_load_dword v15, v4, s[0:3], 0 offen
	buffer_load_dword v16, v4, s[0:3], 0 offen offset:4
	buffer_load_dword v17, v4, s[0:3], 0 offen offset:8
	buffer_load_dword v18, v4, s[0:3], 0 offen offset:12
	buffer_load_dword v19, v9, s[0:3], 0 offen
	buffer_load_dword v20, v9, s[0:3], 0 offen offset:4
	buffer_load_dword v21, v9, s[0:3], 0 offen offset:8
	buffer_load_dword v22, v9, s[0:3], 0 offen offset:12
	;; [unrolled: 4-line block ×3, first 2 shown]
	v_mov_b32_e32 v14, 57
	s_waitcnt vmcnt(8)
	ds_write2_b64 v11, v[15:16], v[17:18] offset0:116 offset1:117
	s_waitcnt vmcnt(4)
	ds_write2_b64 v11, v[19:20], v[21:22] offset0:118 offset1:119
	;; [unrolled: 2-line block ×3, first 2 shown]
.LBB120_1338:
	s_or_b32 exec_lo, exec_lo, s4
	s_mov_b32 s4, exec_lo
	s_waitcnt lgkmcnt(0)
	s_waitcnt_vscnt null, 0x0
	s_barrier
	buffer_gl0_inv
	v_cmpx_lt_i32_e32 57, v14
	s_cbranch_execz .LBB120_1340
; %bb.1339:
	s_clause 0xf
	buffer_load_dword v15, off, s[0:3], 0 offset:920
	buffer_load_dword v16, off, s[0:3], 0 offset:924
	;; [unrolled: 1-line block ×16, first 2 shown]
	s_waitcnt vmcnt(14)
	v_mul_f64 v[17:18], v[0:1], v[15:16]
	v_mul_f64 v[41:42], v[2:3], v[15:16]
	s_waitcnt vmcnt(12)
	v_fma_f64 v[2:3], v[2:3], v[27:28], v[17:18]
	ds_read2_b64 v[15:18], v11 offset0:116 offset1:117
	ds_read2_b64 v[19:22], v11 offset0:118 offset1:119
	;; [unrolled: 1-line block ×3, first 2 shown]
	v_fma_f64 v[0:1], v[0:1], v[27:28], -v[41:42]
	s_waitcnt lgkmcnt(2)
	v_mul_f64 v[27:28], v[17:18], v[2:3]
	v_mul_f64 v[41:42], v[15:16], v[2:3]
	s_waitcnt lgkmcnt(1)
	v_mul_f64 v[43:44], v[21:22], v[2:3]
	v_mul_f64 v[45:46], v[19:20], v[2:3]
	;; [unrolled: 3-line block ×3, first 2 shown]
	v_fma_f64 v[15:16], v[15:16], v[0:1], -v[27:28]
	v_fma_f64 v[17:18], v[17:18], v[0:1], v[41:42]
	v_fma_f64 v[19:20], v[19:20], v[0:1], -v[43:44]
	v_fma_f64 v[21:22], v[21:22], v[0:1], v[45:46]
	;; [unrolled: 2-line block ×3, first 2 shown]
	s_waitcnt vmcnt(10)
	v_add_f64 v[15:16], v[29:30], -v[15:16]
	s_waitcnt vmcnt(8)
	v_add_f64 v[17:18], v[31:32], -v[17:18]
	;; [unrolled: 2-line block ×6, first 2 shown]
	buffer_store_dword v0, off, s[0:3], 0 offset:912
	buffer_store_dword v1, off, s[0:3], 0 offset:916
	;; [unrolled: 1-line block ×16, first 2 shown]
.LBB120_1340:
	s_or_b32 exec_lo, exec_lo, s4
	v_mov_b32_e32 v3, s18
	s_waitcnt_vscnt null, 0x0
	s_barrier
	buffer_gl0_inv
	v_lshl_add_u32 v4, v14, 4, v11
	s_clause 0x3
	buffer_load_dword v0, v3, s[0:3], 0 offen
	buffer_load_dword v1, v3, s[0:3], 0 offen offset:4
	buffer_load_dword v2, v3, s[0:3], 0 offen offset:8
	;; [unrolled: 1-line block ×3, first 2 shown]
	v_mov_b32_e32 v9, 58
	s_cmp_lt_i32 s56, 60
	s_waitcnt vmcnt(0)
	ds_write2_b64 v4, v[0:1], v[2:3] offset1:1
	s_waitcnt lgkmcnt(0)
	s_barrier
	buffer_gl0_inv
	ds_read2_b64 v[0:3], v11 offset0:116 offset1:117
	s_cbranch_scc1 .LBB120_1343
; %bb.1341:
	v_add3_u32 v4, v13, 0, 0x3b0
	v_mov_b32_e32 v9, 58
	s_mov_b32 s16, 59
	s_inst_prefetch 0x1
	.p2align	6
.LBB120_1342:                           ; =>This Inner Loop Header: Depth=1
	s_waitcnt lgkmcnt(0)
	v_cmp_gt_f64_e32 vcc_lo, 0, v[2:3]
	v_cmp_gt_f64_e64 s4, 0, v[0:1]
	ds_read2_b64 v[15:18], v4 offset1:1
	v_xor_b32_e32 v20, 0x80000000, v1
	v_xor_b32_e32 v22, 0x80000000, v3
	v_mov_b32_e32 v19, v0
	v_mov_b32_e32 v21, v2
	v_add_nc_u32_e32 v4, 16, v4
	s_waitcnt lgkmcnt(0)
	v_xor_b32_e32 v24, 0x80000000, v18
	v_cndmask_b32_e64 v20, v1, v20, s4
	v_cndmask_b32_e32 v22, v3, v22, vcc_lo
	v_cmp_gt_f64_e32 vcc_lo, 0, v[17:18]
	v_cmp_gt_f64_e64 s4, 0, v[15:16]
	v_mov_b32_e32 v23, v17
	v_add_f64 v[19:20], v[19:20], v[21:22]
	v_xor_b32_e32 v22, 0x80000000, v16
	v_mov_b32_e32 v21, v15
	v_cndmask_b32_e32 v24, v18, v24, vcc_lo
	v_cndmask_b32_e64 v22, v16, v22, s4
	v_add_f64 v[21:22], v[21:22], v[23:24]
	v_cmp_lt_f64_e32 vcc_lo, v[19:20], v[21:22]
	v_cndmask_b32_e32 v1, v1, v16, vcc_lo
	v_cndmask_b32_e32 v0, v0, v15, vcc_lo
	;; [unrolled: 1-line block ×4, first 2 shown]
	v_cndmask_b32_e64 v9, v9, s16, vcc_lo
	s_add_i32 s16, s16, 1
	s_cmp_lg_u32 s56, s16
	s_cbranch_scc1 .LBB120_1342
.LBB120_1343:
	s_inst_prefetch 0x2
	s_waitcnt lgkmcnt(0)
	v_cmp_eq_f64_e32 vcc_lo, 0, v[0:1]
	v_cmp_eq_f64_e64 s4, 0, v[2:3]
	s_and_b32 s4, vcc_lo, s4
	s_and_saveexec_b32 s16, s4
	s_xor_b32 s4, exec_lo, s16
; %bb.1344:
	v_cmp_ne_u32_e32 vcc_lo, 0, v12
	v_cndmask_b32_e32 v12, 59, v12, vcc_lo
; %bb.1345:
	s_andn2_saveexec_b32 s4, s4
	s_cbranch_execz .LBB120_1351
; %bb.1346:
	v_cmp_ngt_f64_e64 s16, |v[0:1]|, |v[2:3]|
	s_and_saveexec_b32 s17, s16
	s_xor_b32 s16, exec_lo, s17
	s_cbranch_execz .LBB120_1348
; %bb.1347:
	v_div_scale_f64 v[15:16], null, v[2:3], v[2:3], v[0:1]
	v_div_scale_f64 v[21:22], vcc_lo, v[0:1], v[2:3], v[0:1]
	v_rcp_f64_e32 v[17:18], v[15:16]
	v_fma_f64 v[19:20], -v[15:16], v[17:18], 1.0
	v_fma_f64 v[17:18], v[17:18], v[19:20], v[17:18]
	v_fma_f64 v[19:20], -v[15:16], v[17:18], 1.0
	v_fma_f64 v[17:18], v[17:18], v[19:20], v[17:18]
	v_mul_f64 v[19:20], v[21:22], v[17:18]
	v_fma_f64 v[15:16], -v[15:16], v[19:20], v[21:22]
	v_div_fmas_f64 v[15:16], v[15:16], v[17:18], v[19:20]
	v_div_fixup_f64 v[15:16], v[15:16], v[2:3], v[0:1]
	v_fma_f64 v[0:1], v[0:1], v[15:16], v[2:3]
	v_div_scale_f64 v[2:3], null, v[0:1], v[0:1], 1.0
	v_rcp_f64_e32 v[17:18], v[2:3]
	v_fma_f64 v[19:20], -v[2:3], v[17:18], 1.0
	v_fma_f64 v[17:18], v[17:18], v[19:20], v[17:18]
	v_fma_f64 v[19:20], -v[2:3], v[17:18], 1.0
	v_fma_f64 v[17:18], v[17:18], v[19:20], v[17:18]
	v_div_scale_f64 v[19:20], vcc_lo, 1.0, v[0:1], 1.0
	v_mul_f64 v[21:22], v[19:20], v[17:18]
	v_fma_f64 v[2:3], -v[2:3], v[21:22], v[19:20]
	v_div_fmas_f64 v[2:3], v[2:3], v[17:18], v[21:22]
	v_div_fixup_f64 v[2:3], v[2:3], v[0:1], 1.0
	v_mul_f64 v[0:1], v[15:16], v[2:3]
	v_xor_b32_e32 v3, 0x80000000, v3
.LBB120_1348:
	s_andn2_saveexec_b32 s16, s16
	s_cbranch_execz .LBB120_1350
; %bb.1349:
	v_div_scale_f64 v[15:16], null, v[0:1], v[0:1], v[2:3]
	v_div_scale_f64 v[21:22], vcc_lo, v[2:3], v[0:1], v[2:3]
	v_rcp_f64_e32 v[17:18], v[15:16]
	v_fma_f64 v[19:20], -v[15:16], v[17:18], 1.0
	v_fma_f64 v[17:18], v[17:18], v[19:20], v[17:18]
	v_fma_f64 v[19:20], -v[15:16], v[17:18], 1.0
	v_fma_f64 v[17:18], v[17:18], v[19:20], v[17:18]
	v_mul_f64 v[19:20], v[21:22], v[17:18]
	v_fma_f64 v[15:16], -v[15:16], v[19:20], v[21:22]
	v_div_fmas_f64 v[15:16], v[15:16], v[17:18], v[19:20]
	v_div_fixup_f64 v[15:16], v[15:16], v[0:1], v[2:3]
	v_fma_f64 v[0:1], v[2:3], v[15:16], v[0:1]
	v_div_scale_f64 v[2:3], null, v[0:1], v[0:1], 1.0
	v_rcp_f64_e32 v[17:18], v[2:3]
	v_fma_f64 v[19:20], -v[2:3], v[17:18], 1.0
	v_fma_f64 v[17:18], v[17:18], v[19:20], v[17:18]
	v_fma_f64 v[19:20], -v[2:3], v[17:18], 1.0
	v_fma_f64 v[17:18], v[17:18], v[19:20], v[17:18]
	v_div_scale_f64 v[19:20], vcc_lo, 1.0, v[0:1], 1.0
	v_mul_f64 v[21:22], v[19:20], v[17:18]
	v_fma_f64 v[2:3], -v[2:3], v[21:22], v[19:20]
	v_div_fmas_f64 v[2:3], v[2:3], v[17:18], v[21:22]
	v_div_fixup_f64 v[0:1], v[2:3], v[0:1], 1.0
	v_mul_f64 v[2:3], v[15:16], -v[0:1]
.LBB120_1350:
	s_or_b32 exec_lo, exec_lo, s16
.LBB120_1351:
	s_or_b32 exec_lo, exec_lo, s4
	s_mov_b32 s4, exec_lo
	v_cmpx_ne_u32_e64 v14, v9
	s_xor_b32 s4, exec_lo, s4
	s_cbranch_execz .LBB120_1357
; %bb.1352:
	s_mov_b32 s16, exec_lo
	v_cmpx_eq_u32_e32 58, v14
	s_cbranch_execz .LBB120_1356
; %bb.1353:
	v_cmp_ne_u32_e32 vcc_lo, 58, v9
	s_xor_b32 s17, s20, -1
	s_and_b32 s57, s17, vcc_lo
	s_and_saveexec_b32 s17, s57
	s_cbranch_execz .LBB120_1355
; %bb.1354:
	v_ashrrev_i32_e32 v10, 31, v9
	v_lshlrev_b64 v[14:15], 2, v[9:10]
	v_add_co_u32 v14, vcc_lo, v7, v14
	v_add_co_ci_u32_e64 v15, null, v8, v15, vcc_lo
	s_clause 0x1
	global_load_dword v4, v[14:15], off
	global_load_dword v10, v[7:8], off offset:232
	s_waitcnt vmcnt(1)
	global_store_dword v[7:8], v4, off offset:232
	s_waitcnt vmcnt(0)
	global_store_dword v[14:15], v10, off
.LBB120_1355:
	s_or_b32 exec_lo, exec_lo, s17
	v_mov_b32_e32 v14, v9
	v_mov_b32_e32 v10, v9
.LBB120_1356:
	s_or_b32 exec_lo, exec_lo, s16
.LBB120_1357:
	s_andn2_saveexec_b32 s4, s4
	s_cbranch_execz .LBB120_1359
; %bb.1358:
	v_mov_b32_e32 v4, s7
	v_mov_b32_e32 v9, s5
	;; [unrolled: 1-line block ×3, first 2 shown]
	s_clause 0x7
	buffer_load_dword v15, v4, s[0:3], 0 offen
	buffer_load_dword v16, v4, s[0:3], 0 offen offset:4
	buffer_load_dword v17, v4, s[0:3], 0 offen offset:8
	;; [unrolled: 1-line block ×3, first 2 shown]
	buffer_load_dword v19, v9, s[0:3], 0 offen
	buffer_load_dword v20, v9, s[0:3], 0 offen offset:4
	buffer_load_dword v21, v9, s[0:3], 0 offen offset:8
	;; [unrolled: 1-line block ×3, first 2 shown]
	s_waitcnt vmcnt(4)
	ds_write2_b64 v11, v[15:16], v[17:18] offset0:118 offset1:119
	s_waitcnt vmcnt(0)
	ds_write2_b64 v11, v[19:20], v[21:22] offset0:120 offset1:121
.LBB120_1359:
	s_or_b32 exec_lo, exec_lo, s4
	s_mov_b32 s4, exec_lo
	s_waitcnt lgkmcnt(0)
	s_waitcnt_vscnt null, 0x0
	s_barrier
	buffer_gl0_inv
	v_cmpx_lt_i32_e32 58, v14
	s_cbranch_execz .LBB120_1361
; %bb.1360:
	s_clause 0xb
	buffer_load_dword v15, off, s[0:3], 0 offset:936
	buffer_load_dword v16, off, s[0:3], 0 offset:940
	;; [unrolled: 1-line block ×12, first 2 shown]
	s_waitcnt vmcnt(10)
	v_mul_f64 v[17:18], v[0:1], v[15:16]
	v_mul_f64 v[33:34], v[2:3], v[15:16]
	s_waitcnt vmcnt(8)
	v_fma_f64 v[2:3], v[2:3], v[23:24], v[17:18]
	ds_read2_b64 v[15:18], v11 offset0:118 offset1:119
	ds_read2_b64 v[19:22], v11 offset0:120 offset1:121
	v_fma_f64 v[0:1], v[0:1], v[23:24], -v[33:34]
	s_waitcnt lgkmcnt(1)
	v_mul_f64 v[23:24], v[17:18], v[2:3]
	v_mul_f64 v[33:34], v[15:16], v[2:3]
	s_waitcnt lgkmcnt(0)
	v_mul_f64 v[35:36], v[21:22], v[2:3]
	v_mul_f64 v[37:38], v[19:20], v[2:3]
	v_fma_f64 v[15:16], v[15:16], v[0:1], -v[23:24]
	v_fma_f64 v[17:18], v[17:18], v[0:1], v[33:34]
	v_fma_f64 v[19:20], v[19:20], v[0:1], -v[35:36]
	v_fma_f64 v[21:22], v[21:22], v[0:1], v[37:38]
	s_waitcnt vmcnt(6)
	v_add_f64 v[15:16], v[25:26], -v[15:16]
	s_waitcnt vmcnt(4)
	v_add_f64 v[17:18], v[27:28], -v[17:18]
	s_waitcnt vmcnt(2)
	v_add_f64 v[19:20], v[29:30], -v[19:20]
	s_waitcnt vmcnt(0)
	v_add_f64 v[21:22], v[31:32], -v[21:22]
	buffer_store_dword v0, off, s[0:3], 0 offset:928
	buffer_store_dword v1, off, s[0:3], 0 offset:932
	;; [unrolled: 1-line block ×12, first 2 shown]
.LBB120_1361:
	s_or_b32 exec_lo, exec_lo, s4
	v_mov_b32_e32 v3, s7
	s_waitcnt_vscnt null, 0x0
	s_barrier
	buffer_gl0_inv
	v_lshl_add_u32 v4, v14, 4, v11
	s_clause 0x3
	buffer_load_dword v0, v3, s[0:3], 0 offen
	buffer_load_dword v1, v3, s[0:3], 0 offen offset:4
	buffer_load_dword v2, v3, s[0:3], 0 offen offset:8
	;; [unrolled: 1-line block ×3, first 2 shown]
	v_mov_b32_e32 v9, 59
	s_cmp_lt_i32 s56, 61
	s_waitcnt vmcnt(0)
	ds_write2_b64 v4, v[0:1], v[2:3] offset1:1
	s_waitcnt lgkmcnt(0)
	s_barrier
	buffer_gl0_inv
	ds_read2_b64 v[0:3], v11 offset0:118 offset1:119
	s_cbranch_scc1 .LBB120_1364
; %bb.1362:
	v_add3_u32 v4, v13, 0, 0x3c0
	v_mov_b32_e32 v9, 59
	s_mov_b32 s16, 60
	s_inst_prefetch 0x1
	.p2align	6
.LBB120_1363:                           ; =>This Inner Loop Header: Depth=1
	s_waitcnt lgkmcnt(0)
	v_cmp_gt_f64_e32 vcc_lo, 0, v[2:3]
	v_cmp_gt_f64_e64 s4, 0, v[0:1]
	ds_read2_b64 v[15:18], v4 offset1:1
	v_xor_b32_e32 v20, 0x80000000, v1
	v_xor_b32_e32 v22, 0x80000000, v3
	v_mov_b32_e32 v19, v0
	v_mov_b32_e32 v21, v2
	v_add_nc_u32_e32 v4, 16, v4
	s_waitcnt lgkmcnt(0)
	v_xor_b32_e32 v24, 0x80000000, v18
	v_cndmask_b32_e64 v20, v1, v20, s4
	v_cndmask_b32_e32 v22, v3, v22, vcc_lo
	v_cmp_gt_f64_e32 vcc_lo, 0, v[17:18]
	v_cmp_gt_f64_e64 s4, 0, v[15:16]
	v_mov_b32_e32 v23, v17
	v_add_f64 v[19:20], v[19:20], v[21:22]
	v_xor_b32_e32 v22, 0x80000000, v16
	v_mov_b32_e32 v21, v15
	v_cndmask_b32_e32 v24, v18, v24, vcc_lo
	v_cndmask_b32_e64 v22, v16, v22, s4
	v_add_f64 v[21:22], v[21:22], v[23:24]
	v_cmp_lt_f64_e32 vcc_lo, v[19:20], v[21:22]
	v_cndmask_b32_e32 v1, v1, v16, vcc_lo
	v_cndmask_b32_e32 v0, v0, v15, vcc_lo
	;; [unrolled: 1-line block ×4, first 2 shown]
	v_cndmask_b32_e64 v9, v9, s16, vcc_lo
	s_add_i32 s16, s16, 1
	s_cmp_lg_u32 s56, s16
	s_cbranch_scc1 .LBB120_1363
.LBB120_1364:
	s_inst_prefetch 0x2
	s_waitcnt lgkmcnt(0)
	v_cmp_eq_f64_e32 vcc_lo, 0, v[0:1]
	v_cmp_eq_f64_e64 s4, 0, v[2:3]
	s_and_b32 s4, vcc_lo, s4
	s_and_saveexec_b32 s16, s4
	s_xor_b32 s4, exec_lo, s16
; %bb.1365:
	v_cmp_ne_u32_e32 vcc_lo, 0, v12
	v_cndmask_b32_e32 v12, 60, v12, vcc_lo
; %bb.1366:
	s_andn2_saveexec_b32 s4, s4
	s_cbranch_execz .LBB120_1372
; %bb.1367:
	v_cmp_ngt_f64_e64 s16, |v[0:1]|, |v[2:3]|
	s_and_saveexec_b32 s17, s16
	s_xor_b32 s16, exec_lo, s17
	s_cbranch_execz .LBB120_1369
; %bb.1368:
	v_div_scale_f64 v[15:16], null, v[2:3], v[2:3], v[0:1]
	v_div_scale_f64 v[21:22], vcc_lo, v[0:1], v[2:3], v[0:1]
	v_rcp_f64_e32 v[17:18], v[15:16]
	v_fma_f64 v[19:20], -v[15:16], v[17:18], 1.0
	v_fma_f64 v[17:18], v[17:18], v[19:20], v[17:18]
	v_fma_f64 v[19:20], -v[15:16], v[17:18], 1.0
	v_fma_f64 v[17:18], v[17:18], v[19:20], v[17:18]
	v_mul_f64 v[19:20], v[21:22], v[17:18]
	v_fma_f64 v[15:16], -v[15:16], v[19:20], v[21:22]
	v_div_fmas_f64 v[15:16], v[15:16], v[17:18], v[19:20]
	v_div_fixup_f64 v[15:16], v[15:16], v[2:3], v[0:1]
	v_fma_f64 v[0:1], v[0:1], v[15:16], v[2:3]
	v_div_scale_f64 v[2:3], null, v[0:1], v[0:1], 1.0
	v_rcp_f64_e32 v[17:18], v[2:3]
	v_fma_f64 v[19:20], -v[2:3], v[17:18], 1.0
	v_fma_f64 v[17:18], v[17:18], v[19:20], v[17:18]
	v_fma_f64 v[19:20], -v[2:3], v[17:18], 1.0
	v_fma_f64 v[17:18], v[17:18], v[19:20], v[17:18]
	v_div_scale_f64 v[19:20], vcc_lo, 1.0, v[0:1], 1.0
	v_mul_f64 v[21:22], v[19:20], v[17:18]
	v_fma_f64 v[2:3], -v[2:3], v[21:22], v[19:20]
	v_div_fmas_f64 v[2:3], v[2:3], v[17:18], v[21:22]
	v_div_fixup_f64 v[2:3], v[2:3], v[0:1], 1.0
	v_mul_f64 v[0:1], v[15:16], v[2:3]
	v_xor_b32_e32 v3, 0x80000000, v3
.LBB120_1369:
	s_andn2_saveexec_b32 s16, s16
	s_cbranch_execz .LBB120_1371
; %bb.1370:
	v_div_scale_f64 v[15:16], null, v[0:1], v[0:1], v[2:3]
	v_div_scale_f64 v[21:22], vcc_lo, v[2:3], v[0:1], v[2:3]
	v_rcp_f64_e32 v[17:18], v[15:16]
	v_fma_f64 v[19:20], -v[15:16], v[17:18], 1.0
	v_fma_f64 v[17:18], v[17:18], v[19:20], v[17:18]
	v_fma_f64 v[19:20], -v[15:16], v[17:18], 1.0
	v_fma_f64 v[17:18], v[17:18], v[19:20], v[17:18]
	v_mul_f64 v[19:20], v[21:22], v[17:18]
	v_fma_f64 v[15:16], -v[15:16], v[19:20], v[21:22]
	v_div_fmas_f64 v[15:16], v[15:16], v[17:18], v[19:20]
	v_div_fixup_f64 v[15:16], v[15:16], v[0:1], v[2:3]
	v_fma_f64 v[0:1], v[2:3], v[15:16], v[0:1]
	v_div_scale_f64 v[2:3], null, v[0:1], v[0:1], 1.0
	v_rcp_f64_e32 v[17:18], v[2:3]
	v_fma_f64 v[19:20], -v[2:3], v[17:18], 1.0
	v_fma_f64 v[17:18], v[17:18], v[19:20], v[17:18]
	v_fma_f64 v[19:20], -v[2:3], v[17:18], 1.0
	v_fma_f64 v[17:18], v[17:18], v[19:20], v[17:18]
	v_div_scale_f64 v[19:20], vcc_lo, 1.0, v[0:1], 1.0
	v_mul_f64 v[21:22], v[19:20], v[17:18]
	v_fma_f64 v[2:3], -v[2:3], v[21:22], v[19:20]
	v_div_fmas_f64 v[2:3], v[2:3], v[17:18], v[21:22]
	v_div_fixup_f64 v[0:1], v[2:3], v[0:1], 1.0
	v_mul_f64 v[2:3], v[15:16], -v[0:1]
.LBB120_1371:
	s_or_b32 exec_lo, exec_lo, s16
.LBB120_1372:
	s_or_b32 exec_lo, exec_lo, s4
	s_mov_b32 s4, exec_lo
	v_cmpx_ne_u32_e64 v14, v9
	s_xor_b32 s4, exec_lo, s4
	s_cbranch_execz .LBB120_1378
; %bb.1373:
	s_mov_b32 s16, exec_lo
	v_cmpx_eq_u32_e32 59, v14
	s_cbranch_execz .LBB120_1377
; %bb.1374:
	v_cmp_ne_u32_e32 vcc_lo, 59, v9
	s_xor_b32 s17, s20, -1
	s_and_b32 s57, s17, vcc_lo
	s_and_saveexec_b32 s17, s57
	s_cbranch_execz .LBB120_1376
; %bb.1375:
	v_ashrrev_i32_e32 v10, 31, v9
	v_lshlrev_b64 v[14:15], 2, v[9:10]
	v_add_co_u32 v14, vcc_lo, v7, v14
	v_add_co_ci_u32_e64 v15, null, v8, v15, vcc_lo
	s_clause 0x1
	global_load_dword v4, v[14:15], off
	global_load_dword v10, v[7:8], off offset:236
	s_waitcnt vmcnt(1)
	global_store_dword v[7:8], v4, off offset:236
	s_waitcnt vmcnt(0)
	global_store_dword v[14:15], v10, off
.LBB120_1376:
	s_or_b32 exec_lo, exec_lo, s17
	v_mov_b32_e32 v14, v9
	v_mov_b32_e32 v10, v9
.LBB120_1377:
	s_or_b32 exec_lo, exec_lo, s16
.LBB120_1378:
	s_andn2_saveexec_b32 s4, s4
	s_cbranch_execz .LBB120_1380
; %bb.1379:
	v_mov_b32_e32 v4, s5
	v_mov_b32_e32 v14, 59
	s_clause 0x3
	buffer_load_dword v15, v4, s[0:3], 0 offen
	buffer_load_dword v16, v4, s[0:3], 0 offen offset:4
	buffer_load_dword v17, v4, s[0:3], 0 offen offset:8
	;; [unrolled: 1-line block ×3, first 2 shown]
	s_waitcnt vmcnt(0)
	ds_write2_b64 v11, v[15:16], v[17:18] offset0:120 offset1:121
.LBB120_1380:
	s_or_b32 exec_lo, exec_lo, s4
	s_mov_b32 s4, exec_lo
	s_waitcnt lgkmcnt(0)
	s_waitcnt_vscnt null, 0x0
	s_barrier
	buffer_gl0_inv
	v_cmpx_lt_i32_e32 59, v14
	s_cbranch_execz .LBB120_1382
; %bb.1381:
	s_clause 0x7
	buffer_load_dword v15, off, s[0:3], 0 offset:952
	buffer_load_dword v16, off, s[0:3], 0 offset:956
	;; [unrolled: 1-line block ×8, first 2 shown]
	s_waitcnt vmcnt(6)
	v_mul_f64 v[17:18], v[0:1], v[15:16]
	v_mul_f64 v[25:26], v[2:3], v[15:16]
	s_waitcnt vmcnt(4)
	v_fma_f64 v[2:3], v[2:3], v[19:20], v[17:18]
	ds_read2_b64 v[15:18], v11 offset0:120 offset1:121
	v_fma_f64 v[0:1], v[0:1], v[19:20], -v[25:26]
	s_waitcnt lgkmcnt(0)
	v_mul_f64 v[19:20], v[17:18], v[2:3]
	v_mul_f64 v[25:26], v[15:16], v[2:3]
	v_fma_f64 v[15:16], v[15:16], v[0:1], -v[19:20]
	v_fma_f64 v[17:18], v[17:18], v[0:1], v[25:26]
	s_waitcnt vmcnt(2)
	v_add_f64 v[15:16], v[21:22], -v[15:16]
	s_waitcnt vmcnt(0)
	v_add_f64 v[17:18], v[23:24], -v[17:18]
	buffer_store_dword v0, off, s[0:3], 0 offset:944
	buffer_store_dword v1, off, s[0:3], 0 offset:948
	;; [unrolled: 1-line block ×8, first 2 shown]
.LBB120_1382:
	s_or_b32 exec_lo, exec_lo, s4
	v_mov_b32_e32 v3, s5
	s_waitcnt_vscnt null, 0x0
	s_barrier
	buffer_gl0_inv
	v_lshl_add_u32 v4, v14, 4, v11
	s_clause 0x3
	buffer_load_dword v0, v3, s[0:3], 0 offen
	buffer_load_dword v1, v3, s[0:3], 0 offen offset:4
	buffer_load_dword v2, v3, s[0:3], 0 offen offset:8
	;; [unrolled: 1-line block ×3, first 2 shown]
	v_mov_b32_e32 v9, 60
	s_cmp_lt_i32 s56, 62
	s_waitcnt vmcnt(0)
	ds_write2_b64 v4, v[0:1], v[2:3] offset1:1
	s_waitcnt lgkmcnt(0)
	s_barrier
	buffer_gl0_inv
	ds_read2_b64 v[0:3], v11 offset0:120 offset1:121
	s_cbranch_scc1 .LBB120_1385
; %bb.1383:
	v_add3_u32 v4, v13, 0, 0x3d0
	v_mov_b32_e32 v9, 60
	s_mov_b32 s16, 61
	s_inst_prefetch 0x1
	.p2align	6
.LBB120_1384:                           ; =>This Inner Loop Header: Depth=1
	s_waitcnt lgkmcnt(0)
	v_cmp_gt_f64_e32 vcc_lo, 0, v[2:3]
	v_cmp_gt_f64_e64 s4, 0, v[0:1]
	ds_read2_b64 v[15:18], v4 offset1:1
	v_xor_b32_e32 v11, 0x80000000, v1
	v_xor_b32_e32 v13, 0x80000000, v3
	v_mov_b32_e32 v19, v0
	v_mov_b32_e32 v21, v2
	v_add_nc_u32_e32 v4, 16, v4
	s_waitcnt lgkmcnt(0)
	v_mov_b32_e32 v23, v17
	v_cndmask_b32_e64 v20, v1, v11, s4
	v_cndmask_b32_e32 v22, v3, v13, vcc_lo
	v_cmp_gt_f64_e32 vcc_lo, 0, v[17:18]
	v_cmp_gt_f64_e64 s4, 0, v[15:16]
	v_xor_b32_e32 v11, 0x80000000, v16
	v_xor_b32_e32 v13, 0x80000000, v18
	v_add_f64 v[19:20], v[19:20], v[21:22]
	v_mov_b32_e32 v21, v15
	v_cndmask_b32_e32 v24, v18, v13, vcc_lo
	v_cndmask_b32_e64 v22, v16, v11, s4
	v_add_f64 v[21:22], v[21:22], v[23:24]
	v_cmp_lt_f64_e32 vcc_lo, v[19:20], v[21:22]
	v_cndmask_b32_e32 v1, v1, v16, vcc_lo
	v_cndmask_b32_e32 v0, v0, v15, vcc_lo
	;; [unrolled: 1-line block ×4, first 2 shown]
	v_cndmask_b32_e64 v9, v9, s16, vcc_lo
	s_add_i32 s16, s16, 1
	s_cmp_lg_u32 s56, s16
	s_cbranch_scc1 .LBB120_1384
.LBB120_1385:
	s_inst_prefetch 0x2
	s_waitcnt lgkmcnt(0)
	v_cmp_eq_f64_e32 vcc_lo, 0, v[0:1]
	v_cmp_eq_f64_e64 s4, 0, v[2:3]
	s_and_b32 s4, vcc_lo, s4
	s_and_saveexec_b32 s16, s4
	s_xor_b32 s4, exec_lo, s16
; %bb.1386:
	v_cmp_ne_u32_e32 vcc_lo, 0, v12
	v_cndmask_b32_e32 v12, 61, v12, vcc_lo
; %bb.1387:
	s_andn2_saveexec_b32 s4, s4
	s_cbranch_execz .LBB120_1393
; %bb.1388:
	v_cmp_ngt_f64_e64 s16, |v[0:1]|, |v[2:3]|
	s_and_saveexec_b32 s17, s16
	s_xor_b32 s16, exec_lo, s17
	s_cbranch_execz .LBB120_1390
; %bb.1389:
	v_div_scale_f64 v[15:16], null, v[2:3], v[2:3], v[0:1]
	v_div_scale_f64 v[21:22], vcc_lo, v[0:1], v[2:3], v[0:1]
	v_rcp_f64_e32 v[17:18], v[15:16]
	v_fma_f64 v[19:20], -v[15:16], v[17:18], 1.0
	v_fma_f64 v[17:18], v[17:18], v[19:20], v[17:18]
	v_fma_f64 v[19:20], -v[15:16], v[17:18], 1.0
	v_fma_f64 v[17:18], v[17:18], v[19:20], v[17:18]
	v_mul_f64 v[19:20], v[21:22], v[17:18]
	v_fma_f64 v[15:16], -v[15:16], v[19:20], v[21:22]
	v_div_fmas_f64 v[15:16], v[15:16], v[17:18], v[19:20]
	v_div_fixup_f64 v[15:16], v[15:16], v[2:3], v[0:1]
	v_fma_f64 v[0:1], v[0:1], v[15:16], v[2:3]
	v_div_scale_f64 v[2:3], null, v[0:1], v[0:1], 1.0
	v_rcp_f64_e32 v[17:18], v[2:3]
	v_fma_f64 v[19:20], -v[2:3], v[17:18], 1.0
	v_fma_f64 v[17:18], v[17:18], v[19:20], v[17:18]
	v_fma_f64 v[19:20], -v[2:3], v[17:18], 1.0
	v_fma_f64 v[17:18], v[17:18], v[19:20], v[17:18]
	v_div_scale_f64 v[19:20], vcc_lo, 1.0, v[0:1], 1.0
	v_mul_f64 v[21:22], v[19:20], v[17:18]
	v_fma_f64 v[2:3], -v[2:3], v[21:22], v[19:20]
	v_div_fmas_f64 v[2:3], v[2:3], v[17:18], v[21:22]
	v_div_fixup_f64 v[2:3], v[2:3], v[0:1], 1.0
	v_mul_f64 v[0:1], v[15:16], v[2:3]
	v_xor_b32_e32 v3, 0x80000000, v3
.LBB120_1390:
	s_andn2_saveexec_b32 s16, s16
	s_cbranch_execz .LBB120_1392
; %bb.1391:
	v_div_scale_f64 v[15:16], null, v[0:1], v[0:1], v[2:3]
	v_div_scale_f64 v[21:22], vcc_lo, v[2:3], v[0:1], v[2:3]
	v_rcp_f64_e32 v[17:18], v[15:16]
	v_fma_f64 v[19:20], -v[15:16], v[17:18], 1.0
	v_fma_f64 v[17:18], v[17:18], v[19:20], v[17:18]
	v_fma_f64 v[19:20], -v[15:16], v[17:18], 1.0
	v_fma_f64 v[17:18], v[17:18], v[19:20], v[17:18]
	v_mul_f64 v[19:20], v[21:22], v[17:18]
	v_fma_f64 v[15:16], -v[15:16], v[19:20], v[21:22]
	v_div_fmas_f64 v[15:16], v[15:16], v[17:18], v[19:20]
	v_div_fixup_f64 v[15:16], v[15:16], v[0:1], v[2:3]
	v_fma_f64 v[0:1], v[2:3], v[15:16], v[0:1]
	v_div_scale_f64 v[2:3], null, v[0:1], v[0:1], 1.0
	v_rcp_f64_e32 v[17:18], v[2:3]
	v_fma_f64 v[19:20], -v[2:3], v[17:18], 1.0
	v_fma_f64 v[17:18], v[17:18], v[19:20], v[17:18]
	v_fma_f64 v[19:20], -v[2:3], v[17:18], 1.0
	v_fma_f64 v[17:18], v[17:18], v[19:20], v[17:18]
	v_div_scale_f64 v[19:20], vcc_lo, 1.0, v[0:1], 1.0
	v_mul_f64 v[21:22], v[19:20], v[17:18]
	v_fma_f64 v[2:3], -v[2:3], v[21:22], v[19:20]
	v_div_fmas_f64 v[2:3], v[2:3], v[17:18], v[21:22]
	v_div_fixup_f64 v[0:1], v[2:3], v[0:1], 1.0
	v_mul_f64 v[2:3], v[15:16], -v[0:1]
.LBB120_1392:
	s_or_b32 exec_lo, exec_lo, s16
.LBB120_1393:
	s_or_b32 exec_lo, exec_lo, s4
	v_mov_b32_e32 v32, 60
	s_mov_b32 s4, exec_lo
	v_cmpx_ne_u32_e64 v14, v9
	s_cbranch_execz .LBB120_1399
; %bb.1394:
	s_mov_b32 s16, exec_lo
	v_cmpx_eq_u32_e32 60, v14
	s_cbranch_execz .LBB120_1398
; %bb.1395:
	v_cmp_ne_u32_e32 vcc_lo, 60, v9
	s_xor_b32 s17, s20, -1
	s_and_b32 s20, s17, vcc_lo
	s_and_saveexec_b32 s17, s20
	s_cbranch_execz .LBB120_1397
; %bb.1396:
	v_ashrrev_i32_e32 v10, 31, v9
	v_lshlrev_b64 v[10:11], 2, v[9:10]
	v_add_co_u32 v10, vcc_lo, v7, v10
	v_add_co_ci_u32_e64 v11, null, v8, v11, vcc_lo
	s_clause 0x1
	global_load_dword v4, v[10:11], off
	global_load_dword v13, v[7:8], off offset:240
	s_waitcnt vmcnt(1)
	global_store_dword v[7:8], v4, off offset:240
	s_waitcnt vmcnt(0)
	global_store_dword v[10:11], v13, off
.LBB120_1397:
	s_or_b32 exec_lo, exec_lo, s17
	v_mov_b32_e32 v14, v9
	v_mov_b32_e32 v10, v9
.LBB120_1398:
	s_or_b32 exec_lo, exec_lo, s16
	v_mov_b32_e32 v32, v14
.LBB120_1399:
	s_or_b32 exec_lo, exec_lo, s4
	s_mov_b32 s4, exec_lo
	s_waitcnt_vscnt null, 0x0
	s_barrier
	buffer_gl0_inv
	v_cmpx_lt_i32_e32 60, v32
	s_cbranch_execz .LBB120_1401
; %bb.1400:
	s_clause 0x3
	buffer_load_dword v7, off, s[0:3], 0 offset:968
	buffer_load_dword v8, off, s[0:3], 0 offset:972
	buffer_load_dword v13, off, s[0:3], 0 offset:960
	buffer_load_dword v14, off, s[0:3], 0 offset:964
	s_waitcnt vmcnt(2)
	v_mul_f64 v[15:16], v[2:3], v[7:8]
	v_mul_f64 v[7:8], v[0:1], v[7:8]
	s_waitcnt vmcnt(0)
	v_fma_f64 v[0:1], v[0:1], v[13:14], -v[15:16]
	v_fma_f64 v[2:3], v[2:3], v[13:14], v[7:8]
	buffer_store_dword v0, off, s[0:3], 0 offset:960
	buffer_store_dword v1, off, s[0:3], 0 offset:964
	buffer_store_dword v2, off, s[0:3], 0 offset:968
	buffer_store_dword v3, off, s[0:3], 0 offset:972
.LBB120_1401:
	s_or_b32 exec_lo, exec_lo, s4
	v_ashrrev_i32_e32 v33, 31, v32
	s_mov_b32 s4, exec_lo
	s_waitcnt_vscnt null, 0x0
	s_barrier
	buffer_gl0_inv
	v_cmpx_gt_i32_e32 61, v32
	s_cbranch_execz .LBB120_1403
; %bb.1402:
	v_mul_lo_u32 v2, s15, v5
	v_mul_lo_u32 v3, s14, v6
	v_mad_u64_u32 v[0:1], null, s14, v5, 0
	s_lshl_b64 s[12:13], s[12:13], 2
	v_add3_u32 v1, v1, v3, v2
	v_lshlrev_b64 v[0:1], 2, v[0:1]
	v_add_co_u32 v2, vcc_lo, s10, v0
	v_add_co_ci_u32_e64 v3, null, s11, v1, vcc_lo
	v_lshlrev_b64 v[0:1], 2, v[32:33]
	v_add_co_u32 v2, vcc_lo, v2, s12
	v_add_co_ci_u32_e64 v3, null, s13, v3, vcc_lo
	v_add_co_u32 v0, vcc_lo, v2, v0
	v_add_co_ci_u32_e64 v1, null, v3, v1, vcc_lo
	v_add3_u32 v2, v10, s21, 1
	global_store_dword v[0:1], v2, off
.LBB120_1403:
	s_or_b32 exec_lo, exec_lo, s4
	s_mov_b32 s10, exec_lo
	v_cmpx_eq_u32_e32 0, v32
	s_cbranch_execz .LBB120_1406
; %bb.1404:
	v_lshlrev_b64 v[0:1], 2, v[5:6]
	v_readlane_b32 s12, v162, 4
	v_readlane_b32 s13, v162, 5
	v_cmp_ne_u32_e64 s4, 0, v12
	v_add_co_u32 v0, vcc_lo, s12, v0
	v_add_co_ci_u32_e64 v1, null, s13, v1, vcc_lo
	global_load_dword v2, v[0:1], off
	s_waitcnt vmcnt(0)
	v_cmp_eq_u32_e32 vcc_lo, 0, v2
	s_and_b32 s4, vcc_lo, s4
	s_and_b32 exec_lo, exec_lo, s4
	s_cbranch_execz .LBB120_1406
; %bb.1405:
	v_add_nc_u32_e32 v2, s21, v12
	global_store_dword v[0:1], v2, off
.LBB120_1406:
	s_or_b32 exec_lo, exec_lo, s10
	s_clause 0x3
	buffer_load_dword v0, off, s[0:3], 0
	buffer_load_dword v1, off, s[0:3], 0 offset:4
	buffer_load_dword v2, off, s[0:3], 0 offset:8
	;; [unrolled: 1-line block ×3, first 2 shown]
	v_mov_b32_e32 v7, s81
	v_mov_b32_e32 v11, s79
	;; [unrolled: 1-line block ×4, first 2 shown]
	s_clause 0xf
	buffer_load_dword v4, v7, s[0:3], 0 offen
	buffer_load_dword v5, v7, s[0:3], 0 offen offset:4
	buffer_load_dword v6, v7, s[0:3], 0 offen offset:8
	buffer_load_dword v7, v7, s[0:3], 0 offen offset:12
	buffer_load_dword v8, v11, s[0:3], 0 offen
	buffer_load_dword v9, v11, s[0:3], 0 offen offset:4
	buffer_load_dword v10, v11, s[0:3], 0 offen offset:8
	buffer_load_dword v11, v11, s[0:3], 0 offen offset:12
	buffer_load_dword v12, v15, s[0:3], 0 offen
	buffer_load_dword v13, v15, s[0:3], 0 offen offset:4
	buffer_load_dword v14, v15, s[0:3], 0 offen offset:8
	buffer_load_dword v15, v15, s[0:3], 0 offen offset:12
	buffer_load_dword v16, v19, s[0:3], 0 offen
	buffer_load_dword v17, v19, s[0:3], 0 offen offset:4
	buffer_load_dword v18, v19, s[0:3], 0 offen offset:8
	buffer_load_dword v19, v19, s[0:3], 0 offen offset:12
	v_mov_b32_e32 v23, s76
	s_clause 0x3
	buffer_load_dword v20, v23, s[0:3], 0 offen
	buffer_load_dword v21, v23, s[0:3], 0 offen offset:4
	buffer_load_dword v22, v23, s[0:3], 0 offen offset:8
	buffer_load_dword v23, v23, s[0:3], 0 offen offset:12
	v_mov_b32_e32 v24, s75
	v_mov_b32_e32 v25, s74
	;; [unrolled: 1-line block ×11, first 2 shown]
	s_clause 0x2b
	buffer_load_dword v96, v24, s[0:3], 0 offen
	buffer_load_dword v97, v24, s[0:3], 0 offen offset:4
	buffer_load_dword v98, v24, s[0:3], 0 offen offset:8
	buffer_load_dword v99, v24, s[0:3], 0 offen offset:12
	buffer_load_dword v84, v25, s[0:3], 0 offen
	buffer_load_dword v85, v25, s[0:3], 0 offen offset:4
	buffer_load_dword v86, v25, s[0:3], 0 offen offset:8
	buffer_load_dword v87, v25, s[0:3], 0 offen offset:12
	;; [unrolled: 4-line block ×11, first 2 shown]
	v_mov_b32_e32 v27, s64
	v_mov_b32_e32 v31, s63
	;; [unrolled: 1-line block ×3, first 2 shown]
	s_clause 0xb
	buffer_load_dword v24, v27, s[0:3], 0 offen
	buffer_load_dword v25, v27, s[0:3], 0 offen offset:4
	buffer_load_dword v26, v27, s[0:3], 0 offen offset:8
	buffer_load_dword v27, v27, s[0:3], 0 offen offset:12
	buffer_load_dword v28, v31, s[0:3], 0 offen
	buffer_load_dword v29, v31, s[0:3], 0 offen offset:4
	buffer_load_dword v30, v31, s[0:3], 0 offen offset:8
	buffer_load_dword v31, v31, s[0:3], 0 offen offset:12
	buffer_load_dword v36, v34, s[0:3], 0 offen
	buffer_load_dword v37, v34, s[0:3], 0 offen offset:4
	buffer_load_dword v38, v34, s[0:3], 0 offen offset:8
	buffer_load_dword v39, v34, s[0:3], 0 offen offset:12
	v_lshlrev_b64 v[33:34], 4, v[32:33]
	v_add3_u32 v146, s6, s6, v32
	v_mov_b32_e32 v32, s61
	v_mov_b32_e32 v35, s60
	;; [unrolled: 1-line block ×14, first 2 shown]
	s_clause 0x37
	buffer_load_dword v136, v32, s[0:3], 0 offen
	buffer_load_dword v137, v32, s[0:3], 0 offen offset:4
	buffer_load_dword v138, v32, s[0:3], 0 offen offset:8
	buffer_load_dword v139, v32, s[0:3], 0 offen offset:12
	buffer_load_dword v140, v35, s[0:3], 0 offen
	buffer_load_dword v141, v35, s[0:3], 0 offen offset:4
	buffer_load_dword v142, v35, s[0:3], 0 offen offset:8
	buffer_load_dword v143, v35, s[0:3], 0 offen offset:12
	;; [unrolled: 4-line block ×14, first 2 shown]
	v_add_co_u32 v150, vcc_lo, v144, v33
	v_mov_b32_e32 v149, s45
	v_ashrrev_i32_e32 v147, 31, v146
	v_add_co_ci_u32_e64 v151, null, v145, v34, vcc_lo
	v_readlane_b32 s8, v162, 2
	v_readlane_b32 s9, v162, 3
	v_add_nc_u32_e32 v148, s6, v146
	v_mov_b32_e32 v152, s44
	s_clause 0x7
	buffer_load_dword v32, v149, s[0:3], 0 offen
	buffer_load_dword v33, v149, s[0:3], 0 offen offset:4
	buffer_load_dword v34, v149, s[0:3], 0 offen offset:8
	;; [unrolled: 1-line block ×3, first 2 shown]
	buffer_load_dword v44, v152, s[0:3], 0 offen
	buffer_load_dword v45, v152, s[0:3], 0 offen offset:4
	buffer_load_dword v46, v152, s[0:3], 0 offen offset:8
	;; [unrolled: 1-line block ×3, first 2 shown]
	v_lshlrev_b64 v[146:147], 4, v[146:147]
	v_mov_b32_e32 v153, s43
	v_add_nc_u32_e32 v152, s6, v148
	v_ashrrev_i32_e32 v149, 31, v148
	v_mov_b32_e32 v154, s42
	v_mov_b32_e32 v155, s41
	v_lshlrev_b64 v[148:149], 4, v[148:149]
	s_waitcnt vmcnt(62)
	global_store_dwordx4 v[150:151], v[0:3], off
	v_add_co_u32 v0, vcc_lo, v150, s8
	v_add_co_ci_u32_e64 v1, null, s9, v151, vcc_lo
	v_add_co_u32 v146, vcc_lo, v144, v146
	v_add_co_ci_u32_e64 v147, null, v145, v147, vcc_lo
	global_store_dwordx4 v[0:1], v[4:7], off
	s_clause 0x7
	buffer_load_dword v0, v153, s[0:3], 0 offen
	buffer_load_dword v1, v153, s[0:3], 0 offen offset:4
	buffer_load_dword v2, v153, s[0:3], 0 offen offset:8
	buffer_load_dword v3, v153, s[0:3], 0 offen offset:12
	buffer_load_dword v4, v154, s[0:3], 0 offen
	buffer_load_dword v5, v154, s[0:3], 0 offen offset:4
	buffer_load_dword v6, v154, s[0:3], 0 offen offset:8
	;; [unrolled: 1-line block ×3, first 2 shown]
	v_ashrrev_i32_e32 v153, 31, v152
	v_add_nc_u32_e32 v150, s6, v152
	global_store_dwordx4 v[146:147], v[8:11], off
	v_add_co_u32 v148, vcc_lo, v144, v148
	v_lshlrev_b64 v[146:147], 4, v[152:153]
	v_add_nc_u32_e32 v152, s6, v150
	v_ashrrev_i32_e32 v151, 31, v150
	v_add_co_ci_u32_e64 v149, null, v145, v149, vcc_lo
	s_clause 0x3
	buffer_load_dword v8, v155, s[0:3], 0 offen
	buffer_load_dword v9, v155, s[0:3], 0 offen offset:4
	buffer_load_dword v10, v155, s[0:3], 0 offen offset:8
	;; [unrolled: 1-line block ×3, first 2 shown]
	v_add_nc_u32_e32 v154, s6, v152
	v_lshlrev_b64 v[150:151], 4, v[150:151]
	global_store_dwordx4 v[148:149], v[12:15], off
	v_add_co_u32 v146, vcc_lo, v144, v146
	v_add_nc_u32_e32 v12, s6, v154
	v_add_co_ci_u32_e64 v147, null, v145, v147, vcc_lo
	v_ashrrev_i32_e32 v155, 31, v154
	v_add_co_u32 v14, vcc_lo, v144, v150
	v_add_nc_u32_e32 v150, s6, v12
	global_store_dwordx4 v[146:147], v[16:19], off
	v_lshlrev_b64 v[148:149], 4, v[154:155]
	v_ashrrev_i32_e32 v153, 31, v152
	v_add_co_ci_u32_e64 v15, null, v145, v151, vcc_lo
	v_add_nc_u32_e32 v154, s6, v150
	v_ashrrev_i32_e32 v13, 31, v12
	v_lshlrev_b64 v[152:153], 4, v[152:153]
	global_store_dwordx4 v[14:15], v[20:23], off
	v_ashrrev_i32_e32 v151, 31, v150
	v_add_nc_u32_e32 v16, s6, v154
	v_ashrrev_i32_e32 v155, 31, v154
	v_lshlrev_b64 v[12:13], 4, v[12:13]
	v_add_co_u32 v152, vcc_lo, v144, v152
	v_add_nc_u32_e32 v146, s6, v16
	v_lshlrev_b64 v[18:19], 4, v[154:155]
	v_ashrrev_i32_e32 v17, 31, v16
	v_lshlrev_b64 v[150:151], 4, v[150:151]
	v_add_co_ci_u32_e64 v153, null, v145, v153, vcc_lo
	v_add_nc_u32_e32 v154, s6, v146
	v_ashrrev_i32_e32 v147, 31, v146
	v_add_co_u32 v148, vcc_lo, v144, v148
	v_add_co_ci_u32_e64 v149, null, v145, v149, vcc_lo
	v_add_nc_u32_e32 v14, s6, v154
	v_ashrrev_i32_e32 v155, 31, v154
	v_add_co_u32 v12, vcc_lo, v144, v12
	v_lshlrev_b64 v[16:17], 4, v[16:17]
	v_add_nc_u32_e32 v22, s6, v14
	v_lshlrev_b64 v[20:21], 4, v[154:155]
	v_ashrrev_i32_e32 v15, 31, v14
	v_add_co_ci_u32_e64 v13, null, v145, v13, vcc_lo
	v_add_nc_u32_e32 v154, s6, v22
	v_add_co_u32 v150, vcc_lo, v144, v150
	v_lshlrev_b64 v[146:147], 4, v[146:147]
	v_ashrrev_i32_e32 v23, 31, v22
	v_add_co_ci_u32_e64 v151, null, v145, v151, vcc_lo
	v_add_co_u32 v18, vcc_lo, v144, v18
	v_ashrrev_i32_e32 v155, 31, v154
	v_add_co_ci_u32_e64 v19, null, v145, v19, vcc_lo
	v_add_co_u32 v16, vcc_lo, v144, v16
	v_lshlrev_b64 v[14:15], 4, v[14:15]
	v_add_co_ci_u32_e64 v17, null, v145, v17, vcc_lo
	v_add_co_u32 v146, vcc_lo, v144, v146
	v_lshlrev_b64 v[22:23], 4, v[22:23]
	v_add_co_ci_u32_e64 v147, null, v145, v147, vcc_lo
	v_add_co_u32 v20, vcc_lo, v144, v20
	global_store_dwordx4 v[152:153], v[96:99], off
	v_lshlrev_b64 v[98:99], 4, v[154:155]
	v_add_co_ci_u32_e64 v21, null, v145, v21, vcc_lo
	v_add_co_u32 v14, vcc_lo, v144, v14
	v_add_co_ci_u32_e64 v15, null, v145, v15, vcc_lo
	v_add_co_u32 v22, vcc_lo, v144, v22
	;; [unrolled: 2-line block ×3, first 2 shown]
	v_add_co_ci_u32_e64 v99, null, v145, v99, vcc_lo
	global_store_dwordx4 v[148:149], v[84:87], off
	global_store_dwordx4 v[12:13], v[88:91], off
	;; [unrolled: 1-line block ×9, first 2 shown]
	v_mov_b32_e32 v15, s40
	v_add_nc_u32_e32 v96, s6, v154
	global_store_dwordx4 v[98:99], v[124:127], off
	v_mov_b32_e32 v19, s39
	s_clause 0x7
	buffer_load_dword v12, v15, s[0:3], 0 offen
	buffer_load_dword v13, v15, s[0:3], 0 offen offset:4
	buffer_load_dword v14, v15, s[0:3], 0 offen offset:8
	;; [unrolled: 1-line block ×3, first 2 shown]
	buffer_load_dword v16, v19, s[0:3], 0 offen
	buffer_load_dword v17, v19, s[0:3], 0 offen offset:4
	buffer_load_dword v18, v19, s[0:3], 0 offen offset:8
	;; [unrolled: 1-line block ×3, first 2 shown]
	v_ashrrev_i32_e32 v97, 31, v96
	v_add_nc_u32_e32 v152, s6, v96
	v_mov_b32_e32 v23, s38
	v_mov_b32_e32 v87, s37
	;; [unrolled: 1-line block ×3, first 2 shown]
	v_lshlrev_b64 v[20:21], 4, v[96:97]
	v_add_nc_u32_e32 v92, s6, v152
	v_ashrrev_i32_e32 v153, 31, v152
	v_mov_b32_e32 v99, s34
	v_mov_b32_e32 v112, s27
	;; [unrolled: 1-line block ×3, first 2 shown]
	v_add_co_u32 v100, vcc_lo, v144, v20
	v_add_co_ci_u32_e64 v101, null, v145, v21, vcc_lo
	s_clause 0xb
	buffer_load_dword v20, v23, s[0:3], 0 offen
	buffer_load_dword v21, v23, s[0:3], 0 offen offset:4
	buffer_load_dword v22, v23, s[0:3], 0 offen offset:8
	buffer_load_dword v23, v23, s[0:3], 0 offen offset:12
	buffer_load_dword v84, v87, s[0:3], 0 offen
	buffer_load_dword v85, v87, s[0:3], 0 offen offset:4
	buffer_load_dword v86, v87, s[0:3], 0 offen offset:8
	buffer_load_dword v87, v87, s[0:3], 0 offen offset:12
	;; [unrolled: 4-line block ×3, first 2 shown]
	v_ashrrev_i32_e32 v93, 31, v92
	v_lshlrev_b64 v[94:95], 4, v[152:153]
	v_add_nc_u32_e32 v106, s6, v92
	v_mov_b32_e32 v119, s25
	v_mov_b32_e32 v124, s24
	v_lshlrev_b64 v[96:97], 4, v[92:93]
	v_mov_b32_e32 v127, s23
	v_add_co_u32 v102, vcc_lo, v144, v94
	v_add_co_ci_u32_e64 v103, null, v145, v95, vcc_lo
	v_mov_b32_e32 v95, s35
	v_add_co_u32 v104, vcc_lo, v144, v96
	v_add_co_ci_u32_e64 v105, null, v145, v97, vcc_lo
	s_clause 0x7
	buffer_load_dword v92, v95, s[0:3], 0 offen
	buffer_load_dword v93, v95, s[0:3], 0 offen offset:4
	buffer_load_dword v94, v95, s[0:3], 0 offen offset:8
	;; [unrolled: 1-line block ×3, first 2 shown]
	buffer_load_dword v96, v99, s[0:3], 0 offen
	buffer_load_dword v97, v99, s[0:3], 0 offen offset:4
	buffer_load_dword v98, v99, s[0:3], 0 offen offset:8
	;; [unrolled: 1-line block ×3, first 2 shown]
	global_store_dwordx4 v[100:101], v[24:27], off
	v_mov_b32_e32 v27, s33
	global_store_dwordx4 v[102:103], v[28:31], off
	global_store_dwordx4 v[104:105], v[36:39], off
	v_mov_b32_e32 v31, s31
	v_mov_b32_e32 v39, s30
	v_ashrrev_i32_e32 v107, 31, v106
	s_clause 0xb
	buffer_load_dword v24, v27, s[0:3], 0 offen
	buffer_load_dword v25, v27, s[0:3], 0 offen offset:4
	buffer_load_dword v26, v27, s[0:3], 0 offen offset:8
	buffer_load_dword v27, v27, s[0:3], 0 offen offset:12
	buffer_load_dword v28, v31, s[0:3], 0 offen
	buffer_load_dword v29, v31, s[0:3], 0 offen offset:4
	buffer_load_dword v30, v31, s[0:3], 0 offen offset:8
	buffer_load_dword v31, v31, s[0:3], 0 offen offset:12
	;; [unrolled: 4-line block ×3, first 2 shown]
	v_add_nc_u32_e32 v100, s6, v106
	v_lshlrev_b64 v[102:103], 4, v[106:107]
	v_mov_b32_e32 v107, s28
	v_ashrrev_i32_e32 v101, 31, v100
	v_add_nc_u32_e32 v108, s6, v100
	v_add_co_u32 v146, vcc_lo, v144, v102
	v_add_co_ci_u32_e64 v147, null, v145, v103, vcc_lo
	v_mov_b32_e32 v103, s29
	v_lshlrev_b64 v[110:111], 4, v[100:101]
	s_clause 0x7
	buffer_load_dword v100, v103, s[0:3], 0 offen
	buffer_load_dword v101, v103, s[0:3], 0 offen offset:4
	buffer_load_dword v102, v103, s[0:3], 0 offen offset:8
	;; [unrolled: 1-line block ×3, first 2 shown]
	buffer_load_dword v104, v107, s[0:3], 0 offen
	buffer_load_dword v105, v107, s[0:3], 0 offen offset:4
	buffer_load_dword v106, v107, s[0:3], 0 offen offset:8
	;; [unrolled: 1-line block ×3, first 2 shown]
	v_ashrrev_i32_e32 v109, 31, v108
	v_add_co_u32 v148, vcc_lo, v144, v110
	v_add_nc_u32_e32 v150, s6, v108
	v_add_co_ci_u32_e64 v149, null, v145, v111, vcc_lo
	v_lshlrev_b64 v[120:121], 4, v[108:109]
	s_clause 0xb
	buffer_load_dword v108, v112, s[0:3], 0 offen
	buffer_load_dword v109, v112, s[0:3], 0 offen offset:4
	buffer_load_dword v110, v112, s[0:3], 0 offen offset:8
	buffer_load_dword v111, v112, s[0:3], 0 offen offset:12
	buffer_load_dword v112, v115, s[0:3], 0 offen
	buffer_load_dword v113, v115, s[0:3], 0 offen offset:4
	buffer_load_dword v114, v115, s[0:3], 0 offen offset:8
	buffer_load_dword v115, v115, s[0:3], 0 offen offset:12
	;; [unrolled: 4-line block ×3, first 2 shown]
	v_ashrrev_i32_e32 v151, 31, v150
	v_lshlrev_b64 v[122:123], 4, v[150:151]
	v_add_co_u32 v151, vcc_lo, v144, v120
	v_add_co_ci_u32_e64 v152, null, v145, v121, vcc_lo
	v_add_nc_u32_e32 v150, s6, v150
	v_add_co_u32 v153, vcc_lo, v144, v122
	v_add_co_ci_u32_e64 v154, null, v145, v123, vcc_lo
	s_clause 0x7
	buffer_load_dword v120, v124, s[0:3], 0 offen
	buffer_load_dword v121, v124, s[0:3], 0 offen offset:4
	buffer_load_dword v122, v124, s[0:3], 0 offen offset:8
	buffer_load_dword v123, v124, s[0:3], 0 offen offset:12
	buffer_load_dword v124, v127, s[0:3], 0 offen
	buffer_load_dword v125, v127, s[0:3], 0 offen offset:4
	buffer_load_dword v126, v127, s[0:3], 0 offen offset:8
	;; [unrolled: 1-line block ×3, first 2 shown]
	s_waitcnt vmcnt(62)
	global_store_dwordx4 v[146:147], v[136:139], off
	global_store_dwordx4 v[148:149], v[140:143], off
	v_mov_b32_e32 v136, s22
	v_mov_b32_e32 v139, s18
	global_store_dwordx4 v[151:152], v[128:131], off
	global_store_dwordx4 v[153:154], v[132:135], off
	v_mov_b32_e32 v135, s19
	v_mov_b32_e32 v143, s7
	;; [unrolled: 1-line block ×3, first 2 shown]
	s_clause 0x13
	buffer_load_dword v128, v136, s[0:3], 0 offen
	buffer_load_dword v129, v136, s[0:3], 0 offen offset:4
	buffer_load_dword v130, v136, s[0:3], 0 offen offset:8
	buffer_load_dword v131, v136, s[0:3], 0 offen offset:12
	buffer_load_dword v132, v135, s[0:3], 0 offen
	buffer_load_dword v133, v135, s[0:3], 0 offen offset:4
	buffer_load_dword v134, v135, s[0:3], 0 offen offset:8
	buffer_load_dword v135, v135, s[0:3], 0 offen offset:12
	;; [unrolled: 4-line block ×5, first 2 shown]
	v_ashrrev_i32_e32 v151, 31, v150
	v_add_nc_u32_e32 v152, s6, v150
	v_lshlrev_b64 v[150:151], 4, v[150:151]
	v_ashrrev_i32_e32 v153, 31, v152
	v_add_nc_u32_e32 v154, s6, v152
	v_add_co_u32 v150, vcc_lo, v144, v150
	v_add_co_ci_u32_e64 v151, null, v145, v151, vcc_lo
	v_lshlrev_b64 v[152:153], 4, v[152:153]
	v_ashrrev_i32_e32 v155, 31, v154
	global_store_dwordx4 v[150:151], v[80:83], off
	v_add_nc_u32_e32 v80, s6, v154
	v_add_co_u32 v82, vcc_lo, v144, v152
	v_add_co_ci_u32_e64 v83, null, v145, v153, vcc_lo
	v_add_nc_u32_e32 v150, s6, v80
	v_ashrrev_i32_e32 v81, 31, v80
	v_lshlrev_b64 v[152:153], 4, v[154:155]
	global_store_dwordx4 v[82:83], v[76:79], off
	v_ashrrev_i32_e32 v151, 31, v150
	v_lshlrev_b64 v[76:77], 4, v[80:81]
	v_add_nc_u32_e32 v82, s6, v150
	v_add_co_u32 v78, vcc_lo, v144, v152
	v_lshlrev_b64 v[80:81], 4, v[150:151]
	v_add_co_ci_u32_e64 v79, null, v145, v153, vcc_lo
	v_add_co_u32 v76, vcc_lo, v144, v76
	v_add_co_ci_u32_e64 v77, null, v145, v77, vcc_lo
	v_add_co_u32 v80, vcc_lo, v144, v80
	v_add_nc_u32_e32 v150, s6, v82
	v_add_co_ci_u32_e64 v81, null, v145, v81, vcc_lo
	v_ashrrev_i32_e32 v83, 31, v82
	global_store_dwordx4 v[78:79], v[64:67], off
	global_store_dwordx4 v[76:77], v[68:71], off
	;; [unrolled: 1-line block ×3, first 2 shown]
	v_add_nc_u32_e32 v68, s6, v150
	v_ashrrev_i32_e32 v151, 31, v150
	v_lshlrev_b64 v[64:65], 4, v[82:83]
	v_add_nc_u32_e32 v70, s6, v68
	v_lshlrev_b64 v[66:67], 4, v[150:151]
	v_ashrrev_i32_e32 v69, 31, v68
	v_add_co_u32 v64, vcc_lo, v144, v64
	v_add_nc_u32_e32 v72, s6, v70
	v_add_co_ci_u32_e64 v65, null, v145, v65, vcc_lo
	v_add_co_u32 v66, vcc_lo, v144, v66
	v_ashrrev_i32_e32 v71, 31, v70
	v_add_co_ci_u32_e64 v67, null, v145, v67, vcc_lo
	v_ashrrev_i32_e32 v73, 31, v72
	v_lshlrev_b64 v[68:69], 4, v[68:69]
	global_store_dwordx4 v[64:65], v[56:59], off
	global_store_dwordx4 v[66:67], v[60:63], off
	v_lshlrev_b64 v[56:57], 4, v[70:71]
	v_add_nc_u32_e32 v62, s6, v72
	v_lshlrev_b64 v[60:61], 4, v[72:73]
	v_add_co_u32 v58, vcc_lo, v144, v68
	v_add_co_ci_u32_e64 v59, null, v145, v69, vcc_lo
	v_add_co_u32 v56, vcc_lo, v144, v56
	v_add_co_ci_u32_e64 v57, null, v145, v57, vcc_lo
	v_add_co_u32 v60, vcc_lo, v144, v60
	v_add_nc_u32_e32 v64, s6, v62
	v_add_co_ci_u32_e64 v61, null, v145, v61, vcc_lo
	v_ashrrev_i32_e32 v63, 31, v62
	global_store_dwordx4 v[58:59], v[40:43], off
	global_store_dwordx4 v[56:57], v[48:51], off
	;; [unrolled: 1-line block ×3, first 2 shown]
	v_add_nc_u32_e32 v48, s6, v64
	v_ashrrev_i32_e32 v65, 31, v64
	v_lshlrev_b64 v[40:41], 4, v[62:63]
	v_add_nc_u32_e32 v50, s6, v48
	v_lshlrev_b64 v[42:43], 4, v[64:65]
	v_ashrrev_i32_e32 v49, 31, v48
	v_add_co_u32 v40, vcc_lo, v144, v40
	v_add_nc_u32_e32 v52, s6, v50
	v_add_co_ci_u32_e64 v41, null, v145, v41, vcc_lo
	v_add_co_u32 v42, vcc_lo, v144, v42
	v_ashrrev_i32_e32 v51, 31, v50
	v_add_co_ci_u32_e64 v43, null, v145, v43, vcc_lo
	v_ashrrev_i32_e32 v53, 31, v52
	v_lshlrev_b64 v[48:49], 4, v[48:49]
	global_store_dwordx4 v[40:41], v[32:35], off
	global_store_dwordx4 v[42:43], v[44:47], off
	v_lshlrev_b64 v[32:33], 4, v[50:51]
	v_add_nc_u32_e32 v42, s6, v52
	v_lshlrev_b64 v[40:41], 4, v[52:53]
	v_add_co_u32 v34, vcc_lo, v144, v48
	v_add_co_ci_u32_e64 v35, null, v145, v49, vcc_lo
	v_add_co_u32 v32, vcc_lo, v144, v32
	v_add_co_ci_u32_e64 v33, null, v145, v33, vcc_lo
	v_add_co_u32 v40, vcc_lo, v144, v40
	v_add_nc_u32_e32 v44, s6, v42
	v_add_co_ci_u32_e64 v41, null, v145, v41, vcc_lo
	v_ashrrev_i32_e32 v43, 31, v42
	global_store_dwordx4 v[34:35], v[0:3], off
	global_store_dwordx4 v[32:33], v[4:7], off
	;; [unrolled: 1-line block ×3, first 2 shown]
	v_add_nc_u32_e32 v4, s6, v44
	v_ashrrev_i32_e32 v45, 31, v44
	v_lshlrev_b64 v[0:1], 4, v[42:43]
	v_add_nc_u32_e32 v6, s6, v4
	v_lshlrev_b64 v[2:3], 4, v[44:45]
	v_ashrrev_i32_e32 v5, 31, v4
	v_add_co_u32 v0, vcc_lo, v144, v0
	v_add_nc_u32_e32 v8, s6, v6
	v_add_co_ci_u32_e64 v1, null, v145, v1, vcc_lo
	v_add_co_u32 v2, vcc_lo, v144, v2
	v_lshlrev_b64 v[4:5], 4, v[4:5]
	v_ashrrev_i32_e32 v7, 31, v6
	v_add_co_ci_u32_e64 v3, null, v145, v3, vcc_lo
	v_ashrrev_i32_e32 v9, 31, v8
	global_store_dwordx4 v[0:1], v[12:15], off
	s_waitcnt vmcnt(62)
	global_store_dwordx4 v[2:3], v[16:19], off
	v_lshlrev_b64 v[0:1], 4, v[6:7]
	v_add_co_u32 v2, vcc_lo, v144, v4
	v_add_co_ci_u32_e64 v3, null, v145, v5, vcc_lo
	v_lshlrev_b64 v[4:5], 4, v[8:9]
	v_add_nc_u32_e32 v6, s6, v8
	v_add_co_u32 v0, vcc_lo, v144, v0
	v_add_co_ci_u32_e64 v1, null, v145, v1, vcc_lo
	v_add_co_u32 v4, vcc_lo, v144, v4
	v_add_nc_u32_e32 v8, s6, v6
	v_add_co_ci_u32_e64 v5, null, v145, v5, vcc_lo
	v_ashrrev_i32_e32 v7, 31, v6
	global_store_dwordx4 v[2:3], v[20:23], off
	global_store_dwordx4 v[0:1], v[84:87], off
	;; [unrolled: 1-line block ×3, first 2 shown]
	v_add_nc_u32_e32 v4, s6, v8
	v_ashrrev_i32_e32 v9, 31, v8
	v_lshlrev_b64 v[2:3], 4, v[6:7]
	v_add_nc_u32_e32 v6, s6, v4
	v_lshlrev_b64 v[0:1], 4, v[8:9]
	v_ashrrev_i32_e32 v5, 31, v4
	v_add_co_u32 v2, vcc_lo, v144, v2
	v_add_nc_u32_e32 v8, s6, v6
	v_add_co_ci_u32_e64 v3, null, v145, v3, vcc_lo
	v_add_co_u32 v0, vcc_lo, v144, v0
	v_lshlrev_b64 v[4:5], 4, v[4:5]
	v_ashrrev_i32_e32 v7, 31, v6
	v_add_co_ci_u32_e64 v1, null, v145, v1, vcc_lo
	v_ashrrev_i32_e32 v9, 31, v8
	global_store_dwordx4 v[2:3], v[92:95], off
	s_waitcnt vmcnt(60)
	global_store_dwordx4 v[0:1], v[96:99], off
	v_lshlrev_b64 v[0:1], 4, v[6:7]
	v_add_co_u32 v2, vcc_lo, v144, v4
	v_add_co_ci_u32_e64 v3, null, v145, v5, vcc_lo
	v_lshlrev_b64 v[4:5], 4, v[8:9]
	v_add_nc_u32_e32 v6, s6, v8
	v_add_co_u32 v0, vcc_lo, v144, v0
	v_add_co_ci_u32_e64 v1, null, v145, v1, vcc_lo
	v_add_co_u32 v4, vcc_lo, v144, v4
	v_add_nc_u32_e32 v8, s6, v6
	v_add_co_ci_u32_e64 v5, null, v145, v5, vcc_lo
	v_ashrrev_i32_e32 v7, 31, v6
	s_waitcnt vmcnt(56)
	global_store_dwordx4 v[2:3], v[24:27], off
	s_waitcnt vmcnt(52)
	global_store_dwordx4 v[0:1], v[28:31], off
	;; [unrolled: 2-line block ×3, first 2 shown]
	v_add_nc_u32_e32 v4, s6, v8
	v_ashrrev_i32_e32 v9, 31, v8
	v_lshlrev_b64 v[2:3], 4, v[6:7]
	v_add_nc_u32_e32 v6, s6, v4
	v_lshlrev_b64 v[0:1], 4, v[8:9]
	v_ashrrev_i32_e32 v5, 31, v4
	v_add_co_u32 v2, vcc_lo, v144, v2
	v_add_nc_u32_e32 v8, s6, v6
	v_add_co_ci_u32_e64 v3, null, v145, v3, vcc_lo
	v_add_co_u32 v0, vcc_lo, v144, v0
	v_lshlrev_b64 v[4:5], 4, v[4:5]
	v_ashrrev_i32_e32 v7, 31, v6
	v_add_co_ci_u32_e64 v1, null, v145, v1, vcc_lo
	v_ashrrev_i32_e32 v9, 31, v8
	s_waitcnt vmcnt(44)
	global_store_dwordx4 v[2:3], v[100:103], off
	s_waitcnt vmcnt(40)
	global_store_dwordx4 v[0:1], v[104:107], off
	v_lshlrev_b64 v[0:1], 4, v[6:7]
	v_add_co_u32 v2, vcc_lo, v144, v4
	v_add_co_ci_u32_e64 v3, null, v145, v5, vcc_lo
	v_lshlrev_b64 v[4:5], 4, v[8:9]
	v_add_nc_u32_e32 v6, s6, v8
	v_add_co_u32 v0, vcc_lo, v144, v0
	v_add_co_ci_u32_e64 v1, null, v145, v1, vcc_lo
	v_add_co_u32 v4, vcc_lo, v144, v4
	v_add_nc_u32_e32 v8, s6, v6
	v_add_co_ci_u32_e64 v5, null, v145, v5, vcc_lo
	v_ashrrev_i32_e32 v7, 31, v6
	s_waitcnt vmcnt(36)
	global_store_dwordx4 v[2:3], v[108:111], off
	s_waitcnt vmcnt(32)
	global_store_dwordx4 v[0:1], v[112:115], off
	;; [unrolled: 2-line block ×3, first 2 shown]
	v_add_nc_u32_e32 v4, s6, v8
	v_ashrrev_i32_e32 v9, 31, v8
	v_lshlrev_b64 v[2:3], 4, v[6:7]
	v_add_nc_u32_e32 v6, s6, v4
	v_lshlrev_b64 v[0:1], 4, v[8:9]
	v_ashrrev_i32_e32 v5, 31, v4
	v_add_co_u32 v2, vcc_lo, v144, v2
	v_add_co_ci_u32_e64 v3, null, v145, v3, vcc_lo
	v_add_nc_u32_e32 v8, s6, v6
	v_add_co_u32 v0, vcc_lo, v144, v0
	v_add_co_ci_u32_e64 v1, null, v145, v1, vcc_lo
	v_ashrrev_i32_e32 v7, 31, v6
	s_waitcnt vmcnt(24)
	global_store_dwordx4 v[2:3], v[120:123], off
	v_lshlrev_b64 v[2:3], 4, v[4:5]
	v_ashrrev_i32_e32 v9, 31, v8
	v_add_nc_u32_e32 v4, s6, v8
	s_waitcnt vmcnt(20)
	global_store_dwordx4 v[0:1], v[124:127], off
	v_lshlrev_b64 v[0:1], 4, v[6:7]
	v_lshlrev_b64 v[6:7], 4, v[8:9]
	v_add_nc_u32_e32 v8, s6, v4
	v_ashrrev_i32_e32 v5, 31, v4
	v_add_co_u32 v2, vcc_lo, v144, v2
	v_add_co_ci_u32_e64 v3, null, v145, v3, vcc_lo
	v_ashrrev_i32_e32 v9, 31, v8
	v_lshlrev_b64 v[4:5], 4, v[4:5]
	v_add_co_u32 v0, vcc_lo, v144, v0
	v_add_co_ci_u32_e64 v1, null, v145, v1, vcc_lo
	v_lshlrev_b64 v[8:9], 4, v[8:9]
	v_add_co_u32 v6, vcc_lo, v144, v6
	v_add_co_ci_u32_e64 v7, null, v145, v7, vcc_lo
	v_add_co_u32 v4, vcc_lo, v144, v4
	v_add_co_ci_u32_e64 v5, null, v145, v5, vcc_lo
	;; [unrolled: 2-line block ×3, first 2 shown]
	s_waitcnt vmcnt(16)
	global_store_dwordx4 v[2:3], v[128:131], off
	s_waitcnt vmcnt(12)
	global_store_dwordx4 v[0:1], v[132:135], off
	;; [unrolled: 2-line block ×5, first 2 shown]
.LBB120_1407:
	s_endpgm
	.section	.rodata,"a",@progbits
	.p2align	6, 0x0
	.amdhsa_kernel _ZN9rocsolver6v33100L18getf2_small_kernelILi61E19rocblas_complex_numIdEiiPS3_EEvT1_T3_lS5_lPS5_llPT2_S5_S5_S7_l
		.amdhsa_group_segment_fixed_size 0
		.amdhsa_private_segment_fixed_size 992
		.amdhsa_kernarg_size 352
		.amdhsa_user_sgpr_count 6
		.amdhsa_user_sgpr_private_segment_buffer 1
		.amdhsa_user_sgpr_dispatch_ptr 0
		.amdhsa_user_sgpr_queue_ptr 0
		.amdhsa_user_sgpr_kernarg_segment_ptr 1
		.amdhsa_user_sgpr_dispatch_id 0
		.amdhsa_user_sgpr_flat_scratch_init 0
		.amdhsa_user_sgpr_private_segment_size 0
		.amdhsa_wavefront_size32 1
		.amdhsa_uses_dynamic_stack 0
		.amdhsa_system_sgpr_private_segment_wavefront_offset 1
		.amdhsa_system_sgpr_workgroup_id_x 1
		.amdhsa_system_sgpr_workgroup_id_y 1
		.amdhsa_system_sgpr_workgroup_id_z 0
		.amdhsa_system_sgpr_workgroup_info 0
		.amdhsa_system_vgpr_workitem_id 1
		.amdhsa_next_free_vgpr 163
		.amdhsa_next_free_sgpr 105
		.amdhsa_reserve_vcc 1
		.amdhsa_reserve_flat_scratch 0
		.amdhsa_float_round_mode_32 0
		.amdhsa_float_round_mode_16_64 0
		.amdhsa_float_denorm_mode_32 3
		.amdhsa_float_denorm_mode_16_64 3
		.amdhsa_dx10_clamp 1
		.amdhsa_ieee_mode 1
		.amdhsa_fp16_overflow 0
		.amdhsa_workgroup_processor_mode 1
		.amdhsa_memory_ordered 1
		.amdhsa_forward_progress 1
		.amdhsa_shared_vgpr_count 0
		.amdhsa_exception_fp_ieee_invalid_op 0
		.amdhsa_exception_fp_denorm_src 0
		.amdhsa_exception_fp_ieee_div_zero 0
		.amdhsa_exception_fp_ieee_overflow 0
		.amdhsa_exception_fp_ieee_underflow 0
		.amdhsa_exception_fp_ieee_inexact 0
		.amdhsa_exception_int_div_zero 0
	.end_amdhsa_kernel
	.section	.text._ZN9rocsolver6v33100L18getf2_small_kernelILi61E19rocblas_complex_numIdEiiPS3_EEvT1_T3_lS5_lPS5_llPT2_S5_S5_S7_l,"axG",@progbits,_ZN9rocsolver6v33100L18getf2_small_kernelILi61E19rocblas_complex_numIdEiiPS3_EEvT1_T3_lS5_lPS5_llPT2_S5_S5_S7_l,comdat
.Lfunc_end120:
	.size	_ZN9rocsolver6v33100L18getf2_small_kernelILi61E19rocblas_complex_numIdEiiPS3_EEvT1_T3_lS5_lPS5_llPT2_S5_S5_S7_l, .Lfunc_end120-_ZN9rocsolver6v33100L18getf2_small_kernelILi61E19rocblas_complex_numIdEiiPS3_EEvT1_T3_lS5_lPS5_llPT2_S5_S5_S7_l
                                        ; -- End function
	.set _ZN9rocsolver6v33100L18getf2_small_kernelILi61E19rocblas_complex_numIdEiiPS3_EEvT1_T3_lS5_lPS5_llPT2_S5_S5_S7_l.num_vgpr, 163
	.set _ZN9rocsolver6v33100L18getf2_small_kernelILi61E19rocblas_complex_numIdEiiPS3_EEvT1_T3_lS5_lPS5_llPT2_S5_S5_S7_l.num_agpr, 0
	.set _ZN9rocsolver6v33100L18getf2_small_kernelILi61E19rocblas_complex_numIdEiiPS3_EEvT1_T3_lS5_lPS5_llPT2_S5_S5_S7_l.numbered_sgpr, 105
	.set _ZN9rocsolver6v33100L18getf2_small_kernelILi61E19rocblas_complex_numIdEiiPS3_EEvT1_T3_lS5_lPS5_llPT2_S5_S5_S7_l.num_named_barrier, 0
	.set _ZN9rocsolver6v33100L18getf2_small_kernelILi61E19rocblas_complex_numIdEiiPS3_EEvT1_T3_lS5_lPS5_llPT2_S5_S5_S7_l.private_seg_size, 992
	.set _ZN9rocsolver6v33100L18getf2_small_kernelILi61E19rocblas_complex_numIdEiiPS3_EEvT1_T3_lS5_lPS5_llPT2_S5_S5_S7_l.uses_vcc, 1
	.set _ZN9rocsolver6v33100L18getf2_small_kernelILi61E19rocblas_complex_numIdEiiPS3_EEvT1_T3_lS5_lPS5_llPT2_S5_S5_S7_l.uses_flat_scratch, 0
	.set _ZN9rocsolver6v33100L18getf2_small_kernelILi61E19rocblas_complex_numIdEiiPS3_EEvT1_T3_lS5_lPS5_llPT2_S5_S5_S7_l.has_dyn_sized_stack, 0
	.set _ZN9rocsolver6v33100L18getf2_small_kernelILi61E19rocblas_complex_numIdEiiPS3_EEvT1_T3_lS5_lPS5_llPT2_S5_S5_S7_l.has_recursion, 0
	.set _ZN9rocsolver6v33100L18getf2_small_kernelILi61E19rocblas_complex_numIdEiiPS3_EEvT1_T3_lS5_lPS5_llPT2_S5_S5_S7_l.has_indirect_call, 0
	.section	.AMDGPU.csdata,"",@progbits
; Kernel info:
; codeLenInByte = 173184
; TotalNumSgprs: 107
; NumVgprs: 163
; ScratchSize: 992
; MemoryBound: 0
; FloatMode: 240
; IeeeMode: 1
; LDSByteSize: 0 bytes/workgroup (compile time only)
; SGPRBlocks: 0
; VGPRBlocks: 20
; NumSGPRsForWavesPerEU: 107
; NumVGPRsForWavesPerEU: 163
; Occupancy: 5
; WaveLimiterHint : 1
; COMPUTE_PGM_RSRC2:SCRATCH_EN: 1
; COMPUTE_PGM_RSRC2:USER_SGPR: 6
; COMPUTE_PGM_RSRC2:TRAP_HANDLER: 0
; COMPUTE_PGM_RSRC2:TGID_X_EN: 1
; COMPUTE_PGM_RSRC2:TGID_Y_EN: 1
; COMPUTE_PGM_RSRC2:TGID_Z_EN: 0
; COMPUTE_PGM_RSRC2:TIDIG_COMP_CNT: 1
	.section	.text._ZN9rocsolver6v33100L23getf2_npvt_small_kernelILi61E19rocblas_complex_numIdEiiPS3_EEvT1_T3_lS5_lPT2_S5_S5_,"axG",@progbits,_ZN9rocsolver6v33100L23getf2_npvt_small_kernelILi61E19rocblas_complex_numIdEiiPS3_EEvT1_T3_lS5_lPT2_S5_S5_,comdat
	.globl	_ZN9rocsolver6v33100L23getf2_npvt_small_kernelILi61E19rocblas_complex_numIdEiiPS3_EEvT1_T3_lS5_lPT2_S5_S5_ ; -- Begin function _ZN9rocsolver6v33100L23getf2_npvt_small_kernelILi61E19rocblas_complex_numIdEiiPS3_EEvT1_T3_lS5_lPT2_S5_S5_
	.p2align	8
	.type	_ZN9rocsolver6v33100L23getf2_npvt_small_kernelILi61E19rocblas_complex_numIdEiiPS3_EEvT1_T3_lS5_lPT2_S5_S5_,@function
_ZN9rocsolver6v33100L23getf2_npvt_small_kernelILi61E19rocblas_complex_numIdEiiPS3_EEvT1_T3_lS5_lPT2_S5_S5_: ; @_ZN9rocsolver6v33100L23getf2_npvt_small_kernelILi61E19rocblas_complex_numIdEiiPS3_EEvT1_T3_lS5_lPT2_S5_S5_
; %bb.0:
	s_clause 0x1
	s_load_dword s6, s[4:5], 0x44
	s_load_dwordx2 s[16:17], s[4:5], 0x30
	s_add_u32 s0, s0, s8
	s_addc_u32 s1, s1, 0
	s_waitcnt lgkmcnt(0)
	s_lshr_b32 s10, s6, 16
	s_mov_b32 s6, exec_lo
	v_mad_u64_u32 v[247:248], null, s7, s10, v[1:2]
	v_cmpx_gt_i32_e64 s16, v247
	s_cbranch_execnz .LBB121_1
; %bb.678:
	s_getpc_b64 s[100:101]
.Lpost_getpc23:
	s_add_u32 s100, s100, (.LBB121_677-.Lpost_getpc23)&4294967295
	s_addc_u32 s101, s101, (.LBB121_677-.Lpost_getpc23)>>32
	s_setpc_b64 s[100:101]
.LBB121_1:
	s_clause 0x2
	s_load_dwordx4 s[12:15], s[4:5], 0x20
	s_load_dword s8, s[4:5], 0x18
	s_load_dwordx4 s[4:7], s[4:5], 0x8
	v_ashrrev_i32_e32 v248, 31, v247
	v_lshlrev_b32_e32 v12, 4, v0
	v_mad_u32_u24 v241, 0x3d0, v1, 0
	s_movk_i32 s11, 0x80
	s_movk_i32 s16, 0xb0
	;; [unrolled: 1-line block ×14, first 2 shown]
	s_waitcnt lgkmcnt(0)
	v_mul_lo_u32 v5, s13, v247
	v_mul_lo_u32 v7, s12, v248
	v_mad_u64_u32 v[2:3], null, s12, v247, 0
	v_add3_u32 v4, s8, s8, v0
	s_lshl_b64 s[6:7], s[6:7], 4
	s_ashr_i32 s9, s8, 31
	s_movk_i32 s33, 0x180
	s_lshl_b64 s[12:13], s[8:9], 4
	v_add_nc_u32_e32 v6, s8, v4
	v_add3_u32 v3, v3, v7, v5
	v_ashrrev_i32_e32 v5, 31, v4
	s_movk_i32 s9, 0x60
	s_movk_i32 s34, 0x190
	v_ashrrev_i32_e32 v7, 31, v6
	v_lshlrev_b64 v[2:3], 4, v[2:3]
	v_lshlrev_b64 v[4:5], 4, v[4:5]
	v_add_nc_u32_e32 v8, s8, v6
	s_movk_i32 s35, 0x1a0
	v_lshlrev_b64 v[6:7], 4, v[6:7]
	s_movk_i32 s36, 0x1b0
	v_add_co_u32 v13, vcc_lo, s4, v2
	v_add_co_ci_u32_e64 v14, null, s5, v3, vcc_lo
	v_ashrrev_i32_e32 v9, 31, v8
	v_add_co_u32 v138, vcc_lo, v13, s6
	v_add_co_ci_u32_e64 v139, null, s7, v14, vcc_lo
	v_add_nc_u32_e32 v10, s8, v8
	v_add_co_u32 v253, vcc_lo, v138, v12
	v_add_co_ci_u32_e64 v254, null, 0, v139, vcc_lo
	v_add_co_u32 v13, vcc_lo, v138, v4
	v_add_co_ci_u32_e64 v14, null, v139, v5, vcc_lo
	buffer_store_dword v13, off, s[0:3], 0 offset:1000 ; 4-byte Folded Spill
	buffer_store_dword v14, off, s[0:3], 0 offset:1004 ; 4-byte Folded Spill
	v_add_co_u32 v4, vcc_lo, v138, v6
	v_add_co_ci_u32_e64 v5, null, v139, v7, vcc_lo
	v_lshlrev_b64 v[2:3], 4, v[8:9]
	v_ashrrev_i32_e32 v11, 31, v10
	v_add_nc_u32_e32 v8, s8, v10
	s_mul_i32 s4, s10, 0x3d0
	v_cmp_ne_u32_e64 s5, 0, v0
	s_movk_i32 s10, 0x70
	v_lshlrev_b64 v[9:10], 4, v[10:11]
	v_add_co_u32 v11, vcc_lo, v138, v2
	v_add_co_ci_u32_e64 v12, null, v139, v3, vcc_lo
	v_add_nc_u32_e32 v26, s8, v8
	v_add_co_u32 v6, vcc_lo, v138, v9
	v_add_co_ci_u32_e64 v7, null, v139, v10, vcc_lo
	v_add_co_u32 v32, vcc_lo, v253, s12
	v_add_co_ci_u32_e64 v33, null, s13, v254, vcc_lo
	v_ashrrev_i32_e32 v9, 31, v8
	v_ashrrev_i32_e32 v27, 31, v26
	v_add_nc_u32_e32 v28, s8, v26
	s_movk_i32 s12, 0x90
	s_movk_i32 s13, 0xa0
	v_lshlrev_b64 v[30:31], 4, v[8:9]
	v_lshlrev_b64 v[26:27], 4, v[26:27]
	v_ashrrev_i32_e32 v29, 31, v28
	s_movk_i32 s7, 0x330
	s_movk_i32 s37, 0x1c0
	;; [unrolled: 1-line block ×3, first 2 shown]
	v_add_co_u32 v34, vcc_lo, v138, v30
	v_add_co_ci_u32_e64 v35, null, v139, v31, vcc_lo
	v_add_co_u32 v36, vcc_lo, v138, v26
	v_add_co_ci_u32_e64 v37, null, v139, v27, vcc_lo
	s_movk_i32 s39, 0x1e0
	s_movk_i32 s40, 0x1f0
	;; [unrolled: 1-line block ×30, first 2 shown]
	global_load_dwordx4 v[18:21], v[13:14], off
	buffer_store_dword v4, off, s[0:3], 0 offset:992 ; 4-byte Folded Spill
	buffer_store_dword v5, off, s[0:3], 0 offset:996 ; 4-byte Folded Spill
	global_load_dwordx4 v[2:5], v[4:5], off
	buffer_store_dword v11, off, s[0:3], 0 offset:984 ; 4-byte Folded Spill
	buffer_store_dword v12, off, s[0:3], 0 offset:988 ; 4-byte Folded Spill
	;; [unrolled: 3-line block ×3, first 2 shown]
	s_clause 0x1
	global_load_dwordx4 v[22:25], v[253:254], off
	global_load_dwordx4 v[10:13], v[6:7], off
	buffer_store_dword v32, off, s[0:3], 0 offset:1016 ; 4-byte Folded Spill
	buffer_store_dword v33, off, s[0:3], 0 offset:1020 ; 4-byte Folded Spill
	global_load_dwordx4 v[6:9], v[32:33], off
	buffer_store_dword v34, off, s[0:3], 0 offset:1008 ; 4-byte Folded Spill
	buffer_store_dword v35, off, s[0:3], 0 offset:1012 ; 4-byte Folded Spill
	v_add_nc_u32_e32 v32, s8, v28
	v_lshlrev_b64 v[28:29], 4, v[28:29]
	v_ashrrev_i32_e32 v33, 31, v32
	v_add_nc_u32_e32 v30, s8, v32
	v_add_co_u32 v46, vcc_lo, v138, v28
	v_add_co_ci_u32_e64 v47, null, v139, v29, vcc_lo
	v_lshlrev_b64 v[26:27], 4, v[32:33]
	v_ashrrev_i32_e32 v31, 31, v30
	v_add_nc_u32_e32 v32, s8, v30
	v_add_co_u32 v48, vcc_lo, v138, v26
	v_add_co_ci_u32_e64 v49, null, v139, v27, vcc_lo
	;; [unrolled: 5-line block ×10, first 2 shown]
	v_lshlrev_b64 v[28:29], 4, v[30:31]
	v_ashrrev_i32_e32 v33, 31, v32
	v_add_nc_u32_e32 v30, s8, v32
	v_lshlrev_b64 v[26:27], 4, v[32:33]
	v_add_co_u32 v32, vcc_lo, v138, v28
	v_add_co_ci_u32_e64 v33, null, v139, v29, vcc_lo
	v_ashrrev_i32_e32 v31, 31, v30
	v_lshlrev_b64 v[28:29], 4, v[30:31]
	global_load_dwordx4 v[38:41], v[34:35], off
	buffer_store_dword v36, off, s[0:3], 0 offset:1024 ; 4-byte Folded Spill
	buffer_store_dword v37, off, s[0:3], 0 offset:1028 ; 4-byte Folded Spill
	v_add_co_u32 v34, vcc_lo, v138, v26
	v_add_co_ci_u32_e64 v35, null, v139, v27, vcc_lo
	v_add_co_u32 v102, vcc_lo, v138, v28
	v_add_co_ci_u32_e64 v103, null, v139, v29, vcc_lo
	v_add_nc_u32_e32 v26, s8, v30
	v_ashrrev_i32_e32 v27, 31, v26
	v_add_nc_u32_e32 v28, s8, v26
	v_lshlrev_b64 v[26:27], 4, v[26:27]
	v_ashrrev_i32_e32 v29, 31, v28
	v_add_nc_u32_e32 v30, s8, v28
	v_ashrrev_i32_e32 v31, 31, v30
	global_load_dwordx4 v[42:45], v[36:37], off
	buffer_store_dword v46, off, s[0:3], 0 offset:1032 ; 4-byte Folded Spill
	buffer_store_dword v47, off, s[0:3], 0 offset:1036 ; 4-byte Folded Spill
	v_add_co_u32 v36, vcc_lo, v138, v26
	v_add_co_ci_u32_e64 v37, null, v139, v27, vcc_lo
	v_lshlrev_b64 v[26:27], 4, v[28:29]
	v_lshlrev_b64 v[28:29], 4, v[30:31]
	v_add_nc_u32_e32 v30, s8, v30
	v_ashrrev_i32_e32 v31, 31, v30
	global_load_dwordx4 v[82:85], v[46:47], off
	buffer_store_dword v48, off, s[0:3], 0 offset:1040 ; 4-byte Folded Spill
	buffer_store_dword v49, off, s[0:3], 0 offset:1044 ; 4-byte Folded Spill
	global_load_dwordx4 v[78:81], v[48:49], off
	buffer_store_dword v50, off, s[0:3], 0 offset:1048 ; 4-byte Folded Spill
	buffer_store_dword v51, off, s[0:3], 0 offset:1052 ; 4-byte Folded Spill
	;; [unrolled: 3-line block ×11, first 2 shown]
	v_add_co_u32 v32, vcc_lo, v138, v26
	v_add_co_ci_u32_e64 v33, null, v139, v27, vcc_lo
	v_add_nc_u32_e32 v26, s8, v30
	v_lshlrev_b64 v[30:31], 4, v[30:31]
	v_ashrrev_i32_e32 v27, 31, v26
	global_load_dwordx4 v[110:113], v[34:35], off
	buffer_store_dword v102, off, s[0:3], 0 offset:1120 ; 4-byte Folded Spill
	buffer_store_dword v103, off, s[0:3], 0 offset:1124 ; 4-byte Folded Spill
	v_add_co_u32 v34, vcc_lo, v138, v28
	v_add_co_ci_u32_e64 v35, null, v139, v29, vcc_lo
	v_add_co_u32 v30, vcc_lo, v138, v30
	v_add_co_ci_u32_e64 v31, null, v139, v31, vcc_lo
	v_add_nc_u32_e32 v28, s8, v26
	v_lshlrev_b64 v[26:27], 4, v[26:27]
	v_ashrrev_i32_e32 v29, 31, v28
	global_load_dwordx4 v[106:109], v[102:103], off
	buffer_store_dword v36, off, s[0:3], 0 offset:1136 ; 4-byte Folded Spill
	buffer_store_dword v37, off, s[0:3], 0 offset:1140 ; 4-byte Folded Spill
	global_load_dwordx4 v[102:105], v[36:37], off
	buffer_store_dword v32, off, s[0:3], 0 offset:1144 ; 4-byte Folded Spill
	buffer_store_dword v33, off, s[0:3], 0 offset:1148 ; 4-byte Folded Spill
	;; [unrolled: 3-line block ×3, first 2 shown]
	v_add_nc_u32_e32 v32, s8, v28
	v_lshlrev_b64 v[28:29], 4, v[28:29]
	v_ashrrev_i32_e32 v33, 31, v32
	global_load_dwordx4 v[130:133], v[34:35], off
	buffer_store_dword v30, off, s[0:3], 0 offset:1160 ; 4-byte Folded Spill
	buffer_store_dword v31, off, s[0:3], 0 offset:1164 ; 4-byte Folded Spill
	v_add_co_u32 v34, vcc_lo, v138, v26
	v_add_co_ci_u32_e64 v35, null, v139, v27, vcc_lo
	v_add_co_u32 v28, vcc_lo, v138, v28
	v_add_co_ci_u32_e64 v29, null, v139, v29, vcc_lo
	v_lshlrev_b64 v[26:27], 4, v[32:33]
	v_add_co_u32 v36, vcc_lo, v138, v26
	v_add_co_ci_u32_e64 v37, null, v139, v27, vcc_lo
	global_load_dwordx4 v[140:143], v[30:31], off
	buffer_store_dword v34, off, s[0:3], 0 offset:1168 ; 4-byte Folded Spill
	buffer_store_dword v35, off, s[0:3], 0 offset:1172 ; 4-byte Folded Spill
	v_add_nc_u32_e32 v30, s8, v32
	v_ashrrev_i32_e32 v31, 31, v30
	v_add_nc_u32_e32 v32, s8, v30
	v_lshlrev_b64 v[26:27], 4, v[30:31]
	v_ashrrev_i32_e32 v33, 31, v32
	v_add_nc_u32_e32 v30, s8, v32
	v_add_co_u32 v26, vcc_lo, v138, v26
	v_add_co_ci_u32_e64 v27, null, v139, v27, vcc_lo
	v_ashrrev_i32_e32 v31, 31, v30
	global_load_dwordx4 v[144:147], v[34:35], off
	buffer_store_dword v28, off, s[0:3], 0 offset:1176 ; 4-byte Folded Spill
	buffer_store_dword v29, off, s[0:3], 0 offset:1180 ; 4-byte Folded Spill
	global_load_dwordx4 v[148:151], v[28:29], off
	buffer_store_dword v36, off, s[0:3], 0 offset:1184 ; 4-byte Folded Spill
	buffer_store_dword v37, off, s[0:3], 0 offset:1188 ; 4-byte Folded Spill
	v_lshlrev_b64 v[28:29], 4, v[32:33]
	v_add_nc_u32_e32 v32, s8, v30
	v_lshlrev_b64 v[30:31], 4, v[30:31]
	v_add_co_u32 v28, vcc_lo, v138, v28
	v_add_co_ci_u32_e64 v29, null, v139, v29, vcc_lo
	v_add_co_u32 v30, vcc_lo, v138, v30
	v_add_co_ci_u32_e64 v31, null, v139, v31, vcc_lo
	v_ashrrev_i32_e32 v33, 31, v32
	v_add_nc_u32_e32 v34, s8, v32
	v_lshlrev_b64 v[32:33], 4, v[32:33]
	v_ashrrev_i32_e32 v35, 31, v34
	v_add_co_u32 v32, vcc_lo, v138, v32
	v_add_co_ci_u32_e64 v33, null, v139, v33, vcc_lo
	v_lshlrev_b64 v[46:47], 4, v[34:35]
	v_add_co_u32 v46, vcc_lo, v138, v46
	v_add_co_ci_u32_e64 v47, null, v139, v47, vcc_lo
	global_load_dwordx4 v[152:155], v[36:37], off
	buffer_store_dword v26, off, s[0:3], 0 offset:1192 ; 4-byte Folded Spill
	buffer_store_dword v27, off, s[0:3], 0 offset:1196 ; 4-byte Folded Spill
	v_add_nc_u32_e32 v36, s8, v34
	v_ashrrev_i32_e32 v37, 31, v36
	v_add_nc_u32_e32 v48, s8, v36
	v_lshlrev_b64 v[50:51], 4, v[36:37]
	v_ashrrev_i32_e32 v49, 31, v48
	v_add_nc_u32_e32 v52, s8, v48
	v_lshlrev_b64 v[54:55], 4, v[48:49]
	v_add_co_u32 v48, vcc_lo, v138, v50
	v_ashrrev_i32_e32 v53, 31, v52
	v_add_co_ci_u32_e64 v49, null, v139, v51, vcc_lo
	v_add_nc_u32_e32 v56, s8, v52
	v_add_co_u32 v54, vcc_lo, v138, v54
	v_lshlrev_b64 v[58:59], 4, v[52:53]
	v_add_co_ci_u32_e64 v55, null, v139, v55, vcc_lo
	v_ashrrev_i32_e32 v57, 31, v56
	v_add_nc_u32_e32 v60, s8, v56
	v_lshlrev_b64 v[114:115], 4, v[56:57]
	v_add_co_u32 v56, vcc_lo, v138, v58
	v_ashrrev_i32_e32 v61, 31, v60
	v_add_co_ci_u32_e64 v57, null, v139, v59, vcc_lo
	v_add_nc_u32_e32 v116, s8, v60
	v_add_co_u32 v114, vcc_lo, v138, v114
	v_lshlrev_b64 v[122:123], 4, v[60:61]
	v_add_co_ci_u32_e64 v115, null, v139, v115, vcc_lo
	;; [unrolled: 10-line block ×3, first 2 shown]
	v_ashrrev_i32_e32 v129, 31, v128
	v_add_nc_u32_e32 v162, s8, v128
	v_add_co_u32 v168, vcc_lo, v138, v160
	v_lshlrev_b64 v[126:127], 4, v[128:129]
	v_add_co_ci_u32_e64 v169, null, v139, v161, vcc_lo
	v_ashrrev_i32_e32 v163, 31, v162
	v_add_nc_u32_e32 v164, s8, v162
	v_add_co_u32 v170, vcc_lo, v138, v126
	v_add_co_ci_u32_e64 v171, null, v139, v127, vcc_lo
	v_lshlrev_b64 v[160:161], 4, v[162:163]
	v_ashrrev_i32_e32 v165, 31, v164
	v_add_nc_u32_e32 v162, s8, v164
	v_lshlrev_b64 v[164:165], 4, v[164:165]
	v_ashrrev_i32_e32 v163, 31, v162
	global_load_dwordx4 v[156:159], v[26:27], off
	buffer_store_dword v28, off, s[0:3], 0 offset:1200 ; 4-byte Folded Spill
	buffer_store_dword v29, off, s[0:3], 0 offset:1204 ; 4-byte Folded Spill
	global_load_dwordx4 v[26:29], v[28:29], off
	buffer_store_dword v30, off, s[0:3], 0 offset:1208 ; 4-byte Folded Spill
	buffer_store_dword v31, off, s[0:3], 0 offset:1212 ; 4-byte Folded Spill
	;; [unrolled: 3-line block ×9, first 2 shown]
	global_load_dwordx4 v[114:117], v[116:117], off
	s_waitcnt vmcnt(34)
	buffer_store_dword v25, off, s[0:3], 0 offset:12
	buffer_store_dword v24, off, s[0:3], 0 offset:8
	;; [unrolled: 1-line block ×3, first 2 shown]
	buffer_store_dword v22, off, s[0:3], 0
	buffer_store_dword v166, off, s[0:3], 0 offset:1272 ; 4-byte Folded Spill
	buffer_store_dword v167, off, s[0:3], 0 offset:1276 ; 4-byte Folded Spill
	global_load_dwordx4 v[126:129], v[166:167], off
	buffer_store_dword v168, off, s[0:3], 0 offset:1280 ; 4-byte Folded Spill
	buffer_store_dword v169, off, s[0:3], 0 offset:1284 ; 4-byte Folded Spill
	v_add_co_u32 v166, vcc_lo, v138, v160
	v_add_co_ci_u32_e64 v167, null, v139, v161, vcc_lo
	v_add_co_u32 v164, vcc_lo, v138, v164
	v_add_co_ci_u32_e64 v165, null, v139, v165, vcc_lo
	global_load_dwordx4 v[22:25], v[168:169], off
	buffer_store_dword v21, off, s[0:3], 0 offset:44
	buffer_store_dword v20, off, s[0:3], 0 offset:40
	;; [unrolled: 1-line block ×12, first 2 shown]
	buffer_store_dword v170, off, s[0:3], 0 offset:1288 ; 4-byte Folded Spill
	buffer_store_dword v171, off, s[0:3], 0 offset:1292 ; 4-byte Folded Spill
	v_lshlrev_b64 v[20:21], 4, v[162:163]
	v_add_nc_u32_e32 v18, s8, v162
	v_ashrrev_i32_e32 v19, 31, v18
	v_add_nc_u32_e32 v160, s8, v18
	v_lshlrev_b64 v[18:19], 4, v[18:19]
	v_ashrrev_i32_e32 v161, 31, v160
	v_add_nc_u32_e32 v162, s8, v160
	v_ashrrev_i32_e32 v163, 31, v162
	global_load_dwordx4 v[2:5], v[170:171], off
	buffer_store_dword v166, off, s[0:3], 0 offset:1296 ; 4-byte Folded Spill
	buffer_store_dword v167, off, s[0:3], 0 offset:1300 ; 4-byte Folded Spill
	global_load_dwordx4 v[14:17], v[166:167], off
	s_waitcnt vmcnt(37)
	buffer_store_dword v13, off, s[0:3], 0 offset:92
	buffer_store_dword v12, off, s[0:3], 0 offset:88
	buffer_store_dword v11, off, s[0:3], 0 offset:84
	buffer_store_dword v10, off, s[0:3], 0 offset:80
	s_waitcnt vmcnt(36)
	buffer_store_dword v9, off, s[0:3], 0 offset:28
	buffer_store_dword v8, off, s[0:3], 0 offset:24
	buffer_store_dword v7, off, s[0:3], 0 offset:20
	buffer_store_dword v6, off, s[0:3], 0 offset:16
	;; [unrolled: 5-line block ×3, first 2 shown]
	buffer_store_dword v164, off, s[0:3], 0 offset:1304 ; 4-byte Folded Spill
	buffer_store_dword v165, off, s[0:3], 0 offset:1308 ; 4-byte Folded Spill
	v_add_co_u32 v10, vcc_lo, v138, v20
	v_add_co_ci_u32_e64 v11, null, v139, v21, vcc_lo
	v_add_co_u32 v18, vcc_lo, v138, v18
	v_add_co_ci_u32_e64 v19, null, v139, v19, vcc_lo
	v_lshlrev_b64 v[20:21], 4, v[160:161]
	v_add_co_u32 v38, vcc_lo, v138, v20
	v_add_co_ci_u32_e64 v39, null, v139, v21, vcc_lo
	global_load_dwordx4 v[6:9], v[164:165], off
	buffer_store_dword v10, off, s[0:3], 0 offset:1312 ; 4-byte Folded Spill
	buffer_store_dword v11, off, s[0:3], 0 offset:1316 ; 4-byte Folded Spill
	global_load_dwordx4 v[10:13], v[10:11], off
	s_waitcnt vmcnt(36)
	buffer_store_dword v45, off, s[0:3], 0 offset:124
	buffer_store_dword v44, off, s[0:3], 0 offset:120
	buffer_store_dword v43, off, s[0:3], 0 offset:116
	buffer_store_dword v42, off, s[0:3], 0 offset:112
	s_waitcnt vmcnt(35)
	buffer_store_dword v85, off, s[0:3], 0 offset:140
	buffer_store_dword v84, off, s[0:3], 0 offset:136
	buffer_store_dword v83, off, s[0:3], 0 offset:132
	buffer_store_dword v82, off, s[0:3], 0 offset:128
	;; [unrolled: 5-line block ×22, first 2 shown]
	s_waitcnt vmcnt(14)
	buffer_store_dword v29, off, s[0:3], 0 offset:476
	buffer_store_dword v18, off, s[0:3], 0 offset:1320 ; 4-byte Folded Spill
	buffer_store_dword v19, off, s[0:3], 0 offset:1324 ; 4-byte Folded Spill
	v_lshlrev_b64 v[62:63], 4, v[162:163]
	v_add_nc_u32_e32 v42, s8, v162
	v_add_co_u32 v62, vcc_lo, v138, v62
	v_add_co_ci_u32_e64 v63, null, v139, v63, vcc_lo
	v_add_nc_u32_e32 v44, s8, v42
	v_ashrrev_i32_e32 v43, 31, v42
	v_add_nc_u32_e32 v64, s8, v44
	v_lshlrev_b64 v[42:43], 4, v[42:43]
	v_ashrrev_i32_e32 v45, 31, v44
	v_ashrrev_i32_e32 v65, 31, v64
	v_add_nc_u32_e32 v66, s8, v64
	v_lshlrev_b64 v[44:45], 4, v[44:45]
	v_add_co_u32 v68, vcc_lo, v138, v42
	v_add_co_ci_u32_e64 v69, null, v139, v43, vcc_lo
	v_lshlrev_b64 v[42:43], 4, v[64:65]
	v_add_co_u32 v70, vcc_lo, v138, v44
	v_add_co_ci_u32_e64 v71, null, v139, v45, vcc_lo
	v_ashrrev_i32_e32 v67, 31, v66
	v_add_co_u32 v72, vcc_lo, v138, v42
	v_add_co_ci_u32_e64 v73, null, v139, v43, vcc_lo
	v_add_nc_u32_e32 v74, s8, v66
	v_lshlrev_b64 v[76:77], 4, v[66:67]
	v_ashrrev_i32_e32 v75, 31, v74
	v_add_co_u32 v76, vcc_lo, v138, v76
	v_add_co_ci_u32_e64 v77, null, v139, v77, vcc_lo
	v_lshlrev_b64 v[78:79], 4, v[74:75]
	v_add_nc_u32_e32 v74, s8, v74
	v_add_co_u32 v78, vcc_lo, v138, v78
	v_ashrrev_i32_e32 v75, 31, v74
	v_add_co_ci_u32_e64 v79, null, v139, v79, vcc_lo
	v_add_nc_u32_e32 v82, s8, v74
	v_lshlrev_b64 v[86:87], 4, v[74:75]
	v_add_nc_u32_e32 v84, s8, v82
	v_ashrrev_i32_e32 v83, 31, v82
	v_add_co_u32 v86, vcc_lo, v138, v86
	v_add_co_ci_u32_e64 v87, null, v139, v87, vcc_lo
	v_add_nc_u32_e32 v88, s8, v84
	v_lshlrev_b64 v[82:83], 4, v[82:83]
	v_ashrrev_i32_e32 v85, 31, v84
	v_ashrrev_i32_e32 v89, 31, v88
	v_add_nc_u32_e32 v90, s8, v88
	v_lshlrev_b64 v[84:85], 4, v[84:85]
	v_add_co_u32 v92, vcc_lo, v138, v82
	v_add_co_ci_u32_e64 v93, null, v139, v83, vcc_lo
	v_lshlrev_b64 v[82:83], 4, v[88:89]
	v_add_co_u32 v94, vcc_lo, v138, v84
	v_add_co_ci_u32_e64 v95, null, v139, v85, vcc_lo
	v_ashrrev_i32_e32 v91, 31, v90
	v_add_co_u32 v96, vcc_lo, v138, v82
	v_add_co_ci_u32_e64 v97, null, v139, v83, vcc_lo
	v_add_nc_u32_e32 v98, s8, v90
	v_lshlrev_b64 v[100:101], 4, v[90:91]
	v_ashrrev_i32_e32 v99, 31, v98
	v_add_co_u32 v100, vcc_lo, v138, v100
	v_add_co_ci_u32_e64 v101, null, v139, v101, vcc_lo
	v_lshlrev_b64 v[102:103], 4, v[98:99]
	v_add_nc_u32_e32 v98, s8, v98
	v_add_co_u32 v102, vcc_lo, v138, v102
	v_ashrrev_i32_e32 v99, 31, v98
	v_add_co_ci_u32_e64 v103, null, v139, v103, vcc_lo
	v_add_nc_u32_e32 v106, s8, v98
	v_lshlrev_b64 v[110:111], 4, v[98:99]
	v_add_nc_u32_e32 v108, s8, v106
	v_ashrrev_i32_e32 v107, 31, v106
	s_movk_i32 s8, 0x50
	v_add_co_u32 v249, vcc_lo, v138, v110
	v_ashrrev_i32_e32 v109, 31, v108
	v_lshlrev_b64 v[106:107], 4, v[106:107]
	v_add_co_ci_u32_e64 v250, null, v139, v111, vcc_lo
	v_lshlrev_b64 v[110:111], 4, v[108:109]
	v_add_co_u32 v245, vcc_lo, v138, v106
	v_add_co_ci_u32_e64 v246, null, v139, v107, vcc_lo
	v_add_co_u32 v251, vcc_lo, v138, v110
	v_add_co_ci_u32_e64 v252, null, v139, v111, vcc_lo
	global_load_dwordx4 v[18:21], v[18:19], off
	buffer_store_dword v38, off, s[0:3], 0 offset:1328 ; 4-byte Folded Spill
	buffer_store_dword v39, off, s[0:3], 0 offset:1332 ; 4-byte Folded Spill
	global_load_dwordx4 v[38:41], v[38:39], off
	buffer_store_dword v62, off, s[0:3], 0 offset:1336 ; 4-byte Folded Spill
	buffer_store_dword v63, off, s[0:3], 0 offset:1340 ; 4-byte Folded Spill
	;; [unrolled: 3-line block ×13, first 2 shown]
	s_clause 0x2
	global_load_dwordx4 v[106:109], v[249:250], off
	global_load_dwordx4 v[110:113], v[245:246], off
	;; [unrolled: 1-line block ×3, first 2 shown]
	buffer_store_dword v28, off, s[0:3], 0 offset:472
	buffer_store_dword v27, off, s[0:3], 0 offset:468
	;; [unrolled: 1-line block ×3, first 2 shown]
	global_load_dwordx4 v[26:29], v[251:252], off
	s_waitcnt vmcnt(30)
	buffer_store_dword v37, off, s[0:3], 0 offset:492
	buffer_store_dword v36, off, s[0:3], 0 offset:488
	buffer_store_dword v35, off, s[0:3], 0 offset:484
	buffer_store_dword v34, off, s[0:3], 0 offset:480
	s_waitcnt vmcnt(29)
	buffer_store_dword v33, off, s[0:3], 0 offset:508
	buffer_store_dword v32, off, s[0:3], 0 offset:504
	buffer_store_dword v31, off, s[0:3], 0 offset:500
	buffer_store_dword v30, off, s[0:3], 0 offset:496
	;; [unrolled: 5-line block ×28, first 2 shown]
	buffer_store_dword v109, off, s[0:3], 0 offset:940
	buffer_store_dword v108, off, s[0:3], 0 offset:936
	buffer_store_dword v107, off, s[0:3], 0 offset:932
	buffer_store_dword v106, off, s[0:3], 0 offset:928
	buffer_store_dword v113, off, s[0:3], 0 offset:956
	buffer_store_dword v112, off, s[0:3], 0 offset:952
	buffer_store_dword v111, off, s[0:3], 0 offset:948
	buffer_store_dword v110, off, s[0:3], 0 offset:944
	s_waitcnt vmcnt(0)
	buffer_store_dword v29, off, s[0:3], 0 offset:972
	buffer_store_dword v28, off, s[0:3], 0 offset:968
	;; [unrolled: 1-line block ×3, first 2 shown]
	v_lshlrev_b32_e32 v2, 4, v1
	v_add3_u32 v255, 0, s4, v2
	v_cmp_eq_u32_e64 s4, 0, v0
	buffer_store_dword v26, off, s[0:3], 0 offset:960
	s_and_saveexec_b32 s43, s4
	s_cbranch_execz .LBB121_10
; %bb.2:
	global_load_dwordx4 v[2:5], v[253:254], off
	s_mov_b32 s6, 16
	s_waitcnt vmcnt(0)
	ds_write2_b64 v255, v[2:3], v[4:5] offset1:1
.LBB121_3:                              ; =>This Inner Loop Header: Depth=1
	v_mov_b32_e32 v61, s6
	v_add_nc_u32_e32 v62, s6, v241
	s_addk_i32 s6, 0xf0
	s_clause 0x3b
	buffer_load_dword v2, v61, s[0:3], 0 offen
	buffer_load_dword v3, v61, s[0:3], 0 offen offset:4
	buffer_load_dword v4, v61, s[0:3], 0 offen offset:8
	buffer_load_dword v5, v61, s[0:3], 0 offen offset:12
	buffer_load_dword v6, v61, s[0:3], 0 offen offset:16
	buffer_load_dword v7, v61, s[0:3], 0 offen offset:20
	buffer_load_dword v8, v61, s[0:3], 0 offen offset:24
	buffer_load_dword v9, v61, s[0:3], 0 offen offset:28
	buffer_load_dword v10, v61, s[0:3], 0 offen offset:32
	buffer_load_dword v11, v61, s[0:3], 0 offen offset:36
	buffer_load_dword v12, v61, s[0:3], 0 offen offset:40
	buffer_load_dword v13, v61, s[0:3], 0 offen offset:44
	buffer_load_dword v14, v61, s[0:3], 0 offen offset:48
	buffer_load_dword v15, v61, s[0:3], 0 offen offset:52
	buffer_load_dword v16, v61, s[0:3], 0 offen offset:56
	buffer_load_dword v17, v61, s[0:3], 0 offen offset:60
	buffer_load_dword v19, v61, s[0:3], 0 offen offset:76
	buffer_load_dword v21, v61, s[0:3], 0 offen offset:92
	buffer_load_dword v20, v61, s[0:3], 0 offen offset:88
	buffer_load_dword v23, v61, s[0:3], 0 offen offset:84
	buffer_load_dword v22, v61, s[0:3], 0 offen offset:80
	buffer_load_dword v18, v61, s[0:3], 0 offen offset:72
	buffer_load_dword v25, v61, s[0:3], 0 offen offset:68
	buffer_load_dword v24, v61, s[0:3], 0 offen offset:64
	buffer_load_dword v27, v61, s[0:3], 0 offen offset:108
	buffer_load_dword v29, v61, s[0:3], 0 offen offset:124
	buffer_load_dword v28, v61, s[0:3], 0 offen offset:120
	buffer_load_dword v31, v61, s[0:3], 0 offen offset:116
	buffer_load_dword v30, v61, s[0:3], 0 offen offset:112
	buffer_load_dword v26, v61, s[0:3], 0 offen offset:104
	buffer_load_dword v33, v61, s[0:3], 0 offen offset:100
	buffer_load_dword v32, v61, s[0:3], 0 offen offset:96
	buffer_load_dword v34, v61, s[0:3], 0 offen offset:128
	buffer_load_dword v35, v61, s[0:3], 0 offen offset:132
	buffer_load_dword v36, v61, s[0:3], 0 offen offset:136
	buffer_load_dword v37, v61, s[0:3], 0 offen offset:140
	buffer_load_dword v38, v61, s[0:3], 0 offen offset:144
	buffer_load_dword v39, v61, s[0:3], 0 offen offset:148
	buffer_load_dword v40, v61, s[0:3], 0 offen offset:152
	buffer_load_dword v41, v61, s[0:3], 0 offen offset:156
	buffer_load_dword v42, v61, s[0:3], 0 offen offset:160
	buffer_load_dword v43, v61, s[0:3], 0 offen offset:164
	buffer_load_dword v44, v61, s[0:3], 0 offen offset:168
	buffer_load_dword v45, v61, s[0:3], 0 offen offset:172
	buffer_load_dword v46, v61, s[0:3], 0 offen offset:176
	buffer_load_dword v47, v61, s[0:3], 0 offen offset:180
	buffer_load_dword v48, v61, s[0:3], 0 offen offset:184
	buffer_load_dword v49, v61, s[0:3], 0 offen offset:188
	buffer_load_dword v50, v61, s[0:3], 0 offen offset:192
	buffer_load_dword v51, v61, s[0:3], 0 offen offset:196
	buffer_load_dword v52, v61, s[0:3], 0 offen offset:200
	buffer_load_dword v53, v61, s[0:3], 0 offen offset:204
	buffer_load_dword v54, v61, s[0:3], 0 offen offset:208
	buffer_load_dword v55, v61, s[0:3], 0 offen offset:212
	buffer_load_dword v56, v61, s[0:3], 0 offen offset:216
	buffer_load_dword v57, v61, s[0:3], 0 offen offset:220
	buffer_load_dword v58, v61, s[0:3], 0 offen offset:224
	buffer_load_dword v59, v61, s[0:3], 0 offen offset:228
	buffer_load_dword v60, v61, s[0:3], 0 offen offset:232
	buffer_load_dword v61, v61, s[0:3], 0 offen offset:236
	s_cmpk_eq_i32 s6, 0x3d0
	s_waitcnt vmcnt(56)
	ds_write2_b64 v62, v[2:3], v[4:5] offset1:1
	s_waitcnt vmcnt(52)
	ds_write2_b64 v62, v[6:7], v[8:9] offset0:2 offset1:3
	s_waitcnt vmcnt(48)
	ds_write2_b64 v62, v[10:11], v[12:13] offset0:4 offset1:5
	;; [unrolled: 2-line block ×4, first 2 shown]
	ds_write2_b64 v62, v[22:23], v[20:21] offset0:10 offset1:11
	s_waitcnt vmcnt(28)
	ds_write2_b64 v62, v[32:33], v[26:27] offset0:12 offset1:13
	ds_write2_b64 v62, v[30:31], v[28:29] offset0:14 offset1:15
	s_waitcnt vmcnt(24)
	ds_write2_b64 v62, v[34:35], v[36:37] offset0:16 offset1:17
	s_waitcnt vmcnt(20)
	;; [unrolled: 2-line block ×7, first 2 shown]
	ds_write2_b64 v62, v[58:59], v[60:61] offset0:28 offset1:29
	s_cbranch_scc0 .LBB121_3
; %bb.4:
	ds_read2_b64 v[2:5], v255 offset1:1
	s_waitcnt lgkmcnt(0)
	v_cmp_neq_f64_e32 vcc_lo, 0, v[2:3]
	v_cmp_neq_f64_e64 s6, 0, v[4:5]
	s_or_b32 s6, vcc_lo, s6
	s_and_b32 exec_lo, exec_lo, s6
	s_cbranch_execz .LBB121_10
; %bb.5:
	v_cmp_ngt_f64_e64 s6, |v[2:3]|, |v[4:5]|
                                        ; implicit-def: $vgpr6_vgpr7
	s_and_saveexec_b32 s44, s6
	s_xor_b32 s6, exec_lo, s44
                                        ; implicit-def: $vgpr8_vgpr9
	s_cbranch_execz .LBB121_7
; %bb.6:
	v_div_scale_f64 v[6:7], null, v[4:5], v[4:5], v[2:3]
	v_div_scale_f64 v[12:13], vcc_lo, v[2:3], v[4:5], v[2:3]
	v_rcp_f64_e32 v[8:9], v[6:7]
	v_fma_f64 v[10:11], -v[6:7], v[8:9], 1.0
	v_fma_f64 v[8:9], v[8:9], v[10:11], v[8:9]
	v_fma_f64 v[10:11], -v[6:7], v[8:9], 1.0
	v_fma_f64 v[8:9], v[8:9], v[10:11], v[8:9]
	v_mul_f64 v[10:11], v[12:13], v[8:9]
	v_fma_f64 v[6:7], -v[6:7], v[10:11], v[12:13]
	v_div_fmas_f64 v[6:7], v[6:7], v[8:9], v[10:11]
	v_div_fixup_f64 v[6:7], v[6:7], v[4:5], v[2:3]
	v_fma_f64 v[2:3], v[2:3], v[6:7], v[4:5]
	v_div_scale_f64 v[4:5], null, v[2:3], v[2:3], 1.0
	v_rcp_f64_e32 v[8:9], v[4:5]
	v_fma_f64 v[10:11], -v[4:5], v[8:9], 1.0
	v_fma_f64 v[8:9], v[8:9], v[10:11], v[8:9]
	v_fma_f64 v[10:11], -v[4:5], v[8:9], 1.0
	v_fma_f64 v[8:9], v[8:9], v[10:11], v[8:9]
	v_div_scale_f64 v[10:11], vcc_lo, 1.0, v[2:3], 1.0
	v_mul_f64 v[12:13], v[10:11], v[8:9]
	v_fma_f64 v[4:5], -v[4:5], v[12:13], v[10:11]
	v_div_fmas_f64 v[4:5], v[4:5], v[8:9], v[12:13]
	v_div_fixup_f64 v[8:9], v[4:5], v[2:3], 1.0
                                        ; implicit-def: $vgpr2_vgpr3
	v_mul_f64 v[6:7], v[6:7], v[8:9]
	v_xor_b32_e32 v9, 0x80000000, v9
.LBB121_7:
	s_andn2_saveexec_b32 s6, s6
	s_cbranch_execz .LBB121_9
; %bb.8:
	v_div_scale_f64 v[6:7], null, v[2:3], v[2:3], v[4:5]
	v_div_scale_f64 v[12:13], vcc_lo, v[4:5], v[2:3], v[4:5]
	v_rcp_f64_e32 v[8:9], v[6:7]
	v_fma_f64 v[10:11], -v[6:7], v[8:9], 1.0
	v_fma_f64 v[8:9], v[8:9], v[10:11], v[8:9]
	v_fma_f64 v[10:11], -v[6:7], v[8:9], 1.0
	v_fma_f64 v[8:9], v[8:9], v[10:11], v[8:9]
	v_mul_f64 v[10:11], v[12:13], v[8:9]
	v_fma_f64 v[6:7], -v[6:7], v[10:11], v[12:13]
	v_div_fmas_f64 v[6:7], v[6:7], v[8:9], v[10:11]
	v_div_fixup_f64 v[8:9], v[6:7], v[2:3], v[4:5]
	v_fma_f64 v[2:3], v[4:5], v[8:9], v[2:3]
	v_div_scale_f64 v[4:5], null, v[2:3], v[2:3], 1.0
	v_rcp_f64_e32 v[6:7], v[4:5]
	v_fma_f64 v[10:11], -v[4:5], v[6:7], 1.0
	v_fma_f64 v[6:7], v[6:7], v[10:11], v[6:7]
	v_fma_f64 v[10:11], -v[4:5], v[6:7], 1.0
	v_fma_f64 v[6:7], v[6:7], v[10:11], v[6:7]
	v_div_scale_f64 v[10:11], vcc_lo, 1.0, v[2:3], 1.0
	v_mul_f64 v[12:13], v[10:11], v[6:7]
	v_fma_f64 v[4:5], -v[4:5], v[12:13], v[10:11]
	v_div_fmas_f64 v[4:5], v[4:5], v[6:7], v[12:13]
	v_div_fixup_f64 v[6:7], v[4:5], v[2:3], 1.0
	v_mul_f64 v[8:9], v[8:9], -v[6:7]
.LBB121_9:
	s_or_b32 exec_lo, exec_lo, s6
	ds_write2_b64 v255, v[6:7], v[8:9] offset1:1
.LBB121_10:
	s_or_b32 exec_lo, exec_lo, s43
	s_waitcnt lgkmcnt(0)
	s_waitcnt_vscnt null, 0x0
	s_barrier
	buffer_gl0_inv
	ds_read2_b64 v[117:120], v255 offset1:1
	v_mul_u32_u24_e32 v177, 0x3d0, v1
	s_mov_b32 s75, 16
	s_mov_b32 s74, 32
	;; [unrolled: 1-line block ×59, first 2 shown]
	s_and_saveexec_b32 s6, s5
	s_cbranch_execz .LBB121_13
; %bb.11:
	s_clause 0x3
	buffer_load_dword v1, off, s[0:3], 0 offset:8
	buffer_load_dword v2, off, s[0:3], 0 offset:12
	buffer_load_dword v3, off, s[0:3], 0
	buffer_load_dword v4, off, s[0:3], 0 offset:4
	s_mov_b32 s5, 16
	s_waitcnt vmcnt(2) lgkmcnt(0)
	v_mul_f64 v[5:6], v[119:120], v[1:2]
	v_mul_f64 v[1:2], v[117:118], v[1:2]
	s_waitcnt vmcnt(0)
	v_fma_f64 v[5:6], v[117:118], v[3:4], -v[5:6]
	v_fma_f64 v[7:8], v[119:120], v[3:4], v[1:2]
	buffer_store_dword v5, off, s[0:3], 0
	buffer_store_dword v6, off, s[0:3], 0 offset:4
	buffer_store_dword v7, off, s[0:3], 0 offset:8
	;; [unrolled: 1-line block ×3, first 2 shown]
.LBB121_12:                             ; =>This Inner Loop Header: Depth=1
	v_mov_b32_e32 v77, s5
	v_add_nc_u32_e32 v25, s5, v241
	s_addk_i32 s5, 0x60
	s_clause 0x17
	buffer_load_dword v29, v77, s[0:3], 0 offen
	buffer_load_dword v30, v77, s[0:3], 0 offen offset:4
	buffer_load_dword v31, v77, s[0:3], 0 offen offset:8
	;; [unrolled: 1-line block ×23, first 2 shown]
	ds_read2_b64 v[1:4], v25 offset1:1
	ds_read2_b64 v[9:12], v25 offset0:2 offset1:3
	ds_read2_b64 v[13:16], v25 offset0:4 offset1:5
	;; [unrolled: 1-line block ×5, first 2 shown]
	s_cmpk_lg_i32 s5, 0x3d0
	s_waitcnt lgkmcnt(5)
	v_mul_f64 v[53:54], v[3:4], v[7:8]
	v_mul_f64 v[55:56], v[1:2], v[7:8]
	s_waitcnt lgkmcnt(4)
	v_mul_f64 v[57:58], v[11:12], v[7:8]
	v_mul_f64 v[59:60], v[9:10], v[7:8]
	;; [unrolled: 3-line block ×6, first 2 shown]
	v_fma_f64 v[1:2], v[1:2], v[5:6], -v[53:54]
	v_fma_f64 v[3:4], v[3:4], v[5:6], v[55:56]
	v_fma_f64 v[9:10], v[9:10], v[5:6], -v[57:58]
	v_fma_f64 v[11:12], v[11:12], v[5:6], v[59:60]
	;; [unrolled: 2-line block ×6, first 2 shown]
	s_waitcnt vmcnt(22)
	v_add_f64 v[1:2], v[29:30], -v[1:2]
	s_waitcnt vmcnt(20)
	v_add_f64 v[3:4], v[31:32], -v[3:4]
	;; [unrolled: 2-line block ×12, first 2 shown]
	buffer_store_dword v1, v77, s[0:3], 0 offen
	buffer_store_dword v2, v77, s[0:3], 0 offen offset:4
	buffer_store_dword v3, v77, s[0:3], 0 offen offset:8
	;; [unrolled: 1-line block ×23, first 2 shown]
	s_cbranch_scc1 .LBB121_12
.LBB121_13:
	s_or_b32 exec_lo, exec_lo, s6
	s_mov_b32 s6, exec_lo
	s_waitcnt lgkmcnt(0)
	s_waitcnt_vscnt null, 0x0
	s_barrier
	buffer_gl0_inv
	v_cmpx_eq_u32_e32 1, v0
	s_cbranch_execz .LBB121_24
; %bb.14:
	v_mov_b32_e32 v4, s75
	s_mov_b32 s5, 32
	s_clause 0x3
	buffer_load_dword v1, v4, s[0:3], 0 offen
	buffer_load_dword v2, v4, s[0:3], 0 offen offset:4
	buffer_load_dword v3, v4, s[0:3], 0 offen offset:8
	buffer_load_dword v4, v4, s[0:3], 0 offen offset:12
	s_waitcnt vmcnt(0)
	ds_write2_b64 v255, v[1:2], v[3:4] offset1:1
	s_branch .LBB121_16
.LBB121_15:                             ;   in Loop: Header=BB121_16 Depth=1
	s_andn2_b32 vcc_lo, exec_lo, s8
	s_cbranch_vccz .LBB121_18
.LBB121_16:                             ; =>This Inner Loop Header: Depth=1
	v_mov_b32_e32 v1, s5
	s_mov_b32 s7, s5
	s_mov_b32 s8, -1
	s_cmpk_eq_i32 s5, 0x3a0
	s_clause 0xb
	buffer_load_dword v2, v1, s[0:3], 0 offen
	buffer_load_dword v3, v1, s[0:3], 0 offen offset:4
	buffer_load_dword v4, v1, s[0:3], 0 offen offset:8
	buffer_load_dword v5, v1, s[0:3], 0 offen offset:12
	buffer_load_dword v6, v1, s[0:3], 0 offen offset:16
	buffer_load_dword v7, v1, s[0:3], 0 offen offset:20
	buffer_load_dword v8, v1, s[0:3], 0 offen offset:24
	buffer_load_dword v9, v1, s[0:3], 0 offen offset:28
	buffer_load_dword v10, v1, s[0:3], 0 offen offset:32
	buffer_load_dword v11, v1, s[0:3], 0 offen offset:36
	buffer_load_dword v12, v1, s[0:3], 0 offen offset:40
	buffer_load_dword v13, v1, s[0:3], 0 offen offset:44
	v_add_nc_u32_e32 v1, s5, v241
	s_waitcnt vmcnt(8)
	ds_write2_b64 v1, v[2:3], v[4:5] offset1:1
	s_waitcnt vmcnt(4)
	ds_write2_b64 v1, v[6:7], v[8:9] offset0:2 offset1:3
	s_waitcnt vmcnt(0)
	ds_write2_b64 v1, v[10:11], v[12:13] offset0:4 offset1:5
	s_cbranch_scc1 .LBB121_15
; %bb.17:                               ;   in Loop: Header=BB121_16 Depth=1
	v_mov_b32_e32 v20, s7
	s_addk_i32 s5, 0x80
	s_mov_b32 s8, 0
	s_clause 0x13
	buffer_load_dword v2, v20, s[0:3], 0 offen offset:48
	buffer_load_dword v3, v20, s[0:3], 0 offen offset:52
	;; [unrolled: 1-line block ×20, first 2 shown]
	s_waitcnt vmcnt(16)
	ds_write2_b64 v1, v[2:3], v[4:5] offset0:6 offset1:7
	s_waitcnt vmcnt(12)
	ds_write2_b64 v1, v[6:7], v[8:9] offset0:8 offset1:9
	;; [unrolled: 2-line block ×5, first 2 shown]
	s_branch .LBB121_15
.LBB121_18:
	ds_read2_b64 v[5:8], v255 offset1:1
	s_waitcnt lgkmcnt(0)
	v_cmp_neq_f64_e32 vcc_lo, 0, v[5:6]
	v_cmp_neq_f64_e64 s5, 0, v[7:8]
	s_or_b32 s5, vcc_lo, s5
	s_and_b32 exec_lo, exec_lo, s5
	s_cbranch_execz .LBB121_24
; %bb.19:
	v_cmp_ngt_f64_e64 s5, |v[5:6]|, |v[7:8]|
                                        ; implicit-def: $vgpr1_vgpr2
	s_and_saveexec_b32 s7, s5
	s_xor_b32 s5, exec_lo, s7
                                        ; implicit-def: $vgpr3_vgpr4
	s_cbranch_execz .LBB121_21
; %bb.20:
	v_div_scale_f64 v[1:2], null, v[7:8], v[7:8], v[5:6]
	v_div_scale_f64 v[11:12], vcc_lo, v[5:6], v[7:8], v[5:6]
	v_rcp_f64_e32 v[3:4], v[1:2]
	v_fma_f64 v[9:10], -v[1:2], v[3:4], 1.0
	v_fma_f64 v[3:4], v[3:4], v[9:10], v[3:4]
	v_fma_f64 v[9:10], -v[1:2], v[3:4], 1.0
	v_fma_f64 v[3:4], v[3:4], v[9:10], v[3:4]
	v_mul_f64 v[9:10], v[11:12], v[3:4]
	v_fma_f64 v[1:2], -v[1:2], v[9:10], v[11:12]
	v_div_fmas_f64 v[1:2], v[1:2], v[3:4], v[9:10]
	v_div_fixup_f64 v[1:2], v[1:2], v[7:8], v[5:6]
	v_fma_f64 v[3:4], v[5:6], v[1:2], v[7:8]
	v_div_scale_f64 v[5:6], null, v[3:4], v[3:4], 1.0
	v_rcp_f64_e32 v[7:8], v[5:6]
	v_fma_f64 v[9:10], -v[5:6], v[7:8], 1.0
	v_fma_f64 v[7:8], v[7:8], v[9:10], v[7:8]
	v_fma_f64 v[9:10], -v[5:6], v[7:8], 1.0
	v_fma_f64 v[7:8], v[7:8], v[9:10], v[7:8]
	v_div_scale_f64 v[9:10], vcc_lo, 1.0, v[3:4], 1.0
	v_mul_f64 v[11:12], v[9:10], v[7:8]
	v_fma_f64 v[5:6], -v[5:6], v[11:12], v[9:10]
	v_div_fmas_f64 v[5:6], v[5:6], v[7:8], v[11:12]
	v_div_fixup_f64 v[3:4], v[5:6], v[3:4], 1.0
                                        ; implicit-def: $vgpr5_vgpr6
	v_mul_f64 v[1:2], v[1:2], v[3:4]
	v_xor_b32_e32 v4, 0x80000000, v4
.LBB121_21:
	s_andn2_saveexec_b32 s5, s5
	s_cbranch_execz .LBB121_23
; %bb.22:
	v_div_scale_f64 v[1:2], null, v[5:6], v[5:6], v[7:8]
	v_div_scale_f64 v[11:12], vcc_lo, v[7:8], v[5:6], v[7:8]
	v_rcp_f64_e32 v[3:4], v[1:2]
	v_fma_f64 v[9:10], -v[1:2], v[3:4], 1.0
	v_fma_f64 v[3:4], v[3:4], v[9:10], v[3:4]
	v_fma_f64 v[9:10], -v[1:2], v[3:4], 1.0
	v_fma_f64 v[3:4], v[3:4], v[9:10], v[3:4]
	v_mul_f64 v[9:10], v[11:12], v[3:4]
	v_fma_f64 v[1:2], -v[1:2], v[9:10], v[11:12]
	v_div_fmas_f64 v[1:2], v[1:2], v[3:4], v[9:10]
	v_div_fixup_f64 v[3:4], v[1:2], v[5:6], v[7:8]
	v_fma_f64 v[1:2], v[7:8], v[3:4], v[5:6]
	v_div_scale_f64 v[5:6], null, v[1:2], v[1:2], 1.0
	v_rcp_f64_e32 v[7:8], v[5:6]
	v_fma_f64 v[9:10], -v[5:6], v[7:8], 1.0
	v_fma_f64 v[7:8], v[7:8], v[9:10], v[7:8]
	v_fma_f64 v[9:10], -v[5:6], v[7:8], 1.0
	v_fma_f64 v[7:8], v[7:8], v[9:10], v[7:8]
	v_div_scale_f64 v[9:10], vcc_lo, 1.0, v[1:2], 1.0
	v_mul_f64 v[11:12], v[9:10], v[7:8]
	v_fma_f64 v[5:6], -v[5:6], v[11:12], v[9:10]
	v_div_fmas_f64 v[5:6], v[5:6], v[7:8], v[11:12]
	v_div_fixup_f64 v[1:2], v[5:6], v[1:2], 1.0
	v_mul_f64 v[3:4], v[3:4], -v[1:2]
.LBB121_23:
	s_or_b32 exec_lo, exec_lo, s5
	ds_write2_b64 v255, v[1:2], v[3:4] offset1:1
.LBB121_24:
	s_or_b32 exec_lo, exec_lo, s6
	s_waitcnt lgkmcnt(0)
	s_barrier
	buffer_gl0_inv
	ds_read2_b64 v[69:72], v255 offset1:1
	s_mov_b32 s5, exec_lo
	v_cmpx_lt_u32_e32 1, v0
	s_cbranch_execz .LBB121_29
; %bb.25:
	s_clause 0x3
	buffer_load_dword v1, off, s[0:3], 0 offset:24
	buffer_load_dword v2, off, s[0:3], 0 offset:28
	;; [unrolled: 1-line block ×4, first 2 shown]
	s_mov_b32 s6, 32
	s_waitcnt vmcnt(2) lgkmcnt(0)
	v_mul_f64 v[9:10], v[71:72], v[1:2]
	v_mul_f64 v[1:2], v[69:70], v[1:2]
	s_waitcnt vmcnt(0)
	v_fma_f64 v[9:10], v[69:70], v[3:4], -v[9:10]
	v_fma_f64 v[11:12], v[71:72], v[3:4], v[1:2]
	buffer_store_dword v9, off, s[0:3], 0 offset:16
	buffer_store_dword v10, off, s[0:3], 0 offset:20
	;; [unrolled: 1-line block ×4, first 2 shown]
	s_branch .LBB121_27
.LBB121_26:                             ;   in Loop: Header=BB121_27 Depth=1
	s_andn2_b32 vcc_lo, exec_lo, s8
	s_cbranch_vccz .LBB121_29
.LBB121_27:                             ; =>This Inner Loop Header: Depth=1
	v_mov_b32_e32 v4, s6
	v_add_nc_u32_e32 v1, s6, v241
	s_mov_b32 s7, s6
	s_mov_b32 s8, -1
	s_cmpk_eq_i32 s6, 0x3a0
	s_clause 0xb
	buffer_load_dword v2, v4, s[0:3], 0 offen
	buffer_load_dword v3, v4, s[0:3], 0 offen offset:4
	buffer_load_dword v25, v4, s[0:3], 0 offen offset:8
	buffer_load_dword v26, v4, s[0:3], 0 offen offset:12
	buffer_load_dword v27, v4, s[0:3], 0 offen offset:16
	buffer_load_dword v28, v4, s[0:3], 0 offen offset:20
	buffer_load_dword v29, v4, s[0:3], 0 offen offset:24
	buffer_load_dword v30, v4, s[0:3], 0 offen offset:28
	buffer_load_dword v31, v4, s[0:3], 0 offen offset:32
	buffer_load_dword v32, v4, s[0:3], 0 offen offset:36
	buffer_load_dword v33, v4, s[0:3], 0 offen offset:40
	buffer_load_dword v34, v4, s[0:3], 0 offen offset:44
	ds_read2_b64 v[13:16], v1 offset1:1
	ds_read2_b64 v[17:20], v1 offset0:2 offset1:3
	ds_read2_b64 v[21:24], v1 offset0:4 offset1:5
	s_waitcnt lgkmcnt(2)
	v_mul_f64 v[35:36], v[15:16], v[11:12]
	v_mul_f64 v[37:38], v[13:14], v[11:12]
	s_waitcnt lgkmcnt(1)
	v_mul_f64 v[39:40], v[19:20], v[11:12]
	v_mul_f64 v[41:42], v[17:18], v[11:12]
	s_waitcnt lgkmcnt(0)
	v_mul_f64 v[43:44], v[23:24], v[11:12]
	v_mul_f64 v[45:46], v[21:22], v[11:12]
	v_fma_f64 v[13:14], v[13:14], v[9:10], -v[35:36]
	v_fma_f64 v[15:16], v[15:16], v[9:10], v[37:38]
	v_fma_f64 v[17:18], v[17:18], v[9:10], -v[39:40]
	v_fma_f64 v[19:20], v[19:20], v[9:10], v[41:42]
	v_fma_f64 v[21:22], v[21:22], v[9:10], -v[43:44]
	v_fma_f64 v[23:24], v[23:24], v[9:10], v[45:46]
	s_waitcnt vmcnt(10)
	v_add_f64 v[2:3], v[2:3], -v[13:14]
	s_waitcnt vmcnt(8)
	v_add_f64 v[13:14], v[25:26], -v[15:16]
	;; [unrolled: 2-line block ×6, first 2 shown]
	buffer_store_dword v2, v4, s[0:3], 0 offen
	buffer_store_dword v3, v4, s[0:3], 0 offen offset:4
	buffer_store_dword v13, v4, s[0:3], 0 offen offset:8
	buffer_store_dword v14, v4, s[0:3], 0 offen offset:12
	buffer_store_dword v15, v4, s[0:3], 0 offen offset:16
	buffer_store_dword v16, v4, s[0:3], 0 offen offset:20
	buffer_store_dword v17, v4, s[0:3], 0 offen offset:24
	buffer_store_dword v18, v4, s[0:3], 0 offen offset:28
	buffer_store_dword v19, v4, s[0:3], 0 offen offset:32
	buffer_store_dword v20, v4, s[0:3], 0 offen offset:36
	buffer_store_dword v21, v4, s[0:3], 0 offen offset:40
	buffer_store_dword v22, v4, s[0:3], 0 offen offset:44
	s_cbranch_scc1 .LBB121_26
; %bb.28:                               ;   in Loop: Header=BB121_27 Depth=1
	v_mov_b32_e32 v5, s7
	s_add_i32 s6, s6, 64
	s_mov_b32 s8, 0
	s_clause 0x3
	buffer_load_dword v13, v5, s[0:3], 0 offen offset:48
	buffer_load_dword v14, v5, s[0:3], 0 offen offset:52
	;; [unrolled: 1-line block ×4, first 2 shown]
	ds_read2_b64 v[1:4], v1 offset0:6 offset1:7
	s_waitcnt lgkmcnt(0)
	v_mul_f64 v[17:18], v[3:4], v[11:12]
	v_mul_f64 v[19:20], v[1:2], v[11:12]
	v_fma_f64 v[1:2], v[1:2], v[9:10], -v[17:18]
	v_fma_f64 v[3:4], v[3:4], v[9:10], v[19:20]
	s_waitcnt vmcnt(2)
	v_add_f64 v[1:2], v[13:14], -v[1:2]
	s_waitcnt vmcnt(0)
	v_add_f64 v[3:4], v[15:16], -v[3:4]
	buffer_store_dword v1, v5, s[0:3], 0 offen offset:48
	buffer_store_dword v2, v5, s[0:3], 0 offen offset:52
	;; [unrolled: 1-line block ×4, first 2 shown]
	s_branch .LBB121_26
.LBB121_29:
	s_or_b32 exec_lo, exec_lo, s5
	s_mov_b32 s6, exec_lo
	s_waitcnt lgkmcnt(0)
	s_waitcnt_vscnt null, 0x0
	s_barrier
	buffer_gl0_inv
	v_cmpx_eq_u32_e32 2, v0
	s_cbranch_execz .LBB121_38
; %bb.30:
	v_mov_b32_e32 v4, s74
	s_mov_b32 s5, 48
	s_clause 0x3
	buffer_load_dword v1, v4, s[0:3], 0 offen
	buffer_load_dword v2, v4, s[0:3], 0 offen offset:4
	buffer_load_dword v3, v4, s[0:3], 0 offen offset:8
	buffer_load_dword v4, v4, s[0:3], 0 offen offset:12
	s_waitcnt vmcnt(0)
	ds_write2_b64 v255, v[1:2], v[3:4] offset1:1
	.p2align	6
.LBB121_31:                             ; =>This Inner Loop Header: Depth=1
	v_mov_b32_e32 v5, s5
	s_clause 0x7
	buffer_load_dword v1, v5, s[0:3], 0 offen
	buffer_load_dword v2, v5, s[0:3], 0 offen offset:4
	buffer_load_dword v3, v5, s[0:3], 0 offen offset:8
	;; [unrolled: 1-line block ×7, first 2 shown]
	v_add_nc_u32_e32 v5, s5, v241
	s_add_i32 s5, s5, 32
	s_waitcnt vmcnt(4)
	ds_write2_b64 v5, v[1:2], v[3:4] offset1:1
	s_waitcnt vmcnt(0)
	ds_write2_b64 v5, v[9:10], v[11:12] offset0:2 offset1:3
	s_cmpk_lg_i32 s5, 0x3d0
	s_cbranch_scc1 .LBB121_31
; %bb.32:
	ds_read2_b64 v[9:12], v255 offset1:1
	s_waitcnt lgkmcnt(0)
	v_cmp_neq_f64_e32 vcc_lo, 0, v[9:10]
	v_cmp_neq_f64_e64 s5, 0, v[11:12]
	s_or_b32 s5, vcc_lo, s5
	s_and_b32 exec_lo, exec_lo, s5
	s_cbranch_execz .LBB121_38
; %bb.33:
	v_cmp_ngt_f64_e64 s5, |v[9:10]|, |v[11:12]|
                                        ; implicit-def: $vgpr1_vgpr2
	s_and_saveexec_b32 s7, s5
	s_xor_b32 s5, exec_lo, s7
                                        ; implicit-def: $vgpr3_vgpr4
	s_cbranch_execz .LBB121_35
; %bb.34:
	v_div_scale_f64 v[1:2], null, v[11:12], v[11:12], v[9:10]
	v_div_scale_f64 v[15:16], vcc_lo, v[9:10], v[11:12], v[9:10]
	v_rcp_f64_e32 v[3:4], v[1:2]
	v_fma_f64 v[13:14], -v[1:2], v[3:4], 1.0
	v_fma_f64 v[3:4], v[3:4], v[13:14], v[3:4]
	v_fma_f64 v[13:14], -v[1:2], v[3:4], 1.0
	v_fma_f64 v[3:4], v[3:4], v[13:14], v[3:4]
	v_mul_f64 v[13:14], v[15:16], v[3:4]
	v_fma_f64 v[1:2], -v[1:2], v[13:14], v[15:16]
	v_div_fmas_f64 v[1:2], v[1:2], v[3:4], v[13:14]
	v_div_fixup_f64 v[1:2], v[1:2], v[11:12], v[9:10]
	v_fma_f64 v[3:4], v[9:10], v[1:2], v[11:12]
	v_div_scale_f64 v[9:10], null, v[3:4], v[3:4], 1.0
	v_rcp_f64_e32 v[11:12], v[9:10]
	v_fma_f64 v[13:14], -v[9:10], v[11:12], 1.0
	v_fma_f64 v[11:12], v[11:12], v[13:14], v[11:12]
	v_fma_f64 v[13:14], -v[9:10], v[11:12], 1.0
	v_fma_f64 v[11:12], v[11:12], v[13:14], v[11:12]
	v_div_scale_f64 v[13:14], vcc_lo, 1.0, v[3:4], 1.0
	v_mul_f64 v[15:16], v[13:14], v[11:12]
	v_fma_f64 v[9:10], -v[9:10], v[15:16], v[13:14]
	v_div_fmas_f64 v[9:10], v[9:10], v[11:12], v[15:16]
	v_div_fixup_f64 v[3:4], v[9:10], v[3:4], 1.0
                                        ; implicit-def: $vgpr9_vgpr10
	v_mul_f64 v[1:2], v[1:2], v[3:4]
	v_xor_b32_e32 v4, 0x80000000, v4
.LBB121_35:
	s_andn2_saveexec_b32 s5, s5
	s_cbranch_execz .LBB121_37
; %bb.36:
	v_div_scale_f64 v[1:2], null, v[9:10], v[9:10], v[11:12]
	v_div_scale_f64 v[15:16], vcc_lo, v[11:12], v[9:10], v[11:12]
	v_rcp_f64_e32 v[3:4], v[1:2]
	v_fma_f64 v[13:14], -v[1:2], v[3:4], 1.0
	v_fma_f64 v[3:4], v[3:4], v[13:14], v[3:4]
	v_fma_f64 v[13:14], -v[1:2], v[3:4], 1.0
	v_fma_f64 v[3:4], v[3:4], v[13:14], v[3:4]
	v_mul_f64 v[13:14], v[15:16], v[3:4]
	v_fma_f64 v[1:2], -v[1:2], v[13:14], v[15:16]
	v_div_fmas_f64 v[1:2], v[1:2], v[3:4], v[13:14]
	v_div_fixup_f64 v[3:4], v[1:2], v[9:10], v[11:12]
	v_fma_f64 v[1:2], v[11:12], v[3:4], v[9:10]
	v_div_scale_f64 v[9:10], null, v[1:2], v[1:2], 1.0
	v_rcp_f64_e32 v[11:12], v[9:10]
	v_fma_f64 v[13:14], -v[9:10], v[11:12], 1.0
	v_fma_f64 v[11:12], v[11:12], v[13:14], v[11:12]
	v_fma_f64 v[13:14], -v[9:10], v[11:12], 1.0
	v_fma_f64 v[11:12], v[11:12], v[13:14], v[11:12]
	v_div_scale_f64 v[13:14], vcc_lo, 1.0, v[1:2], 1.0
	v_mul_f64 v[15:16], v[13:14], v[11:12]
	v_fma_f64 v[9:10], -v[9:10], v[15:16], v[13:14]
	v_div_fmas_f64 v[9:10], v[9:10], v[11:12], v[15:16]
	v_div_fixup_f64 v[1:2], v[9:10], v[1:2], 1.0
	v_mul_f64 v[3:4], v[3:4], -v[1:2]
.LBB121_37:
	s_or_b32 exec_lo, exec_lo, s5
	ds_write2_b64 v255, v[1:2], v[3:4] offset1:1
.LBB121_38:
	s_or_b32 exec_lo, exec_lo, s6
	s_waitcnt lgkmcnt(0)
	s_barrier
	buffer_gl0_inv
	ds_read2_b64 v[7:10], v255 offset1:1
	s_mov_b32 s5, exec_lo
	v_cmpx_lt_u32_e32 2, v0
	s_cbranch_execz .LBB121_41
; %bb.39:
	s_clause 0x3
	buffer_load_dword v1, off, s[0:3], 0 offset:40
	buffer_load_dword v2, off, s[0:3], 0 offset:44
	;; [unrolled: 1-line block ×4, first 2 shown]
	s_mov_b32 s6, 48
	s_waitcnt vmcnt(2) lgkmcnt(0)
	v_mul_f64 v[13:14], v[9:10], v[1:2]
	v_mul_f64 v[1:2], v[7:8], v[1:2]
	s_waitcnt vmcnt(0)
	v_fma_f64 v[13:14], v[7:8], v[3:4], -v[13:14]
	v_fma_f64 v[15:16], v[9:10], v[3:4], v[1:2]
	buffer_store_dword v13, off, s[0:3], 0 offset:32
	buffer_store_dword v14, off, s[0:3], 0 offset:36
	;; [unrolled: 1-line block ×4, first 2 shown]
.LBB121_40:                             ; =>This Inner Loop Header: Depth=1
	v_mov_b32_e32 v5, s6
	v_add_nc_u32_e32 v6, s6, v241
	s_add_i32 s6, s6, 32
	s_clause 0x3
	buffer_load_dword v21, v5, s[0:3], 0 offen
	buffer_load_dword v22, v5, s[0:3], 0 offen offset:4
	buffer_load_dword v23, v5, s[0:3], 0 offen offset:8
	;; [unrolled: 1-line block ×3, first 2 shown]
	ds_read2_b64 v[1:4], v6 offset1:1
	ds_read2_b64 v[17:20], v6 offset0:2 offset1:3
	s_cmpk_lg_i32 s6, 0x3d0
	s_waitcnt lgkmcnt(1)
	v_mul_f64 v[25:26], v[3:4], v[15:16]
	v_mul_f64 v[15:16], v[1:2], v[15:16]
	v_fma_f64 v[1:2], v[1:2], v[13:14], -v[25:26]
	v_fma_f64 v[3:4], v[3:4], v[13:14], v[15:16]
	s_clause 0x1
	buffer_load_dword v25, v5, s[0:3], 0 offen offset:20
	buffer_load_dword v27, v5, s[0:3], 0 offen offset:28
	s_waitcnt vmcnt(4)
	v_add_f64 v[1:2], v[21:22], -v[1:2]
	s_waitcnt vmcnt(2)
	v_add_f64 v[3:4], v[23:24], -v[3:4]
	s_clause 0x1
	buffer_load_dword v24, v5, s[0:3], 0 offen offset:16
	buffer_load_dword v26, v5, s[0:3], 0 offen offset:24
	buffer_store_dword v2, v5, s[0:3], 0 offen offset:4
	buffer_store_dword v1, v5, s[0:3], 0 offen
	buffer_store_dword v4, v5, s[0:3], 0 offen offset:12
	buffer_store_dword v3, v5, s[0:3], 0 offen offset:8
	s_clause 0x3
	buffer_load_dword v16, off, s[0:3], 0 offset:44
	buffer_load_dword v15, off, s[0:3], 0 offset:40
	;; [unrolled: 1-line block ×4, first 2 shown]
	s_waitcnt vmcnt(2) lgkmcnt(0)
	v_mul_f64 v[1:2], v[19:20], v[15:16]
	v_mul_f64 v[3:4], v[17:18], v[15:16]
	s_waitcnt vmcnt(0)
	v_fma_f64 v[1:2], v[17:18], v[13:14], -v[1:2]
	v_fma_f64 v[3:4], v[19:20], v[13:14], v[3:4]
	v_add_f64 v[1:2], v[24:25], -v[1:2]
	v_add_f64 v[3:4], v[26:27], -v[3:4]
	buffer_store_dword v2, v5, s[0:3], 0 offen offset:20
	buffer_store_dword v1, v5, s[0:3], 0 offen offset:16
	;; [unrolled: 1-line block ×4, first 2 shown]
	s_cbranch_scc1 .LBB121_40
.LBB121_41:
	s_or_b32 exec_lo, exec_lo, s5
	s_mov_b32 s6, exec_lo
	s_waitcnt lgkmcnt(0)
	s_waitcnt_vscnt null, 0x0
	s_barrier
	buffer_gl0_inv
	v_cmpx_eq_u32_e32 3, v0
	s_cbranch_execz .LBB121_50
; %bb.42:
	v_mov_b32_e32 v4, s73
	s_mov_b32 s5, 64
	s_clause 0x3
	buffer_load_dword v1, v4, s[0:3], 0 offen
	buffer_load_dword v2, v4, s[0:3], 0 offen offset:4
	buffer_load_dword v3, v4, s[0:3], 0 offen offset:8
	;; [unrolled: 1-line block ×3, first 2 shown]
	s_waitcnt vmcnt(0)
	ds_write2_b64 v255, v[1:2], v[3:4] offset1:1
	s_inst_prefetch 0x1
	.p2align	6
.LBB121_43:                             ; =>This Inner Loop Header: Depth=1
	v_mov_b32_e32 v5, s5
	s_clause 0xb
	buffer_load_dword v1, v5, s[0:3], 0 offen
	buffer_load_dword v2, v5, s[0:3], 0 offen offset:4
	buffer_load_dword v3, v5, s[0:3], 0 offen offset:8
	;; [unrolled: 1-line block ×11, first 2 shown]
	v_add_nc_u32_e32 v5, s5, v241
	s_add_i32 s5, s5, 48
	s_waitcnt vmcnt(8)
	ds_write2_b64 v5, v[1:2], v[3:4] offset1:1
	s_waitcnt vmcnt(4)
	ds_write2_b64 v5, v[13:14], v[15:16] offset0:2 offset1:3
	s_waitcnt vmcnt(0)
	ds_write2_b64 v5, v[17:18], v[19:20] offset0:4 offset1:5
	s_cmpk_lg_i32 s5, 0x3d0
	s_cbranch_scc1 .LBB121_43
; %bb.44:
	s_inst_prefetch 0x2
	ds_read2_b64 v[13:16], v255 offset1:1
	s_waitcnt lgkmcnt(0)
	v_cmp_neq_f64_e32 vcc_lo, 0, v[13:14]
	v_cmp_neq_f64_e64 s5, 0, v[15:16]
	s_or_b32 s5, vcc_lo, s5
	s_and_b32 exec_lo, exec_lo, s5
	s_cbranch_execz .LBB121_50
; %bb.45:
	v_cmp_ngt_f64_e64 s5, |v[13:14]|, |v[15:16]|
                                        ; implicit-def: $vgpr1_vgpr2
	s_and_saveexec_b32 s7, s5
	s_xor_b32 s5, exec_lo, s7
                                        ; implicit-def: $vgpr3_vgpr4
	s_cbranch_execz .LBB121_47
; %bb.46:
	v_div_scale_f64 v[1:2], null, v[15:16], v[15:16], v[13:14]
	v_div_scale_f64 v[19:20], vcc_lo, v[13:14], v[15:16], v[13:14]
	v_rcp_f64_e32 v[3:4], v[1:2]
	v_fma_f64 v[17:18], -v[1:2], v[3:4], 1.0
	v_fma_f64 v[3:4], v[3:4], v[17:18], v[3:4]
	v_fma_f64 v[17:18], -v[1:2], v[3:4], 1.0
	v_fma_f64 v[3:4], v[3:4], v[17:18], v[3:4]
	v_mul_f64 v[17:18], v[19:20], v[3:4]
	v_fma_f64 v[1:2], -v[1:2], v[17:18], v[19:20]
	v_div_fmas_f64 v[1:2], v[1:2], v[3:4], v[17:18]
	v_div_fixup_f64 v[1:2], v[1:2], v[15:16], v[13:14]
	v_fma_f64 v[3:4], v[13:14], v[1:2], v[15:16]
	v_div_scale_f64 v[13:14], null, v[3:4], v[3:4], 1.0
	v_rcp_f64_e32 v[15:16], v[13:14]
	v_fma_f64 v[17:18], -v[13:14], v[15:16], 1.0
	v_fma_f64 v[15:16], v[15:16], v[17:18], v[15:16]
	v_fma_f64 v[17:18], -v[13:14], v[15:16], 1.0
	v_fma_f64 v[15:16], v[15:16], v[17:18], v[15:16]
	v_div_scale_f64 v[17:18], vcc_lo, 1.0, v[3:4], 1.0
	v_mul_f64 v[19:20], v[17:18], v[15:16]
	v_fma_f64 v[13:14], -v[13:14], v[19:20], v[17:18]
	v_div_fmas_f64 v[13:14], v[13:14], v[15:16], v[19:20]
	v_div_fixup_f64 v[3:4], v[13:14], v[3:4], 1.0
                                        ; implicit-def: $vgpr13_vgpr14
	v_mul_f64 v[1:2], v[1:2], v[3:4]
	v_xor_b32_e32 v4, 0x80000000, v4
.LBB121_47:
	s_andn2_saveexec_b32 s5, s5
	s_cbranch_execz .LBB121_49
; %bb.48:
	v_div_scale_f64 v[1:2], null, v[13:14], v[13:14], v[15:16]
	v_div_scale_f64 v[19:20], vcc_lo, v[15:16], v[13:14], v[15:16]
	v_rcp_f64_e32 v[3:4], v[1:2]
	v_fma_f64 v[17:18], -v[1:2], v[3:4], 1.0
	v_fma_f64 v[3:4], v[3:4], v[17:18], v[3:4]
	v_fma_f64 v[17:18], -v[1:2], v[3:4], 1.0
	v_fma_f64 v[3:4], v[3:4], v[17:18], v[3:4]
	v_mul_f64 v[17:18], v[19:20], v[3:4]
	v_fma_f64 v[1:2], -v[1:2], v[17:18], v[19:20]
	v_div_fmas_f64 v[1:2], v[1:2], v[3:4], v[17:18]
	v_div_fixup_f64 v[3:4], v[1:2], v[13:14], v[15:16]
	v_fma_f64 v[1:2], v[15:16], v[3:4], v[13:14]
	v_div_scale_f64 v[13:14], null, v[1:2], v[1:2], 1.0
	v_rcp_f64_e32 v[15:16], v[13:14]
	v_fma_f64 v[17:18], -v[13:14], v[15:16], 1.0
	v_fma_f64 v[15:16], v[15:16], v[17:18], v[15:16]
	v_fma_f64 v[17:18], -v[13:14], v[15:16], 1.0
	v_fma_f64 v[15:16], v[15:16], v[17:18], v[15:16]
	v_div_scale_f64 v[17:18], vcc_lo, 1.0, v[1:2], 1.0
	v_mul_f64 v[19:20], v[17:18], v[15:16]
	v_fma_f64 v[13:14], -v[13:14], v[19:20], v[17:18]
	v_div_fmas_f64 v[13:14], v[13:14], v[15:16], v[19:20]
	v_div_fixup_f64 v[1:2], v[13:14], v[1:2], 1.0
	v_mul_f64 v[3:4], v[3:4], -v[1:2]
.LBB121_49:
	s_or_b32 exec_lo, exec_lo, s5
	ds_write2_b64 v255, v[1:2], v[3:4] offset1:1
.LBB121_50:
	s_or_b32 exec_lo, exec_lo, s6
	buffer_store_dword v7, off, s[0:3], 0 offset:1464 ; 4-byte Folded Spill
	buffer_store_dword v8, off, s[0:3], 0 offset:1468 ; 4-byte Folded Spill
	;; [unrolled: 1-line block ×4, first 2 shown]
	s_waitcnt lgkmcnt(0)
	s_waitcnt_vscnt null, 0x0
	s_barrier
	buffer_gl0_inv
	ds_read2_b64 v[13:16], v255 offset1:1
	s_mov_b32 s5, exec_lo
	v_cmpx_lt_u32_e32 3, v0
	s_cbranch_execz .LBB121_53
; %bb.51:
	s_clause 0x3
	buffer_load_dword v1, off, s[0:3], 0 offset:56
	buffer_load_dword v2, off, s[0:3], 0 offset:60
	buffer_load_dword v3, off, s[0:3], 0 offset:48
	buffer_load_dword v4, off, s[0:3], 0 offset:52
	s_mov_b32 s6, 64
	s_waitcnt vmcnt(2) lgkmcnt(0)
	v_mul_f64 v[17:18], v[15:16], v[1:2]
	v_mul_f64 v[1:2], v[13:14], v[1:2]
	s_waitcnt vmcnt(0)
	v_fma_f64 v[17:18], v[13:14], v[3:4], -v[17:18]
	v_fma_f64 v[19:20], v[15:16], v[3:4], v[1:2]
	buffer_store_dword v17, off, s[0:3], 0 offset:48
	buffer_store_dword v18, off, s[0:3], 0 offset:52
	;; [unrolled: 1-line block ×4, first 2 shown]
.LBB121_52:                             ; =>This Inner Loop Header: Depth=1
	v_mov_b32_e32 v5, s6
	v_add_nc_u32_e32 v6, s6, v241
	s_add_i32 s6, s6, 48
	s_clause 0x3
	buffer_load_dword v25, v5, s[0:3], 0 offen
	buffer_load_dword v26, v5, s[0:3], 0 offen offset:4
	buffer_load_dword v27, v5, s[0:3], 0 offen offset:8
	;; [unrolled: 1-line block ×3, first 2 shown]
	ds_read2_b64 v[1:4], v6 offset1:1
	ds_read2_b64 v[21:24], v6 offset0:2 offset1:3
	s_cmpk_lg_i32 s6, 0x3d0
	s_waitcnt lgkmcnt(1)
	v_mul_f64 v[29:30], v[3:4], v[19:20]
	v_mul_f64 v[19:20], v[1:2], v[19:20]
	v_fma_f64 v[1:2], v[1:2], v[17:18], -v[29:30]
	v_fma_f64 v[3:4], v[3:4], v[17:18], v[19:20]
	s_clause 0x2
	buffer_load_dword v18, v5, s[0:3], 0 offen offset:20
	buffer_load_dword v20, v5, s[0:3], 0 offen offset:28
	;; [unrolled: 1-line block ×3, first 2 shown]
	s_waitcnt vmcnt(5)
	v_add_f64 v[1:2], v[25:26], -v[1:2]
	s_clause 0x2
	buffer_load_dword v17, v5, s[0:3], 0 offen offset:16
	buffer_load_dword v19, v5, s[0:3], 0 offen offset:24
	;; [unrolled: 1-line block ×3, first 2 shown]
	s_waitcnt vmcnt(6)
	v_add_f64 v[3:4], v[27:28], -v[3:4]
	buffer_store_dword v2, v5, s[0:3], 0 offen offset:4
	buffer_store_dword v1, v5, s[0:3], 0 offen
	buffer_store_dword v4, v5, s[0:3], 0 offen offset:12
	buffer_store_dword v3, v5, s[0:3], 0 offen offset:8
	s_clause 0x3
	buffer_load_dword v2, off, s[0:3], 0 offset:60
	buffer_load_dword v1, off, s[0:3], 0 offset:56
	;; [unrolled: 1-line block ×4, first 2 shown]
	s_waitcnt vmcnt(2) lgkmcnt(0)
	v_mul_f64 v[26:27], v[23:24], v[1:2]
	v_mul_f64 v[1:2], v[21:22], v[1:2]
	s_waitcnt vmcnt(0)
	v_fma_f64 v[21:22], v[21:22], v[3:4], -v[26:27]
	v_fma_f64 v[1:2], v[23:24], v[3:4], v[1:2]
	s_clause 0x1
	buffer_load_dword v24, v5, s[0:3], 0 offen offset:32
	buffer_load_dword v30, v5, s[0:3], 0 offen offset:44
	v_add_f64 v[3:4], v[17:18], -v[21:22]
	v_add_f64 v[1:2], v[19:20], -v[1:2]
	buffer_store_dword v4, v5, s[0:3], 0 offen offset:20
	buffer_store_dword v3, v5, s[0:3], 0 offen offset:16
	;; [unrolled: 1-line block ×4, first 2 shown]
	s_clause 0x3
	buffer_load_dword v19, off, s[0:3], 0 offset:56
	buffer_load_dword v20, off, s[0:3], 0 offset:60
	;; [unrolled: 1-line block ×4, first 2 shown]
	ds_read2_b64 v[1:4], v6 offset0:4 offset1:5
	s_waitcnt vmcnt(2) lgkmcnt(0)
	v_mul_f64 v[21:22], v[3:4], v[19:20]
	v_mul_f64 v[26:27], v[1:2], v[19:20]
	s_waitcnt vmcnt(0)
	v_fma_f64 v[1:2], v[1:2], v[17:18], -v[21:22]
	v_fma_f64 v[3:4], v[3:4], v[17:18], v[26:27]
	v_add_f64 v[1:2], v[24:25], -v[1:2]
	v_add_f64 v[3:4], v[29:30], -v[3:4]
	buffer_store_dword v2, v5, s[0:3], 0 offen offset:36
	buffer_store_dword v1, v5, s[0:3], 0 offen offset:32
	;; [unrolled: 1-line block ×4, first 2 shown]
	s_cbranch_scc1 .LBB121_52
.LBB121_53:
	s_or_b32 exec_lo, exec_lo, s5
	s_mov_b32 s6, exec_lo
	s_waitcnt lgkmcnt(0)
	s_waitcnt_vscnt null, 0x0
	s_barrier
	buffer_gl0_inv
	v_cmpx_eq_u32_e32 4, v0
	s_cbranch_execz .LBB121_62
; %bb.54:
	v_mov_b32_e32 v4, s72
	s_movk_i32 s5, 0x50
	s_clause 0x3
	buffer_load_dword v1, v4, s[0:3], 0 offen
	buffer_load_dword v2, v4, s[0:3], 0 offen offset:4
	buffer_load_dword v3, v4, s[0:3], 0 offen offset:8
	;; [unrolled: 1-line block ×3, first 2 shown]
	s_waitcnt vmcnt(0)
	ds_write2_b64 v255, v[1:2], v[3:4] offset1:1
.LBB121_55:                             ; =>This Inner Loop Header: Depth=1
	v_mov_b32_e32 v5, s5
	s_clause 0x37
	buffer_load_dword v1, v5, s[0:3], 0 offen
	buffer_load_dword v2, v5, s[0:3], 0 offen offset:4
	buffer_load_dword v3, v5, s[0:3], 0 offen offset:8
	;; [unrolled: 1-line block ×55, first 2 shown]
	v_add_nc_u32_e32 v5, s5, v241
	s_addk_i32 s5, 0xe0
	s_waitcnt vmcnt(52)
	ds_write2_b64 v5, v[1:2], v[3:4] offset1:1
	s_waitcnt vmcnt(48)
	ds_write2_b64 v5, v[17:18], v[19:20] offset0:2 offset1:3
	s_waitcnt vmcnt(44)
	ds_write2_b64 v5, v[21:22], v[23:24] offset0:4 offset1:5
	s_waitcnt vmcnt(40)
	ds_write2_b64 v5, v[25:26], v[27:28] offset0:6 offset1:7
	s_waitcnt vmcnt(32)
	ds_write2_b64 v5, v[35:36], v[29:30] offset0:8 offset1:9
	ds_write2_b64 v5, v[33:34], v[31:32] offset0:10 offset1:11
	s_waitcnt vmcnt(24)
	ds_write2_b64 v5, v[43:44], v[37:38] offset0:12 offset1:13
	ds_write2_b64 v5, v[41:42], v[39:40] offset0:14 offset1:15
	s_waitcnt vmcnt(20)
	ds_write2_b64 v5, v[45:46], v[47:48] offset0:16 offset1:17
	s_waitcnt vmcnt(16)
	;; [unrolled: 2-line block ×6, first 2 shown]
	ds_write2_b64 v5, v[65:66], v[67:68] offset0:26 offset1:27
	s_cmpk_lg_i32 s5, 0x3d0
	s_cbranch_scc1 .LBB121_55
; %bb.56:
	ds_read2_b64 v[17:20], v255 offset1:1
	s_waitcnt lgkmcnt(0)
	v_cmp_neq_f64_e32 vcc_lo, 0, v[17:18]
	v_cmp_neq_f64_e64 s5, 0, v[19:20]
	s_or_b32 s5, vcc_lo, s5
	s_and_b32 exec_lo, exec_lo, s5
	s_cbranch_execz .LBB121_62
; %bb.57:
	v_cmp_ngt_f64_e64 s5, |v[17:18]|, |v[19:20]|
                                        ; implicit-def: $vgpr1_vgpr2
	s_and_saveexec_b32 s7, s5
	s_xor_b32 s5, exec_lo, s7
                                        ; implicit-def: $vgpr3_vgpr4
	s_cbranch_execz .LBB121_59
; %bb.58:
	v_div_scale_f64 v[1:2], null, v[19:20], v[19:20], v[17:18]
	v_div_scale_f64 v[23:24], vcc_lo, v[17:18], v[19:20], v[17:18]
	v_rcp_f64_e32 v[3:4], v[1:2]
	v_fma_f64 v[21:22], -v[1:2], v[3:4], 1.0
	v_fma_f64 v[3:4], v[3:4], v[21:22], v[3:4]
	v_fma_f64 v[21:22], -v[1:2], v[3:4], 1.0
	v_fma_f64 v[3:4], v[3:4], v[21:22], v[3:4]
	v_mul_f64 v[21:22], v[23:24], v[3:4]
	v_fma_f64 v[1:2], -v[1:2], v[21:22], v[23:24]
	v_div_fmas_f64 v[1:2], v[1:2], v[3:4], v[21:22]
	v_div_fixup_f64 v[1:2], v[1:2], v[19:20], v[17:18]
	v_fma_f64 v[3:4], v[17:18], v[1:2], v[19:20]
	v_div_scale_f64 v[17:18], null, v[3:4], v[3:4], 1.0
	v_rcp_f64_e32 v[19:20], v[17:18]
	v_fma_f64 v[21:22], -v[17:18], v[19:20], 1.0
	v_fma_f64 v[19:20], v[19:20], v[21:22], v[19:20]
	v_fma_f64 v[21:22], -v[17:18], v[19:20], 1.0
	v_fma_f64 v[19:20], v[19:20], v[21:22], v[19:20]
	v_div_scale_f64 v[21:22], vcc_lo, 1.0, v[3:4], 1.0
	v_mul_f64 v[23:24], v[21:22], v[19:20]
	v_fma_f64 v[17:18], -v[17:18], v[23:24], v[21:22]
	v_div_fmas_f64 v[17:18], v[17:18], v[19:20], v[23:24]
	v_div_fixup_f64 v[3:4], v[17:18], v[3:4], 1.0
                                        ; implicit-def: $vgpr17_vgpr18
	v_mul_f64 v[1:2], v[1:2], v[3:4]
	v_xor_b32_e32 v4, 0x80000000, v4
.LBB121_59:
	s_andn2_saveexec_b32 s5, s5
	s_cbranch_execz .LBB121_61
; %bb.60:
	v_div_scale_f64 v[1:2], null, v[17:18], v[17:18], v[19:20]
	v_div_scale_f64 v[23:24], vcc_lo, v[19:20], v[17:18], v[19:20]
	v_rcp_f64_e32 v[3:4], v[1:2]
	v_fma_f64 v[21:22], -v[1:2], v[3:4], 1.0
	v_fma_f64 v[3:4], v[3:4], v[21:22], v[3:4]
	v_fma_f64 v[21:22], -v[1:2], v[3:4], 1.0
	v_fma_f64 v[3:4], v[3:4], v[21:22], v[3:4]
	v_mul_f64 v[21:22], v[23:24], v[3:4]
	v_fma_f64 v[1:2], -v[1:2], v[21:22], v[23:24]
	v_div_fmas_f64 v[1:2], v[1:2], v[3:4], v[21:22]
	v_div_fixup_f64 v[3:4], v[1:2], v[17:18], v[19:20]
	v_fma_f64 v[1:2], v[19:20], v[3:4], v[17:18]
	v_div_scale_f64 v[17:18], null, v[1:2], v[1:2], 1.0
	v_rcp_f64_e32 v[19:20], v[17:18]
	v_fma_f64 v[21:22], -v[17:18], v[19:20], 1.0
	v_fma_f64 v[19:20], v[19:20], v[21:22], v[19:20]
	v_fma_f64 v[21:22], -v[17:18], v[19:20], 1.0
	v_fma_f64 v[19:20], v[19:20], v[21:22], v[19:20]
	v_div_scale_f64 v[21:22], vcc_lo, 1.0, v[1:2], 1.0
	v_mul_f64 v[23:24], v[21:22], v[19:20]
	v_fma_f64 v[17:18], -v[17:18], v[23:24], v[21:22]
	v_div_fmas_f64 v[17:18], v[17:18], v[19:20], v[23:24]
	v_div_fixup_f64 v[1:2], v[17:18], v[1:2], 1.0
	v_mul_f64 v[3:4], v[3:4], -v[1:2]
.LBB121_61:
	s_or_b32 exec_lo, exec_lo, s5
	ds_write2_b64 v255, v[1:2], v[3:4] offset1:1
.LBB121_62:
	s_or_b32 exec_lo, exec_lo, s6
	buffer_store_dword v69, off, s[0:3], 0 offset:1448 ; 4-byte Folded Spill
	buffer_store_dword v70, off, s[0:3], 0 offset:1452 ; 4-byte Folded Spill
	;; [unrolled: 1-line block ×4, first 2 shown]
	s_waitcnt lgkmcnt(0)
	s_waitcnt_vscnt null, 0x0
	s_barrier
	buffer_gl0_inv
	ds_read2_b64 v[17:20], v255 offset1:1
	s_mov_b32 s5, exec_lo
	v_cmpx_lt_u32_e32 4, v0
	s_cbranch_execz .LBB121_65
; %bb.63:
	s_clause 0x3
	buffer_load_dword v1, off, s[0:3], 0 offset:72
	buffer_load_dword v2, off, s[0:3], 0 offset:76
	;; [unrolled: 1-line block ×4, first 2 shown]
	s_movk_i32 s6, 0x50
	s_waitcnt vmcnt(2) lgkmcnt(0)
	v_mul_f64 v[21:22], v[19:20], v[1:2]
	v_mul_f64 v[1:2], v[17:18], v[1:2]
	s_waitcnt vmcnt(0)
	v_fma_f64 v[21:22], v[17:18], v[3:4], -v[21:22]
	v_fma_f64 v[23:24], v[19:20], v[3:4], v[1:2]
	buffer_store_dword v21, off, s[0:3], 0 offset:64
	buffer_store_dword v22, off, s[0:3], 0 offset:68
	;; [unrolled: 1-line block ×4, first 2 shown]
.LBB121_64:                             ; =>This Inner Loop Header: Depth=1
	v_mov_b32_e32 v5, s6
	v_add_nc_u32_e32 v6, s6, v241
	s_addk_i32 s6, 0x70
	s_clause 0x3
	buffer_load_dword v29, v5, s[0:3], 0 offen
	buffer_load_dword v30, v5, s[0:3], 0 offen offset:4
	buffer_load_dword v31, v5, s[0:3], 0 offen offset:8
	;; [unrolled: 1-line block ×3, first 2 shown]
	ds_read2_b64 v[1:4], v6 offset1:1
	ds_read2_b64 v[25:28], v6 offset0:2 offset1:3
	s_clause 0x7
	buffer_load_dword v33, v5, s[0:3], 0 offen offset:16
	buffer_load_dword v35, v5, s[0:3], 0 offen offset:24
	;; [unrolled: 1-line block ×8, first 2 shown]
	s_cmpk_lg_i32 s6, 0x3d0
	s_waitcnt lgkmcnt(1)
	v_mul_f64 v[43:44], v[3:4], v[23:24]
	v_mul_f64 v[23:24], v[1:2], v[23:24]
	v_fma_f64 v[1:2], v[1:2], v[21:22], -v[43:44]
	v_fma_f64 v[3:4], v[3:4], v[21:22], v[23:24]
	s_waitcnt vmcnt(10)
	v_add_f64 v[1:2], v[29:30], -v[1:2]
	s_waitcnt vmcnt(8)
	v_add_f64 v[3:4], v[31:32], -v[3:4]
	buffer_store_dword v2, v5, s[0:3], 0 offen offset:4
	buffer_store_dword v1, v5, s[0:3], 0 offen
	buffer_store_dword v4, v5, s[0:3], 0 offen offset:12
	buffer_store_dword v3, v5, s[0:3], 0 offen offset:8
	s_clause 0x7
	buffer_load_dword v2, off, s[0:3], 0 offset:76
	buffer_load_dword v1, off, s[0:3], 0 offset:72
	;; [unrolled: 1-line block ×4, first 2 shown]
	buffer_load_dword v37, v5, s[0:3], 0 offen offset:32
	buffer_load_dword v41, v5, s[0:3], 0 offen offset:44
	;; [unrolled: 1-line block ×4, first 2 shown]
	s_waitcnt vmcnt(6) lgkmcnt(0)
	v_mul_f64 v[21:22], v[27:28], v[1:2]
	v_mul_f64 v[1:2], v[25:26], v[1:2]
	s_waitcnt vmcnt(4)
	v_fma_f64 v[21:22], v[25:26], v[3:4], -v[21:22]
	v_fma_f64 v[1:2], v[27:28], v[3:4], v[1:2]
	v_add_f64 v[3:4], v[33:34], -v[21:22]
	v_add_f64 v[1:2], v[35:36], -v[1:2]
	buffer_store_dword v4, v5, s[0:3], 0 offen offset:20
	buffer_store_dword v3, v5, s[0:3], 0 offen offset:16
	;; [unrolled: 1-line block ×4, first 2 shown]
	s_clause 0x3
	buffer_load_dword v21, off, s[0:3], 0 offset:72
	buffer_load_dword v22, off, s[0:3], 0 offset:76
	buffer_load_dword v23, off, s[0:3], 0 offset:64
	buffer_load_dword v24, off, s[0:3], 0 offset:68
	ds_read2_b64 v[1:4], v6 offset0:4 offset1:5
	ds_read2_b64 v[25:28], v6 offset0:6 offset1:7
	s_waitcnt vmcnt(2) lgkmcnt(1)
	v_mul_f64 v[29:30], v[3:4], v[21:22]
	v_mul_f64 v[21:22], v[1:2], v[21:22]
	s_waitcnt vmcnt(0)
	v_fma_f64 v[1:2], v[1:2], v[23:24], -v[29:30]
	v_fma_f64 v[3:4], v[3:4], v[23:24], v[21:22]
	v_add_f64 v[1:2], v[37:38], -v[1:2]
	v_add_f64 v[3:4], v[40:41], -v[3:4]
	buffer_store_dword v2, v5, s[0:3], 0 offen offset:36
	buffer_store_dword v1, v5, s[0:3], 0 offen offset:32
	;; [unrolled: 1-line block ×4, first 2 shown]
	s_clause 0xf
	buffer_load_dword v23, off, s[0:3], 0 offset:72
	buffer_load_dword v24, off, s[0:3], 0 offset:76
	;; [unrolled: 1-line block ×4, first 2 shown]
	buffer_load_dword v40, v5, s[0:3], 0 offen offset:80
	buffer_load_dword v41, v5, s[0:3], 0 offen offset:84
	buffer_load_dword v46, v5, s[0:3], 0 offen offset:88
	buffer_load_dword v47, v5, s[0:3], 0 offen offset:92
	buffer_load_dword v48, v5, s[0:3], 0 offen offset:96
	buffer_load_dword v49, v5, s[0:3], 0 offen offset:100
	buffer_load_dword v50, v5, s[0:3], 0 offen offset:104
	buffer_load_dword v51, v5, s[0:3], 0 offen offset:108
	buffer_load_dword v38, v5, s[0:3], 0 offen offset:48
	buffer_load_dword v44, v5, s[0:3], 0 offen offset:64
	buffer_load_dword v52, v5, s[0:3], 0 offen offset:72
	buffer_load_dword v53, v5, s[0:3], 0 offen offset:76
	ds_read2_b64 v[1:4], v6 offset0:8 offset1:9
	ds_read2_b64 v[29:32], v6 offset0:10 offset1:11
	;; [unrolled: 1-line block ×3, first 2 shown]
	s_waitcnt vmcnt(14) lgkmcnt(3)
	v_mul_f64 v[54:55], v[27:28], v[23:24]
	v_mul_f64 v[56:57], v[25:26], v[23:24]
	s_waitcnt lgkmcnt(2)
	v_mul_f64 v[58:59], v[3:4], v[23:24]
	v_mul_f64 v[60:61], v[1:2], v[23:24]
	s_waitcnt lgkmcnt(1)
	;; [unrolled: 3-line block ×3, first 2 shown]
	v_mul_f64 v[66:67], v[35:36], v[23:24]
	v_mul_f64 v[68:69], v[33:34], v[23:24]
	s_waitcnt vmcnt(12)
	v_fma_f64 v[25:26], v[25:26], v[21:22], -v[54:55]
	v_fma_f64 v[27:28], v[27:28], v[21:22], v[56:57]
	v_fma_f64 v[1:2], v[1:2], v[21:22], -v[58:59]
	v_fma_f64 v[3:4], v[3:4], v[21:22], v[60:61]
	;; [unrolled: 2-line block ×4, first 2 shown]
	s_waitcnt vmcnt(3)
	v_add_f64 v[25:26], v[38:39], -v[25:26]
	v_add_f64 v[27:28], v[42:43], -v[27:28]
	s_waitcnt vmcnt(2)
	v_add_f64 v[1:2], v[44:45], -v[1:2]
	s_waitcnt vmcnt(0)
	v_add_f64 v[3:4], v[52:53], -v[3:4]
	v_add_f64 v[29:30], v[40:41], -v[29:30]
	;; [unrolled: 1-line block ×5, first 2 shown]
	buffer_store_dword v26, v5, s[0:3], 0 offen offset:52
	buffer_store_dword v25, v5, s[0:3], 0 offen offset:48
	;; [unrolled: 1-line block ×16, first 2 shown]
	s_cbranch_scc1 .LBB121_64
.LBB121_65:
	s_or_b32 exec_lo, exec_lo, s5
	s_mov_b32 s6, exec_lo
	s_waitcnt lgkmcnt(0)
	s_waitcnt_vscnt null, 0x0
	s_barrier
	buffer_gl0_inv
	v_cmpx_eq_u32_e32 5, v0
	s_cbranch_execz .LBB121_74
; %bb.66:
	v_mov_b32_e32 v4, s71
	s_movk_i32 s5, 0x60
	s_clause 0x3
	buffer_load_dword v1, v4, s[0:3], 0 offen
	buffer_load_dword v2, v4, s[0:3], 0 offen offset:4
	buffer_load_dword v3, v4, s[0:3], 0 offen offset:8
	;; [unrolled: 1-line block ×3, first 2 shown]
	s_waitcnt vmcnt(0)
	ds_write2_b64 v255, v[1:2], v[3:4] offset1:1
.LBB121_67:                             ; =>This Inner Loop Header: Depth=1
	v_mov_b32_e32 v5, s5
	s_clause 0x2b
	buffer_load_dword v1, v5, s[0:3], 0 offen
	buffer_load_dword v2, v5, s[0:3], 0 offen offset:4
	buffer_load_dword v3, v5, s[0:3], 0 offen offset:8
	;; [unrolled: 1-line block ×43, first 2 shown]
	v_add_nc_u32_e32 v5, s5, v241
	s_addk_i32 s5, 0xb0
	s_waitcnt vmcnt(40)
	ds_write2_b64 v5, v[1:2], v[3:4] offset1:1
	s_waitcnt vmcnt(36)
	ds_write2_b64 v5, v[21:22], v[23:24] offset0:2 offset1:3
	s_waitcnt vmcnt(32)
	ds_write2_b64 v5, v[25:26], v[27:28] offset0:4 offset1:5
	;; [unrolled: 2-line block ×4, first 2 shown]
	ds_write2_b64 v5, v[37:38], v[35:36] offset0:10 offset1:11
	s_waitcnt vmcnt(12)
	ds_write2_b64 v5, v[47:48], v[41:42] offset0:12 offset1:13
	ds_write2_b64 v5, v[45:46], v[43:44] offset0:14 offset1:15
	s_waitcnt vmcnt(8)
	ds_write2_b64 v5, v[49:50], v[51:52] offset0:16 offset1:17
	s_waitcnt vmcnt(4)
	;; [unrolled: 2-line block ×3, first 2 shown]
	ds_write2_b64 v5, v[57:58], v[59:60] offset0:20 offset1:21
	s_cmpk_lg_i32 s5, 0x3d0
	s_cbranch_scc1 .LBB121_67
; %bb.68:
	ds_read2_b64 v[21:24], v255 offset1:1
	s_waitcnt lgkmcnt(0)
	v_cmp_neq_f64_e32 vcc_lo, 0, v[21:22]
	v_cmp_neq_f64_e64 s5, 0, v[23:24]
	s_or_b32 s5, vcc_lo, s5
	s_and_b32 exec_lo, exec_lo, s5
	s_cbranch_execz .LBB121_74
; %bb.69:
	v_cmp_ngt_f64_e64 s5, |v[21:22]|, |v[23:24]|
                                        ; implicit-def: $vgpr1_vgpr2
	s_and_saveexec_b32 s7, s5
	s_xor_b32 s5, exec_lo, s7
                                        ; implicit-def: $vgpr3_vgpr4
	s_cbranch_execz .LBB121_71
; %bb.70:
	v_div_scale_f64 v[1:2], null, v[23:24], v[23:24], v[21:22]
	v_div_scale_f64 v[27:28], vcc_lo, v[21:22], v[23:24], v[21:22]
	v_rcp_f64_e32 v[3:4], v[1:2]
	v_fma_f64 v[25:26], -v[1:2], v[3:4], 1.0
	v_fma_f64 v[3:4], v[3:4], v[25:26], v[3:4]
	v_fma_f64 v[25:26], -v[1:2], v[3:4], 1.0
	v_fma_f64 v[3:4], v[3:4], v[25:26], v[3:4]
	v_mul_f64 v[25:26], v[27:28], v[3:4]
	v_fma_f64 v[1:2], -v[1:2], v[25:26], v[27:28]
	v_div_fmas_f64 v[1:2], v[1:2], v[3:4], v[25:26]
	v_div_fixup_f64 v[1:2], v[1:2], v[23:24], v[21:22]
	v_fma_f64 v[3:4], v[21:22], v[1:2], v[23:24]
	v_div_scale_f64 v[21:22], null, v[3:4], v[3:4], 1.0
	v_rcp_f64_e32 v[23:24], v[21:22]
	v_fma_f64 v[25:26], -v[21:22], v[23:24], 1.0
	v_fma_f64 v[23:24], v[23:24], v[25:26], v[23:24]
	v_fma_f64 v[25:26], -v[21:22], v[23:24], 1.0
	v_fma_f64 v[23:24], v[23:24], v[25:26], v[23:24]
	v_div_scale_f64 v[25:26], vcc_lo, 1.0, v[3:4], 1.0
	v_mul_f64 v[27:28], v[25:26], v[23:24]
	v_fma_f64 v[21:22], -v[21:22], v[27:28], v[25:26]
	v_div_fmas_f64 v[21:22], v[21:22], v[23:24], v[27:28]
	v_div_fixup_f64 v[3:4], v[21:22], v[3:4], 1.0
                                        ; implicit-def: $vgpr21_vgpr22
	v_mul_f64 v[1:2], v[1:2], v[3:4]
	v_xor_b32_e32 v4, 0x80000000, v4
.LBB121_71:
	s_andn2_saveexec_b32 s5, s5
	s_cbranch_execz .LBB121_73
; %bb.72:
	v_div_scale_f64 v[1:2], null, v[21:22], v[21:22], v[23:24]
	v_div_scale_f64 v[27:28], vcc_lo, v[23:24], v[21:22], v[23:24]
	v_rcp_f64_e32 v[3:4], v[1:2]
	v_fma_f64 v[25:26], -v[1:2], v[3:4], 1.0
	v_fma_f64 v[3:4], v[3:4], v[25:26], v[3:4]
	v_fma_f64 v[25:26], -v[1:2], v[3:4], 1.0
	v_fma_f64 v[3:4], v[3:4], v[25:26], v[3:4]
	v_mul_f64 v[25:26], v[27:28], v[3:4]
	v_fma_f64 v[1:2], -v[1:2], v[25:26], v[27:28]
	v_div_fmas_f64 v[1:2], v[1:2], v[3:4], v[25:26]
	v_div_fixup_f64 v[3:4], v[1:2], v[21:22], v[23:24]
	v_fma_f64 v[1:2], v[23:24], v[3:4], v[21:22]
	v_div_scale_f64 v[21:22], null, v[1:2], v[1:2], 1.0
	v_rcp_f64_e32 v[23:24], v[21:22]
	v_fma_f64 v[25:26], -v[21:22], v[23:24], 1.0
	v_fma_f64 v[23:24], v[23:24], v[25:26], v[23:24]
	v_fma_f64 v[25:26], -v[21:22], v[23:24], 1.0
	v_fma_f64 v[23:24], v[23:24], v[25:26], v[23:24]
	v_div_scale_f64 v[25:26], vcc_lo, 1.0, v[1:2], 1.0
	v_mul_f64 v[27:28], v[25:26], v[23:24]
	v_fma_f64 v[21:22], -v[21:22], v[27:28], v[25:26]
	v_div_fmas_f64 v[21:22], v[21:22], v[23:24], v[27:28]
	v_div_fixup_f64 v[1:2], v[21:22], v[1:2], 1.0
	v_mul_f64 v[3:4], v[3:4], -v[1:2]
.LBB121_73:
	s_or_b32 exec_lo, exec_lo, s5
	ds_write2_b64 v255, v[1:2], v[3:4] offset1:1
.LBB121_74:
	s_or_b32 exec_lo, exec_lo, s6
	s_waitcnt lgkmcnt(0)
	s_barrier
	buffer_gl0_inv
	ds_read2_b64 v[21:24], v255 offset1:1
	s_mov_b32 s5, exec_lo
	v_cmpx_lt_u32_e32 5, v0
	s_cbranch_execz .LBB121_77
; %bb.75:
	s_clause 0x3
	buffer_load_dword v1, off, s[0:3], 0 offset:88
	buffer_load_dword v2, off, s[0:3], 0 offset:92
	buffer_load_dword v3, off, s[0:3], 0 offset:80
	buffer_load_dword v4, off, s[0:3], 0 offset:84
	s_movk_i32 s6, 0x60
	s_waitcnt vmcnt(2) lgkmcnt(0)
	v_mul_f64 v[25:26], v[23:24], v[1:2]
	v_mul_f64 v[1:2], v[21:22], v[1:2]
	s_waitcnt vmcnt(0)
	v_fma_f64 v[25:26], v[21:22], v[3:4], -v[25:26]
	v_fma_f64 v[27:28], v[23:24], v[3:4], v[1:2]
	buffer_store_dword v25, off, s[0:3], 0 offset:80
	buffer_store_dword v26, off, s[0:3], 0 offset:84
	;; [unrolled: 1-line block ×4, first 2 shown]
.LBB121_76:                             ; =>This Inner Loop Header: Depth=1
	v_mov_b32_e32 v5, s6
	v_add_nc_u32_e32 v6, s6, v241
	s_addk_i32 s6, 0x50
	s_clause 0x3
	buffer_load_dword v33, v5, s[0:3], 0 offen
	buffer_load_dword v34, v5, s[0:3], 0 offen offset:4
	buffer_load_dword v35, v5, s[0:3], 0 offen offset:8
	;; [unrolled: 1-line block ×3, first 2 shown]
	ds_read2_b64 v[1:4], v6 offset1:1
	s_clause 0x1
	buffer_load_dword v37, v5, s[0:3], 0 offen offset:16
	buffer_load_dword v39, v5, s[0:3], 0 offen offset:24
	ds_read2_b64 v[29:32], v6 offset0:2 offset1:3
	s_clause 0x1
	buffer_load_dword v38, v5, s[0:3], 0 offen offset:20
	buffer_load_dword v40, v5, s[0:3], 0 offen offset:28
	s_cmpk_lg_i32 s6, 0x3d0
	s_waitcnt lgkmcnt(1)
	v_mul_f64 v[41:42], v[3:4], v[27:28]
	v_mul_f64 v[27:28], v[1:2], v[27:28]
	v_fma_f64 v[1:2], v[1:2], v[25:26], -v[41:42]
	v_fma_f64 v[3:4], v[3:4], v[25:26], v[27:28]
	s_clause 0x1
	buffer_load_dword v41, v5, s[0:3], 0 offen offset:40
	buffer_load_dword v43, v5, s[0:3], 0 offen offset:56
	s_waitcnt vmcnt(8)
	v_add_f64 v[1:2], v[33:34], -v[1:2]
	s_clause 0x1
	buffer_load_dword v33, v5, s[0:3], 0 offen offset:36
	buffer_load_dword v34, v5, s[0:3], 0 offen offset:52
	s_waitcnt vmcnt(8)
	v_add_f64 v[3:4], v[35:36], -v[3:4]
	buffer_store_dword v2, v5, s[0:3], 0 offen offset:4
	buffer_store_dword v1, v5, s[0:3], 0 offen
	buffer_store_dword v4, v5, s[0:3], 0 offen offset:12
	buffer_store_dword v3, v5, s[0:3], 0 offen offset:8
	s_clause 0x3
	buffer_load_dword v2, off, s[0:3], 0 offset:92
	buffer_load_dword v1, off, s[0:3], 0 offset:88
	;; [unrolled: 1-line block ×4, first 2 shown]
	s_waitcnt vmcnt(2) lgkmcnt(0)
	v_mul_f64 v[25:26], v[31:32], v[1:2]
	v_mul_f64 v[1:2], v[29:30], v[1:2]
	s_waitcnt vmcnt(0)
	v_fma_f64 v[25:26], v[29:30], v[3:4], -v[25:26]
	v_fma_f64 v[1:2], v[31:32], v[3:4], v[1:2]
	s_clause 0x3
	buffer_load_dword v32, v5, s[0:3], 0 offen offset:32
	buffer_load_dword v42, v5, s[0:3], 0 offen offset:44
	;; [unrolled: 1-line block ×4, first 2 shown]
	v_add_f64 v[3:4], v[37:38], -v[25:26]
	v_add_f64 v[1:2], v[39:40], -v[1:2]
	buffer_store_dword v4, v5, s[0:3], 0 offen offset:20
	buffer_store_dword v3, v5, s[0:3], 0 offen offset:16
	;; [unrolled: 1-line block ×4, first 2 shown]
	s_clause 0x3
	buffer_load_dword v30, off, s[0:3], 0 offset:88
	buffer_load_dword v31, off, s[0:3], 0 offset:92
	;; [unrolled: 1-line block ×4, first 2 shown]
	ds_read2_b64 v[1:4], v6 offset0:4 offset1:5
	ds_read2_b64 v[25:28], v6 offset0:6 offset1:7
	s_waitcnt vmcnt(2) lgkmcnt(1)
	v_mul_f64 v[37:38], v[3:4], v[30:31]
	v_mul_f64 v[30:31], v[1:2], v[30:31]
	s_waitcnt vmcnt(0)
	v_fma_f64 v[1:2], v[1:2], v[35:36], -v[37:38]
	v_fma_f64 v[3:4], v[3:4], v[35:36], v[30:31]
	v_add_f64 v[1:2], v[32:33], -v[1:2]
	v_add_f64 v[3:4], v[41:42], -v[3:4]
	buffer_store_dword v2, v5, s[0:3], 0 offen offset:36
	buffer_store_dword v1, v5, s[0:3], 0 offen offset:32
	;; [unrolled: 1-line block ×4, first 2 shown]
	s_clause 0x5
	buffer_load_dword v1, off, s[0:3], 0 offset:88
	buffer_load_dword v2, off, s[0:3], 0 offset:92
	;; [unrolled: 1-line block ×4, first 2 shown]
	buffer_load_dword v33, v5, s[0:3], 0 offen offset:48
	buffer_load_dword v32, v5, s[0:3], 0 offen offset:68
	s_waitcnt vmcnt(4) lgkmcnt(0)
	v_mul_f64 v[30:31], v[27:28], v[1:2]
	v_mul_f64 v[1:2], v[25:26], v[1:2]
	s_waitcnt vmcnt(2)
	v_fma_f64 v[25:26], v[25:26], v[3:4], -v[30:31]
	v_fma_f64 v[1:2], v[27:28], v[3:4], v[1:2]
	s_waitcnt vmcnt(1)
	v_add_f64 v[3:4], v[33:34], -v[25:26]
	v_add_f64 v[1:2], v[43:44], -v[1:2]
	buffer_store_dword v4, v5, s[0:3], 0 offen offset:52
	buffer_store_dword v3, v5, s[0:3], 0 offen offset:48
	;; [unrolled: 1-line block ×4, first 2 shown]
	s_clause 0x5
	buffer_load_dword v27, off, s[0:3], 0 offset:88
	buffer_load_dword v28, off, s[0:3], 0 offset:92
	;; [unrolled: 1-line block ×4, first 2 shown]
	buffer_load_dword v31, v5, s[0:3], 0 offen offset:64
	buffer_load_dword v30, v5, s[0:3], 0 offen offset:76
	ds_read2_b64 v[1:4], v6 offset0:8 offset1:9
	s_waitcnt vmcnt(4) lgkmcnt(0)
	v_mul_f64 v[33:34], v[3:4], v[27:28]
	v_mul_f64 v[35:36], v[1:2], v[27:28]
	s_waitcnt vmcnt(2)
	v_fma_f64 v[1:2], v[1:2], v[25:26], -v[33:34]
	v_fma_f64 v[3:4], v[3:4], v[25:26], v[35:36]
	s_waitcnt vmcnt(1)
	v_add_f64 v[1:2], v[31:32], -v[1:2]
	s_waitcnt vmcnt(0)
	v_add_f64 v[3:4], v[29:30], -v[3:4]
	buffer_store_dword v2, v5, s[0:3], 0 offen offset:68
	buffer_store_dword v1, v5, s[0:3], 0 offen offset:64
	;; [unrolled: 1-line block ×4, first 2 shown]
	s_cbranch_scc1 .LBB121_76
.LBB121_77:
	s_or_b32 exec_lo, exec_lo, s5
	s_mov_b32 s6, exec_lo
	s_waitcnt lgkmcnt(0)
	s_waitcnt_vscnt null, 0x0
	s_barrier
	buffer_gl0_inv
	v_cmpx_eq_u32_e32 6, v0
	s_cbranch_execz .LBB121_86
; %bb.78:
	v_mov_b32_e32 v4, s70
	s_movk_i32 s5, 0x70
	s_clause 0x3
	buffer_load_dword v1, v4, s[0:3], 0 offen
	buffer_load_dword v2, v4, s[0:3], 0 offen offset:4
	buffer_load_dword v3, v4, s[0:3], 0 offen offset:8
	;; [unrolled: 1-line block ×3, first 2 shown]
	s_waitcnt vmcnt(0)
	ds_write2_b64 v255, v[1:2], v[3:4] offset1:1
.LBB121_79:                             ; =>This Inner Loop Header: Depth=1
	v_mov_b32_e32 v5, s5
	s_clause 0x3e
	buffer_load_dword v1, v5, s[0:3], 0 offen
	buffer_load_dword v2, v5, s[0:3], 0 offen offset:4
	buffer_load_dword v3, v5, s[0:3], 0 offen offset:8
	;; [unrolled: 1-line block ×62, first 2 shown]
	s_clause 0x8
	buffer_load_dword v84, v5, s[0:3], 0 offen offset:252
	buffer_load_dword v85, v5, s[0:3], 0 offen offset:256
	;; [unrolled: 1-line block ×9, first 2 shown]
	v_add_nc_u32_e32 v5, s5, v241
	s_addk_i32 s5, 0x120
	s_waitcnt vmcnt(62)
	ds_write2_b64 v5, v[1:2], v[3:4] offset1:1
	ds_write2_b64 v5, v[25:26], v[27:28] offset0:2 offset1:3
	s_waitcnt vmcnt(60)
	ds_write2_b64 v5, v[29:30], v[31:32] offset0:4 offset1:5
	s_waitcnt vmcnt(56)
	;; [unrolled: 2-line block ×3, first 2 shown]
	ds_write2_b64 v5, v[43:44], v[37:38] offset0:8 offset1:9
	ds_write2_b64 v5, v[41:42], v[39:40] offset0:10 offset1:11
	s_waitcnt vmcnt(40)
	ds_write2_b64 v5, v[51:52], v[45:46] offset0:12 offset1:13
	ds_write2_b64 v5, v[49:50], v[47:48] offset0:14 offset1:15
	s_waitcnt vmcnt(36)
	ds_write2_b64 v5, v[53:54], v[55:56] offset0:16 offset1:17
	s_waitcnt vmcnt(32)
	ds_write2_b64 v5, v[57:58], v[59:60] offset0:18 offset1:19
	s_waitcnt vmcnt(28)
	ds_write2_b64 v5, v[61:62], v[63:64] offset0:20 offset1:21
	s_waitcnt vmcnt(24)
	ds_write2_b64 v5, v[65:66], v[67:68] offset0:22 offset1:23
	s_waitcnt vmcnt(20)
	ds_write2_b64 v5, v[69:70], v[71:72] offset0:24 offset1:25
	s_waitcnt vmcnt(16)
	ds_write2_b64 v5, v[73:74], v[75:76] offset0:26 offset1:27
	s_waitcnt vmcnt(12)
	ds_write2_b64 v5, v[77:78], v[79:80] offset0:28 offset1:29
	s_waitcnt vmcnt(8)
	ds_write2_b64 v5, v[81:82], v[83:84] offset0:30 offset1:31
	s_waitcnt vmcnt(4)
	ds_write2_b64 v5, v[85:86], v[87:88] offset0:32 offset1:33
	s_waitcnt vmcnt(0)
	ds_write2_b64 v5, v[89:90], v[91:92] offset0:34 offset1:35
	s_cmpk_lg_i32 s5, 0x3d0
	s_cbranch_scc1 .LBB121_79
; %bb.80:
	ds_read2_b64 v[25:28], v255 offset1:1
	s_waitcnt lgkmcnt(0)
	v_cmp_neq_f64_e32 vcc_lo, 0, v[25:26]
	v_cmp_neq_f64_e64 s5, 0, v[27:28]
	s_or_b32 s5, vcc_lo, s5
	s_and_b32 exec_lo, exec_lo, s5
	s_cbranch_execz .LBB121_86
; %bb.81:
	v_cmp_ngt_f64_e64 s5, |v[25:26]|, |v[27:28]|
                                        ; implicit-def: $vgpr1_vgpr2
	s_and_saveexec_b32 s7, s5
	s_xor_b32 s5, exec_lo, s7
                                        ; implicit-def: $vgpr3_vgpr4
	s_cbranch_execz .LBB121_83
; %bb.82:
	v_div_scale_f64 v[1:2], null, v[27:28], v[27:28], v[25:26]
	v_div_scale_f64 v[31:32], vcc_lo, v[25:26], v[27:28], v[25:26]
	v_rcp_f64_e32 v[3:4], v[1:2]
	v_fma_f64 v[29:30], -v[1:2], v[3:4], 1.0
	v_fma_f64 v[3:4], v[3:4], v[29:30], v[3:4]
	v_fma_f64 v[29:30], -v[1:2], v[3:4], 1.0
	v_fma_f64 v[3:4], v[3:4], v[29:30], v[3:4]
	v_mul_f64 v[29:30], v[31:32], v[3:4]
	v_fma_f64 v[1:2], -v[1:2], v[29:30], v[31:32]
	v_div_fmas_f64 v[1:2], v[1:2], v[3:4], v[29:30]
	v_div_fixup_f64 v[1:2], v[1:2], v[27:28], v[25:26]
	v_fma_f64 v[3:4], v[25:26], v[1:2], v[27:28]
	v_div_scale_f64 v[25:26], null, v[3:4], v[3:4], 1.0
	v_rcp_f64_e32 v[27:28], v[25:26]
	v_fma_f64 v[29:30], -v[25:26], v[27:28], 1.0
	v_fma_f64 v[27:28], v[27:28], v[29:30], v[27:28]
	v_fma_f64 v[29:30], -v[25:26], v[27:28], 1.0
	v_fma_f64 v[27:28], v[27:28], v[29:30], v[27:28]
	v_div_scale_f64 v[29:30], vcc_lo, 1.0, v[3:4], 1.0
	v_mul_f64 v[31:32], v[29:30], v[27:28]
	v_fma_f64 v[25:26], -v[25:26], v[31:32], v[29:30]
	v_div_fmas_f64 v[25:26], v[25:26], v[27:28], v[31:32]
	v_div_fixup_f64 v[3:4], v[25:26], v[3:4], 1.0
                                        ; implicit-def: $vgpr25_vgpr26
	v_mul_f64 v[1:2], v[1:2], v[3:4]
	v_xor_b32_e32 v4, 0x80000000, v4
.LBB121_83:
	s_andn2_saveexec_b32 s5, s5
	s_cbranch_execz .LBB121_85
; %bb.84:
	v_div_scale_f64 v[1:2], null, v[25:26], v[25:26], v[27:28]
	v_div_scale_f64 v[31:32], vcc_lo, v[27:28], v[25:26], v[27:28]
	v_rcp_f64_e32 v[3:4], v[1:2]
	v_fma_f64 v[29:30], -v[1:2], v[3:4], 1.0
	v_fma_f64 v[3:4], v[3:4], v[29:30], v[3:4]
	v_fma_f64 v[29:30], -v[1:2], v[3:4], 1.0
	v_fma_f64 v[3:4], v[3:4], v[29:30], v[3:4]
	v_mul_f64 v[29:30], v[31:32], v[3:4]
	v_fma_f64 v[1:2], -v[1:2], v[29:30], v[31:32]
	v_div_fmas_f64 v[1:2], v[1:2], v[3:4], v[29:30]
	v_div_fixup_f64 v[3:4], v[1:2], v[25:26], v[27:28]
	v_fma_f64 v[1:2], v[27:28], v[3:4], v[25:26]
	v_div_scale_f64 v[25:26], null, v[1:2], v[1:2], 1.0
	v_rcp_f64_e32 v[27:28], v[25:26]
	v_fma_f64 v[29:30], -v[25:26], v[27:28], 1.0
	v_fma_f64 v[27:28], v[27:28], v[29:30], v[27:28]
	v_fma_f64 v[29:30], -v[25:26], v[27:28], 1.0
	v_fma_f64 v[27:28], v[27:28], v[29:30], v[27:28]
	v_div_scale_f64 v[29:30], vcc_lo, 1.0, v[1:2], 1.0
	v_mul_f64 v[31:32], v[29:30], v[27:28]
	v_fma_f64 v[25:26], -v[25:26], v[31:32], v[29:30]
	v_div_fmas_f64 v[25:26], v[25:26], v[27:28], v[31:32]
	v_div_fixup_f64 v[1:2], v[25:26], v[1:2], 1.0
	v_mul_f64 v[3:4], v[3:4], -v[1:2]
.LBB121_85:
	s_or_b32 exec_lo, exec_lo, s5
	ds_write2_b64 v255, v[1:2], v[3:4] offset1:1
.LBB121_86:
	s_or_b32 exec_lo, exec_lo, s6
	s_waitcnt lgkmcnt(0)
	s_barrier
	buffer_gl0_inv
	ds_read2_b64 v[25:28], v255 offset1:1
	s_mov_b32 s5, exec_lo
	v_cmpx_lt_u32_e32 6, v0
	s_cbranch_execz .LBB121_89
; %bb.87:
	s_clause 0x3
	buffer_load_dword v1, off, s[0:3], 0 offset:104
	buffer_load_dword v2, off, s[0:3], 0 offset:108
	;; [unrolled: 1-line block ×4, first 2 shown]
	s_movk_i32 s6, 0x70
	s_waitcnt vmcnt(2) lgkmcnt(0)
	v_mul_f64 v[29:30], v[27:28], v[1:2]
	v_mul_f64 v[1:2], v[25:26], v[1:2]
	s_waitcnt vmcnt(0)
	v_fma_f64 v[29:30], v[25:26], v[3:4], -v[29:30]
	v_fma_f64 v[31:32], v[27:28], v[3:4], v[1:2]
	buffer_store_dword v29, off, s[0:3], 0 offset:96
	buffer_store_dword v30, off, s[0:3], 0 offset:100
	buffer_store_dword v31, off, s[0:3], 0 offset:104
	buffer_store_dword v32, off, s[0:3], 0 offset:108
.LBB121_88:                             ; =>This Inner Loop Header: Depth=1
	v_mov_b32_e32 v5, s6
	v_add_nc_u32_e32 v6, s6, v241
	s_addk_i32 s6, 0x60
	s_clause 0x3
	buffer_load_dword v37, v5, s[0:3], 0 offen
	buffer_load_dword v38, v5, s[0:3], 0 offen offset:4
	buffer_load_dword v39, v5, s[0:3], 0 offen offset:8
	;; [unrolled: 1-line block ×3, first 2 shown]
	ds_read2_b64 v[1:4], v6 offset1:1
	ds_read2_b64 v[33:36], v6 offset0:2 offset1:3
	s_clause 0x7
	buffer_load_dword v41, v5, s[0:3], 0 offen offset:16
	buffer_load_dword v43, v5, s[0:3], 0 offen offset:24
	;; [unrolled: 1-line block ×8, first 2 shown]
	s_cmpk_lg_i32 s6, 0x3d0
	s_waitcnt lgkmcnt(1)
	v_mul_f64 v[51:52], v[3:4], v[31:32]
	v_mul_f64 v[31:32], v[1:2], v[31:32]
	v_fma_f64 v[1:2], v[1:2], v[29:30], -v[51:52]
	v_fma_f64 v[3:4], v[3:4], v[29:30], v[31:32]
	s_waitcnt vmcnt(10)
	v_add_f64 v[1:2], v[37:38], -v[1:2]
	s_waitcnt vmcnt(8)
	v_add_f64 v[3:4], v[39:40], -v[3:4]
	buffer_store_dword v2, v5, s[0:3], 0 offen offset:4
	buffer_store_dword v1, v5, s[0:3], 0 offen
	buffer_store_dword v4, v5, s[0:3], 0 offen offset:12
	buffer_store_dword v3, v5, s[0:3], 0 offen offset:8
	s_clause 0x7
	buffer_load_dword v2, off, s[0:3], 0 offset:108
	buffer_load_dword v1, off, s[0:3], 0 offset:104
	;; [unrolled: 1-line block ×4, first 2 shown]
	buffer_load_dword v45, v5, s[0:3], 0 offen offset:32
	buffer_load_dword v49, v5, s[0:3], 0 offen offset:44
	;; [unrolled: 1-line block ×4, first 2 shown]
	s_waitcnt vmcnt(6) lgkmcnt(0)
	v_mul_f64 v[29:30], v[35:36], v[1:2]
	v_mul_f64 v[1:2], v[33:34], v[1:2]
	s_waitcnt vmcnt(4)
	v_fma_f64 v[29:30], v[33:34], v[3:4], -v[29:30]
	v_fma_f64 v[1:2], v[35:36], v[3:4], v[1:2]
	v_add_f64 v[3:4], v[41:42], -v[29:30]
	v_add_f64 v[1:2], v[43:44], -v[1:2]
	buffer_store_dword v4, v5, s[0:3], 0 offen offset:20
	buffer_store_dword v3, v5, s[0:3], 0 offen offset:16
	;; [unrolled: 1-line block ×4, first 2 shown]
	s_clause 0x3
	buffer_load_dword v33, off, s[0:3], 0 offset:104
	buffer_load_dword v34, off, s[0:3], 0 offset:108
	;; [unrolled: 1-line block ×4, first 2 shown]
	ds_read2_b64 v[1:4], v6 offset0:4 offset1:5
	ds_read2_b64 v[29:32], v6 offset0:6 offset1:7
	s_waitcnt vmcnt(2) lgkmcnt(1)
	v_mul_f64 v[38:39], v[3:4], v[33:34]
	v_mul_f64 v[33:34], v[1:2], v[33:34]
	s_waitcnt vmcnt(0)
	v_fma_f64 v[1:2], v[1:2], v[35:36], -v[38:39]
	v_fma_f64 v[3:4], v[3:4], v[35:36], v[33:34]
	v_add_f64 v[1:2], v[45:46], -v[1:2]
	v_add_f64 v[3:4], v[48:49], -v[3:4]
	buffer_store_dword v2, v5, s[0:3], 0 offen offset:36
	buffer_store_dword v1, v5, s[0:3], 0 offen offset:32
	;; [unrolled: 1-line block ×4, first 2 shown]
	s_clause 0x6
	buffer_load_dword v1, off, s[0:3], 0 offset:104
	buffer_load_dword v2, off, s[0:3], 0 offset:108
	;; [unrolled: 1-line block ×4, first 2 shown]
	buffer_load_dword v46, v5, s[0:3], 0 offen offset:48
	buffer_load_dword v40, v5, s[0:3], 0 offen offset:68
	;; [unrolled: 1-line block ×3, first 2 shown]
	s_waitcnt vmcnt(5) lgkmcnt(0)
	v_mul_f64 v[33:34], v[31:32], v[1:2]
	v_mul_f64 v[1:2], v[29:30], v[1:2]
	s_waitcnt vmcnt(3)
	v_fma_f64 v[29:30], v[29:30], v[3:4], -v[33:34]
	v_fma_f64 v[1:2], v[31:32], v[3:4], v[1:2]
	s_waitcnt vmcnt(2)
	v_add_f64 v[3:4], v[46:47], -v[29:30]
	v_add_f64 v[1:2], v[50:51], -v[1:2]
	buffer_store_dword v4, v5, s[0:3], 0 offen offset:52
	buffer_store_dword v3, v5, s[0:3], 0 offen offset:48
	;; [unrolled: 1-line block ×4, first 2 shown]
	s_clause 0x5
	buffer_load_dword v29, off, s[0:3], 0 offset:104
	buffer_load_dword v30, off, s[0:3], 0 offset:108
	;; [unrolled: 1-line block ×4, first 2 shown]
	buffer_load_dword v39, v5, s[0:3], 0 offen offset:64
	buffer_load_dword v38, v5, s[0:3], 0 offen offset:76
	ds_read2_b64 v[1:4], v6 offset0:8 offset1:9
	ds_read2_b64 v[33:36], v6 offset0:10 offset1:11
	buffer_load_dword v42, v5, s[0:3], 0 offen offset:88
	s_waitcnt vmcnt(5) lgkmcnt(1)
	v_mul_f64 v[43:44], v[3:4], v[29:30]
	v_mul_f64 v[29:30], v[1:2], v[29:30]
	s_waitcnt vmcnt(3)
	v_fma_f64 v[1:2], v[1:2], v[31:32], -v[43:44]
	v_fma_f64 v[3:4], v[3:4], v[31:32], v[29:30]
	s_waitcnt vmcnt(2)
	v_add_f64 v[1:2], v[39:40], -v[1:2]
	s_waitcnt vmcnt(1)
	v_add_f64 v[3:4], v[37:38], -v[3:4]
	buffer_store_dword v2, v5, s[0:3], 0 offen offset:68
	buffer_store_dword v1, v5, s[0:3], 0 offen offset:64
	buffer_store_dword v4, v5, s[0:3], 0 offen offset:76
	buffer_store_dword v3, v5, s[0:3], 0 offen offset:72
	s_clause 0x5
	buffer_load_dword v31, off, s[0:3], 0 offset:104
	buffer_load_dword v32, off, s[0:3], 0 offset:108
	;; [unrolled: 1-line block ×4, first 2 shown]
	buffer_load_dword v40, v5, s[0:3], 0 offen offset:80
	buffer_load_dword v43, v5, s[0:3], 0 offen offset:92
	s_waitcnt vmcnt(4) lgkmcnt(0)
	v_mul_f64 v[1:2], v[35:36], v[31:32]
	v_mul_f64 v[3:4], v[33:34], v[31:32]
	s_waitcnt vmcnt(2)
	v_fma_f64 v[1:2], v[33:34], v[29:30], -v[1:2]
	v_fma_f64 v[3:4], v[35:36], v[29:30], v[3:4]
	s_waitcnt vmcnt(1)
	v_add_f64 v[1:2], v[40:41], -v[1:2]
	s_waitcnt vmcnt(0)
	v_add_f64 v[3:4], v[42:43], -v[3:4]
	buffer_store_dword v2, v5, s[0:3], 0 offen offset:84
	buffer_store_dword v1, v5, s[0:3], 0 offen offset:80
	;; [unrolled: 1-line block ×4, first 2 shown]
	s_cbranch_scc1 .LBB121_88
.LBB121_89:
	s_or_b32 exec_lo, exec_lo, s5
	s_mov_b32 s6, exec_lo
	s_waitcnt lgkmcnt(0)
	s_waitcnt_vscnt null, 0x0
	s_barrier
	buffer_gl0_inv
	v_cmpx_eq_u32_e32 7, v0
	s_cbranch_execz .LBB121_100
; %bb.90:
	v_mov_b32_e32 v4, s69
	s_movk_i32 s5, 0x80
	s_clause 0x3
	buffer_load_dword v1, v4, s[0:3], 0 offen
	buffer_load_dword v2, v4, s[0:3], 0 offen offset:4
	buffer_load_dword v3, v4, s[0:3], 0 offen offset:8
	;; [unrolled: 1-line block ×3, first 2 shown]
	s_waitcnt vmcnt(0)
	ds_write2_b64 v255, v[1:2], v[3:4] offset1:1
	s_branch .LBB121_92
.LBB121_91:                             ;   in Loop: Header=BB121_92 Depth=1
	s_andn2_b32 vcc_lo, exec_lo, s8
	s_cbranch_vccz .LBB121_94
.LBB121_92:                             ; =>This Inner Loop Header: Depth=1
	v_mov_b32_e32 v1, s5
	s_mov_b32 s7, s5
	s_mov_b32 s8, -1
	s_cmpk_eq_i32 s5, 0x380
	s_clause 0x13
	buffer_load_dword v2, v1, s[0:3], 0 offen
	buffer_load_dword v3, v1, s[0:3], 0 offen offset:4
	buffer_load_dword v29, v1, s[0:3], 0 offen offset:8
	;; [unrolled: 1-line block ×19, first 2 shown]
	v_add_nc_u32_e32 v1, s5, v241
	s_waitcnt vmcnt(16)
	ds_write2_b64 v1, v[2:3], v[29:30] offset1:1
	s_waitcnt vmcnt(12)
	ds_write2_b64 v1, v[31:32], v[33:34] offset0:2 offset1:3
	s_waitcnt vmcnt(8)
	ds_write2_b64 v1, v[35:36], v[37:38] offset0:4 offset1:5
	s_waitcnt vmcnt(4)
	ds_write2_b64 v1, v[39:40], v[41:42] offset0:6 offset1:7
	s_waitcnt vmcnt(0)
	ds_write2_b64 v1, v[45:46], v[43:44] offset0:8 offset1:9
	s_cbranch_scc1 .LBB121_91
; %bb.93:                               ;   in Loop: Header=BB121_92 Depth=1
	v_mov_b32_e32 v4, s7
	s_addk_i32 s5, 0x80
	s_mov_b32 s8, 0
	s_clause 0xb
	buffer_load_dword v2, v4, s[0:3], 0 offen offset:80
	buffer_load_dword v3, v4, s[0:3], 0 offen offset:84
	;; [unrolled: 1-line block ×12, first 2 shown]
	s_waitcnt vmcnt(8)
	ds_write2_b64 v1, v[2:3], v[29:30] offset0:10 offset1:11
	s_waitcnt vmcnt(4)
	ds_write2_b64 v1, v[31:32], v[33:34] offset0:12 offset1:13
	;; [unrolled: 2-line block ×3, first 2 shown]
	s_branch .LBB121_91
.LBB121_94:
	ds_read2_b64 v[29:32], v255 offset1:1
	s_waitcnt lgkmcnt(0)
	v_cmp_neq_f64_e32 vcc_lo, 0, v[29:30]
	v_cmp_neq_f64_e64 s5, 0, v[31:32]
	s_or_b32 s5, vcc_lo, s5
	s_and_b32 exec_lo, exec_lo, s5
	s_cbranch_execz .LBB121_100
; %bb.95:
	v_cmp_ngt_f64_e64 s5, |v[29:30]|, |v[31:32]|
                                        ; implicit-def: $vgpr1_vgpr2
	s_and_saveexec_b32 s7, s5
	s_xor_b32 s5, exec_lo, s7
                                        ; implicit-def: $vgpr3_vgpr4
	s_cbranch_execz .LBB121_97
; %bb.96:
	v_div_scale_f64 v[1:2], null, v[31:32], v[31:32], v[29:30]
	v_div_scale_f64 v[35:36], vcc_lo, v[29:30], v[31:32], v[29:30]
	v_rcp_f64_e32 v[3:4], v[1:2]
	v_fma_f64 v[33:34], -v[1:2], v[3:4], 1.0
	v_fma_f64 v[3:4], v[3:4], v[33:34], v[3:4]
	v_fma_f64 v[33:34], -v[1:2], v[3:4], 1.0
	v_fma_f64 v[3:4], v[3:4], v[33:34], v[3:4]
	v_mul_f64 v[33:34], v[35:36], v[3:4]
	v_fma_f64 v[1:2], -v[1:2], v[33:34], v[35:36]
	v_div_fmas_f64 v[1:2], v[1:2], v[3:4], v[33:34]
	v_div_fixup_f64 v[1:2], v[1:2], v[31:32], v[29:30]
	v_fma_f64 v[3:4], v[29:30], v[1:2], v[31:32]
	v_div_scale_f64 v[29:30], null, v[3:4], v[3:4], 1.0
	v_rcp_f64_e32 v[31:32], v[29:30]
	v_fma_f64 v[33:34], -v[29:30], v[31:32], 1.0
	v_fma_f64 v[31:32], v[31:32], v[33:34], v[31:32]
	v_fma_f64 v[33:34], -v[29:30], v[31:32], 1.0
	v_fma_f64 v[31:32], v[31:32], v[33:34], v[31:32]
	v_div_scale_f64 v[33:34], vcc_lo, 1.0, v[3:4], 1.0
	v_mul_f64 v[35:36], v[33:34], v[31:32]
	v_fma_f64 v[29:30], -v[29:30], v[35:36], v[33:34]
	v_div_fmas_f64 v[29:30], v[29:30], v[31:32], v[35:36]
	v_div_fixup_f64 v[3:4], v[29:30], v[3:4], 1.0
                                        ; implicit-def: $vgpr29_vgpr30
	v_mul_f64 v[1:2], v[1:2], v[3:4]
	v_xor_b32_e32 v4, 0x80000000, v4
.LBB121_97:
	s_andn2_saveexec_b32 s5, s5
	s_cbranch_execz .LBB121_99
; %bb.98:
	v_div_scale_f64 v[1:2], null, v[29:30], v[29:30], v[31:32]
	v_div_scale_f64 v[35:36], vcc_lo, v[31:32], v[29:30], v[31:32]
	v_rcp_f64_e32 v[3:4], v[1:2]
	v_fma_f64 v[33:34], -v[1:2], v[3:4], 1.0
	v_fma_f64 v[3:4], v[3:4], v[33:34], v[3:4]
	v_fma_f64 v[33:34], -v[1:2], v[3:4], 1.0
	v_fma_f64 v[3:4], v[3:4], v[33:34], v[3:4]
	v_mul_f64 v[33:34], v[35:36], v[3:4]
	v_fma_f64 v[1:2], -v[1:2], v[33:34], v[35:36]
	v_div_fmas_f64 v[1:2], v[1:2], v[3:4], v[33:34]
	v_div_fixup_f64 v[3:4], v[1:2], v[29:30], v[31:32]
	v_fma_f64 v[1:2], v[31:32], v[3:4], v[29:30]
	v_div_scale_f64 v[29:30], null, v[1:2], v[1:2], 1.0
	v_rcp_f64_e32 v[31:32], v[29:30]
	v_fma_f64 v[33:34], -v[29:30], v[31:32], 1.0
	v_fma_f64 v[31:32], v[31:32], v[33:34], v[31:32]
	v_fma_f64 v[33:34], -v[29:30], v[31:32], 1.0
	v_fma_f64 v[31:32], v[31:32], v[33:34], v[31:32]
	v_div_scale_f64 v[33:34], vcc_lo, 1.0, v[1:2], 1.0
	v_mul_f64 v[35:36], v[33:34], v[31:32]
	v_fma_f64 v[29:30], -v[29:30], v[35:36], v[33:34]
	v_div_fmas_f64 v[29:30], v[29:30], v[31:32], v[35:36]
	v_div_fixup_f64 v[1:2], v[29:30], v[1:2], 1.0
	v_mul_f64 v[3:4], v[3:4], -v[1:2]
.LBB121_99:
	s_or_b32 exec_lo, exec_lo, s5
	ds_write2_b64 v255, v[1:2], v[3:4] offset1:1
.LBB121_100:
	s_or_b32 exec_lo, exec_lo, s6
	s_waitcnt lgkmcnt(0)
	s_barrier
	buffer_gl0_inv
	ds_read2_b64 v[29:32], v255 offset1:1
	s_mov_b32 s5, exec_lo
	v_cmpx_lt_u32_e32 7, v0
	s_cbranch_execz .LBB121_105
; %bb.101:
	s_clause 0x3
	buffer_load_dword v1, off, s[0:3], 0 offset:120
	buffer_load_dword v2, off, s[0:3], 0 offset:124
	;; [unrolled: 1-line block ×4, first 2 shown]
	s_movk_i32 s6, 0x80
	s_waitcnt vmcnt(2) lgkmcnt(0)
	v_mul_f64 v[33:34], v[31:32], v[1:2]
	v_mul_f64 v[1:2], v[29:30], v[1:2]
	s_waitcnt vmcnt(0)
	v_fma_f64 v[33:34], v[29:30], v[3:4], -v[33:34]
	v_fma_f64 v[35:36], v[31:32], v[3:4], v[1:2]
	buffer_store_dword v33, off, s[0:3], 0 offset:112
	buffer_store_dword v34, off, s[0:3], 0 offset:116
	;; [unrolled: 1-line block ×4, first 2 shown]
	s_branch .LBB121_103
.LBB121_102:                            ;   in Loop: Header=BB121_103 Depth=1
	s_andn2_b32 vcc_lo, exec_lo, s8
	s_cbranch_vccz .LBB121_105
.LBB121_103:                            ; =>This Inner Loop Header: Depth=1
	v_mov_b32_e32 v4, s6
	v_add_nc_u32_e32 v1, s6, v241
	s_mov_b32 s7, s6
	s_mov_b32 s8, -1
	s_cmpk_eq_i32 s6, 0x3c0
	s_clause 0x3
	buffer_load_dword v2, v4, s[0:3], 0 offen
	buffer_load_dword v3, v4, s[0:3], 0 offen offset:4
	buffer_load_dword v41, v4, s[0:3], 0 offen offset:8
	buffer_load_dword v42, v4, s[0:3], 0 offen offset:12
	ds_read2_b64 v[37:40], v1 offset1:1
	s_waitcnt vmcnt(4) lgkmcnt(0)
	v_mul_f64 v[43:44], v[39:40], v[35:36]
	v_mul_f64 v[35:36], v[37:38], v[35:36]
	v_fma_f64 v[37:38], v[37:38], v[33:34], -v[43:44]
	v_fma_f64 v[33:34], v[39:40], v[33:34], v[35:36]
                                        ; implicit-def: $vgpr35_vgpr36
	s_waitcnt vmcnt(2)
	v_add_f64 v[2:3], v[2:3], -v[37:38]
	s_waitcnt vmcnt(0)
	v_add_f64 v[33:34], v[41:42], -v[33:34]
	buffer_store_dword v2, v4, s[0:3], 0 offen
	buffer_store_dword v3, v4, s[0:3], 0 offen offset:4
	buffer_store_dword v33, v4, s[0:3], 0 offen offset:8
	;; [unrolled: 1-line block ×3, first 2 shown]
                                        ; implicit-def: $vgpr33_vgpr34
	s_cbranch_scc1 .LBB121_102
; %bb.104:                              ;   in Loop: Header=BB121_103 Depth=1
	s_clause 0x3
	buffer_load_dword v2, off, s[0:3], 0 offset:120
	buffer_load_dword v3, off, s[0:3], 0 offset:124
	;; [unrolled: 1-line block ×4, first 2 shown]
	v_mov_b32_e32 v5, s7
	s_add_i32 s6, s6, 64
	s_mov_b32 s8, 0
	s_clause 0x3
	buffer_load_dword v43, v5, s[0:3], 0 offen offset:16
	buffer_load_dword v44, v5, s[0:3], 0 offen offset:20
	;; [unrolled: 1-line block ×4, first 2 shown]
	ds_read2_b64 v[33:36], v1 offset0:2 offset1:3
	ds_read2_b64 v[37:40], v1 offset0:4 offset1:5
	s_waitcnt vmcnt(6) lgkmcnt(1)
	v_mul_f64 v[47:48], v[35:36], v[2:3]
	v_mul_f64 v[2:3], v[33:34], v[2:3]
	s_waitcnt vmcnt(4)
	v_fma_f64 v[33:34], v[33:34], v[41:42], -v[47:48]
	v_fma_f64 v[2:3], v[35:36], v[41:42], v[2:3]
	s_waitcnt vmcnt(2)
	v_add_f64 v[33:34], v[43:44], -v[33:34]
	s_waitcnt vmcnt(0)
	v_add_f64 v[2:3], v[45:46], -v[2:3]
	buffer_store_dword v34, v5, s[0:3], 0 offen offset:20
	buffer_store_dword v33, v5, s[0:3], 0 offen offset:16
	;; [unrolled: 1-line block ×4, first 2 shown]
	s_clause 0x7
	buffer_load_dword v3, v5, s[0:3], 0 offen offset:36
	buffer_load_dword v33, v5, s[0:3], 0 offen offset:40
	;; [unrolled: 1-line block ×3, first 2 shown]
	buffer_load_dword v36, off, s[0:3], 0 offset:124
	buffer_load_dword v35, off, s[0:3], 0 offset:120
	;; [unrolled: 1-line block ×4, first 2 shown]
	buffer_load_dword v2, v5, s[0:3], 0 offen offset:32
	s_waitcnt vmcnt(3) lgkmcnt(0)
	v_mul_f64 v[43:44], v[39:40], v[35:36]
	v_mul_f64 v[35:36], v[37:38], v[35:36]
	s_waitcnt vmcnt(1)
	v_fma_f64 v[37:38], v[37:38], v[41:42], -v[43:44]
	v_fma_f64 v[35:36], v[39:40], v[41:42], v[35:36]
	s_waitcnt vmcnt(0)
	v_add_f64 v[2:3], v[2:3], -v[37:38]
	v_add_f64 v[33:34], v[33:34], -v[35:36]
	buffer_store_dword v3, v5, s[0:3], 0 offen offset:36
	buffer_store_dword v2, v5, s[0:3], 0 offen offset:32
	;; [unrolled: 1-line block ×4, first 2 shown]
	s_clause 0x7
	buffer_load_dword v34, v5, s[0:3], 0 offen offset:52
	buffer_load_dword v35, v5, s[0:3], 0 offen offset:56
	;; [unrolled: 1-line block ×3, first 2 shown]
	buffer_load_dword v37, off, s[0:3], 0 offset:120
	buffer_load_dword v38, off, s[0:3], 0 offset:124
	;; [unrolled: 1-line block ×4, first 2 shown]
	buffer_load_dword v33, v5, s[0:3], 0 offen offset:48
	ds_read2_b64 v[1:4], v1 offset0:6 offset1:7
	s_waitcnt vmcnt(3) lgkmcnt(0)
	v_mul_f64 v[41:42], v[3:4], v[37:38]
	v_mul_f64 v[37:38], v[1:2], v[37:38]
	s_waitcnt vmcnt(1)
	v_fma_f64 v[1:2], v[1:2], v[39:40], -v[41:42]
	v_fma_f64 v[3:4], v[3:4], v[39:40], v[37:38]
	s_waitcnt vmcnt(0)
	v_add_f64 v[1:2], v[33:34], -v[1:2]
	v_add_f64 v[3:4], v[35:36], -v[3:4]
	buffer_store_dword v2, v5, s[0:3], 0 offen offset:52
	buffer_store_dword v1, v5, s[0:3], 0 offen offset:48
	;; [unrolled: 1-line block ×4, first 2 shown]
	s_clause 0x3
	buffer_load_dword v33, off, s[0:3], 0 offset:112
	buffer_load_dword v34, off, s[0:3], 0 offset:116
	;; [unrolled: 1-line block ×4, first 2 shown]
	s_branch .LBB121_102
.LBB121_105:
	s_or_b32 exec_lo, exec_lo, s5
	s_mov_b32 s6, exec_lo
	s_waitcnt vmcnt(0) lgkmcnt(0)
	s_waitcnt_vscnt null, 0x0
	s_barrier
	buffer_gl0_inv
	v_cmpx_eq_u32_e32 8, v0
	s_cbranch_execz .LBB121_114
; %bb.106:
	v_mov_b32_e32 v4, s68
	s_movk_i32 s5, 0x90
	s_clause 0x3
	buffer_load_dword v1, v4, s[0:3], 0 offen
	buffer_load_dword v2, v4, s[0:3], 0 offen offset:4
	buffer_load_dword v3, v4, s[0:3], 0 offen offset:8
	;; [unrolled: 1-line block ×3, first 2 shown]
	s_waitcnt vmcnt(0)
	ds_write2_b64 v255, v[1:2], v[3:4] offset1:1
.LBB121_107:                            ; =>This Inner Loop Header: Depth=1
	v_mov_b32_e32 v5, s5
	s_clause 0x33
	buffer_load_dword v1, v5, s[0:3], 0 offen
	buffer_load_dword v2, v5, s[0:3], 0 offen offset:4
	buffer_load_dword v3, v5, s[0:3], 0 offen offset:8
	;; [unrolled: 1-line block ×51, first 2 shown]
	v_add_nc_u32_e32 v5, s5, v241
	s_addk_i32 s5, 0xd0
	s_waitcnt vmcnt(48)
	ds_write2_b64 v5, v[1:2], v[3:4] offset1:1
	s_waitcnt vmcnt(44)
	ds_write2_b64 v5, v[33:34], v[35:36] offset0:2 offset1:3
	s_waitcnt vmcnt(40)
	ds_write2_b64 v5, v[37:38], v[39:40] offset0:4 offset1:5
	;; [unrolled: 2-line block ×4, first 2 shown]
	ds_write2_b64 v5, v[49:50], v[47:48] offset0:10 offset1:11
	s_waitcnt vmcnt(20)
	ds_write2_b64 v5, v[59:60], v[53:54] offset0:12 offset1:13
	ds_write2_b64 v5, v[57:58], v[55:56] offset0:14 offset1:15
	s_waitcnt vmcnt(16)
	ds_write2_b64 v5, v[61:62], v[63:64] offset0:16 offset1:17
	s_waitcnt vmcnt(12)
	;; [unrolled: 2-line block ×5, first 2 shown]
	ds_write2_b64 v5, v[77:78], v[79:80] offset0:24 offset1:25
	s_cmpk_lg_i32 s5, 0x3d0
	s_cbranch_scc1 .LBB121_107
; %bb.108:
	ds_read2_b64 v[33:36], v255 offset1:1
	s_waitcnt lgkmcnt(0)
	v_cmp_neq_f64_e32 vcc_lo, 0, v[33:34]
	v_cmp_neq_f64_e64 s5, 0, v[35:36]
	s_or_b32 s5, vcc_lo, s5
	s_and_b32 exec_lo, exec_lo, s5
	s_cbranch_execz .LBB121_114
; %bb.109:
	v_cmp_ngt_f64_e64 s5, |v[33:34]|, |v[35:36]|
                                        ; implicit-def: $vgpr1_vgpr2
	s_and_saveexec_b32 s7, s5
	s_xor_b32 s5, exec_lo, s7
                                        ; implicit-def: $vgpr3_vgpr4
	s_cbranch_execz .LBB121_111
; %bb.110:
	v_div_scale_f64 v[1:2], null, v[35:36], v[35:36], v[33:34]
	v_div_scale_f64 v[39:40], vcc_lo, v[33:34], v[35:36], v[33:34]
	v_rcp_f64_e32 v[3:4], v[1:2]
	v_fma_f64 v[37:38], -v[1:2], v[3:4], 1.0
	v_fma_f64 v[3:4], v[3:4], v[37:38], v[3:4]
	v_fma_f64 v[37:38], -v[1:2], v[3:4], 1.0
	v_fma_f64 v[3:4], v[3:4], v[37:38], v[3:4]
	v_mul_f64 v[37:38], v[39:40], v[3:4]
	v_fma_f64 v[1:2], -v[1:2], v[37:38], v[39:40]
	v_div_fmas_f64 v[1:2], v[1:2], v[3:4], v[37:38]
	v_div_fixup_f64 v[1:2], v[1:2], v[35:36], v[33:34]
	v_fma_f64 v[3:4], v[33:34], v[1:2], v[35:36]
	v_div_scale_f64 v[33:34], null, v[3:4], v[3:4], 1.0
	v_rcp_f64_e32 v[35:36], v[33:34]
	v_fma_f64 v[37:38], -v[33:34], v[35:36], 1.0
	v_fma_f64 v[35:36], v[35:36], v[37:38], v[35:36]
	v_fma_f64 v[37:38], -v[33:34], v[35:36], 1.0
	v_fma_f64 v[35:36], v[35:36], v[37:38], v[35:36]
	v_div_scale_f64 v[37:38], vcc_lo, 1.0, v[3:4], 1.0
	v_mul_f64 v[39:40], v[37:38], v[35:36]
	v_fma_f64 v[33:34], -v[33:34], v[39:40], v[37:38]
	v_div_fmas_f64 v[33:34], v[33:34], v[35:36], v[39:40]
	v_div_fixup_f64 v[3:4], v[33:34], v[3:4], 1.0
                                        ; implicit-def: $vgpr33_vgpr34
	v_mul_f64 v[1:2], v[1:2], v[3:4]
	v_xor_b32_e32 v4, 0x80000000, v4
.LBB121_111:
	s_andn2_saveexec_b32 s5, s5
	s_cbranch_execz .LBB121_113
; %bb.112:
	v_div_scale_f64 v[1:2], null, v[33:34], v[33:34], v[35:36]
	v_div_scale_f64 v[39:40], vcc_lo, v[35:36], v[33:34], v[35:36]
	v_rcp_f64_e32 v[3:4], v[1:2]
	v_fma_f64 v[37:38], -v[1:2], v[3:4], 1.0
	v_fma_f64 v[3:4], v[3:4], v[37:38], v[3:4]
	v_fma_f64 v[37:38], -v[1:2], v[3:4], 1.0
	v_fma_f64 v[3:4], v[3:4], v[37:38], v[3:4]
	v_mul_f64 v[37:38], v[39:40], v[3:4]
	v_fma_f64 v[1:2], -v[1:2], v[37:38], v[39:40]
	v_div_fmas_f64 v[1:2], v[1:2], v[3:4], v[37:38]
	v_div_fixup_f64 v[3:4], v[1:2], v[33:34], v[35:36]
	v_fma_f64 v[1:2], v[35:36], v[3:4], v[33:34]
	v_div_scale_f64 v[33:34], null, v[1:2], v[1:2], 1.0
	v_rcp_f64_e32 v[35:36], v[33:34]
	v_fma_f64 v[37:38], -v[33:34], v[35:36], 1.0
	v_fma_f64 v[35:36], v[35:36], v[37:38], v[35:36]
	v_fma_f64 v[37:38], -v[33:34], v[35:36], 1.0
	v_fma_f64 v[35:36], v[35:36], v[37:38], v[35:36]
	v_div_scale_f64 v[37:38], vcc_lo, 1.0, v[1:2], 1.0
	v_mul_f64 v[39:40], v[37:38], v[35:36]
	v_fma_f64 v[33:34], -v[33:34], v[39:40], v[37:38]
	v_div_fmas_f64 v[33:34], v[33:34], v[35:36], v[39:40]
	v_div_fixup_f64 v[1:2], v[33:34], v[1:2], 1.0
	v_mul_f64 v[3:4], v[3:4], -v[1:2]
.LBB121_113:
	s_or_b32 exec_lo, exec_lo, s5
	ds_write2_b64 v255, v[1:2], v[3:4] offset1:1
.LBB121_114:
	s_or_b32 exec_lo, exec_lo, s6
	s_waitcnt lgkmcnt(0)
	s_barrier
	buffer_gl0_inv
	ds_read2_b64 v[33:36], v255 offset1:1
	s_mov_b32 s5, exec_lo
	v_cmpx_lt_u32_e32 8, v0
	s_cbranch_execz .LBB121_117
; %bb.115:
	s_clause 0x3
	buffer_load_dword v1, off, s[0:3], 0 offset:136
	buffer_load_dword v2, off, s[0:3], 0 offset:140
	;; [unrolled: 1-line block ×4, first 2 shown]
	s_movk_i32 s6, 0x90
	s_waitcnt vmcnt(2) lgkmcnt(0)
	v_mul_f64 v[37:38], v[35:36], v[1:2]
	v_mul_f64 v[1:2], v[33:34], v[1:2]
	s_waitcnt vmcnt(0)
	v_fma_f64 v[37:38], v[33:34], v[3:4], -v[37:38]
	v_fma_f64 v[1:2], v[35:36], v[3:4], v[1:2]
	buffer_store_dword v37, off, s[0:3], 0 offset:128
	buffer_store_dword v38, off, s[0:3], 0 offset:132
	;; [unrolled: 1-line block ×4, first 2 shown]
.LBB121_116:                            ; =>This Inner Loop Header: Depth=1
	s_clause 0x3
	buffer_load_dword v41, off, s[0:3], 0 offset:136
	buffer_load_dword v42, off, s[0:3], 0 offset:140
	;; [unrolled: 1-line block ×4, first 2 shown]
	v_mov_b32_e32 v5, s6
	v_add_nc_u32_e32 v6, s6, v241
	s_add_i32 s6, s6, 64
	s_clause 0x3
	buffer_load_dword v45, v5, s[0:3], 0 offen
	buffer_load_dword v46, v5, s[0:3], 0 offen offset:4
	buffer_load_dword v47, v5, s[0:3], 0 offen offset:8
	;; [unrolled: 1-line block ×3, first 2 shown]
	ds_read2_b64 v[1:4], v6 offset1:1
	ds_read2_b64 v[37:40], v6 offset0:2 offset1:3
	s_cmpk_lg_i32 s6, 0x3d0
	s_waitcnt vmcnt(6) lgkmcnt(1)
	v_mul_f64 v[49:50], v[3:4], v[41:42]
	v_mul_f64 v[41:42], v[1:2], v[41:42]
	s_waitcnt vmcnt(4)
	v_fma_f64 v[1:2], v[1:2], v[43:44], -v[49:50]
	v_fma_f64 v[3:4], v[3:4], v[43:44], v[41:42]
	s_clause 0x3
	buffer_load_dword v41, v5, s[0:3], 0 offen offset:16
	buffer_load_dword v42, v5, s[0:3], 0 offen offset:20
	;; [unrolled: 1-line block ×4, first 2 shown]
	s_waitcnt vmcnt(6)
	v_add_f64 v[1:2], v[45:46], -v[1:2]
	s_waitcnt vmcnt(4)
	v_add_f64 v[3:4], v[47:48], -v[3:4]
	buffer_store_dword v2, v5, s[0:3], 0 offen offset:4
	buffer_store_dword v1, v5, s[0:3], 0 offen
	buffer_store_dword v4, v5, s[0:3], 0 offen offset:12
	buffer_store_dword v3, v5, s[0:3], 0 offen offset:8
	s_clause 0x3
	buffer_load_dword v2, off, s[0:3], 0 offset:140
	buffer_load_dword v1, off, s[0:3], 0 offset:136
	;; [unrolled: 1-line block ×4, first 2 shown]
	s_waitcnt vmcnt(2) lgkmcnt(0)
	v_mul_f64 v[45:46], v[39:40], v[1:2]
	v_mul_f64 v[1:2], v[37:38], v[1:2]
	s_waitcnt vmcnt(0)
	v_fma_f64 v[37:38], v[37:38], v[3:4], -v[45:46]
	v_fma_f64 v[1:2], v[39:40], v[3:4], v[1:2]
	v_add_f64 v[3:4], v[41:42], -v[37:38]
	v_add_f64 v[1:2], v[43:44], -v[1:2]
	s_clause 0x3
	buffer_load_dword v41, v5, s[0:3], 0 offen offset:32
	buffer_load_dword v42, v5, s[0:3], 0 offen offset:36
	;; [unrolled: 1-line block ×4, first 2 shown]
	buffer_store_dword v4, v5, s[0:3], 0 offen offset:20
	buffer_store_dword v3, v5, s[0:3], 0 offen offset:16
	;; [unrolled: 1-line block ×4, first 2 shown]
	s_clause 0x3
	buffer_load_dword v45, off, s[0:3], 0 offset:136
	buffer_load_dword v46, off, s[0:3], 0 offset:140
	;; [unrolled: 1-line block ×4, first 2 shown]
	ds_read2_b64 v[1:4], v6 offset0:4 offset1:5
	ds_read2_b64 v[37:40], v6 offset0:6 offset1:7
	s_waitcnt vmcnt(2) lgkmcnt(1)
	v_mul_f64 v[49:50], v[3:4], v[45:46]
	v_mul_f64 v[45:46], v[1:2], v[45:46]
	s_waitcnt vmcnt(0)
	v_fma_f64 v[1:2], v[1:2], v[47:48], -v[49:50]
	v_fma_f64 v[3:4], v[3:4], v[47:48], v[45:46]
	v_add_f64 v[1:2], v[41:42], -v[1:2]
	v_add_f64 v[3:4], v[43:44], -v[3:4]
	buffer_store_dword v2, v5, s[0:3], 0 offen offset:36
	buffer_store_dword v1, v5, s[0:3], 0 offen offset:32
	;; [unrolled: 1-line block ×4, first 2 shown]
	s_clause 0x7
	buffer_load_dword v1, off, s[0:3], 0 offset:136
	buffer_load_dword v2, off, s[0:3], 0 offset:140
	;; [unrolled: 1-line block ×4, first 2 shown]
	buffer_load_dword v41, v5, s[0:3], 0 offen offset:48
	buffer_load_dword v42, v5, s[0:3], 0 offen offset:52
	;; [unrolled: 1-line block ×4, first 2 shown]
	s_waitcnt vmcnt(6) lgkmcnt(0)
	v_mul_f64 v[45:46], v[39:40], v[1:2]
	v_mul_f64 v[1:2], v[37:38], v[1:2]
	s_waitcnt vmcnt(4)
	v_fma_f64 v[37:38], v[37:38], v[3:4], -v[45:46]
	v_fma_f64 v[1:2], v[39:40], v[3:4], v[1:2]
	s_waitcnt vmcnt(2)
	v_add_f64 v[3:4], v[41:42], -v[37:38]
	s_waitcnt vmcnt(0)
	v_add_f64 v[1:2], v[43:44], -v[1:2]
	buffer_store_dword v4, v5, s[0:3], 0 offen offset:52
	buffer_store_dword v3, v5, s[0:3], 0 offen offset:48
	;; [unrolled: 1-line block ×4, first 2 shown]
	s_cbranch_scc1 .LBB121_116
.LBB121_117:
	s_or_b32 exec_lo, exec_lo, s5
	s_mov_b32 s6, exec_lo
	s_waitcnt lgkmcnt(0)
	s_waitcnt_vscnt null, 0x0
	s_barrier
	buffer_gl0_inv
	v_cmpx_eq_u32_e32 9, v0
	s_cbranch_execz .LBB121_126
; %bb.118:
	v_mov_b32_e32 v4, s67
	s_movk_i32 s5, 0xa0
	s_clause 0x3
	buffer_load_dword v1, v4, s[0:3], 0 offen
	buffer_load_dword v2, v4, s[0:3], 0 offen offset:4
	buffer_load_dword v3, v4, s[0:3], 0 offen offset:8
	;; [unrolled: 1-line block ×3, first 2 shown]
	s_waitcnt vmcnt(0)
	ds_write2_b64 v255, v[1:2], v[3:4] offset1:1
.LBB121_119:                            ; =>This Inner Loop Header: Depth=1
	v_mov_b32_e32 v5, s5
	s_clause 0x3e
	buffer_load_dword v1, v5, s[0:3], 0 offen
	buffer_load_dword v2, v5, s[0:3], 0 offen offset:4
	buffer_load_dword v3, v5, s[0:3], 0 offen offset:8
	;; [unrolled: 1-line block ×62, first 2 shown]
	s_clause 0x4
	buffer_load_dword v96, v5, s[0:3], 0 offen offset:252
	buffer_load_dword v97, v5, s[0:3], 0 offen offset:256
	;; [unrolled: 1-line block ×5, first 2 shown]
	v_add_nc_u32_e32 v5, s5, v241
	s_addk_i32 s5, 0x110
	s_waitcnt vmcnt(62)
	ds_write2_b64 v5, v[1:2], v[3:4] offset1:1
	s_waitcnt vmcnt(60)
	ds_write2_b64 v5, v[37:38], v[39:40] offset0:2 offset1:3
	s_waitcnt vmcnt(56)
	ds_write2_b64 v5, v[41:42], v[43:44] offset0:4 offset1:5
	;; [unrolled: 2-line block ×4, first 2 shown]
	ds_write2_b64 v5, v[53:54], v[51:52] offset0:10 offset1:11
	s_waitcnt vmcnt(36)
	ds_write2_b64 v5, v[63:64], v[57:58] offset0:12 offset1:13
	ds_write2_b64 v5, v[61:62], v[59:60] offset0:14 offset1:15
	s_waitcnt vmcnt(32)
	ds_write2_b64 v5, v[65:66], v[67:68] offset0:16 offset1:17
	s_waitcnt vmcnt(28)
	;; [unrolled: 2-line block ×9, first 2 shown]
	ds_write2_b64 v5, v[97:98], v[99:100] offset0:32 offset1:33
	s_cmpk_lg_i32 s5, 0x3d0
	s_cbranch_scc1 .LBB121_119
; %bb.120:
	ds_read2_b64 v[37:40], v255 offset1:1
	s_waitcnt lgkmcnt(0)
	v_cmp_neq_f64_e32 vcc_lo, 0, v[37:38]
	v_cmp_neq_f64_e64 s5, 0, v[39:40]
	s_or_b32 s5, vcc_lo, s5
	s_and_b32 exec_lo, exec_lo, s5
	s_cbranch_execz .LBB121_126
; %bb.121:
	v_cmp_ngt_f64_e64 s5, |v[37:38]|, |v[39:40]|
                                        ; implicit-def: $vgpr1_vgpr2
	s_and_saveexec_b32 s7, s5
	s_xor_b32 s5, exec_lo, s7
                                        ; implicit-def: $vgpr3_vgpr4
	s_cbranch_execz .LBB121_123
; %bb.122:
	v_div_scale_f64 v[1:2], null, v[39:40], v[39:40], v[37:38]
	v_div_scale_f64 v[43:44], vcc_lo, v[37:38], v[39:40], v[37:38]
	v_rcp_f64_e32 v[3:4], v[1:2]
	v_fma_f64 v[41:42], -v[1:2], v[3:4], 1.0
	v_fma_f64 v[3:4], v[3:4], v[41:42], v[3:4]
	v_fma_f64 v[41:42], -v[1:2], v[3:4], 1.0
	v_fma_f64 v[3:4], v[3:4], v[41:42], v[3:4]
	v_mul_f64 v[41:42], v[43:44], v[3:4]
	v_fma_f64 v[1:2], -v[1:2], v[41:42], v[43:44]
	v_div_fmas_f64 v[1:2], v[1:2], v[3:4], v[41:42]
	v_div_fixup_f64 v[1:2], v[1:2], v[39:40], v[37:38]
	v_fma_f64 v[3:4], v[37:38], v[1:2], v[39:40]
	v_div_scale_f64 v[37:38], null, v[3:4], v[3:4], 1.0
	v_rcp_f64_e32 v[39:40], v[37:38]
	v_fma_f64 v[41:42], -v[37:38], v[39:40], 1.0
	v_fma_f64 v[39:40], v[39:40], v[41:42], v[39:40]
	v_fma_f64 v[41:42], -v[37:38], v[39:40], 1.0
	v_fma_f64 v[39:40], v[39:40], v[41:42], v[39:40]
	v_div_scale_f64 v[41:42], vcc_lo, 1.0, v[3:4], 1.0
	v_mul_f64 v[43:44], v[41:42], v[39:40]
	v_fma_f64 v[37:38], -v[37:38], v[43:44], v[41:42]
	v_div_fmas_f64 v[37:38], v[37:38], v[39:40], v[43:44]
	v_div_fixup_f64 v[3:4], v[37:38], v[3:4], 1.0
                                        ; implicit-def: $vgpr37_vgpr38
	v_mul_f64 v[1:2], v[1:2], v[3:4]
	v_xor_b32_e32 v4, 0x80000000, v4
.LBB121_123:
	s_andn2_saveexec_b32 s5, s5
	s_cbranch_execz .LBB121_125
; %bb.124:
	v_div_scale_f64 v[1:2], null, v[37:38], v[37:38], v[39:40]
	v_div_scale_f64 v[43:44], vcc_lo, v[39:40], v[37:38], v[39:40]
	v_rcp_f64_e32 v[3:4], v[1:2]
	v_fma_f64 v[41:42], -v[1:2], v[3:4], 1.0
	v_fma_f64 v[3:4], v[3:4], v[41:42], v[3:4]
	v_fma_f64 v[41:42], -v[1:2], v[3:4], 1.0
	v_fma_f64 v[3:4], v[3:4], v[41:42], v[3:4]
	v_mul_f64 v[41:42], v[43:44], v[3:4]
	v_fma_f64 v[1:2], -v[1:2], v[41:42], v[43:44]
	v_div_fmas_f64 v[1:2], v[1:2], v[3:4], v[41:42]
	v_div_fixup_f64 v[3:4], v[1:2], v[37:38], v[39:40]
	v_fma_f64 v[1:2], v[39:40], v[3:4], v[37:38]
	v_div_scale_f64 v[37:38], null, v[1:2], v[1:2], 1.0
	v_rcp_f64_e32 v[39:40], v[37:38]
	v_fma_f64 v[41:42], -v[37:38], v[39:40], 1.0
	v_fma_f64 v[39:40], v[39:40], v[41:42], v[39:40]
	v_fma_f64 v[41:42], -v[37:38], v[39:40], 1.0
	v_fma_f64 v[39:40], v[39:40], v[41:42], v[39:40]
	v_div_scale_f64 v[41:42], vcc_lo, 1.0, v[1:2], 1.0
	v_mul_f64 v[43:44], v[41:42], v[39:40]
	v_fma_f64 v[37:38], -v[37:38], v[43:44], v[41:42]
	v_div_fmas_f64 v[37:38], v[37:38], v[39:40], v[43:44]
	v_div_fixup_f64 v[1:2], v[37:38], v[1:2], 1.0
	v_mul_f64 v[3:4], v[3:4], -v[1:2]
.LBB121_125:
	s_or_b32 exec_lo, exec_lo, s5
	ds_write2_b64 v255, v[1:2], v[3:4] offset1:1
.LBB121_126:
	s_or_b32 exec_lo, exec_lo, s6
	s_waitcnt lgkmcnt(0)
	s_barrier
	buffer_gl0_inv
	ds_read2_b64 v[37:40], v255 offset1:1
	s_mov_b32 s5, exec_lo
	v_cmpx_lt_u32_e32 9, v0
	s_cbranch_execz .LBB121_129
; %bb.127:
	s_clause 0x3
	buffer_load_dword v1, off, s[0:3], 0 offset:152
	buffer_load_dword v2, off, s[0:3], 0 offset:156
	;; [unrolled: 1-line block ×4, first 2 shown]
	s_movk_i32 s6, 0xa0
	s_waitcnt vmcnt(2) lgkmcnt(0)
	v_mul_f64 v[41:42], v[39:40], v[1:2]
	v_mul_f64 v[1:2], v[37:38], v[1:2]
	s_waitcnt vmcnt(0)
	v_fma_f64 v[41:42], v[37:38], v[3:4], -v[41:42]
	v_fma_f64 v[1:2], v[39:40], v[3:4], v[1:2]
	buffer_store_dword v41, off, s[0:3], 0 offset:144
	buffer_store_dword v42, off, s[0:3], 0 offset:148
	;; [unrolled: 1-line block ×4, first 2 shown]
.LBB121_128:                            ; =>This Inner Loop Header: Depth=1
	s_clause 0x3
	buffer_load_dword v45, off, s[0:3], 0 offset:152
	buffer_load_dword v46, off, s[0:3], 0 offset:156
	;; [unrolled: 1-line block ×4, first 2 shown]
	v_mov_b32_e32 v5, s6
	v_add_nc_u32_e32 v6, s6, v241
	s_add_i32 s6, s6, 48
	s_clause 0x3
	buffer_load_dword v49, v5, s[0:3], 0 offen
	buffer_load_dword v50, v5, s[0:3], 0 offen offset:4
	buffer_load_dword v51, v5, s[0:3], 0 offen offset:8
	;; [unrolled: 1-line block ×3, first 2 shown]
	ds_read2_b64 v[1:4], v6 offset1:1
	ds_read2_b64 v[41:44], v6 offset0:2 offset1:3
	s_cmpk_lg_i32 s6, 0x3d0
	s_waitcnt vmcnt(6) lgkmcnt(1)
	v_mul_f64 v[53:54], v[3:4], v[45:46]
	v_mul_f64 v[45:46], v[1:2], v[45:46]
	s_waitcnt vmcnt(4)
	v_fma_f64 v[1:2], v[1:2], v[47:48], -v[53:54]
	v_fma_f64 v[3:4], v[3:4], v[47:48], v[45:46]
	s_clause 0x3
	buffer_load_dword v45, v5, s[0:3], 0 offen offset:16
	buffer_load_dword v46, v5, s[0:3], 0 offen offset:20
	;; [unrolled: 1-line block ×4, first 2 shown]
	s_waitcnt vmcnt(6)
	v_add_f64 v[1:2], v[49:50], -v[1:2]
	s_waitcnt vmcnt(4)
	v_add_f64 v[3:4], v[51:52], -v[3:4]
	buffer_store_dword v2, v5, s[0:3], 0 offen offset:4
	buffer_store_dword v1, v5, s[0:3], 0 offen
	buffer_store_dword v4, v5, s[0:3], 0 offen offset:12
	buffer_store_dword v3, v5, s[0:3], 0 offen offset:8
	s_clause 0x3
	buffer_load_dword v2, off, s[0:3], 0 offset:156
	buffer_load_dword v1, off, s[0:3], 0 offset:152
	buffer_load_dword v4, off, s[0:3], 0 offset:148
	buffer_load_dword v3, off, s[0:3], 0 offset:144
	s_waitcnt vmcnt(2) lgkmcnt(0)
	v_mul_f64 v[49:50], v[43:44], v[1:2]
	v_mul_f64 v[1:2], v[41:42], v[1:2]
	s_waitcnt vmcnt(0)
	v_fma_f64 v[41:42], v[41:42], v[3:4], -v[49:50]
	v_fma_f64 v[1:2], v[43:44], v[3:4], v[1:2]
	v_add_f64 v[3:4], v[45:46], -v[41:42]
	v_add_f64 v[1:2], v[47:48], -v[1:2]
	s_clause 0x3
	buffer_load_dword v41, v5, s[0:3], 0 offen offset:32
	buffer_load_dword v42, v5, s[0:3], 0 offen offset:36
	;; [unrolled: 1-line block ×4, first 2 shown]
	buffer_store_dword v4, v5, s[0:3], 0 offen offset:20
	buffer_store_dword v3, v5, s[0:3], 0 offen offset:16
	;; [unrolled: 1-line block ×4, first 2 shown]
	s_clause 0x3
	buffer_load_dword v45, off, s[0:3], 0 offset:152
	buffer_load_dword v46, off, s[0:3], 0 offset:156
	;; [unrolled: 1-line block ×4, first 2 shown]
	ds_read2_b64 v[1:4], v6 offset0:4 offset1:5
	s_waitcnt vmcnt(2) lgkmcnt(0)
	v_mul_f64 v[49:50], v[3:4], v[45:46]
	v_mul_f64 v[45:46], v[1:2], v[45:46]
	s_waitcnt vmcnt(0)
	v_fma_f64 v[1:2], v[1:2], v[47:48], -v[49:50]
	v_fma_f64 v[3:4], v[3:4], v[47:48], v[45:46]
	v_add_f64 v[1:2], v[41:42], -v[1:2]
	v_add_f64 v[3:4], v[43:44], -v[3:4]
	buffer_store_dword v2, v5, s[0:3], 0 offen offset:36
	buffer_store_dword v1, v5, s[0:3], 0 offen offset:32
	buffer_store_dword v4, v5, s[0:3], 0 offen offset:44
	buffer_store_dword v3, v5, s[0:3], 0 offen offset:40
	s_cbranch_scc1 .LBB121_128
.LBB121_129:
	s_or_b32 exec_lo, exec_lo, s5
	s_mov_b32 s6, exec_lo
	s_waitcnt lgkmcnt(0)
	s_waitcnt_vscnt null, 0x0
	s_barrier
	buffer_gl0_inv
	v_cmpx_eq_u32_e32 10, v0
	s_cbranch_execz .LBB121_138
; %bb.130:
	v_mov_b32_e32 v4, s66
	s_movk_i32 s5, 0xb0
	s_clause 0x3
	buffer_load_dword v1, v4, s[0:3], 0 offen
	buffer_load_dword v2, v4, s[0:3], 0 offen offset:4
	buffer_load_dword v3, v4, s[0:3], 0 offen offset:8
	;; [unrolled: 1-line block ×3, first 2 shown]
	s_waitcnt vmcnt(0)
	ds_write2_b64 v255, v[1:2], v[3:4] offset1:1
.LBB121_131:                            ; =>This Inner Loop Header: Depth=1
	v_mov_b32_e32 v5, s5
	s_clause 0x27
	buffer_load_dword v1, v5, s[0:3], 0 offen
	buffer_load_dword v2, v5, s[0:3], 0 offen offset:4
	buffer_load_dword v3, v5, s[0:3], 0 offen offset:8
	;; [unrolled: 1-line block ×39, first 2 shown]
	v_add_nc_u32_e32 v5, s5, v241
	s_addk_i32 s5, 0xa0
	s_waitcnt vmcnt(36)
	ds_write2_b64 v5, v[1:2], v[3:4] offset1:1
	s_waitcnt vmcnt(32)
	ds_write2_b64 v5, v[41:42], v[43:44] offset0:2 offset1:3
	s_waitcnt vmcnt(28)
	ds_write2_b64 v5, v[45:46], v[47:48] offset0:4 offset1:5
	;; [unrolled: 2-line block ×4, first 2 shown]
	ds_write2_b64 v5, v[57:58], v[55:56] offset0:10 offset1:11
	s_waitcnt vmcnt(8)
	ds_write2_b64 v5, v[67:68], v[61:62] offset0:12 offset1:13
	ds_write2_b64 v5, v[65:66], v[63:64] offset0:14 offset1:15
	s_waitcnt vmcnt(4)
	ds_write2_b64 v5, v[69:70], v[71:72] offset0:16 offset1:17
	s_waitcnt vmcnt(0)
	ds_write2_b64 v5, v[73:74], v[75:76] offset0:18 offset1:19
	s_cmpk_lg_i32 s5, 0x3d0
	s_cbranch_scc1 .LBB121_131
; %bb.132:
	ds_read2_b64 v[41:44], v255 offset1:1
	s_waitcnt lgkmcnt(0)
	v_cmp_neq_f64_e32 vcc_lo, 0, v[41:42]
	v_cmp_neq_f64_e64 s5, 0, v[43:44]
	s_or_b32 s5, vcc_lo, s5
	s_and_b32 exec_lo, exec_lo, s5
	s_cbranch_execz .LBB121_138
; %bb.133:
	v_cmp_ngt_f64_e64 s5, |v[41:42]|, |v[43:44]|
                                        ; implicit-def: $vgpr1_vgpr2
	s_and_saveexec_b32 s7, s5
	s_xor_b32 s5, exec_lo, s7
                                        ; implicit-def: $vgpr3_vgpr4
	s_cbranch_execz .LBB121_135
; %bb.134:
	v_div_scale_f64 v[1:2], null, v[43:44], v[43:44], v[41:42]
	v_div_scale_f64 v[47:48], vcc_lo, v[41:42], v[43:44], v[41:42]
	v_rcp_f64_e32 v[3:4], v[1:2]
	v_fma_f64 v[45:46], -v[1:2], v[3:4], 1.0
	v_fma_f64 v[3:4], v[3:4], v[45:46], v[3:4]
	v_fma_f64 v[45:46], -v[1:2], v[3:4], 1.0
	v_fma_f64 v[3:4], v[3:4], v[45:46], v[3:4]
	v_mul_f64 v[45:46], v[47:48], v[3:4]
	v_fma_f64 v[1:2], -v[1:2], v[45:46], v[47:48]
	v_div_fmas_f64 v[1:2], v[1:2], v[3:4], v[45:46]
	v_div_fixup_f64 v[1:2], v[1:2], v[43:44], v[41:42]
	v_fma_f64 v[3:4], v[41:42], v[1:2], v[43:44]
	v_div_scale_f64 v[41:42], null, v[3:4], v[3:4], 1.0
	v_rcp_f64_e32 v[43:44], v[41:42]
	v_fma_f64 v[45:46], -v[41:42], v[43:44], 1.0
	v_fma_f64 v[43:44], v[43:44], v[45:46], v[43:44]
	v_fma_f64 v[45:46], -v[41:42], v[43:44], 1.0
	v_fma_f64 v[43:44], v[43:44], v[45:46], v[43:44]
	v_div_scale_f64 v[45:46], vcc_lo, 1.0, v[3:4], 1.0
	v_mul_f64 v[47:48], v[45:46], v[43:44]
	v_fma_f64 v[41:42], -v[41:42], v[47:48], v[45:46]
	v_div_fmas_f64 v[41:42], v[41:42], v[43:44], v[47:48]
	v_div_fixup_f64 v[3:4], v[41:42], v[3:4], 1.0
                                        ; implicit-def: $vgpr41_vgpr42
	v_mul_f64 v[1:2], v[1:2], v[3:4]
	v_xor_b32_e32 v4, 0x80000000, v4
.LBB121_135:
	s_andn2_saveexec_b32 s5, s5
	s_cbranch_execz .LBB121_137
; %bb.136:
	v_div_scale_f64 v[1:2], null, v[41:42], v[41:42], v[43:44]
	v_div_scale_f64 v[47:48], vcc_lo, v[43:44], v[41:42], v[43:44]
	v_rcp_f64_e32 v[3:4], v[1:2]
	v_fma_f64 v[45:46], -v[1:2], v[3:4], 1.0
	v_fma_f64 v[3:4], v[3:4], v[45:46], v[3:4]
	v_fma_f64 v[45:46], -v[1:2], v[3:4], 1.0
	v_fma_f64 v[3:4], v[3:4], v[45:46], v[3:4]
	v_mul_f64 v[45:46], v[47:48], v[3:4]
	v_fma_f64 v[1:2], -v[1:2], v[45:46], v[47:48]
	v_div_fmas_f64 v[1:2], v[1:2], v[3:4], v[45:46]
	v_div_fixup_f64 v[3:4], v[1:2], v[41:42], v[43:44]
	v_fma_f64 v[1:2], v[43:44], v[3:4], v[41:42]
	v_div_scale_f64 v[41:42], null, v[1:2], v[1:2], 1.0
	v_rcp_f64_e32 v[43:44], v[41:42]
	v_fma_f64 v[45:46], -v[41:42], v[43:44], 1.0
	v_fma_f64 v[43:44], v[43:44], v[45:46], v[43:44]
	v_fma_f64 v[45:46], -v[41:42], v[43:44], 1.0
	v_fma_f64 v[43:44], v[43:44], v[45:46], v[43:44]
	v_div_scale_f64 v[45:46], vcc_lo, 1.0, v[1:2], 1.0
	v_mul_f64 v[47:48], v[45:46], v[43:44]
	v_fma_f64 v[41:42], -v[41:42], v[47:48], v[45:46]
	v_div_fmas_f64 v[41:42], v[41:42], v[43:44], v[47:48]
	v_div_fixup_f64 v[1:2], v[41:42], v[1:2], 1.0
	v_mul_f64 v[3:4], v[3:4], -v[1:2]
.LBB121_137:
	s_or_b32 exec_lo, exec_lo, s5
	ds_write2_b64 v255, v[1:2], v[3:4] offset1:1
.LBB121_138:
	s_or_b32 exec_lo, exec_lo, s6
	s_waitcnt lgkmcnt(0)
	s_barrier
	buffer_gl0_inv
	ds_read2_b64 v[41:44], v255 offset1:1
	s_mov_b32 s5, exec_lo
	v_cmpx_lt_u32_e32 10, v0
	s_cbranch_execz .LBB121_141
; %bb.139:
	s_clause 0x3
	buffer_load_dword v1, off, s[0:3], 0 offset:168
	buffer_load_dword v2, off, s[0:3], 0 offset:172
	;; [unrolled: 1-line block ×4, first 2 shown]
	s_movk_i32 s6, 0xb0
	s_waitcnt vmcnt(2) lgkmcnt(0)
	v_mul_f64 v[45:46], v[43:44], v[1:2]
	v_mul_f64 v[1:2], v[41:42], v[1:2]
	s_waitcnt vmcnt(0)
	v_fma_f64 v[45:46], v[41:42], v[3:4], -v[45:46]
	v_fma_f64 v[1:2], v[43:44], v[3:4], v[1:2]
	buffer_store_dword v45, off, s[0:3], 0 offset:160
	buffer_store_dword v46, off, s[0:3], 0 offset:164
	;; [unrolled: 1-line block ×4, first 2 shown]
.LBB121_140:                            ; =>This Inner Loop Header: Depth=1
	s_clause 0x3
	buffer_load_dword v49, off, s[0:3], 0 offset:168
	buffer_load_dword v50, off, s[0:3], 0 offset:172
	;; [unrolled: 1-line block ×4, first 2 shown]
	v_mov_b32_e32 v5, s6
	v_add_nc_u32_e32 v6, s6, v241
	s_addk_i32 s6, 0x50
	s_clause 0x3
	buffer_load_dword v53, v5, s[0:3], 0 offen
	buffer_load_dword v54, v5, s[0:3], 0 offen offset:4
	buffer_load_dword v55, v5, s[0:3], 0 offen offset:8
	;; [unrolled: 1-line block ×3, first 2 shown]
	ds_read2_b64 v[1:4], v6 offset1:1
	ds_read2_b64 v[45:48], v6 offset0:2 offset1:3
	s_cmpk_lg_i32 s6, 0x3d0
	s_waitcnt vmcnt(6) lgkmcnt(1)
	v_mul_f64 v[57:58], v[3:4], v[49:50]
	v_mul_f64 v[49:50], v[1:2], v[49:50]
	s_waitcnt vmcnt(4)
	v_fma_f64 v[1:2], v[1:2], v[51:52], -v[57:58]
	v_fma_f64 v[3:4], v[3:4], v[51:52], v[49:50]
	s_clause 0x3
	buffer_load_dword v49, v5, s[0:3], 0 offen offset:16
	buffer_load_dword v50, v5, s[0:3], 0 offen offset:20
	;; [unrolled: 1-line block ×4, first 2 shown]
	s_waitcnt vmcnt(6)
	v_add_f64 v[1:2], v[53:54], -v[1:2]
	s_waitcnt vmcnt(4)
	v_add_f64 v[3:4], v[55:56], -v[3:4]
	buffer_store_dword v2, v5, s[0:3], 0 offen offset:4
	buffer_store_dword v1, v5, s[0:3], 0 offen
	buffer_store_dword v4, v5, s[0:3], 0 offen offset:12
	buffer_store_dword v3, v5, s[0:3], 0 offen offset:8
	s_clause 0x3
	buffer_load_dword v2, off, s[0:3], 0 offset:172
	buffer_load_dword v1, off, s[0:3], 0 offset:168
	;; [unrolled: 1-line block ×4, first 2 shown]
	s_waitcnt vmcnt(2) lgkmcnt(0)
	v_mul_f64 v[53:54], v[47:48], v[1:2]
	v_mul_f64 v[1:2], v[45:46], v[1:2]
	s_waitcnt vmcnt(0)
	v_fma_f64 v[45:46], v[45:46], v[3:4], -v[53:54]
	v_fma_f64 v[1:2], v[47:48], v[3:4], v[1:2]
	v_add_f64 v[3:4], v[49:50], -v[45:46]
	v_add_f64 v[1:2], v[51:52], -v[1:2]
	s_clause 0x3
	buffer_load_dword v49, v5, s[0:3], 0 offen offset:32
	buffer_load_dword v50, v5, s[0:3], 0 offen offset:36
	;; [unrolled: 1-line block ×4, first 2 shown]
	buffer_store_dword v4, v5, s[0:3], 0 offen offset:20
	buffer_store_dword v3, v5, s[0:3], 0 offen offset:16
	;; [unrolled: 1-line block ×4, first 2 shown]
	s_clause 0x3
	buffer_load_dword v53, off, s[0:3], 0 offset:168
	buffer_load_dword v54, off, s[0:3], 0 offset:172
	;; [unrolled: 1-line block ×4, first 2 shown]
	ds_read2_b64 v[1:4], v6 offset0:4 offset1:5
	ds_read2_b64 v[45:48], v6 offset0:6 offset1:7
	s_waitcnt vmcnt(2) lgkmcnt(1)
	v_mul_f64 v[57:58], v[3:4], v[53:54]
	v_mul_f64 v[53:54], v[1:2], v[53:54]
	s_waitcnt vmcnt(0)
	v_fma_f64 v[1:2], v[1:2], v[55:56], -v[57:58]
	v_fma_f64 v[3:4], v[3:4], v[55:56], v[53:54]
	v_add_f64 v[1:2], v[49:50], -v[1:2]
	v_add_f64 v[3:4], v[51:52], -v[3:4]
	buffer_store_dword v2, v5, s[0:3], 0 offen offset:36
	buffer_store_dword v1, v5, s[0:3], 0 offen offset:32
	;; [unrolled: 1-line block ×4, first 2 shown]
	s_clause 0x7
	buffer_load_dword v1, off, s[0:3], 0 offset:168
	buffer_load_dword v2, off, s[0:3], 0 offset:172
	;; [unrolled: 1-line block ×4, first 2 shown]
	buffer_load_dword v49, v5, s[0:3], 0 offen offset:48
	buffer_load_dword v50, v5, s[0:3], 0 offen offset:52
	;; [unrolled: 1-line block ×4, first 2 shown]
	s_waitcnt vmcnt(6) lgkmcnt(0)
	v_mul_f64 v[53:54], v[47:48], v[1:2]
	v_mul_f64 v[1:2], v[45:46], v[1:2]
	s_waitcnt vmcnt(4)
	v_fma_f64 v[45:46], v[45:46], v[3:4], -v[53:54]
	v_fma_f64 v[1:2], v[47:48], v[3:4], v[1:2]
	s_waitcnt vmcnt(2)
	v_add_f64 v[3:4], v[49:50], -v[45:46]
	s_waitcnt vmcnt(0)
	v_add_f64 v[1:2], v[51:52], -v[1:2]
	buffer_store_dword v4, v5, s[0:3], 0 offen offset:52
	buffer_store_dword v3, v5, s[0:3], 0 offen offset:48
	;; [unrolled: 1-line block ×4, first 2 shown]
	s_clause 0x7
	buffer_load_dword v45, off, s[0:3], 0 offset:168
	buffer_load_dword v46, off, s[0:3], 0 offset:172
	;; [unrolled: 1-line block ×4, first 2 shown]
	buffer_load_dword v49, v5, s[0:3], 0 offen offset:64
	buffer_load_dword v50, v5, s[0:3], 0 offen offset:68
	buffer_load_dword v51, v5, s[0:3], 0 offen offset:72
	buffer_load_dword v52, v5, s[0:3], 0 offen offset:76
	ds_read2_b64 v[1:4], v6 offset0:8 offset1:9
	s_waitcnt vmcnt(6) lgkmcnt(0)
	v_mul_f64 v[53:54], v[3:4], v[45:46]
	v_mul_f64 v[45:46], v[1:2], v[45:46]
	s_waitcnt vmcnt(4)
	v_fma_f64 v[1:2], v[1:2], v[47:48], -v[53:54]
	v_fma_f64 v[3:4], v[3:4], v[47:48], v[45:46]
	s_waitcnt vmcnt(2)
	v_add_f64 v[1:2], v[49:50], -v[1:2]
	s_waitcnt vmcnt(0)
	v_add_f64 v[3:4], v[51:52], -v[3:4]
	buffer_store_dword v2, v5, s[0:3], 0 offen offset:68
	buffer_store_dword v1, v5, s[0:3], 0 offen offset:64
	;; [unrolled: 1-line block ×4, first 2 shown]
	s_cbranch_scc1 .LBB121_140
.LBB121_141:
	s_or_b32 exec_lo, exec_lo, s5
	s_mov_b32 s6, exec_lo
	s_waitcnt lgkmcnt(0)
	s_waitcnt_vscnt null, 0x0
	s_barrier
	buffer_gl0_inv
	v_cmpx_eq_u32_e32 11, v0
	s_cbranch_execz .LBB121_150
; %bb.142:
	v_mov_b32_e32 v4, s65
	s_movk_i32 s5, 0xc0
	s_clause 0x3
	buffer_load_dword v1, v4, s[0:3], 0 offen
	buffer_load_dword v2, v4, s[0:3], 0 offen offset:4
	buffer_load_dword v3, v4, s[0:3], 0 offen offset:8
	;; [unrolled: 1-line block ×3, first 2 shown]
	s_waitcnt vmcnt(0)
	ds_write2_b64 v255, v[1:2], v[3:4] offset1:1
.LBB121_143:                            ; =>This Inner Loop Header: Depth=1
	v_mov_b32_e32 v5, s5
	s_clause 0x1b
	buffer_load_dword v1, v5, s[0:3], 0 offen
	buffer_load_dword v2, v5, s[0:3], 0 offen offset:4
	buffer_load_dword v3, v5, s[0:3], 0 offen offset:8
	;; [unrolled: 1-line block ×27, first 2 shown]
	v_add_nc_u32_e32 v5, s5, v241
	s_addk_i32 s5, 0x70
	s_waitcnt vmcnt(24)
	ds_write2_b64 v5, v[1:2], v[3:4] offset1:1
	s_waitcnt vmcnt(20)
	ds_write2_b64 v5, v[45:46], v[47:48] offset0:2 offset1:3
	s_waitcnt vmcnt(16)
	ds_write2_b64 v5, v[49:50], v[51:52] offset0:4 offset1:5
	;; [unrolled: 2-line block ×4, first 2 shown]
	ds_write2_b64 v5, v[61:62], v[59:60] offset0:10 offset1:11
	s_waitcnt vmcnt(0)
	ds_write2_b64 v5, v[67:68], v[65:66] offset0:12 offset1:13
	s_cmpk_lg_i32 s5, 0x3d0
	s_cbranch_scc1 .LBB121_143
; %bb.144:
	ds_read2_b64 v[45:48], v255 offset1:1
	s_waitcnt lgkmcnt(0)
	v_cmp_neq_f64_e32 vcc_lo, 0, v[45:46]
	v_cmp_neq_f64_e64 s5, 0, v[47:48]
	s_or_b32 s5, vcc_lo, s5
	s_and_b32 exec_lo, exec_lo, s5
	s_cbranch_execz .LBB121_150
; %bb.145:
	v_cmp_ngt_f64_e64 s5, |v[45:46]|, |v[47:48]|
                                        ; implicit-def: $vgpr1_vgpr2
	s_and_saveexec_b32 s7, s5
	s_xor_b32 s5, exec_lo, s7
                                        ; implicit-def: $vgpr3_vgpr4
	s_cbranch_execz .LBB121_147
; %bb.146:
	v_div_scale_f64 v[1:2], null, v[47:48], v[47:48], v[45:46]
	v_div_scale_f64 v[51:52], vcc_lo, v[45:46], v[47:48], v[45:46]
	v_rcp_f64_e32 v[3:4], v[1:2]
	v_fma_f64 v[49:50], -v[1:2], v[3:4], 1.0
	v_fma_f64 v[3:4], v[3:4], v[49:50], v[3:4]
	v_fma_f64 v[49:50], -v[1:2], v[3:4], 1.0
	v_fma_f64 v[3:4], v[3:4], v[49:50], v[3:4]
	v_mul_f64 v[49:50], v[51:52], v[3:4]
	v_fma_f64 v[1:2], -v[1:2], v[49:50], v[51:52]
	v_div_fmas_f64 v[1:2], v[1:2], v[3:4], v[49:50]
	v_div_fixup_f64 v[1:2], v[1:2], v[47:48], v[45:46]
	v_fma_f64 v[3:4], v[45:46], v[1:2], v[47:48]
	v_div_scale_f64 v[45:46], null, v[3:4], v[3:4], 1.0
	v_rcp_f64_e32 v[47:48], v[45:46]
	v_fma_f64 v[49:50], -v[45:46], v[47:48], 1.0
	v_fma_f64 v[47:48], v[47:48], v[49:50], v[47:48]
	v_fma_f64 v[49:50], -v[45:46], v[47:48], 1.0
	v_fma_f64 v[47:48], v[47:48], v[49:50], v[47:48]
	v_div_scale_f64 v[49:50], vcc_lo, 1.0, v[3:4], 1.0
	v_mul_f64 v[51:52], v[49:50], v[47:48]
	v_fma_f64 v[45:46], -v[45:46], v[51:52], v[49:50]
	v_div_fmas_f64 v[45:46], v[45:46], v[47:48], v[51:52]
	v_div_fixup_f64 v[3:4], v[45:46], v[3:4], 1.0
                                        ; implicit-def: $vgpr45_vgpr46
	v_mul_f64 v[1:2], v[1:2], v[3:4]
	v_xor_b32_e32 v4, 0x80000000, v4
.LBB121_147:
	s_andn2_saveexec_b32 s5, s5
	s_cbranch_execz .LBB121_149
; %bb.148:
	v_div_scale_f64 v[1:2], null, v[45:46], v[45:46], v[47:48]
	v_div_scale_f64 v[51:52], vcc_lo, v[47:48], v[45:46], v[47:48]
	v_rcp_f64_e32 v[3:4], v[1:2]
	v_fma_f64 v[49:50], -v[1:2], v[3:4], 1.0
	v_fma_f64 v[3:4], v[3:4], v[49:50], v[3:4]
	v_fma_f64 v[49:50], -v[1:2], v[3:4], 1.0
	v_fma_f64 v[3:4], v[3:4], v[49:50], v[3:4]
	v_mul_f64 v[49:50], v[51:52], v[3:4]
	v_fma_f64 v[1:2], -v[1:2], v[49:50], v[51:52]
	v_div_fmas_f64 v[1:2], v[1:2], v[3:4], v[49:50]
	v_div_fixup_f64 v[3:4], v[1:2], v[45:46], v[47:48]
	v_fma_f64 v[1:2], v[47:48], v[3:4], v[45:46]
	v_div_scale_f64 v[45:46], null, v[1:2], v[1:2], 1.0
	v_rcp_f64_e32 v[47:48], v[45:46]
	v_fma_f64 v[49:50], -v[45:46], v[47:48], 1.0
	v_fma_f64 v[47:48], v[47:48], v[49:50], v[47:48]
	v_fma_f64 v[49:50], -v[45:46], v[47:48], 1.0
	v_fma_f64 v[47:48], v[47:48], v[49:50], v[47:48]
	v_div_scale_f64 v[49:50], vcc_lo, 1.0, v[1:2], 1.0
	v_mul_f64 v[51:52], v[49:50], v[47:48]
	v_fma_f64 v[45:46], -v[45:46], v[51:52], v[49:50]
	v_div_fmas_f64 v[45:46], v[45:46], v[47:48], v[51:52]
	v_div_fixup_f64 v[1:2], v[45:46], v[1:2], 1.0
	v_mul_f64 v[3:4], v[3:4], -v[1:2]
.LBB121_149:
	s_or_b32 exec_lo, exec_lo, s5
	ds_write2_b64 v255, v[1:2], v[3:4] offset1:1
.LBB121_150:
	s_or_b32 exec_lo, exec_lo, s6
	s_waitcnt lgkmcnt(0)
	s_barrier
	buffer_gl0_inv
	ds_read2_b64 v[45:48], v255 offset1:1
	s_mov_b32 s5, exec_lo
	v_cmpx_lt_u32_e32 11, v0
	s_cbranch_execz .LBB121_153
; %bb.151:
	s_clause 0x3
	buffer_load_dword v1, off, s[0:3], 0 offset:184
	buffer_load_dword v2, off, s[0:3], 0 offset:188
	;; [unrolled: 1-line block ×4, first 2 shown]
	s_movk_i32 s6, 0xc0
	s_waitcnt vmcnt(2) lgkmcnt(0)
	v_mul_f64 v[49:50], v[47:48], v[1:2]
	v_mul_f64 v[1:2], v[45:46], v[1:2]
	s_waitcnt vmcnt(0)
	v_fma_f64 v[49:50], v[45:46], v[3:4], -v[49:50]
	v_fma_f64 v[1:2], v[47:48], v[3:4], v[1:2]
	buffer_store_dword v49, off, s[0:3], 0 offset:176
	buffer_store_dword v50, off, s[0:3], 0 offset:180
	;; [unrolled: 1-line block ×4, first 2 shown]
.LBB121_152:                            ; =>This Inner Loop Header: Depth=1
	s_clause 0x3
	buffer_load_dword v53, off, s[0:3], 0 offset:184
	buffer_load_dword v54, off, s[0:3], 0 offset:188
	;; [unrolled: 1-line block ×4, first 2 shown]
	v_mov_b32_e32 v5, s6
	v_add_nc_u32_e32 v6, s6, v241
	s_addk_i32 s6, 0x70
	s_clause 0x3
	buffer_load_dword v57, v5, s[0:3], 0 offen
	buffer_load_dword v58, v5, s[0:3], 0 offen offset:4
	buffer_load_dword v59, v5, s[0:3], 0 offen offset:8
	;; [unrolled: 1-line block ×3, first 2 shown]
	ds_read2_b64 v[1:4], v6 offset1:1
	s_clause 0x3
	buffer_load_dword v61, v5, s[0:3], 0 offen offset:16
	buffer_load_dword v62, v5, s[0:3], 0 offen offset:20
	;; [unrolled: 1-line block ×4, first 2 shown]
	ds_read2_b64 v[49:52], v6 offset0:2 offset1:3
	s_cmpk_lg_i32 s6, 0x3d0
	s_waitcnt vmcnt(10) lgkmcnt(1)
	v_mul_f64 v[65:66], v[3:4], v[53:54]
	v_mul_f64 v[53:54], v[1:2], v[53:54]
	s_waitcnt vmcnt(8)
	v_fma_f64 v[1:2], v[1:2], v[55:56], -v[65:66]
	v_fma_f64 v[3:4], v[3:4], v[55:56], v[53:54]
	s_waitcnt vmcnt(6)
	v_add_f64 v[1:2], v[57:58], -v[1:2]
	s_waitcnt vmcnt(4)
	v_add_f64 v[3:4], v[59:60], -v[3:4]
	buffer_store_dword v2, v5, s[0:3], 0 offen offset:4
	buffer_store_dword v1, v5, s[0:3], 0 offen
	buffer_store_dword v4, v5, s[0:3], 0 offen offset:12
	buffer_store_dword v3, v5, s[0:3], 0 offen offset:8
	s_clause 0x7
	buffer_load_dword v2, off, s[0:3], 0 offset:188
	buffer_load_dword v1, off, s[0:3], 0 offset:184
	;; [unrolled: 1-line block ×4, first 2 shown]
	buffer_load_dword v53, v5, s[0:3], 0 offen offset:32
	buffer_load_dword v54, v5, s[0:3], 0 offen offset:36
	;; [unrolled: 1-line block ×4, first 2 shown]
	s_waitcnt vmcnt(6) lgkmcnt(0)
	v_mul_f64 v[57:58], v[51:52], v[1:2]
	v_mul_f64 v[1:2], v[49:50], v[1:2]
	s_waitcnt vmcnt(4)
	v_fma_f64 v[49:50], v[49:50], v[3:4], -v[57:58]
	v_fma_f64 v[1:2], v[51:52], v[3:4], v[1:2]
	v_add_f64 v[3:4], v[61:62], -v[49:50]
	v_add_f64 v[1:2], v[63:64], -v[1:2]
	buffer_store_dword v4, v5, s[0:3], 0 offen offset:20
	buffer_store_dword v3, v5, s[0:3], 0 offen offset:16
	;; [unrolled: 1-line block ×4, first 2 shown]
	s_clause 0x3
	buffer_load_dword v57, off, s[0:3], 0 offset:184
	buffer_load_dword v58, off, s[0:3], 0 offset:188
	buffer_load_dword v59, off, s[0:3], 0 offset:176
	buffer_load_dword v60, off, s[0:3], 0 offset:180
	ds_read2_b64 v[1:4], v6 offset0:4 offset1:5
	ds_read2_b64 v[49:52], v6 offset0:6 offset1:7
	s_waitcnt vmcnt(2) lgkmcnt(1)
	v_mul_f64 v[61:62], v[3:4], v[57:58]
	v_mul_f64 v[57:58], v[1:2], v[57:58]
	s_waitcnt vmcnt(0)
	v_fma_f64 v[1:2], v[1:2], v[59:60], -v[61:62]
	v_fma_f64 v[3:4], v[3:4], v[59:60], v[57:58]
	v_add_f64 v[1:2], v[53:54], -v[1:2]
	v_add_f64 v[3:4], v[55:56], -v[3:4]
	buffer_store_dword v2, v5, s[0:3], 0 offen offset:36
	buffer_store_dword v1, v5, s[0:3], 0 offen offset:32
	;; [unrolled: 1-line block ×4, first 2 shown]
	s_clause 0x7
	buffer_load_dword v1, off, s[0:3], 0 offset:184
	buffer_load_dword v2, off, s[0:3], 0 offset:188
	;; [unrolled: 1-line block ×4, first 2 shown]
	buffer_load_dword v53, v5, s[0:3], 0 offen offset:48
	buffer_load_dword v54, v5, s[0:3], 0 offen offset:52
	;; [unrolled: 1-line block ×4, first 2 shown]
	s_waitcnt vmcnt(6) lgkmcnt(0)
	v_mul_f64 v[57:58], v[51:52], v[1:2]
	v_mul_f64 v[1:2], v[49:50], v[1:2]
	s_waitcnt vmcnt(4)
	v_fma_f64 v[49:50], v[49:50], v[3:4], -v[57:58]
	v_fma_f64 v[1:2], v[51:52], v[3:4], v[1:2]
	s_waitcnt vmcnt(2)
	v_add_f64 v[3:4], v[53:54], -v[49:50]
	s_waitcnt vmcnt(0)
	v_add_f64 v[1:2], v[55:56], -v[1:2]
	buffer_store_dword v4, v5, s[0:3], 0 offen offset:52
	buffer_store_dword v3, v5, s[0:3], 0 offen offset:48
	;; [unrolled: 1-line block ×4, first 2 shown]
	s_clause 0x7
	buffer_load_dword v53, off, s[0:3], 0 offset:184
	buffer_load_dword v54, off, s[0:3], 0 offset:188
	;; [unrolled: 1-line block ×4, first 2 shown]
	buffer_load_dword v57, v5, s[0:3], 0 offen offset:64
	buffer_load_dword v58, v5, s[0:3], 0 offen offset:68
	buffer_load_dword v59, v5, s[0:3], 0 offen offset:72
	buffer_load_dword v60, v5, s[0:3], 0 offen offset:76
	ds_read2_b64 v[1:4], v6 offset0:8 offset1:9
	ds_read2_b64 v[49:52], v6 offset0:10 offset1:11
	s_waitcnt vmcnt(6) lgkmcnt(1)
	v_mul_f64 v[61:62], v[3:4], v[53:54]
	v_mul_f64 v[53:54], v[1:2], v[53:54]
	s_waitcnt vmcnt(4)
	v_fma_f64 v[1:2], v[1:2], v[55:56], -v[61:62]
	v_fma_f64 v[3:4], v[3:4], v[55:56], v[53:54]
	s_waitcnt vmcnt(2)
	v_add_f64 v[1:2], v[57:58], -v[1:2]
	s_waitcnt vmcnt(0)
	v_add_f64 v[3:4], v[59:60], -v[3:4]
	buffer_store_dword v2, v5, s[0:3], 0 offen offset:68
	buffer_store_dword v1, v5, s[0:3], 0 offen offset:64
	;; [unrolled: 1-line block ×4, first 2 shown]
	s_clause 0x7
	buffer_load_dword v1, off, s[0:3], 0 offset:184
	buffer_load_dword v2, off, s[0:3], 0 offset:188
	;; [unrolled: 1-line block ×4, first 2 shown]
	buffer_load_dword v53, v5, s[0:3], 0 offen offset:80
	buffer_load_dword v54, v5, s[0:3], 0 offen offset:84
	;; [unrolled: 1-line block ×4, first 2 shown]
	s_waitcnt vmcnt(6) lgkmcnt(0)
	v_mul_f64 v[57:58], v[51:52], v[1:2]
	v_mul_f64 v[1:2], v[49:50], v[1:2]
	s_waitcnt vmcnt(4)
	v_fma_f64 v[49:50], v[49:50], v[3:4], -v[57:58]
	v_fma_f64 v[1:2], v[51:52], v[3:4], v[1:2]
	s_waitcnt vmcnt(2)
	v_add_f64 v[3:4], v[53:54], -v[49:50]
	s_waitcnt vmcnt(0)
	v_add_f64 v[1:2], v[55:56], -v[1:2]
	buffer_store_dword v4, v5, s[0:3], 0 offen offset:84
	buffer_store_dword v3, v5, s[0:3], 0 offen offset:80
	;; [unrolled: 1-line block ×4, first 2 shown]
	s_clause 0x7
	buffer_load_dword v49, off, s[0:3], 0 offset:184
	buffer_load_dword v50, off, s[0:3], 0 offset:188
	;; [unrolled: 1-line block ×4, first 2 shown]
	buffer_load_dword v53, v5, s[0:3], 0 offen offset:96
	buffer_load_dword v54, v5, s[0:3], 0 offen offset:100
	;; [unrolled: 1-line block ×4, first 2 shown]
	ds_read2_b64 v[1:4], v6 offset0:12 offset1:13
	s_waitcnt vmcnt(6) lgkmcnt(0)
	v_mul_f64 v[57:58], v[3:4], v[49:50]
	v_mul_f64 v[49:50], v[1:2], v[49:50]
	s_waitcnt vmcnt(4)
	v_fma_f64 v[1:2], v[1:2], v[51:52], -v[57:58]
	v_fma_f64 v[3:4], v[3:4], v[51:52], v[49:50]
	s_waitcnt vmcnt(2)
	v_add_f64 v[1:2], v[53:54], -v[1:2]
	s_waitcnt vmcnt(0)
	v_add_f64 v[3:4], v[55:56], -v[3:4]
	buffer_store_dword v2, v5, s[0:3], 0 offen offset:100
	buffer_store_dword v1, v5, s[0:3], 0 offen offset:96
	;; [unrolled: 1-line block ×4, first 2 shown]
	s_cbranch_scc1 .LBB121_152
.LBB121_153:
	s_or_b32 exec_lo, exec_lo, s5
	s_mov_b32 s6, exec_lo
	s_waitcnt lgkmcnt(0)
	s_waitcnt_vscnt null, 0x0
	s_barrier
	buffer_gl0_inv
	v_cmpx_eq_u32_e32 12, v0
	s_cbranch_execz .LBB121_162
; %bb.154:
	v_mov_b32_e32 v4, s64
	s_movk_i32 s5, 0xd0
	s_clause 0x3
	buffer_load_dword v1, v4, s[0:3], 0 offen
	buffer_load_dword v2, v4, s[0:3], 0 offen offset:4
	buffer_load_dword v3, v4, s[0:3], 0 offen offset:8
	;; [unrolled: 1-line block ×3, first 2 shown]
	s_waitcnt vmcnt(0)
	ds_write2_b64 v255, v[1:2], v[3:4] offset1:1
.LBB121_155:                            ; =>This Inner Loop Header: Depth=1
	v_mov_b32_e32 v5, s5
	s_clause 0x3e
	buffer_load_dword v1, v5, s[0:3], 0 offen
	buffer_load_dword v2, v5, s[0:3], 0 offen offset:4
	buffer_load_dword v3, v5, s[0:3], 0 offen offset:8
	;; [unrolled: 1-line block ×63, first 2 shown]
	v_add_nc_u32_e32 v5, s5, v241
	s_addk_i32 s5, 0x100
	s_waitcnt vmcnt(60)
	ds_write2_b64 v5, v[1:2], v[3:4] offset1:1
	s_waitcnt vmcnt(56)
	ds_write2_b64 v5, v[49:50], v[51:52] offset0:2 offset1:3
	s_waitcnt vmcnt(52)
	ds_write2_b64 v5, v[53:54], v[55:56] offset0:4 offset1:5
	;; [unrolled: 2-line block ×4, first 2 shown]
	ds_write2_b64 v5, v[65:66], v[63:64] offset0:10 offset1:11
	s_waitcnt vmcnt(32)
	ds_write2_b64 v5, v[75:76], v[69:70] offset0:12 offset1:13
	ds_write2_b64 v5, v[73:74], v[71:72] offset0:14 offset1:15
	s_waitcnt vmcnt(28)
	ds_write2_b64 v5, v[77:78], v[79:80] offset0:16 offset1:17
	s_waitcnt vmcnt(24)
	;; [unrolled: 2-line block ×8, first 2 shown]
	ds_write2_b64 v5, v[105:106], v[107:108] offset0:30 offset1:31
	s_cmpk_lg_i32 s5, 0x3d0
	s_cbranch_scc1 .LBB121_155
; %bb.156:
	ds_read2_b64 v[49:52], v255 offset1:1
	s_waitcnt lgkmcnt(0)
	v_cmp_neq_f64_e32 vcc_lo, 0, v[49:50]
	v_cmp_neq_f64_e64 s5, 0, v[51:52]
	s_or_b32 s5, vcc_lo, s5
	s_and_b32 exec_lo, exec_lo, s5
	s_cbranch_execz .LBB121_162
; %bb.157:
	v_cmp_ngt_f64_e64 s5, |v[49:50]|, |v[51:52]|
                                        ; implicit-def: $vgpr1_vgpr2
	s_and_saveexec_b32 s7, s5
	s_xor_b32 s5, exec_lo, s7
                                        ; implicit-def: $vgpr3_vgpr4
	s_cbranch_execz .LBB121_159
; %bb.158:
	v_div_scale_f64 v[1:2], null, v[51:52], v[51:52], v[49:50]
	v_div_scale_f64 v[55:56], vcc_lo, v[49:50], v[51:52], v[49:50]
	v_rcp_f64_e32 v[3:4], v[1:2]
	v_fma_f64 v[53:54], -v[1:2], v[3:4], 1.0
	v_fma_f64 v[3:4], v[3:4], v[53:54], v[3:4]
	v_fma_f64 v[53:54], -v[1:2], v[3:4], 1.0
	v_fma_f64 v[3:4], v[3:4], v[53:54], v[3:4]
	v_mul_f64 v[53:54], v[55:56], v[3:4]
	v_fma_f64 v[1:2], -v[1:2], v[53:54], v[55:56]
	v_div_fmas_f64 v[1:2], v[1:2], v[3:4], v[53:54]
	v_div_fixup_f64 v[1:2], v[1:2], v[51:52], v[49:50]
	v_fma_f64 v[3:4], v[49:50], v[1:2], v[51:52]
	v_div_scale_f64 v[49:50], null, v[3:4], v[3:4], 1.0
	v_rcp_f64_e32 v[51:52], v[49:50]
	v_fma_f64 v[53:54], -v[49:50], v[51:52], 1.0
	v_fma_f64 v[51:52], v[51:52], v[53:54], v[51:52]
	v_fma_f64 v[53:54], -v[49:50], v[51:52], 1.0
	v_fma_f64 v[51:52], v[51:52], v[53:54], v[51:52]
	v_div_scale_f64 v[53:54], vcc_lo, 1.0, v[3:4], 1.0
	v_mul_f64 v[55:56], v[53:54], v[51:52]
	v_fma_f64 v[49:50], -v[49:50], v[55:56], v[53:54]
	v_div_fmas_f64 v[49:50], v[49:50], v[51:52], v[55:56]
	v_div_fixup_f64 v[3:4], v[49:50], v[3:4], 1.0
                                        ; implicit-def: $vgpr49_vgpr50
	v_mul_f64 v[1:2], v[1:2], v[3:4]
	v_xor_b32_e32 v4, 0x80000000, v4
.LBB121_159:
	s_andn2_saveexec_b32 s5, s5
	s_cbranch_execz .LBB121_161
; %bb.160:
	v_div_scale_f64 v[1:2], null, v[49:50], v[49:50], v[51:52]
	v_div_scale_f64 v[55:56], vcc_lo, v[51:52], v[49:50], v[51:52]
	v_rcp_f64_e32 v[3:4], v[1:2]
	v_fma_f64 v[53:54], -v[1:2], v[3:4], 1.0
	v_fma_f64 v[3:4], v[3:4], v[53:54], v[3:4]
	v_fma_f64 v[53:54], -v[1:2], v[3:4], 1.0
	v_fma_f64 v[3:4], v[3:4], v[53:54], v[3:4]
	v_mul_f64 v[53:54], v[55:56], v[3:4]
	v_fma_f64 v[1:2], -v[1:2], v[53:54], v[55:56]
	v_div_fmas_f64 v[1:2], v[1:2], v[3:4], v[53:54]
	v_div_fixup_f64 v[3:4], v[1:2], v[49:50], v[51:52]
	v_fma_f64 v[1:2], v[51:52], v[3:4], v[49:50]
	v_div_scale_f64 v[49:50], null, v[1:2], v[1:2], 1.0
	v_rcp_f64_e32 v[51:52], v[49:50]
	v_fma_f64 v[53:54], -v[49:50], v[51:52], 1.0
	v_fma_f64 v[51:52], v[51:52], v[53:54], v[51:52]
	v_fma_f64 v[53:54], -v[49:50], v[51:52], 1.0
	v_fma_f64 v[51:52], v[51:52], v[53:54], v[51:52]
	v_div_scale_f64 v[53:54], vcc_lo, 1.0, v[1:2], 1.0
	v_mul_f64 v[55:56], v[53:54], v[51:52]
	v_fma_f64 v[49:50], -v[49:50], v[55:56], v[53:54]
	v_div_fmas_f64 v[49:50], v[49:50], v[51:52], v[55:56]
	v_div_fixup_f64 v[1:2], v[49:50], v[1:2], 1.0
	v_mul_f64 v[3:4], v[3:4], -v[1:2]
.LBB121_161:
	s_or_b32 exec_lo, exec_lo, s5
	ds_write2_b64 v255, v[1:2], v[3:4] offset1:1
.LBB121_162:
	s_or_b32 exec_lo, exec_lo, s6
	s_waitcnt lgkmcnt(0)
	s_barrier
	buffer_gl0_inv
	ds_read2_b64 v[49:52], v255 offset1:1
	s_mov_b32 s5, exec_lo
	v_cmpx_lt_u32_e32 12, v0
	s_cbranch_execz .LBB121_165
; %bb.163:
	s_clause 0x3
	buffer_load_dword v1, off, s[0:3], 0 offset:200
	buffer_load_dword v2, off, s[0:3], 0 offset:204
	;; [unrolled: 1-line block ×4, first 2 shown]
	s_movk_i32 s6, 0xd0
	s_waitcnt vmcnt(2) lgkmcnt(0)
	v_mul_f64 v[53:54], v[51:52], v[1:2]
	v_mul_f64 v[1:2], v[49:50], v[1:2]
	s_waitcnt vmcnt(0)
	v_fma_f64 v[53:54], v[49:50], v[3:4], -v[53:54]
	v_fma_f64 v[1:2], v[51:52], v[3:4], v[1:2]
	buffer_store_dword v53, off, s[0:3], 0 offset:192
	buffer_store_dword v54, off, s[0:3], 0 offset:196
	;; [unrolled: 1-line block ×4, first 2 shown]
.LBB121_164:                            ; =>This Inner Loop Header: Depth=1
	s_clause 0x3
	buffer_load_dword v57, off, s[0:3], 0 offset:200
	buffer_load_dword v58, off, s[0:3], 0 offset:204
	;; [unrolled: 1-line block ×4, first 2 shown]
	v_mov_b32_e32 v5, s6
	v_add_nc_u32_e32 v6, s6, v241
	s_addk_i32 s6, 0x60
	s_clause 0x3
	buffer_load_dword v61, v5, s[0:3], 0 offen
	buffer_load_dword v62, v5, s[0:3], 0 offen offset:4
	buffer_load_dword v63, v5, s[0:3], 0 offen offset:8
	;; [unrolled: 1-line block ×3, first 2 shown]
	ds_read2_b64 v[1:4], v6 offset1:1
	s_clause 0x3
	buffer_load_dword v65, v5, s[0:3], 0 offen offset:16
	buffer_load_dword v66, v5, s[0:3], 0 offen offset:20
	;; [unrolled: 1-line block ×4, first 2 shown]
	ds_read2_b64 v[53:56], v6 offset0:2 offset1:3
	s_cmpk_lg_i32 s6, 0x3d0
	s_waitcnt vmcnt(10) lgkmcnt(1)
	v_mul_f64 v[69:70], v[3:4], v[57:58]
	v_mul_f64 v[57:58], v[1:2], v[57:58]
	s_waitcnt vmcnt(8)
	v_fma_f64 v[1:2], v[1:2], v[59:60], -v[69:70]
	v_fma_f64 v[3:4], v[3:4], v[59:60], v[57:58]
	s_waitcnt vmcnt(6)
	v_add_f64 v[1:2], v[61:62], -v[1:2]
	s_waitcnt vmcnt(4)
	v_add_f64 v[3:4], v[63:64], -v[3:4]
	buffer_store_dword v2, v5, s[0:3], 0 offen offset:4
	buffer_store_dword v1, v5, s[0:3], 0 offen
	buffer_store_dword v4, v5, s[0:3], 0 offen offset:12
	buffer_store_dword v3, v5, s[0:3], 0 offen offset:8
	s_clause 0x3
	buffer_load_dword v2, off, s[0:3], 0 offset:204
	buffer_load_dword v1, off, s[0:3], 0 offset:200
	;; [unrolled: 1-line block ×4, first 2 shown]
	s_waitcnt vmcnt(2) lgkmcnt(0)
	v_mul_f64 v[57:58], v[55:56], v[1:2]
	v_mul_f64 v[1:2], v[53:54], v[1:2]
	s_waitcnt vmcnt(0)
	v_fma_f64 v[53:54], v[53:54], v[3:4], -v[57:58]
	v_fma_f64 v[1:2], v[55:56], v[3:4], v[1:2]
	s_clause 0x3
	buffer_load_dword v57, v5, s[0:3], 0 offen offset:32
	buffer_load_dword v58, v5, s[0:3], 0 offen offset:36
	;; [unrolled: 1-line block ×4, first 2 shown]
	v_add_f64 v[3:4], v[65:66], -v[53:54]
	v_add_f64 v[1:2], v[67:68], -v[1:2]
	buffer_store_dword v4, v5, s[0:3], 0 offen offset:20
	buffer_store_dword v3, v5, s[0:3], 0 offen offset:16
	;; [unrolled: 1-line block ×4, first 2 shown]
	s_clause 0x3
	buffer_load_dword v61, off, s[0:3], 0 offset:200
	buffer_load_dword v62, off, s[0:3], 0 offset:204
	;; [unrolled: 1-line block ×4, first 2 shown]
	ds_read2_b64 v[1:4], v6 offset0:4 offset1:5
	ds_read2_b64 v[53:56], v6 offset0:6 offset1:7
	s_waitcnt vmcnt(2) lgkmcnt(1)
	v_mul_f64 v[65:66], v[3:4], v[61:62]
	v_mul_f64 v[61:62], v[1:2], v[61:62]
	s_waitcnt vmcnt(0)
	v_fma_f64 v[1:2], v[1:2], v[63:64], -v[65:66]
	v_fma_f64 v[3:4], v[3:4], v[63:64], v[61:62]
	v_add_f64 v[1:2], v[57:58], -v[1:2]
	v_add_f64 v[3:4], v[59:60], -v[3:4]
	buffer_store_dword v2, v5, s[0:3], 0 offen offset:36
	buffer_store_dword v1, v5, s[0:3], 0 offen offset:32
	;; [unrolled: 1-line block ×4, first 2 shown]
	s_clause 0x7
	buffer_load_dword v1, off, s[0:3], 0 offset:200
	buffer_load_dword v2, off, s[0:3], 0 offset:204
	;; [unrolled: 1-line block ×4, first 2 shown]
	buffer_load_dword v57, v5, s[0:3], 0 offen offset:48
	buffer_load_dword v58, v5, s[0:3], 0 offen offset:52
	;; [unrolled: 1-line block ×4, first 2 shown]
	s_waitcnt vmcnt(6) lgkmcnt(0)
	v_mul_f64 v[61:62], v[55:56], v[1:2]
	v_mul_f64 v[1:2], v[53:54], v[1:2]
	s_waitcnt vmcnt(4)
	v_fma_f64 v[53:54], v[53:54], v[3:4], -v[61:62]
	v_fma_f64 v[1:2], v[55:56], v[3:4], v[1:2]
	s_waitcnt vmcnt(2)
	v_add_f64 v[3:4], v[57:58], -v[53:54]
	s_waitcnt vmcnt(0)
	v_add_f64 v[1:2], v[59:60], -v[1:2]
	buffer_store_dword v4, v5, s[0:3], 0 offen offset:52
	buffer_store_dword v3, v5, s[0:3], 0 offen offset:48
	;; [unrolled: 1-line block ×4, first 2 shown]
	s_clause 0x7
	buffer_load_dword v57, off, s[0:3], 0 offset:200
	buffer_load_dword v58, off, s[0:3], 0 offset:204
	;; [unrolled: 1-line block ×4, first 2 shown]
	buffer_load_dword v61, v5, s[0:3], 0 offen offset:64
	buffer_load_dword v62, v5, s[0:3], 0 offen offset:68
	;; [unrolled: 1-line block ×4, first 2 shown]
	ds_read2_b64 v[1:4], v6 offset0:8 offset1:9
	ds_read2_b64 v[53:56], v6 offset0:10 offset1:11
	s_waitcnt vmcnt(6) lgkmcnt(1)
	v_mul_f64 v[65:66], v[3:4], v[57:58]
	v_mul_f64 v[57:58], v[1:2], v[57:58]
	s_waitcnt vmcnt(4)
	v_fma_f64 v[1:2], v[1:2], v[59:60], -v[65:66]
	v_fma_f64 v[3:4], v[3:4], v[59:60], v[57:58]
	s_waitcnt vmcnt(2)
	v_add_f64 v[1:2], v[61:62], -v[1:2]
	s_waitcnt vmcnt(0)
	v_add_f64 v[3:4], v[63:64], -v[3:4]
	buffer_store_dword v2, v5, s[0:3], 0 offen offset:68
	buffer_store_dword v1, v5, s[0:3], 0 offen offset:64
	;; [unrolled: 1-line block ×4, first 2 shown]
	s_clause 0x7
	buffer_load_dword v1, off, s[0:3], 0 offset:200
	buffer_load_dword v2, off, s[0:3], 0 offset:204
	;; [unrolled: 1-line block ×4, first 2 shown]
	buffer_load_dword v57, v5, s[0:3], 0 offen offset:80
	buffer_load_dword v58, v5, s[0:3], 0 offen offset:84
	;; [unrolled: 1-line block ×4, first 2 shown]
	s_waitcnt vmcnt(6) lgkmcnt(0)
	v_mul_f64 v[61:62], v[55:56], v[1:2]
	v_mul_f64 v[1:2], v[53:54], v[1:2]
	s_waitcnt vmcnt(4)
	v_fma_f64 v[53:54], v[53:54], v[3:4], -v[61:62]
	v_fma_f64 v[1:2], v[55:56], v[3:4], v[1:2]
	s_waitcnt vmcnt(2)
	v_add_f64 v[3:4], v[57:58], -v[53:54]
	s_waitcnt vmcnt(0)
	v_add_f64 v[1:2], v[59:60], -v[1:2]
	buffer_store_dword v4, v5, s[0:3], 0 offen offset:84
	buffer_store_dword v3, v5, s[0:3], 0 offen offset:80
	buffer_store_dword v2, v5, s[0:3], 0 offen offset:92
	buffer_store_dword v1, v5, s[0:3], 0 offen offset:88
	s_cbranch_scc1 .LBB121_164
.LBB121_165:
	s_or_b32 exec_lo, exec_lo, s5
	s_mov_b32 s6, exec_lo
	s_waitcnt lgkmcnt(0)
	s_waitcnt_vscnt null, 0x0
	s_barrier
	buffer_gl0_inv
	v_cmpx_eq_u32_e32 13, v0
	s_cbranch_execz .LBB121_176
; %bb.166:
	v_mov_b32_e32 v4, s63
	s_movk_i32 s5, 0xe0
	s_clause 0x3
	buffer_load_dword v1, v4, s[0:3], 0 offen
	buffer_load_dword v2, v4, s[0:3], 0 offen offset:4
	buffer_load_dword v3, v4, s[0:3], 0 offen offset:8
	;; [unrolled: 1-line block ×3, first 2 shown]
	s_waitcnt vmcnt(0)
	ds_write2_b64 v255, v[1:2], v[3:4] offset1:1
	s_branch .LBB121_168
.LBB121_167:                            ;   in Loop: Header=BB121_168 Depth=1
	s_andn2_b32 vcc_lo, exec_lo, s8
	s_cbranch_vccz .LBB121_170
.LBB121_168:                            ; =>This Inner Loop Header: Depth=1
	v_mov_b32_e32 v1, s5
	s_mov_b32 s7, s5
	s_mov_b32 s8, -1
	s_cmpk_eq_i32 s5, 0x360
	s_clause 0x1b
	buffer_load_dword v2, v1, s[0:3], 0 offen
	buffer_load_dword v3, v1, s[0:3], 0 offen offset:4
	buffer_load_dword v53, v1, s[0:3], 0 offen offset:8
	buffer_load_dword v54, v1, s[0:3], 0 offen offset:12
	buffer_load_dword v55, v1, s[0:3], 0 offen offset:16
	buffer_load_dword v56, v1, s[0:3], 0 offen offset:20
	buffer_load_dword v57, v1, s[0:3], 0 offen offset:24
	buffer_load_dword v58, v1, s[0:3], 0 offen offset:28
	buffer_load_dword v59, v1, s[0:3], 0 offen offset:32
	buffer_load_dword v60, v1, s[0:3], 0 offen offset:36
	buffer_load_dword v61, v1, s[0:3], 0 offen offset:40
	buffer_load_dword v62, v1, s[0:3], 0 offen offset:44
	buffer_load_dword v63, v1, s[0:3], 0 offen offset:48
	buffer_load_dword v64, v1, s[0:3], 0 offen offset:52
	buffer_load_dword v65, v1, s[0:3], 0 offen offset:56
	buffer_load_dword v66, v1, s[0:3], 0 offen offset:60
	buffer_load_dword v68, v1, s[0:3], 0 offen offset:76
	buffer_load_dword v70, v1, s[0:3], 0 offen offset:92
	buffer_load_dword v69, v1, s[0:3], 0 offen offset:88
	buffer_load_dword v72, v1, s[0:3], 0 offen offset:84
	buffer_load_dword v71, v1, s[0:3], 0 offen offset:80
	buffer_load_dword v67, v1, s[0:3], 0 offen offset:72
	buffer_load_dword v74, v1, s[0:3], 0 offen offset:68
	buffer_load_dword v73, v1, s[0:3], 0 offen offset:64
	buffer_load_dword v76, v1, s[0:3], 0 offen offset:108
	buffer_load_dword v75, v1, s[0:3], 0 offen offset:104
	buffer_load_dword v78, v1, s[0:3], 0 offen offset:100
	buffer_load_dword v77, v1, s[0:3], 0 offen offset:96
	v_add_nc_u32_e32 v1, s5, v241
	s_waitcnt vmcnt(24)
	ds_write2_b64 v1, v[2:3], v[53:54] offset1:1
	s_waitcnt vmcnt(20)
	ds_write2_b64 v1, v[55:56], v[57:58] offset0:2 offset1:3
	s_waitcnt vmcnt(16)
	ds_write2_b64 v1, v[59:60], v[61:62] offset0:4 offset1:5
	;; [unrolled: 2-line block ×4, first 2 shown]
	ds_write2_b64 v1, v[71:72], v[69:70] offset0:10 offset1:11
	s_waitcnt vmcnt(0)
	ds_write2_b64 v1, v[77:78], v[75:76] offset0:12 offset1:13
	s_cbranch_scc1 .LBB121_167
; %bb.169:                              ;   in Loop: Header=BB121_168 Depth=1
	v_mov_b32_e32 v4, s7
	s_addk_i32 s5, 0x80
	s_mov_b32 s8, 0
	s_clause 0x3
	buffer_load_dword v2, v4, s[0:3], 0 offen offset:112
	buffer_load_dword v3, v4, s[0:3], 0 offen offset:116
	;; [unrolled: 1-line block ×4, first 2 shown]
	s_waitcnt vmcnt(0)
	ds_write2_b64 v1, v[2:3], v[53:54] offset0:14 offset1:15
	s_branch .LBB121_167
.LBB121_170:
	ds_read2_b64 v[53:56], v255 offset1:1
	s_waitcnt lgkmcnt(0)
	v_cmp_neq_f64_e32 vcc_lo, 0, v[53:54]
	v_cmp_neq_f64_e64 s5, 0, v[55:56]
	s_or_b32 s5, vcc_lo, s5
	s_and_b32 exec_lo, exec_lo, s5
	s_cbranch_execz .LBB121_176
; %bb.171:
	v_cmp_ngt_f64_e64 s5, |v[53:54]|, |v[55:56]|
                                        ; implicit-def: $vgpr1_vgpr2
	s_and_saveexec_b32 s7, s5
	s_xor_b32 s5, exec_lo, s7
                                        ; implicit-def: $vgpr3_vgpr4
	s_cbranch_execz .LBB121_173
; %bb.172:
	v_div_scale_f64 v[1:2], null, v[55:56], v[55:56], v[53:54]
	v_div_scale_f64 v[59:60], vcc_lo, v[53:54], v[55:56], v[53:54]
	v_rcp_f64_e32 v[3:4], v[1:2]
	v_fma_f64 v[57:58], -v[1:2], v[3:4], 1.0
	v_fma_f64 v[3:4], v[3:4], v[57:58], v[3:4]
	v_fma_f64 v[57:58], -v[1:2], v[3:4], 1.0
	v_fma_f64 v[3:4], v[3:4], v[57:58], v[3:4]
	v_mul_f64 v[57:58], v[59:60], v[3:4]
	v_fma_f64 v[1:2], -v[1:2], v[57:58], v[59:60]
	v_div_fmas_f64 v[1:2], v[1:2], v[3:4], v[57:58]
	v_div_fixup_f64 v[1:2], v[1:2], v[55:56], v[53:54]
	v_fma_f64 v[3:4], v[53:54], v[1:2], v[55:56]
	v_div_scale_f64 v[53:54], null, v[3:4], v[3:4], 1.0
	v_rcp_f64_e32 v[55:56], v[53:54]
	v_fma_f64 v[57:58], -v[53:54], v[55:56], 1.0
	v_fma_f64 v[55:56], v[55:56], v[57:58], v[55:56]
	v_fma_f64 v[57:58], -v[53:54], v[55:56], 1.0
	v_fma_f64 v[55:56], v[55:56], v[57:58], v[55:56]
	v_div_scale_f64 v[57:58], vcc_lo, 1.0, v[3:4], 1.0
	v_mul_f64 v[59:60], v[57:58], v[55:56]
	v_fma_f64 v[53:54], -v[53:54], v[59:60], v[57:58]
	v_div_fmas_f64 v[53:54], v[53:54], v[55:56], v[59:60]
	v_div_fixup_f64 v[3:4], v[53:54], v[3:4], 1.0
                                        ; implicit-def: $vgpr53_vgpr54
	v_mul_f64 v[1:2], v[1:2], v[3:4]
	v_xor_b32_e32 v4, 0x80000000, v4
.LBB121_173:
	s_andn2_saveexec_b32 s5, s5
	s_cbranch_execz .LBB121_175
; %bb.174:
	v_div_scale_f64 v[1:2], null, v[53:54], v[53:54], v[55:56]
	v_div_scale_f64 v[59:60], vcc_lo, v[55:56], v[53:54], v[55:56]
	v_rcp_f64_e32 v[3:4], v[1:2]
	v_fma_f64 v[57:58], -v[1:2], v[3:4], 1.0
	v_fma_f64 v[3:4], v[3:4], v[57:58], v[3:4]
	v_fma_f64 v[57:58], -v[1:2], v[3:4], 1.0
	v_fma_f64 v[3:4], v[3:4], v[57:58], v[3:4]
	v_mul_f64 v[57:58], v[59:60], v[3:4]
	v_fma_f64 v[1:2], -v[1:2], v[57:58], v[59:60]
	v_div_fmas_f64 v[1:2], v[1:2], v[3:4], v[57:58]
	v_div_fixup_f64 v[3:4], v[1:2], v[53:54], v[55:56]
	v_fma_f64 v[1:2], v[55:56], v[3:4], v[53:54]
	v_div_scale_f64 v[53:54], null, v[1:2], v[1:2], 1.0
	v_rcp_f64_e32 v[55:56], v[53:54]
	v_fma_f64 v[57:58], -v[53:54], v[55:56], 1.0
	v_fma_f64 v[55:56], v[55:56], v[57:58], v[55:56]
	v_fma_f64 v[57:58], -v[53:54], v[55:56], 1.0
	v_fma_f64 v[55:56], v[55:56], v[57:58], v[55:56]
	v_div_scale_f64 v[57:58], vcc_lo, 1.0, v[1:2], 1.0
	v_mul_f64 v[59:60], v[57:58], v[55:56]
	v_fma_f64 v[53:54], -v[53:54], v[59:60], v[57:58]
	v_div_fmas_f64 v[53:54], v[53:54], v[55:56], v[59:60]
	v_div_fixup_f64 v[1:2], v[53:54], v[1:2], 1.0
	v_mul_f64 v[3:4], v[3:4], -v[1:2]
.LBB121_175:
	s_or_b32 exec_lo, exec_lo, s5
	ds_write2_b64 v255, v[1:2], v[3:4] offset1:1
.LBB121_176:
	s_or_b32 exec_lo, exec_lo, s6
	s_waitcnt lgkmcnt(0)
	s_barrier
	buffer_gl0_inv
	ds_read2_b64 v[53:56], v255 offset1:1
	s_mov_b32 s5, exec_lo
	v_cmpx_lt_u32_e32 13, v0
	s_cbranch_execz .LBB121_181
; %bb.177:
	s_clause 0x3
	buffer_load_dword v1, off, s[0:3], 0 offset:216
	buffer_load_dword v2, off, s[0:3], 0 offset:220
	;; [unrolled: 1-line block ×4, first 2 shown]
	s_movk_i32 s6, 0xe0
	s_waitcnt vmcnt(2) lgkmcnt(0)
	v_mul_f64 v[57:58], v[55:56], v[1:2]
	v_mul_f64 v[1:2], v[53:54], v[1:2]
	s_waitcnt vmcnt(0)
	v_fma_f64 v[57:58], v[53:54], v[3:4], -v[57:58]
	v_fma_f64 v[59:60], v[55:56], v[3:4], v[1:2]
	buffer_store_dword v57, off, s[0:3], 0 offset:208
	buffer_store_dword v58, off, s[0:3], 0 offset:212
	;; [unrolled: 1-line block ×4, first 2 shown]
	s_branch .LBB121_179
.LBB121_178:                            ;   in Loop: Header=BB121_179 Depth=1
	s_andn2_b32 vcc_lo, exec_lo, s8
	s_cbranch_vccz .LBB121_181
.LBB121_179:                            ; =>This Inner Loop Header: Depth=1
	v_mov_b32_e32 v5, s6
	v_add_nc_u32_e32 v1, s6, v241
	s_mov_b32 s7, s6
	s_mov_b32 s8, -1
	s_cmpk_eq_i32 s6, 0x3a0
	s_clause 0x3
	buffer_load_dword v2, v5, s[0:3], 0 offen
	buffer_load_dword v3, v5, s[0:3], 0 offen offset:4
	buffer_load_dword v69, v5, s[0:3], 0 offen offset:8
	buffer_load_dword v70, v5, s[0:3], 0 offen offset:12
	ds_read2_b64 v[61:64], v1 offset1:1
	ds_read2_b64 v[65:68], v1 offset0:2 offset1:3
	s_waitcnt vmcnt(5) lgkmcnt(1)
	v_mul_f64 v[71:72], v[63:64], v[59:60]
	v_mul_f64 v[59:60], v[61:62], v[59:60]
	s_waitcnt vmcnt(4)
	v_fma_f64 v[61:62], v[61:62], v[57:58], -v[71:72]
	v_fma_f64 v[57:58], v[63:64], v[57:58], v[59:60]
	s_clause 0x2
	buffer_load_dword v4, v5, s[0:3], 0 offen offset:20
	buffer_load_dword v59, v5, s[0:3], 0 offen offset:28
	;; [unrolled: 1-line block ×3, first 2 shown]
	s_waitcnt vmcnt(5)
	v_add_f64 v[2:3], v[2:3], -v[61:62]
	s_waitcnt vmcnt(3)
	v_add_f64 v[57:58], v[69:70], -v[57:58]
	buffer_store_dword v3, v5, s[0:3], 0 offen offset:4
	buffer_store_dword v2, v5, s[0:3], 0 offen
	buffer_store_dword v58, v5, s[0:3], 0 offen offset:12
	buffer_store_dword v57, v5, s[0:3], 0 offen offset:8
	s_clause 0x6
	buffer_load_dword v58, v5, s[0:3], 0 offen offset:24
	buffer_load_dword v62, v5, s[0:3], 0 offen offset:36
	buffer_load_dword v61, off, s[0:3], 0 offset:220
	buffer_load_dword v60, off, s[0:3], 0 offset:216
	;; [unrolled: 1-line block ×4, first 2 shown]
	buffer_load_dword v3, v5, s[0:3], 0 offen offset:16
	s_waitcnt vmcnt(3) lgkmcnt(0)
	v_mul_f64 v[71:72], v[67:68], v[60:61]
	v_mul_f64 v[60:61], v[65:66], v[60:61]
	s_waitcnt vmcnt(1)
	v_fma_f64 v[64:65], v[65:66], v[69:70], -v[71:72]
	v_fma_f64 v[60:61], v[67:68], v[69:70], v[60:61]
	s_waitcnt vmcnt(0)
	v_add_f64 v[2:3], v[3:4], -v[64:65]
	v_add_f64 v[57:58], v[58:59], -v[60:61]
	buffer_store_dword v3, v5, s[0:3], 0 offen offset:20
	buffer_store_dword v2, v5, s[0:3], 0 offen offset:16
	;; [unrolled: 1-line block ×4, first 2 shown]
	s_clause 0x5
	buffer_load_dword v64, v5, s[0:3], 0 offen offset:44
	buffer_load_dword v2, off, s[0:3], 0 offset:216
	buffer_load_dword v3, off, s[0:3], 0 offset:220
	;; [unrolled: 1-line block ×4, first 2 shown]
	buffer_load_dword v61, v5, s[0:3], 0 offen offset:32
	ds_read2_b64 v[57:60], v1 offset0:4 offset1:5
	s_waitcnt vmcnt(3) lgkmcnt(0)
	v_mul_f64 v[67:68], v[59:60], v[2:3]
	v_mul_f64 v[2:3], v[57:58], v[2:3]
	s_waitcnt vmcnt(1)
	v_fma_f64 v[57:58], v[57:58], v[65:66], -v[67:68]
	v_fma_f64 v[2:3], v[59:60], v[65:66], v[2:3]
                                        ; implicit-def: $vgpr59_vgpr60
	s_waitcnt vmcnt(0)
	v_add_f64 v[57:58], v[61:62], -v[57:58]
	v_add_f64 v[2:3], v[63:64], -v[2:3]
	buffer_store_dword v58, v5, s[0:3], 0 offen offset:36
	buffer_store_dword v57, v5, s[0:3], 0 offen offset:32
	;; [unrolled: 1-line block ×4, first 2 shown]
                                        ; implicit-def: $vgpr57_vgpr58
	s_cbranch_scc1 .LBB121_178
; %bb.180:                              ;   in Loop: Header=BB121_179 Depth=1
	s_clause 0x3
	buffer_load_dword v57, off, s[0:3], 0 offset:216
	buffer_load_dword v58, off, s[0:3], 0 offset:220
	;; [unrolled: 1-line block ×4, first 2 shown]
	v_mov_b32_e32 v5, s7
	s_add_i32 s6, s6, 64
	s_mov_b32 s8, 0
	s_clause 0x3
	buffer_load_dword v61, v5, s[0:3], 0 offen offset:48
	buffer_load_dword v62, v5, s[0:3], 0 offen offset:52
	;; [unrolled: 1-line block ×4, first 2 shown]
	ds_read2_b64 v[1:4], v1 offset0:6 offset1:7
	s_waitcnt vmcnt(6) lgkmcnt(0)
	v_mul_f64 v[65:66], v[3:4], v[57:58]
	v_mul_f64 v[57:58], v[1:2], v[57:58]
	s_waitcnt vmcnt(4)
	v_fma_f64 v[1:2], v[1:2], v[59:60], -v[65:66]
	v_fma_f64 v[3:4], v[3:4], v[59:60], v[57:58]
	s_waitcnt vmcnt(2)
	v_add_f64 v[1:2], v[61:62], -v[1:2]
	s_waitcnt vmcnt(0)
	v_add_f64 v[3:4], v[63:64], -v[3:4]
	buffer_store_dword v2, v5, s[0:3], 0 offen offset:52
	buffer_store_dword v1, v5, s[0:3], 0 offen offset:48
	;; [unrolled: 1-line block ×4, first 2 shown]
	s_clause 0x3
	buffer_load_dword v58, off, s[0:3], 0 offset:212
	buffer_load_dword v60, off, s[0:3], 0 offset:220
	buffer_load_dword v59, off, s[0:3], 0 offset:216
	buffer_load_dword v57, off, s[0:3], 0 offset:208
	s_branch .LBB121_178
.LBB121_181:
	s_or_b32 exec_lo, exec_lo, s5
	s_mov_b32 s6, exec_lo
	s_waitcnt vmcnt(0) lgkmcnt(0)
	s_waitcnt_vscnt null, 0x0
	s_barrier
	buffer_gl0_inv
	v_cmpx_eq_u32_e32 14, v0
	s_cbranch_execz .LBB121_190
; %bb.182:
	v_mov_b32_e32 v4, s62
	s_movk_i32 s5, 0xf0
	s_clause 0x3
	buffer_load_dword v1, v4, s[0:3], 0 offen
	buffer_load_dword v2, v4, s[0:3], 0 offen offset:4
	buffer_load_dword v3, v4, s[0:3], 0 offen offset:8
	;; [unrolled: 1-line block ×3, first 2 shown]
	s_waitcnt vmcnt(0)
	ds_write2_b64 v255, v[1:2], v[3:4] offset1:1
	.p2align	6
.LBB121_183:                            ; =>This Inner Loop Header: Depth=1
	v_mov_b32_e32 v5, s5
	s_clause 0x7
	buffer_load_dword v1, v5, s[0:3], 0 offen
	buffer_load_dword v2, v5, s[0:3], 0 offen offset:4
	buffer_load_dword v3, v5, s[0:3], 0 offen offset:8
	buffer_load_dword v4, v5, s[0:3], 0 offen offset:12
	buffer_load_dword v57, v5, s[0:3], 0 offen offset:16
	buffer_load_dword v58, v5, s[0:3], 0 offen offset:20
	buffer_load_dword v59, v5, s[0:3], 0 offen offset:24
	buffer_load_dword v60, v5, s[0:3], 0 offen offset:28
	v_add_nc_u32_e32 v5, s5, v241
	s_add_i32 s5, s5, 32
	s_waitcnt vmcnt(4)
	ds_write2_b64 v5, v[1:2], v[3:4] offset1:1
	s_waitcnt vmcnt(0)
	ds_write2_b64 v5, v[57:58], v[59:60] offset0:2 offset1:3
	s_cmpk_lg_i32 s5, 0x3d0
	s_cbranch_scc1 .LBB121_183
; %bb.184:
	ds_read2_b64 v[57:60], v255 offset1:1
	s_waitcnt lgkmcnt(0)
	v_cmp_neq_f64_e32 vcc_lo, 0, v[57:58]
	v_cmp_neq_f64_e64 s5, 0, v[59:60]
	s_or_b32 s5, vcc_lo, s5
	s_and_b32 exec_lo, exec_lo, s5
	s_cbranch_execz .LBB121_190
; %bb.185:
	v_cmp_ngt_f64_e64 s5, |v[57:58]|, |v[59:60]|
                                        ; implicit-def: $vgpr1_vgpr2
	s_and_saveexec_b32 s7, s5
	s_xor_b32 s5, exec_lo, s7
                                        ; implicit-def: $vgpr3_vgpr4
	s_cbranch_execz .LBB121_187
; %bb.186:
	v_div_scale_f64 v[1:2], null, v[59:60], v[59:60], v[57:58]
	v_div_scale_f64 v[63:64], vcc_lo, v[57:58], v[59:60], v[57:58]
	v_rcp_f64_e32 v[3:4], v[1:2]
	v_fma_f64 v[61:62], -v[1:2], v[3:4], 1.0
	v_fma_f64 v[3:4], v[3:4], v[61:62], v[3:4]
	v_fma_f64 v[61:62], -v[1:2], v[3:4], 1.0
	v_fma_f64 v[3:4], v[3:4], v[61:62], v[3:4]
	v_mul_f64 v[61:62], v[63:64], v[3:4]
	v_fma_f64 v[1:2], -v[1:2], v[61:62], v[63:64]
	v_div_fmas_f64 v[1:2], v[1:2], v[3:4], v[61:62]
	v_div_fixup_f64 v[1:2], v[1:2], v[59:60], v[57:58]
	v_fma_f64 v[3:4], v[57:58], v[1:2], v[59:60]
	v_div_scale_f64 v[57:58], null, v[3:4], v[3:4], 1.0
	v_rcp_f64_e32 v[59:60], v[57:58]
	v_fma_f64 v[61:62], -v[57:58], v[59:60], 1.0
	v_fma_f64 v[59:60], v[59:60], v[61:62], v[59:60]
	v_fma_f64 v[61:62], -v[57:58], v[59:60], 1.0
	v_fma_f64 v[59:60], v[59:60], v[61:62], v[59:60]
	v_div_scale_f64 v[61:62], vcc_lo, 1.0, v[3:4], 1.0
	v_mul_f64 v[63:64], v[61:62], v[59:60]
	v_fma_f64 v[57:58], -v[57:58], v[63:64], v[61:62]
	v_div_fmas_f64 v[57:58], v[57:58], v[59:60], v[63:64]
	v_div_fixup_f64 v[3:4], v[57:58], v[3:4], 1.0
                                        ; implicit-def: $vgpr57_vgpr58
	v_mul_f64 v[1:2], v[1:2], v[3:4]
	v_xor_b32_e32 v4, 0x80000000, v4
.LBB121_187:
	s_andn2_saveexec_b32 s5, s5
	s_cbranch_execz .LBB121_189
; %bb.188:
	v_div_scale_f64 v[1:2], null, v[57:58], v[57:58], v[59:60]
	v_div_scale_f64 v[63:64], vcc_lo, v[59:60], v[57:58], v[59:60]
	v_rcp_f64_e32 v[3:4], v[1:2]
	v_fma_f64 v[61:62], -v[1:2], v[3:4], 1.0
	v_fma_f64 v[3:4], v[3:4], v[61:62], v[3:4]
	v_fma_f64 v[61:62], -v[1:2], v[3:4], 1.0
	v_fma_f64 v[3:4], v[3:4], v[61:62], v[3:4]
	v_mul_f64 v[61:62], v[63:64], v[3:4]
	v_fma_f64 v[1:2], -v[1:2], v[61:62], v[63:64]
	v_div_fmas_f64 v[1:2], v[1:2], v[3:4], v[61:62]
	v_div_fixup_f64 v[3:4], v[1:2], v[57:58], v[59:60]
	v_fma_f64 v[1:2], v[59:60], v[3:4], v[57:58]
	v_div_scale_f64 v[57:58], null, v[1:2], v[1:2], 1.0
	v_rcp_f64_e32 v[59:60], v[57:58]
	v_fma_f64 v[61:62], -v[57:58], v[59:60], 1.0
	v_fma_f64 v[59:60], v[59:60], v[61:62], v[59:60]
	v_fma_f64 v[61:62], -v[57:58], v[59:60], 1.0
	v_fma_f64 v[59:60], v[59:60], v[61:62], v[59:60]
	v_div_scale_f64 v[61:62], vcc_lo, 1.0, v[1:2], 1.0
	v_mul_f64 v[63:64], v[61:62], v[59:60]
	v_fma_f64 v[57:58], -v[57:58], v[63:64], v[61:62]
	v_div_fmas_f64 v[57:58], v[57:58], v[59:60], v[63:64]
	v_div_fixup_f64 v[1:2], v[57:58], v[1:2], 1.0
	v_mul_f64 v[3:4], v[3:4], -v[1:2]
.LBB121_189:
	s_or_b32 exec_lo, exec_lo, s5
	ds_write2_b64 v255, v[1:2], v[3:4] offset1:1
.LBB121_190:
	s_or_b32 exec_lo, exec_lo, s6
	s_waitcnt lgkmcnt(0)
	s_barrier
	buffer_gl0_inv
	ds_read2_b64 v[57:60], v255 offset1:1
	s_mov_b32 s5, exec_lo
	v_cmpx_lt_u32_e32 14, v0
	s_cbranch_execz .LBB121_193
; %bb.191:
	s_clause 0x3
	buffer_load_dword v1, off, s[0:3], 0 offset:232
	buffer_load_dword v2, off, s[0:3], 0 offset:236
	;; [unrolled: 1-line block ×4, first 2 shown]
	s_movk_i32 s6, 0xf0
	s_waitcnt vmcnt(2) lgkmcnt(0)
	v_mul_f64 v[61:62], v[59:60], v[1:2]
	v_mul_f64 v[1:2], v[57:58], v[1:2]
	s_waitcnt vmcnt(0)
	v_fma_f64 v[61:62], v[57:58], v[3:4], -v[61:62]
	v_fma_f64 v[1:2], v[59:60], v[3:4], v[1:2]
	buffer_store_dword v61, off, s[0:3], 0 offset:224
	buffer_store_dword v62, off, s[0:3], 0 offset:228
	;; [unrolled: 1-line block ×4, first 2 shown]
.LBB121_192:                            ; =>This Inner Loop Header: Depth=1
	s_clause 0x3
	buffer_load_dword v65, off, s[0:3], 0 offset:232
	buffer_load_dword v66, off, s[0:3], 0 offset:236
	;; [unrolled: 1-line block ×4, first 2 shown]
	v_mov_b32_e32 v5, s6
	v_add_nc_u32_e32 v6, s6, v241
	s_add_i32 s6, s6, 32
	s_clause 0x3
	buffer_load_dword v69, v5, s[0:3], 0 offen
	buffer_load_dword v70, v5, s[0:3], 0 offen offset:4
	buffer_load_dword v71, v5, s[0:3], 0 offen offset:8
	;; [unrolled: 1-line block ×3, first 2 shown]
	ds_read2_b64 v[1:4], v6 offset1:1
	ds_read2_b64 v[61:64], v6 offset0:2 offset1:3
	s_cmpk_lg_i32 s6, 0x3d0
	s_waitcnt vmcnt(6) lgkmcnt(1)
	v_mul_f64 v[73:74], v[3:4], v[65:66]
	v_mul_f64 v[65:66], v[1:2], v[65:66]
	s_waitcnt vmcnt(4)
	v_fma_f64 v[1:2], v[1:2], v[67:68], -v[73:74]
	v_fma_f64 v[3:4], v[3:4], v[67:68], v[65:66]
	s_clause 0x3
	buffer_load_dword v65, v5, s[0:3], 0 offen offset:16
	buffer_load_dword v66, v5, s[0:3], 0 offen offset:20
	;; [unrolled: 1-line block ×4, first 2 shown]
	s_waitcnt vmcnt(6)
	v_add_f64 v[1:2], v[69:70], -v[1:2]
	s_waitcnt vmcnt(4)
	v_add_f64 v[3:4], v[71:72], -v[3:4]
	buffer_store_dword v2, v5, s[0:3], 0 offen offset:4
	buffer_store_dword v1, v5, s[0:3], 0 offen
	buffer_store_dword v4, v5, s[0:3], 0 offen offset:12
	buffer_store_dword v3, v5, s[0:3], 0 offen offset:8
	s_clause 0x3
	buffer_load_dword v2, off, s[0:3], 0 offset:236
	buffer_load_dword v1, off, s[0:3], 0 offset:232
	;; [unrolled: 1-line block ×4, first 2 shown]
	s_waitcnt vmcnt(2) lgkmcnt(0)
	v_mul_f64 v[69:70], v[63:64], v[1:2]
	v_mul_f64 v[1:2], v[61:62], v[1:2]
	s_waitcnt vmcnt(0)
	v_fma_f64 v[61:62], v[61:62], v[3:4], -v[69:70]
	v_fma_f64 v[1:2], v[63:64], v[3:4], v[1:2]
	v_add_f64 v[3:4], v[65:66], -v[61:62]
	v_add_f64 v[1:2], v[67:68], -v[1:2]
	buffer_store_dword v4, v5, s[0:3], 0 offen offset:20
	buffer_store_dword v3, v5, s[0:3], 0 offen offset:16
	;; [unrolled: 1-line block ×4, first 2 shown]
	s_cbranch_scc1 .LBB121_192
.LBB121_193:
	s_or_b32 exec_lo, exec_lo, s5
	s_mov_b32 s6, exec_lo
	s_waitcnt lgkmcnt(0)
	s_waitcnt_vscnt null, 0x0
	s_barrier
	buffer_gl0_inv
	v_cmpx_eq_u32_e32 15, v0
	s_cbranch_execz .LBB121_202
; %bb.194:
	v_mov_b32_e32 v4, s61
	s_movk_i32 s5, 0x100
	s_clause 0x3
	buffer_load_dword v1, v4, s[0:3], 0 offen
	buffer_load_dword v2, v4, s[0:3], 0 offen offset:4
	buffer_load_dword v3, v4, s[0:3], 0 offen offset:8
	;; [unrolled: 1-line block ×3, first 2 shown]
	s_waitcnt vmcnt(0)
	ds_write2_b64 v255, v[1:2], v[3:4] offset1:1
.LBB121_195:                            ; =>This Inner Loop Header: Depth=1
	v_mov_b32_e32 v5, s5
	s_clause 0x3b
	buffer_load_dword v1, v5, s[0:3], 0 offen
	buffer_load_dword v2, v5, s[0:3], 0 offen offset:4
	buffer_load_dword v3, v5, s[0:3], 0 offen offset:8
	;; [unrolled: 1-line block ×59, first 2 shown]
	v_add_nc_u32_e32 v5, s5, v241
	s_addk_i32 s5, 0xf0
	s_waitcnt vmcnt(56)
	ds_write2_b64 v5, v[1:2], v[3:4] offset1:1
	s_waitcnt vmcnt(52)
	ds_write2_b64 v5, v[61:62], v[63:64] offset0:2 offset1:3
	s_waitcnt vmcnt(48)
	ds_write2_b64 v5, v[65:66], v[67:68] offset0:4 offset1:5
	;; [unrolled: 2-line block ×4, first 2 shown]
	ds_write2_b64 v5, v[77:78], v[75:76] offset0:10 offset1:11
	s_waitcnt vmcnt(28)
	ds_write2_b64 v5, v[87:88], v[81:82] offset0:12 offset1:13
	ds_write2_b64 v5, v[85:86], v[83:84] offset0:14 offset1:15
	s_waitcnt vmcnt(24)
	ds_write2_b64 v5, v[89:90], v[91:92] offset0:16 offset1:17
	s_waitcnt vmcnt(20)
	;; [unrolled: 2-line block ×7, first 2 shown]
	ds_write2_b64 v5, v[113:114], v[115:116] offset0:28 offset1:29
	s_cmpk_lg_i32 s5, 0x3d0
	s_cbranch_scc1 .LBB121_195
; %bb.196:
	ds_read2_b64 v[61:64], v255 offset1:1
	s_waitcnt lgkmcnt(0)
	v_cmp_neq_f64_e32 vcc_lo, 0, v[61:62]
	v_cmp_neq_f64_e64 s5, 0, v[63:64]
	s_or_b32 s5, vcc_lo, s5
	s_and_b32 exec_lo, exec_lo, s5
	s_cbranch_execz .LBB121_202
; %bb.197:
	v_cmp_ngt_f64_e64 s5, |v[61:62]|, |v[63:64]|
                                        ; implicit-def: $vgpr1_vgpr2
	s_and_saveexec_b32 s7, s5
	s_xor_b32 s5, exec_lo, s7
                                        ; implicit-def: $vgpr3_vgpr4
	s_cbranch_execz .LBB121_199
; %bb.198:
	v_div_scale_f64 v[1:2], null, v[63:64], v[63:64], v[61:62]
	v_div_scale_f64 v[67:68], vcc_lo, v[61:62], v[63:64], v[61:62]
	v_rcp_f64_e32 v[3:4], v[1:2]
	v_fma_f64 v[65:66], -v[1:2], v[3:4], 1.0
	v_fma_f64 v[3:4], v[3:4], v[65:66], v[3:4]
	v_fma_f64 v[65:66], -v[1:2], v[3:4], 1.0
	v_fma_f64 v[3:4], v[3:4], v[65:66], v[3:4]
	v_mul_f64 v[65:66], v[67:68], v[3:4]
	v_fma_f64 v[1:2], -v[1:2], v[65:66], v[67:68]
	v_div_fmas_f64 v[1:2], v[1:2], v[3:4], v[65:66]
	v_div_fixup_f64 v[1:2], v[1:2], v[63:64], v[61:62]
	v_fma_f64 v[3:4], v[61:62], v[1:2], v[63:64]
	v_div_scale_f64 v[61:62], null, v[3:4], v[3:4], 1.0
	v_rcp_f64_e32 v[63:64], v[61:62]
	v_fma_f64 v[65:66], -v[61:62], v[63:64], 1.0
	v_fma_f64 v[63:64], v[63:64], v[65:66], v[63:64]
	v_fma_f64 v[65:66], -v[61:62], v[63:64], 1.0
	v_fma_f64 v[63:64], v[63:64], v[65:66], v[63:64]
	v_div_scale_f64 v[65:66], vcc_lo, 1.0, v[3:4], 1.0
	v_mul_f64 v[67:68], v[65:66], v[63:64]
	v_fma_f64 v[61:62], -v[61:62], v[67:68], v[65:66]
	v_div_fmas_f64 v[61:62], v[61:62], v[63:64], v[67:68]
	v_div_fixup_f64 v[3:4], v[61:62], v[3:4], 1.0
                                        ; implicit-def: $vgpr61_vgpr62
	v_mul_f64 v[1:2], v[1:2], v[3:4]
	v_xor_b32_e32 v4, 0x80000000, v4
.LBB121_199:
	s_andn2_saveexec_b32 s5, s5
	s_cbranch_execz .LBB121_201
; %bb.200:
	v_div_scale_f64 v[1:2], null, v[61:62], v[61:62], v[63:64]
	v_div_scale_f64 v[67:68], vcc_lo, v[63:64], v[61:62], v[63:64]
	v_rcp_f64_e32 v[3:4], v[1:2]
	v_fma_f64 v[65:66], -v[1:2], v[3:4], 1.0
	v_fma_f64 v[3:4], v[3:4], v[65:66], v[3:4]
	v_fma_f64 v[65:66], -v[1:2], v[3:4], 1.0
	v_fma_f64 v[3:4], v[3:4], v[65:66], v[3:4]
	v_mul_f64 v[65:66], v[67:68], v[3:4]
	v_fma_f64 v[1:2], -v[1:2], v[65:66], v[67:68]
	v_div_fmas_f64 v[1:2], v[1:2], v[3:4], v[65:66]
	v_div_fixup_f64 v[3:4], v[1:2], v[61:62], v[63:64]
	v_fma_f64 v[1:2], v[63:64], v[3:4], v[61:62]
	v_div_scale_f64 v[61:62], null, v[1:2], v[1:2], 1.0
	v_rcp_f64_e32 v[63:64], v[61:62]
	v_fma_f64 v[65:66], -v[61:62], v[63:64], 1.0
	v_fma_f64 v[63:64], v[63:64], v[65:66], v[63:64]
	v_fma_f64 v[65:66], -v[61:62], v[63:64], 1.0
	v_fma_f64 v[63:64], v[63:64], v[65:66], v[63:64]
	v_div_scale_f64 v[65:66], vcc_lo, 1.0, v[1:2], 1.0
	v_mul_f64 v[67:68], v[65:66], v[63:64]
	v_fma_f64 v[61:62], -v[61:62], v[67:68], v[65:66]
	v_div_fmas_f64 v[61:62], v[61:62], v[63:64], v[67:68]
	v_div_fixup_f64 v[1:2], v[61:62], v[1:2], 1.0
	v_mul_f64 v[3:4], v[3:4], -v[1:2]
.LBB121_201:
	s_or_b32 exec_lo, exec_lo, s5
	ds_write2_b64 v255, v[1:2], v[3:4] offset1:1
.LBB121_202:
	s_or_b32 exec_lo, exec_lo, s6
	s_waitcnt lgkmcnt(0)
	s_barrier
	buffer_gl0_inv
	ds_read2_b64 v[61:64], v255 offset1:1
	s_mov_b32 s5, exec_lo
	v_cmpx_lt_u32_e32 15, v0
	s_cbranch_execz .LBB121_205
; %bb.203:
	s_clause 0x3
	buffer_load_dword v1, off, s[0:3], 0 offset:248
	buffer_load_dword v2, off, s[0:3], 0 offset:252
	;; [unrolled: 1-line block ×4, first 2 shown]
	s_movk_i32 s6, 0x100
	s_waitcnt vmcnt(2) lgkmcnt(0)
	v_mul_f64 v[65:66], v[63:64], v[1:2]
	v_mul_f64 v[1:2], v[61:62], v[1:2]
	s_waitcnt vmcnt(0)
	v_fma_f64 v[65:66], v[61:62], v[3:4], -v[65:66]
	v_fma_f64 v[1:2], v[63:64], v[3:4], v[1:2]
	buffer_store_dword v65, off, s[0:3], 0 offset:240
	buffer_store_dword v66, off, s[0:3], 0 offset:244
	;; [unrolled: 1-line block ×4, first 2 shown]
.LBB121_204:                            ; =>This Inner Loop Header: Depth=1
	s_clause 0x3
	buffer_load_dword v69, off, s[0:3], 0 offset:248
	buffer_load_dword v70, off, s[0:3], 0 offset:252
	;; [unrolled: 1-line block ×4, first 2 shown]
	v_mov_b32_e32 v5, s6
	v_add_nc_u32_e32 v6, s6, v241
	s_addk_i32 s6, 0x50
	s_clause 0x3
	buffer_load_dword v73, v5, s[0:3], 0 offen
	buffer_load_dword v74, v5, s[0:3], 0 offen offset:4
	buffer_load_dword v75, v5, s[0:3], 0 offen offset:8
	;; [unrolled: 1-line block ×3, first 2 shown]
	ds_read2_b64 v[1:4], v6 offset1:1
	ds_read2_b64 v[65:68], v6 offset0:2 offset1:3
	s_cmpk_lg_i32 s6, 0x3d0
	s_waitcnt vmcnt(6) lgkmcnt(1)
	v_mul_f64 v[77:78], v[3:4], v[69:70]
	v_mul_f64 v[69:70], v[1:2], v[69:70]
	s_waitcnt vmcnt(4)
	v_fma_f64 v[1:2], v[1:2], v[71:72], -v[77:78]
	v_fma_f64 v[3:4], v[3:4], v[71:72], v[69:70]
	s_clause 0x3
	buffer_load_dword v69, v5, s[0:3], 0 offen offset:16
	buffer_load_dword v70, v5, s[0:3], 0 offen offset:20
	;; [unrolled: 1-line block ×4, first 2 shown]
	s_waitcnt vmcnt(6)
	v_add_f64 v[1:2], v[73:74], -v[1:2]
	s_waitcnt vmcnt(4)
	v_add_f64 v[3:4], v[75:76], -v[3:4]
	buffer_store_dword v2, v5, s[0:3], 0 offen offset:4
	buffer_store_dword v1, v5, s[0:3], 0 offen
	buffer_store_dword v4, v5, s[0:3], 0 offen offset:12
	buffer_store_dword v3, v5, s[0:3], 0 offen offset:8
	s_clause 0x3
	buffer_load_dword v2, off, s[0:3], 0 offset:252
	buffer_load_dword v1, off, s[0:3], 0 offset:248
	;; [unrolled: 1-line block ×4, first 2 shown]
	s_waitcnt vmcnt(2) lgkmcnt(0)
	v_mul_f64 v[73:74], v[67:68], v[1:2]
	v_mul_f64 v[1:2], v[65:66], v[1:2]
	s_waitcnt vmcnt(0)
	v_fma_f64 v[65:66], v[65:66], v[3:4], -v[73:74]
	v_fma_f64 v[1:2], v[67:68], v[3:4], v[1:2]
	v_add_f64 v[3:4], v[69:70], -v[65:66]
	v_add_f64 v[1:2], v[71:72], -v[1:2]
	s_clause 0x3
	buffer_load_dword v69, v5, s[0:3], 0 offen offset:32
	buffer_load_dword v70, v5, s[0:3], 0 offen offset:36
	;; [unrolled: 1-line block ×4, first 2 shown]
	buffer_store_dword v4, v5, s[0:3], 0 offen offset:20
	buffer_store_dword v3, v5, s[0:3], 0 offen offset:16
	;; [unrolled: 1-line block ×4, first 2 shown]
	s_clause 0x3
	buffer_load_dword v73, off, s[0:3], 0 offset:248
	buffer_load_dword v74, off, s[0:3], 0 offset:252
	buffer_load_dword v75, off, s[0:3], 0 offset:240
	buffer_load_dword v76, off, s[0:3], 0 offset:244
	ds_read2_b64 v[1:4], v6 offset0:4 offset1:5
	ds_read2_b64 v[65:68], v6 offset0:6 offset1:7
	s_waitcnt vmcnt(2) lgkmcnt(1)
	v_mul_f64 v[77:78], v[3:4], v[73:74]
	v_mul_f64 v[73:74], v[1:2], v[73:74]
	s_waitcnt vmcnt(0)
	v_fma_f64 v[1:2], v[1:2], v[75:76], -v[77:78]
	v_fma_f64 v[3:4], v[3:4], v[75:76], v[73:74]
	v_add_f64 v[1:2], v[69:70], -v[1:2]
	v_add_f64 v[3:4], v[71:72], -v[3:4]
	buffer_store_dword v2, v5, s[0:3], 0 offen offset:36
	buffer_store_dword v1, v5, s[0:3], 0 offen offset:32
	;; [unrolled: 1-line block ×4, first 2 shown]
	s_clause 0x7
	buffer_load_dword v1, off, s[0:3], 0 offset:248
	buffer_load_dword v2, off, s[0:3], 0 offset:252
	buffer_load_dword v3, off, s[0:3], 0 offset:240
	buffer_load_dword v4, off, s[0:3], 0 offset:244
	buffer_load_dword v69, v5, s[0:3], 0 offen offset:48
	buffer_load_dword v70, v5, s[0:3], 0 offen offset:52
	buffer_load_dword v71, v5, s[0:3], 0 offen offset:56
	buffer_load_dword v72, v5, s[0:3], 0 offen offset:60
	s_waitcnt vmcnt(6) lgkmcnt(0)
	v_mul_f64 v[73:74], v[67:68], v[1:2]
	v_mul_f64 v[1:2], v[65:66], v[1:2]
	s_waitcnt vmcnt(4)
	v_fma_f64 v[65:66], v[65:66], v[3:4], -v[73:74]
	v_fma_f64 v[1:2], v[67:68], v[3:4], v[1:2]
	s_waitcnt vmcnt(2)
	v_add_f64 v[3:4], v[69:70], -v[65:66]
	s_waitcnt vmcnt(0)
	v_add_f64 v[1:2], v[71:72], -v[1:2]
	buffer_store_dword v4, v5, s[0:3], 0 offen offset:52
	buffer_store_dword v3, v5, s[0:3], 0 offen offset:48
	;; [unrolled: 1-line block ×4, first 2 shown]
	s_clause 0x7
	buffer_load_dword v65, off, s[0:3], 0 offset:248
	buffer_load_dword v66, off, s[0:3], 0 offset:252
	;; [unrolled: 1-line block ×4, first 2 shown]
	buffer_load_dword v69, v5, s[0:3], 0 offen offset:64
	buffer_load_dword v70, v5, s[0:3], 0 offen offset:68
	;; [unrolled: 1-line block ×4, first 2 shown]
	ds_read2_b64 v[1:4], v6 offset0:8 offset1:9
	s_waitcnt vmcnt(6) lgkmcnt(0)
	v_mul_f64 v[73:74], v[3:4], v[65:66]
	v_mul_f64 v[65:66], v[1:2], v[65:66]
	s_waitcnt vmcnt(4)
	v_fma_f64 v[1:2], v[1:2], v[67:68], -v[73:74]
	v_fma_f64 v[3:4], v[3:4], v[67:68], v[65:66]
	s_waitcnt vmcnt(2)
	v_add_f64 v[1:2], v[69:70], -v[1:2]
	s_waitcnt vmcnt(0)
	v_add_f64 v[3:4], v[71:72], -v[3:4]
	buffer_store_dword v2, v5, s[0:3], 0 offen offset:68
	buffer_store_dword v1, v5, s[0:3], 0 offen offset:64
	;; [unrolled: 1-line block ×4, first 2 shown]
	s_cbranch_scc1 .LBB121_204
.LBB121_205:
	s_or_b32 exec_lo, exec_lo, s5
	s_mov_b32 s6, exec_lo
	s_waitcnt lgkmcnt(0)
	s_waitcnt_vscnt null, 0x0
	s_barrier
	buffer_gl0_inv
	v_cmpx_eq_u32_e32 16, v0
	s_cbranch_execz .LBB121_214
; %bb.206:
	v_mov_b32_e32 v4, s60
	s_movk_i32 s5, 0x110
	s_clause 0x3
	buffer_load_dword v1, v4, s[0:3], 0 offen
	buffer_load_dword v2, v4, s[0:3], 0 offen offset:4
	buffer_load_dword v3, v4, s[0:3], 0 offen offset:8
	;; [unrolled: 1-line block ×3, first 2 shown]
	s_waitcnt vmcnt(0)
	ds_write2_b64 v255, v[1:2], v[3:4] offset1:1
.LBB121_207:                            ; =>This Inner Loop Header: Depth=1
	v_mov_b32_e32 v5, s5
	s_clause 0x2b
	buffer_load_dword v1, v5, s[0:3], 0 offen
	buffer_load_dword v2, v5, s[0:3], 0 offen offset:4
	buffer_load_dword v3, v5, s[0:3], 0 offen offset:8
	;; [unrolled: 1-line block ×43, first 2 shown]
	v_add_nc_u32_e32 v5, s5, v241
	s_addk_i32 s5, 0xb0
	s_waitcnt vmcnt(40)
	ds_write2_b64 v5, v[1:2], v[3:4] offset1:1
	s_waitcnt vmcnt(36)
	ds_write2_b64 v5, v[65:66], v[67:68] offset0:2 offset1:3
	s_waitcnt vmcnt(32)
	ds_write2_b64 v5, v[69:70], v[71:72] offset0:4 offset1:5
	;; [unrolled: 2-line block ×4, first 2 shown]
	ds_write2_b64 v5, v[81:82], v[79:80] offset0:10 offset1:11
	s_waitcnt vmcnt(12)
	ds_write2_b64 v5, v[91:92], v[85:86] offset0:12 offset1:13
	ds_write2_b64 v5, v[89:90], v[87:88] offset0:14 offset1:15
	s_waitcnt vmcnt(8)
	ds_write2_b64 v5, v[93:94], v[95:96] offset0:16 offset1:17
	s_waitcnt vmcnt(4)
	;; [unrolled: 2-line block ×3, first 2 shown]
	ds_write2_b64 v5, v[101:102], v[103:104] offset0:20 offset1:21
	s_cmpk_lg_i32 s5, 0x3d0
	s_cbranch_scc1 .LBB121_207
; %bb.208:
	ds_read2_b64 v[65:68], v255 offset1:1
	s_waitcnt lgkmcnt(0)
	v_cmp_neq_f64_e32 vcc_lo, 0, v[65:66]
	v_cmp_neq_f64_e64 s5, 0, v[67:68]
	s_or_b32 s5, vcc_lo, s5
	s_and_b32 exec_lo, exec_lo, s5
	s_cbranch_execz .LBB121_214
; %bb.209:
	v_cmp_ngt_f64_e64 s5, |v[65:66]|, |v[67:68]|
                                        ; implicit-def: $vgpr1_vgpr2
	s_and_saveexec_b32 s7, s5
	s_xor_b32 s5, exec_lo, s7
                                        ; implicit-def: $vgpr3_vgpr4
	s_cbranch_execz .LBB121_211
; %bb.210:
	v_div_scale_f64 v[1:2], null, v[67:68], v[67:68], v[65:66]
	v_div_scale_f64 v[71:72], vcc_lo, v[65:66], v[67:68], v[65:66]
	v_rcp_f64_e32 v[3:4], v[1:2]
	v_fma_f64 v[69:70], -v[1:2], v[3:4], 1.0
	v_fma_f64 v[3:4], v[3:4], v[69:70], v[3:4]
	v_fma_f64 v[69:70], -v[1:2], v[3:4], 1.0
	v_fma_f64 v[3:4], v[3:4], v[69:70], v[3:4]
	v_mul_f64 v[69:70], v[71:72], v[3:4]
	v_fma_f64 v[1:2], -v[1:2], v[69:70], v[71:72]
	v_div_fmas_f64 v[1:2], v[1:2], v[3:4], v[69:70]
	v_div_fixup_f64 v[1:2], v[1:2], v[67:68], v[65:66]
	v_fma_f64 v[3:4], v[65:66], v[1:2], v[67:68]
	v_div_scale_f64 v[65:66], null, v[3:4], v[3:4], 1.0
	v_rcp_f64_e32 v[67:68], v[65:66]
	v_fma_f64 v[69:70], -v[65:66], v[67:68], 1.0
	v_fma_f64 v[67:68], v[67:68], v[69:70], v[67:68]
	v_fma_f64 v[69:70], -v[65:66], v[67:68], 1.0
	v_fma_f64 v[67:68], v[67:68], v[69:70], v[67:68]
	v_div_scale_f64 v[69:70], vcc_lo, 1.0, v[3:4], 1.0
	v_mul_f64 v[71:72], v[69:70], v[67:68]
	v_fma_f64 v[65:66], -v[65:66], v[71:72], v[69:70]
	v_div_fmas_f64 v[65:66], v[65:66], v[67:68], v[71:72]
	v_div_fixup_f64 v[3:4], v[65:66], v[3:4], 1.0
                                        ; implicit-def: $vgpr65_vgpr66
	v_mul_f64 v[1:2], v[1:2], v[3:4]
	v_xor_b32_e32 v4, 0x80000000, v4
.LBB121_211:
	s_andn2_saveexec_b32 s5, s5
	s_cbranch_execz .LBB121_213
; %bb.212:
	v_div_scale_f64 v[1:2], null, v[65:66], v[65:66], v[67:68]
	v_div_scale_f64 v[71:72], vcc_lo, v[67:68], v[65:66], v[67:68]
	v_rcp_f64_e32 v[3:4], v[1:2]
	v_fma_f64 v[69:70], -v[1:2], v[3:4], 1.0
	v_fma_f64 v[3:4], v[3:4], v[69:70], v[3:4]
	v_fma_f64 v[69:70], -v[1:2], v[3:4], 1.0
	v_fma_f64 v[3:4], v[3:4], v[69:70], v[3:4]
	v_mul_f64 v[69:70], v[71:72], v[3:4]
	v_fma_f64 v[1:2], -v[1:2], v[69:70], v[71:72]
	v_div_fmas_f64 v[1:2], v[1:2], v[3:4], v[69:70]
	v_div_fixup_f64 v[3:4], v[1:2], v[65:66], v[67:68]
	v_fma_f64 v[1:2], v[67:68], v[3:4], v[65:66]
	v_div_scale_f64 v[65:66], null, v[1:2], v[1:2], 1.0
	v_rcp_f64_e32 v[67:68], v[65:66]
	v_fma_f64 v[69:70], -v[65:66], v[67:68], 1.0
	v_fma_f64 v[67:68], v[67:68], v[69:70], v[67:68]
	v_fma_f64 v[69:70], -v[65:66], v[67:68], 1.0
	v_fma_f64 v[67:68], v[67:68], v[69:70], v[67:68]
	v_div_scale_f64 v[69:70], vcc_lo, 1.0, v[1:2], 1.0
	v_mul_f64 v[71:72], v[69:70], v[67:68]
	v_fma_f64 v[65:66], -v[65:66], v[71:72], v[69:70]
	v_div_fmas_f64 v[65:66], v[65:66], v[67:68], v[71:72]
	v_div_fixup_f64 v[1:2], v[65:66], v[1:2], 1.0
	v_mul_f64 v[3:4], v[3:4], -v[1:2]
.LBB121_213:
	s_or_b32 exec_lo, exec_lo, s5
	ds_write2_b64 v255, v[1:2], v[3:4] offset1:1
.LBB121_214:
	s_or_b32 exec_lo, exec_lo, s6
	s_waitcnt lgkmcnt(0)
	s_barrier
	buffer_gl0_inv
	ds_read2_b64 v[65:68], v255 offset1:1
	s_mov_b32 s5, exec_lo
	v_cmpx_lt_u32_e32 16, v0
	s_cbranch_execz .LBB121_217
; %bb.215:
	s_clause 0x3
	buffer_load_dword v1, off, s[0:3], 0 offset:264
	buffer_load_dword v2, off, s[0:3], 0 offset:268
	;; [unrolled: 1-line block ×4, first 2 shown]
	s_movk_i32 s6, 0x110
	s_waitcnt vmcnt(2) lgkmcnt(0)
	v_mul_f64 v[69:70], v[67:68], v[1:2]
	v_mul_f64 v[1:2], v[65:66], v[1:2]
	s_waitcnt vmcnt(0)
	v_fma_f64 v[69:70], v[65:66], v[3:4], -v[69:70]
	v_fma_f64 v[1:2], v[67:68], v[3:4], v[1:2]
	buffer_store_dword v69, off, s[0:3], 0 offset:256
	buffer_store_dword v70, off, s[0:3], 0 offset:260
	buffer_store_dword v1, off, s[0:3], 0 offset:264
	buffer_store_dword v2, off, s[0:3], 0 offset:268
.LBB121_216:                            ; =>This Inner Loop Header: Depth=1
	s_clause 0x3
	buffer_load_dword v73, off, s[0:3], 0 offset:264
	buffer_load_dword v74, off, s[0:3], 0 offset:268
	;; [unrolled: 1-line block ×4, first 2 shown]
	v_mov_b32_e32 v5, s6
	v_add_nc_u32_e32 v6, s6, v241
	s_add_i32 s6, s6, 64
	s_clause 0x3
	buffer_load_dword v77, v5, s[0:3], 0 offen
	buffer_load_dword v78, v5, s[0:3], 0 offen offset:4
	buffer_load_dword v79, v5, s[0:3], 0 offen offset:8
	;; [unrolled: 1-line block ×3, first 2 shown]
	ds_read2_b64 v[1:4], v6 offset1:1
	ds_read2_b64 v[69:72], v6 offset0:2 offset1:3
	s_cmpk_lg_i32 s6, 0x3d0
	s_waitcnt vmcnt(6) lgkmcnt(1)
	v_mul_f64 v[81:82], v[3:4], v[73:74]
	v_mul_f64 v[73:74], v[1:2], v[73:74]
	s_waitcnt vmcnt(4)
	v_fma_f64 v[1:2], v[1:2], v[75:76], -v[81:82]
	v_fma_f64 v[3:4], v[3:4], v[75:76], v[73:74]
	s_clause 0x3
	buffer_load_dword v73, v5, s[0:3], 0 offen offset:16
	buffer_load_dword v74, v5, s[0:3], 0 offen offset:20
	;; [unrolled: 1-line block ×4, first 2 shown]
	s_waitcnt vmcnt(6)
	v_add_f64 v[1:2], v[77:78], -v[1:2]
	s_waitcnt vmcnt(4)
	v_add_f64 v[3:4], v[79:80], -v[3:4]
	buffer_store_dword v2, v5, s[0:3], 0 offen offset:4
	buffer_store_dword v1, v5, s[0:3], 0 offen
	buffer_store_dword v4, v5, s[0:3], 0 offen offset:12
	buffer_store_dword v3, v5, s[0:3], 0 offen offset:8
	s_clause 0x3
	buffer_load_dword v2, off, s[0:3], 0 offset:268
	buffer_load_dword v1, off, s[0:3], 0 offset:264
	;; [unrolled: 1-line block ×4, first 2 shown]
	s_waitcnt vmcnt(2) lgkmcnt(0)
	v_mul_f64 v[77:78], v[71:72], v[1:2]
	v_mul_f64 v[1:2], v[69:70], v[1:2]
	s_waitcnt vmcnt(0)
	v_fma_f64 v[69:70], v[69:70], v[3:4], -v[77:78]
	v_fma_f64 v[1:2], v[71:72], v[3:4], v[1:2]
	v_add_f64 v[3:4], v[73:74], -v[69:70]
	v_add_f64 v[1:2], v[75:76], -v[1:2]
	s_clause 0x3
	buffer_load_dword v73, v5, s[0:3], 0 offen offset:32
	buffer_load_dword v74, v5, s[0:3], 0 offen offset:36
	;; [unrolled: 1-line block ×4, first 2 shown]
	buffer_store_dword v4, v5, s[0:3], 0 offen offset:20
	buffer_store_dword v3, v5, s[0:3], 0 offen offset:16
	;; [unrolled: 1-line block ×4, first 2 shown]
	s_clause 0x3
	buffer_load_dword v77, off, s[0:3], 0 offset:264
	buffer_load_dword v78, off, s[0:3], 0 offset:268
	;; [unrolled: 1-line block ×4, first 2 shown]
	ds_read2_b64 v[1:4], v6 offset0:4 offset1:5
	ds_read2_b64 v[69:72], v6 offset0:6 offset1:7
	s_waitcnt vmcnt(2) lgkmcnt(1)
	v_mul_f64 v[81:82], v[3:4], v[77:78]
	v_mul_f64 v[77:78], v[1:2], v[77:78]
	s_waitcnt vmcnt(0)
	v_fma_f64 v[1:2], v[1:2], v[79:80], -v[81:82]
	v_fma_f64 v[3:4], v[3:4], v[79:80], v[77:78]
	v_add_f64 v[1:2], v[73:74], -v[1:2]
	v_add_f64 v[3:4], v[75:76], -v[3:4]
	buffer_store_dword v2, v5, s[0:3], 0 offen offset:36
	buffer_store_dword v1, v5, s[0:3], 0 offen offset:32
	;; [unrolled: 1-line block ×4, first 2 shown]
	s_clause 0x7
	buffer_load_dword v1, off, s[0:3], 0 offset:264
	buffer_load_dword v2, off, s[0:3], 0 offset:268
	;; [unrolled: 1-line block ×4, first 2 shown]
	buffer_load_dword v73, v5, s[0:3], 0 offen offset:48
	buffer_load_dword v74, v5, s[0:3], 0 offen offset:52
	;; [unrolled: 1-line block ×4, first 2 shown]
	s_waitcnt vmcnt(6) lgkmcnt(0)
	v_mul_f64 v[77:78], v[71:72], v[1:2]
	v_mul_f64 v[1:2], v[69:70], v[1:2]
	s_waitcnt vmcnt(4)
	v_fma_f64 v[69:70], v[69:70], v[3:4], -v[77:78]
	v_fma_f64 v[1:2], v[71:72], v[3:4], v[1:2]
	s_waitcnt vmcnt(2)
	v_add_f64 v[3:4], v[73:74], -v[69:70]
	s_waitcnt vmcnt(0)
	v_add_f64 v[1:2], v[75:76], -v[1:2]
	buffer_store_dword v4, v5, s[0:3], 0 offen offset:52
	buffer_store_dword v3, v5, s[0:3], 0 offen offset:48
	;; [unrolled: 1-line block ×4, first 2 shown]
	s_cbranch_scc1 .LBB121_216
.LBB121_217:
	s_or_b32 exec_lo, exec_lo, s5
	s_mov_b32 s6, exec_lo
	s_waitcnt lgkmcnt(0)
	s_waitcnt_vscnt null, 0x0
	s_barrier
	buffer_gl0_inv
	v_cmpx_eq_u32_e32 17, v0
	s_cbranch_execz .LBB121_228
; %bb.218:
	v_mov_b32_e32 v4, s59
	s_movk_i32 s5, 0x120
	s_clause 0x3
	buffer_load_dword v1, v4, s[0:3], 0 offen
	buffer_load_dword v2, v4, s[0:3], 0 offen offset:4
	buffer_load_dword v3, v4, s[0:3], 0 offen offset:8
	;; [unrolled: 1-line block ×3, first 2 shown]
	s_waitcnt vmcnt(0)
	ds_write2_b64 v255, v[1:2], v[3:4] offset1:1
	s_branch .LBB121_220
.LBB121_219:                            ;   in Loop: Header=BB121_220 Depth=1
	s_andn2_b32 vcc_lo, exec_lo, s8
	s_cbranch_vccz .LBB121_222
.LBB121_220:                            ; =>This Inner Loop Header: Depth=1
	v_mov_b32_e32 v1, s5
	s_mov_b32 s7, s5
	s_mov_b32 s8, -1
	s_cmpk_eq_i32 s5, 0x3a0
	s_clause 0xb
	buffer_load_dword v2, v1, s[0:3], 0 offen
	buffer_load_dword v3, v1, s[0:3], 0 offen offset:4
	buffer_load_dword v69, v1, s[0:3], 0 offen offset:8
	buffer_load_dword v70, v1, s[0:3], 0 offen offset:12
	buffer_load_dword v71, v1, s[0:3], 0 offen offset:16
	buffer_load_dword v72, v1, s[0:3], 0 offen offset:20
	buffer_load_dword v73, v1, s[0:3], 0 offen offset:24
	buffer_load_dword v74, v1, s[0:3], 0 offen offset:28
	buffer_load_dword v75, v1, s[0:3], 0 offen offset:32
	buffer_load_dword v76, v1, s[0:3], 0 offen offset:36
	buffer_load_dword v77, v1, s[0:3], 0 offen offset:40
	buffer_load_dword v78, v1, s[0:3], 0 offen offset:44
	v_add_nc_u32_e32 v1, s5, v241
	s_waitcnt vmcnt(8)
	ds_write2_b64 v1, v[2:3], v[69:70] offset1:1
	s_waitcnt vmcnt(4)
	ds_write2_b64 v1, v[71:72], v[73:74] offset0:2 offset1:3
	s_waitcnt vmcnt(0)
	ds_write2_b64 v1, v[75:76], v[77:78] offset0:4 offset1:5
	s_cbranch_scc1 .LBB121_219
; %bb.221:                              ;   in Loop: Header=BB121_220 Depth=1
	v_mov_b32_e32 v4, s7
	s_addk_i32 s5, 0x80
	s_mov_b32 s8, 0
	s_clause 0x13
	buffer_load_dword v2, v4, s[0:3], 0 offen offset:48
	buffer_load_dword v3, v4, s[0:3], 0 offen offset:52
	;; [unrolled: 1-line block ×20, first 2 shown]
	s_waitcnt vmcnt(16)
	ds_write2_b64 v1, v[2:3], v[69:70] offset0:6 offset1:7
	s_waitcnt vmcnt(12)
	ds_write2_b64 v1, v[71:72], v[73:74] offset0:8 offset1:9
	;; [unrolled: 2-line block ×5, first 2 shown]
	s_branch .LBB121_219
.LBB121_222:
	ds_read2_b64 v[69:72], v255 offset1:1
	s_waitcnt lgkmcnt(0)
	v_cmp_neq_f64_e32 vcc_lo, 0, v[69:70]
	v_cmp_neq_f64_e64 s5, 0, v[71:72]
	s_or_b32 s5, vcc_lo, s5
	s_and_b32 exec_lo, exec_lo, s5
	s_cbranch_execz .LBB121_228
; %bb.223:
	v_cmp_ngt_f64_e64 s5, |v[69:70]|, |v[71:72]|
                                        ; implicit-def: $vgpr1_vgpr2
	s_and_saveexec_b32 s7, s5
	s_xor_b32 s5, exec_lo, s7
                                        ; implicit-def: $vgpr3_vgpr4
	s_cbranch_execz .LBB121_225
; %bb.224:
	v_div_scale_f64 v[1:2], null, v[71:72], v[71:72], v[69:70]
	v_div_scale_f64 v[75:76], vcc_lo, v[69:70], v[71:72], v[69:70]
	v_rcp_f64_e32 v[3:4], v[1:2]
	v_fma_f64 v[73:74], -v[1:2], v[3:4], 1.0
	v_fma_f64 v[3:4], v[3:4], v[73:74], v[3:4]
	v_fma_f64 v[73:74], -v[1:2], v[3:4], 1.0
	v_fma_f64 v[3:4], v[3:4], v[73:74], v[3:4]
	v_mul_f64 v[73:74], v[75:76], v[3:4]
	v_fma_f64 v[1:2], -v[1:2], v[73:74], v[75:76]
	v_div_fmas_f64 v[1:2], v[1:2], v[3:4], v[73:74]
	v_div_fixup_f64 v[1:2], v[1:2], v[71:72], v[69:70]
	v_fma_f64 v[3:4], v[69:70], v[1:2], v[71:72]
	v_div_scale_f64 v[69:70], null, v[3:4], v[3:4], 1.0
	v_rcp_f64_e32 v[71:72], v[69:70]
	v_fma_f64 v[73:74], -v[69:70], v[71:72], 1.0
	v_fma_f64 v[71:72], v[71:72], v[73:74], v[71:72]
	v_fma_f64 v[73:74], -v[69:70], v[71:72], 1.0
	v_fma_f64 v[71:72], v[71:72], v[73:74], v[71:72]
	v_div_scale_f64 v[73:74], vcc_lo, 1.0, v[3:4], 1.0
	v_mul_f64 v[75:76], v[73:74], v[71:72]
	v_fma_f64 v[69:70], -v[69:70], v[75:76], v[73:74]
	v_div_fmas_f64 v[69:70], v[69:70], v[71:72], v[75:76]
	v_div_fixup_f64 v[3:4], v[69:70], v[3:4], 1.0
                                        ; implicit-def: $vgpr69_vgpr70
	v_mul_f64 v[1:2], v[1:2], v[3:4]
	v_xor_b32_e32 v4, 0x80000000, v4
.LBB121_225:
	s_andn2_saveexec_b32 s5, s5
	s_cbranch_execz .LBB121_227
; %bb.226:
	v_div_scale_f64 v[1:2], null, v[69:70], v[69:70], v[71:72]
	v_div_scale_f64 v[75:76], vcc_lo, v[71:72], v[69:70], v[71:72]
	v_rcp_f64_e32 v[3:4], v[1:2]
	v_fma_f64 v[73:74], -v[1:2], v[3:4], 1.0
	v_fma_f64 v[3:4], v[3:4], v[73:74], v[3:4]
	v_fma_f64 v[73:74], -v[1:2], v[3:4], 1.0
	v_fma_f64 v[3:4], v[3:4], v[73:74], v[3:4]
	v_mul_f64 v[73:74], v[75:76], v[3:4]
	v_fma_f64 v[1:2], -v[1:2], v[73:74], v[75:76]
	v_div_fmas_f64 v[1:2], v[1:2], v[3:4], v[73:74]
	v_div_fixup_f64 v[3:4], v[1:2], v[69:70], v[71:72]
	v_fma_f64 v[1:2], v[71:72], v[3:4], v[69:70]
	v_div_scale_f64 v[69:70], null, v[1:2], v[1:2], 1.0
	v_rcp_f64_e32 v[71:72], v[69:70]
	v_fma_f64 v[73:74], -v[69:70], v[71:72], 1.0
	v_fma_f64 v[71:72], v[71:72], v[73:74], v[71:72]
	v_fma_f64 v[73:74], -v[69:70], v[71:72], 1.0
	v_fma_f64 v[71:72], v[71:72], v[73:74], v[71:72]
	v_div_scale_f64 v[73:74], vcc_lo, 1.0, v[1:2], 1.0
	v_mul_f64 v[75:76], v[73:74], v[71:72]
	v_fma_f64 v[69:70], -v[69:70], v[75:76], v[73:74]
	v_div_fmas_f64 v[69:70], v[69:70], v[71:72], v[75:76]
	v_div_fixup_f64 v[1:2], v[69:70], v[1:2], 1.0
	v_mul_f64 v[3:4], v[3:4], -v[1:2]
.LBB121_227:
	s_or_b32 exec_lo, exec_lo, s5
	ds_write2_b64 v255, v[1:2], v[3:4] offset1:1
.LBB121_228:
	s_or_b32 exec_lo, exec_lo, s6
	s_waitcnt lgkmcnt(0)
	s_barrier
	buffer_gl0_inv
	ds_read2_b64 v[69:72], v255 offset1:1
	s_mov_b32 s5, exec_lo
	v_cmpx_lt_u32_e32 17, v0
	s_cbranch_execz .LBB121_233
; %bb.229:
	s_clause 0x3
	buffer_load_dword v1, off, s[0:3], 0 offset:280
	buffer_load_dword v2, off, s[0:3], 0 offset:284
	;; [unrolled: 1-line block ×4, first 2 shown]
	s_movk_i32 s6, 0x120
	s_waitcnt vmcnt(2) lgkmcnt(0)
	v_mul_f64 v[73:74], v[71:72], v[1:2]
	v_mul_f64 v[1:2], v[69:70], v[1:2]
	s_waitcnt vmcnt(0)
	v_fma_f64 v[73:74], v[69:70], v[3:4], -v[73:74]
	v_fma_f64 v[75:76], v[71:72], v[3:4], v[1:2]
	buffer_store_dword v73, off, s[0:3], 0 offset:272
	buffer_store_dword v74, off, s[0:3], 0 offset:276
	;; [unrolled: 1-line block ×4, first 2 shown]
	s_branch .LBB121_231
.LBB121_230:                            ;   in Loop: Header=BB121_231 Depth=1
	s_andn2_b32 vcc_lo, exec_lo, s8
	s_cbranch_vccz .LBB121_233
.LBB121_231:                            ; =>This Inner Loop Header: Depth=1
	v_mov_b32_e32 v5, s6
	v_add_nc_u32_e32 v1, s6, v241
	s_mov_b32 s7, s6
	s_mov_b32 s8, -1
	s_cmpk_eq_i32 s6, 0x3a0
	s_clause 0x3
	buffer_load_dword v2, v5, s[0:3], 0 offen
	buffer_load_dword v3, v5, s[0:3], 0 offen offset:4
	buffer_load_dword v85, v5, s[0:3], 0 offen offset:8
	buffer_load_dword v86, v5, s[0:3], 0 offen offset:12
	ds_read2_b64 v[77:80], v1 offset1:1
	ds_read2_b64 v[81:84], v1 offset0:2 offset1:3
	s_waitcnt vmcnt(5) lgkmcnt(1)
	v_mul_f64 v[87:88], v[79:80], v[75:76]
	v_mul_f64 v[75:76], v[77:78], v[75:76]
	s_waitcnt vmcnt(4)
	v_fma_f64 v[77:78], v[77:78], v[73:74], -v[87:88]
	v_fma_f64 v[73:74], v[79:80], v[73:74], v[75:76]
	s_clause 0x2
	buffer_load_dword v4, v5, s[0:3], 0 offen offset:20
	buffer_load_dword v75, v5, s[0:3], 0 offen offset:28
	;; [unrolled: 1-line block ×3, first 2 shown]
	s_waitcnt vmcnt(5)
	v_add_f64 v[2:3], v[2:3], -v[77:78]
	s_waitcnt vmcnt(3)
	v_add_f64 v[73:74], v[85:86], -v[73:74]
	buffer_store_dword v3, v5, s[0:3], 0 offen offset:4
	buffer_store_dword v2, v5, s[0:3], 0 offen
	buffer_store_dword v74, v5, s[0:3], 0 offen offset:12
	buffer_store_dword v73, v5, s[0:3], 0 offen offset:8
	s_clause 0x6
	buffer_load_dword v74, v5, s[0:3], 0 offen offset:24
	buffer_load_dword v78, v5, s[0:3], 0 offen offset:36
	buffer_load_dword v77, off, s[0:3], 0 offset:284
	buffer_load_dword v76, off, s[0:3], 0 offset:280
	;; [unrolled: 1-line block ×4, first 2 shown]
	buffer_load_dword v3, v5, s[0:3], 0 offen offset:16
	s_waitcnt vmcnt(3) lgkmcnt(0)
	v_mul_f64 v[87:88], v[83:84], v[76:77]
	v_mul_f64 v[76:77], v[81:82], v[76:77]
	s_waitcnt vmcnt(1)
	v_fma_f64 v[80:81], v[81:82], v[85:86], -v[87:88]
	v_fma_f64 v[76:77], v[83:84], v[85:86], v[76:77]
	s_waitcnt vmcnt(0)
	v_add_f64 v[2:3], v[3:4], -v[80:81]
	v_add_f64 v[73:74], v[74:75], -v[76:77]
	buffer_store_dword v3, v5, s[0:3], 0 offen offset:20
	buffer_store_dword v2, v5, s[0:3], 0 offen offset:16
	buffer_store_dword v74, v5, s[0:3], 0 offen offset:28
	buffer_store_dword v73, v5, s[0:3], 0 offen offset:24
	s_clause 0x5
	buffer_load_dword v80, v5, s[0:3], 0 offen offset:44
	buffer_load_dword v2, off, s[0:3], 0 offset:280
	buffer_load_dword v3, off, s[0:3], 0 offset:284
	;; [unrolled: 1-line block ×4, first 2 shown]
	buffer_load_dword v77, v5, s[0:3], 0 offen offset:32
	ds_read2_b64 v[73:76], v1 offset0:4 offset1:5
	s_waitcnt vmcnt(3) lgkmcnt(0)
	v_mul_f64 v[83:84], v[75:76], v[2:3]
	v_mul_f64 v[2:3], v[73:74], v[2:3]
	s_waitcnt vmcnt(1)
	v_fma_f64 v[73:74], v[73:74], v[81:82], -v[83:84]
	v_fma_f64 v[2:3], v[75:76], v[81:82], v[2:3]
                                        ; implicit-def: $vgpr75_vgpr76
	s_waitcnt vmcnt(0)
	v_add_f64 v[73:74], v[77:78], -v[73:74]
	v_add_f64 v[2:3], v[79:80], -v[2:3]
	buffer_store_dword v74, v5, s[0:3], 0 offen offset:36
	buffer_store_dword v73, v5, s[0:3], 0 offen offset:32
	;; [unrolled: 1-line block ×4, first 2 shown]
                                        ; implicit-def: $vgpr73_vgpr74
	s_cbranch_scc1 .LBB121_230
; %bb.232:                              ;   in Loop: Header=BB121_231 Depth=1
	s_clause 0x3
	buffer_load_dword v73, off, s[0:3], 0 offset:280
	buffer_load_dword v74, off, s[0:3], 0 offset:284
	;; [unrolled: 1-line block ×4, first 2 shown]
	v_mov_b32_e32 v5, s7
	s_add_i32 s6, s6, 64
	s_mov_b32 s8, 0
	s_clause 0x3
	buffer_load_dword v77, v5, s[0:3], 0 offen offset:48
	buffer_load_dword v78, v5, s[0:3], 0 offen offset:52
	buffer_load_dword v79, v5, s[0:3], 0 offen offset:56
	buffer_load_dword v80, v5, s[0:3], 0 offen offset:60
	ds_read2_b64 v[1:4], v1 offset0:6 offset1:7
	s_waitcnt vmcnt(6) lgkmcnt(0)
	v_mul_f64 v[81:82], v[3:4], v[73:74]
	v_mul_f64 v[73:74], v[1:2], v[73:74]
	s_waitcnt vmcnt(4)
	v_fma_f64 v[1:2], v[1:2], v[75:76], -v[81:82]
	v_fma_f64 v[3:4], v[3:4], v[75:76], v[73:74]
	s_waitcnt vmcnt(2)
	v_add_f64 v[1:2], v[77:78], -v[1:2]
	s_waitcnt vmcnt(0)
	v_add_f64 v[3:4], v[79:80], -v[3:4]
	buffer_store_dword v2, v5, s[0:3], 0 offen offset:52
	buffer_store_dword v1, v5, s[0:3], 0 offen offset:48
	;; [unrolled: 1-line block ×4, first 2 shown]
	s_clause 0x3
	buffer_load_dword v74, off, s[0:3], 0 offset:276
	buffer_load_dword v76, off, s[0:3], 0 offset:284
	;; [unrolled: 1-line block ×4, first 2 shown]
	s_branch .LBB121_230
.LBB121_233:
	s_or_b32 exec_lo, exec_lo, s5
	s_mov_b32 s6, exec_lo
	s_waitcnt vmcnt(0) lgkmcnt(0)
	s_waitcnt_vscnt null, 0x0
	s_barrier
	buffer_gl0_inv
	v_cmpx_eq_u32_e32 18, v0
	s_cbranch_execz .LBB121_242
; %bb.234:
	v_mov_b32_e32 v4, s58
	s_movk_i32 s5, 0x130
	s_clause 0x3
	buffer_load_dword v1, v4, s[0:3], 0 offen
	buffer_load_dword v2, v4, s[0:3], 0 offen offset:4
	buffer_load_dword v3, v4, s[0:3], 0 offen offset:8
	buffer_load_dword v4, v4, s[0:3], 0 offen offset:12
	s_waitcnt vmcnt(0)
	ds_write2_b64 v255, v[1:2], v[3:4] offset1:1
.LBB121_235:                            ; =>This Inner Loop Header: Depth=1
	v_mov_b32_e32 v5, s5
	v_add_nc_u32_e32 v6, s5, v241
	s_addk_i32 s5, 0xe0
	s_clause 0xf
	buffer_load_dword v1, v5, s[0:3], 0 offen
	buffer_load_dword v2, v5, s[0:3], 0 offen offset:4
	buffer_load_dword v3, v5, s[0:3], 0 offen offset:8
	;; [unrolled: 1-line block ×15, first 2 shown]
	s_cmpk_lg_i32 s5, 0x3d0
	s_waitcnt vmcnt(12)
	ds_write2_b64 v6, v[1:2], v[3:4] offset1:1
	s_waitcnt vmcnt(8)
	ds_write2_b64 v6, v[73:74], v[75:76] offset0:2 offset1:3
	s_waitcnt vmcnt(4)
	ds_write2_b64 v6, v[77:78], v[79:80] offset0:4 offset1:5
	;; [unrolled: 2-line block ×3, first 2 shown]
	s_clause 0x3
	buffer_load_dword v2, v5, s[0:3], 0 offen offset:76
	buffer_load_dword v1, v5, s[0:3], 0 offen offset:72
	buffer_load_dword v4, v5, s[0:3], 0 offen offset:68
	buffer_load_dword v3, v5, s[0:3], 0 offen offset:64
	s_waitcnt vmcnt(0)
	ds_write2_b64 v6, v[3:4], v[1:2] offset0:8 offset1:9
	s_clause 0x3
	buffer_load_dword v2, v5, s[0:3], 0 offen offset:92
	buffer_load_dword v1, v5, s[0:3], 0 offen offset:88
	buffer_load_dword v4, v5, s[0:3], 0 offen offset:84
	buffer_load_dword v3, v5, s[0:3], 0 offen offset:80
	s_waitcnt vmcnt(0)
	ds_write2_b64 v6, v[3:4], v[1:2] offset0:10 offset1:11
	;; [unrolled: 7-line block ×10, first 2 shown]
	s_cbranch_scc1 .LBB121_235
; %bb.236:
	ds_read2_b64 v[73:76], v255 offset1:1
	s_waitcnt lgkmcnt(0)
	v_cmp_neq_f64_e32 vcc_lo, 0, v[73:74]
	v_cmp_neq_f64_e64 s5, 0, v[75:76]
	s_or_b32 s5, vcc_lo, s5
	s_and_b32 exec_lo, exec_lo, s5
	s_cbranch_execz .LBB121_242
; %bb.237:
	v_cmp_ngt_f64_e64 s5, |v[73:74]|, |v[75:76]|
                                        ; implicit-def: $vgpr1_vgpr2
	s_and_saveexec_b32 s7, s5
	s_xor_b32 s5, exec_lo, s7
                                        ; implicit-def: $vgpr3_vgpr4
	s_cbranch_execz .LBB121_239
; %bb.238:
	v_div_scale_f64 v[1:2], null, v[75:76], v[75:76], v[73:74]
	v_div_scale_f64 v[79:80], vcc_lo, v[73:74], v[75:76], v[73:74]
	v_rcp_f64_e32 v[3:4], v[1:2]
	v_fma_f64 v[77:78], -v[1:2], v[3:4], 1.0
	v_fma_f64 v[3:4], v[3:4], v[77:78], v[3:4]
	v_fma_f64 v[77:78], -v[1:2], v[3:4], 1.0
	v_fma_f64 v[3:4], v[3:4], v[77:78], v[3:4]
	v_mul_f64 v[77:78], v[79:80], v[3:4]
	v_fma_f64 v[1:2], -v[1:2], v[77:78], v[79:80]
	v_div_fmas_f64 v[1:2], v[1:2], v[3:4], v[77:78]
	v_div_fixup_f64 v[1:2], v[1:2], v[75:76], v[73:74]
	v_fma_f64 v[3:4], v[73:74], v[1:2], v[75:76]
	v_div_scale_f64 v[73:74], null, v[3:4], v[3:4], 1.0
	v_rcp_f64_e32 v[75:76], v[73:74]
	v_fma_f64 v[77:78], -v[73:74], v[75:76], 1.0
	v_fma_f64 v[75:76], v[75:76], v[77:78], v[75:76]
	v_fma_f64 v[77:78], -v[73:74], v[75:76], 1.0
	v_fma_f64 v[75:76], v[75:76], v[77:78], v[75:76]
	v_div_scale_f64 v[77:78], vcc_lo, 1.0, v[3:4], 1.0
	v_mul_f64 v[79:80], v[77:78], v[75:76]
	v_fma_f64 v[73:74], -v[73:74], v[79:80], v[77:78]
	v_div_fmas_f64 v[73:74], v[73:74], v[75:76], v[79:80]
	v_div_fixup_f64 v[3:4], v[73:74], v[3:4], 1.0
                                        ; implicit-def: $vgpr73_vgpr74
	v_mul_f64 v[1:2], v[1:2], v[3:4]
	v_xor_b32_e32 v4, 0x80000000, v4
.LBB121_239:
	s_andn2_saveexec_b32 s5, s5
	s_cbranch_execz .LBB121_241
; %bb.240:
	v_div_scale_f64 v[1:2], null, v[73:74], v[73:74], v[75:76]
	v_div_scale_f64 v[79:80], vcc_lo, v[75:76], v[73:74], v[75:76]
	v_rcp_f64_e32 v[3:4], v[1:2]
	v_fma_f64 v[77:78], -v[1:2], v[3:4], 1.0
	v_fma_f64 v[3:4], v[3:4], v[77:78], v[3:4]
	v_fma_f64 v[77:78], -v[1:2], v[3:4], 1.0
	v_fma_f64 v[3:4], v[3:4], v[77:78], v[3:4]
	v_mul_f64 v[77:78], v[79:80], v[3:4]
	v_fma_f64 v[1:2], -v[1:2], v[77:78], v[79:80]
	v_div_fmas_f64 v[1:2], v[1:2], v[3:4], v[77:78]
	v_div_fixup_f64 v[3:4], v[1:2], v[73:74], v[75:76]
	v_fma_f64 v[1:2], v[75:76], v[3:4], v[73:74]
	v_div_scale_f64 v[73:74], null, v[1:2], v[1:2], 1.0
	v_rcp_f64_e32 v[75:76], v[73:74]
	v_fma_f64 v[77:78], -v[73:74], v[75:76], 1.0
	v_fma_f64 v[75:76], v[75:76], v[77:78], v[75:76]
	v_fma_f64 v[77:78], -v[73:74], v[75:76], 1.0
	v_fma_f64 v[75:76], v[75:76], v[77:78], v[75:76]
	v_div_scale_f64 v[77:78], vcc_lo, 1.0, v[1:2], 1.0
	v_mul_f64 v[79:80], v[77:78], v[75:76]
	v_fma_f64 v[73:74], -v[73:74], v[79:80], v[77:78]
	v_div_fmas_f64 v[73:74], v[73:74], v[75:76], v[79:80]
	v_div_fixup_f64 v[1:2], v[73:74], v[1:2], 1.0
	v_mul_f64 v[3:4], v[3:4], -v[1:2]
.LBB121_241:
	s_or_b32 exec_lo, exec_lo, s5
	ds_write2_b64 v255, v[1:2], v[3:4] offset1:1
.LBB121_242:
	s_or_b32 exec_lo, exec_lo, s6
	s_waitcnt lgkmcnt(0)
	s_barrier
	buffer_gl0_inv
	ds_read2_b64 v[73:76], v255 offset1:1
	s_mov_b32 s5, exec_lo
	v_cmpx_lt_u32_e32 18, v0
	s_cbranch_execz .LBB121_245
; %bb.243:
	s_clause 0x3
	buffer_load_dword v1, off, s[0:3], 0 offset:296
	buffer_load_dword v2, off, s[0:3], 0 offset:300
	;; [unrolled: 1-line block ×4, first 2 shown]
	s_movk_i32 s6, 0x130
	s_waitcnt vmcnt(2) lgkmcnt(0)
	v_mul_f64 v[77:78], v[75:76], v[1:2]
	v_mul_f64 v[1:2], v[73:74], v[1:2]
	s_waitcnt vmcnt(0)
	v_fma_f64 v[77:78], v[73:74], v[3:4], -v[77:78]
	v_fma_f64 v[1:2], v[75:76], v[3:4], v[1:2]
	buffer_store_dword v77, off, s[0:3], 0 offset:288
	buffer_store_dword v78, off, s[0:3], 0 offset:292
	;; [unrolled: 1-line block ×4, first 2 shown]
.LBB121_244:                            ; =>This Inner Loop Header: Depth=1
	s_clause 0x3
	buffer_load_dword v81, off, s[0:3], 0 offset:296
	buffer_load_dword v82, off, s[0:3], 0 offset:300
	;; [unrolled: 1-line block ×4, first 2 shown]
	v_mov_b32_e32 v5, s6
	v_add_nc_u32_e32 v6, s6, v241
	s_addk_i32 s6, 0x70
	s_clause 0x3
	buffer_load_dword v85, v5, s[0:3], 0 offen
	buffer_load_dword v86, v5, s[0:3], 0 offen offset:4
	buffer_load_dword v87, v5, s[0:3], 0 offen offset:8
	;; [unrolled: 1-line block ×3, first 2 shown]
	ds_read2_b64 v[1:4], v6 offset1:1
	s_clause 0x3
	buffer_load_dword v89, v5, s[0:3], 0 offen offset:16
	buffer_load_dword v90, v5, s[0:3], 0 offen offset:20
	;; [unrolled: 1-line block ×4, first 2 shown]
	ds_read2_b64 v[77:80], v6 offset0:2 offset1:3
	s_cmpk_lg_i32 s6, 0x3d0
	s_waitcnt vmcnt(10) lgkmcnt(1)
	v_mul_f64 v[93:94], v[3:4], v[81:82]
	v_mul_f64 v[81:82], v[1:2], v[81:82]
	s_waitcnt vmcnt(8)
	v_fma_f64 v[1:2], v[1:2], v[83:84], -v[93:94]
	v_fma_f64 v[3:4], v[3:4], v[83:84], v[81:82]
	s_waitcnt vmcnt(6)
	v_add_f64 v[1:2], v[85:86], -v[1:2]
	s_waitcnt vmcnt(4)
	v_add_f64 v[3:4], v[87:88], -v[3:4]
	buffer_store_dword v2, v5, s[0:3], 0 offen offset:4
	buffer_store_dword v1, v5, s[0:3], 0 offen
	buffer_store_dword v4, v5, s[0:3], 0 offen offset:12
	buffer_store_dword v3, v5, s[0:3], 0 offen offset:8
	s_clause 0x7
	buffer_load_dword v2, off, s[0:3], 0 offset:300
	buffer_load_dword v1, off, s[0:3], 0 offset:296
	;; [unrolled: 1-line block ×4, first 2 shown]
	buffer_load_dword v81, v5, s[0:3], 0 offen offset:32
	buffer_load_dword v82, v5, s[0:3], 0 offen offset:36
	;; [unrolled: 1-line block ×4, first 2 shown]
	s_waitcnt vmcnt(6) lgkmcnt(0)
	v_mul_f64 v[85:86], v[79:80], v[1:2]
	v_mul_f64 v[1:2], v[77:78], v[1:2]
	s_waitcnt vmcnt(4)
	v_fma_f64 v[77:78], v[77:78], v[3:4], -v[85:86]
	v_fma_f64 v[1:2], v[79:80], v[3:4], v[1:2]
	v_add_f64 v[3:4], v[89:90], -v[77:78]
	v_add_f64 v[1:2], v[91:92], -v[1:2]
	buffer_store_dword v4, v5, s[0:3], 0 offen offset:20
	buffer_store_dword v3, v5, s[0:3], 0 offen offset:16
	;; [unrolled: 1-line block ×4, first 2 shown]
	s_clause 0x3
	buffer_load_dword v85, off, s[0:3], 0 offset:296
	buffer_load_dword v86, off, s[0:3], 0 offset:300
	;; [unrolled: 1-line block ×4, first 2 shown]
	ds_read2_b64 v[1:4], v6 offset0:4 offset1:5
	ds_read2_b64 v[77:80], v6 offset0:6 offset1:7
	s_waitcnt vmcnt(2) lgkmcnt(1)
	v_mul_f64 v[89:90], v[3:4], v[85:86]
	v_mul_f64 v[85:86], v[1:2], v[85:86]
	s_waitcnt vmcnt(0)
	v_fma_f64 v[1:2], v[1:2], v[87:88], -v[89:90]
	v_fma_f64 v[3:4], v[3:4], v[87:88], v[85:86]
	v_add_f64 v[1:2], v[81:82], -v[1:2]
	v_add_f64 v[3:4], v[83:84], -v[3:4]
	buffer_store_dword v2, v5, s[0:3], 0 offen offset:36
	buffer_store_dword v1, v5, s[0:3], 0 offen offset:32
	;; [unrolled: 1-line block ×4, first 2 shown]
	s_clause 0x7
	buffer_load_dword v1, off, s[0:3], 0 offset:296
	buffer_load_dword v2, off, s[0:3], 0 offset:300
	;; [unrolled: 1-line block ×4, first 2 shown]
	buffer_load_dword v81, v5, s[0:3], 0 offen offset:48
	buffer_load_dword v82, v5, s[0:3], 0 offen offset:52
	;; [unrolled: 1-line block ×4, first 2 shown]
	s_waitcnt vmcnt(6) lgkmcnt(0)
	v_mul_f64 v[85:86], v[79:80], v[1:2]
	v_mul_f64 v[1:2], v[77:78], v[1:2]
	s_waitcnt vmcnt(4)
	v_fma_f64 v[77:78], v[77:78], v[3:4], -v[85:86]
	v_fma_f64 v[1:2], v[79:80], v[3:4], v[1:2]
	s_waitcnt vmcnt(2)
	v_add_f64 v[3:4], v[81:82], -v[77:78]
	s_waitcnt vmcnt(0)
	v_add_f64 v[1:2], v[83:84], -v[1:2]
	buffer_store_dword v4, v5, s[0:3], 0 offen offset:52
	buffer_store_dword v3, v5, s[0:3], 0 offen offset:48
	buffer_store_dword v2, v5, s[0:3], 0 offen offset:60
	buffer_store_dword v1, v5, s[0:3], 0 offen offset:56
	s_clause 0x7
	buffer_load_dword v81, off, s[0:3], 0 offset:296
	buffer_load_dword v82, off, s[0:3], 0 offset:300
	;; [unrolled: 1-line block ×4, first 2 shown]
	buffer_load_dword v85, v5, s[0:3], 0 offen offset:64
	buffer_load_dword v86, v5, s[0:3], 0 offen offset:68
	buffer_load_dword v87, v5, s[0:3], 0 offen offset:72
	buffer_load_dword v88, v5, s[0:3], 0 offen offset:76
	ds_read2_b64 v[1:4], v6 offset0:8 offset1:9
	ds_read2_b64 v[77:80], v6 offset0:10 offset1:11
	s_waitcnt vmcnt(6) lgkmcnt(1)
	v_mul_f64 v[89:90], v[3:4], v[81:82]
	v_mul_f64 v[81:82], v[1:2], v[81:82]
	s_waitcnt vmcnt(4)
	v_fma_f64 v[1:2], v[1:2], v[83:84], -v[89:90]
	v_fma_f64 v[3:4], v[3:4], v[83:84], v[81:82]
	s_waitcnt vmcnt(2)
	v_add_f64 v[1:2], v[85:86], -v[1:2]
	s_waitcnt vmcnt(0)
	v_add_f64 v[3:4], v[87:88], -v[3:4]
	buffer_store_dword v2, v5, s[0:3], 0 offen offset:68
	buffer_store_dword v1, v5, s[0:3], 0 offen offset:64
	buffer_store_dword v4, v5, s[0:3], 0 offen offset:76
	buffer_store_dword v3, v5, s[0:3], 0 offen offset:72
	s_clause 0x7
	buffer_load_dword v1, off, s[0:3], 0 offset:296
	buffer_load_dword v2, off, s[0:3], 0 offset:300
	;; [unrolled: 1-line block ×4, first 2 shown]
	buffer_load_dword v81, v5, s[0:3], 0 offen offset:80
	buffer_load_dword v82, v5, s[0:3], 0 offen offset:84
	;; [unrolled: 1-line block ×4, first 2 shown]
	s_waitcnt vmcnt(6) lgkmcnt(0)
	v_mul_f64 v[85:86], v[79:80], v[1:2]
	v_mul_f64 v[1:2], v[77:78], v[1:2]
	s_waitcnt vmcnt(4)
	v_fma_f64 v[77:78], v[77:78], v[3:4], -v[85:86]
	v_fma_f64 v[1:2], v[79:80], v[3:4], v[1:2]
	s_waitcnt vmcnt(2)
	v_add_f64 v[3:4], v[81:82], -v[77:78]
	s_waitcnt vmcnt(0)
	v_add_f64 v[1:2], v[83:84], -v[1:2]
	buffer_store_dword v4, v5, s[0:3], 0 offen offset:84
	buffer_store_dword v3, v5, s[0:3], 0 offen offset:80
	;; [unrolled: 1-line block ×4, first 2 shown]
	s_clause 0x7
	buffer_load_dword v77, off, s[0:3], 0 offset:296
	buffer_load_dword v78, off, s[0:3], 0 offset:300
	;; [unrolled: 1-line block ×4, first 2 shown]
	buffer_load_dword v81, v5, s[0:3], 0 offen offset:96
	buffer_load_dword v82, v5, s[0:3], 0 offen offset:100
	;; [unrolled: 1-line block ×4, first 2 shown]
	ds_read2_b64 v[1:4], v6 offset0:12 offset1:13
	s_waitcnt vmcnt(6) lgkmcnt(0)
	v_mul_f64 v[85:86], v[3:4], v[77:78]
	v_mul_f64 v[77:78], v[1:2], v[77:78]
	s_waitcnt vmcnt(4)
	v_fma_f64 v[1:2], v[1:2], v[79:80], -v[85:86]
	v_fma_f64 v[3:4], v[3:4], v[79:80], v[77:78]
	s_waitcnt vmcnt(2)
	v_add_f64 v[1:2], v[81:82], -v[1:2]
	s_waitcnt vmcnt(0)
	v_add_f64 v[3:4], v[83:84], -v[3:4]
	buffer_store_dword v2, v5, s[0:3], 0 offen offset:100
	buffer_store_dword v1, v5, s[0:3], 0 offen offset:96
	;; [unrolled: 1-line block ×4, first 2 shown]
	s_cbranch_scc1 .LBB121_244
.LBB121_245:
	s_or_b32 exec_lo, exec_lo, s5
	s_mov_b32 s6, exec_lo
	s_waitcnt lgkmcnt(0)
	s_waitcnt_vscnt null, 0x0
	s_barrier
	buffer_gl0_inv
	v_cmpx_eq_u32_e32 19, v0
	s_cbranch_execz .LBB121_256
; %bb.246:
	v_mov_b32_e32 v4, s57
	s_movk_i32 s5, 0x140
	s_clause 0x3
	buffer_load_dword v1, v4, s[0:3], 0 offen
	buffer_load_dword v2, v4, s[0:3], 0 offen offset:4
	buffer_load_dword v3, v4, s[0:3], 0 offen offset:8
	;; [unrolled: 1-line block ×3, first 2 shown]
	s_waitcnt vmcnt(0)
	ds_write2_b64 v255, v[1:2], v[3:4] offset1:1
	s_branch .LBB121_248
.LBB121_247:                            ;   in Loop: Header=BB121_248 Depth=1
	s_andn2_b32 vcc_lo, exec_lo, s8
	s_cbranch_vccz .LBB121_250
.LBB121_248:                            ; =>This Inner Loop Header: Depth=1
	v_mov_b32_e32 v1, s5
	s_mov_b32 s7, s5
	s_cmpk_eq_i32 s5, 0x3c0
	s_mov_b32 s8, -1
	s_clause 0x3
	buffer_load_dword v2, v1, s[0:3], 0 offen
	buffer_load_dword v3, v1, s[0:3], 0 offen offset:4
	buffer_load_dword v77, v1, s[0:3], 0 offen offset:8
	;; [unrolled: 1-line block ×3, first 2 shown]
	v_add_nc_u32_e32 v1, s5, v241
	s_waitcnt vmcnt(0)
	ds_write2_b64 v1, v[2:3], v[77:78] offset1:1
	s_cbranch_scc1 .LBB121_247
; %bb.249:                              ;   in Loop: Header=BB121_248 Depth=1
	v_mov_b32_e32 v4, s7
	s_addk_i32 s5, 0x80
	s_mov_b32 s8, 0
	s_clause 0x1b
	buffer_load_dword v2, v4, s[0:3], 0 offen offset:16
	buffer_load_dword v3, v4, s[0:3], 0 offen offset:20
	;; [unrolled: 1-line block ×28, first 2 shown]
	s_waitcnt vmcnt(24)
	ds_write2_b64 v1, v[2:3], v[77:78] offset0:2 offset1:3
	s_waitcnt vmcnt(20)
	ds_write2_b64 v1, v[79:80], v[81:82] offset0:4 offset1:5
	;; [unrolled: 2-line block ×5, first 2 shown]
	ds_write2_b64 v1, v[95:96], v[93:94] offset0:12 offset1:13
	s_waitcnt vmcnt(0)
	ds_write2_b64 v1, v[101:102], v[99:100] offset0:14 offset1:15
	s_branch .LBB121_247
.LBB121_250:
	ds_read2_b64 v[77:80], v255 offset1:1
	s_waitcnt lgkmcnt(0)
	v_cmp_neq_f64_e32 vcc_lo, 0, v[77:78]
	v_cmp_neq_f64_e64 s5, 0, v[79:80]
	s_or_b32 s5, vcc_lo, s5
	s_and_b32 exec_lo, exec_lo, s5
	s_cbranch_execz .LBB121_256
; %bb.251:
	v_cmp_ngt_f64_e64 s5, |v[77:78]|, |v[79:80]|
                                        ; implicit-def: $vgpr1_vgpr2
	s_and_saveexec_b32 s7, s5
	s_xor_b32 s5, exec_lo, s7
                                        ; implicit-def: $vgpr3_vgpr4
	s_cbranch_execz .LBB121_253
; %bb.252:
	v_div_scale_f64 v[1:2], null, v[79:80], v[79:80], v[77:78]
	v_div_scale_f64 v[83:84], vcc_lo, v[77:78], v[79:80], v[77:78]
	v_rcp_f64_e32 v[3:4], v[1:2]
	v_fma_f64 v[81:82], -v[1:2], v[3:4], 1.0
	v_fma_f64 v[3:4], v[3:4], v[81:82], v[3:4]
	v_fma_f64 v[81:82], -v[1:2], v[3:4], 1.0
	v_fma_f64 v[3:4], v[3:4], v[81:82], v[3:4]
	v_mul_f64 v[81:82], v[83:84], v[3:4]
	v_fma_f64 v[1:2], -v[1:2], v[81:82], v[83:84]
	v_div_fmas_f64 v[1:2], v[1:2], v[3:4], v[81:82]
	v_div_fixup_f64 v[1:2], v[1:2], v[79:80], v[77:78]
	v_fma_f64 v[3:4], v[77:78], v[1:2], v[79:80]
	v_div_scale_f64 v[77:78], null, v[3:4], v[3:4], 1.0
	v_rcp_f64_e32 v[79:80], v[77:78]
	v_fma_f64 v[81:82], -v[77:78], v[79:80], 1.0
	v_fma_f64 v[79:80], v[79:80], v[81:82], v[79:80]
	v_fma_f64 v[81:82], -v[77:78], v[79:80], 1.0
	v_fma_f64 v[79:80], v[79:80], v[81:82], v[79:80]
	v_div_scale_f64 v[81:82], vcc_lo, 1.0, v[3:4], 1.0
	v_mul_f64 v[83:84], v[81:82], v[79:80]
	v_fma_f64 v[77:78], -v[77:78], v[83:84], v[81:82]
	v_div_fmas_f64 v[77:78], v[77:78], v[79:80], v[83:84]
	v_div_fixup_f64 v[3:4], v[77:78], v[3:4], 1.0
                                        ; implicit-def: $vgpr77_vgpr78
	v_mul_f64 v[1:2], v[1:2], v[3:4]
	v_xor_b32_e32 v4, 0x80000000, v4
.LBB121_253:
	s_andn2_saveexec_b32 s5, s5
	s_cbranch_execz .LBB121_255
; %bb.254:
	v_div_scale_f64 v[1:2], null, v[77:78], v[77:78], v[79:80]
	v_div_scale_f64 v[83:84], vcc_lo, v[79:80], v[77:78], v[79:80]
	v_rcp_f64_e32 v[3:4], v[1:2]
	v_fma_f64 v[81:82], -v[1:2], v[3:4], 1.0
	v_fma_f64 v[3:4], v[3:4], v[81:82], v[3:4]
	v_fma_f64 v[81:82], -v[1:2], v[3:4], 1.0
	v_fma_f64 v[3:4], v[3:4], v[81:82], v[3:4]
	v_mul_f64 v[81:82], v[83:84], v[3:4]
	v_fma_f64 v[1:2], -v[1:2], v[81:82], v[83:84]
	v_div_fmas_f64 v[1:2], v[1:2], v[3:4], v[81:82]
	v_div_fixup_f64 v[3:4], v[1:2], v[77:78], v[79:80]
	v_fma_f64 v[1:2], v[79:80], v[3:4], v[77:78]
	v_div_scale_f64 v[77:78], null, v[1:2], v[1:2], 1.0
	v_rcp_f64_e32 v[79:80], v[77:78]
	v_fma_f64 v[81:82], -v[77:78], v[79:80], 1.0
	v_fma_f64 v[79:80], v[79:80], v[81:82], v[79:80]
	v_fma_f64 v[81:82], -v[77:78], v[79:80], 1.0
	v_fma_f64 v[79:80], v[79:80], v[81:82], v[79:80]
	v_div_scale_f64 v[81:82], vcc_lo, 1.0, v[1:2], 1.0
	v_mul_f64 v[83:84], v[81:82], v[79:80]
	v_fma_f64 v[77:78], -v[77:78], v[83:84], v[81:82]
	v_div_fmas_f64 v[77:78], v[77:78], v[79:80], v[83:84]
	v_div_fixup_f64 v[1:2], v[77:78], v[1:2], 1.0
	v_mul_f64 v[3:4], v[3:4], -v[1:2]
.LBB121_255:
	s_or_b32 exec_lo, exec_lo, s5
	ds_write2_b64 v255, v[1:2], v[3:4] offset1:1
.LBB121_256:
	s_or_b32 exec_lo, exec_lo, s6
	s_waitcnt lgkmcnt(0)
	s_barrier
	buffer_gl0_inv
	ds_read2_b64 v[77:80], v255 offset1:1
	s_mov_b32 s5, exec_lo
	v_cmpx_lt_u32_e32 19, v0
	s_cbranch_execz .LBB121_261
; %bb.257:
	s_clause 0x3
	buffer_load_dword v1, off, s[0:3], 0 offset:312
	buffer_load_dword v2, off, s[0:3], 0 offset:316
	;; [unrolled: 1-line block ×4, first 2 shown]
	s_movk_i32 s6, 0x140
	s_waitcnt vmcnt(2) lgkmcnt(0)
	v_mul_f64 v[81:82], v[79:80], v[1:2]
	v_mul_f64 v[1:2], v[77:78], v[1:2]
	s_waitcnt vmcnt(0)
	v_fma_f64 v[81:82], v[77:78], v[3:4], -v[81:82]
	v_fma_f64 v[83:84], v[79:80], v[3:4], v[1:2]
	buffer_store_dword v81, off, s[0:3], 0 offset:304
	buffer_store_dword v82, off, s[0:3], 0 offset:308
	buffer_store_dword v83, off, s[0:3], 0 offset:312
	buffer_store_dword v84, off, s[0:3], 0 offset:316
	s_branch .LBB121_259
.LBB121_258:                            ;   in Loop: Header=BB121_259 Depth=1
	s_andn2_b32 vcc_lo, exec_lo, s8
	s_cbranch_vccz .LBB121_261
.LBB121_259:                            ; =>This Inner Loop Header: Depth=1
	v_mov_b32_e32 v4, s6
	v_add_nc_u32_e32 v1, s6, v241
	s_mov_b32 s7, s6
	s_mov_b32 s8, -1
	s_cmpk_eq_i32 s6, 0x3c0
	s_clause 0x3
	buffer_load_dword v2, v4, s[0:3], 0 offen
	buffer_load_dword v3, v4, s[0:3], 0 offen offset:4
	buffer_load_dword v89, v4, s[0:3], 0 offen offset:8
	;; [unrolled: 1-line block ×3, first 2 shown]
	ds_read2_b64 v[85:88], v1 offset1:1
	s_waitcnt vmcnt(4) lgkmcnt(0)
	v_mul_f64 v[91:92], v[87:88], v[83:84]
	v_mul_f64 v[83:84], v[85:86], v[83:84]
	v_fma_f64 v[85:86], v[85:86], v[81:82], -v[91:92]
	v_fma_f64 v[81:82], v[87:88], v[81:82], v[83:84]
                                        ; implicit-def: $vgpr83_vgpr84
	s_waitcnt vmcnt(2)
	v_add_f64 v[2:3], v[2:3], -v[85:86]
	s_waitcnt vmcnt(0)
	v_add_f64 v[81:82], v[89:90], -v[81:82]
	buffer_store_dword v2, v4, s[0:3], 0 offen
	buffer_store_dword v3, v4, s[0:3], 0 offen offset:4
	buffer_store_dword v81, v4, s[0:3], 0 offen offset:8
	;; [unrolled: 1-line block ×3, first 2 shown]
                                        ; implicit-def: $vgpr81_vgpr82
	s_cbranch_scc1 .LBB121_258
; %bb.260:                              ;   in Loop: Header=BB121_259 Depth=1
	s_clause 0x3
	buffer_load_dword v2, off, s[0:3], 0 offset:312
	buffer_load_dword v3, off, s[0:3], 0 offset:316
	;; [unrolled: 1-line block ×4, first 2 shown]
	v_mov_b32_e32 v5, s7
	s_add_i32 s6, s6, 64
	s_mov_b32 s8, 0
	s_clause 0x3
	buffer_load_dword v91, v5, s[0:3], 0 offen offset:16
	buffer_load_dword v92, v5, s[0:3], 0 offen offset:20
	;; [unrolled: 1-line block ×4, first 2 shown]
	ds_read2_b64 v[81:84], v1 offset0:2 offset1:3
	ds_read2_b64 v[85:88], v1 offset0:4 offset1:5
	s_waitcnt vmcnt(6) lgkmcnt(1)
	v_mul_f64 v[95:96], v[83:84], v[2:3]
	v_mul_f64 v[2:3], v[81:82], v[2:3]
	s_waitcnt vmcnt(4)
	v_fma_f64 v[81:82], v[81:82], v[89:90], -v[95:96]
	v_fma_f64 v[2:3], v[83:84], v[89:90], v[2:3]
	s_waitcnt vmcnt(2)
	v_add_f64 v[81:82], v[91:92], -v[81:82]
	s_waitcnt vmcnt(0)
	v_add_f64 v[2:3], v[93:94], -v[2:3]
	buffer_store_dword v82, v5, s[0:3], 0 offen offset:20
	buffer_store_dword v81, v5, s[0:3], 0 offen offset:16
	;; [unrolled: 1-line block ×4, first 2 shown]
	s_clause 0x7
	buffer_load_dword v3, v5, s[0:3], 0 offen offset:36
	buffer_load_dword v81, v5, s[0:3], 0 offen offset:40
	buffer_load_dword v82, v5, s[0:3], 0 offen offset:44
	buffer_load_dword v84, off, s[0:3], 0 offset:316
	buffer_load_dword v83, off, s[0:3], 0 offset:312
	;; [unrolled: 1-line block ×4, first 2 shown]
	buffer_load_dword v2, v5, s[0:3], 0 offen offset:32
	s_waitcnt vmcnt(3) lgkmcnt(0)
	v_mul_f64 v[91:92], v[87:88], v[83:84]
	v_mul_f64 v[83:84], v[85:86], v[83:84]
	s_waitcnt vmcnt(1)
	v_fma_f64 v[85:86], v[85:86], v[89:90], -v[91:92]
	v_fma_f64 v[83:84], v[87:88], v[89:90], v[83:84]
	s_waitcnt vmcnt(0)
	v_add_f64 v[2:3], v[2:3], -v[85:86]
	v_add_f64 v[81:82], v[81:82], -v[83:84]
	buffer_store_dword v3, v5, s[0:3], 0 offen offset:36
	buffer_store_dword v2, v5, s[0:3], 0 offen offset:32
	;; [unrolled: 1-line block ×4, first 2 shown]
	s_clause 0x7
	buffer_load_dword v82, v5, s[0:3], 0 offen offset:52
	buffer_load_dword v83, v5, s[0:3], 0 offen offset:56
	;; [unrolled: 1-line block ×3, first 2 shown]
	buffer_load_dword v85, off, s[0:3], 0 offset:312
	buffer_load_dword v86, off, s[0:3], 0 offset:316
	buffer_load_dword v87, off, s[0:3], 0 offset:304
	buffer_load_dword v88, off, s[0:3], 0 offset:308
	buffer_load_dword v81, v5, s[0:3], 0 offen offset:48
	ds_read2_b64 v[1:4], v1 offset0:6 offset1:7
	s_waitcnt vmcnt(3) lgkmcnt(0)
	v_mul_f64 v[89:90], v[3:4], v[85:86]
	v_mul_f64 v[85:86], v[1:2], v[85:86]
	s_waitcnt vmcnt(1)
	v_fma_f64 v[1:2], v[1:2], v[87:88], -v[89:90]
	v_fma_f64 v[3:4], v[3:4], v[87:88], v[85:86]
	s_waitcnt vmcnt(0)
	v_add_f64 v[1:2], v[81:82], -v[1:2]
	v_add_f64 v[3:4], v[83:84], -v[3:4]
	buffer_store_dword v2, v5, s[0:3], 0 offen offset:52
	buffer_store_dword v1, v5, s[0:3], 0 offen offset:48
	;; [unrolled: 1-line block ×4, first 2 shown]
	s_clause 0x3
	buffer_load_dword v81, off, s[0:3], 0 offset:304
	buffer_load_dword v82, off, s[0:3], 0 offset:308
	;; [unrolled: 1-line block ×4, first 2 shown]
	s_branch .LBB121_258
.LBB121_261:
	s_or_b32 exec_lo, exec_lo, s5
	s_mov_b32 s6, exec_lo
	s_waitcnt vmcnt(0) lgkmcnt(0)
	s_waitcnt_vscnt null, 0x0
	s_barrier
	buffer_gl0_inv
	v_cmpx_eq_u32_e32 20, v0
	s_cbranch_execz .LBB121_270
; %bb.262:
	v_mov_b32_e32 v4, s56
	s_movk_i32 s5, 0x150
	s_clause 0x3
	buffer_load_dword v1, v4, s[0:3], 0 offen
	buffer_load_dword v2, v4, s[0:3], 0 offen offset:4
	buffer_load_dword v3, v4, s[0:3], 0 offen offset:8
	;; [unrolled: 1-line block ×3, first 2 shown]
	s_waitcnt vmcnt(0)
	ds_write2_b64 v255, v[1:2], v[3:4] offset1:1
.LBB121_263:                            ; =>This Inner Loop Header: Depth=1
	v_mov_b32_e32 v5, s5
	s_clause 0x27
	buffer_load_dword v1, v5, s[0:3], 0 offen
	buffer_load_dword v2, v5, s[0:3], 0 offen offset:4
	buffer_load_dword v3, v5, s[0:3], 0 offen offset:8
	;; [unrolled: 1-line block ×39, first 2 shown]
	v_add_nc_u32_e32 v5, s5, v241
	s_addk_i32 s5, 0xa0
	s_waitcnt vmcnt(36)
	ds_write2_b64 v5, v[1:2], v[3:4] offset1:1
	s_waitcnt vmcnt(32)
	ds_write2_b64 v5, v[81:82], v[83:84] offset0:2 offset1:3
	s_waitcnt vmcnt(28)
	ds_write2_b64 v5, v[85:86], v[87:88] offset0:4 offset1:5
	;; [unrolled: 2-line block ×4, first 2 shown]
	ds_write2_b64 v5, v[97:98], v[95:96] offset0:10 offset1:11
	s_waitcnt vmcnt(8)
	ds_write2_b64 v5, v[107:108], v[101:102] offset0:12 offset1:13
	ds_write2_b64 v5, v[105:106], v[103:104] offset0:14 offset1:15
	s_waitcnt vmcnt(4)
	ds_write2_b64 v5, v[109:110], v[111:112] offset0:16 offset1:17
	s_waitcnt vmcnt(0)
	ds_write2_b64 v5, v[113:114], v[115:116] offset0:18 offset1:19
	s_cmpk_lg_i32 s5, 0x3d0
	s_cbranch_scc1 .LBB121_263
; %bb.264:
	ds_read2_b64 v[81:84], v255 offset1:1
	s_waitcnt lgkmcnt(0)
	v_cmp_neq_f64_e32 vcc_lo, 0, v[81:82]
	v_cmp_neq_f64_e64 s5, 0, v[83:84]
	s_or_b32 s5, vcc_lo, s5
	s_and_b32 exec_lo, exec_lo, s5
	s_cbranch_execz .LBB121_270
; %bb.265:
	v_cmp_ngt_f64_e64 s5, |v[81:82]|, |v[83:84]|
                                        ; implicit-def: $vgpr1_vgpr2
	s_and_saveexec_b32 s7, s5
	s_xor_b32 s5, exec_lo, s7
                                        ; implicit-def: $vgpr3_vgpr4
	s_cbranch_execz .LBB121_267
; %bb.266:
	v_div_scale_f64 v[1:2], null, v[83:84], v[83:84], v[81:82]
	v_div_scale_f64 v[87:88], vcc_lo, v[81:82], v[83:84], v[81:82]
	v_rcp_f64_e32 v[3:4], v[1:2]
	v_fma_f64 v[85:86], -v[1:2], v[3:4], 1.0
	v_fma_f64 v[3:4], v[3:4], v[85:86], v[3:4]
	v_fma_f64 v[85:86], -v[1:2], v[3:4], 1.0
	v_fma_f64 v[3:4], v[3:4], v[85:86], v[3:4]
	v_mul_f64 v[85:86], v[87:88], v[3:4]
	v_fma_f64 v[1:2], -v[1:2], v[85:86], v[87:88]
	v_div_fmas_f64 v[1:2], v[1:2], v[3:4], v[85:86]
	v_div_fixup_f64 v[1:2], v[1:2], v[83:84], v[81:82]
	v_fma_f64 v[3:4], v[81:82], v[1:2], v[83:84]
	v_div_scale_f64 v[81:82], null, v[3:4], v[3:4], 1.0
	v_rcp_f64_e32 v[83:84], v[81:82]
	v_fma_f64 v[85:86], -v[81:82], v[83:84], 1.0
	v_fma_f64 v[83:84], v[83:84], v[85:86], v[83:84]
	v_fma_f64 v[85:86], -v[81:82], v[83:84], 1.0
	v_fma_f64 v[83:84], v[83:84], v[85:86], v[83:84]
	v_div_scale_f64 v[85:86], vcc_lo, 1.0, v[3:4], 1.0
	v_mul_f64 v[87:88], v[85:86], v[83:84]
	v_fma_f64 v[81:82], -v[81:82], v[87:88], v[85:86]
	v_div_fmas_f64 v[81:82], v[81:82], v[83:84], v[87:88]
	v_div_fixup_f64 v[3:4], v[81:82], v[3:4], 1.0
                                        ; implicit-def: $vgpr81_vgpr82
	v_mul_f64 v[1:2], v[1:2], v[3:4]
	v_xor_b32_e32 v4, 0x80000000, v4
.LBB121_267:
	s_andn2_saveexec_b32 s5, s5
	s_cbranch_execz .LBB121_269
; %bb.268:
	v_div_scale_f64 v[1:2], null, v[81:82], v[81:82], v[83:84]
	v_div_scale_f64 v[87:88], vcc_lo, v[83:84], v[81:82], v[83:84]
	v_rcp_f64_e32 v[3:4], v[1:2]
	v_fma_f64 v[85:86], -v[1:2], v[3:4], 1.0
	v_fma_f64 v[3:4], v[3:4], v[85:86], v[3:4]
	v_fma_f64 v[85:86], -v[1:2], v[3:4], 1.0
	v_fma_f64 v[3:4], v[3:4], v[85:86], v[3:4]
	v_mul_f64 v[85:86], v[87:88], v[3:4]
	v_fma_f64 v[1:2], -v[1:2], v[85:86], v[87:88]
	v_div_fmas_f64 v[1:2], v[1:2], v[3:4], v[85:86]
	v_div_fixup_f64 v[3:4], v[1:2], v[81:82], v[83:84]
	v_fma_f64 v[1:2], v[83:84], v[3:4], v[81:82]
	v_div_scale_f64 v[81:82], null, v[1:2], v[1:2], 1.0
	v_rcp_f64_e32 v[83:84], v[81:82]
	v_fma_f64 v[85:86], -v[81:82], v[83:84], 1.0
	v_fma_f64 v[83:84], v[83:84], v[85:86], v[83:84]
	v_fma_f64 v[85:86], -v[81:82], v[83:84], 1.0
	v_fma_f64 v[83:84], v[83:84], v[85:86], v[83:84]
	v_div_scale_f64 v[85:86], vcc_lo, 1.0, v[1:2], 1.0
	v_mul_f64 v[87:88], v[85:86], v[83:84]
	v_fma_f64 v[81:82], -v[81:82], v[87:88], v[85:86]
	v_div_fmas_f64 v[81:82], v[81:82], v[83:84], v[87:88]
	v_div_fixup_f64 v[1:2], v[81:82], v[1:2], 1.0
	v_mul_f64 v[3:4], v[3:4], -v[1:2]
.LBB121_269:
	s_or_b32 exec_lo, exec_lo, s5
	ds_write2_b64 v255, v[1:2], v[3:4] offset1:1
.LBB121_270:
	s_or_b32 exec_lo, exec_lo, s6
	s_waitcnt lgkmcnt(0)
	s_barrier
	buffer_gl0_inv
	ds_read2_b64 v[81:84], v255 offset1:1
	s_mov_b32 s5, exec_lo
	v_cmpx_lt_u32_e32 20, v0
	s_cbranch_execz .LBB121_273
; %bb.271:
	s_clause 0x3
	buffer_load_dword v1, off, s[0:3], 0 offset:328
	buffer_load_dword v2, off, s[0:3], 0 offset:332
	;; [unrolled: 1-line block ×4, first 2 shown]
	s_movk_i32 s6, 0x150
	s_waitcnt vmcnt(2) lgkmcnt(0)
	v_mul_f64 v[85:86], v[83:84], v[1:2]
	v_mul_f64 v[1:2], v[81:82], v[1:2]
	s_waitcnt vmcnt(0)
	v_fma_f64 v[85:86], v[81:82], v[3:4], -v[85:86]
	v_fma_f64 v[1:2], v[83:84], v[3:4], v[1:2]
	buffer_store_dword v85, off, s[0:3], 0 offset:320
	buffer_store_dword v86, off, s[0:3], 0 offset:324
	;; [unrolled: 1-line block ×4, first 2 shown]
.LBB121_272:                            ; =>This Inner Loop Header: Depth=1
	s_clause 0x3
	buffer_load_dword v89, off, s[0:3], 0 offset:328
	buffer_load_dword v90, off, s[0:3], 0 offset:332
	;; [unrolled: 1-line block ×4, first 2 shown]
	v_mov_b32_e32 v5, s6
	v_add_nc_u32_e32 v6, s6, v241
	s_addk_i32 s6, 0x50
	s_clause 0x3
	buffer_load_dword v93, v5, s[0:3], 0 offen
	buffer_load_dword v94, v5, s[0:3], 0 offen offset:4
	buffer_load_dword v95, v5, s[0:3], 0 offen offset:8
	;; [unrolled: 1-line block ×3, first 2 shown]
	ds_read2_b64 v[1:4], v6 offset1:1
	ds_read2_b64 v[85:88], v6 offset0:2 offset1:3
	s_cmpk_lg_i32 s6, 0x3d0
	s_waitcnt vmcnt(6) lgkmcnt(1)
	v_mul_f64 v[97:98], v[3:4], v[89:90]
	v_mul_f64 v[89:90], v[1:2], v[89:90]
	s_waitcnt vmcnt(4)
	v_fma_f64 v[1:2], v[1:2], v[91:92], -v[97:98]
	v_fma_f64 v[3:4], v[3:4], v[91:92], v[89:90]
	s_clause 0x3
	buffer_load_dword v89, v5, s[0:3], 0 offen offset:16
	buffer_load_dword v90, v5, s[0:3], 0 offen offset:20
	;; [unrolled: 1-line block ×4, first 2 shown]
	s_waitcnt vmcnt(6)
	v_add_f64 v[1:2], v[93:94], -v[1:2]
	s_waitcnt vmcnt(4)
	v_add_f64 v[3:4], v[95:96], -v[3:4]
	buffer_store_dword v2, v5, s[0:3], 0 offen offset:4
	buffer_store_dword v1, v5, s[0:3], 0 offen
	buffer_store_dword v4, v5, s[0:3], 0 offen offset:12
	buffer_store_dword v3, v5, s[0:3], 0 offen offset:8
	s_clause 0x3
	buffer_load_dword v2, off, s[0:3], 0 offset:332
	buffer_load_dword v1, off, s[0:3], 0 offset:328
	;; [unrolled: 1-line block ×4, first 2 shown]
	s_waitcnt vmcnt(2) lgkmcnt(0)
	v_mul_f64 v[93:94], v[87:88], v[1:2]
	v_mul_f64 v[1:2], v[85:86], v[1:2]
	s_waitcnt vmcnt(0)
	v_fma_f64 v[85:86], v[85:86], v[3:4], -v[93:94]
	v_fma_f64 v[1:2], v[87:88], v[3:4], v[1:2]
	v_add_f64 v[3:4], v[89:90], -v[85:86]
	v_add_f64 v[1:2], v[91:92], -v[1:2]
	s_clause 0x3
	buffer_load_dword v89, v5, s[0:3], 0 offen offset:32
	buffer_load_dword v90, v5, s[0:3], 0 offen offset:36
	;; [unrolled: 1-line block ×4, first 2 shown]
	buffer_store_dword v4, v5, s[0:3], 0 offen offset:20
	buffer_store_dword v3, v5, s[0:3], 0 offen offset:16
	;; [unrolled: 1-line block ×4, first 2 shown]
	s_clause 0x3
	buffer_load_dword v93, off, s[0:3], 0 offset:328
	buffer_load_dword v94, off, s[0:3], 0 offset:332
	buffer_load_dword v95, off, s[0:3], 0 offset:320
	buffer_load_dword v96, off, s[0:3], 0 offset:324
	ds_read2_b64 v[1:4], v6 offset0:4 offset1:5
	ds_read2_b64 v[85:88], v6 offset0:6 offset1:7
	s_waitcnt vmcnt(2) lgkmcnt(1)
	v_mul_f64 v[97:98], v[3:4], v[93:94]
	v_mul_f64 v[93:94], v[1:2], v[93:94]
	s_waitcnt vmcnt(0)
	v_fma_f64 v[1:2], v[1:2], v[95:96], -v[97:98]
	v_fma_f64 v[3:4], v[3:4], v[95:96], v[93:94]
	v_add_f64 v[1:2], v[89:90], -v[1:2]
	v_add_f64 v[3:4], v[91:92], -v[3:4]
	buffer_store_dword v2, v5, s[0:3], 0 offen offset:36
	buffer_store_dword v1, v5, s[0:3], 0 offen offset:32
	;; [unrolled: 1-line block ×4, first 2 shown]
	s_clause 0x7
	buffer_load_dword v1, off, s[0:3], 0 offset:328
	buffer_load_dword v2, off, s[0:3], 0 offset:332
	;; [unrolled: 1-line block ×4, first 2 shown]
	buffer_load_dword v89, v5, s[0:3], 0 offen offset:48
	buffer_load_dword v90, v5, s[0:3], 0 offen offset:52
	;; [unrolled: 1-line block ×4, first 2 shown]
	s_waitcnt vmcnt(6) lgkmcnt(0)
	v_mul_f64 v[93:94], v[87:88], v[1:2]
	v_mul_f64 v[1:2], v[85:86], v[1:2]
	s_waitcnt vmcnt(4)
	v_fma_f64 v[85:86], v[85:86], v[3:4], -v[93:94]
	v_fma_f64 v[1:2], v[87:88], v[3:4], v[1:2]
	s_waitcnt vmcnt(2)
	v_add_f64 v[3:4], v[89:90], -v[85:86]
	s_waitcnt vmcnt(0)
	v_add_f64 v[1:2], v[91:92], -v[1:2]
	buffer_store_dword v4, v5, s[0:3], 0 offen offset:52
	buffer_store_dword v3, v5, s[0:3], 0 offen offset:48
	;; [unrolled: 1-line block ×4, first 2 shown]
	s_clause 0x7
	buffer_load_dword v85, off, s[0:3], 0 offset:328
	buffer_load_dword v86, off, s[0:3], 0 offset:332
	;; [unrolled: 1-line block ×4, first 2 shown]
	buffer_load_dword v89, v5, s[0:3], 0 offen offset:64
	buffer_load_dword v90, v5, s[0:3], 0 offen offset:68
	;; [unrolled: 1-line block ×4, first 2 shown]
	ds_read2_b64 v[1:4], v6 offset0:8 offset1:9
	s_waitcnt vmcnt(6) lgkmcnt(0)
	v_mul_f64 v[93:94], v[3:4], v[85:86]
	v_mul_f64 v[85:86], v[1:2], v[85:86]
	s_waitcnt vmcnt(4)
	v_fma_f64 v[1:2], v[1:2], v[87:88], -v[93:94]
	v_fma_f64 v[3:4], v[3:4], v[87:88], v[85:86]
	s_waitcnt vmcnt(2)
	v_add_f64 v[1:2], v[89:90], -v[1:2]
	s_waitcnt vmcnt(0)
	v_add_f64 v[3:4], v[91:92], -v[3:4]
	buffer_store_dword v2, v5, s[0:3], 0 offen offset:68
	buffer_store_dword v1, v5, s[0:3], 0 offen offset:64
	;; [unrolled: 1-line block ×4, first 2 shown]
	s_cbranch_scc1 .LBB121_272
.LBB121_273:
	s_or_b32 exec_lo, exec_lo, s5
	s_mov_b32 s6, exec_lo
	s_waitcnt lgkmcnt(0)
	s_waitcnt_vscnt null, 0x0
	s_barrier
	buffer_gl0_inv
	v_cmpx_eq_u32_e32 21, v0
	s_cbranch_execz .LBB121_282
; %bb.274:
	v_mov_b32_e32 v4, s55
	s_movk_i32 s5, 0x160
	s_clause 0x3
	buffer_load_dword v1, v4, s[0:3], 0 offen
	buffer_load_dword v2, v4, s[0:3], 0 offen offset:4
	buffer_load_dword v3, v4, s[0:3], 0 offen offset:8
	;; [unrolled: 1-line block ×3, first 2 shown]
	s_waitcnt vmcnt(0)
	ds_write2_b64 v255, v[1:2], v[3:4] offset1:1
.LBB121_275:                            ; =>This Inner Loop Header: Depth=1
	v_mov_b32_e32 v5, s5
	v_add_nc_u32_e32 v6, s5, v241
	s_addk_i32 s5, 0xd0
	s_clause 0xf
	buffer_load_dword v1, v5, s[0:3], 0 offen
	buffer_load_dword v2, v5, s[0:3], 0 offen offset:4
	buffer_load_dword v3, v5, s[0:3], 0 offen offset:8
	buffer_load_dword v4, v5, s[0:3], 0 offen offset:12
	buffer_load_dword v85, v5, s[0:3], 0 offen offset:16
	buffer_load_dword v86, v5, s[0:3], 0 offen offset:20
	buffer_load_dword v87, v5, s[0:3], 0 offen offset:24
	buffer_load_dword v88, v5, s[0:3], 0 offen offset:28
	buffer_load_dword v89, v5, s[0:3], 0 offen offset:32
	buffer_load_dword v90, v5, s[0:3], 0 offen offset:36
	buffer_load_dword v91, v5, s[0:3], 0 offen offset:40
	buffer_load_dword v92, v5, s[0:3], 0 offen offset:44
	buffer_load_dword v93, v5, s[0:3], 0 offen offset:48
	buffer_load_dword v94, v5, s[0:3], 0 offen offset:52
	buffer_load_dword v95, v5, s[0:3], 0 offen offset:56
	buffer_load_dword v96, v5, s[0:3], 0 offen offset:60
	s_cmpk_lg_i32 s5, 0x3d0
	s_waitcnt vmcnt(12)
	ds_write2_b64 v6, v[1:2], v[3:4] offset1:1
	s_waitcnt vmcnt(8)
	ds_write2_b64 v6, v[85:86], v[87:88] offset0:2 offset1:3
	s_waitcnt vmcnt(4)
	ds_write2_b64 v6, v[89:90], v[91:92] offset0:4 offset1:5
	;; [unrolled: 2-line block ×3, first 2 shown]
	s_clause 0x3
	buffer_load_dword v2, v5, s[0:3], 0 offen offset:76
	buffer_load_dword v1, v5, s[0:3], 0 offen offset:72
	buffer_load_dword v4, v5, s[0:3], 0 offen offset:68
	buffer_load_dword v3, v5, s[0:3], 0 offen offset:64
	s_waitcnt vmcnt(0)
	ds_write2_b64 v6, v[3:4], v[1:2] offset0:8 offset1:9
	s_clause 0x3
	buffer_load_dword v2, v5, s[0:3], 0 offen offset:92
	buffer_load_dword v1, v5, s[0:3], 0 offen offset:88
	buffer_load_dword v4, v5, s[0:3], 0 offen offset:84
	buffer_load_dword v3, v5, s[0:3], 0 offen offset:80
	s_waitcnt vmcnt(0)
	ds_write2_b64 v6, v[3:4], v[1:2] offset0:10 offset1:11
	;; [unrolled: 7-line block ×9, first 2 shown]
	s_cbranch_scc1 .LBB121_275
; %bb.276:
	ds_read2_b64 v[85:88], v255 offset1:1
	s_waitcnt lgkmcnt(0)
	v_cmp_neq_f64_e32 vcc_lo, 0, v[85:86]
	v_cmp_neq_f64_e64 s5, 0, v[87:88]
	s_or_b32 s5, vcc_lo, s5
	s_and_b32 exec_lo, exec_lo, s5
	s_cbranch_execz .LBB121_282
; %bb.277:
	v_cmp_ngt_f64_e64 s5, |v[85:86]|, |v[87:88]|
                                        ; implicit-def: $vgpr1_vgpr2
	s_and_saveexec_b32 s7, s5
	s_xor_b32 s5, exec_lo, s7
                                        ; implicit-def: $vgpr3_vgpr4
	s_cbranch_execz .LBB121_279
; %bb.278:
	v_div_scale_f64 v[1:2], null, v[87:88], v[87:88], v[85:86]
	v_div_scale_f64 v[91:92], vcc_lo, v[85:86], v[87:88], v[85:86]
	v_rcp_f64_e32 v[3:4], v[1:2]
	v_fma_f64 v[89:90], -v[1:2], v[3:4], 1.0
	v_fma_f64 v[3:4], v[3:4], v[89:90], v[3:4]
	v_fma_f64 v[89:90], -v[1:2], v[3:4], 1.0
	v_fma_f64 v[3:4], v[3:4], v[89:90], v[3:4]
	v_mul_f64 v[89:90], v[91:92], v[3:4]
	v_fma_f64 v[1:2], -v[1:2], v[89:90], v[91:92]
	v_div_fmas_f64 v[1:2], v[1:2], v[3:4], v[89:90]
	v_div_fixup_f64 v[1:2], v[1:2], v[87:88], v[85:86]
	v_fma_f64 v[3:4], v[85:86], v[1:2], v[87:88]
	v_div_scale_f64 v[85:86], null, v[3:4], v[3:4], 1.0
	v_rcp_f64_e32 v[87:88], v[85:86]
	v_fma_f64 v[89:90], -v[85:86], v[87:88], 1.0
	v_fma_f64 v[87:88], v[87:88], v[89:90], v[87:88]
	v_fma_f64 v[89:90], -v[85:86], v[87:88], 1.0
	v_fma_f64 v[87:88], v[87:88], v[89:90], v[87:88]
	v_div_scale_f64 v[89:90], vcc_lo, 1.0, v[3:4], 1.0
	v_mul_f64 v[91:92], v[89:90], v[87:88]
	v_fma_f64 v[85:86], -v[85:86], v[91:92], v[89:90]
	v_div_fmas_f64 v[85:86], v[85:86], v[87:88], v[91:92]
	v_div_fixup_f64 v[3:4], v[85:86], v[3:4], 1.0
                                        ; implicit-def: $vgpr85_vgpr86
	v_mul_f64 v[1:2], v[1:2], v[3:4]
	v_xor_b32_e32 v4, 0x80000000, v4
.LBB121_279:
	s_andn2_saveexec_b32 s5, s5
	s_cbranch_execz .LBB121_281
; %bb.280:
	v_div_scale_f64 v[1:2], null, v[85:86], v[85:86], v[87:88]
	v_div_scale_f64 v[91:92], vcc_lo, v[87:88], v[85:86], v[87:88]
	v_rcp_f64_e32 v[3:4], v[1:2]
	v_fma_f64 v[89:90], -v[1:2], v[3:4], 1.0
	v_fma_f64 v[3:4], v[3:4], v[89:90], v[3:4]
	v_fma_f64 v[89:90], -v[1:2], v[3:4], 1.0
	v_fma_f64 v[3:4], v[3:4], v[89:90], v[3:4]
	v_mul_f64 v[89:90], v[91:92], v[3:4]
	v_fma_f64 v[1:2], -v[1:2], v[89:90], v[91:92]
	v_div_fmas_f64 v[1:2], v[1:2], v[3:4], v[89:90]
	v_div_fixup_f64 v[3:4], v[1:2], v[85:86], v[87:88]
	v_fma_f64 v[1:2], v[87:88], v[3:4], v[85:86]
	v_div_scale_f64 v[85:86], null, v[1:2], v[1:2], 1.0
	v_rcp_f64_e32 v[87:88], v[85:86]
	v_fma_f64 v[89:90], -v[85:86], v[87:88], 1.0
	v_fma_f64 v[87:88], v[87:88], v[89:90], v[87:88]
	v_fma_f64 v[89:90], -v[85:86], v[87:88], 1.0
	v_fma_f64 v[87:88], v[87:88], v[89:90], v[87:88]
	v_div_scale_f64 v[89:90], vcc_lo, 1.0, v[1:2], 1.0
	v_mul_f64 v[91:92], v[89:90], v[87:88]
	v_fma_f64 v[85:86], -v[85:86], v[91:92], v[89:90]
	v_div_fmas_f64 v[85:86], v[85:86], v[87:88], v[91:92]
	v_div_fixup_f64 v[1:2], v[85:86], v[1:2], 1.0
	v_mul_f64 v[3:4], v[3:4], -v[1:2]
.LBB121_281:
	s_or_b32 exec_lo, exec_lo, s5
	ds_write2_b64 v255, v[1:2], v[3:4] offset1:1
.LBB121_282:
	s_or_b32 exec_lo, exec_lo, s6
	s_waitcnt lgkmcnt(0)
	s_barrier
	buffer_gl0_inv
	ds_read2_b64 v[85:88], v255 offset1:1
	s_mov_b32 s5, exec_lo
	v_cmpx_lt_u32_e32 21, v0
	s_cbranch_execz .LBB121_285
; %bb.283:
	s_clause 0x3
	buffer_load_dword v1, off, s[0:3], 0 offset:344
	buffer_load_dword v2, off, s[0:3], 0 offset:348
	buffer_load_dword v3, off, s[0:3], 0 offset:336
	buffer_load_dword v4, off, s[0:3], 0 offset:340
	s_movk_i32 s6, 0x160
	s_waitcnt vmcnt(2) lgkmcnt(0)
	v_mul_f64 v[89:90], v[87:88], v[1:2]
	v_mul_f64 v[1:2], v[85:86], v[1:2]
	s_waitcnt vmcnt(0)
	v_fma_f64 v[89:90], v[85:86], v[3:4], -v[89:90]
	v_fma_f64 v[1:2], v[87:88], v[3:4], v[1:2]
	buffer_store_dword v89, off, s[0:3], 0 offset:336
	buffer_store_dword v90, off, s[0:3], 0 offset:340
	;; [unrolled: 1-line block ×4, first 2 shown]
.LBB121_284:                            ; =>This Inner Loop Header: Depth=1
	s_clause 0x3
	buffer_load_dword v93, off, s[0:3], 0 offset:344
	buffer_load_dword v94, off, s[0:3], 0 offset:348
	;; [unrolled: 1-line block ×4, first 2 shown]
	v_mov_b32_e32 v5, s6
	v_add_nc_u32_e32 v6, s6, v241
	s_add_i32 s6, s6, 48
	s_clause 0x3
	buffer_load_dword v97, v5, s[0:3], 0 offen
	buffer_load_dword v98, v5, s[0:3], 0 offen offset:4
	buffer_load_dword v99, v5, s[0:3], 0 offen offset:8
	;; [unrolled: 1-line block ×3, first 2 shown]
	ds_read2_b64 v[1:4], v6 offset1:1
	ds_read2_b64 v[89:92], v6 offset0:2 offset1:3
	s_cmpk_lg_i32 s6, 0x3d0
	s_waitcnt vmcnt(6) lgkmcnt(1)
	v_mul_f64 v[101:102], v[3:4], v[93:94]
	v_mul_f64 v[93:94], v[1:2], v[93:94]
	s_waitcnt vmcnt(4)
	v_fma_f64 v[1:2], v[1:2], v[95:96], -v[101:102]
	v_fma_f64 v[3:4], v[3:4], v[95:96], v[93:94]
	s_clause 0x3
	buffer_load_dword v93, v5, s[0:3], 0 offen offset:16
	buffer_load_dword v94, v5, s[0:3], 0 offen offset:20
	;; [unrolled: 1-line block ×4, first 2 shown]
	s_waitcnt vmcnt(6)
	v_add_f64 v[1:2], v[97:98], -v[1:2]
	s_waitcnt vmcnt(4)
	v_add_f64 v[3:4], v[99:100], -v[3:4]
	buffer_store_dword v2, v5, s[0:3], 0 offen offset:4
	buffer_store_dword v1, v5, s[0:3], 0 offen
	buffer_store_dword v4, v5, s[0:3], 0 offen offset:12
	buffer_store_dword v3, v5, s[0:3], 0 offen offset:8
	s_clause 0x3
	buffer_load_dword v2, off, s[0:3], 0 offset:348
	buffer_load_dword v1, off, s[0:3], 0 offset:344
	;; [unrolled: 1-line block ×4, first 2 shown]
	s_waitcnt vmcnt(2) lgkmcnt(0)
	v_mul_f64 v[97:98], v[91:92], v[1:2]
	v_mul_f64 v[1:2], v[89:90], v[1:2]
	s_waitcnt vmcnt(0)
	v_fma_f64 v[89:90], v[89:90], v[3:4], -v[97:98]
	v_fma_f64 v[1:2], v[91:92], v[3:4], v[1:2]
	v_add_f64 v[3:4], v[93:94], -v[89:90]
	v_add_f64 v[1:2], v[95:96], -v[1:2]
	s_clause 0x3
	buffer_load_dword v89, v5, s[0:3], 0 offen offset:32
	buffer_load_dword v90, v5, s[0:3], 0 offen offset:36
	;; [unrolled: 1-line block ×4, first 2 shown]
	buffer_store_dword v4, v5, s[0:3], 0 offen offset:20
	buffer_store_dword v3, v5, s[0:3], 0 offen offset:16
	;; [unrolled: 1-line block ×4, first 2 shown]
	s_clause 0x3
	buffer_load_dword v93, off, s[0:3], 0 offset:344
	buffer_load_dword v94, off, s[0:3], 0 offset:348
	;; [unrolled: 1-line block ×4, first 2 shown]
	ds_read2_b64 v[1:4], v6 offset0:4 offset1:5
	s_waitcnt vmcnt(2) lgkmcnt(0)
	v_mul_f64 v[97:98], v[3:4], v[93:94]
	v_mul_f64 v[93:94], v[1:2], v[93:94]
	s_waitcnt vmcnt(0)
	v_fma_f64 v[1:2], v[1:2], v[95:96], -v[97:98]
	v_fma_f64 v[3:4], v[3:4], v[95:96], v[93:94]
	v_add_f64 v[1:2], v[89:90], -v[1:2]
	v_add_f64 v[3:4], v[91:92], -v[3:4]
	buffer_store_dword v2, v5, s[0:3], 0 offen offset:36
	buffer_store_dword v1, v5, s[0:3], 0 offen offset:32
	;; [unrolled: 1-line block ×4, first 2 shown]
	s_cbranch_scc1 .LBB121_284
.LBB121_285:
	s_or_b32 exec_lo, exec_lo, s5
	s_mov_b32 s6, exec_lo
	s_waitcnt lgkmcnt(0)
	s_waitcnt_vscnt null, 0x0
	s_barrier
	buffer_gl0_inv
	v_cmpx_eq_u32_e32 22, v0
	s_cbranch_execz .LBB121_294
; %bb.286:
	v_mov_b32_e32 v4, s54
	s_movk_i32 s5, 0x170
	s_clause 0x3
	buffer_load_dword v1, v4, s[0:3], 0 offen
	buffer_load_dword v2, v4, s[0:3], 0 offen offset:4
	buffer_load_dword v3, v4, s[0:3], 0 offen offset:8
	;; [unrolled: 1-line block ×3, first 2 shown]
	s_waitcnt vmcnt(0)
	ds_write2_b64 v255, v[1:2], v[3:4] offset1:1
	.p2align	6
.LBB121_287:                            ; =>This Inner Loop Header: Depth=1
	v_mov_b32_e32 v5, s5
	s_clause 0x7
	buffer_load_dword v1, v5, s[0:3], 0 offen
	buffer_load_dword v2, v5, s[0:3], 0 offen offset:4
	buffer_load_dword v3, v5, s[0:3], 0 offen offset:8
	;; [unrolled: 1-line block ×7, first 2 shown]
	v_add_nc_u32_e32 v5, s5, v241
	s_add_i32 s5, s5, 32
	s_waitcnt vmcnt(4)
	ds_write2_b64 v5, v[1:2], v[3:4] offset1:1
	s_waitcnt vmcnt(0)
	ds_write2_b64 v5, v[89:90], v[91:92] offset0:2 offset1:3
	s_cmpk_lg_i32 s5, 0x3d0
	s_cbranch_scc1 .LBB121_287
; %bb.288:
	ds_read2_b64 v[89:92], v255 offset1:1
	s_waitcnt lgkmcnt(0)
	v_cmp_neq_f64_e32 vcc_lo, 0, v[89:90]
	v_cmp_neq_f64_e64 s5, 0, v[91:92]
	s_or_b32 s5, vcc_lo, s5
	s_and_b32 exec_lo, exec_lo, s5
	s_cbranch_execz .LBB121_294
; %bb.289:
	v_cmp_ngt_f64_e64 s5, |v[89:90]|, |v[91:92]|
                                        ; implicit-def: $vgpr1_vgpr2
	s_and_saveexec_b32 s7, s5
	s_xor_b32 s5, exec_lo, s7
                                        ; implicit-def: $vgpr3_vgpr4
	s_cbranch_execz .LBB121_291
; %bb.290:
	v_div_scale_f64 v[1:2], null, v[91:92], v[91:92], v[89:90]
	v_div_scale_f64 v[95:96], vcc_lo, v[89:90], v[91:92], v[89:90]
	v_rcp_f64_e32 v[3:4], v[1:2]
	v_fma_f64 v[93:94], -v[1:2], v[3:4], 1.0
	v_fma_f64 v[3:4], v[3:4], v[93:94], v[3:4]
	v_fma_f64 v[93:94], -v[1:2], v[3:4], 1.0
	v_fma_f64 v[3:4], v[3:4], v[93:94], v[3:4]
	v_mul_f64 v[93:94], v[95:96], v[3:4]
	v_fma_f64 v[1:2], -v[1:2], v[93:94], v[95:96]
	v_div_fmas_f64 v[1:2], v[1:2], v[3:4], v[93:94]
	v_div_fixup_f64 v[1:2], v[1:2], v[91:92], v[89:90]
	v_fma_f64 v[3:4], v[89:90], v[1:2], v[91:92]
	v_div_scale_f64 v[89:90], null, v[3:4], v[3:4], 1.0
	v_rcp_f64_e32 v[91:92], v[89:90]
	v_fma_f64 v[93:94], -v[89:90], v[91:92], 1.0
	v_fma_f64 v[91:92], v[91:92], v[93:94], v[91:92]
	v_fma_f64 v[93:94], -v[89:90], v[91:92], 1.0
	v_fma_f64 v[91:92], v[91:92], v[93:94], v[91:92]
	v_div_scale_f64 v[93:94], vcc_lo, 1.0, v[3:4], 1.0
	v_mul_f64 v[95:96], v[93:94], v[91:92]
	v_fma_f64 v[89:90], -v[89:90], v[95:96], v[93:94]
	v_div_fmas_f64 v[89:90], v[89:90], v[91:92], v[95:96]
	v_div_fixup_f64 v[3:4], v[89:90], v[3:4], 1.0
                                        ; implicit-def: $vgpr89_vgpr90
	v_mul_f64 v[1:2], v[1:2], v[3:4]
	v_xor_b32_e32 v4, 0x80000000, v4
.LBB121_291:
	s_andn2_saveexec_b32 s5, s5
	s_cbranch_execz .LBB121_293
; %bb.292:
	v_div_scale_f64 v[1:2], null, v[89:90], v[89:90], v[91:92]
	v_div_scale_f64 v[95:96], vcc_lo, v[91:92], v[89:90], v[91:92]
	v_rcp_f64_e32 v[3:4], v[1:2]
	v_fma_f64 v[93:94], -v[1:2], v[3:4], 1.0
	v_fma_f64 v[3:4], v[3:4], v[93:94], v[3:4]
	v_fma_f64 v[93:94], -v[1:2], v[3:4], 1.0
	v_fma_f64 v[3:4], v[3:4], v[93:94], v[3:4]
	v_mul_f64 v[93:94], v[95:96], v[3:4]
	v_fma_f64 v[1:2], -v[1:2], v[93:94], v[95:96]
	v_div_fmas_f64 v[1:2], v[1:2], v[3:4], v[93:94]
	v_div_fixup_f64 v[3:4], v[1:2], v[89:90], v[91:92]
	v_fma_f64 v[1:2], v[91:92], v[3:4], v[89:90]
	v_div_scale_f64 v[89:90], null, v[1:2], v[1:2], 1.0
	v_rcp_f64_e32 v[91:92], v[89:90]
	v_fma_f64 v[93:94], -v[89:90], v[91:92], 1.0
	v_fma_f64 v[91:92], v[91:92], v[93:94], v[91:92]
	v_fma_f64 v[93:94], -v[89:90], v[91:92], 1.0
	v_fma_f64 v[91:92], v[91:92], v[93:94], v[91:92]
	v_div_scale_f64 v[93:94], vcc_lo, 1.0, v[1:2], 1.0
	v_mul_f64 v[95:96], v[93:94], v[91:92]
	v_fma_f64 v[89:90], -v[89:90], v[95:96], v[93:94]
	v_div_fmas_f64 v[89:90], v[89:90], v[91:92], v[95:96]
	v_div_fixup_f64 v[1:2], v[89:90], v[1:2], 1.0
	v_mul_f64 v[3:4], v[3:4], -v[1:2]
.LBB121_293:
	s_or_b32 exec_lo, exec_lo, s5
	ds_write2_b64 v255, v[1:2], v[3:4] offset1:1
.LBB121_294:
	s_or_b32 exec_lo, exec_lo, s6
	s_waitcnt lgkmcnt(0)
	s_barrier
	buffer_gl0_inv
	ds_read2_b64 v[89:92], v255 offset1:1
	s_mov_b32 s5, exec_lo
	v_cmpx_lt_u32_e32 22, v0
	s_cbranch_execz .LBB121_297
; %bb.295:
	s_clause 0x3
	buffer_load_dword v1, off, s[0:3], 0 offset:360
	buffer_load_dword v2, off, s[0:3], 0 offset:364
	;; [unrolled: 1-line block ×4, first 2 shown]
	s_movk_i32 s6, 0x170
	s_waitcnt vmcnt(2) lgkmcnt(0)
	v_mul_f64 v[93:94], v[91:92], v[1:2]
	v_mul_f64 v[1:2], v[89:90], v[1:2]
	s_waitcnt vmcnt(0)
	v_fma_f64 v[93:94], v[89:90], v[3:4], -v[93:94]
	v_fma_f64 v[1:2], v[91:92], v[3:4], v[1:2]
	buffer_store_dword v93, off, s[0:3], 0 offset:352
	buffer_store_dword v94, off, s[0:3], 0 offset:356
	;; [unrolled: 1-line block ×4, first 2 shown]
.LBB121_296:                            ; =>This Inner Loop Header: Depth=1
	s_clause 0x3
	buffer_load_dword v97, off, s[0:3], 0 offset:360
	buffer_load_dword v98, off, s[0:3], 0 offset:364
	;; [unrolled: 1-line block ×4, first 2 shown]
	v_mov_b32_e32 v5, s6
	v_add_nc_u32_e32 v6, s6, v241
	s_add_i32 s6, s6, 32
	s_clause 0x3
	buffer_load_dword v101, v5, s[0:3], 0 offen
	buffer_load_dword v102, v5, s[0:3], 0 offen offset:4
	buffer_load_dword v103, v5, s[0:3], 0 offen offset:8
	;; [unrolled: 1-line block ×3, first 2 shown]
	ds_read2_b64 v[1:4], v6 offset1:1
	ds_read2_b64 v[93:96], v6 offset0:2 offset1:3
	s_cmpk_lg_i32 s6, 0x3d0
	s_waitcnt vmcnt(6) lgkmcnt(1)
	v_mul_f64 v[105:106], v[3:4], v[97:98]
	v_mul_f64 v[97:98], v[1:2], v[97:98]
	s_waitcnt vmcnt(4)
	v_fma_f64 v[1:2], v[1:2], v[99:100], -v[105:106]
	v_fma_f64 v[3:4], v[3:4], v[99:100], v[97:98]
	s_clause 0x3
	buffer_load_dword v97, v5, s[0:3], 0 offen offset:16
	buffer_load_dword v98, v5, s[0:3], 0 offen offset:20
	;; [unrolled: 1-line block ×4, first 2 shown]
	s_waitcnt vmcnt(6)
	v_add_f64 v[1:2], v[101:102], -v[1:2]
	s_waitcnt vmcnt(4)
	v_add_f64 v[3:4], v[103:104], -v[3:4]
	buffer_store_dword v2, v5, s[0:3], 0 offen offset:4
	buffer_store_dword v1, v5, s[0:3], 0 offen
	buffer_store_dword v4, v5, s[0:3], 0 offen offset:12
	buffer_store_dword v3, v5, s[0:3], 0 offen offset:8
	s_clause 0x3
	buffer_load_dword v2, off, s[0:3], 0 offset:364
	buffer_load_dword v1, off, s[0:3], 0 offset:360
	;; [unrolled: 1-line block ×4, first 2 shown]
	s_waitcnt vmcnt(2) lgkmcnt(0)
	v_mul_f64 v[101:102], v[95:96], v[1:2]
	v_mul_f64 v[1:2], v[93:94], v[1:2]
	s_waitcnt vmcnt(0)
	v_fma_f64 v[93:94], v[93:94], v[3:4], -v[101:102]
	v_fma_f64 v[1:2], v[95:96], v[3:4], v[1:2]
	v_add_f64 v[3:4], v[97:98], -v[93:94]
	v_add_f64 v[1:2], v[99:100], -v[1:2]
	buffer_store_dword v4, v5, s[0:3], 0 offen offset:20
	buffer_store_dword v3, v5, s[0:3], 0 offen offset:16
	;; [unrolled: 1-line block ×4, first 2 shown]
	s_cbranch_scc1 .LBB121_296
.LBB121_297:
	s_or_b32 exec_lo, exec_lo, s5
	s_mov_b32 s6, exec_lo
	s_waitcnt lgkmcnt(0)
	s_waitcnt_vscnt null, 0x0
	s_barrier
	buffer_gl0_inv
	v_cmpx_eq_u32_e32 23, v0
	s_cbranch_execz .LBB121_308
; %bb.298:
	v_mov_b32_e32 v1, s53
	s_mov_b32 s5, 0
	s_clause 0x3
	buffer_load_dword v2, v1, s[0:3], 0 offen
	buffer_load_dword v3, v1, s[0:3], 0 offen offset:4
	buffer_load_dword v93, v1, s[0:3], 0 offen offset:8
	;; [unrolled: 1-line block ×3, first 2 shown]
	v_add3_u32 v1, v177, 0, 0x180
	s_waitcnt vmcnt(0)
	ds_write2_b64 v255, v[2:3], v[93:94] offset1:1
	s_branch .LBB121_300
.LBB121_299:                            ;   in Loop: Header=BB121_300 Depth=1
	s_andn2_b32 vcc_lo, exec_lo, s8
	s_cbranch_vccz .LBB121_302
.LBB121_300:                            ; =>This Inner Loop Header: Depth=1
	s_add_i32 s7, s52, s5
	s_mov_b32 s8, -1
	v_mov_b32_e32 v2, s7
	s_cmpk_eq_i32 s5, 0x200
	s_clause 0x13
	buffer_load_dword v3, v2, s[0:3], 0 offen
	buffer_load_dword v4, v2, s[0:3], 0 offen offset:4
	buffer_load_dword v93, v2, s[0:3], 0 offen offset:8
	;; [unrolled: 1-line block ×19, first 2 shown]
	v_add_nc_u32_e32 v2, s5, v1
	s_waitcnt vmcnt(16)
	ds_write2_b64 v2, v[3:4], v[93:94] offset1:1
	s_waitcnt vmcnt(12)
	ds_write2_b64 v2, v[95:96], v[97:98] offset0:2 offset1:3
	s_waitcnt vmcnt(8)
	ds_write2_b64 v2, v[99:100], v[101:102] offset0:4 offset1:5
	;; [unrolled: 2-line block ×4, first 2 shown]
	s_cbranch_scc1 .LBB121_299
; %bb.301:                              ;   in Loop: Header=BB121_300 Depth=1
	v_mov_b32_e32 v5, s7
	s_addk_i32 s5, 0x80
	s_mov_b32 s8, 0
	s_clause 0xb
	buffer_load_dword v3, v5, s[0:3], 0 offen offset:80
	buffer_load_dword v4, v5, s[0:3], 0 offen offset:84
	;; [unrolled: 1-line block ×12, first 2 shown]
	s_waitcnt vmcnt(8)
	ds_write2_b64 v2, v[3:4], v[93:94] offset0:10 offset1:11
	s_waitcnt vmcnt(4)
	ds_write2_b64 v2, v[95:96], v[97:98] offset0:12 offset1:13
	;; [unrolled: 2-line block ×3, first 2 shown]
	s_branch .LBB121_299
.LBB121_302:
	ds_read2_b64 v[93:96], v255 offset1:1
	s_waitcnt lgkmcnt(0)
	v_cmp_neq_f64_e32 vcc_lo, 0, v[93:94]
	v_cmp_neq_f64_e64 s5, 0, v[95:96]
	s_or_b32 s5, vcc_lo, s5
	s_and_b32 exec_lo, exec_lo, s5
	s_cbranch_execz .LBB121_308
; %bb.303:
	v_cmp_ngt_f64_e64 s5, |v[93:94]|, |v[95:96]|
                                        ; implicit-def: $vgpr1_vgpr2
	s_and_saveexec_b32 s7, s5
	s_xor_b32 s5, exec_lo, s7
                                        ; implicit-def: $vgpr3_vgpr4
	s_cbranch_execz .LBB121_305
; %bb.304:
	v_div_scale_f64 v[1:2], null, v[95:96], v[95:96], v[93:94]
	v_div_scale_f64 v[99:100], vcc_lo, v[93:94], v[95:96], v[93:94]
	v_rcp_f64_e32 v[3:4], v[1:2]
	v_fma_f64 v[97:98], -v[1:2], v[3:4], 1.0
	v_fma_f64 v[3:4], v[3:4], v[97:98], v[3:4]
	v_fma_f64 v[97:98], -v[1:2], v[3:4], 1.0
	v_fma_f64 v[3:4], v[3:4], v[97:98], v[3:4]
	v_mul_f64 v[97:98], v[99:100], v[3:4]
	v_fma_f64 v[1:2], -v[1:2], v[97:98], v[99:100]
	v_div_fmas_f64 v[1:2], v[1:2], v[3:4], v[97:98]
	v_div_fixup_f64 v[1:2], v[1:2], v[95:96], v[93:94]
	v_fma_f64 v[3:4], v[93:94], v[1:2], v[95:96]
	v_div_scale_f64 v[93:94], null, v[3:4], v[3:4], 1.0
	v_rcp_f64_e32 v[95:96], v[93:94]
	v_fma_f64 v[97:98], -v[93:94], v[95:96], 1.0
	v_fma_f64 v[95:96], v[95:96], v[97:98], v[95:96]
	v_fma_f64 v[97:98], -v[93:94], v[95:96], 1.0
	v_fma_f64 v[95:96], v[95:96], v[97:98], v[95:96]
	v_div_scale_f64 v[97:98], vcc_lo, 1.0, v[3:4], 1.0
	v_mul_f64 v[99:100], v[97:98], v[95:96]
	v_fma_f64 v[93:94], -v[93:94], v[99:100], v[97:98]
	v_div_fmas_f64 v[93:94], v[93:94], v[95:96], v[99:100]
	v_div_fixup_f64 v[3:4], v[93:94], v[3:4], 1.0
                                        ; implicit-def: $vgpr93_vgpr94
	v_mul_f64 v[1:2], v[1:2], v[3:4]
	v_xor_b32_e32 v4, 0x80000000, v4
.LBB121_305:
	s_andn2_saveexec_b32 s5, s5
	s_cbranch_execz .LBB121_307
; %bb.306:
	v_div_scale_f64 v[1:2], null, v[93:94], v[93:94], v[95:96]
	v_div_scale_f64 v[99:100], vcc_lo, v[95:96], v[93:94], v[95:96]
	v_rcp_f64_e32 v[3:4], v[1:2]
	v_fma_f64 v[97:98], -v[1:2], v[3:4], 1.0
	v_fma_f64 v[3:4], v[3:4], v[97:98], v[3:4]
	v_fma_f64 v[97:98], -v[1:2], v[3:4], 1.0
	v_fma_f64 v[3:4], v[3:4], v[97:98], v[3:4]
	v_mul_f64 v[97:98], v[99:100], v[3:4]
	v_fma_f64 v[1:2], -v[1:2], v[97:98], v[99:100]
	v_div_fmas_f64 v[1:2], v[1:2], v[3:4], v[97:98]
	v_div_fixup_f64 v[3:4], v[1:2], v[93:94], v[95:96]
	v_fma_f64 v[1:2], v[95:96], v[3:4], v[93:94]
	v_div_scale_f64 v[93:94], null, v[1:2], v[1:2], 1.0
	v_rcp_f64_e32 v[95:96], v[93:94]
	v_fma_f64 v[97:98], -v[93:94], v[95:96], 1.0
	v_fma_f64 v[95:96], v[95:96], v[97:98], v[95:96]
	v_fma_f64 v[97:98], -v[93:94], v[95:96], 1.0
	v_fma_f64 v[95:96], v[95:96], v[97:98], v[95:96]
	v_div_scale_f64 v[97:98], vcc_lo, 1.0, v[1:2], 1.0
	v_mul_f64 v[99:100], v[97:98], v[95:96]
	v_fma_f64 v[93:94], -v[93:94], v[99:100], v[97:98]
	v_div_fmas_f64 v[93:94], v[93:94], v[95:96], v[99:100]
	v_div_fixup_f64 v[1:2], v[93:94], v[1:2], 1.0
	v_mul_f64 v[3:4], v[3:4], -v[1:2]
.LBB121_307:
	s_or_b32 exec_lo, exec_lo, s5
	ds_write2_b64 v255, v[1:2], v[3:4] offset1:1
.LBB121_308:
	s_or_b32 exec_lo, exec_lo, s6
	s_waitcnt lgkmcnt(0)
	s_barrier
	buffer_gl0_inv
	ds_read2_b64 v[93:96], v255 offset1:1
	s_mov_b32 s5, exec_lo
	v_cmpx_lt_u32_e32 23, v0
	s_cbranch_execz .LBB121_313
; %bb.309:
	s_clause 0x3
	buffer_load_dword v1, off, s[0:3], 0 offset:376
	buffer_load_dword v2, off, s[0:3], 0 offset:380
	;; [unrolled: 1-line block ×4, first 2 shown]
	s_movk_i32 s6, 0x180
	s_waitcnt vmcnt(2) lgkmcnt(0)
	v_mul_f64 v[97:98], v[95:96], v[1:2]
	v_mul_f64 v[1:2], v[93:94], v[1:2]
	s_waitcnt vmcnt(0)
	v_fma_f64 v[97:98], v[93:94], v[3:4], -v[97:98]
	v_fma_f64 v[99:100], v[95:96], v[3:4], v[1:2]
	buffer_store_dword v97, off, s[0:3], 0 offset:368
	buffer_store_dword v98, off, s[0:3], 0 offset:372
	;; [unrolled: 1-line block ×4, first 2 shown]
	s_branch .LBB121_311
.LBB121_310:                            ;   in Loop: Header=BB121_311 Depth=1
	s_andn2_b32 vcc_lo, exec_lo, s8
	s_cbranch_vccz .LBB121_313
.LBB121_311:                            ; =>This Inner Loop Header: Depth=1
	v_mov_b32_e32 v4, s6
	v_add_nc_u32_e32 v1, s6, v241
	s_mov_b32 s7, s6
	s_mov_b32 s8, -1
	s_cmpk_eq_i32 s6, 0x3c0
	s_clause 0x3
	buffer_load_dword v2, v4, s[0:3], 0 offen
	buffer_load_dword v3, v4, s[0:3], 0 offen offset:4
	buffer_load_dword v105, v4, s[0:3], 0 offen offset:8
	buffer_load_dword v106, v4, s[0:3], 0 offen offset:12
	ds_read2_b64 v[101:104], v1 offset1:1
	s_waitcnt vmcnt(4) lgkmcnt(0)
	v_mul_f64 v[107:108], v[103:104], v[99:100]
	v_mul_f64 v[99:100], v[101:102], v[99:100]
	v_fma_f64 v[101:102], v[101:102], v[97:98], -v[107:108]
	v_fma_f64 v[97:98], v[103:104], v[97:98], v[99:100]
                                        ; implicit-def: $vgpr99_vgpr100
	s_waitcnt vmcnt(2)
	v_add_f64 v[2:3], v[2:3], -v[101:102]
	s_waitcnt vmcnt(0)
	v_add_f64 v[97:98], v[105:106], -v[97:98]
	buffer_store_dword v2, v4, s[0:3], 0 offen
	buffer_store_dword v3, v4, s[0:3], 0 offen offset:4
	buffer_store_dword v97, v4, s[0:3], 0 offen offset:8
	;; [unrolled: 1-line block ×3, first 2 shown]
                                        ; implicit-def: $vgpr97_vgpr98
	s_cbranch_scc1 .LBB121_310
; %bb.312:                              ;   in Loop: Header=BB121_311 Depth=1
	s_clause 0x3
	buffer_load_dword v2, off, s[0:3], 0 offset:376
	buffer_load_dword v3, off, s[0:3], 0 offset:380
	;; [unrolled: 1-line block ×4, first 2 shown]
	v_mov_b32_e32 v5, s7
	s_add_i32 s6, s6, 64
	s_mov_b32 s8, 0
	s_clause 0x3
	buffer_load_dword v107, v5, s[0:3], 0 offen offset:16
	buffer_load_dword v108, v5, s[0:3], 0 offen offset:20
	;; [unrolled: 1-line block ×4, first 2 shown]
	ds_read2_b64 v[97:100], v1 offset0:2 offset1:3
	ds_read2_b64 v[101:104], v1 offset0:4 offset1:5
	s_waitcnt vmcnt(6) lgkmcnt(1)
	v_mul_f64 v[111:112], v[99:100], v[2:3]
	v_mul_f64 v[2:3], v[97:98], v[2:3]
	s_waitcnt vmcnt(4)
	v_fma_f64 v[97:98], v[97:98], v[105:106], -v[111:112]
	v_fma_f64 v[2:3], v[99:100], v[105:106], v[2:3]
	s_waitcnt vmcnt(2)
	v_add_f64 v[97:98], v[107:108], -v[97:98]
	s_waitcnt vmcnt(0)
	v_add_f64 v[2:3], v[109:110], -v[2:3]
	buffer_store_dword v98, v5, s[0:3], 0 offen offset:20
	buffer_store_dword v97, v5, s[0:3], 0 offen offset:16
	;; [unrolled: 1-line block ×4, first 2 shown]
	s_clause 0x7
	buffer_load_dword v3, v5, s[0:3], 0 offen offset:36
	buffer_load_dword v97, v5, s[0:3], 0 offen offset:40
	;; [unrolled: 1-line block ×3, first 2 shown]
	buffer_load_dword v100, off, s[0:3], 0 offset:380
	buffer_load_dword v99, off, s[0:3], 0 offset:376
	;; [unrolled: 1-line block ×4, first 2 shown]
	buffer_load_dword v2, v5, s[0:3], 0 offen offset:32
	s_waitcnt vmcnt(3) lgkmcnt(0)
	v_mul_f64 v[107:108], v[103:104], v[99:100]
	v_mul_f64 v[99:100], v[101:102], v[99:100]
	s_waitcnt vmcnt(1)
	v_fma_f64 v[101:102], v[101:102], v[105:106], -v[107:108]
	v_fma_f64 v[99:100], v[103:104], v[105:106], v[99:100]
	s_waitcnt vmcnt(0)
	v_add_f64 v[2:3], v[2:3], -v[101:102]
	v_add_f64 v[97:98], v[97:98], -v[99:100]
	buffer_store_dword v3, v5, s[0:3], 0 offen offset:36
	buffer_store_dword v2, v5, s[0:3], 0 offen offset:32
	;; [unrolled: 1-line block ×4, first 2 shown]
	s_clause 0x7
	buffer_load_dword v98, v5, s[0:3], 0 offen offset:52
	buffer_load_dword v99, v5, s[0:3], 0 offen offset:56
	;; [unrolled: 1-line block ×3, first 2 shown]
	buffer_load_dword v101, off, s[0:3], 0 offset:376
	buffer_load_dword v102, off, s[0:3], 0 offset:380
	;; [unrolled: 1-line block ×4, first 2 shown]
	buffer_load_dword v97, v5, s[0:3], 0 offen offset:48
	ds_read2_b64 v[1:4], v1 offset0:6 offset1:7
	s_waitcnt vmcnt(3) lgkmcnt(0)
	v_mul_f64 v[105:106], v[3:4], v[101:102]
	v_mul_f64 v[101:102], v[1:2], v[101:102]
	s_waitcnt vmcnt(1)
	v_fma_f64 v[1:2], v[1:2], v[103:104], -v[105:106]
	v_fma_f64 v[3:4], v[3:4], v[103:104], v[101:102]
	s_waitcnt vmcnt(0)
	v_add_f64 v[1:2], v[97:98], -v[1:2]
	v_add_f64 v[3:4], v[99:100], -v[3:4]
	buffer_store_dword v2, v5, s[0:3], 0 offen offset:52
	buffer_store_dword v1, v5, s[0:3], 0 offen offset:48
	;; [unrolled: 1-line block ×4, first 2 shown]
	s_clause 0x3
	buffer_load_dword v97, off, s[0:3], 0 offset:368
	buffer_load_dword v98, off, s[0:3], 0 offset:372
	;; [unrolled: 1-line block ×4, first 2 shown]
	s_branch .LBB121_310
.LBB121_313:
	s_or_b32 exec_lo, exec_lo, s5
	s_mov_b32 s6, exec_lo
	s_waitcnt vmcnt(0) lgkmcnt(0)
	s_waitcnt_vscnt null, 0x0
	s_barrier
	buffer_gl0_inv
	v_cmpx_eq_u32_e32 24, v0
	s_cbranch_execz .LBB121_320
; %bb.314:
	v_mov_b32_e32 v4, s52
	s_clause 0x3
	buffer_load_dword v1, v4, s[0:3], 0 offen
	buffer_load_dword v2, v4, s[0:3], 0 offen offset:4
	buffer_load_dword v3, v4, s[0:3], 0 offen offset:8
	;; [unrolled: 1-line block ×3, first 2 shown]
	s_waitcnt vmcnt(0)
	ds_write2_b64 v255, v[1:2], v[3:4] offset1:1
	v_mov_b32_e32 v4, s51
	s_clause 0x3
	buffer_load_dword v1, v4, s[0:3], 0 offen
	buffer_load_dword v2, v4, s[0:3], 0 offen offset:4
	buffer_load_dword v3, v4, s[0:3], 0 offen offset:8
	buffer_load_dword v4, v4, s[0:3], 0 offen offset:12
	s_waitcnt vmcnt(0)
	ds_write2_b64 v241, v[1:2], v[3:4] offset0:50 offset1:51
	v_mov_b32_e32 v4, s50
	s_clause 0x3
	buffer_load_dword v1, v4, s[0:3], 0 offen
	buffer_load_dword v2, v4, s[0:3], 0 offen offset:4
	buffer_load_dword v3, v4, s[0:3], 0 offen offset:8
	buffer_load_dword v4, v4, s[0:3], 0 offen offset:12
	s_waitcnt vmcnt(0)
	ds_write2_b64 v241, v[1:2], v[3:4] offset0:52 offset1:53
	;; [unrolled: 8-line block ×36, first 2 shown]
	ds_read2_b64 v[97:100], v255 offset1:1
	s_waitcnt lgkmcnt(0)
	v_cmp_neq_f64_e32 vcc_lo, 0, v[97:98]
	v_cmp_neq_f64_e64 s5, 0, v[99:100]
	s_or_b32 s5, vcc_lo, s5
	s_and_b32 exec_lo, exec_lo, s5
	s_cbranch_execz .LBB121_320
; %bb.315:
	v_cmp_ngt_f64_e64 s5, |v[97:98]|, |v[99:100]|
                                        ; implicit-def: $vgpr1_vgpr2
	s_and_saveexec_b32 s7, s5
	s_xor_b32 s5, exec_lo, s7
                                        ; implicit-def: $vgpr3_vgpr4
	s_cbranch_execz .LBB121_317
; %bb.316:
	v_div_scale_f64 v[1:2], null, v[99:100], v[99:100], v[97:98]
	v_div_scale_f64 v[103:104], vcc_lo, v[97:98], v[99:100], v[97:98]
	v_rcp_f64_e32 v[3:4], v[1:2]
	v_fma_f64 v[101:102], -v[1:2], v[3:4], 1.0
	v_fma_f64 v[3:4], v[3:4], v[101:102], v[3:4]
	v_fma_f64 v[101:102], -v[1:2], v[3:4], 1.0
	v_fma_f64 v[3:4], v[3:4], v[101:102], v[3:4]
	v_mul_f64 v[101:102], v[103:104], v[3:4]
	v_fma_f64 v[1:2], -v[1:2], v[101:102], v[103:104]
	v_div_fmas_f64 v[1:2], v[1:2], v[3:4], v[101:102]
	v_div_fixup_f64 v[1:2], v[1:2], v[99:100], v[97:98]
	v_fma_f64 v[3:4], v[97:98], v[1:2], v[99:100]
	v_div_scale_f64 v[97:98], null, v[3:4], v[3:4], 1.0
	v_rcp_f64_e32 v[99:100], v[97:98]
	v_fma_f64 v[101:102], -v[97:98], v[99:100], 1.0
	v_fma_f64 v[99:100], v[99:100], v[101:102], v[99:100]
	v_fma_f64 v[101:102], -v[97:98], v[99:100], 1.0
	v_fma_f64 v[99:100], v[99:100], v[101:102], v[99:100]
	v_div_scale_f64 v[101:102], vcc_lo, 1.0, v[3:4], 1.0
	v_mul_f64 v[103:104], v[101:102], v[99:100]
	v_fma_f64 v[97:98], -v[97:98], v[103:104], v[101:102]
	v_div_fmas_f64 v[97:98], v[97:98], v[99:100], v[103:104]
	v_div_fixup_f64 v[3:4], v[97:98], v[3:4], 1.0
                                        ; implicit-def: $vgpr97_vgpr98
	v_mul_f64 v[1:2], v[1:2], v[3:4]
	v_xor_b32_e32 v4, 0x80000000, v4
.LBB121_317:
	s_andn2_saveexec_b32 s5, s5
	s_cbranch_execz .LBB121_319
; %bb.318:
	v_div_scale_f64 v[1:2], null, v[97:98], v[97:98], v[99:100]
	v_div_scale_f64 v[103:104], vcc_lo, v[99:100], v[97:98], v[99:100]
	v_rcp_f64_e32 v[3:4], v[1:2]
	v_fma_f64 v[101:102], -v[1:2], v[3:4], 1.0
	v_fma_f64 v[3:4], v[3:4], v[101:102], v[3:4]
	v_fma_f64 v[101:102], -v[1:2], v[3:4], 1.0
	v_fma_f64 v[3:4], v[3:4], v[101:102], v[3:4]
	v_mul_f64 v[101:102], v[103:104], v[3:4]
	v_fma_f64 v[1:2], -v[1:2], v[101:102], v[103:104]
	v_div_fmas_f64 v[1:2], v[1:2], v[3:4], v[101:102]
	v_div_fixup_f64 v[3:4], v[1:2], v[97:98], v[99:100]
	v_fma_f64 v[1:2], v[99:100], v[3:4], v[97:98]
	v_div_scale_f64 v[97:98], null, v[1:2], v[1:2], 1.0
	v_rcp_f64_e32 v[99:100], v[97:98]
	v_fma_f64 v[101:102], -v[97:98], v[99:100], 1.0
	v_fma_f64 v[99:100], v[99:100], v[101:102], v[99:100]
	v_fma_f64 v[101:102], -v[97:98], v[99:100], 1.0
	v_fma_f64 v[99:100], v[99:100], v[101:102], v[99:100]
	v_div_scale_f64 v[101:102], vcc_lo, 1.0, v[1:2], 1.0
	v_mul_f64 v[103:104], v[101:102], v[99:100]
	v_fma_f64 v[97:98], -v[97:98], v[103:104], v[101:102]
	v_div_fmas_f64 v[97:98], v[97:98], v[99:100], v[103:104]
	v_div_fixup_f64 v[1:2], v[97:98], v[1:2], 1.0
	v_mul_f64 v[3:4], v[3:4], -v[1:2]
.LBB121_319:
	s_or_b32 exec_lo, exec_lo, s5
	ds_write2_b64 v255, v[1:2], v[3:4] offset1:1
.LBB121_320:
	s_or_b32 exec_lo, exec_lo, s6
	buffer_store_dword v117, off, s[0:3], 0 offset:1432 ; 4-byte Folded Spill
	buffer_store_dword v118, off, s[0:3], 0 offset:1436 ; 4-byte Folded Spill
	;; [unrolled: 1-line block ×4, first 2 shown]
	s_waitcnt lgkmcnt(0)
	s_waitcnt_vscnt null, 0x0
	s_barrier
	buffer_gl0_inv
	ds_read2_b64 v[97:100], v255 offset1:1
	s_mov_b32 s5, exec_lo
	v_cmpx_lt_u32_e32 24, v0
	s_cbranch_execz .LBB121_323
; %bb.321:
	s_clause 0x3
	buffer_load_dword v1, off, s[0:3], 0 offset:392
	buffer_load_dword v2, off, s[0:3], 0 offset:396
	;; [unrolled: 1-line block ×4, first 2 shown]
	s_movk_i32 s6, 0x190
	s_waitcnt vmcnt(2) lgkmcnt(0)
	v_mul_f64 v[101:102], v[99:100], v[1:2]
	v_mul_f64 v[1:2], v[97:98], v[1:2]
	s_waitcnt vmcnt(0)
	v_fma_f64 v[101:102], v[97:98], v[3:4], -v[101:102]
	v_fma_f64 v[1:2], v[99:100], v[3:4], v[1:2]
	buffer_store_dword v101, off, s[0:3], 0 offset:384
	buffer_store_dword v102, off, s[0:3], 0 offset:388
	;; [unrolled: 1-line block ×4, first 2 shown]
.LBB121_322:                            ; =>This Inner Loop Header: Depth=1
	s_clause 0x3
	buffer_load_dword v105, off, s[0:3], 0 offset:392
	buffer_load_dword v106, off, s[0:3], 0 offset:396
	;; [unrolled: 1-line block ×4, first 2 shown]
	v_mov_b32_e32 v5, s6
	v_add_nc_u32_e32 v6, s6, v241
	s_addk_i32 s6, 0x60
	s_clause 0x3
	buffer_load_dword v109, v5, s[0:3], 0 offen
	buffer_load_dword v110, v5, s[0:3], 0 offen offset:4
	buffer_load_dword v111, v5, s[0:3], 0 offen offset:8
	buffer_load_dword v112, v5, s[0:3], 0 offen offset:12
	ds_read2_b64 v[1:4], v6 offset1:1
	s_clause 0x3
	buffer_load_dword v113, v5, s[0:3], 0 offen offset:16
	buffer_load_dword v114, v5, s[0:3], 0 offen offset:20
	;; [unrolled: 1-line block ×4, first 2 shown]
	ds_read2_b64 v[101:104], v6 offset0:2 offset1:3
	s_cmpk_lg_i32 s6, 0x3d0
	s_waitcnt vmcnt(10) lgkmcnt(1)
	v_mul_f64 v[117:118], v[3:4], v[105:106]
	v_mul_f64 v[105:106], v[1:2], v[105:106]
	s_waitcnt vmcnt(8)
	v_fma_f64 v[1:2], v[1:2], v[107:108], -v[117:118]
	v_fma_f64 v[3:4], v[3:4], v[107:108], v[105:106]
	s_waitcnt vmcnt(6)
	v_add_f64 v[1:2], v[109:110], -v[1:2]
	s_waitcnt vmcnt(4)
	v_add_f64 v[3:4], v[111:112], -v[3:4]
	buffer_store_dword v2, v5, s[0:3], 0 offen offset:4
	buffer_store_dword v1, v5, s[0:3], 0 offen
	buffer_store_dword v4, v5, s[0:3], 0 offen offset:12
	buffer_store_dword v3, v5, s[0:3], 0 offen offset:8
	s_clause 0x3
	buffer_load_dword v2, off, s[0:3], 0 offset:396
	buffer_load_dword v1, off, s[0:3], 0 offset:392
	;; [unrolled: 1-line block ×4, first 2 shown]
	s_waitcnt vmcnt(2) lgkmcnt(0)
	v_mul_f64 v[105:106], v[103:104], v[1:2]
	v_mul_f64 v[1:2], v[101:102], v[1:2]
	s_waitcnt vmcnt(0)
	v_fma_f64 v[101:102], v[101:102], v[3:4], -v[105:106]
	v_fma_f64 v[1:2], v[103:104], v[3:4], v[1:2]
	s_clause 0x3
	buffer_load_dword v105, v5, s[0:3], 0 offen offset:32
	buffer_load_dword v106, v5, s[0:3], 0 offen offset:36
	;; [unrolled: 1-line block ×4, first 2 shown]
	v_add_f64 v[3:4], v[113:114], -v[101:102]
	v_add_f64 v[1:2], v[115:116], -v[1:2]
	buffer_store_dword v4, v5, s[0:3], 0 offen offset:20
	buffer_store_dword v3, v5, s[0:3], 0 offen offset:16
	;; [unrolled: 1-line block ×4, first 2 shown]
	s_clause 0x3
	buffer_load_dword v109, off, s[0:3], 0 offset:392
	buffer_load_dword v110, off, s[0:3], 0 offset:396
	;; [unrolled: 1-line block ×4, first 2 shown]
	ds_read2_b64 v[1:4], v6 offset0:4 offset1:5
	ds_read2_b64 v[101:104], v6 offset0:6 offset1:7
	s_waitcnt vmcnt(2) lgkmcnt(1)
	v_mul_f64 v[113:114], v[3:4], v[109:110]
	v_mul_f64 v[109:110], v[1:2], v[109:110]
	s_waitcnt vmcnt(0)
	v_fma_f64 v[1:2], v[1:2], v[111:112], -v[113:114]
	v_fma_f64 v[3:4], v[3:4], v[111:112], v[109:110]
	v_add_f64 v[1:2], v[105:106], -v[1:2]
	v_add_f64 v[3:4], v[107:108], -v[3:4]
	buffer_store_dword v2, v5, s[0:3], 0 offen offset:36
	buffer_store_dword v1, v5, s[0:3], 0 offen offset:32
	;; [unrolled: 1-line block ×4, first 2 shown]
	s_clause 0x7
	buffer_load_dword v1, off, s[0:3], 0 offset:392
	buffer_load_dword v2, off, s[0:3], 0 offset:396
	;; [unrolled: 1-line block ×4, first 2 shown]
	buffer_load_dword v105, v5, s[0:3], 0 offen offset:48
	buffer_load_dword v106, v5, s[0:3], 0 offen offset:52
	;; [unrolled: 1-line block ×4, first 2 shown]
	s_waitcnt vmcnt(6) lgkmcnt(0)
	v_mul_f64 v[109:110], v[103:104], v[1:2]
	v_mul_f64 v[1:2], v[101:102], v[1:2]
	s_waitcnt vmcnt(4)
	v_fma_f64 v[101:102], v[101:102], v[3:4], -v[109:110]
	v_fma_f64 v[1:2], v[103:104], v[3:4], v[1:2]
	s_waitcnt vmcnt(2)
	v_add_f64 v[3:4], v[105:106], -v[101:102]
	s_waitcnt vmcnt(0)
	v_add_f64 v[1:2], v[107:108], -v[1:2]
	buffer_store_dword v4, v5, s[0:3], 0 offen offset:52
	buffer_store_dword v3, v5, s[0:3], 0 offen offset:48
	;; [unrolled: 1-line block ×4, first 2 shown]
	s_clause 0x7
	buffer_load_dword v105, off, s[0:3], 0 offset:392
	buffer_load_dword v106, off, s[0:3], 0 offset:396
	;; [unrolled: 1-line block ×4, first 2 shown]
	buffer_load_dword v109, v5, s[0:3], 0 offen offset:64
	buffer_load_dword v110, v5, s[0:3], 0 offen offset:68
	;; [unrolled: 1-line block ×4, first 2 shown]
	ds_read2_b64 v[1:4], v6 offset0:8 offset1:9
	ds_read2_b64 v[101:104], v6 offset0:10 offset1:11
	s_waitcnt vmcnt(6) lgkmcnt(1)
	v_mul_f64 v[113:114], v[3:4], v[105:106]
	v_mul_f64 v[105:106], v[1:2], v[105:106]
	s_waitcnt vmcnt(4)
	v_fma_f64 v[1:2], v[1:2], v[107:108], -v[113:114]
	v_fma_f64 v[3:4], v[3:4], v[107:108], v[105:106]
	s_waitcnt vmcnt(2)
	v_add_f64 v[1:2], v[109:110], -v[1:2]
	s_waitcnt vmcnt(0)
	v_add_f64 v[3:4], v[111:112], -v[3:4]
	buffer_store_dword v2, v5, s[0:3], 0 offen offset:68
	buffer_store_dword v1, v5, s[0:3], 0 offen offset:64
	buffer_store_dword v4, v5, s[0:3], 0 offen offset:76
	buffer_store_dword v3, v5, s[0:3], 0 offen offset:72
	s_clause 0x7
	buffer_load_dword v1, off, s[0:3], 0 offset:392
	buffer_load_dword v2, off, s[0:3], 0 offset:396
	;; [unrolled: 1-line block ×4, first 2 shown]
	buffer_load_dword v105, v5, s[0:3], 0 offen offset:80
	buffer_load_dword v106, v5, s[0:3], 0 offen offset:84
	;; [unrolled: 1-line block ×4, first 2 shown]
	s_waitcnt vmcnt(6) lgkmcnt(0)
	v_mul_f64 v[109:110], v[103:104], v[1:2]
	v_mul_f64 v[1:2], v[101:102], v[1:2]
	s_waitcnt vmcnt(4)
	v_fma_f64 v[101:102], v[101:102], v[3:4], -v[109:110]
	v_fma_f64 v[1:2], v[103:104], v[3:4], v[1:2]
	s_waitcnt vmcnt(2)
	v_add_f64 v[3:4], v[105:106], -v[101:102]
	s_waitcnt vmcnt(0)
	v_add_f64 v[1:2], v[107:108], -v[1:2]
	buffer_store_dword v4, v5, s[0:3], 0 offen offset:84
	buffer_store_dword v3, v5, s[0:3], 0 offen offset:80
	;; [unrolled: 1-line block ×4, first 2 shown]
	s_cbranch_scc1 .LBB121_322
.LBB121_323:
	s_or_b32 exec_lo, exec_lo, s5
	s_mov_b32 s6, exec_lo
	s_waitcnt lgkmcnt(0)
	s_waitcnt_vscnt null, 0x0
	s_barrier
	buffer_gl0_inv
	v_cmpx_eq_u32_e32 25, v0
	s_cbranch_execz .LBB121_330
; %bb.324:
	v_mov_b32_e32 v4, s51
	s_clause 0x3
	buffer_load_dword v1, v4, s[0:3], 0 offen
	buffer_load_dword v2, v4, s[0:3], 0 offen offset:4
	buffer_load_dword v3, v4, s[0:3], 0 offen offset:8
	buffer_load_dword v4, v4, s[0:3], 0 offen offset:12
	s_waitcnt vmcnt(0)
	ds_write2_b64 v255, v[1:2], v[3:4] offset1:1
	v_mov_b32_e32 v4, s50
	s_clause 0x3
	buffer_load_dword v1, v4, s[0:3], 0 offen
	buffer_load_dword v2, v4, s[0:3], 0 offen offset:4
	buffer_load_dword v3, v4, s[0:3], 0 offen offset:8
	buffer_load_dword v4, v4, s[0:3], 0 offen offset:12
	s_waitcnt vmcnt(0)
	ds_write2_b64 v241, v[1:2], v[3:4] offset0:52 offset1:53
	v_mov_b32_e32 v4, s49
	s_clause 0x3
	buffer_load_dword v1, v4, s[0:3], 0 offen
	buffer_load_dword v2, v4, s[0:3], 0 offen offset:4
	buffer_load_dword v3, v4, s[0:3], 0 offen offset:8
	buffer_load_dword v4, v4, s[0:3], 0 offen offset:12
	s_waitcnt vmcnt(0)
	ds_write2_b64 v241, v[1:2], v[3:4] offset0:54 offset1:55
	v_mov_b32_e32 v4, s48
	s_clause 0x3
	buffer_load_dword v1, v4, s[0:3], 0 offen
	buffer_load_dword v2, v4, s[0:3], 0 offen offset:4
	buffer_load_dword v3, v4, s[0:3], 0 offen offset:8
	buffer_load_dword v4, v4, s[0:3], 0 offen offset:12
	s_waitcnt vmcnt(0)
	ds_write2_b64 v241, v[1:2], v[3:4] offset0:56 offset1:57
	v_mov_b32_e32 v4, s47
	s_clause 0x3
	buffer_load_dword v1, v4, s[0:3], 0 offen
	buffer_load_dword v2, v4, s[0:3], 0 offen offset:4
	buffer_load_dword v3, v4, s[0:3], 0 offen offset:8
	buffer_load_dword v4, v4, s[0:3], 0 offen offset:12
	s_waitcnt vmcnt(0)
	ds_write2_b64 v241, v[1:2], v[3:4] offset0:58 offset1:59
	v_mov_b32_e32 v4, s46
	s_clause 0x3
	buffer_load_dword v1, v4, s[0:3], 0 offen
	buffer_load_dword v2, v4, s[0:3], 0 offen offset:4
	buffer_load_dword v3, v4, s[0:3], 0 offen offset:8
	buffer_load_dword v4, v4, s[0:3], 0 offen offset:12
	s_waitcnt vmcnt(0)
	ds_write2_b64 v241, v[1:2], v[3:4] offset0:60 offset1:61
	v_mov_b32_e32 v4, s45
	s_clause 0x3
	buffer_load_dword v1, v4, s[0:3], 0 offen
	buffer_load_dword v2, v4, s[0:3], 0 offen offset:4
	buffer_load_dword v3, v4, s[0:3], 0 offen offset:8
	buffer_load_dword v4, v4, s[0:3], 0 offen offset:12
	s_waitcnt vmcnt(0)
	ds_write2_b64 v241, v[1:2], v[3:4] offset0:62 offset1:63
	v_mov_b32_e32 v4, s44
	s_clause 0x3
	buffer_load_dword v1, v4, s[0:3], 0 offen
	buffer_load_dword v2, v4, s[0:3], 0 offen offset:4
	buffer_load_dword v3, v4, s[0:3], 0 offen offset:8
	buffer_load_dword v4, v4, s[0:3], 0 offen offset:12
	s_waitcnt vmcnt(0)
	ds_write2_b64 v241, v[1:2], v[3:4] offset0:64 offset1:65
	v_mov_b32_e32 v4, s43
	s_clause 0x3
	buffer_load_dword v1, v4, s[0:3], 0 offen
	buffer_load_dword v2, v4, s[0:3], 0 offen offset:4
	buffer_load_dword v3, v4, s[0:3], 0 offen offset:8
	buffer_load_dword v4, v4, s[0:3], 0 offen offset:12
	s_waitcnt vmcnt(0)
	ds_write2_b64 v241, v[1:2], v[3:4] offset0:66 offset1:67
	v_mov_b32_e32 v4, s42
	s_clause 0x3
	buffer_load_dword v1, v4, s[0:3], 0 offen
	buffer_load_dword v2, v4, s[0:3], 0 offen offset:4
	buffer_load_dword v3, v4, s[0:3], 0 offen offset:8
	buffer_load_dword v4, v4, s[0:3], 0 offen offset:12
	s_waitcnt vmcnt(0)
	ds_write2_b64 v241, v[1:2], v[3:4] offset0:68 offset1:69
	v_mov_b32_e32 v4, s41
	s_clause 0x3
	buffer_load_dword v1, v4, s[0:3], 0 offen
	buffer_load_dword v2, v4, s[0:3], 0 offen offset:4
	buffer_load_dword v3, v4, s[0:3], 0 offen offset:8
	buffer_load_dword v4, v4, s[0:3], 0 offen offset:12
	s_waitcnt vmcnt(0)
	ds_write2_b64 v241, v[1:2], v[3:4] offset0:70 offset1:71
	v_mov_b32_e32 v4, s40
	s_clause 0x3
	buffer_load_dword v1, v4, s[0:3], 0 offen
	buffer_load_dword v2, v4, s[0:3], 0 offen offset:4
	buffer_load_dword v3, v4, s[0:3], 0 offen offset:8
	buffer_load_dword v4, v4, s[0:3], 0 offen offset:12
	s_waitcnt vmcnt(0)
	ds_write2_b64 v241, v[1:2], v[3:4] offset0:72 offset1:73
	v_mov_b32_e32 v4, s39
	s_clause 0x3
	buffer_load_dword v1, v4, s[0:3], 0 offen
	buffer_load_dword v2, v4, s[0:3], 0 offen offset:4
	buffer_load_dword v3, v4, s[0:3], 0 offen offset:8
	buffer_load_dword v4, v4, s[0:3], 0 offen offset:12
	s_waitcnt vmcnt(0)
	ds_write2_b64 v241, v[1:2], v[3:4] offset0:74 offset1:75
	v_mov_b32_e32 v4, s38
	s_clause 0x3
	buffer_load_dword v1, v4, s[0:3], 0 offen
	buffer_load_dword v2, v4, s[0:3], 0 offen offset:4
	buffer_load_dword v3, v4, s[0:3], 0 offen offset:8
	buffer_load_dword v4, v4, s[0:3], 0 offen offset:12
	s_waitcnt vmcnt(0)
	ds_write2_b64 v241, v[1:2], v[3:4] offset0:76 offset1:77
	v_mov_b32_e32 v4, s37
	s_clause 0x3
	buffer_load_dword v1, v4, s[0:3], 0 offen
	buffer_load_dword v2, v4, s[0:3], 0 offen offset:4
	buffer_load_dword v3, v4, s[0:3], 0 offen offset:8
	buffer_load_dword v4, v4, s[0:3], 0 offen offset:12
	s_waitcnt vmcnt(0)
	ds_write2_b64 v241, v[1:2], v[3:4] offset0:78 offset1:79
	v_mov_b32_e32 v4, s36
	s_clause 0x3
	buffer_load_dword v1, v4, s[0:3], 0 offen
	buffer_load_dword v2, v4, s[0:3], 0 offen offset:4
	buffer_load_dword v3, v4, s[0:3], 0 offen offset:8
	buffer_load_dword v4, v4, s[0:3], 0 offen offset:12
	s_waitcnt vmcnt(0)
	ds_write2_b64 v241, v[1:2], v[3:4] offset0:80 offset1:81
	v_mov_b32_e32 v4, s35
	s_clause 0x3
	buffer_load_dword v1, v4, s[0:3], 0 offen
	buffer_load_dword v2, v4, s[0:3], 0 offen offset:4
	buffer_load_dword v3, v4, s[0:3], 0 offen offset:8
	buffer_load_dword v4, v4, s[0:3], 0 offen offset:12
	s_waitcnt vmcnt(0)
	ds_write2_b64 v241, v[1:2], v[3:4] offset0:82 offset1:83
	v_mov_b32_e32 v4, s34
	s_clause 0x3
	buffer_load_dword v1, v4, s[0:3], 0 offen
	buffer_load_dword v2, v4, s[0:3], 0 offen offset:4
	buffer_load_dword v3, v4, s[0:3], 0 offen offset:8
	buffer_load_dword v4, v4, s[0:3], 0 offen offset:12
	s_waitcnt vmcnt(0)
	ds_write2_b64 v241, v[1:2], v[3:4] offset0:84 offset1:85
	v_mov_b32_e32 v4, s33
	s_clause 0x3
	buffer_load_dword v1, v4, s[0:3], 0 offen
	buffer_load_dword v2, v4, s[0:3], 0 offen offset:4
	buffer_load_dword v3, v4, s[0:3], 0 offen offset:8
	buffer_load_dword v4, v4, s[0:3], 0 offen offset:12
	s_waitcnt vmcnt(0)
	ds_write2_b64 v241, v[1:2], v[3:4] offset0:86 offset1:87
	v_mov_b32_e32 v4, s31
	s_clause 0x3
	buffer_load_dword v1, v4, s[0:3], 0 offen
	buffer_load_dword v2, v4, s[0:3], 0 offen offset:4
	buffer_load_dword v3, v4, s[0:3], 0 offen offset:8
	buffer_load_dword v4, v4, s[0:3], 0 offen offset:12
	s_waitcnt vmcnt(0)
	ds_write2_b64 v241, v[1:2], v[3:4] offset0:88 offset1:89
	v_mov_b32_e32 v4, s30
	s_clause 0x3
	buffer_load_dword v1, v4, s[0:3], 0 offen
	buffer_load_dword v2, v4, s[0:3], 0 offen offset:4
	buffer_load_dword v3, v4, s[0:3], 0 offen offset:8
	buffer_load_dword v4, v4, s[0:3], 0 offen offset:12
	s_waitcnt vmcnt(0)
	ds_write2_b64 v241, v[1:2], v[3:4] offset0:90 offset1:91
	v_mov_b32_e32 v4, s29
	s_clause 0x3
	buffer_load_dword v1, v4, s[0:3], 0 offen
	buffer_load_dword v2, v4, s[0:3], 0 offen offset:4
	buffer_load_dword v3, v4, s[0:3], 0 offen offset:8
	buffer_load_dword v4, v4, s[0:3], 0 offen offset:12
	s_waitcnt vmcnt(0)
	ds_write2_b64 v241, v[1:2], v[3:4] offset0:92 offset1:93
	v_mov_b32_e32 v4, s28
	s_clause 0x3
	buffer_load_dword v1, v4, s[0:3], 0 offen
	buffer_load_dword v2, v4, s[0:3], 0 offen offset:4
	buffer_load_dword v3, v4, s[0:3], 0 offen offset:8
	buffer_load_dword v4, v4, s[0:3], 0 offen offset:12
	s_waitcnt vmcnt(0)
	ds_write2_b64 v241, v[1:2], v[3:4] offset0:94 offset1:95
	v_mov_b32_e32 v4, s27
	s_clause 0x3
	buffer_load_dword v1, v4, s[0:3], 0 offen
	buffer_load_dword v2, v4, s[0:3], 0 offen offset:4
	buffer_load_dword v3, v4, s[0:3], 0 offen offset:8
	buffer_load_dword v4, v4, s[0:3], 0 offen offset:12
	s_waitcnt vmcnt(0)
	ds_write2_b64 v241, v[1:2], v[3:4] offset0:96 offset1:97
	v_mov_b32_e32 v4, s26
	s_clause 0x3
	buffer_load_dword v1, v4, s[0:3], 0 offen
	buffer_load_dword v2, v4, s[0:3], 0 offen offset:4
	buffer_load_dword v3, v4, s[0:3], 0 offen offset:8
	buffer_load_dword v4, v4, s[0:3], 0 offen offset:12
	s_waitcnt vmcnt(0)
	ds_write2_b64 v241, v[1:2], v[3:4] offset0:98 offset1:99
	v_mov_b32_e32 v4, s25
	s_clause 0x3
	buffer_load_dword v1, v4, s[0:3], 0 offen
	buffer_load_dword v2, v4, s[0:3], 0 offen offset:4
	buffer_load_dword v3, v4, s[0:3], 0 offen offset:8
	buffer_load_dword v4, v4, s[0:3], 0 offen offset:12
	s_waitcnt vmcnt(0)
	ds_write2_b64 v241, v[1:2], v[3:4] offset0:100 offset1:101
	v_mov_b32_e32 v4, s24
	s_clause 0x3
	buffer_load_dword v1, v4, s[0:3], 0 offen
	buffer_load_dword v2, v4, s[0:3], 0 offen offset:4
	buffer_load_dword v3, v4, s[0:3], 0 offen offset:8
	buffer_load_dword v4, v4, s[0:3], 0 offen offset:12
	s_waitcnt vmcnt(0)
	ds_write2_b64 v241, v[1:2], v[3:4] offset0:102 offset1:103
	v_mov_b32_e32 v4, s23
	s_clause 0x3
	buffer_load_dword v1, v4, s[0:3], 0 offen
	buffer_load_dword v2, v4, s[0:3], 0 offen offset:4
	buffer_load_dword v3, v4, s[0:3], 0 offen offset:8
	buffer_load_dword v4, v4, s[0:3], 0 offen offset:12
	s_waitcnt vmcnt(0)
	ds_write2_b64 v241, v[1:2], v[3:4] offset0:104 offset1:105
	v_mov_b32_e32 v4, s22
	s_clause 0x3
	buffer_load_dword v1, v4, s[0:3], 0 offen
	buffer_load_dword v2, v4, s[0:3], 0 offen offset:4
	buffer_load_dword v3, v4, s[0:3], 0 offen offset:8
	buffer_load_dword v4, v4, s[0:3], 0 offen offset:12
	s_waitcnt vmcnt(0)
	ds_write2_b64 v241, v[1:2], v[3:4] offset0:106 offset1:107
	v_mov_b32_e32 v4, s21
	s_clause 0x3
	buffer_load_dword v1, v4, s[0:3], 0 offen
	buffer_load_dword v2, v4, s[0:3], 0 offen offset:4
	buffer_load_dword v3, v4, s[0:3], 0 offen offset:8
	buffer_load_dword v4, v4, s[0:3], 0 offen offset:12
	s_waitcnt vmcnt(0)
	ds_write2_b64 v241, v[1:2], v[3:4] offset0:108 offset1:109
	v_mov_b32_e32 v4, s20
	s_clause 0x3
	buffer_load_dword v1, v4, s[0:3], 0 offen
	buffer_load_dword v2, v4, s[0:3], 0 offen offset:4
	buffer_load_dword v3, v4, s[0:3], 0 offen offset:8
	buffer_load_dword v4, v4, s[0:3], 0 offen offset:12
	s_waitcnt vmcnt(0)
	ds_write2_b64 v241, v[1:2], v[3:4] offset0:110 offset1:111
	v_mov_b32_e32 v4, s19
	s_clause 0x3
	buffer_load_dword v1, v4, s[0:3], 0 offen
	buffer_load_dword v2, v4, s[0:3], 0 offen offset:4
	buffer_load_dword v3, v4, s[0:3], 0 offen offset:8
	buffer_load_dword v4, v4, s[0:3], 0 offen offset:12
	s_waitcnt vmcnt(0)
	ds_write2_b64 v241, v[1:2], v[3:4] offset0:112 offset1:113
	v_mov_b32_e32 v4, s18
	s_clause 0x3
	buffer_load_dword v1, v4, s[0:3], 0 offen
	buffer_load_dword v2, v4, s[0:3], 0 offen offset:4
	buffer_load_dword v3, v4, s[0:3], 0 offen offset:8
	buffer_load_dword v4, v4, s[0:3], 0 offen offset:12
	s_waitcnt vmcnt(0)
	ds_write2_b64 v241, v[1:2], v[3:4] offset0:114 offset1:115
	v_mov_b32_e32 v4, s16
	s_clause 0x3
	buffer_load_dword v1, v4, s[0:3], 0 offen
	buffer_load_dword v2, v4, s[0:3], 0 offen offset:4
	buffer_load_dword v3, v4, s[0:3], 0 offen offset:8
	buffer_load_dword v4, v4, s[0:3], 0 offen offset:12
	s_waitcnt vmcnt(0)
	ds_write2_b64 v241, v[1:2], v[3:4] offset0:116 offset1:117
	v_mov_b32_e32 v4, s13
	s_clause 0x3
	buffer_load_dword v1, v4, s[0:3], 0 offen
	buffer_load_dword v2, v4, s[0:3], 0 offen offset:4
	buffer_load_dword v3, v4, s[0:3], 0 offen offset:8
	buffer_load_dword v4, v4, s[0:3], 0 offen offset:12
	s_waitcnt vmcnt(0)
	ds_write2_b64 v241, v[1:2], v[3:4] offset0:118 offset1:119
	v_mov_b32_e32 v4, s12
	s_clause 0x3
	buffer_load_dword v1, v4, s[0:3], 0 offen
	buffer_load_dword v2, v4, s[0:3], 0 offen offset:4
	buffer_load_dword v3, v4, s[0:3], 0 offen offset:8
	buffer_load_dword v4, v4, s[0:3], 0 offen offset:12
	s_waitcnt vmcnt(0)
	ds_write2_b64 v241, v[1:2], v[3:4] offset0:120 offset1:121
	ds_read2_b64 v[101:104], v255 offset1:1
	s_waitcnt lgkmcnt(0)
	v_cmp_neq_f64_e32 vcc_lo, 0, v[101:102]
	v_cmp_neq_f64_e64 s5, 0, v[103:104]
	s_or_b32 s5, vcc_lo, s5
	s_and_b32 exec_lo, exec_lo, s5
	s_cbranch_execz .LBB121_330
; %bb.325:
	v_cmp_ngt_f64_e64 s5, |v[101:102]|, |v[103:104]|
                                        ; implicit-def: $vgpr1_vgpr2
	s_and_saveexec_b32 s7, s5
	s_xor_b32 s5, exec_lo, s7
                                        ; implicit-def: $vgpr3_vgpr4
	s_cbranch_execz .LBB121_327
; %bb.326:
	v_div_scale_f64 v[1:2], null, v[103:104], v[103:104], v[101:102]
	v_div_scale_f64 v[107:108], vcc_lo, v[101:102], v[103:104], v[101:102]
	v_rcp_f64_e32 v[3:4], v[1:2]
	v_fma_f64 v[105:106], -v[1:2], v[3:4], 1.0
	v_fma_f64 v[3:4], v[3:4], v[105:106], v[3:4]
	v_fma_f64 v[105:106], -v[1:2], v[3:4], 1.0
	v_fma_f64 v[3:4], v[3:4], v[105:106], v[3:4]
	v_mul_f64 v[105:106], v[107:108], v[3:4]
	v_fma_f64 v[1:2], -v[1:2], v[105:106], v[107:108]
	v_div_fmas_f64 v[1:2], v[1:2], v[3:4], v[105:106]
	v_div_fixup_f64 v[1:2], v[1:2], v[103:104], v[101:102]
	v_fma_f64 v[3:4], v[101:102], v[1:2], v[103:104]
	v_div_scale_f64 v[101:102], null, v[3:4], v[3:4], 1.0
	v_rcp_f64_e32 v[103:104], v[101:102]
	v_fma_f64 v[105:106], -v[101:102], v[103:104], 1.0
	v_fma_f64 v[103:104], v[103:104], v[105:106], v[103:104]
	v_fma_f64 v[105:106], -v[101:102], v[103:104], 1.0
	v_fma_f64 v[103:104], v[103:104], v[105:106], v[103:104]
	v_div_scale_f64 v[105:106], vcc_lo, 1.0, v[3:4], 1.0
	v_mul_f64 v[107:108], v[105:106], v[103:104]
	v_fma_f64 v[101:102], -v[101:102], v[107:108], v[105:106]
	v_div_fmas_f64 v[101:102], v[101:102], v[103:104], v[107:108]
	v_div_fixup_f64 v[3:4], v[101:102], v[3:4], 1.0
                                        ; implicit-def: $vgpr101_vgpr102
	v_mul_f64 v[1:2], v[1:2], v[3:4]
	v_xor_b32_e32 v4, 0x80000000, v4
.LBB121_327:
	s_andn2_saveexec_b32 s5, s5
	s_cbranch_execz .LBB121_329
; %bb.328:
	v_div_scale_f64 v[1:2], null, v[101:102], v[101:102], v[103:104]
	v_div_scale_f64 v[107:108], vcc_lo, v[103:104], v[101:102], v[103:104]
	v_rcp_f64_e32 v[3:4], v[1:2]
	v_fma_f64 v[105:106], -v[1:2], v[3:4], 1.0
	v_fma_f64 v[3:4], v[3:4], v[105:106], v[3:4]
	v_fma_f64 v[105:106], -v[1:2], v[3:4], 1.0
	v_fma_f64 v[3:4], v[3:4], v[105:106], v[3:4]
	v_mul_f64 v[105:106], v[107:108], v[3:4]
	v_fma_f64 v[1:2], -v[1:2], v[105:106], v[107:108]
	v_div_fmas_f64 v[1:2], v[1:2], v[3:4], v[105:106]
	v_div_fixup_f64 v[3:4], v[1:2], v[101:102], v[103:104]
	v_fma_f64 v[1:2], v[103:104], v[3:4], v[101:102]
	v_div_scale_f64 v[101:102], null, v[1:2], v[1:2], 1.0
	v_rcp_f64_e32 v[103:104], v[101:102]
	v_fma_f64 v[105:106], -v[101:102], v[103:104], 1.0
	v_fma_f64 v[103:104], v[103:104], v[105:106], v[103:104]
	v_fma_f64 v[105:106], -v[101:102], v[103:104], 1.0
	v_fma_f64 v[103:104], v[103:104], v[105:106], v[103:104]
	v_div_scale_f64 v[105:106], vcc_lo, 1.0, v[1:2], 1.0
	v_mul_f64 v[107:108], v[105:106], v[103:104]
	v_fma_f64 v[101:102], -v[101:102], v[107:108], v[105:106]
	v_div_fmas_f64 v[101:102], v[101:102], v[103:104], v[107:108]
	v_div_fixup_f64 v[1:2], v[101:102], v[1:2], 1.0
	v_mul_f64 v[3:4], v[3:4], -v[1:2]
.LBB121_329:
	s_or_b32 exec_lo, exec_lo, s5
	ds_write2_b64 v255, v[1:2], v[3:4] offset1:1
.LBB121_330:
	s_or_b32 exec_lo, exec_lo, s6
	s_waitcnt lgkmcnt(0)
	s_barrier
	buffer_gl0_inv
	ds_read2_b64 v[101:104], v255 offset1:1
	s_mov_b32 s5, exec_lo
	v_cmpx_lt_u32_e32 25, v0
	s_cbranch_execz .LBB121_333
; %bb.331:
	s_clause 0x3
	buffer_load_dword v1, off, s[0:3], 0 offset:408
	buffer_load_dword v2, off, s[0:3], 0 offset:412
	;; [unrolled: 1-line block ×4, first 2 shown]
	s_movk_i32 s6, 0x1a0
	s_waitcnt vmcnt(2) lgkmcnt(0)
	v_mul_f64 v[105:106], v[103:104], v[1:2]
	v_mul_f64 v[1:2], v[101:102], v[1:2]
	s_waitcnt vmcnt(0)
	v_fma_f64 v[105:106], v[101:102], v[3:4], -v[105:106]
	v_fma_f64 v[1:2], v[103:104], v[3:4], v[1:2]
	buffer_store_dword v105, off, s[0:3], 0 offset:400
	buffer_store_dword v106, off, s[0:3], 0 offset:404
	;; [unrolled: 1-line block ×4, first 2 shown]
.LBB121_332:                            ; =>This Inner Loop Header: Depth=1
	s_clause 0x3
	buffer_load_dword v105, off, s[0:3], 0 offset:408
	buffer_load_dword v106, off, s[0:3], 0 offset:412
	;; [unrolled: 1-line block ×4, first 2 shown]
	v_mov_b32_e32 v5, s6
	v_add_nc_u32_e32 v6, s6, v241
	s_addk_i32 s6, 0x70
	s_clause 0x3
	buffer_load_dword v109, v5, s[0:3], 0 offen
	buffer_load_dword v110, v5, s[0:3], 0 offen offset:4
	buffer_load_dword v111, v5, s[0:3], 0 offen offset:8
	;; [unrolled: 1-line block ×3, first 2 shown]
	ds_read2_b64 v[1:4], v6 offset1:1
	s_clause 0x2
	buffer_load_dword v113, v5, s[0:3], 0 offen offset:16
	buffer_load_dword v114, v5, s[0:3], 0 offen offset:20
	;; [unrolled: 1-line block ×3, first 2 shown]
	s_cmpk_lg_i32 s6, 0x3d0
	s_waitcnt vmcnt(9) lgkmcnt(0)
	v_mul_f64 v[116:117], v[3:4], v[105:106]
	v_mul_f64 v[105:106], v[1:2], v[105:106]
	s_waitcnt vmcnt(7)
	v_fma_f64 v[1:2], v[1:2], v[107:108], -v[116:117]
	v_fma_f64 v[3:4], v[3:4], v[107:108], v[105:106]
	s_waitcnt vmcnt(5)
	v_add_f64 v[1:2], v[109:110], -v[1:2]
	s_waitcnt vmcnt(3)
	v_add_f64 v[3:4], v[111:112], -v[3:4]
	buffer_store_dword v2, v5, s[0:3], 0 offen offset:4
	buffer_store_dword v1, v5, s[0:3], 0 offen
	buffer_store_dword v4, v5, s[0:3], 0 offen offset:12
	buffer_store_dword v3, v5, s[0:3], 0 offen offset:8
	s_clause 0x4
	buffer_load_dword v106, off, s[0:3], 0 offset:412
	buffer_load_dword v105, off, s[0:3], 0 offset:408
	;; [unrolled: 1-line block ×4, first 2 shown]
	buffer_load_dword v116, v5, s[0:3], 0 offen offset:28
	ds_read2_b64 v[1:4], v6 offset0:2 offset1:3
	s_waitcnt vmcnt(3) lgkmcnt(0)
	v_mul_f64 v[109:110], v[3:4], v[105:106]
	v_mul_f64 v[105:106], v[1:2], v[105:106]
	s_waitcnt vmcnt(1)
	v_fma_f64 v[1:2], v[1:2], v[107:108], -v[109:110]
	v_fma_f64 v[3:4], v[3:4], v[107:108], v[105:106]
	v_add_f64 v[1:2], v[113:114], -v[1:2]
	s_waitcnt vmcnt(0)
	v_add_f64 v[3:4], v[115:116], -v[3:4]
	buffer_store_dword v2, v5, s[0:3], 0 offen offset:20
	buffer_store_dword v1, v5, s[0:3], 0 offen offset:16
	buffer_store_dword v4, v5, s[0:3], 0 offen offset:28
	buffer_store_dword v3, v5, s[0:3], 0 offen offset:24
	s_clause 0x7
	buffer_load_dword v105, off, s[0:3], 0 offset:408
	buffer_load_dword v106, off, s[0:3], 0 offset:412
	buffer_load_dword v107, off, s[0:3], 0 offset:400
	buffer_load_dword v108, off, s[0:3], 0 offset:404
	buffer_load_dword v109, v5, s[0:3], 0 offen offset:32
	buffer_load_dword v110, v5, s[0:3], 0 offen offset:36
	buffer_load_dword v111, v5, s[0:3], 0 offen offset:40
	buffer_load_dword v112, v5, s[0:3], 0 offen offset:44
	ds_read2_b64 v[1:4], v6 offset0:4 offset1:5
	s_waitcnt vmcnt(6) lgkmcnt(0)
	v_mul_f64 v[113:114], v[3:4], v[105:106]
	v_mul_f64 v[105:106], v[1:2], v[105:106]
	s_waitcnt vmcnt(4)
	v_fma_f64 v[1:2], v[1:2], v[107:108], -v[113:114]
	v_fma_f64 v[3:4], v[3:4], v[107:108], v[105:106]
	s_waitcnt vmcnt(2)
	v_add_f64 v[1:2], v[109:110], -v[1:2]
	s_waitcnt vmcnt(0)
	v_add_f64 v[3:4], v[111:112], -v[3:4]
	buffer_store_dword v2, v5, s[0:3], 0 offen offset:36
	buffer_store_dword v1, v5, s[0:3], 0 offen offset:32
	buffer_store_dword v4, v5, s[0:3], 0 offen offset:44
	buffer_store_dword v3, v5, s[0:3], 0 offen offset:40
	s_clause 0x7
	buffer_load_dword v105, off, s[0:3], 0 offset:408
	buffer_load_dword v106, off, s[0:3], 0 offset:412
	buffer_load_dword v107, off, s[0:3], 0 offset:400
	buffer_load_dword v108, off, s[0:3], 0 offset:404
	buffer_load_dword v109, v5, s[0:3], 0 offen offset:48
	buffer_load_dword v110, v5, s[0:3], 0 offen offset:52
	buffer_load_dword v111, v5, s[0:3], 0 offen offset:56
	buffer_load_dword v112, v5, s[0:3], 0 offen offset:60
	ds_read2_b64 v[1:4], v6 offset0:6 offset1:7
	s_waitcnt vmcnt(6) lgkmcnt(0)
	v_mul_f64 v[113:114], v[3:4], v[105:106]
	v_mul_f64 v[105:106], v[1:2], v[105:106]
	s_waitcnt vmcnt(4)
	v_fma_f64 v[1:2], v[1:2], v[107:108], -v[113:114]
	v_fma_f64 v[3:4], v[3:4], v[107:108], v[105:106]
	s_waitcnt vmcnt(2)
	;; [unrolled: 24-line block ×5, first 2 shown]
	v_add_f64 v[1:2], v[109:110], -v[1:2]
	s_waitcnt vmcnt(0)
	v_add_f64 v[3:4], v[111:112], -v[3:4]
	buffer_store_dword v2, v5, s[0:3], 0 offen offset:100
	buffer_store_dword v1, v5, s[0:3], 0 offen offset:96
	;; [unrolled: 1-line block ×4, first 2 shown]
	s_cbranch_scc1 .LBB121_332
.LBB121_333:
	s_or_b32 exec_lo, exec_lo, s5
	s_mov_b32 s6, exec_lo
	s_waitcnt lgkmcnt(0)
	s_waitcnt_vscnt null, 0x0
	s_barrier
	buffer_gl0_inv
	v_cmpx_eq_u32_e32 26, v0
	s_cbranch_execz .LBB121_340
; %bb.334:
	v_mov_b32_e32 v4, s50
	s_clause 0x3
	buffer_load_dword v1, v4, s[0:3], 0 offen
	buffer_load_dword v2, v4, s[0:3], 0 offen offset:4
	buffer_load_dword v3, v4, s[0:3], 0 offen offset:8
	;; [unrolled: 1-line block ×3, first 2 shown]
	s_waitcnt vmcnt(0)
	ds_write2_b64 v255, v[1:2], v[3:4] offset1:1
	v_mov_b32_e32 v4, s49
	s_clause 0x3
	buffer_load_dword v1, v4, s[0:3], 0 offen
	buffer_load_dword v2, v4, s[0:3], 0 offen offset:4
	buffer_load_dword v3, v4, s[0:3], 0 offen offset:8
	buffer_load_dword v4, v4, s[0:3], 0 offen offset:12
	s_waitcnt vmcnt(0)
	ds_write2_b64 v241, v[1:2], v[3:4] offset0:54 offset1:55
	v_mov_b32_e32 v4, s48
	s_clause 0x3
	buffer_load_dword v1, v4, s[0:3], 0 offen
	buffer_load_dword v2, v4, s[0:3], 0 offen offset:4
	buffer_load_dword v3, v4, s[0:3], 0 offen offset:8
	buffer_load_dword v4, v4, s[0:3], 0 offen offset:12
	s_waitcnt vmcnt(0)
	ds_write2_b64 v241, v[1:2], v[3:4] offset0:56 offset1:57
	;; [unrolled: 8-line block ×34, first 2 shown]
	ds_read2_b64 v[105:108], v255 offset1:1
	s_waitcnt lgkmcnt(0)
	v_cmp_neq_f64_e32 vcc_lo, 0, v[105:106]
	v_cmp_neq_f64_e64 s5, 0, v[107:108]
	s_or_b32 s5, vcc_lo, s5
	s_and_b32 exec_lo, exec_lo, s5
	s_cbranch_execz .LBB121_340
; %bb.335:
	v_cmp_ngt_f64_e64 s5, |v[105:106]|, |v[107:108]|
                                        ; implicit-def: $vgpr1_vgpr2
	s_and_saveexec_b32 s7, s5
	s_xor_b32 s5, exec_lo, s7
                                        ; implicit-def: $vgpr3_vgpr4
	s_cbranch_execz .LBB121_337
; %bb.336:
	v_div_scale_f64 v[1:2], null, v[107:108], v[107:108], v[105:106]
	v_div_scale_f64 v[111:112], vcc_lo, v[105:106], v[107:108], v[105:106]
	v_rcp_f64_e32 v[3:4], v[1:2]
	v_fma_f64 v[109:110], -v[1:2], v[3:4], 1.0
	v_fma_f64 v[3:4], v[3:4], v[109:110], v[3:4]
	v_fma_f64 v[109:110], -v[1:2], v[3:4], 1.0
	v_fma_f64 v[3:4], v[3:4], v[109:110], v[3:4]
	v_mul_f64 v[109:110], v[111:112], v[3:4]
	v_fma_f64 v[1:2], -v[1:2], v[109:110], v[111:112]
	v_div_fmas_f64 v[1:2], v[1:2], v[3:4], v[109:110]
	v_div_fixup_f64 v[1:2], v[1:2], v[107:108], v[105:106]
	v_fma_f64 v[3:4], v[105:106], v[1:2], v[107:108]
	v_div_scale_f64 v[105:106], null, v[3:4], v[3:4], 1.0
	v_rcp_f64_e32 v[107:108], v[105:106]
	v_fma_f64 v[109:110], -v[105:106], v[107:108], 1.0
	v_fma_f64 v[107:108], v[107:108], v[109:110], v[107:108]
	v_fma_f64 v[109:110], -v[105:106], v[107:108], 1.0
	v_fma_f64 v[107:108], v[107:108], v[109:110], v[107:108]
	v_div_scale_f64 v[109:110], vcc_lo, 1.0, v[3:4], 1.0
	v_mul_f64 v[111:112], v[109:110], v[107:108]
	v_fma_f64 v[105:106], -v[105:106], v[111:112], v[109:110]
	v_div_fmas_f64 v[105:106], v[105:106], v[107:108], v[111:112]
	v_div_fixup_f64 v[3:4], v[105:106], v[3:4], 1.0
                                        ; implicit-def: $vgpr105_vgpr106
	v_mul_f64 v[1:2], v[1:2], v[3:4]
	v_xor_b32_e32 v4, 0x80000000, v4
.LBB121_337:
	s_andn2_saveexec_b32 s5, s5
	s_cbranch_execz .LBB121_339
; %bb.338:
	v_div_scale_f64 v[1:2], null, v[105:106], v[105:106], v[107:108]
	v_div_scale_f64 v[111:112], vcc_lo, v[107:108], v[105:106], v[107:108]
	v_rcp_f64_e32 v[3:4], v[1:2]
	v_fma_f64 v[109:110], -v[1:2], v[3:4], 1.0
	v_fma_f64 v[3:4], v[3:4], v[109:110], v[3:4]
	v_fma_f64 v[109:110], -v[1:2], v[3:4], 1.0
	v_fma_f64 v[3:4], v[3:4], v[109:110], v[3:4]
	v_mul_f64 v[109:110], v[111:112], v[3:4]
	v_fma_f64 v[1:2], -v[1:2], v[109:110], v[111:112]
	v_div_fmas_f64 v[1:2], v[1:2], v[3:4], v[109:110]
	v_div_fixup_f64 v[3:4], v[1:2], v[105:106], v[107:108]
	v_fma_f64 v[1:2], v[107:108], v[3:4], v[105:106]
	v_div_scale_f64 v[105:106], null, v[1:2], v[1:2], 1.0
	v_rcp_f64_e32 v[107:108], v[105:106]
	v_fma_f64 v[109:110], -v[105:106], v[107:108], 1.0
	v_fma_f64 v[107:108], v[107:108], v[109:110], v[107:108]
	v_fma_f64 v[109:110], -v[105:106], v[107:108], 1.0
	v_fma_f64 v[107:108], v[107:108], v[109:110], v[107:108]
	v_div_scale_f64 v[109:110], vcc_lo, 1.0, v[1:2], 1.0
	v_mul_f64 v[111:112], v[109:110], v[107:108]
	v_fma_f64 v[105:106], -v[105:106], v[111:112], v[109:110]
	v_div_fmas_f64 v[105:106], v[105:106], v[107:108], v[111:112]
	v_div_fixup_f64 v[1:2], v[105:106], v[1:2], 1.0
	v_mul_f64 v[3:4], v[3:4], -v[1:2]
.LBB121_339:
	s_or_b32 exec_lo, exec_lo, s5
	ds_write2_b64 v255, v[1:2], v[3:4] offset1:1
.LBB121_340:
	s_or_b32 exec_lo, exec_lo, s6
	s_waitcnt lgkmcnt(0)
	s_barrier
	buffer_gl0_inv
	ds_read2_b64 v[105:108], v255 offset1:1
	s_mov_b32 s5, exec_lo
	v_cmpx_lt_u32_e32 26, v0
	s_cbranch_execz .LBB121_343
; %bb.341:
	s_clause 0x3
	buffer_load_dword v1, off, s[0:3], 0 offset:424
	buffer_load_dword v2, off, s[0:3], 0 offset:428
	;; [unrolled: 1-line block ×4, first 2 shown]
	s_movk_i32 s6, 0x1b0
	s_waitcnt vmcnt(2) lgkmcnt(0)
	v_mul_f64 v[109:110], v[107:108], v[1:2]
	v_mul_f64 v[1:2], v[105:106], v[1:2]
	s_waitcnt vmcnt(0)
	v_fma_f64 v[109:110], v[105:106], v[3:4], -v[109:110]
	v_fma_f64 v[1:2], v[107:108], v[3:4], v[1:2]
	buffer_store_dword v109, off, s[0:3], 0 offset:416
	buffer_store_dword v110, off, s[0:3], 0 offset:420
	;; [unrolled: 1-line block ×4, first 2 shown]
.LBB121_342:                            ; =>This Inner Loop Header: Depth=1
	v_add_nc_u32_e32 v5, s6, v241
	v_mov_b32_e32 v6, s6
	s_add_i32 s6, s6, 32
	s_cmpk_lg_i32 s6, 0x3d0
	ds_read2_b64 v[1:4], v5 offset1:1
	s_clause 0x3
	buffer_load_dword v109, off, s[0:3], 0 offset:416
	buffer_load_dword v110, off, s[0:3], 0 offset:420
	;; [unrolled: 1-line block ×4, first 2 shown]
	s_waitcnt vmcnt(0) lgkmcnt(0)
	v_mul_f64 v[113:114], v[3:4], v[111:112]
	v_fma_f64 v[113:114], v[1:2], v[109:110], -v[113:114]
	v_mul_f64 v[1:2], v[1:2], v[111:112]
	v_fma_f64 v[1:2], v[3:4], v[109:110], v[1:2]
	s_clause 0x7
	buffer_load_dword v3, v6, s[0:3], 0 offen
	buffer_load_dword v4, v6, s[0:3], 0 offen offset:4
	buffer_load_dword v109, v6, s[0:3], 0 offen offset:8
	;; [unrolled: 1-line block ×7, first 2 shown]
	s_waitcnt vmcnt(6)
	v_add_f64 v[3:4], v[3:4], -v[113:114]
	s_waitcnt vmcnt(4)
	v_add_f64 v[1:2], v[109:110], -v[1:2]
	buffer_store_dword v4, v6, s[0:3], 0 offen offset:4
	buffer_store_dword v3, v6, s[0:3], 0 offen
	buffer_store_dword v2, v6, s[0:3], 0 offen offset:12
	buffer_store_dword v1, v6, s[0:3], 0 offen offset:8
	ds_read2_b64 v[1:4], v5 offset0:2 offset1:3
	s_clause 0x3
	buffer_load_dword v110, off, s[0:3], 0 offset:420
	buffer_load_dword v109, off, s[0:3], 0 offset:416
	;; [unrolled: 1-line block ×4, first 2 shown]
	s_waitcnt vmcnt(0) lgkmcnt(0)
	v_mul_f64 v[117:118], v[3:4], v[113:114]
	v_fma_f64 v[117:118], v[1:2], v[109:110], -v[117:118]
	v_mul_f64 v[1:2], v[1:2], v[113:114]
	v_fma_f64 v[1:2], v[3:4], v[109:110], v[1:2]
	v_add_f64 v[3:4], v[111:112], -v[117:118]
	v_add_f64 v[1:2], v[115:116], -v[1:2]
	buffer_store_dword v4, v6, s[0:3], 0 offen offset:20
	buffer_store_dword v3, v6, s[0:3], 0 offen offset:16
	;; [unrolled: 1-line block ×4, first 2 shown]
	s_cbranch_scc1 .LBB121_342
.LBB121_343:
	s_or_b32 exec_lo, exec_lo, s5
	s_mov_b32 s6, exec_lo
	s_waitcnt lgkmcnt(0)
	s_waitcnt_vscnt null, 0x0
	s_barrier
	buffer_gl0_inv
	v_cmpx_eq_u32_e32 27, v0
	s_cbranch_execz .LBB121_350
; %bb.344:
	v_mov_b32_e32 v4, s49
	s_clause 0x3
	buffer_load_dword v1, v4, s[0:3], 0 offen
	buffer_load_dword v2, v4, s[0:3], 0 offen offset:4
	buffer_load_dword v3, v4, s[0:3], 0 offen offset:8
	;; [unrolled: 1-line block ×3, first 2 shown]
	s_waitcnt vmcnt(0)
	ds_write2_b64 v255, v[1:2], v[3:4] offset1:1
	v_mov_b32_e32 v4, s48
	s_clause 0x3
	buffer_load_dword v1, v4, s[0:3], 0 offen
	buffer_load_dword v2, v4, s[0:3], 0 offen offset:4
	buffer_load_dword v3, v4, s[0:3], 0 offen offset:8
	buffer_load_dword v4, v4, s[0:3], 0 offen offset:12
	s_waitcnt vmcnt(0)
	ds_write2_b64 v241, v[1:2], v[3:4] offset0:56 offset1:57
	v_mov_b32_e32 v4, s47
	s_clause 0x3
	buffer_load_dword v1, v4, s[0:3], 0 offen
	buffer_load_dword v2, v4, s[0:3], 0 offen offset:4
	buffer_load_dword v3, v4, s[0:3], 0 offen offset:8
	buffer_load_dword v4, v4, s[0:3], 0 offen offset:12
	s_waitcnt vmcnt(0)
	ds_write2_b64 v241, v[1:2], v[3:4] offset0:58 offset1:59
	;; [unrolled: 8-line block ×33, first 2 shown]
	ds_read2_b64 v[109:112], v255 offset1:1
	s_waitcnt lgkmcnt(0)
	v_cmp_neq_f64_e32 vcc_lo, 0, v[109:110]
	v_cmp_neq_f64_e64 s5, 0, v[111:112]
	s_or_b32 s5, vcc_lo, s5
	s_and_b32 exec_lo, exec_lo, s5
	s_cbranch_execz .LBB121_350
; %bb.345:
	v_cmp_ngt_f64_e64 s5, |v[109:110]|, |v[111:112]|
                                        ; implicit-def: $vgpr1_vgpr2
	s_and_saveexec_b32 s7, s5
	s_xor_b32 s5, exec_lo, s7
                                        ; implicit-def: $vgpr3_vgpr4
	s_cbranch_execz .LBB121_347
; %bb.346:
	v_div_scale_f64 v[1:2], null, v[111:112], v[111:112], v[109:110]
	v_div_scale_f64 v[115:116], vcc_lo, v[109:110], v[111:112], v[109:110]
	v_rcp_f64_e32 v[3:4], v[1:2]
	v_fma_f64 v[113:114], -v[1:2], v[3:4], 1.0
	v_fma_f64 v[3:4], v[3:4], v[113:114], v[3:4]
	v_fma_f64 v[113:114], -v[1:2], v[3:4], 1.0
	v_fma_f64 v[3:4], v[3:4], v[113:114], v[3:4]
	v_mul_f64 v[113:114], v[115:116], v[3:4]
	v_fma_f64 v[1:2], -v[1:2], v[113:114], v[115:116]
	v_div_fmas_f64 v[1:2], v[1:2], v[3:4], v[113:114]
	v_div_fixup_f64 v[1:2], v[1:2], v[111:112], v[109:110]
	v_fma_f64 v[3:4], v[109:110], v[1:2], v[111:112]
	v_div_scale_f64 v[109:110], null, v[3:4], v[3:4], 1.0
	v_rcp_f64_e32 v[111:112], v[109:110]
	v_fma_f64 v[113:114], -v[109:110], v[111:112], 1.0
	v_fma_f64 v[111:112], v[111:112], v[113:114], v[111:112]
	v_fma_f64 v[113:114], -v[109:110], v[111:112], 1.0
	v_fma_f64 v[111:112], v[111:112], v[113:114], v[111:112]
	v_div_scale_f64 v[113:114], vcc_lo, 1.0, v[3:4], 1.0
	v_mul_f64 v[115:116], v[113:114], v[111:112]
	v_fma_f64 v[109:110], -v[109:110], v[115:116], v[113:114]
	v_div_fmas_f64 v[109:110], v[109:110], v[111:112], v[115:116]
	v_div_fixup_f64 v[3:4], v[109:110], v[3:4], 1.0
                                        ; implicit-def: $vgpr109_vgpr110
	v_mul_f64 v[1:2], v[1:2], v[3:4]
	v_xor_b32_e32 v4, 0x80000000, v4
.LBB121_347:
	s_andn2_saveexec_b32 s5, s5
	s_cbranch_execz .LBB121_349
; %bb.348:
	v_div_scale_f64 v[1:2], null, v[109:110], v[109:110], v[111:112]
	v_div_scale_f64 v[115:116], vcc_lo, v[111:112], v[109:110], v[111:112]
	v_rcp_f64_e32 v[3:4], v[1:2]
	v_fma_f64 v[113:114], -v[1:2], v[3:4], 1.0
	v_fma_f64 v[3:4], v[3:4], v[113:114], v[3:4]
	v_fma_f64 v[113:114], -v[1:2], v[3:4], 1.0
	v_fma_f64 v[3:4], v[3:4], v[113:114], v[3:4]
	v_mul_f64 v[113:114], v[115:116], v[3:4]
	v_fma_f64 v[1:2], -v[1:2], v[113:114], v[115:116]
	v_div_fmas_f64 v[1:2], v[1:2], v[3:4], v[113:114]
	v_div_fixup_f64 v[3:4], v[1:2], v[109:110], v[111:112]
	v_fma_f64 v[1:2], v[111:112], v[3:4], v[109:110]
	v_div_scale_f64 v[109:110], null, v[1:2], v[1:2], 1.0
	v_rcp_f64_e32 v[111:112], v[109:110]
	v_fma_f64 v[113:114], -v[109:110], v[111:112], 1.0
	v_fma_f64 v[111:112], v[111:112], v[113:114], v[111:112]
	v_fma_f64 v[113:114], -v[109:110], v[111:112], 1.0
	v_fma_f64 v[111:112], v[111:112], v[113:114], v[111:112]
	v_div_scale_f64 v[113:114], vcc_lo, 1.0, v[1:2], 1.0
	v_mul_f64 v[115:116], v[113:114], v[111:112]
	v_fma_f64 v[109:110], -v[109:110], v[115:116], v[113:114]
	v_div_fmas_f64 v[109:110], v[109:110], v[111:112], v[115:116]
	v_div_fixup_f64 v[1:2], v[109:110], v[1:2], 1.0
	v_mul_f64 v[3:4], v[3:4], -v[1:2]
.LBB121_349:
	s_or_b32 exec_lo, exec_lo, s5
	ds_write2_b64 v255, v[1:2], v[3:4] offset1:1
.LBB121_350:
	s_or_b32 exec_lo, exec_lo, s6
	s_waitcnt lgkmcnt(0)
	s_barrier
	buffer_gl0_inv
	ds_read2_b64 v[109:112], v255 offset1:1
	s_mov_b32 s5, exec_lo
	v_cmpx_lt_u32_e32 27, v0
	s_cbranch_execz .LBB121_353
; %bb.351:
	s_clause 0x3
	buffer_load_dword v1, off, s[0:3], 0 offset:440
	buffer_load_dword v2, off, s[0:3], 0 offset:444
	buffer_load_dword v3, off, s[0:3], 0 offset:432
	buffer_load_dword v4, off, s[0:3], 0 offset:436
	s_movk_i32 s6, 0x1c0
	s_waitcnt vmcnt(2) lgkmcnt(0)
	v_mul_f64 v[113:114], v[111:112], v[1:2]
	v_mul_f64 v[1:2], v[109:110], v[1:2]
	s_waitcnt vmcnt(0)
	v_fma_f64 v[113:114], v[109:110], v[3:4], -v[113:114]
	v_fma_f64 v[1:2], v[111:112], v[3:4], v[1:2]
	buffer_store_dword v113, off, s[0:3], 0 offset:432
	buffer_store_dword v114, off, s[0:3], 0 offset:436
	;; [unrolled: 1-line block ×4, first 2 shown]
.LBB121_352:                            ; =>This Inner Loop Header: Depth=1
	s_clause 0x3
	buffer_load_dword v113, off, s[0:3], 0 offset:440
	buffer_load_dword v114, off, s[0:3], 0 offset:444
	;; [unrolled: 1-line block ×4, first 2 shown]
	v_mov_b32_e32 v5, s6
	v_add_nc_u32_e32 v6, s6, v241
	s_add_i32 s6, s6, 48
	s_clause 0x3
	buffer_load_dword v117, v5, s[0:3], 0 offen
	buffer_load_dword v118, v5, s[0:3], 0 offen offset:4
	buffer_load_dword v119, v5, s[0:3], 0 offen offset:8
	;; [unrolled: 1-line block ×3, first 2 shown]
	ds_read2_b64 v[1:4], v6 offset1:1
	s_cmpk_lg_i32 s6, 0x3d0
	s_waitcnt vmcnt(6) lgkmcnt(0)
	v_mul_f64 v[121:122], v[3:4], v[113:114]
	v_mul_f64 v[113:114], v[1:2], v[113:114]
	s_waitcnt vmcnt(4)
	v_fma_f64 v[1:2], v[1:2], v[115:116], -v[121:122]
	v_fma_f64 v[3:4], v[3:4], v[115:116], v[113:114]
	s_waitcnt vmcnt(2)
	v_add_f64 v[1:2], v[117:118], -v[1:2]
	s_waitcnt vmcnt(0)
	v_add_f64 v[3:4], v[119:120], -v[3:4]
	buffer_store_dword v2, v5, s[0:3], 0 offen offset:4
	buffer_store_dword v1, v5, s[0:3], 0 offen
	buffer_store_dword v4, v5, s[0:3], 0 offen offset:12
	buffer_store_dword v3, v5, s[0:3], 0 offen offset:8
	s_clause 0x7
	buffer_load_dword v114, off, s[0:3], 0 offset:444
	buffer_load_dword v113, off, s[0:3], 0 offset:440
	;; [unrolled: 1-line block ×4, first 2 shown]
	buffer_load_dword v117, v5, s[0:3], 0 offen offset:16
	buffer_load_dword v118, v5, s[0:3], 0 offen offset:20
	;; [unrolled: 1-line block ×4, first 2 shown]
	ds_read2_b64 v[1:4], v6 offset0:2 offset1:3
	s_waitcnt vmcnt(6) lgkmcnt(0)
	v_mul_f64 v[121:122], v[3:4], v[113:114]
	v_mul_f64 v[113:114], v[1:2], v[113:114]
	s_waitcnt vmcnt(4)
	v_fma_f64 v[1:2], v[1:2], v[115:116], -v[121:122]
	v_fma_f64 v[3:4], v[3:4], v[115:116], v[113:114]
	s_waitcnt vmcnt(2)
	v_add_f64 v[1:2], v[117:118], -v[1:2]
	s_waitcnt vmcnt(0)
	v_add_f64 v[3:4], v[119:120], -v[3:4]
	buffer_store_dword v2, v5, s[0:3], 0 offen offset:20
	buffer_store_dword v1, v5, s[0:3], 0 offen offset:16
	;; [unrolled: 1-line block ×4, first 2 shown]
	s_clause 0x7
	buffer_load_dword v113, off, s[0:3], 0 offset:440
	buffer_load_dword v114, off, s[0:3], 0 offset:444
	;; [unrolled: 1-line block ×4, first 2 shown]
	buffer_load_dword v117, v5, s[0:3], 0 offen offset:32
	buffer_load_dword v118, v5, s[0:3], 0 offen offset:36
	;; [unrolled: 1-line block ×4, first 2 shown]
	ds_read2_b64 v[1:4], v6 offset0:4 offset1:5
	s_waitcnt vmcnt(6) lgkmcnt(0)
	v_mul_f64 v[121:122], v[3:4], v[113:114]
	v_mul_f64 v[113:114], v[1:2], v[113:114]
	s_waitcnt vmcnt(4)
	v_fma_f64 v[1:2], v[1:2], v[115:116], -v[121:122]
	v_fma_f64 v[3:4], v[3:4], v[115:116], v[113:114]
	s_waitcnt vmcnt(2)
	v_add_f64 v[1:2], v[117:118], -v[1:2]
	s_waitcnt vmcnt(0)
	v_add_f64 v[3:4], v[119:120], -v[3:4]
	buffer_store_dword v2, v5, s[0:3], 0 offen offset:36
	buffer_store_dword v1, v5, s[0:3], 0 offen offset:32
	;; [unrolled: 1-line block ×4, first 2 shown]
	s_cbranch_scc1 .LBB121_352
.LBB121_353:
	s_or_b32 exec_lo, exec_lo, s5
	s_mov_b32 s6, exec_lo
	s_waitcnt lgkmcnt(0)
	s_waitcnt_vscnt null, 0x0
	s_barrier
	buffer_gl0_inv
	v_cmpx_eq_u32_e32 28, v0
	s_cbranch_execz .LBB121_360
; %bb.354:
	v_mov_b32_e32 v4, s48
	s_clause 0x3
	buffer_load_dword v1, v4, s[0:3], 0 offen
	buffer_load_dword v2, v4, s[0:3], 0 offen offset:4
	buffer_load_dword v3, v4, s[0:3], 0 offen offset:8
	;; [unrolled: 1-line block ×3, first 2 shown]
	s_waitcnt vmcnt(0)
	ds_write2_b64 v255, v[1:2], v[3:4] offset1:1
	v_mov_b32_e32 v4, s47
	s_clause 0x3
	buffer_load_dword v1, v4, s[0:3], 0 offen
	buffer_load_dword v2, v4, s[0:3], 0 offen offset:4
	buffer_load_dword v3, v4, s[0:3], 0 offen offset:8
	buffer_load_dword v4, v4, s[0:3], 0 offen offset:12
	s_waitcnt vmcnt(0)
	ds_write2_b64 v241, v[1:2], v[3:4] offset0:58 offset1:59
	v_mov_b32_e32 v4, s46
	s_clause 0x3
	buffer_load_dword v1, v4, s[0:3], 0 offen
	buffer_load_dword v2, v4, s[0:3], 0 offen offset:4
	buffer_load_dword v3, v4, s[0:3], 0 offen offset:8
	buffer_load_dword v4, v4, s[0:3], 0 offen offset:12
	s_waitcnt vmcnt(0)
	ds_write2_b64 v241, v[1:2], v[3:4] offset0:60 offset1:61
	;; [unrolled: 8-line block ×32, first 2 shown]
	ds_read2_b64 v[113:116], v255 offset1:1
	s_waitcnt lgkmcnt(0)
	v_cmp_neq_f64_e32 vcc_lo, 0, v[113:114]
	v_cmp_neq_f64_e64 s5, 0, v[115:116]
	s_or_b32 s5, vcc_lo, s5
	s_and_b32 exec_lo, exec_lo, s5
	s_cbranch_execz .LBB121_360
; %bb.355:
	v_cmp_ngt_f64_e64 s5, |v[113:114]|, |v[115:116]|
                                        ; implicit-def: $vgpr1_vgpr2
	s_and_saveexec_b32 s7, s5
	s_xor_b32 s5, exec_lo, s7
                                        ; implicit-def: $vgpr3_vgpr4
	s_cbranch_execz .LBB121_357
; %bb.356:
	v_div_scale_f64 v[1:2], null, v[115:116], v[115:116], v[113:114]
	v_div_scale_f64 v[119:120], vcc_lo, v[113:114], v[115:116], v[113:114]
	v_rcp_f64_e32 v[3:4], v[1:2]
	v_fma_f64 v[117:118], -v[1:2], v[3:4], 1.0
	v_fma_f64 v[3:4], v[3:4], v[117:118], v[3:4]
	v_fma_f64 v[117:118], -v[1:2], v[3:4], 1.0
	v_fma_f64 v[3:4], v[3:4], v[117:118], v[3:4]
	v_mul_f64 v[117:118], v[119:120], v[3:4]
	v_fma_f64 v[1:2], -v[1:2], v[117:118], v[119:120]
	v_div_fmas_f64 v[1:2], v[1:2], v[3:4], v[117:118]
	v_div_fixup_f64 v[1:2], v[1:2], v[115:116], v[113:114]
	v_fma_f64 v[3:4], v[113:114], v[1:2], v[115:116]
	v_div_scale_f64 v[113:114], null, v[3:4], v[3:4], 1.0
	v_rcp_f64_e32 v[115:116], v[113:114]
	v_fma_f64 v[117:118], -v[113:114], v[115:116], 1.0
	v_fma_f64 v[115:116], v[115:116], v[117:118], v[115:116]
	v_fma_f64 v[117:118], -v[113:114], v[115:116], 1.0
	v_fma_f64 v[115:116], v[115:116], v[117:118], v[115:116]
	v_div_scale_f64 v[117:118], vcc_lo, 1.0, v[3:4], 1.0
	v_mul_f64 v[119:120], v[117:118], v[115:116]
	v_fma_f64 v[113:114], -v[113:114], v[119:120], v[117:118]
	v_div_fmas_f64 v[113:114], v[113:114], v[115:116], v[119:120]
	v_div_fixup_f64 v[3:4], v[113:114], v[3:4], 1.0
                                        ; implicit-def: $vgpr113_vgpr114
	v_mul_f64 v[1:2], v[1:2], v[3:4]
	v_xor_b32_e32 v4, 0x80000000, v4
.LBB121_357:
	s_andn2_saveexec_b32 s5, s5
	s_cbranch_execz .LBB121_359
; %bb.358:
	v_div_scale_f64 v[1:2], null, v[113:114], v[113:114], v[115:116]
	v_div_scale_f64 v[119:120], vcc_lo, v[115:116], v[113:114], v[115:116]
	v_rcp_f64_e32 v[3:4], v[1:2]
	v_fma_f64 v[117:118], -v[1:2], v[3:4], 1.0
	v_fma_f64 v[3:4], v[3:4], v[117:118], v[3:4]
	v_fma_f64 v[117:118], -v[1:2], v[3:4], 1.0
	v_fma_f64 v[3:4], v[3:4], v[117:118], v[3:4]
	v_mul_f64 v[117:118], v[119:120], v[3:4]
	v_fma_f64 v[1:2], -v[1:2], v[117:118], v[119:120]
	v_div_fmas_f64 v[1:2], v[1:2], v[3:4], v[117:118]
	v_div_fixup_f64 v[3:4], v[1:2], v[113:114], v[115:116]
	v_fma_f64 v[1:2], v[115:116], v[3:4], v[113:114]
	v_div_scale_f64 v[113:114], null, v[1:2], v[1:2], 1.0
	v_rcp_f64_e32 v[115:116], v[113:114]
	v_fma_f64 v[117:118], -v[113:114], v[115:116], 1.0
	v_fma_f64 v[115:116], v[115:116], v[117:118], v[115:116]
	v_fma_f64 v[117:118], -v[113:114], v[115:116], 1.0
	v_fma_f64 v[115:116], v[115:116], v[117:118], v[115:116]
	v_div_scale_f64 v[117:118], vcc_lo, 1.0, v[1:2], 1.0
	v_mul_f64 v[119:120], v[117:118], v[115:116]
	v_fma_f64 v[113:114], -v[113:114], v[119:120], v[117:118]
	v_div_fmas_f64 v[113:114], v[113:114], v[115:116], v[119:120]
	v_div_fixup_f64 v[1:2], v[113:114], v[1:2], 1.0
	v_mul_f64 v[3:4], v[3:4], -v[1:2]
.LBB121_359:
	s_or_b32 exec_lo, exec_lo, s5
	ds_write2_b64 v255, v[1:2], v[3:4] offset1:1
.LBB121_360:
	s_or_b32 exec_lo, exec_lo, s6
	s_waitcnt lgkmcnt(0)
	s_barrier
	buffer_gl0_inv
	ds_read2_b64 v[113:116], v255 offset1:1
	s_mov_b32 s5, exec_lo
	v_cmpx_lt_u32_e32 28, v0
	s_cbranch_execz .LBB121_363
; %bb.361:
	s_clause 0x3
	buffer_load_dword v1, off, s[0:3], 0 offset:456
	buffer_load_dword v2, off, s[0:3], 0 offset:460
	;; [unrolled: 1-line block ×4, first 2 shown]
	s_mov_b32 s6, 0
	s_waitcnt vmcnt(2) lgkmcnt(0)
	v_mul_f64 v[117:118], v[115:116], v[1:2]
	v_mul_f64 v[1:2], v[113:114], v[1:2]
	s_waitcnt vmcnt(0)
	v_fma_f64 v[117:118], v[113:114], v[3:4], -v[117:118]
	v_fma_f64 v[119:120], v[115:116], v[3:4], v[1:2]
	buffer_store_dword v117, off, s[0:3], 0 offset:448
	buffer_store_dword v118, off, s[0:3], 0 offset:452
	;; [unrolled: 1-line block ×4, first 2 shown]
.LBB121_362:                            ; =>This Inner Loop Header: Depth=1
	v_add3_u32 v1, v177, 0, 0x1d0
	v_mov_b32_e32 v6, s6
	v_add_nc_u32_e32 v5, s6, v1
	s_add_i32 s6, s6, 64
	s_cmpk_lg_i32 s6, 0x200
	ds_read2_b64 v[1:4], v5 offset1:1
	s_waitcnt lgkmcnt(0)
	v_mul_f64 v[121:122], v[3:4], v[119:120]
	v_fma_f64 v[121:122], v[1:2], v[117:118], -v[121:122]
	v_mul_f64 v[1:2], v[1:2], v[119:120]
	v_fma_f64 v[1:2], v[3:4], v[117:118], v[1:2]
	s_clause 0xf
	buffer_load_dword v3, v6, s[0:3], 0 offen offset:464
	buffer_load_dword v4, v6, s[0:3], 0 offen offset:468
	;; [unrolled: 1-line block ×16, first 2 shown]
	s_waitcnt vmcnt(14)
	v_add_f64 v[3:4], v[3:4], -v[121:122]
	s_waitcnt vmcnt(12)
	v_add_f64 v[1:2], v[123:124], -v[1:2]
	buffer_store_dword v3, v6, s[0:3], 0 offen offset:464
	buffer_store_dword v4, v6, s[0:3], 0 offen offset:468
	buffer_store_dword v1, v6, s[0:3], 0 offen offset:472
	buffer_store_dword v2, v6, s[0:3], 0 offen offset:476
	ds_read2_b64 v[1:4], v5 offset0:2 offset1:3
	s_waitcnt lgkmcnt(0)
	v_mul_f64 v[121:122], v[3:4], v[119:120]
	v_fma_f64 v[121:122], v[1:2], v[117:118], -v[121:122]
	v_mul_f64 v[1:2], v[1:2], v[119:120]
	v_fma_f64 v[1:2], v[3:4], v[117:118], v[1:2]
	s_waitcnt vmcnt(10)
	v_add_f64 v[3:4], v[125:126], -v[121:122]
	s_waitcnt vmcnt(8)
	v_add_f64 v[1:2], v[127:128], -v[1:2]
	buffer_store_dword v3, v6, s[0:3], 0 offen offset:480
	buffer_store_dword v4, v6, s[0:3], 0 offen offset:484
	buffer_store_dword v1, v6, s[0:3], 0 offen offset:488
	buffer_store_dword v2, v6, s[0:3], 0 offen offset:492
	ds_read2_b64 v[1:4], v5 offset0:4 offset1:5
	s_waitcnt lgkmcnt(0)
	v_mul_f64 v[121:122], v[3:4], v[119:120]
	v_fma_f64 v[121:122], v[1:2], v[117:118], -v[121:122]
	v_mul_f64 v[1:2], v[1:2], v[119:120]
	v_fma_f64 v[1:2], v[3:4], v[117:118], v[1:2]
	;; [unrolled: 14-line block ×3, first 2 shown]
	s_waitcnt vmcnt(2)
	v_add_f64 v[3:4], v[133:134], -v[121:122]
	s_waitcnt vmcnt(0)
	v_add_f64 v[1:2], v[135:136], -v[1:2]
	buffer_store_dword v4, v6, s[0:3], 0 offen offset:516
	buffer_store_dword v3, v6, s[0:3], 0 offen offset:512
	;; [unrolled: 1-line block ×4, first 2 shown]
	s_cbranch_scc1 .LBB121_362
.LBB121_363:
	s_or_b32 exec_lo, exec_lo, s5
	s_mov_b32 s6, exec_lo
	s_waitcnt lgkmcnt(0)
	s_waitcnt_vscnt null, 0x0
	s_barrier
	buffer_gl0_inv
	v_cmpx_eq_u32_e32 29, v0
	s_cbranch_execz .LBB121_370
; %bb.364:
	v_mov_b32_e32 v4, s47
	s_clause 0x3
	buffer_load_dword v1, v4, s[0:3], 0 offen
	buffer_load_dword v2, v4, s[0:3], 0 offen offset:4
	buffer_load_dword v3, v4, s[0:3], 0 offen offset:8
	;; [unrolled: 1-line block ×3, first 2 shown]
	s_waitcnt vmcnt(0)
	ds_write2_b64 v255, v[1:2], v[3:4] offset1:1
	v_mov_b32_e32 v4, s46
	s_clause 0x3
	buffer_load_dword v1, v4, s[0:3], 0 offen
	buffer_load_dword v2, v4, s[0:3], 0 offen offset:4
	buffer_load_dword v3, v4, s[0:3], 0 offen offset:8
	buffer_load_dword v4, v4, s[0:3], 0 offen offset:12
	s_waitcnt vmcnt(0)
	ds_write2_b64 v241, v[1:2], v[3:4] offset0:60 offset1:61
	v_mov_b32_e32 v4, s45
	s_clause 0x3
	buffer_load_dword v1, v4, s[0:3], 0 offen
	buffer_load_dword v2, v4, s[0:3], 0 offen offset:4
	buffer_load_dword v3, v4, s[0:3], 0 offen offset:8
	buffer_load_dword v4, v4, s[0:3], 0 offen offset:12
	s_waitcnt vmcnt(0)
	ds_write2_b64 v241, v[1:2], v[3:4] offset0:62 offset1:63
	;; [unrolled: 8-line block ×31, first 2 shown]
	ds_read2_b64 v[117:120], v255 offset1:1
	s_waitcnt lgkmcnt(0)
	v_cmp_neq_f64_e32 vcc_lo, 0, v[117:118]
	v_cmp_neq_f64_e64 s5, 0, v[119:120]
	s_or_b32 s5, vcc_lo, s5
	s_and_b32 exec_lo, exec_lo, s5
	s_cbranch_execz .LBB121_370
; %bb.365:
	v_cmp_ngt_f64_e64 s5, |v[117:118]|, |v[119:120]|
                                        ; implicit-def: $vgpr1_vgpr2
	s_and_saveexec_b32 s7, s5
	s_xor_b32 s5, exec_lo, s7
                                        ; implicit-def: $vgpr3_vgpr4
	s_cbranch_execz .LBB121_367
; %bb.366:
	v_div_scale_f64 v[1:2], null, v[119:120], v[119:120], v[117:118]
	v_div_scale_f64 v[123:124], vcc_lo, v[117:118], v[119:120], v[117:118]
	v_rcp_f64_e32 v[3:4], v[1:2]
	v_fma_f64 v[121:122], -v[1:2], v[3:4], 1.0
	v_fma_f64 v[3:4], v[3:4], v[121:122], v[3:4]
	v_fma_f64 v[121:122], -v[1:2], v[3:4], 1.0
	v_fma_f64 v[3:4], v[3:4], v[121:122], v[3:4]
	v_mul_f64 v[121:122], v[123:124], v[3:4]
	v_fma_f64 v[1:2], -v[1:2], v[121:122], v[123:124]
	v_div_fmas_f64 v[1:2], v[1:2], v[3:4], v[121:122]
	v_div_fixup_f64 v[1:2], v[1:2], v[119:120], v[117:118]
	v_fma_f64 v[3:4], v[117:118], v[1:2], v[119:120]
	v_div_scale_f64 v[117:118], null, v[3:4], v[3:4], 1.0
	v_rcp_f64_e32 v[119:120], v[117:118]
	v_fma_f64 v[121:122], -v[117:118], v[119:120], 1.0
	v_fma_f64 v[119:120], v[119:120], v[121:122], v[119:120]
	v_fma_f64 v[121:122], -v[117:118], v[119:120], 1.0
	v_fma_f64 v[119:120], v[119:120], v[121:122], v[119:120]
	v_div_scale_f64 v[121:122], vcc_lo, 1.0, v[3:4], 1.0
	v_mul_f64 v[123:124], v[121:122], v[119:120]
	v_fma_f64 v[117:118], -v[117:118], v[123:124], v[121:122]
	v_div_fmas_f64 v[117:118], v[117:118], v[119:120], v[123:124]
	v_div_fixup_f64 v[3:4], v[117:118], v[3:4], 1.0
                                        ; implicit-def: $vgpr117_vgpr118
	v_mul_f64 v[1:2], v[1:2], v[3:4]
	v_xor_b32_e32 v4, 0x80000000, v4
.LBB121_367:
	s_andn2_saveexec_b32 s5, s5
	s_cbranch_execz .LBB121_369
; %bb.368:
	v_div_scale_f64 v[1:2], null, v[117:118], v[117:118], v[119:120]
	v_div_scale_f64 v[123:124], vcc_lo, v[119:120], v[117:118], v[119:120]
	v_rcp_f64_e32 v[3:4], v[1:2]
	v_fma_f64 v[121:122], -v[1:2], v[3:4], 1.0
	v_fma_f64 v[3:4], v[3:4], v[121:122], v[3:4]
	v_fma_f64 v[121:122], -v[1:2], v[3:4], 1.0
	v_fma_f64 v[3:4], v[3:4], v[121:122], v[3:4]
	v_mul_f64 v[121:122], v[123:124], v[3:4]
	v_fma_f64 v[1:2], -v[1:2], v[121:122], v[123:124]
	v_div_fmas_f64 v[1:2], v[1:2], v[3:4], v[121:122]
	v_div_fixup_f64 v[3:4], v[1:2], v[117:118], v[119:120]
	v_fma_f64 v[1:2], v[119:120], v[3:4], v[117:118]
	v_div_scale_f64 v[117:118], null, v[1:2], v[1:2], 1.0
	v_rcp_f64_e32 v[119:120], v[117:118]
	v_fma_f64 v[121:122], -v[117:118], v[119:120], 1.0
	v_fma_f64 v[119:120], v[119:120], v[121:122], v[119:120]
	v_fma_f64 v[121:122], -v[117:118], v[119:120], 1.0
	v_fma_f64 v[119:120], v[119:120], v[121:122], v[119:120]
	v_div_scale_f64 v[121:122], vcc_lo, 1.0, v[1:2], 1.0
	v_mul_f64 v[123:124], v[121:122], v[119:120]
	v_fma_f64 v[117:118], -v[117:118], v[123:124], v[121:122]
	v_div_fmas_f64 v[117:118], v[117:118], v[119:120], v[123:124]
	v_div_fixup_f64 v[1:2], v[117:118], v[1:2], 1.0
	v_mul_f64 v[3:4], v[3:4], -v[1:2]
.LBB121_369:
	s_or_b32 exec_lo, exec_lo, s5
	ds_write2_b64 v255, v[1:2], v[3:4] offset1:1
.LBB121_370:
	s_or_b32 exec_lo, exec_lo, s6
	s_waitcnt lgkmcnt(0)
	s_barrier
	buffer_gl0_inv
	ds_read2_b64 v[117:120], v255 offset1:1
	s_mov_b32 s5, exec_lo
	v_cmpx_lt_u32_e32 29, v0
	s_cbranch_execz .LBB121_375
; %bb.371:
	s_clause 0x3
	buffer_load_dword v1, off, s[0:3], 0 offset:472
	buffer_load_dword v2, off, s[0:3], 0 offset:476
	;; [unrolled: 1-line block ×4, first 2 shown]
	s_mov_b32 s6, 0
	s_waitcnt vmcnt(2) lgkmcnt(0)
	v_mul_f64 v[121:122], v[119:120], v[1:2]
	v_mul_f64 v[1:2], v[117:118], v[1:2]
	s_waitcnt vmcnt(0)
	v_fma_f64 v[121:122], v[117:118], v[3:4], -v[121:122]
	v_fma_f64 v[123:124], v[119:120], v[3:4], v[1:2]
	buffer_store_dword v121, off, s[0:3], 0 offset:464
	buffer_store_dword v122, off, s[0:3], 0 offset:468
	;; [unrolled: 1-line block ×4, first 2 shown]
	s_branch .LBB121_373
.LBB121_372:                            ;   in Loop: Header=BB121_373 Depth=1
	s_andn2_b32 vcc_lo, exec_lo, s8
	s_cbranch_vccz .LBB121_375
.LBB121_373:                            ; =>This Inner Loop Header: Depth=1
	v_add3_u32 v1, v177, 0, 0x1e0
	v_mov_b32_e32 v4, s6
	s_mov_b32 s7, s6
	s_mov_b32 s8, -1
	s_cmpk_eq_i32 s6, 0x1c0
	v_add_nc_u32_e32 v1, s6, v1
	ds_read2_b64 v[125:128], v1 offset1:1
	s_waitcnt lgkmcnt(0)
	v_mul_f64 v[2:3], v[127:128], v[123:124]
	v_fma_f64 v[2:3], v[125:126], v[121:122], -v[2:3]
	v_mul_f64 v[125:126], v[125:126], v[123:124]
	v_fma_f64 v[125:126], v[127:128], v[121:122], v[125:126]
	s_clause 0xb
	buffer_load_dword v127, v4, s[0:3], 0 offen offset:480
	buffer_load_dword v128, v4, s[0:3], 0 offen offset:484
	;; [unrolled: 1-line block ×12, first 2 shown]
	s_waitcnt vmcnt(10)
	v_add_f64 v[2:3], v[127:128], -v[2:3]
	s_waitcnt vmcnt(8)
	v_add_f64 v[125:126], v[129:130], -v[125:126]
	buffer_store_dword v2, v4, s[0:3], 0 offen offset:480
	buffer_store_dword v3, v4, s[0:3], 0 offen offset:484
	;; [unrolled: 1-line block ×4, first 2 shown]
	ds_read2_b64 v[125:128], v1 offset0:2 offset1:3
	s_waitcnt lgkmcnt(0)
	v_mul_f64 v[2:3], v[127:128], v[123:124]
	v_fma_f64 v[2:3], v[125:126], v[121:122], -v[2:3]
	v_mul_f64 v[125:126], v[125:126], v[123:124]
	s_waitcnt vmcnt(6)
	v_add_f64 v[2:3], v[131:132], -v[2:3]
	v_fma_f64 v[125:126], v[127:128], v[121:122], v[125:126]
	s_waitcnt vmcnt(4)
	v_add_f64 v[125:126], v[133:134], -v[125:126]
	buffer_store_dword v2, v4, s[0:3], 0 offen offset:496
	buffer_store_dword v3, v4, s[0:3], 0 offen offset:500
	;; [unrolled: 1-line block ×4, first 2 shown]
	ds_read2_b64 v[125:128], v1 offset0:4 offset1:5
	s_waitcnt lgkmcnt(0)
	v_mul_f64 v[2:3], v[127:128], v[123:124]
	v_fma_f64 v[2:3], v[125:126], v[121:122], -v[2:3]
	v_mul_f64 v[125:126], v[125:126], v[123:124]
	s_waitcnt vmcnt(2)
	v_add_f64 v[2:3], v[135:136], -v[2:3]
	v_fma_f64 v[125:126], v[127:128], v[121:122], v[125:126]
	s_waitcnt vmcnt(0)
	v_add_f64 v[125:126], v[137:138], -v[125:126]
	buffer_store_dword v2, v4, s[0:3], 0 offen offset:512
	buffer_store_dword v3, v4, s[0:3], 0 offen offset:516
	;; [unrolled: 1-line block ×4, first 2 shown]
	s_cbranch_scc1 .LBB121_372
; %bb.374:                              ;   in Loop: Header=BB121_373 Depth=1
	ds_read2_b64 v[1:4], v1 offset0:6 offset1:7
	v_mov_b32_e32 v5, s7
	s_add_i32 s6, s6, 64
	s_mov_b32 s8, 0
	s_waitcnt lgkmcnt(0)
	v_mul_f64 v[125:126], v[3:4], v[123:124]
	v_fma_f64 v[125:126], v[1:2], v[121:122], -v[125:126]
	v_mul_f64 v[1:2], v[1:2], v[123:124]
	v_fma_f64 v[1:2], v[3:4], v[121:122], v[1:2]
	s_clause 0x3
	buffer_load_dword v3, v5, s[0:3], 0 offen offset:528
	buffer_load_dword v4, v5, s[0:3], 0 offen offset:532
	;; [unrolled: 1-line block ×4, first 2 shown]
	s_waitcnt vmcnt(2)
	v_add_f64 v[3:4], v[3:4], -v[125:126]
	s_waitcnt vmcnt(0)
	v_add_f64 v[1:2], v[127:128], -v[1:2]
	buffer_store_dword v3, v5, s[0:3], 0 offen offset:528
	buffer_store_dword v4, v5, s[0:3], 0 offen offset:532
	;; [unrolled: 1-line block ×4, first 2 shown]
	s_branch .LBB121_372
.LBB121_375:
	s_or_b32 exec_lo, exec_lo, s5
	s_mov_b32 s6, exec_lo
	s_waitcnt lgkmcnt(0)
	s_waitcnt_vscnt null, 0x0
	s_barrier
	buffer_gl0_inv
	v_cmpx_eq_u32_e32 30, v0
	s_cbranch_execz .LBB121_382
; %bb.376:
	v_mov_b32_e32 v4, s46
	s_clause 0x3
	buffer_load_dword v1, v4, s[0:3], 0 offen
	buffer_load_dword v2, v4, s[0:3], 0 offen offset:4
	buffer_load_dword v3, v4, s[0:3], 0 offen offset:8
	;; [unrolled: 1-line block ×3, first 2 shown]
	s_waitcnt vmcnt(0)
	ds_write2_b64 v255, v[1:2], v[3:4] offset1:1
	v_mov_b32_e32 v4, s45
	s_clause 0x3
	buffer_load_dword v1, v4, s[0:3], 0 offen
	buffer_load_dword v2, v4, s[0:3], 0 offen offset:4
	buffer_load_dword v3, v4, s[0:3], 0 offen offset:8
	buffer_load_dword v4, v4, s[0:3], 0 offen offset:12
	s_waitcnt vmcnt(0)
	ds_write2_b64 v241, v[1:2], v[3:4] offset0:62 offset1:63
	v_mov_b32_e32 v4, s44
	s_clause 0x3
	buffer_load_dword v1, v4, s[0:3], 0 offen
	buffer_load_dword v2, v4, s[0:3], 0 offen offset:4
	buffer_load_dword v3, v4, s[0:3], 0 offen offset:8
	buffer_load_dword v4, v4, s[0:3], 0 offen offset:12
	s_waitcnt vmcnt(0)
	ds_write2_b64 v241, v[1:2], v[3:4] offset0:64 offset1:65
	;; [unrolled: 8-line block ×30, first 2 shown]
	ds_read2_b64 v[121:124], v255 offset1:1
	s_waitcnt lgkmcnt(0)
	v_cmp_neq_f64_e32 vcc_lo, 0, v[121:122]
	v_cmp_neq_f64_e64 s5, 0, v[123:124]
	s_or_b32 s5, vcc_lo, s5
	s_and_b32 exec_lo, exec_lo, s5
	s_cbranch_execz .LBB121_382
; %bb.377:
	v_cmp_ngt_f64_e64 s5, |v[121:122]|, |v[123:124]|
                                        ; implicit-def: $vgpr1_vgpr2
	s_and_saveexec_b32 s7, s5
	s_xor_b32 s5, exec_lo, s7
                                        ; implicit-def: $vgpr3_vgpr4
	s_cbranch_execz .LBB121_379
; %bb.378:
	v_div_scale_f64 v[1:2], null, v[123:124], v[123:124], v[121:122]
	v_div_scale_f64 v[127:128], vcc_lo, v[121:122], v[123:124], v[121:122]
	v_rcp_f64_e32 v[3:4], v[1:2]
	v_fma_f64 v[125:126], -v[1:2], v[3:4], 1.0
	v_fma_f64 v[3:4], v[3:4], v[125:126], v[3:4]
	v_fma_f64 v[125:126], -v[1:2], v[3:4], 1.0
	v_fma_f64 v[3:4], v[3:4], v[125:126], v[3:4]
	v_mul_f64 v[125:126], v[127:128], v[3:4]
	v_fma_f64 v[1:2], -v[1:2], v[125:126], v[127:128]
	v_div_fmas_f64 v[1:2], v[1:2], v[3:4], v[125:126]
	v_div_fixup_f64 v[1:2], v[1:2], v[123:124], v[121:122]
	v_fma_f64 v[3:4], v[121:122], v[1:2], v[123:124]
	v_div_scale_f64 v[121:122], null, v[3:4], v[3:4], 1.0
	v_rcp_f64_e32 v[123:124], v[121:122]
	v_fma_f64 v[125:126], -v[121:122], v[123:124], 1.0
	v_fma_f64 v[123:124], v[123:124], v[125:126], v[123:124]
	v_fma_f64 v[125:126], -v[121:122], v[123:124], 1.0
	v_fma_f64 v[123:124], v[123:124], v[125:126], v[123:124]
	v_div_scale_f64 v[125:126], vcc_lo, 1.0, v[3:4], 1.0
	v_mul_f64 v[127:128], v[125:126], v[123:124]
	v_fma_f64 v[121:122], -v[121:122], v[127:128], v[125:126]
	v_div_fmas_f64 v[121:122], v[121:122], v[123:124], v[127:128]
	v_div_fixup_f64 v[3:4], v[121:122], v[3:4], 1.0
                                        ; implicit-def: $vgpr121_vgpr122
	v_mul_f64 v[1:2], v[1:2], v[3:4]
	v_xor_b32_e32 v4, 0x80000000, v4
.LBB121_379:
	s_andn2_saveexec_b32 s5, s5
	s_cbranch_execz .LBB121_381
; %bb.380:
	v_div_scale_f64 v[1:2], null, v[121:122], v[121:122], v[123:124]
	v_div_scale_f64 v[127:128], vcc_lo, v[123:124], v[121:122], v[123:124]
	v_rcp_f64_e32 v[3:4], v[1:2]
	v_fma_f64 v[125:126], -v[1:2], v[3:4], 1.0
	v_fma_f64 v[3:4], v[3:4], v[125:126], v[3:4]
	v_fma_f64 v[125:126], -v[1:2], v[3:4], 1.0
	v_fma_f64 v[3:4], v[3:4], v[125:126], v[3:4]
	v_mul_f64 v[125:126], v[127:128], v[3:4]
	v_fma_f64 v[1:2], -v[1:2], v[125:126], v[127:128]
	v_div_fmas_f64 v[1:2], v[1:2], v[3:4], v[125:126]
	v_div_fixup_f64 v[3:4], v[1:2], v[121:122], v[123:124]
	v_fma_f64 v[1:2], v[123:124], v[3:4], v[121:122]
	v_div_scale_f64 v[121:122], null, v[1:2], v[1:2], 1.0
	v_rcp_f64_e32 v[123:124], v[121:122]
	v_fma_f64 v[125:126], -v[121:122], v[123:124], 1.0
	v_fma_f64 v[123:124], v[123:124], v[125:126], v[123:124]
	v_fma_f64 v[125:126], -v[121:122], v[123:124], 1.0
	v_fma_f64 v[123:124], v[123:124], v[125:126], v[123:124]
	v_div_scale_f64 v[125:126], vcc_lo, 1.0, v[1:2], 1.0
	v_mul_f64 v[127:128], v[125:126], v[123:124]
	v_fma_f64 v[121:122], -v[121:122], v[127:128], v[125:126]
	v_div_fmas_f64 v[121:122], v[121:122], v[123:124], v[127:128]
	v_div_fixup_f64 v[1:2], v[121:122], v[1:2], 1.0
	v_mul_f64 v[3:4], v[3:4], -v[1:2]
.LBB121_381:
	s_or_b32 exec_lo, exec_lo, s5
	ds_write2_b64 v255, v[1:2], v[3:4] offset1:1
.LBB121_382:
	s_or_b32 exec_lo, exec_lo, s6
	s_waitcnt lgkmcnt(0)
	s_barrier
	buffer_gl0_inv
	ds_read2_b64 v[121:124], v255 offset1:1
	s_mov_b32 s5, exec_lo
	v_cmpx_lt_u32_e32 30, v0
	s_cbranch_execz .LBB121_385
; %bb.383:
	s_clause 0x3
	buffer_load_dword v1, off, s[0:3], 0 offset:488
	buffer_load_dword v2, off, s[0:3], 0 offset:492
	;; [unrolled: 1-line block ×4, first 2 shown]
	s_mov_b32 s6, 0
	s_waitcnt vmcnt(2) lgkmcnt(0)
	v_mul_f64 v[125:126], v[123:124], v[1:2]
	v_mul_f64 v[1:2], v[121:122], v[1:2]
	s_waitcnt vmcnt(0)
	v_fma_f64 v[125:126], v[121:122], v[3:4], -v[125:126]
	v_fma_f64 v[127:128], v[123:124], v[3:4], v[1:2]
	buffer_store_dword v125, off, s[0:3], 0 offset:480
	buffer_store_dword v126, off, s[0:3], 0 offset:484
	;; [unrolled: 1-line block ×4, first 2 shown]
.LBB121_384:                            ; =>This Inner Loop Header: Depth=1
	v_add3_u32 v1, v177, 0, 0x1f0
	v_mov_b32_e32 v6, s6
	v_add_nc_u32_e32 v5, s6, v1
	s_addk_i32 s6, 0x60
	s_cmpk_lg_i32 s6, 0x1e0
	ds_read2_b64 v[1:4], v5 offset1:1
	s_waitcnt lgkmcnt(0)
	v_mul_f64 v[129:130], v[3:4], v[127:128]
	v_fma_f64 v[129:130], v[1:2], v[125:126], -v[129:130]
	v_mul_f64 v[1:2], v[1:2], v[127:128]
	v_fma_f64 v[1:2], v[3:4], v[125:126], v[1:2]
	s_clause 0xf
	buffer_load_dword v3, v6, s[0:3], 0 offen offset:496
	buffer_load_dword v4, v6, s[0:3], 0 offen offset:500
	;; [unrolled: 1-line block ×16, first 2 shown]
	s_waitcnt vmcnt(14)
	v_add_f64 v[3:4], v[3:4], -v[129:130]
	s_waitcnt vmcnt(12)
	v_add_f64 v[1:2], v[131:132], -v[1:2]
	buffer_store_dword v3, v6, s[0:3], 0 offen offset:496
	buffer_store_dword v4, v6, s[0:3], 0 offen offset:500
	buffer_store_dword v1, v6, s[0:3], 0 offen offset:504
	buffer_store_dword v2, v6, s[0:3], 0 offen offset:508
	ds_read2_b64 v[1:4], v5 offset0:2 offset1:3
	s_waitcnt lgkmcnt(0)
	v_mul_f64 v[129:130], v[3:4], v[127:128]
	v_fma_f64 v[129:130], v[1:2], v[125:126], -v[129:130]
	v_mul_f64 v[1:2], v[1:2], v[127:128]
	v_fma_f64 v[1:2], v[3:4], v[125:126], v[1:2]
	s_waitcnt vmcnt(10)
	v_add_f64 v[3:4], v[133:134], -v[129:130]
	s_waitcnt vmcnt(8)
	v_add_f64 v[1:2], v[135:136], -v[1:2]
	buffer_store_dword v3, v6, s[0:3], 0 offen offset:512
	buffer_store_dword v4, v6, s[0:3], 0 offen offset:516
	buffer_store_dword v1, v6, s[0:3], 0 offen offset:520
	buffer_store_dword v2, v6, s[0:3], 0 offen offset:524
	ds_read2_b64 v[1:4], v5 offset0:4 offset1:5
	s_waitcnt lgkmcnt(0)
	v_mul_f64 v[129:130], v[3:4], v[127:128]
	v_fma_f64 v[129:130], v[1:2], v[125:126], -v[129:130]
	v_mul_f64 v[1:2], v[1:2], v[127:128]
	v_fma_f64 v[1:2], v[3:4], v[125:126], v[1:2]
	;; [unrolled: 14-line block ×4, first 2 shown]
	s_clause 0x3
	buffer_load_dword v3, v6, s[0:3], 0 offen offset:560
	buffer_load_dword v4, v6, s[0:3], 0 offen offset:564
	;; [unrolled: 1-line block ×4, first 2 shown]
	s_waitcnt vmcnt(2)
	v_add_f64 v[3:4], v[3:4], -v[129:130]
	s_waitcnt vmcnt(0)
	v_add_f64 v[1:2], v[131:132], -v[1:2]
	buffer_store_dword v4, v6, s[0:3], 0 offen offset:564
	buffer_store_dword v3, v6, s[0:3], 0 offen offset:560
	;; [unrolled: 1-line block ×4, first 2 shown]
	ds_read2_b64 v[1:4], v5 offset0:10 offset1:11
	s_waitcnt lgkmcnt(0)
	v_mul_f64 v[129:130], v[3:4], v[127:128]
	v_fma_f64 v[129:130], v[1:2], v[125:126], -v[129:130]
	v_mul_f64 v[1:2], v[1:2], v[127:128]
	v_fma_f64 v[1:2], v[3:4], v[125:126], v[1:2]
	s_clause 0x3
	buffer_load_dword v3, v6, s[0:3], 0 offen offset:576
	buffer_load_dword v4, v6, s[0:3], 0 offen offset:580
	;; [unrolled: 1-line block ×4, first 2 shown]
	s_waitcnt vmcnt(2)
	v_add_f64 v[3:4], v[3:4], -v[129:130]
	s_waitcnt vmcnt(0)
	v_add_f64 v[1:2], v[131:132], -v[1:2]
	buffer_store_dword v4, v6, s[0:3], 0 offen offset:580
	buffer_store_dword v3, v6, s[0:3], 0 offen offset:576
	;; [unrolled: 1-line block ×4, first 2 shown]
	s_cbranch_scc1 .LBB121_384
.LBB121_385:
	s_or_b32 exec_lo, exec_lo, s5
	s_mov_b32 s6, exec_lo
	s_waitcnt lgkmcnt(0)
	s_waitcnt_vscnt null, 0x0
	s_barrier
	buffer_gl0_inv
	v_cmpx_eq_u32_e32 31, v0
	s_cbranch_execz .LBB121_392
; %bb.386:
	v_mov_b32_e32 v4, s45
	s_clause 0x3
	buffer_load_dword v1, v4, s[0:3], 0 offen
	buffer_load_dword v2, v4, s[0:3], 0 offen offset:4
	buffer_load_dword v3, v4, s[0:3], 0 offen offset:8
	;; [unrolled: 1-line block ×3, first 2 shown]
	s_waitcnt vmcnt(0)
	ds_write2_b64 v255, v[1:2], v[3:4] offset1:1
	v_mov_b32_e32 v4, s44
	s_clause 0x3
	buffer_load_dword v1, v4, s[0:3], 0 offen
	buffer_load_dword v2, v4, s[0:3], 0 offen offset:4
	buffer_load_dword v3, v4, s[0:3], 0 offen offset:8
	buffer_load_dword v4, v4, s[0:3], 0 offen offset:12
	s_waitcnt vmcnt(0)
	ds_write2_b64 v241, v[1:2], v[3:4] offset0:64 offset1:65
	v_mov_b32_e32 v4, s43
	s_clause 0x3
	buffer_load_dword v1, v4, s[0:3], 0 offen
	buffer_load_dword v2, v4, s[0:3], 0 offen offset:4
	buffer_load_dword v3, v4, s[0:3], 0 offen offset:8
	buffer_load_dword v4, v4, s[0:3], 0 offen offset:12
	s_waitcnt vmcnt(0)
	ds_write2_b64 v241, v[1:2], v[3:4] offset0:66 offset1:67
	;; [unrolled: 8-line block ×29, first 2 shown]
	ds_read2_b64 v[125:128], v255 offset1:1
	s_waitcnt lgkmcnt(0)
	v_cmp_neq_f64_e32 vcc_lo, 0, v[125:126]
	v_cmp_neq_f64_e64 s5, 0, v[127:128]
	s_or_b32 s5, vcc_lo, s5
	s_and_b32 exec_lo, exec_lo, s5
	s_cbranch_execz .LBB121_392
; %bb.387:
	v_cmp_ngt_f64_e64 s5, |v[125:126]|, |v[127:128]|
                                        ; implicit-def: $vgpr1_vgpr2
	s_and_saveexec_b32 s7, s5
	s_xor_b32 s5, exec_lo, s7
                                        ; implicit-def: $vgpr3_vgpr4
	s_cbranch_execz .LBB121_389
; %bb.388:
	v_div_scale_f64 v[1:2], null, v[127:128], v[127:128], v[125:126]
	v_div_scale_f64 v[131:132], vcc_lo, v[125:126], v[127:128], v[125:126]
	v_rcp_f64_e32 v[3:4], v[1:2]
	v_fma_f64 v[129:130], -v[1:2], v[3:4], 1.0
	v_fma_f64 v[3:4], v[3:4], v[129:130], v[3:4]
	v_fma_f64 v[129:130], -v[1:2], v[3:4], 1.0
	v_fma_f64 v[3:4], v[3:4], v[129:130], v[3:4]
	v_mul_f64 v[129:130], v[131:132], v[3:4]
	v_fma_f64 v[1:2], -v[1:2], v[129:130], v[131:132]
	v_div_fmas_f64 v[1:2], v[1:2], v[3:4], v[129:130]
	v_div_fixup_f64 v[1:2], v[1:2], v[127:128], v[125:126]
	v_fma_f64 v[3:4], v[125:126], v[1:2], v[127:128]
	v_div_scale_f64 v[125:126], null, v[3:4], v[3:4], 1.0
	v_rcp_f64_e32 v[127:128], v[125:126]
	v_fma_f64 v[129:130], -v[125:126], v[127:128], 1.0
	v_fma_f64 v[127:128], v[127:128], v[129:130], v[127:128]
	v_fma_f64 v[129:130], -v[125:126], v[127:128], 1.0
	v_fma_f64 v[127:128], v[127:128], v[129:130], v[127:128]
	v_div_scale_f64 v[129:130], vcc_lo, 1.0, v[3:4], 1.0
	v_mul_f64 v[131:132], v[129:130], v[127:128]
	v_fma_f64 v[125:126], -v[125:126], v[131:132], v[129:130]
	v_div_fmas_f64 v[125:126], v[125:126], v[127:128], v[131:132]
	v_div_fixup_f64 v[3:4], v[125:126], v[3:4], 1.0
                                        ; implicit-def: $vgpr125_vgpr126
	v_mul_f64 v[1:2], v[1:2], v[3:4]
	v_xor_b32_e32 v4, 0x80000000, v4
.LBB121_389:
	s_andn2_saveexec_b32 s5, s5
	s_cbranch_execz .LBB121_391
; %bb.390:
	v_div_scale_f64 v[1:2], null, v[125:126], v[125:126], v[127:128]
	v_div_scale_f64 v[131:132], vcc_lo, v[127:128], v[125:126], v[127:128]
	v_rcp_f64_e32 v[3:4], v[1:2]
	v_fma_f64 v[129:130], -v[1:2], v[3:4], 1.0
	v_fma_f64 v[3:4], v[3:4], v[129:130], v[3:4]
	v_fma_f64 v[129:130], -v[1:2], v[3:4], 1.0
	v_fma_f64 v[3:4], v[3:4], v[129:130], v[3:4]
	v_mul_f64 v[129:130], v[131:132], v[3:4]
	v_fma_f64 v[1:2], -v[1:2], v[129:130], v[131:132]
	v_div_fmas_f64 v[1:2], v[1:2], v[3:4], v[129:130]
	v_div_fixup_f64 v[3:4], v[1:2], v[125:126], v[127:128]
	v_fma_f64 v[1:2], v[127:128], v[3:4], v[125:126]
	v_div_scale_f64 v[125:126], null, v[1:2], v[1:2], 1.0
	v_rcp_f64_e32 v[127:128], v[125:126]
	v_fma_f64 v[129:130], -v[125:126], v[127:128], 1.0
	v_fma_f64 v[127:128], v[127:128], v[129:130], v[127:128]
	v_fma_f64 v[129:130], -v[125:126], v[127:128], 1.0
	v_fma_f64 v[127:128], v[127:128], v[129:130], v[127:128]
	v_div_scale_f64 v[129:130], vcc_lo, 1.0, v[1:2], 1.0
	v_mul_f64 v[131:132], v[129:130], v[127:128]
	v_fma_f64 v[125:126], -v[125:126], v[131:132], v[129:130]
	v_div_fmas_f64 v[125:126], v[125:126], v[127:128], v[131:132]
	v_div_fixup_f64 v[1:2], v[125:126], v[1:2], 1.0
	v_mul_f64 v[3:4], v[3:4], -v[1:2]
.LBB121_391:
	s_or_b32 exec_lo, exec_lo, s5
	ds_write2_b64 v255, v[1:2], v[3:4] offset1:1
.LBB121_392:
	s_or_b32 exec_lo, exec_lo, s6
	s_waitcnt lgkmcnt(0)
	s_barrier
	buffer_gl0_inv
	ds_read2_b64 v[125:128], v255 offset1:1
	s_mov_b32 s5, exec_lo
	v_cmpx_lt_u32_e32 31, v0
	s_cbranch_execz .LBB121_397
; %bb.393:
	s_clause 0x3
	buffer_load_dword v1, off, s[0:3], 0 offset:504
	buffer_load_dword v2, off, s[0:3], 0 offset:508
	;; [unrolled: 1-line block ×4, first 2 shown]
	s_mov_b32 s6, 0
	s_waitcnt vmcnt(2) lgkmcnt(0)
	v_mul_f64 v[129:130], v[127:128], v[1:2]
	v_mul_f64 v[1:2], v[125:126], v[1:2]
	s_waitcnt vmcnt(0)
	v_fma_f64 v[129:130], v[125:126], v[3:4], -v[129:130]
	v_fma_f64 v[131:132], v[127:128], v[3:4], v[1:2]
	buffer_store_dword v129, off, s[0:3], 0 offset:496
	buffer_store_dword v130, off, s[0:3], 0 offset:500
	;; [unrolled: 1-line block ×4, first 2 shown]
	s_branch .LBB121_395
.LBB121_394:                            ;   in Loop: Header=BB121_395 Depth=1
	s_andn2_b32 vcc_lo, exec_lo, s8
	s_cbranch_vccz .LBB121_397
.LBB121_395:                            ; =>This Inner Loop Header: Depth=1
	v_add3_u32 v1, v177, 0, 0x200
	v_mov_b32_e32 v4, s6
	s_mov_b32 s7, s6
	s_mov_b32 s8, -1
	s_cmpk_eq_i32 s6, 0x1c0
	v_add_nc_u32_e32 v1, s6, v1
	ds_read2_b64 v[133:136], v1 offset1:1
	s_waitcnt lgkmcnt(0)
	v_mul_f64 v[2:3], v[135:136], v[131:132]
	v_fma_f64 v[2:3], v[133:134], v[129:130], -v[2:3]
	v_mul_f64 v[133:134], v[133:134], v[131:132]
	v_fma_f64 v[133:134], v[135:136], v[129:130], v[133:134]
	s_clause 0x3
	buffer_load_dword v135, v4, s[0:3], 0 offen offset:512
	buffer_load_dword v136, v4, s[0:3], 0 offen offset:516
	;; [unrolled: 1-line block ×4, first 2 shown]
	s_waitcnt vmcnt(2)
	v_add_f64 v[2:3], v[135:136], -v[2:3]
	s_waitcnt vmcnt(0)
	v_add_f64 v[133:134], v[137:138], -v[133:134]
	buffer_store_dword v2, v4, s[0:3], 0 offen offset:512
	buffer_store_dword v3, v4, s[0:3], 0 offen offset:516
	;; [unrolled: 1-line block ×4, first 2 shown]
	s_cbranch_scc1 .LBB121_394
; %bb.396:                              ;   in Loop: Header=BB121_395 Depth=1
	ds_read2_b64 v[133:136], v1 offset0:2 offset1:3
	v_mov_b32_e32 v5, s7
	s_add_i32 s6, s6, 64
	s_mov_b32 s8, 0
	s_waitcnt lgkmcnt(0)
	v_mul_f64 v[2:3], v[135:136], v[131:132]
	v_fma_f64 v[2:3], v[133:134], v[129:130], -v[2:3]
	v_mul_f64 v[133:134], v[133:134], v[131:132]
	v_fma_f64 v[133:134], v[135:136], v[129:130], v[133:134]
	s_clause 0xb
	buffer_load_dword v135, v5, s[0:3], 0 offen offset:528
	buffer_load_dword v136, v5, s[0:3], 0 offen offset:532
	;; [unrolled: 1-line block ×12, first 2 shown]
	s_waitcnt vmcnt(10)
	v_add_f64 v[2:3], v[135:136], -v[2:3]
	s_waitcnt vmcnt(8)
	v_add_f64 v[133:134], v[137:138], -v[133:134]
	buffer_store_dword v2, v5, s[0:3], 0 offen offset:528
	buffer_store_dword v3, v5, s[0:3], 0 offen offset:532
	;; [unrolled: 1-line block ×4, first 2 shown]
	ds_read2_b64 v[133:136], v1 offset0:4 offset1:5
	s_waitcnt lgkmcnt(0)
	v_mul_f64 v[2:3], v[135:136], v[131:132]
	v_fma_f64 v[2:3], v[133:134], v[129:130], -v[2:3]
	v_mul_f64 v[133:134], v[133:134], v[131:132]
	s_waitcnt vmcnt(6)
	v_add_f64 v[2:3], v[139:140], -v[2:3]
	v_fma_f64 v[133:134], v[135:136], v[129:130], v[133:134]
	s_waitcnt vmcnt(4)
	v_add_f64 v[133:134], v[141:142], -v[133:134]
	buffer_store_dword v2, v5, s[0:3], 0 offen offset:544
	buffer_store_dword v3, v5, s[0:3], 0 offen offset:548
	;; [unrolled: 1-line block ×4, first 2 shown]
	ds_read2_b64 v[1:4], v1 offset0:6 offset1:7
	s_waitcnt lgkmcnt(0)
	v_mul_f64 v[133:134], v[3:4], v[131:132]
	v_fma_f64 v[133:134], v[1:2], v[129:130], -v[133:134]
	v_mul_f64 v[1:2], v[1:2], v[131:132]
	v_fma_f64 v[1:2], v[3:4], v[129:130], v[1:2]
	s_waitcnt vmcnt(2)
	v_add_f64 v[3:4], v[143:144], -v[133:134]
	s_waitcnt vmcnt(0)
	v_add_f64 v[1:2], v[145:146], -v[1:2]
	buffer_store_dword v3, v5, s[0:3], 0 offen offset:560
	buffer_store_dword v4, v5, s[0:3], 0 offen offset:564
	;; [unrolled: 1-line block ×4, first 2 shown]
	s_branch .LBB121_394
.LBB121_397:
	s_or_b32 exec_lo, exec_lo, s5
	s_mov_b32 s6, exec_lo
	s_waitcnt lgkmcnt(0)
	s_waitcnt_vscnt null, 0x0
	s_barrier
	buffer_gl0_inv
	v_cmpx_eq_u32_e32 32, v0
	s_cbranch_execz .LBB121_404
; %bb.398:
	v_mov_b32_e32 v4, s44
	s_clause 0x3
	buffer_load_dword v1, v4, s[0:3], 0 offen
	buffer_load_dword v2, v4, s[0:3], 0 offen offset:4
	buffer_load_dword v3, v4, s[0:3], 0 offen offset:8
	;; [unrolled: 1-line block ×3, first 2 shown]
	s_waitcnt vmcnt(0)
	ds_write2_b64 v255, v[1:2], v[3:4] offset1:1
	v_mov_b32_e32 v4, s43
	s_clause 0x3
	buffer_load_dword v1, v4, s[0:3], 0 offen
	buffer_load_dword v2, v4, s[0:3], 0 offen offset:4
	buffer_load_dword v3, v4, s[0:3], 0 offen offset:8
	buffer_load_dword v4, v4, s[0:3], 0 offen offset:12
	s_waitcnt vmcnt(0)
	ds_write2_b64 v241, v[1:2], v[3:4] offset0:66 offset1:67
	v_mov_b32_e32 v4, s42
	s_clause 0x3
	buffer_load_dword v1, v4, s[0:3], 0 offen
	buffer_load_dword v2, v4, s[0:3], 0 offen offset:4
	buffer_load_dword v3, v4, s[0:3], 0 offen offset:8
	buffer_load_dword v4, v4, s[0:3], 0 offen offset:12
	s_waitcnt vmcnt(0)
	ds_write2_b64 v241, v[1:2], v[3:4] offset0:68 offset1:69
	;; [unrolled: 8-line block ×28, first 2 shown]
	ds_read2_b64 v[129:132], v255 offset1:1
	s_waitcnt lgkmcnt(0)
	v_cmp_neq_f64_e32 vcc_lo, 0, v[129:130]
	v_cmp_neq_f64_e64 s5, 0, v[131:132]
	s_or_b32 s5, vcc_lo, s5
	s_and_b32 exec_lo, exec_lo, s5
	s_cbranch_execz .LBB121_404
; %bb.399:
	v_cmp_ngt_f64_e64 s5, |v[129:130]|, |v[131:132]|
                                        ; implicit-def: $vgpr1_vgpr2
	s_and_saveexec_b32 s7, s5
	s_xor_b32 s5, exec_lo, s7
                                        ; implicit-def: $vgpr3_vgpr4
	s_cbranch_execz .LBB121_401
; %bb.400:
	v_div_scale_f64 v[1:2], null, v[131:132], v[131:132], v[129:130]
	v_div_scale_f64 v[135:136], vcc_lo, v[129:130], v[131:132], v[129:130]
	v_rcp_f64_e32 v[3:4], v[1:2]
	v_fma_f64 v[133:134], -v[1:2], v[3:4], 1.0
	v_fma_f64 v[3:4], v[3:4], v[133:134], v[3:4]
	v_fma_f64 v[133:134], -v[1:2], v[3:4], 1.0
	v_fma_f64 v[3:4], v[3:4], v[133:134], v[3:4]
	v_mul_f64 v[133:134], v[135:136], v[3:4]
	v_fma_f64 v[1:2], -v[1:2], v[133:134], v[135:136]
	v_div_fmas_f64 v[1:2], v[1:2], v[3:4], v[133:134]
	v_div_fixup_f64 v[1:2], v[1:2], v[131:132], v[129:130]
	v_fma_f64 v[3:4], v[129:130], v[1:2], v[131:132]
	v_div_scale_f64 v[129:130], null, v[3:4], v[3:4], 1.0
	v_rcp_f64_e32 v[131:132], v[129:130]
	v_fma_f64 v[133:134], -v[129:130], v[131:132], 1.0
	v_fma_f64 v[131:132], v[131:132], v[133:134], v[131:132]
	v_fma_f64 v[133:134], -v[129:130], v[131:132], 1.0
	v_fma_f64 v[131:132], v[131:132], v[133:134], v[131:132]
	v_div_scale_f64 v[133:134], vcc_lo, 1.0, v[3:4], 1.0
	v_mul_f64 v[135:136], v[133:134], v[131:132]
	v_fma_f64 v[129:130], -v[129:130], v[135:136], v[133:134]
	v_div_fmas_f64 v[129:130], v[129:130], v[131:132], v[135:136]
	v_div_fixup_f64 v[3:4], v[129:130], v[3:4], 1.0
                                        ; implicit-def: $vgpr129_vgpr130
	v_mul_f64 v[1:2], v[1:2], v[3:4]
	v_xor_b32_e32 v4, 0x80000000, v4
.LBB121_401:
	s_andn2_saveexec_b32 s5, s5
	s_cbranch_execz .LBB121_403
; %bb.402:
	v_div_scale_f64 v[1:2], null, v[129:130], v[129:130], v[131:132]
	v_div_scale_f64 v[135:136], vcc_lo, v[131:132], v[129:130], v[131:132]
	v_rcp_f64_e32 v[3:4], v[1:2]
	v_fma_f64 v[133:134], -v[1:2], v[3:4], 1.0
	v_fma_f64 v[3:4], v[3:4], v[133:134], v[3:4]
	v_fma_f64 v[133:134], -v[1:2], v[3:4], 1.0
	v_fma_f64 v[3:4], v[3:4], v[133:134], v[3:4]
	v_mul_f64 v[133:134], v[135:136], v[3:4]
	v_fma_f64 v[1:2], -v[1:2], v[133:134], v[135:136]
	v_div_fmas_f64 v[1:2], v[1:2], v[3:4], v[133:134]
	v_div_fixup_f64 v[3:4], v[1:2], v[129:130], v[131:132]
	v_fma_f64 v[1:2], v[131:132], v[3:4], v[129:130]
	v_div_scale_f64 v[129:130], null, v[1:2], v[1:2], 1.0
	v_rcp_f64_e32 v[131:132], v[129:130]
	v_fma_f64 v[133:134], -v[129:130], v[131:132], 1.0
	v_fma_f64 v[131:132], v[131:132], v[133:134], v[131:132]
	v_fma_f64 v[133:134], -v[129:130], v[131:132], 1.0
	v_fma_f64 v[131:132], v[131:132], v[133:134], v[131:132]
	v_div_scale_f64 v[133:134], vcc_lo, 1.0, v[1:2], 1.0
	v_mul_f64 v[135:136], v[133:134], v[131:132]
	v_fma_f64 v[129:130], -v[129:130], v[135:136], v[133:134]
	v_div_fmas_f64 v[129:130], v[129:130], v[131:132], v[135:136]
	v_div_fixup_f64 v[1:2], v[129:130], v[1:2], 1.0
	v_mul_f64 v[3:4], v[3:4], -v[1:2]
.LBB121_403:
	s_or_b32 exec_lo, exec_lo, s5
	ds_write2_b64 v255, v[1:2], v[3:4] offset1:1
.LBB121_404:
	s_or_b32 exec_lo, exec_lo, s6
	s_waitcnt lgkmcnt(0)
	s_barrier
	buffer_gl0_inv
	ds_read2_b64 v[129:132], v255 offset1:1
	s_mov_b32 s5, exec_lo
	v_cmpx_lt_u32_e32 32, v0
	s_cbranch_execz .LBB121_407
; %bb.405:
	s_clause 0x3
	buffer_load_dword v1, off, s[0:3], 0 offset:520
	buffer_load_dword v2, off, s[0:3], 0 offset:524
	;; [unrolled: 1-line block ×4, first 2 shown]
	s_mov_b32 s6, 0
	s_waitcnt vmcnt(2) lgkmcnt(0)
	v_mul_f64 v[133:134], v[131:132], v[1:2]
	v_mul_f64 v[1:2], v[129:130], v[1:2]
	s_waitcnt vmcnt(0)
	v_fma_f64 v[133:134], v[129:130], v[3:4], -v[133:134]
	v_fma_f64 v[135:136], v[131:132], v[3:4], v[1:2]
	buffer_store_dword v133, off, s[0:3], 0 offset:512
	buffer_store_dword v134, off, s[0:3], 0 offset:516
	;; [unrolled: 1-line block ×4, first 2 shown]
.LBB121_406:                            ; =>This Inner Loop Header: Depth=1
	v_add3_u32 v1, v177, 0, 0x210
	v_add_nc_u32_e32 v5, s6, v1
	ds_read2_b64 v[1:4], v5 offset1:1
	s_waitcnt lgkmcnt(0)
	v_mul_f64 v[137:138], v[3:4], v[135:136]
	v_fma_f64 v[137:138], v[1:2], v[133:134], -v[137:138]
	v_mul_f64 v[1:2], v[1:2], v[135:136]
	v_fma_f64 v[2:3], v[3:4], v[133:134], v[1:2]
	v_mov_b32_e32 v1, s6
	s_addk_i32 s6, 0x70
	s_clause 0xf
	buffer_load_dword v139, v1, s[0:3], 0 offen offset:528
	buffer_load_dword v140, v1, s[0:3], 0 offen offset:532
	;; [unrolled: 1-line block ×16, first 2 shown]
	s_cmpk_lg_i32 s6, 0x1c0
	s_waitcnt vmcnt(14)
	v_add_f64 v[137:138], v[139:140], -v[137:138]
	s_waitcnt vmcnt(12)
	v_add_f64 v[2:3], v[141:142], -v[2:3]
	buffer_store_dword v137, v1, s[0:3], 0 offen offset:528
	buffer_store_dword v138, v1, s[0:3], 0 offen offset:532
	buffer_store_dword v2, v1, s[0:3], 0 offen offset:536
	buffer_store_dword v3, v1, s[0:3], 0 offen offset:540
	ds_read2_b64 v[137:140], v5 offset0:2 offset1:3
	s_waitcnt lgkmcnt(0)
	v_mul_f64 v[2:3], v[139:140], v[135:136]
	v_fma_f64 v[2:3], v[137:138], v[133:134], -v[2:3]
	v_mul_f64 v[137:138], v[137:138], v[135:136]
	s_waitcnt vmcnt(10)
	v_add_f64 v[2:3], v[143:144], -v[2:3]
	v_fma_f64 v[137:138], v[139:140], v[133:134], v[137:138]
	s_waitcnt vmcnt(8)
	v_add_f64 v[137:138], v[145:146], -v[137:138]
	buffer_store_dword v2, v1, s[0:3], 0 offen offset:544
	buffer_store_dword v3, v1, s[0:3], 0 offen offset:548
	buffer_store_dword v137, v1, s[0:3], 0 offen offset:552
	buffer_store_dword v138, v1, s[0:3], 0 offen offset:556
	ds_read2_b64 v[137:140], v5 offset0:4 offset1:5
	s_waitcnt lgkmcnt(0)
	v_mul_f64 v[2:3], v[139:140], v[135:136]
	v_fma_f64 v[2:3], v[137:138], v[133:134], -v[2:3]
	v_mul_f64 v[137:138], v[137:138], v[135:136]
	s_waitcnt vmcnt(6)
	v_add_f64 v[2:3], v[147:148], -v[2:3]
	v_fma_f64 v[137:138], v[139:140], v[133:134], v[137:138]
	;; [unrolled: 14-line block ×3, first 2 shown]
	s_waitcnt vmcnt(0)
	v_add_f64 v[137:138], v[153:154], -v[137:138]
	buffer_store_dword v3, v1, s[0:3], 0 offen offset:580
	buffer_store_dword v2, v1, s[0:3], 0 offen offset:576
	;; [unrolled: 1-line block ×4, first 2 shown]
	ds_read2_b64 v[137:140], v5 offset0:8 offset1:9
	s_waitcnt lgkmcnt(0)
	v_mul_f64 v[2:3], v[139:140], v[135:136]
	v_fma_f64 v[2:3], v[137:138], v[133:134], -v[2:3]
	v_mul_f64 v[137:138], v[137:138], v[135:136]
	v_fma_f64 v[137:138], v[139:140], v[133:134], v[137:138]
	s_clause 0x3
	buffer_load_dword v139, v1, s[0:3], 0 offen offset:592
	buffer_load_dword v140, v1, s[0:3], 0 offen offset:596
	buffer_load_dword v141, v1, s[0:3], 0 offen offset:600
	buffer_load_dword v142, v1, s[0:3], 0 offen offset:604
	s_waitcnt vmcnt(2)
	v_add_f64 v[2:3], v[139:140], -v[2:3]
	s_waitcnt vmcnt(0)
	v_add_f64 v[137:138], v[141:142], -v[137:138]
	buffer_store_dword v3, v1, s[0:3], 0 offen offset:596
	buffer_store_dword v2, v1, s[0:3], 0 offen offset:592
	;; [unrolled: 1-line block ×4, first 2 shown]
	ds_read2_b64 v[137:140], v5 offset0:10 offset1:11
	s_waitcnt lgkmcnt(0)
	v_mul_f64 v[2:3], v[139:140], v[135:136]
	v_mul_f64 v[135:136], v[137:138], v[135:136]
	v_fma_f64 v[2:3], v[137:138], v[133:134], -v[2:3]
	v_fma_f64 v[133:134], v[139:140], v[133:134], v[135:136]
	s_clause 0x3
	buffer_load_dword v135, v1, s[0:3], 0 offen offset:608
	buffer_load_dword v136, v1, s[0:3], 0 offen offset:612
	;; [unrolled: 1-line block ×4, first 2 shown]
	s_waitcnt vmcnt(2)
	v_add_f64 v[2:3], v[135:136], -v[2:3]
	s_waitcnt vmcnt(0)
	v_add_f64 v[133:134], v[137:138], -v[133:134]
	buffer_store_dword v3, v1, s[0:3], 0 offen offset:612
	buffer_store_dword v2, v1, s[0:3], 0 offen offset:608
	;; [unrolled: 1-line block ×4, first 2 shown]
	ds_read2_b64 v[137:140], v5 offset0:12 offset1:13
	s_clause 0x3
	buffer_load_dword v133, off, s[0:3], 0 offset:512
	buffer_load_dword v134, off, s[0:3], 0 offset:516
	;; [unrolled: 1-line block ×4, first 2 shown]
	s_waitcnt vmcnt(0) lgkmcnt(0)
	v_mul_f64 v[2:3], v[139:140], v[135:136]
	v_fma_f64 v[2:3], v[137:138], v[133:134], -v[2:3]
	v_mul_f64 v[137:138], v[137:138], v[135:136]
	v_fma_f64 v[137:138], v[139:140], v[133:134], v[137:138]
	s_clause 0x3
	buffer_load_dword v139, v1, s[0:3], 0 offen offset:624
	buffer_load_dword v140, v1, s[0:3], 0 offen offset:628
	;; [unrolled: 1-line block ×4, first 2 shown]
	s_waitcnt vmcnt(2)
	v_add_f64 v[2:3], v[139:140], -v[2:3]
	s_waitcnt vmcnt(0)
	v_add_f64 v[137:138], v[141:142], -v[137:138]
	buffer_store_dword v3, v1, s[0:3], 0 offen offset:628
	buffer_store_dword v2, v1, s[0:3], 0 offen offset:624
	;; [unrolled: 1-line block ×4, first 2 shown]
	s_cbranch_scc1 .LBB121_406
.LBB121_407:
	s_or_b32 exec_lo, exec_lo, s5
	s_mov_b32 s6, exec_lo
	s_waitcnt lgkmcnt(0)
	s_waitcnt_vscnt null, 0x0
	s_barrier
	buffer_gl0_inv
	v_cmpx_eq_u32_e32 33, v0
	s_cbranch_execz .LBB121_414
; %bb.408:
	v_mov_b32_e32 v4, s43
	s_clause 0x3
	buffer_load_dword v1, v4, s[0:3], 0 offen
	buffer_load_dword v2, v4, s[0:3], 0 offen offset:4
	buffer_load_dword v3, v4, s[0:3], 0 offen offset:8
	;; [unrolled: 1-line block ×3, first 2 shown]
	s_waitcnt vmcnt(0)
	ds_write2_b64 v255, v[1:2], v[3:4] offset1:1
	v_mov_b32_e32 v4, s42
	s_clause 0x3
	buffer_load_dword v1, v4, s[0:3], 0 offen
	buffer_load_dword v2, v4, s[0:3], 0 offen offset:4
	buffer_load_dword v3, v4, s[0:3], 0 offen offset:8
	buffer_load_dword v4, v4, s[0:3], 0 offen offset:12
	s_waitcnt vmcnt(0)
	ds_write2_b64 v241, v[1:2], v[3:4] offset0:68 offset1:69
	v_mov_b32_e32 v4, s41
	s_clause 0x3
	buffer_load_dword v1, v4, s[0:3], 0 offen
	buffer_load_dword v2, v4, s[0:3], 0 offen offset:4
	buffer_load_dword v3, v4, s[0:3], 0 offen offset:8
	buffer_load_dword v4, v4, s[0:3], 0 offen offset:12
	s_waitcnt vmcnt(0)
	ds_write2_b64 v241, v[1:2], v[3:4] offset0:70 offset1:71
	;; [unrolled: 8-line block ×27, first 2 shown]
	ds_read2_b64 v[133:136], v255 offset1:1
	s_waitcnt lgkmcnt(0)
	v_cmp_neq_f64_e32 vcc_lo, 0, v[133:134]
	v_cmp_neq_f64_e64 s5, 0, v[135:136]
	s_or_b32 s5, vcc_lo, s5
	s_and_b32 exec_lo, exec_lo, s5
	s_cbranch_execz .LBB121_414
; %bb.409:
	v_cmp_ngt_f64_e64 s5, |v[133:134]|, |v[135:136]|
                                        ; implicit-def: $vgpr1_vgpr2
	s_and_saveexec_b32 s7, s5
	s_xor_b32 s5, exec_lo, s7
                                        ; implicit-def: $vgpr3_vgpr4
	s_cbranch_execz .LBB121_411
; %bb.410:
	v_div_scale_f64 v[1:2], null, v[135:136], v[135:136], v[133:134]
	v_div_scale_f64 v[139:140], vcc_lo, v[133:134], v[135:136], v[133:134]
	v_rcp_f64_e32 v[3:4], v[1:2]
	v_fma_f64 v[137:138], -v[1:2], v[3:4], 1.0
	v_fma_f64 v[3:4], v[3:4], v[137:138], v[3:4]
	v_fma_f64 v[137:138], -v[1:2], v[3:4], 1.0
	v_fma_f64 v[3:4], v[3:4], v[137:138], v[3:4]
	v_mul_f64 v[137:138], v[139:140], v[3:4]
	v_fma_f64 v[1:2], -v[1:2], v[137:138], v[139:140]
	v_div_fmas_f64 v[1:2], v[1:2], v[3:4], v[137:138]
	v_div_fixup_f64 v[1:2], v[1:2], v[135:136], v[133:134]
	v_fma_f64 v[3:4], v[133:134], v[1:2], v[135:136]
	v_div_scale_f64 v[133:134], null, v[3:4], v[3:4], 1.0
	v_rcp_f64_e32 v[135:136], v[133:134]
	v_fma_f64 v[137:138], -v[133:134], v[135:136], 1.0
	v_fma_f64 v[135:136], v[135:136], v[137:138], v[135:136]
	v_fma_f64 v[137:138], -v[133:134], v[135:136], 1.0
	v_fma_f64 v[135:136], v[135:136], v[137:138], v[135:136]
	v_div_scale_f64 v[137:138], vcc_lo, 1.0, v[3:4], 1.0
	v_mul_f64 v[139:140], v[137:138], v[135:136]
	v_fma_f64 v[133:134], -v[133:134], v[139:140], v[137:138]
	v_div_fmas_f64 v[133:134], v[133:134], v[135:136], v[139:140]
	v_div_fixup_f64 v[3:4], v[133:134], v[3:4], 1.0
                                        ; implicit-def: $vgpr133_vgpr134
	v_mul_f64 v[1:2], v[1:2], v[3:4]
	v_xor_b32_e32 v4, 0x80000000, v4
.LBB121_411:
	s_andn2_saveexec_b32 s5, s5
	s_cbranch_execz .LBB121_413
; %bb.412:
	v_div_scale_f64 v[1:2], null, v[133:134], v[133:134], v[135:136]
	v_div_scale_f64 v[139:140], vcc_lo, v[135:136], v[133:134], v[135:136]
	v_rcp_f64_e32 v[3:4], v[1:2]
	v_fma_f64 v[137:138], -v[1:2], v[3:4], 1.0
	v_fma_f64 v[3:4], v[3:4], v[137:138], v[3:4]
	v_fma_f64 v[137:138], -v[1:2], v[3:4], 1.0
	v_fma_f64 v[3:4], v[3:4], v[137:138], v[3:4]
	v_mul_f64 v[137:138], v[139:140], v[3:4]
	v_fma_f64 v[1:2], -v[1:2], v[137:138], v[139:140]
	v_div_fmas_f64 v[1:2], v[1:2], v[3:4], v[137:138]
	v_div_fixup_f64 v[3:4], v[1:2], v[133:134], v[135:136]
	v_fma_f64 v[1:2], v[135:136], v[3:4], v[133:134]
	v_div_scale_f64 v[133:134], null, v[1:2], v[1:2], 1.0
	v_rcp_f64_e32 v[135:136], v[133:134]
	v_fma_f64 v[137:138], -v[133:134], v[135:136], 1.0
	v_fma_f64 v[135:136], v[135:136], v[137:138], v[135:136]
	v_fma_f64 v[137:138], -v[133:134], v[135:136], 1.0
	v_fma_f64 v[135:136], v[135:136], v[137:138], v[135:136]
	v_div_scale_f64 v[137:138], vcc_lo, 1.0, v[1:2], 1.0
	v_mul_f64 v[139:140], v[137:138], v[135:136]
	v_fma_f64 v[133:134], -v[133:134], v[139:140], v[137:138]
	v_div_fmas_f64 v[133:134], v[133:134], v[135:136], v[139:140]
	v_div_fixup_f64 v[1:2], v[133:134], v[1:2], 1.0
	v_mul_f64 v[3:4], v[3:4], -v[1:2]
.LBB121_413:
	s_or_b32 exec_lo, exec_lo, s5
	ds_write2_b64 v255, v[1:2], v[3:4] offset1:1
.LBB121_414:
	s_or_b32 exec_lo, exec_lo, s6
	s_waitcnt lgkmcnt(0)
	s_barrier
	buffer_gl0_inv
	ds_read2_b64 v[133:136], v255 offset1:1
	s_mov_b32 s5, exec_lo
	v_cmpx_lt_u32_e32 33, v0
	s_cbranch_execz .LBB121_417
; %bb.415:
	s_clause 0x3
	buffer_load_dword v1, off, s[0:3], 0 offset:536
	buffer_load_dword v2, off, s[0:3], 0 offset:540
	buffer_load_dword v3, off, s[0:3], 0 offset:528
	buffer_load_dword v4, off, s[0:3], 0 offset:532
	s_mov_b32 s6, 0
	s_waitcnt vmcnt(2) lgkmcnt(0)
	v_mul_f64 v[137:138], v[135:136], v[1:2]
	v_mul_f64 v[1:2], v[133:134], v[1:2]
	s_waitcnt vmcnt(0)
	v_fma_f64 v[137:138], v[133:134], v[3:4], -v[137:138]
	v_fma_f64 v[139:140], v[135:136], v[3:4], v[1:2]
	buffer_store_dword v137, off, s[0:3], 0 offset:528
	buffer_store_dword v138, off, s[0:3], 0 offset:532
	;; [unrolled: 1-line block ×4, first 2 shown]
.LBB121_416:                            ; =>This Inner Loop Header: Depth=1
	v_add3_u32 v1, v177, 0, 0x220
	v_mov_b32_e32 v6, s6
	v_add_nc_u32_e32 v5, s6, v1
	s_add_i32 s6, s6, 48
	s_cmpk_lg_i32 s6, 0x1b0
	ds_read2_b64 v[1:4], v5 offset1:1
	s_waitcnt lgkmcnt(0)
	v_mul_f64 v[141:142], v[3:4], v[139:140]
	v_fma_f64 v[141:142], v[1:2], v[137:138], -v[141:142]
	v_mul_f64 v[1:2], v[1:2], v[139:140]
	v_fma_f64 v[1:2], v[3:4], v[137:138], v[1:2]
	s_clause 0xb
	buffer_load_dword v3, v6, s[0:3], 0 offen offset:544
	buffer_load_dword v4, v6, s[0:3], 0 offen offset:548
	;; [unrolled: 1-line block ×12, first 2 shown]
	s_waitcnt vmcnt(10)
	v_add_f64 v[3:4], v[3:4], -v[141:142]
	s_waitcnt vmcnt(8)
	v_add_f64 v[1:2], v[143:144], -v[1:2]
	buffer_store_dword v3, v6, s[0:3], 0 offen offset:544
	buffer_store_dword v4, v6, s[0:3], 0 offen offset:548
	;; [unrolled: 1-line block ×4, first 2 shown]
	ds_read2_b64 v[1:4], v5 offset0:2 offset1:3
	s_waitcnt lgkmcnt(0)
	v_mul_f64 v[141:142], v[3:4], v[139:140]
	v_fma_f64 v[141:142], v[1:2], v[137:138], -v[141:142]
	v_mul_f64 v[1:2], v[1:2], v[139:140]
	v_fma_f64 v[1:2], v[3:4], v[137:138], v[1:2]
	s_waitcnt vmcnt(6)
	v_add_f64 v[3:4], v[145:146], -v[141:142]
	s_waitcnt vmcnt(4)
	v_add_f64 v[1:2], v[147:148], -v[1:2]
	buffer_store_dword v3, v6, s[0:3], 0 offen offset:560
	buffer_store_dword v4, v6, s[0:3], 0 offen offset:564
	;; [unrolled: 1-line block ×4, first 2 shown]
	ds_read2_b64 v[1:4], v5 offset0:4 offset1:5
	s_waitcnt lgkmcnt(0)
	v_mul_f64 v[141:142], v[3:4], v[139:140]
	v_fma_f64 v[141:142], v[1:2], v[137:138], -v[141:142]
	v_mul_f64 v[1:2], v[1:2], v[139:140]
	v_fma_f64 v[1:2], v[3:4], v[137:138], v[1:2]
	s_waitcnt vmcnt(2)
	v_add_f64 v[3:4], v[149:150], -v[141:142]
	s_waitcnt vmcnt(0)
	v_add_f64 v[1:2], v[151:152], -v[1:2]
	buffer_store_dword v3, v6, s[0:3], 0 offen offset:576
	buffer_store_dword v4, v6, s[0:3], 0 offen offset:580
	;; [unrolled: 1-line block ×4, first 2 shown]
	s_cbranch_scc1 .LBB121_416
.LBB121_417:
	s_or_b32 exec_lo, exec_lo, s5
	s_mov_b32 s6, exec_lo
	s_waitcnt lgkmcnt(0)
	s_waitcnt_vscnt null, 0x0
	s_barrier
	buffer_gl0_inv
	v_cmpx_eq_u32_e32 34, v0
	s_cbranch_execz .LBB121_424
; %bb.418:
	v_mov_b32_e32 v4, s42
	s_clause 0x3
	buffer_load_dword v1, v4, s[0:3], 0 offen
	buffer_load_dword v2, v4, s[0:3], 0 offen offset:4
	buffer_load_dword v3, v4, s[0:3], 0 offen offset:8
	buffer_load_dword v4, v4, s[0:3], 0 offen offset:12
	s_waitcnt vmcnt(0)
	ds_write2_b64 v255, v[1:2], v[3:4] offset1:1
	v_mov_b32_e32 v4, s41
	s_clause 0x3
	buffer_load_dword v1, v4, s[0:3], 0 offen
	buffer_load_dword v2, v4, s[0:3], 0 offen offset:4
	buffer_load_dword v3, v4, s[0:3], 0 offen offset:8
	buffer_load_dword v4, v4, s[0:3], 0 offen offset:12
	s_waitcnt vmcnt(0)
	ds_write2_b64 v241, v[1:2], v[3:4] offset0:70 offset1:71
	v_mov_b32_e32 v4, s40
	s_clause 0x3
	buffer_load_dword v1, v4, s[0:3], 0 offen
	buffer_load_dword v2, v4, s[0:3], 0 offen offset:4
	buffer_load_dword v3, v4, s[0:3], 0 offen offset:8
	buffer_load_dword v4, v4, s[0:3], 0 offen offset:12
	s_waitcnt vmcnt(0)
	ds_write2_b64 v241, v[1:2], v[3:4] offset0:72 offset1:73
	;; [unrolled: 8-line block ×26, first 2 shown]
	ds_read2_b64 v[137:140], v255 offset1:1
	s_waitcnt lgkmcnt(0)
	v_cmp_neq_f64_e32 vcc_lo, 0, v[137:138]
	v_cmp_neq_f64_e64 s5, 0, v[139:140]
	s_or_b32 s5, vcc_lo, s5
	s_and_b32 exec_lo, exec_lo, s5
	s_cbranch_execz .LBB121_424
; %bb.419:
	v_cmp_ngt_f64_e64 s5, |v[137:138]|, |v[139:140]|
                                        ; implicit-def: $vgpr1_vgpr2
	s_and_saveexec_b32 s7, s5
	s_xor_b32 s5, exec_lo, s7
                                        ; implicit-def: $vgpr3_vgpr4
	s_cbranch_execz .LBB121_421
; %bb.420:
	v_div_scale_f64 v[1:2], null, v[139:140], v[139:140], v[137:138]
	v_div_scale_f64 v[143:144], vcc_lo, v[137:138], v[139:140], v[137:138]
	v_rcp_f64_e32 v[3:4], v[1:2]
	v_fma_f64 v[141:142], -v[1:2], v[3:4], 1.0
	v_fma_f64 v[3:4], v[3:4], v[141:142], v[3:4]
	v_fma_f64 v[141:142], -v[1:2], v[3:4], 1.0
	v_fma_f64 v[3:4], v[3:4], v[141:142], v[3:4]
	v_mul_f64 v[141:142], v[143:144], v[3:4]
	v_fma_f64 v[1:2], -v[1:2], v[141:142], v[143:144]
	v_div_fmas_f64 v[1:2], v[1:2], v[3:4], v[141:142]
	v_div_fixup_f64 v[1:2], v[1:2], v[139:140], v[137:138]
	v_fma_f64 v[3:4], v[137:138], v[1:2], v[139:140]
	v_div_scale_f64 v[137:138], null, v[3:4], v[3:4], 1.0
	v_rcp_f64_e32 v[139:140], v[137:138]
	v_fma_f64 v[141:142], -v[137:138], v[139:140], 1.0
	v_fma_f64 v[139:140], v[139:140], v[141:142], v[139:140]
	v_fma_f64 v[141:142], -v[137:138], v[139:140], 1.0
	v_fma_f64 v[139:140], v[139:140], v[141:142], v[139:140]
	v_div_scale_f64 v[141:142], vcc_lo, 1.0, v[3:4], 1.0
	v_mul_f64 v[143:144], v[141:142], v[139:140]
	v_fma_f64 v[137:138], -v[137:138], v[143:144], v[141:142]
	v_div_fmas_f64 v[137:138], v[137:138], v[139:140], v[143:144]
	v_div_fixup_f64 v[3:4], v[137:138], v[3:4], 1.0
                                        ; implicit-def: $vgpr137_vgpr138
	v_mul_f64 v[1:2], v[1:2], v[3:4]
	v_xor_b32_e32 v4, 0x80000000, v4
.LBB121_421:
	s_andn2_saveexec_b32 s5, s5
	s_cbranch_execz .LBB121_423
; %bb.422:
	v_div_scale_f64 v[1:2], null, v[137:138], v[137:138], v[139:140]
	v_div_scale_f64 v[143:144], vcc_lo, v[139:140], v[137:138], v[139:140]
	v_rcp_f64_e32 v[3:4], v[1:2]
	v_fma_f64 v[141:142], -v[1:2], v[3:4], 1.0
	v_fma_f64 v[3:4], v[3:4], v[141:142], v[3:4]
	v_fma_f64 v[141:142], -v[1:2], v[3:4], 1.0
	v_fma_f64 v[3:4], v[3:4], v[141:142], v[3:4]
	v_mul_f64 v[141:142], v[143:144], v[3:4]
	v_fma_f64 v[1:2], -v[1:2], v[141:142], v[143:144]
	v_div_fmas_f64 v[1:2], v[1:2], v[3:4], v[141:142]
	v_div_fixup_f64 v[3:4], v[1:2], v[137:138], v[139:140]
	v_fma_f64 v[1:2], v[139:140], v[3:4], v[137:138]
	v_div_scale_f64 v[137:138], null, v[1:2], v[1:2], 1.0
	v_rcp_f64_e32 v[139:140], v[137:138]
	v_fma_f64 v[141:142], -v[137:138], v[139:140], 1.0
	v_fma_f64 v[139:140], v[139:140], v[141:142], v[139:140]
	v_fma_f64 v[141:142], -v[137:138], v[139:140], 1.0
	v_fma_f64 v[139:140], v[139:140], v[141:142], v[139:140]
	v_div_scale_f64 v[141:142], vcc_lo, 1.0, v[1:2], 1.0
	v_mul_f64 v[143:144], v[141:142], v[139:140]
	v_fma_f64 v[137:138], -v[137:138], v[143:144], v[141:142]
	v_div_fmas_f64 v[137:138], v[137:138], v[139:140], v[143:144]
	v_div_fixup_f64 v[1:2], v[137:138], v[1:2], 1.0
	v_mul_f64 v[3:4], v[3:4], -v[1:2]
.LBB121_423:
	s_or_b32 exec_lo, exec_lo, s5
	ds_write2_b64 v255, v[1:2], v[3:4] offset1:1
.LBB121_424:
	s_or_b32 exec_lo, exec_lo, s6
	s_waitcnt lgkmcnt(0)
	s_barrier
	buffer_gl0_inv
	ds_read2_b64 v[137:140], v255 offset1:1
	s_mov_b32 s5, exec_lo
	v_cmpx_lt_u32_e32 34, v0
	s_cbranch_execz .LBB121_427
; %bb.425:
	s_clause 0x3
	buffer_load_dword v1, off, s[0:3], 0 offset:552
	buffer_load_dword v2, off, s[0:3], 0 offset:556
	;; [unrolled: 1-line block ×4, first 2 shown]
	s_mov_b32 s6, 0
	s_waitcnt vmcnt(2) lgkmcnt(0)
	v_mul_f64 v[141:142], v[139:140], v[1:2]
	v_mul_f64 v[1:2], v[137:138], v[1:2]
	s_waitcnt vmcnt(0)
	v_fma_f64 v[141:142], v[137:138], v[3:4], -v[141:142]
	v_fma_f64 v[143:144], v[139:140], v[3:4], v[1:2]
	buffer_store_dword v141, off, s[0:3], 0 offset:544
	buffer_store_dword v142, off, s[0:3], 0 offset:548
	;; [unrolled: 1-line block ×4, first 2 shown]
.LBB121_426:                            ; =>This Inner Loop Header: Depth=1
	v_add3_u32 v1, v177, 0, 0x230
	v_mov_b32_e32 v6, s6
	v_add_nc_u32_e32 v5, s6, v1
	s_add_i32 s6, s6, 32
	s_cmpk_lg_i32 s6, 0x1a0
	ds_read2_b64 v[1:4], v5 offset1:1
	s_waitcnt lgkmcnt(0)
	v_mul_f64 v[145:146], v[3:4], v[143:144]
	v_fma_f64 v[145:146], v[1:2], v[141:142], -v[145:146]
	v_mul_f64 v[1:2], v[1:2], v[143:144]
	v_fma_f64 v[1:2], v[3:4], v[141:142], v[1:2]
	s_clause 0x7
	buffer_load_dword v3, v6, s[0:3], 0 offen offset:560
	buffer_load_dword v4, v6, s[0:3], 0 offen offset:564
	buffer_load_dword v147, v6, s[0:3], 0 offen offset:568
	buffer_load_dword v148, v6, s[0:3], 0 offen offset:572
	buffer_load_dword v149, v6, s[0:3], 0 offen offset:576
	buffer_load_dword v150, v6, s[0:3], 0 offen offset:580
	buffer_load_dword v151, v6, s[0:3], 0 offen offset:584
	buffer_load_dword v152, v6, s[0:3], 0 offen offset:588
	s_waitcnt vmcnt(6)
	v_add_f64 v[3:4], v[3:4], -v[145:146]
	s_waitcnt vmcnt(4)
	v_add_f64 v[1:2], v[147:148], -v[1:2]
	buffer_store_dword v3, v6, s[0:3], 0 offen offset:560
	buffer_store_dword v4, v6, s[0:3], 0 offen offset:564
	;; [unrolled: 1-line block ×4, first 2 shown]
	ds_read2_b64 v[1:4], v5 offset0:2 offset1:3
	s_waitcnt lgkmcnt(0)
	v_mul_f64 v[145:146], v[3:4], v[143:144]
	v_fma_f64 v[145:146], v[1:2], v[141:142], -v[145:146]
	v_mul_f64 v[1:2], v[1:2], v[143:144]
	v_fma_f64 v[1:2], v[3:4], v[141:142], v[1:2]
	s_waitcnt vmcnt(2)
	v_add_f64 v[3:4], v[149:150], -v[145:146]
	s_waitcnt vmcnt(0)
	v_add_f64 v[1:2], v[151:152], -v[1:2]
	buffer_store_dword v3, v6, s[0:3], 0 offen offset:576
	buffer_store_dword v4, v6, s[0:3], 0 offen offset:580
	;; [unrolled: 1-line block ×4, first 2 shown]
	s_cbranch_scc1 .LBB121_426
.LBB121_427:
	s_or_b32 exec_lo, exec_lo, s5
	s_mov_b32 s6, exec_lo
	s_waitcnt lgkmcnt(0)
	s_waitcnt_vscnt null, 0x0
	s_barrier
	buffer_gl0_inv
	v_cmpx_eq_u32_e32 35, v0
	s_cbranch_execz .LBB121_434
; %bb.428:
	v_mov_b32_e32 v4, s41
	s_clause 0x3
	buffer_load_dword v1, v4, s[0:3], 0 offen
	buffer_load_dword v2, v4, s[0:3], 0 offen offset:4
	buffer_load_dword v3, v4, s[0:3], 0 offen offset:8
	;; [unrolled: 1-line block ×3, first 2 shown]
	s_waitcnt vmcnt(0)
	ds_write2_b64 v255, v[1:2], v[3:4] offset1:1
	v_mov_b32_e32 v4, s40
	s_clause 0x3
	buffer_load_dword v1, v4, s[0:3], 0 offen
	buffer_load_dword v2, v4, s[0:3], 0 offen offset:4
	buffer_load_dword v3, v4, s[0:3], 0 offen offset:8
	buffer_load_dword v4, v4, s[0:3], 0 offen offset:12
	s_waitcnt vmcnt(0)
	ds_write2_b64 v241, v[1:2], v[3:4] offset0:72 offset1:73
	v_mov_b32_e32 v4, s39
	s_clause 0x3
	buffer_load_dword v1, v4, s[0:3], 0 offen
	buffer_load_dword v2, v4, s[0:3], 0 offen offset:4
	buffer_load_dword v3, v4, s[0:3], 0 offen offset:8
	buffer_load_dword v4, v4, s[0:3], 0 offen offset:12
	s_waitcnt vmcnt(0)
	ds_write2_b64 v241, v[1:2], v[3:4] offset0:74 offset1:75
	;; [unrolled: 8-line block ×25, first 2 shown]
	ds_read2_b64 v[141:144], v255 offset1:1
	s_waitcnt lgkmcnt(0)
	v_cmp_neq_f64_e32 vcc_lo, 0, v[141:142]
	v_cmp_neq_f64_e64 s5, 0, v[143:144]
	s_or_b32 s5, vcc_lo, s5
	s_and_b32 exec_lo, exec_lo, s5
	s_cbranch_execz .LBB121_434
; %bb.429:
	v_cmp_ngt_f64_e64 s5, |v[141:142]|, |v[143:144]|
                                        ; implicit-def: $vgpr1_vgpr2
	s_and_saveexec_b32 s7, s5
	s_xor_b32 s5, exec_lo, s7
                                        ; implicit-def: $vgpr3_vgpr4
	s_cbranch_execz .LBB121_431
; %bb.430:
	v_div_scale_f64 v[1:2], null, v[143:144], v[143:144], v[141:142]
	v_div_scale_f64 v[147:148], vcc_lo, v[141:142], v[143:144], v[141:142]
	v_rcp_f64_e32 v[3:4], v[1:2]
	v_fma_f64 v[145:146], -v[1:2], v[3:4], 1.0
	v_fma_f64 v[3:4], v[3:4], v[145:146], v[3:4]
	v_fma_f64 v[145:146], -v[1:2], v[3:4], 1.0
	v_fma_f64 v[3:4], v[3:4], v[145:146], v[3:4]
	v_mul_f64 v[145:146], v[147:148], v[3:4]
	v_fma_f64 v[1:2], -v[1:2], v[145:146], v[147:148]
	v_div_fmas_f64 v[1:2], v[1:2], v[3:4], v[145:146]
	v_div_fixup_f64 v[1:2], v[1:2], v[143:144], v[141:142]
	v_fma_f64 v[3:4], v[141:142], v[1:2], v[143:144]
	v_div_scale_f64 v[141:142], null, v[3:4], v[3:4], 1.0
	v_rcp_f64_e32 v[143:144], v[141:142]
	v_fma_f64 v[145:146], -v[141:142], v[143:144], 1.0
	v_fma_f64 v[143:144], v[143:144], v[145:146], v[143:144]
	v_fma_f64 v[145:146], -v[141:142], v[143:144], 1.0
	v_fma_f64 v[143:144], v[143:144], v[145:146], v[143:144]
	v_div_scale_f64 v[145:146], vcc_lo, 1.0, v[3:4], 1.0
	v_mul_f64 v[147:148], v[145:146], v[143:144]
	v_fma_f64 v[141:142], -v[141:142], v[147:148], v[145:146]
	v_div_fmas_f64 v[141:142], v[141:142], v[143:144], v[147:148]
	v_div_fixup_f64 v[3:4], v[141:142], v[3:4], 1.0
                                        ; implicit-def: $vgpr141_vgpr142
	v_mul_f64 v[1:2], v[1:2], v[3:4]
	v_xor_b32_e32 v4, 0x80000000, v4
.LBB121_431:
	s_andn2_saveexec_b32 s5, s5
	s_cbranch_execz .LBB121_433
; %bb.432:
	v_div_scale_f64 v[1:2], null, v[141:142], v[141:142], v[143:144]
	v_div_scale_f64 v[147:148], vcc_lo, v[143:144], v[141:142], v[143:144]
	v_rcp_f64_e32 v[3:4], v[1:2]
	v_fma_f64 v[145:146], -v[1:2], v[3:4], 1.0
	v_fma_f64 v[3:4], v[3:4], v[145:146], v[3:4]
	v_fma_f64 v[145:146], -v[1:2], v[3:4], 1.0
	v_fma_f64 v[3:4], v[3:4], v[145:146], v[3:4]
	v_mul_f64 v[145:146], v[147:148], v[3:4]
	v_fma_f64 v[1:2], -v[1:2], v[145:146], v[147:148]
	v_div_fmas_f64 v[1:2], v[1:2], v[3:4], v[145:146]
	v_div_fixup_f64 v[3:4], v[1:2], v[141:142], v[143:144]
	v_fma_f64 v[1:2], v[143:144], v[3:4], v[141:142]
	v_div_scale_f64 v[141:142], null, v[1:2], v[1:2], 1.0
	v_rcp_f64_e32 v[143:144], v[141:142]
	v_fma_f64 v[145:146], -v[141:142], v[143:144], 1.0
	v_fma_f64 v[143:144], v[143:144], v[145:146], v[143:144]
	v_fma_f64 v[145:146], -v[141:142], v[143:144], 1.0
	v_fma_f64 v[143:144], v[143:144], v[145:146], v[143:144]
	v_div_scale_f64 v[145:146], vcc_lo, 1.0, v[1:2], 1.0
	v_mul_f64 v[147:148], v[145:146], v[143:144]
	v_fma_f64 v[141:142], -v[141:142], v[147:148], v[145:146]
	v_div_fmas_f64 v[141:142], v[141:142], v[143:144], v[147:148]
	v_div_fixup_f64 v[1:2], v[141:142], v[1:2], 1.0
	v_mul_f64 v[3:4], v[3:4], -v[1:2]
.LBB121_433:
	s_or_b32 exec_lo, exec_lo, s5
	ds_write2_b64 v255, v[1:2], v[3:4] offset1:1
.LBB121_434:
	s_or_b32 exec_lo, exec_lo, s6
	s_waitcnt lgkmcnt(0)
	s_barrier
	buffer_gl0_inv
	ds_read2_b64 v[141:144], v255 offset1:1
	s_mov_b32 s5, exec_lo
	v_cmpx_lt_u32_e32 35, v0
	s_cbranch_execz .LBB121_437
; %bb.435:
	s_clause 0x3
	buffer_load_dword v1, off, s[0:3], 0 offset:568
	buffer_load_dword v2, off, s[0:3], 0 offset:572
	;; [unrolled: 1-line block ×4, first 2 shown]
	s_mov_b32 s6, 0
	s_waitcnt vmcnt(2) lgkmcnt(0)
	v_mul_f64 v[145:146], v[143:144], v[1:2]
	v_mul_f64 v[1:2], v[141:142], v[1:2]
	s_waitcnt vmcnt(0)
	v_fma_f64 v[145:146], v[141:142], v[3:4], -v[145:146]
	v_fma_f64 v[147:148], v[143:144], v[3:4], v[1:2]
	buffer_store_dword v145, off, s[0:3], 0 offset:560
	buffer_store_dword v146, off, s[0:3], 0 offset:564
	;; [unrolled: 1-line block ×4, first 2 shown]
.LBB121_436:                            ; =>This Inner Loop Header: Depth=1
	v_add3_u32 v1, v177, 0, 0x240
	v_mov_b32_e32 v6, s6
	v_add_nc_u32_e32 v5, s6, v1
	s_addk_i32 s6, 0x50
	s_cmpk_lg_i32 s6, 0x190
	ds_read2_b64 v[1:4], v5 offset1:1
	s_waitcnt lgkmcnt(0)
	v_mul_f64 v[149:150], v[3:4], v[147:148]
	v_fma_f64 v[149:150], v[1:2], v[145:146], -v[149:150]
	v_mul_f64 v[1:2], v[1:2], v[147:148]
	v_fma_f64 v[1:2], v[3:4], v[145:146], v[1:2]
	s_clause 0xf
	buffer_load_dword v3, v6, s[0:3], 0 offen offset:576
	buffer_load_dword v4, v6, s[0:3], 0 offen offset:580
	;; [unrolled: 1-line block ×16, first 2 shown]
	s_waitcnt vmcnt(14)
	v_add_f64 v[3:4], v[3:4], -v[149:150]
	s_waitcnt vmcnt(12)
	v_add_f64 v[1:2], v[151:152], -v[1:2]
	buffer_store_dword v3, v6, s[0:3], 0 offen offset:576
	buffer_store_dword v4, v6, s[0:3], 0 offen offset:580
	buffer_store_dword v1, v6, s[0:3], 0 offen offset:584
	buffer_store_dword v2, v6, s[0:3], 0 offen offset:588
	ds_read2_b64 v[1:4], v5 offset0:2 offset1:3
	s_waitcnt lgkmcnt(0)
	v_mul_f64 v[149:150], v[3:4], v[147:148]
	v_fma_f64 v[149:150], v[1:2], v[145:146], -v[149:150]
	v_mul_f64 v[1:2], v[1:2], v[147:148]
	v_fma_f64 v[1:2], v[3:4], v[145:146], v[1:2]
	s_waitcnt vmcnt(10)
	v_add_f64 v[3:4], v[153:154], -v[149:150]
	s_waitcnt vmcnt(8)
	v_add_f64 v[1:2], v[155:156], -v[1:2]
	buffer_store_dword v3, v6, s[0:3], 0 offen offset:592
	buffer_store_dword v4, v6, s[0:3], 0 offen offset:596
	buffer_store_dword v1, v6, s[0:3], 0 offen offset:600
	buffer_store_dword v2, v6, s[0:3], 0 offen offset:604
	ds_read2_b64 v[1:4], v5 offset0:4 offset1:5
	s_waitcnt lgkmcnt(0)
	v_mul_f64 v[149:150], v[3:4], v[147:148]
	v_fma_f64 v[149:150], v[1:2], v[145:146], -v[149:150]
	v_mul_f64 v[1:2], v[1:2], v[147:148]
	v_fma_f64 v[1:2], v[3:4], v[145:146], v[1:2]
	s_waitcnt vmcnt(6)
	v_add_f64 v[3:4], v[157:158], -v[149:150]
	s_waitcnt vmcnt(4)
	v_add_f64 v[1:2], v[159:160], -v[1:2]
	buffer_store_dword v3, v6, s[0:3], 0 offen offset:608
	buffer_store_dword v4, v6, s[0:3], 0 offen offset:612
	buffer_store_dword v1, v6, s[0:3], 0 offen offset:616
	buffer_store_dword v2, v6, s[0:3], 0 offen offset:620
	ds_read2_b64 v[1:4], v5 offset0:6 offset1:7
	s_waitcnt lgkmcnt(0)
	v_mul_f64 v[149:150], v[3:4], v[147:148]
	v_fma_f64 v[149:150], v[1:2], v[145:146], -v[149:150]
	v_mul_f64 v[1:2], v[1:2], v[147:148]
	v_fma_f64 v[1:2], v[3:4], v[145:146], v[1:2]
	s_waitcnt vmcnt(2)
	v_add_f64 v[3:4], v[161:162], -v[149:150]
	s_waitcnt vmcnt(0)
	v_add_f64 v[1:2], v[163:164], -v[1:2]
	buffer_store_dword v4, v6, s[0:3], 0 offen offset:628
	buffer_store_dword v3, v6, s[0:3], 0 offen offset:624
	buffer_store_dword v1, v6, s[0:3], 0 offen offset:632
	buffer_store_dword v2, v6, s[0:3], 0 offen offset:636
	ds_read2_b64 v[1:4], v5 offset0:8 offset1:9
	s_waitcnt lgkmcnt(0)
	v_mul_f64 v[149:150], v[3:4], v[147:148]
	v_fma_f64 v[149:150], v[1:2], v[145:146], -v[149:150]
	v_mul_f64 v[1:2], v[1:2], v[147:148]
	v_fma_f64 v[1:2], v[3:4], v[145:146], v[1:2]
	s_clause 0x3
	buffer_load_dword v3, v6, s[0:3], 0 offen offset:640
	buffer_load_dword v4, v6, s[0:3], 0 offen offset:644
	;; [unrolled: 1-line block ×4, first 2 shown]
	s_waitcnt vmcnt(2)
	v_add_f64 v[3:4], v[3:4], -v[149:150]
	s_waitcnt vmcnt(0)
	v_add_f64 v[1:2], v[151:152], -v[1:2]
	buffer_store_dword v4, v6, s[0:3], 0 offen offset:644
	buffer_store_dword v3, v6, s[0:3], 0 offen offset:640
	;; [unrolled: 1-line block ×4, first 2 shown]
	s_cbranch_scc1 .LBB121_436
.LBB121_437:
	s_or_b32 exec_lo, exec_lo, s5
	s_mov_b32 s6, exec_lo
	s_waitcnt lgkmcnt(0)
	s_waitcnt_vscnt null, 0x0
	s_barrier
	buffer_gl0_inv
	v_cmpx_eq_u32_e32 36, v0
	s_cbranch_execz .LBB121_444
; %bb.438:
	v_mov_b32_e32 v4, s40
	s_clause 0x3
	buffer_load_dword v1, v4, s[0:3], 0 offen
	buffer_load_dword v2, v4, s[0:3], 0 offen offset:4
	buffer_load_dword v3, v4, s[0:3], 0 offen offset:8
	;; [unrolled: 1-line block ×3, first 2 shown]
	s_waitcnt vmcnt(0)
	ds_write2_b64 v255, v[1:2], v[3:4] offset1:1
	v_mov_b32_e32 v4, s39
	s_clause 0x3
	buffer_load_dword v1, v4, s[0:3], 0 offen
	buffer_load_dword v2, v4, s[0:3], 0 offen offset:4
	buffer_load_dword v3, v4, s[0:3], 0 offen offset:8
	buffer_load_dword v4, v4, s[0:3], 0 offen offset:12
	s_waitcnt vmcnt(0)
	ds_write2_b64 v241, v[1:2], v[3:4] offset0:74 offset1:75
	v_mov_b32_e32 v4, s38
	s_clause 0x3
	buffer_load_dword v1, v4, s[0:3], 0 offen
	buffer_load_dword v2, v4, s[0:3], 0 offen offset:4
	buffer_load_dword v3, v4, s[0:3], 0 offen offset:8
	buffer_load_dword v4, v4, s[0:3], 0 offen offset:12
	s_waitcnt vmcnt(0)
	ds_write2_b64 v241, v[1:2], v[3:4] offset0:76 offset1:77
	v_mov_b32_e32 v4, s37
	s_clause 0x3
	buffer_load_dword v1, v4, s[0:3], 0 offen
	buffer_load_dword v2, v4, s[0:3], 0 offen offset:4
	buffer_load_dword v3, v4, s[0:3], 0 offen offset:8
	buffer_load_dword v4, v4, s[0:3], 0 offen offset:12
	s_waitcnt vmcnt(0)
	ds_write2_b64 v241, v[1:2], v[3:4] offset0:78 offset1:79
	v_mov_b32_e32 v4, s36
	s_clause 0x3
	buffer_load_dword v1, v4, s[0:3], 0 offen
	buffer_load_dword v2, v4, s[0:3], 0 offen offset:4
	buffer_load_dword v3, v4, s[0:3], 0 offen offset:8
	buffer_load_dword v4, v4, s[0:3], 0 offen offset:12
	s_waitcnt vmcnt(0)
	ds_write2_b64 v241, v[1:2], v[3:4] offset0:80 offset1:81
	v_mov_b32_e32 v4, s35
	s_clause 0x3
	buffer_load_dword v1, v4, s[0:3], 0 offen
	buffer_load_dword v2, v4, s[0:3], 0 offen offset:4
	buffer_load_dword v3, v4, s[0:3], 0 offen offset:8
	buffer_load_dword v4, v4, s[0:3], 0 offen offset:12
	s_waitcnt vmcnt(0)
	ds_write2_b64 v241, v[1:2], v[3:4] offset0:82 offset1:83
	v_mov_b32_e32 v4, s34
	s_clause 0x3
	buffer_load_dword v1, v4, s[0:3], 0 offen
	buffer_load_dword v2, v4, s[0:3], 0 offen offset:4
	buffer_load_dword v3, v4, s[0:3], 0 offen offset:8
	buffer_load_dword v4, v4, s[0:3], 0 offen offset:12
	s_waitcnt vmcnt(0)
	ds_write2_b64 v241, v[1:2], v[3:4] offset0:84 offset1:85
	v_mov_b32_e32 v4, s33
	s_clause 0x3
	buffer_load_dword v1, v4, s[0:3], 0 offen
	buffer_load_dword v2, v4, s[0:3], 0 offen offset:4
	buffer_load_dword v3, v4, s[0:3], 0 offen offset:8
	buffer_load_dword v4, v4, s[0:3], 0 offen offset:12
	s_waitcnt vmcnt(0)
	ds_write2_b64 v241, v[1:2], v[3:4] offset0:86 offset1:87
	v_mov_b32_e32 v4, s31
	s_clause 0x3
	buffer_load_dword v1, v4, s[0:3], 0 offen
	buffer_load_dword v2, v4, s[0:3], 0 offen offset:4
	buffer_load_dword v3, v4, s[0:3], 0 offen offset:8
	buffer_load_dword v4, v4, s[0:3], 0 offen offset:12
	s_waitcnt vmcnt(0)
	ds_write2_b64 v241, v[1:2], v[3:4] offset0:88 offset1:89
	v_mov_b32_e32 v4, s30
	s_clause 0x3
	buffer_load_dword v1, v4, s[0:3], 0 offen
	buffer_load_dword v2, v4, s[0:3], 0 offen offset:4
	buffer_load_dword v3, v4, s[0:3], 0 offen offset:8
	buffer_load_dword v4, v4, s[0:3], 0 offen offset:12
	s_waitcnt vmcnt(0)
	ds_write2_b64 v241, v[1:2], v[3:4] offset0:90 offset1:91
	v_mov_b32_e32 v4, s29
	s_clause 0x3
	buffer_load_dword v1, v4, s[0:3], 0 offen
	buffer_load_dword v2, v4, s[0:3], 0 offen offset:4
	buffer_load_dword v3, v4, s[0:3], 0 offen offset:8
	buffer_load_dword v4, v4, s[0:3], 0 offen offset:12
	s_waitcnt vmcnt(0)
	ds_write2_b64 v241, v[1:2], v[3:4] offset0:92 offset1:93
	v_mov_b32_e32 v4, s28
	s_clause 0x3
	buffer_load_dword v1, v4, s[0:3], 0 offen
	buffer_load_dword v2, v4, s[0:3], 0 offen offset:4
	buffer_load_dword v3, v4, s[0:3], 0 offen offset:8
	buffer_load_dword v4, v4, s[0:3], 0 offen offset:12
	s_waitcnt vmcnt(0)
	ds_write2_b64 v241, v[1:2], v[3:4] offset0:94 offset1:95
	v_mov_b32_e32 v4, s27
	s_clause 0x3
	buffer_load_dword v1, v4, s[0:3], 0 offen
	buffer_load_dword v2, v4, s[0:3], 0 offen offset:4
	buffer_load_dword v3, v4, s[0:3], 0 offen offset:8
	buffer_load_dword v4, v4, s[0:3], 0 offen offset:12
	s_waitcnt vmcnt(0)
	ds_write2_b64 v241, v[1:2], v[3:4] offset0:96 offset1:97
	v_mov_b32_e32 v4, s26
	s_clause 0x3
	buffer_load_dword v1, v4, s[0:3], 0 offen
	buffer_load_dword v2, v4, s[0:3], 0 offen offset:4
	buffer_load_dword v3, v4, s[0:3], 0 offen offset:8
	buffer_load_dword v4, v4, s[0:3], 0 offen offset:12
	s_waitcnt vmcnt(0)
	ds_write2_b64 v241, v[1:2], v[3:4] offset0:98 offset1:99
	v_mov_b32_e32 v4, s25
	s_clause 0x3
	buffer_load_dword v1, v4, s[0:3], 0 offen
	buffer_load_dword v2, v4, s[0:3], 0 offen offset:4
	buffer_load_dword v3, v4, s[0:3], 0 offen offset:8
	buffer_load_dword v4, v4, s[0:3], 0 offen offset:12
	s_waitcnt vmcnt(0)
	ds_write2_b64 v241, v[1:2], v[3:4] offset0:100 offset1:101
	v_mov_b32_e32 v4, s24
	s_clause 0x3
	buffer_load_dword v1, v4, s[0:3], 0 offen
	buffer_load_dword v2, v4, s[0:3], 0 offen offset:4
	buffer_load_dword v3, v4, s[0:3], 0 offen offset:8
	buffer_load_dword v4, v4, s[0:3], 0 offen offset:12
	s_waitcnt vmcnt(0)
	ds_write2_b64 v241, v[1:2], v[3:4] offset0:102 offset1:103
	v_mov_b32_e32 v4, s23
	s_clause 0x3
	buffer_load_dword v1, v4, s[0:3], 0 offen
	buffer_load_dword v2, v4, s[0:3], 0 offen offset:4
	buffer_load_dword v3, v4, s[0:3], 0 offen offset:8
	buffer_load_dword v4, v4, s[0:3], 0 offen offset:12
	s_waitcnt vmcnt(0)
	ds_write2_b64 v241, v[1:2], v[3:4] offset0:104 offset1:105
	v_mov_b32_e32 v4, s22
	s_clause 0x3
	buffer_load_dword v1, v4, s[0:3], 0 offen
	buffer_load_dword v2, v4, s[0:3], 0 offen offset:4
	buffer_load_dword v3, v4, s[0:3], 0 offen offset:8
	buffer_load_dword v4, v4, s[0:3], 0 offen offset:12
	s_waitcnt vmcnt(0)
	ds_write2_b64 v241, v[1:2], v[3:4] offset0:106 offset1:107
	v_mov_b32_e32 v4, s21
	s_clause 0x3
	buffer_load_dword v1, v4, s[0:3], 0 offen
	buffer_load_dword v2, v4, s[0:3], 0 offen offset:4
	buffer_load_dword v3, v4, s[0:3], 0 offen offset:8
	buffer_load_dword v4, v4, s[0:3], 0 offen offset:12
	s_waitcnt vmcnt(0)
	ds_write2_b64 v241, v[1:2], v[3:4] offset0:108 offset1:109
	v_mov_b32_e32 v4, s20
	s_clause 0x3
	buffer_load_dword v1, v4, s[0:3], 0 offen
	buffer_load_dword v2, v4, s[0:3], 0 offen offset:4
	buffer_load_dword v3, v4, s[0:3], 0 offen offset:8
	buffer_load_dword v4, v4, s[0:3], 0 offen offset:12
	s_waitcnt vmcnt(0)
	ds_write2_b64 v241, v[1:2], v[3:4] offset0:110 offset1:111
	v_mov_b32_e32 v4, s19
	s_clause 0x3
	buffer_load_dword v1, v4, s[0:3], 0 offen
	buffer_load_dword v2, v4, s[0:3], 0 offen offset:4
	buffer_load_dword v3, v4, s[0:3], 0 offen offset:8
	buffer_load_dword v4, v4, s[0:3], 0 offen offset:12
	s_waitcnt vmcnt(0)
	ds_write2_b64 v241, v[1:2], v[3:4] offset0:112 offset1:113
	v_mov_b32_e32 v4, s18
	s_clause 0x3
	buffer_load_dword v1, v4, s[0:3], 0 offen
	buffer_load_dword v2, v4, s[0:3], 0 offen offset:4
	buffer_load_dword v3, v4, s[0:3], 0 offen offset:8
	buffer_load_dword v4, v4, s[0:3], 0 offen offset:12
	s_waitcnt vmcnt(0)
	ds_write2_b64 v241, v[1:2], v[3:4] offset0:114 offset1:115
	v_mov_b32_e32 v4, s16
	s_clause 0x3
	buffer_load_dword v1, v4, s[0:3], 0 offen
	buffer_load_dword v2, v4, s[0:3], 0 offen offset:4
	buffer_load_dword v3, v4, s[0:3], 0 offen offset:8
	buffer_load_dword v4, v4, s[0:3], 0 offen offset:12
	s_waitcnt vmcnt(0)
	ds_write2_b64 v241, v[1:2], v[3:4] offset0:116 offset1:117
	v_mov_b32_e32 v4, s13
	s_clause 0x3
	buffer_load_dword v1, v4, s[0:3], 0 offen
	buffer_load_dword v2, v4, s[0:3], 0 offen offset:4
	buffer_load_dword v3, v4, s[0:3], 0 offen offset:8
	buffer_load_dword v4, v4, s[0:3], 0 offen offset:12
	s_waitcnt vmcnt(0)
	ds_write2_b64 v241, v[1:2], v[3:4] offset0:118 offset1:119
	v_mov_b32_e32 v4, s12
	s_clause 0x3
	buffer_load_dword v1, v4, s[0:3], 0 offen
	buffer_load_dword v2, v4, s[0:3], 0 offen offset:4
	buffer_load_dword v3, v4, s[0:3], 0 offen offset:8
	buffer_load_dword v4, v4, s[0:3], 0 offen offset:12
	s_waitcnt vmcnt(0)
	ds_write2_b64 v241, v[1:2], v[3:4] offset0:120 offset1:121
	ds_read2_b64 v[145:148], v255 offset1:1
	s_waitcnt lgkmcnt(0)
	v_cmp_neq_f64_e32 vcc_lo, 0, v[145:146]
	v_cmp_neq_f64_e64 s5, 0, v[147:148]
	s_or_b32 s5, vcc_lo, s5
	s_and_b32 exec_lo, exec_lo, s5
	s_cbranch_execz .LBB121_444
; %bb.439:
	v_cmp_ngt_f64_e64 s5, |v[145:146]|, |v[147:148]|
                                        ; implicit-def: $vgpr1_vgpr2
	s_and_saveexec_b32 s7, s5
	s_xor_b32 s5, exec_lo, s7
                                        ; implicit-def: $vgpr3_vgpr4
	s_cbranch_execz .LBB121_441
; %bb.440:
	v_div_scale_f64 v[1:2], null, v[147:148], v[147:148], v[145:146]
	v_div_scale_f64 v[151:152], vcc_lo, v[145:146], v[147:148], v[145:146]
	v_rcp_f64_e32 v[3:4], v[1:2]
	v_fma_f64 v[149:150], -v[1:2], v[3:4], 1.0
	v_fma_f64 v[3:4], v[3:4], v[149:150], v[3:4]
	v_fma_f64 v[149:150], -v[1:2], v[3:4], 1.0
	v_fma_f64 v[3:4], v[3:4], v[149:150], v[3:4]
	v_mul_f64 v[149:150], v[151:152], v[3:4]
	v_fma_f64 v[1:2], -v[1:2], v[149:150], v[151:152]
	v_div_fmas_f64 v[1:2], v[1:2], v[3:4], v[149:150]
	v_div_fixup_f64 v[1:2], v[1:2], v[147:148], v[145:146]
	v_fma_f64 v[3:4], v[145:146], v[1:2], v[147:148]
	v_div_scale_f64 v[145:146], null, v[3:4], v[3:4], 1.0
	v_rcp_f64_e32 v[147:148], v[145:146]
	v_fma_f64 v[149:150], -v[145:146], v[147:148], 1.0
	v_fma_f64 v[147:148], v[147:148], v[149:150], v[147:148]
	v_fma_f64 v[149:150], -v[145:146], v[147:148], 1.0
	v_fma_f64 v[147:148], v[147:148], v[149:150], v[147:148]
	v_div_scale_f64 v[149:150], vcc_lo, 1.0, v[3:4], 1.0
	v_mul_f64 v[151:152], v[149:150], v[147:148]
	v_fma_f64 v[145:146], -v[145:146], v[151:152], v[149:150]
	v_div_fmas_f64 v[145:146], v[145:146], v[147:148], v[151:152]
	v_div_fixup_f64 v[3:4], v[145:146], v[3:4], 1.0
                                        ; implicit-def: $vgpr145_vgpr146
	v_mul_f64 v[1:2], v[1:2], v[3:4]
	v_xor_b32_e32 v4, 0x80000000, v4
.LBB121_441:
	s_andn2_saveexec_b32 s5, s5
	s_cbranch_execz .LBB121_443
; %bb.442:
	v_div_scale_f64 v[1:2], null, v[145:146], v[145:146], v[147:148]
	v_div_scale_f64 v[151:152], vcc_lo, v[147:148], v[145:146], v[147:148]
	v_rcp_f64_e32 v[3:4], v[1:2]
	v_fma_f64 v[149:150], -v[1:2], v[3:4], 1.0
	v_fma_f64 v[3:4], v[3:4], v[149:150], v[3:4]
	v_fma_f64 v[149:150], -v[1:2], v[3:4], 1.0
	v_fma_f64 v[3:4], v[3:4], v[149:150], v[3:4]
	v_mul_f64 v[149:150], v[151:152], v[3:4]
	v_fma_f64 v[1:2], -v[1:2], v[149:150], v[151:152]
	v_div_fmas_f64 v[1:2], v[1:2], v[3:4], v[149:150]
	v_div_fixup_f64 v[3:4], v[1:2], v[145:146], v[147:148]
	v_fma_f64 v[1:2], v[147:148], v[3:4], v[145:146]
	v_div_scale_f64 v[145:146], null, v[1:2], v[1:2], 1.0
	v_rcp_f64_e32 v[147:148], v[145:146]
	v_fma_f64 v[149:150], -v[145:146], v[147:148], 1.0
	v_fma_f64 v[147:148], v[147:148], v[149:150], v[147:148]
	v_fma_f64 v[149:150], -v[145:146], v[147:148], 1.0
	v_fma_f64 v[147:148], v[147:148], v[149:150], v[147:148]
	v_div_scale_f64 v[149:150], vcc_lo, 1.0, v[1:2], 1.0
	v_mul_f64 v[151:152], v[149:150], v[147:148]
	v_fma_f64 v[145:146], -v[145:146], v[151:152], v[149:150]
	v_div_fmas_f64 v[145:146], v[145:146], v[147:148], v[151:152]
	v_div_fixup_f64 v[1:2], v[145:146], v[1:2], 1.0
	v_mul_f64 v[3:4], v[3:4], -v[1:2]
.LBB121_443:
	s_or_b32 exec_lo, exec_lo, s5
	ds_write2_b64 v255, v[1:2], v[3:4] offset1:1
.LBB121_444:
	s_or_b32 exec_lo, exec_lo, s6
	s_waitcnt lgkmcnt(0)
	s_barrier
	buffer_gl0_inv
	ds_read2_b64 v[145:148], v255 offset1:1
	s_mov_b32 s5, exec_lo
	v_cmpx_lt_u32_e32 36, v0
	s_cbranch_execz .LBB121_447
; %bb.445:
	s_clause 0x3
	buffer_load_dword v1, off, s[0:3], 0 offset:584
	buffer_load_dword v2, off, s[0:3], 0 offset:588
	;; [unrolled: 1-line block ×4, first 2 shown]
	s_mov_b32 s6, 0
	s_waitcnt vmcnt(2) lgkmcnt(0)
	v_mul_f64 v[149:150], v[147:148], v[1:2]
	v_mul_f64 v[1:2], v[145:146], v[1:2]
	s_waitcnt vmcnt(0)
	v_fma_f64 v[149:150], v[145:146], v[3:4], -v[149:150]
	v_fma_f64 v[151:152], v[147:148], v[3:4], v[1:2]
	buffer_store_dword v149, off, s[0:3], 0 offset:576
	buffer_store_dword v150, off, s[0:3], 0 offset:580
	;; [unrolled: 1-line block ×4, first 2 shown]
.LBB121_446:                            ; =>This Inner Loop Header: Depth=1
	v_add3_u32 v1, v177, 0, 0x250
	v_mov_b32_e32 v6, s6
	v_add_nc_u32_e32 v5, s6, v1
	s_addk_i32 s6, 0x60
	s_cmpk_lg_i32 s6, 0x180
	ds_read2_b64 v[1:4], v5 offset1:1
	s_waitcnt lgkmcnt(0)
	v_mul_f64 v[153:154], v[3:4], v[151:152]
	v_fma_f64 v[153:154], v[1:2], v[149:150], -v[153:154]
	v_mul_f64 v[1:2], v[1:2], v[151:152]
	v_fma_f64 v[1:2], v[3:4], v[149:150], v[1:2]
	s_clause 0xf
	buffer_load_dword v3, v6, s[0:3], 0 offen offset:592
	buffer_load_dword v4, v6, s[0:3], 0 offen offset:596
	;; [unrolled: 1-line block ×16, first 2 shown]
	s_waitcnt vmcnt(14)
	v_add_f64 v[3:4], v[3:4], -v[153:154]
	s_waitcnt vmcnt(12)
	v_add_f64 v[1:2], v[155:156], -v[1:2]
	buffer_store_dword v3, v6, s[0:3], 0 offen offset:592
	buffer_store_dword v4, v6, s[0:3], 0 offen offset:596
	buffer_store_dword v1, v6, s[0:3], 0 offen offset:600
	buffer_store_dword v2, v6, s[0:3], 0 offen offset:604
	ds_read2_b64 v[1:4], v5 offset0:2 offset1:3
	s_waitcnt lgkmcnt(0)
	v_mul_f64 v[153:154], v[3:4], v[151:152]
	v_fma_f64 v[153:154], v[1:2], v[149:150], -v[153:154]
	v_mul_f64 v[1:2], v[1:2], v[151:152]
	v_fma_f64 v[1:2], v[3:4], v[149:150], v[1:2]
	s_waitcnt vmcnt(10)
	v_add_f64 v[3:4], v[157:158], -v[153:154]
	s_waitcnt vmcnt(8)
	v_add_f64 v[1:2], v[159:160], -v[1:2]
	buffer_store_dword v3, v6, s[0:3], 0 offen offset:608
	buffer_store_dword v4, v6, s[0:3], 0 offen offset:612
	buffer_store_dword v1, v6, s[0:3], 0 offen offset:616
	buffer_store_dword v2, v6, s[0:3], 0 offen offset:620
	ds_read2_b64 v[1:4], v5 offset0:4 offset1:5
	s_waitcnt lgkmcnt(0)
	v_mul_f64 v[153:154], v[3:4], v[151:152]
	v_fma_f64 v[153:154], v[1:2], v[149:150], -v[153:154]
	v_mul_f64 v[1:2], v[1:2], v[151:152]
	v_fma_f64 v[1:2], v[3:4], v[149:150], v[1:2]
	;; [unrolled: 14-line block ×4, first 2 shown]
	s_clause 0x3
	buffer_load_dword v3, v6, s[0:3], 0 offen offset:656
	buffer_load_dword v4, v6, s[0:3], 0 offen offset:660
	;; [unrolled: 1-line block ×4, first 2 shown]
	s_waitcnt vmcnt(2)
	v_add_f64 v[3:4], v[3:4], -v[153:154]
	s_waitcnt vmcnt(0)
	v_add_f64 v[1:2], v[155:156], -v[1:2]
	buffer_store_dword v4, v6, s[0:3], 0 offen offset:660
	buffer_store_dword v3, v6, s[0:3], 0 offen offset:656
	;; [unrolled: 1-line block ×4, first 2 shown]
	ds_read2_b64 v[1:4], v5 offset0:10 offset1:11
	s_waitcnt lgkmcnt(0)
	v_mul_f64 v[153:154], v[3:4], v[151:152]
	v_fma_f64 v[153:154], v[1:2], v[149:150], -v[153:154]
	v_mul_f64 v[1:2], v[1:2], v[151:152]
	v_fma_f64 v[1:2], v[3:4], v[149:150], v[1:2]
	s_clause 0x3
	buffer_load_dword v3, v6, s[0:3], 0 offen offset:672
	buffer_load_dword v4, v6, s[0:3], 0 offen offset:676
	;; [unrolled: 1-line block ×4, first 2 shown]
	s_waitcnt vmcnt(2)
	v_add_f64 v[3:4], v[3:4], -v[153:154]
	s_waitcnt vmcnt(0)
	v_add_f64 v[1:2], v[155:156], -v[1:2]
	buffer_store_dword v4, v6, s[0:3], 0 offen offset:676
	buffer_store_dword v3, v6, s[0:3], 0 offen offset:672
	;; [unrolled: 1-line block ×4, first 2 shown]
	s_cbranch_scc1 .LBB121_446
.LBB121_447:
	s_or_b32 exec_lo, exec_lo, s5
	s_mov_b32 s6, exec_lo
	s_waitcnt lgkmcnt(0)
	s_waitcnt_vscnt null, 0x0
	s_barrier
	buffer_gl0_inv
	v_cmpx_eq_u32_e32 37, v0
	s_cbranch_execz .LBB121_454
; %bb.448:
	v_mov_b32_e32 v4, s39
	s_clause 0x3
	buffer_load_dword v1, v4, s[0:3], 0 offen
	buffer_load_dword v2, v4, s[0:3], 0 offen offset:4
	buffer_load_dword v3, v4, s[0:3], 0 offen offset:8
	;; [unrolled: 1-line block ×3, first 2 shown]
	s_waitcnt vmcnt(0)
	ds_write2_b64 v255, v[1:2], v[3:4] offset1:1
	v_mov_b32_e32 v4, s38
	s_clause 0x3
	buffer_load_dword v1, v4, s[0:3], 0 offen
	buffer_load_dword v2, v4, s[0:3], 0 offen offset:4
	buffer_load_dword v3, v4, s[0:3], 0 offen offset:8
	buffer_load_dword v4, v4, s[0:3], 0 offen offset:12
	s_waitcnt vmcnt(0)
	ds_write2_b64 v241, v[1:2], v[3:4] offset0:76 offset1:77
	v_mov_b32_e32 v4, s37
	s_clause 0x3
	buffer_load_dword v1, v4, s[0:3], 0 offen
	buffer_load_dword v2, v4, s[0:3], 0 offen offset:4
	buffer_load_dword v3, v4, s[0:3], 0 offen offset:8
	buffer_load_dword v4, v4, s[0:3], 0 offen offset:12
	s_waitcnt vmcnt(0)
	ds_write2_b64 v241, v[1:2], v[3:4] offset0:78 offset1:79
	;; [unrolled: 8-line block ×23, first 2 shown]
	ds_read2_b64 v[149:152], v255 offset1:1
	s_waitcnt lgkmcnt(0)
	v_cmp_neq_f64_e32 vcc_lo, 0, v[149:150]
	v_cmp_neq_f64_e64 s5, 0, v[151:152]
	s_or_b32 s5, vcc_lo, s5
	s_and_b32 exec_lo, exec_lo, s5
	s_cbranch_execz .LBB121_454
; %bb.449:
	v_cmp_ngt_f64_e64 s5, |v[149:150]|, |v[151:152]|
                                        ; implicit-def: $vgpr1_vgpr2
	s_and_saveexec_b32 s7, s5
	s_xor_b32 s5, exec_lo, s7
                                        ; implicit-def: $vgpr3_vgpr4
	s_cbranch_execz .LBB121_451
; %bb.450:
	v_div_scale_f64 v[1:2], null, v[151:152], v[151:152], v[149:150]
	v_div_scale_f64 v[155:156], vcc_lo, v[149:150], v[151:152], v[149:150]
	v_rcp_f64_e32 v[3:4], v[1:2]
	v_fma_f64 v[153:154], -v[1:2], v[3:4], 1.0
	v_fma_f64 v[3:4], v[3:4], v[153:154], v[3:4]
	v_fma_f64 v[153:154], -v[1:2], v[3:4], 1.0
	v_fma_f64 v[3:4], v[3:4], v[153:154], v[3:4]
	v_mul_f64 v[153:154], v[155:156], v[3:4]
	v_fma_f64 v[1:2], -v[1:2], v[153:154], v[155:156]
	v_div_fmas_f64 v[1:2], v[1:2], v[3:4], v[153:154]
	v_div_fixup_f64 v[1:2], v[1:2], v[151:152], v[149:150]
	v_fma_f64 v[3:4], v[149:150], v[1:2], v[151:152]
	v_div_scale_f64 v[149:150], null, v[3:4], v[3:4], 1.0
	v_rcp_f64_e32 v[151:152], v[149:150]
	v_fma_f64 v[153:154], -v[149:150], v[151:152], 1.0
	v_fma_f64 v[151:152], v[151:152], v[153:154], v[151:152]
	v_fma_f64 v[153:154], -v[149:150], v[151:152], 1.0
	v_fma_f64 v[151:152], v[151:152], v[153:154], v[151:152]
	v_div_scale_f64 v[153:154], vcc_lo, 1.0, v[3:4], 1.0
	v_mul_f64 v[155:156], v[153:154], v[151:152]
	v_fma_f64 v[149:150], -v[149:150], v[155:156], v[153:154]
	v_div_fmas_f64 v[149:150], v[149:150], v[151:152], v[155:156]
	v_div_fixup_f64 v[3:4], v[149:150], v[3:4], 1.0
                                        ; implicit-def: $vgpr149_vgpr150
	v_mul_f64 v[1:2], v[1:2], v[3:4]
	v_xor_b32_e32 v4, 0x80000000, v4
.LBB121_451:
	s_andn2_saveexec_b32 s5, s5
	s_cbranch_execz .LBB121_453
; %bb.452:
	v_div_scale_f64 v[1:2], null, v[149:150], v[149:150], v[151:152]
	v_div_scale_f64 v[155:156], vcc_lo, v[151:152], v[149:150], v[151:152]
	v_rcp_f64_e32 v[3:4], v[1:2]
	v_fma_f64 v[153:154], -v[1:2], v[3:4], 1.0
	v_fma_f64 v[3:4], v[3:4], v[153:154], v[3:4]
	v_fma_f64 v[153:154], -v[1:2], v[3:4], 1.0
	v_fma_f64 v[3:4], v[3:4], v[153:154], v[3:4]
	v_mul_f64 v[153:154], v[155:156], v[3:4]
	v_fma_f64 v[1:2], -v[1:2], v[153:154], v[155:156]
	v_div_fmas_f64 v[1:2], v[1:2], v[3:4], v[153:154]
	v_div_fixup_f64 v[3:4], v[1:2], v[149:150], v[151:152]
	v_fma_f64 v[1:2], v[151:152], v[3:4], v[149:150]
	v_div_scale_f64 v[149:150], null, v[1:2], v[1:2], 1.0
	v_rcp_f64_e32 v[151:152], v[149:150]
	v_fma_f64 v[153:154], -v[149:150], v[151:152], 1.0
	v_fma_f64 v[151:152], v[151:152], v[153:154], v[151:152]
	v_fma_f64 v[153:154], -v[149:150], v[151:152], 1.0
	v_fma_f64 v[151:152], v[151:152], v[153:154], v[151:152]
	v_div_scale_f64 v[153:154], vcc_lo, 1.0, v[1:2], 1.0
	v_mul_f64 v[155:156], v[153:154], v[151:152]
	v_fma_f64 v[149:150], -v[149:150], v[155:156], v[153:154]
	v_div_fmas_f64 v[149:150], v[149:150], v[151:152], v[155:156]
	v_div_fixup_f64 v[1:2], v[149:150], v[1:2], 1.0
	v_mul_f64 v[3:4], v[3:4], -v[1:2]
.LBB121_453:
	s_or_b32 exec_lo, exec_lo, s5
	ds_write2_b64 v255, v[1:2], v[3:4] offset1:1
.LBB121_454:
	s_or_b32 exec_lo, exec_lo, s6
	s_waitcnt lgkmcnt(0)
	s_barrier
	buffer_gl0_inv
	ds_read2_b64 v[149:152], v255 offset1:1
	s_mov_b32 s5, exec_lo
	v_cmpx_lt_u32_e32 37, v0
	s_cbranch_execz .LBB121_459
; %bb.455:
	s_clause 0x3
	buffer_load_dword v1, off, s[0:3], 0 offset:600
	buffer_load_dword v2, off, s[0:3], 0 offset:604
	;; [unrolled: 1-line block ×4, first 2 shown]
	s_mov_b32 s6, 0
	s_waitcnt vmcnt(2) lgkmcnt(0)
	v_mul_f64 v[153:154], v[151:152], v[1:2]
	v_mul_f64 v[1:2], v[149:150], v[1:2]
	s_waitcnt vmcnt(0)
	v_fma_f64 v[153:154], v[149:150], v[3:4], -v[153:154]
	v_fma_f64 v[155:156], v[151:152], v[3:4], v[1:2]
	buffer_store_dword v153, off, s[0:3], 0 offset:592
	buffer_store_dword v154, off, s[0:3], 0 offset:596
	;; [unrolled: 1-line block ×4, first 2 shown]
	s_branch .LBB121_457
.LBB121_456:                            ;   in Loop: Header=BB121_457 Depth=1
	s_andn2_b32 vcc_lo, exec_lo, s8
	s_cbranch_vccz .LBB121_459
.LBB121_457:                            ; =>This Inner Loop Header: Depth=1
	v_add3_u32 v1, v177, 0, 0x260
	v_mov_b32_e32 v4, s6
	s_mov_b32 s7, s6
	s_mov_b32 s8, -1
	s_cmpk_eq_i32 s6, 0x140
	v_add_nc_u32_e32 v1, s6, v1
	ds_read2_b64 v[157:160], v1 offset1:1
	s_waitcnt lgkmcnt(0)
	v_mul_f64 v[2:3], v[159:160], v[155:156]
	v_fma_f64 v[2:3], v[157:158], v[153:154], -v[2:3]
	v_mul_f64 v[157:158], v[157:158], v[155:156]
	v_fma_f64 v[157:158], v[159:160], v[153:154], v[157:158]
	s_clause 0xb
	buffer_load_dword v159, v4, s[0:3], 0 offen offset:608
	buffer_load_dword v160, v4, s[0:3], 0 offen offset:612
	buffer_load_dword v161, v4, s[0:3], 0 offen offset:616
	buffer_load_dword v162, v4, s[0:3], 0 offen offset:620
	buffer_load_dword v163, v4, s[0:3], 0 offen offset:624
	buffer_load_dword v164, v4, s[0:3], 0 offen offset:628
	buffer_load_dword v165, v4, s[0:3], 0 offen offset:632
	buffer_load_dword v166, v4, s[0:3], 0 offen offset:636
	buffer_load_dword v167, v4, s[0:3], 0 offen offset:640
	buffer_load_dword v168, v4, s[0:3], 0 offen offset:644
	buffer_load_dword v169, v4, s[0:3], 0 offen offset:648
	buffer_load_dword v170, v4, s[0:3], 0 offen offset:652
	s_waitcnt vmcnt(10)
	v_add_f64 v[2:3], v[159:160], -v[2:3]
	s_waitcnt vmcnt(8)
	v_add_f64 v[157:158], v[161:162], -v[157:158]
	buffer_store_dword v2, v4, s[0:3], 0 offen offset:608
	buffer_store_dword v3, v4, s[0:3], 0 offen offset:612
	;; [unrolled: 1-line block ×4, first 2 shown]
	ds_read2_b64 v[157:160], v1 offset0:2 offset1:3
	s_waitcnt lgkmcnt(0)
	v_mul_f64 v[2:3], v[159:160], v[155:156]
	v_fma_f64 v[2:3], v[157:158], v[153:154], -v[2:3]
	v_mul_f64 v[157:158], v[157:158], v[155:156]
	s_waitcnt vmcnt(6)
	v_add_f64 v[2:3], v[163:164], -v[2:3]
	v_fma_f64 v[157:158], v[159:160], v[153:154], v[157:158]
	s_waitcnt vmcnt(4)
	v_add_f64 v[157:158], v[165:166], -v[157:158]
	buffer_store_dword v2, v4, s[0:3], 0 offen offset:624
	buffer_store_dword v3, v4, s[0:3], 0 offen offset:628
	;; [unrolled: 1-line block ×4, first 2 shown]
	ds_read2_b64 v[157:160], v1 offset0:4 offset1:5
	s_waitcnt lgkmcnt(0)
	v_mul_f64 v[2:3], v[159:160], v[155:156]
	v_fma_f64 v[2:3], v[157:158], v[153:154], -v[2:3]
	v_mul_f64 v[157:158], v[157:158], v[155:156]
	s_waitcnt vmcnt(2)
	v_add_f64 v[2:3], v[167:168], -v[2:3]
	v_fma_f64 v[157:158], v[159:160], v[153:154], v[157:158]
	s_waitcnt vmcnt(0)
	v_add_f64 v[157:158], v[169:170], -v[157:158]
	buffer_store_dword v2, v4, s[0:3], 0 offen offset:640
	buffer_store_dword v3, v4, s[0:3], 0 offen offset:644
	;; [unrolled: 1-line block ×4, first 2 shown]
	s_cbranch_scc1 .LBB121_456
; %bb.458:                              ;   in Loop: Header=BB121_457 Depth=1
	ds_read2_b64 v[1:4], v1 offset0:6 offset1:7
	v_mov_b32_e32 v5, s7
	s_add_i32 s6, s6, 64
	s_mov_b32 s8, 0
	s_waitcnt lgkmcnt(0)
	v_mul_f64 v[157:158], v[3:4], v[155:156]
	v_fma_f64 v[157:158], v[1:2], v[153:154], -v[157:158]
	v_mul_f64 v[1:2], v[1:2], v[155:156]
	v_fma_f64 v[1:2], v[3:4], v[153:154], v[1:2]
	s_clause 0x3
	buffer_load_dword v3, v5, s[0:3], 0 offen offset:656
	buffer_load_dword v4, v5, s[0:3], 0 offen offset:660
	;; [unrolled: 1-line block ×4, first 2 shown]
	s_waitcnt vmcnt(2)
	v_add_f64 v[3:4], v[3:4], -v[157:158]
	s_waitcnt vmcnt(0)
	v_add_f64 v[1:2], v[159:160], -v[1:2]
	buffer_store_dword v3, v5, s[0:3], 0 offen offset:656
	buffer_store_dword v4, v5, s[0:3], 0 offen offset:660
	;; [unrolled: 1-line block ×4, first 2 shown]
	s_branch .LBB121_456
.LBB121_459:
	s_or_b32 exec_lo, exec_lo, s5
	s_mov_b32 s6, exec_lo
	s_waitcnt lgkmcnt(0)
	s_waitcnt_vscnt null, 0x0
	s_barrier
	buffer_gl0_inv
	v_cmpx_eq_u32_e32 38, v0
	s_cbranch_execz .LBB121_466
; %bb.460:
	v_mov_b32_e32 v4, s38
	s_clause 0x3
	buffer_load_dword v1, v4, s[0:3], 0 offen
	buffer_load_dword v2, v4, s[0:3], 0 offen offset:4
	buffer_load_dword v3, v4, s[0:3], 0 offen offset:8
	;; [unrolled: 1-line block ×3, first 2 shown]
	s_waitcnt vmcnt(0)
	ds_write2_b64 v255, v[1:2], v[3:4] offset1:1
	v_mov_b32_e32 v4, s37
	s_clause 0x3
	buffer_load_dword v1, v4, s[0:3], 0 offen
	buffer_load_dword v2, v4, s[0:3], 0 offen offset:4
	buffer_load_dword v3, v4, s[0:3], 0 offen offset:8
	buffer_load_dword v4, v4, s[0:3], 0 offen offset:12
	s_waitcnt vmcnt(0)
	ds_write2_b64 v241, v[1:2], v[3:4] offset0:78 offset1:79
	v_mov_b32_e32 v4, s36
	s_clause 0x3
	buffer_load_dword v1, v4, s[0:3], 0 offen
	buffer_load_dword v2, v4, s[0:3], 0 offen offset:4
	buffer_load_dword v3, v4, s[0:3], 0 offen offset:8
	buffer_load_dword v4, v4, s[0:3], 0 offen offset:12
	s_waitcnt vmcnt(0)
	ds_write2_b64 v241, v[1:2], v[3:4] offset0:80 offset1:81
	;; [unrolled: 8-line block ×22, first 2 shown]
	ds_read2_b64 v[153:156], v255 offset1:1
	s_waitcnt lgkmcnt(0)
	v_cmp_neq_f64_e32 vcc_lo, 0, v[153:154]
	v_cmp_neq_f64_e64 s5, 0, v[155:156]
	s_or_b32 s5, vcc_lo, s5
	s_and_b32 exec_lo, exec_lo, s5
	s_cbranch_execz .LBB121_466
; %bb.461:
	v_cmp_ngt_f64_e64 s5, |v[153:154]|, |v[155:156]|
                                        ; implicit-def: $vgpr1_vgpr2
	s_and_saveexec_b32 s7, s5
	s_xor_b32 s5, exec_lo, s7
                                        ; implicit-def: $vgpr3_vgpr4
	s_cbranch_execz .LBB121_463
; %bb.462:
	v_div_scale_f64 v[1:2], null, v[155:156], v[155:156], v[153:154]
	v_div_scale_f64 v[159:160], vcc_lo, v[153:154], v[155:156], v[153:154]
	v_rcp_f64_e32 v[3:4], v[1:2]
	v_fma_f64 v[157:158], -v[1:2], v[3:4], 1.0
	v_fma_f64 v[3:4], v[3:4], v[157:158], v[3:4]
	v_fma_f64 v[157:158], -v[1:2], v[3:4], 1.0
	v_fma_f64 v[3:4], v[3:4], v[157:158], v[3:4]
	v_mul_f64 v[157:158], v[159:160], v[3:4]
	v_fma_f64 v[1:2], -v[1:2], v[157:158], v[159:160]
	v_div_fmas_f64 v[1:2], v[1:2], v[3:4], v[157:158]
	v_div_fixup_f64 v[1:2], v[1:2], v[155:156], v[153:154]
	v_fma_f64 v[3:4], v[153:154], v[1:2], v[155:156]
	v_div_scale_f64 v[153:154], null, v[3:4], v[3:4], 1.0
	v_rcp_f64_e32 v[155:156], v[153:154]
	v_fma_f64 v[157:158], -v[153:154], v[155:156], 1.0
	v_fma_f64 v[155:156], v[155:156], v[157:158], v[155:156]
	v_fma_f64 v[157:158], -v[153:154], v[155:156], 1.0
	v_fma_f64 v[155:156], v[155:156], v[157:158], v[155:156]
	v_div_scale_f64 v[157:158], vcc_lo, 1.0, v[3:4], 1.0
	v_mul_f64 v[159:160], v[157:158], v[155:156]
	v_fma_f64 v[153:154], -v[153:154], v[159:160], v[157:158]
	v_div_fmas_f64 v[153:154], v[153:154], v[155:156], v[159:160]
	v_div_fixup_f64 v[3:4], v[153:154], v[3:4], 1.0
                                        ; implicit-def: $vgpr153_vgpr154
	v_mul_f64 v[1:2], v[1:2], v[3:4]
	v_xor_b32_e32 v4, 0x80000000, v4
.LBB121_463:
	s_andn2_saveexec_b32 s5, s5
	s_cbranch_execz .LBB121_465
; %bb.464:
	v_div_scale_f64 v[1:2], null, v[153:154], v[153:154], v[155:156]
	v_div_scale_f64 v[159:160], vcc_lo, v[155:156], v[153:154], v[155:156]
	v_rcp_f64_e32 v[3:4], v[1:2]
	v_fma_f64 v[157:158], -v[1:2], v[3:4], 1.0
	v_fma_f64 v[3:4], v[3:4], v[157:158], v[3:4]
	v_fma_f64 v[157:158], -v[1:2], v[3:4], 1.0
	v_fma_f64 v[3:4], v[3:4], v[157:158], v[3:4]
	v_mul_f64 v[157:158], v[159:160], v[3:4]
	v_fma_f64 v[1:2], -v[1:2], v[157:158], v[159:160]
	v_div_fmas_f64 v[1:2], v[1:2], v[3:4], v[157:158]
	v_div_fixup_f64 v[3:4], v[1:2], v[153:154], v[155:156]
	v_fma_f64 v[1:2], v[155:156], v[3:4], v[153:154]
	v_div_scale_f64 v[153:154], null, v[1:2], v[1:2], 1.0
	v_rcp_f64_e32 v[155:156], v[153:154]
	v_fma_f64 v[157:158], -v[153:154], v[155:156], 1.0
	v_fma_f64 v[155:156], v[155:156], v[157:158], v[155:156]
	v_fma_f64 v[157:158], -v[153:154], v[155:156], 1.0
	v_fma_f64 v[155:156], v[155:156], v[157:158], v[155:156]
	v_div_scale_f64 v[157:158], vcc_lo, 1.0, v[1:2], 1.0
	v_mul_f64 v[159:160], v[157:158], v[155:156]
	v_fma_f64 v[153:154], -v[153:154], v[159:160], v[157:158]
	v_div_fmas_f64 v[153:154], v[153:154], v[155:156], v[159:160]
	v_div_fixup_f64 v[1:2], v[153:154], v[1:2], 1.0
	v_mul_f64 v[3:4], v[3:4], -v[1:2]
.LBB121_465:
	s_or_b32 exec_lo, exec_lo, s5
	ds_write2_b64 v255, v[1:2], v[3:4] offset1:1
.LBB121_466:
	s_or_b32 exec_lo, exec_lo, s6
	s_waitcnt lgkmcnt(0)
	s_barrier
	buffer_gl0_inv
	ds_read2_b64 v[153:156], v255 offset1:1
	s_mov_b32 s5, exec_lo
	v_cmpx_lt_u32_e32 38, v0
	s_cbranch_execz .LBB121_469
; %bb.467:
	s_clause 0x3
	buffer_load_dword v1, off, s[0:3], 0 offset:616
	buffer_load_dword v2, off, s[0:3], 0 offset:620
	;; [unrolled: 1-line block ×4, first 2 shown]
	s_mov_b32 s6, 0
	s_waitcnt vmcnt(2) lgkmcnt(0)
	v_mul_f64 v[157:158], v[155:156], v[1:2]
	v_mul_f64 v[1:2], v[153:154], v[1:2]
	s_waitcnt vmcnt(0)
	v_fma_f64 v[157:158], v[153:154], v[3:4], -v[157:158]
	v_fma_f64 v[159:160], v[155:156], v[3:4], v[1:2]
	buffer_store_dword v157, off, s[0:3], 0 offset:608
	buffer_store_dword v158, off, s[0:3], 0 offset:612
	;; [unrolled: 1-line block ×4, first 2 shown]
.LBB121_468:                            ; =>This Inner Loop Header: Depth=1
	v_add3_u32 v1, v177, 0, 0x270
	v_mov_b32_e32 v6, s6
	v_add_nc_u32_e32 v5, s6, v1
	s_add_i32 s6, s6, 32
	s_cmpk_lg_i32 s6, 0x160
	ds_read2_b64 v[1:4], v5 offset1:1
	s_waitcnt lgkmcnt(0)
	v_mul_f64 v[161:162], v[3:4], v[159:160]
	v_fma_f64 v[161:162], v[1:2], v[157:158], -v[161:162]
	v_mul_f64 v[1:2], v[1:2], v[159:160]
	v_fma_f64 v[1:2], v[3:4], v[157:158], v[1:2]
	s_clause 0x7
	buffer_load_dword v3, v6, s[0:3], 0 offen offset:624
	buffer_load_dword v4, v6, s[0:3], 0 offen offset:628
	;; [unrolled: 1-line block ×8, first 2 shown]
	s_waitcnt vmcnt(6)
	v_add_f64 v[3:4], v[3:4], -v[161:162]
	s_waitcnt vmcnt(4)
	v_add_f64 v[1:2], v[163:164], -v[1:2]
	buffer_store_dword v3, v6, s[0:3], 0 offen offset:624
	buffer_store_dword v4, v6, s[0:3], 0 offen offset:628
	;; [unrolled: 1-line block ×4, first 2 shown]
	ds_read2_b64 v[1:4], v5 offset0:2 offset1:3
	s_waitcnt lgkmcnt(0)
	v_mul_f64 v[161:162], v[3:4], v[159:160]
	v_fma_f64 v[161:162], v[1:2], v[157:158], -v[161:162]
	v_mul_f64 v[1:2], v[1:2], v[159:160]
	v_fma_f64 v[1:2], v[3:4], v[157:158], v[1:2]
	s_waitcnt vmcnt(2)
	v_add_f64 v[3:4], v[165:166], -v[161:162]
	s_waitcnt vmcnt(0)
	v_add_f64 v[1:2], v[167:168], -v[1:2]
	buffer_store_dword v3, v6, s[0:3], 0 offen offset:640
	buffer_store_dword v4, v6, s[0:3], 0 offen offset:644
	;; [unrolled: 1-line block ×4, first 2 shown]
	s_cbranch_scc1 .LBB121_468
.LBB121_469:
	s_or_b32 exec_lo, exec_lo, s5
	s_mov_b32 s6, exec_lo
	s_waitcnt lgkmcnt(0)
	s_waitcnt_vscnt null, 0x0
	s_barrier
	buffer_gl0_inv
	v_cmpx_eq_u32_e32 39, v0
	s_cbranch_execz .LBB121_476
; %bb.470:
	v_mov_b32_e32 v4, s37
	s_clause 0x3
	buffer_load_dword v1, v4, s[0:3], 0 offen
	buffer_load_dword v2, v4, s[0:3], 0 offen offset:4
	buffer_load_dword v3, v4, s[0:3], 0 offen offset:8
	;; [unrolled: 1-line block ×3, first 2 shown]
	s_waitcnt vmcnt(0)
	ds_write2_b64 v255, v[1:2], v[3:4] offset1:1
	v_mov_b32_e32 v4, s36
	s_clause 0x3
	buffer_load_dword v1, v4, s[0:3], 0 offen
	buffer_load_dword v2, v4, s[0:3], 0 offen offset:4
	buffer_load_dword v3, v4, s[0:3], 0 offen offset:8
	buffer_load_dword v4, v4, s[0:3], 0 offen offset:12
	s_waitcnt vmcnt(0)
	ds_write2_b64 v241, v[1:2], v[3:4] offset0:80 offset1:81
	v_mov_b32_e32 v4, s35
	s_clause 0x3
	buffer_load_dword v1, v4, s[0:3], 0 offen
	buffer_load_dword v2, v4, s[0:3], 0 offen offset:4
	buffer_load_dword v3, v4, s[0:3], 0 offen offset:8
	buffer_load_dword v4, v4, s[0:3], 0 offen offset:12
	s_waitcnt vmcnt(0)
	ds_write2_b64 v241, v[1:2], v[3:4] offset0:82 offset1:83
	;; [unrolled: 8-line block ×21, first 2 shown]
	ds_read2_b64 v[157:160], v255 offset1:1
	s_waitcnt lgkmcnt(0)
	v_cmp_neq_f64_e32 vcc_lo, 0, v[157:158]
	v_cmp_neq_f64_e64 s5, 0, v[159:160]
	s_or_b32 s5, vcc_lo, s5
	s_and_b32 exec_lo, exec_lo, s5
	s_cbranch_execz .LBB121_476
; %bb.471:
	v_cmp_ngt_f64_e64 s5, |v[157:158]|, |v[159:160]|
                                        ; implicit-def: $vgpr1_vgpr2
	s_and_saveexec_b32 s7, s5
	s_xor_b32 s5, exec_lo, s7
                                        ; implicit-def: $vgpr3_vgpr4
	s_cbranch_execz .LBB121_473
; %bb.472:
	v_div_scale_f64 v[1:2], null, v[159:160], v[159:160], v[157:158]
	v_div_scale_f64 v[163:164], vcc_lo, v[157:158], v[159:160], v[157:158]
	v_rcp_f64_e32 v[3:4], v[1:2]
	v_fma_f64 v[161:162], -v[1:2], v[3:4], 1.0
	v_fma_f64 v[3:4], v[3:4], v[161:162], v[3:4]
	v_fma_f64 v[161:162], -v[1:2], v[3:4], 1.0
	v_fma_f64 v[3:4], v[3:4], v[161:162], v[3:4]
	v_mul_f64 v[161:162], v[163:164], v[3:4]
	v_fma_f64 v[1:2], -v[1:2], v[161:162], v[163:164]
	v_div_fmas_f64 v[1:2], v[1:2], v[3:4], v[161:162]
	v_div_fixup_f64 v[1:2], v[1:2], v[159:160], v[157:158]
	v_fma_f64 v[3:4], v[157:158], v[1:2], v[159:160]
	v_div_scale_f64 v[157:158], null, v[3:4], v[3:4], 1.0
	v_rcp_f64_e32 v[159:160], v[157:158]
	v_fma_f64 v[161:162], -v[157:158], v[159:160], 1.0
	v_fma_f64 v[159:160], v[159:160], v[161:162], v[159:160]
	v_fma_f64 v[161:162], -v[157:158], v[159:160], 1.0
	v_fma_f64 v[159:160], v[159:160], v[161:162], v[159:160]
	v_div_scale_f64 v[161:162], vcc_lo, 1.0, v[3:4], 1.0
	v_mul_f64 v[163:164], v[161:162], v[159:160]
	v_fma_f64 v[157:158], -v[157:158], v[163:164], v[161:162]
	v_div_fmas_f64 v[157:158], v[157:158], v[159:160], v[163:164]
	v_div_fixup_f64 v[3:4], v[157:158], v[3:4], 1.0
                                        ; implicit-def: $vgpr157_vgpr158
	v_mul_f64 v[1:2], v[1:2], v[3:4]
	v_xor_b32_e32 v4, 0x80000000, v4
.LBB121_473:
	s_andn2_saveexec_b32 s5, s5
	s_cbranch_execz .LBB121_475
; %bb.474:
	v_div_scale_f64 v[1:2], null, v[157:158], v[157:158], v[159:160]
	v_div_scale_f64 v[163:164], vcc_lo, v[159:160], v[157:158], v[159:160]
	v_rcp_f64_e32 v[3:4], v[1:2]
	v_fma_f64 v[161:162], -v[1:2], v[3:4], 1.0
	v_fma_f64 v[3:4], v[3:4], v[161:162], v[3:4]
	v_fma_f64 v[161:162], -v[1:2], v[3:4], 1.0
	v_fma_f64 v[3:4], v[3:4], v[161:162], v[3:4]
	v_mul_f64 v[161:162], v[163:164], v[3:4]
	v_fma_f64 v[1:2], -v[1:2], v[161:162], v[163:164]
	v_div_fmas_f64 v[1:2], v[1:2], v[3:4], v[161:162]
	v_div_fixup_f64 v[3:4], v[1:2], v[157:158], v[159:160]
	v_fma_f64 v[1:2], v[159:160], v[3:4], v[157:158]
	v_div_scale_f64 v[157:158], null, v[1:2], v[1:2], 1.0
	v_rcp_f64_e32 v[159:160], v[157:158]
	v_fma_f64 v[161:162], -v[157:158], v[159:160], 1.0
	v_fma_f64 v[159:160], v[159:160], v[161:162], v[159:160]
	v_fma_f64 v[161:162], -v[157:158], v[159:160], 1.0
	v_fma_f64 v[159:160], v[159:160], v[161:162], v[159:160]
	v_div_scale_f64 v[161:162], vcc_lo, 1.0, v[1:2], 1.0
	v_mul_f64 v[163:164], v[161:162], v[159:160]
	v_fma_f64 v[157:158], -v[157:158], v[163:164], v[161:162]
	v_div_fmas_f64 v[157:158], v[157:158], v[159:160], v[163:164]
	v_div_fixup_f64 v[1:2], v[157:158], v[1:2], 1.0
	v_mul_f64 v[3:4], v[3:4], -v[1:2]
.LBB121_475:
	s_or_b32 exec_lo, exec_lo, s5
	ds_write2_b64 v255, v[1:2], v[3:4] offset1:1
.LBB121_476:
	s_or_b32 exec_lo, exec_lo, s6
	s_waitcnt lgkmcnt(0)
	s_barrier
	buffer_gl0_inv
	ds_read2_b64 v[157:160], v255 offset1:1
	s_mov_b32 s5, exec_lo
	v_cmpx_lt_u32_e32 39, v0
	s_cbranch_execz .LBB121_479
; %bb.477:
	s_clause 0x3
	buffer_load_dword v1, off, s[0:3], 0 offset:632
	buffer_load_dword v2, off, s[0:3], 0 offset:636
	;; [unrolled: 1-line block ×4, first 2 shown]
	s_mov_b32 s6, 0
	s_waitcnt vmcnt(2) lgkmcnt(0)
	v_mul_f64 v[161:162], v[159:160], v[1:2]
	v_mul_f64 v[1:2], v[157:158], v[1:2]
	s_waitcnt vmcnt(0)
	v_fma_f64 v[161:162], v[157:158], v[3:4], -v[161:162]
	v_fma_f64 v[163:164], v[159:160], v[3:4], v[1:2]
	buffer_store_dword v161, off, s[0:3], 0 offset:624
	buffer_store_dword v162, off, s[0:3], 0 offset:628
	;; [unrolled: 1-line block ×4, first 2 shown]
.LBB121_478:                            ; =>This Inner Loop Header: Depth=1
	v_add3_u32 v1, v177, 0, 0x280
	v_add_nc_u32_e32 v5, s6, v1
	ds_read2_b64 v[1:4], v5 offset1:1
	s_waitcnt lgkmcnt(0)
	v_mul_f64 v[165:166], v[3:4], v[163:164]
	v_fma_f64 v[165:166], v[1:2], v[161:162], -v[165:166]
	v_mul_f64 v[1:2], v[1:2], v[163:164]
	v_fma_f64 v[2:3], v[3:4], v[161:162], v[1:2]
	v_mov_b32_e32 v1, s6
	s_addk_i32 s6, 0x70
	s_clause 0xf
	buffer_load_dword v167, v1, s[0:3], 0 offen offset:640
	buffer_load_dword v168, v1, s[0:3], 0 offen offset:644
	;; [unrolled: 1-line block ×16, first 2 shown]
	s_cmpk_lg_i32 s6, 0x150
	s_waitcnt vmcnt(14)
	v_add_f64 v[165:166], v[167:168], -v[165:166]
	s_waitcnt vmcnt(12)
	v_add_f64 v[2:3], v[169:170], -v[2:3]
	buffer_store_dword v165, v1, s[0:3], 0 offen offset:640
	buffer_store_dword v166, v1, s[0:3], 0 offen offset:644
	buffer_store_dword v2, v1, s[0:3], 0 offen offset:648
	buffer_store_dword v3, v1, s[0:3], 0 offen offset:652
	ds_read2_b64 v[165:168], v5 offset0:2 offset1:3
	s_waitcnt lgkmcnt(0)
	v_mul_f64 v[2:3], v[167:168], v[163:164]
	v_fma_f64 v[2:3], v[165:166], v[161:162], -v[2:3]
	v_mul_f64 v[165:166], v[165:166], v[163:164]
	s_waitcnt vmcnt(10)
	v_add_f64 v[2:3], v[171:172], -v[2:3]
	v_fma_f64 v[165:166], v[167:168], v[161:162], v[165:166]
	s_waitcnt vmcnt(8)
	v_add_f64 v[165:166], v[173:174], -v[165:166]
	buffer_store_dword v2, v1, s[0:3], 0 offen offset:656
	buffer_store_dword v3, v1, s[0:3], 0 offen offset:660
	buffer_store_dword v165, v1, s[0:3], 0 offen offset:664
	buffer_store_dword v166, v1, s[0:3], 0 offen offset:668
	ds_read2_b64 v[165:168], v5 offset0:4 offset1:5
	s_waitcnt lgkmcnt(0)
	v_mul_f64 v[2:3], v[167:168], v[163:164]
	v_fma_f64 v[2:3], v[165:166], v[161:162], -v[2:3]
	v_mul_f64 v[165:166], v[165:166], v[163:164]
	s_waitcnt vmcnt(6)
	v_add_f64 v[2:3], v[175:176], -v[2:3]
	v_fma_f64 v[165:166], v[167:168], v[161:162], v[165:166]
	;; [unrolled: 14-line block ×3, first 2 shown]
	s_waitcnt vmcnt(0)
	v_add_f64 v[165:166], v[182:183], -v[165:166]
	buffer_store_dword v3, v1, s[0:3], 0 offen offset:692
	buffer_store_dword v2, v1, s[0:3], 0 offen offset:688
	;; [unrolled: 1-line block ×4, first 2 shown]
	ds_read2_b64 v[165:168], v5 offset0:8 offset1:9
	s_waitcnt lgkmcnt(0)
	v_mul_f64 v[2:3], v[167:168], v[163:164]
	v_fma_f64 v[2:3], v[165:166], v[161:162], -v[2:3]
	v_mul_f64 v[165:166], v[165:166], v[163:164]
	v_fma_f64 v[165:166], v[167:168], v[161:162], v[165:166]
	s_clause 0x3
	buffer_load_dword v167, v1, s[0:3], 0 offen offset:704
	buffer_load_dword v168, v1, s[0:3], 0 offen offset:708
	buffer_load_dword v169, v1, s[0:3], 0 offen offset:712
	buffer_load_dword v170, v1, s[0:3], 0 offen offset:716
	s_waitcnt vmcnt(2)
	v_add_f64 v[2:3], v[167:168], -v[2:3]
	s_waitcnt vmcnt(0)
	v_add_f64 v[165:166], v[169:170], -v[165:166]
	buffer_store_dword v3, v1, s[0:3], 0 offen offset:708
	buffer_store_dword v2, v1, s[0:3], 0 offen offset:704
	;; [unrolled: 1-line block ×4, first 2 shown]
	ds_read2_b64 v[165:168], v5 offset0:10 offset1:11
	s_waitcnt lgkmcnt(0)
	v_mul_f64 v[2:3], v[167:168], v[163:164]
	v_mul_f64 v[163:164], v[165:166], v[163:164]
	v_fma_f64 v[2:3], v[165:166], v[161:162], -v[2:3]
	v_fma_f64 v[161:162], v[167:168], v[161:162], v[163:164]
	s_clause 0x3
	buffer_load_dword v163, v1, s[0:3], 0 offen offset:720
	buffer_load_dword v164, v1, s[0:3], 0 offen offset:724
	;; [unrolled: 1-line block ×4, first 2 shown]
	s_waitcnt vmcnt(2)
	v_add_f64 v[2:3], v[163:164], -v[2:3]
	s_waitcnt vmcnt(0)
	v_add_f64 v[161:162], v[165:166], -v[161:162]
	buffer_store_dword v3, v1, s[0:3], 0 offen offset:724
	buffer_store_dword v2, v1, s[0:3], 0 offen offset:720
	;; [unrolled: 1-line block ×4, first 2 shown]
	ds_read2_b64 v[165:168], v5 offset0:12 offset1:13
	s_clause 0x3
	buffer_load_dword v161, off, s[0:3], 0 offset:624
	buffer_load_dword v162, off, s[0:3], 0 offset:628
	;; [unrolled: 1-line block ×4, first 2 shown]
	s_waitcnt vmcnt(0) lgkmcnt(0)
	v_mul_f64 v[2:3], v[167:168], v[163:164]
	v_fma_f64 v[2:3], v[165:166], v[161:162], -v[2:3]
	v_mul_f64 v[165:166], v[165:166], v[163:164]
	v_fma_f64 v[165:166], v[167:168], v[161:162], v[165:166]
	s_clause 0x3
	buffer_load_dword v167, v1, s[0:3], 0 offen offset:736
	buffer_load_dword v168, v1, s[0:3], 0 offen offset:740
	;; [unrolled: 1-line block ×4, first 2 shown]
	s_waitcnt vmcnt(2)
	v_add_f64 v[2:3], v[167:168], -v[2:3]
	s_waitcnt vmcnt(0)
	v_add_f64 v[165:166], v[169:170], -v[165:166]
	buffer_store_dword v3, v1, s[0:3], 0 offen offset:740
	buffer_store_dword v2, v1, s[0:3], 0 offen offset:736
	;; [unrolled: 1-line block ×4, first 2 shown]
	s_cbranch_scc1 .LBB121_478
.LBB121_479:
	s_or_b32 exec_lo, exec_lo, s5
	s_mov_b32 s6, exec_lo
	s_waitcnt lgkmcnt(0)
	s_waitcnt_vscnt null, 0x0
	s_barrier
	buffer_gl0_inv
	v_cmpx_eq_u32_e32 40, v0
	s_cbranch_execz .LBB121_486
; %bb.480:
	v_mov_b32_e32 v4, s36
	s_clause 0x3
	buffer_load_dword v1, v4, s[0:3], 0 offen
	buffer_load_dword v2, v4, s[0:3], 0 offen offset:4
	buffer_load_dword v3, v4, s[0:3], 0 offen offset:8
	;; [unrolled: 1-line block ×3, first 2 shown]
	s_waitcnt vmcnt(0)
	ds_write2_b64 v255, v[1:2], v[3:4] offset1:1
	v_mov_b32_e32 v4, s35
	s_clause 0x3
	buffer_load_dword v1, v4, s[0:3], 0 offen
	buffer_load_dword v2, v4, s[0:3], 0 offen offset:4
	buffer_load_dword v3, v4, s[0:3], 0 offen offset:8
	buffer_load_dword v4, v4, s[0:3], 0 offen offset:12
	s_waitcnt vmcnt(0)
	ds_write2_b64 v241, v[1:2], v[3:4] offset0:82 offset1:83
	v_mov_b32_e32 v4, s34
	s_clause 0x3
	buffer_load_dword v1, v4, s[0:3], 0 offen
	buffer_load_dword v2, v4, s[0:3], 0 offen offset:4
	buffer_load_dword v3, v4, s[0:3], 0 offen offset:8
	buffer_load_dword v4, v4, s[0:3], 0 offen offset:12
	s_waitcnt vmcnt(0)
	ds_write2_b64 v241, v[1:2], v[3:4] offset0:84 offset1:85
	;; [unrolled: 8-line block ×20, first 2 shown]
	ds_read2_b64 v[161:164], v255 offset1:1
	s_waitcnt lgkmcnt(0)
	v_cmp_neq_f64_e32 vcc_lo, 0, v[161:162]
	v_cmp_neq_f64_e64 s5, 0, v[163:164]
	s_or_b32 s5, vcc_lo, s5
	s_and_b32 exec_lo, exec_lo, s5
	s_cbranch_execz .LBB121_486
; %bb.481:
	v_cmp_ngt_f64_e64 s5, |v[161:162]|, |v[163:164]|
                                        ; implicit-def: $vgpr1_vgpr2
	s_and_saveexec_b32 s7, s5
	s_xor_b32 s5, exec_lo, s7
                                        ; implicit-def: $vgpr3_vgpr4
	s_cbranch_execz .LBB121_483
; %bb.482:
	v_div_scale_f64 v[1:2], null, v[163:164], v[163:164], v[161:162]
	v_div_scale_f64 v[167:168], vcc_lo, v[161:162], v[163:164], v[161:162]
	v_rcp_f64_e32 v[3:4], v[1:2]
	v_fma_f64 v[165:166], -v[1:2], v[3:4], 1.0
	v_fma_f64 v[3:4], v[3:4], v[165:166], v[3:4]
	v_fma_f64 v[165:166], -v[1:2], v[3:4], 1.0
	v_fma_f64 v[3:4], v[3:4], v[165:166], v[3:4]
	v_mul_f64 v[165:166], v[167:168], v[3:4]
	v_fma_f64 v[1:2], -v[1:2], v[165:166], v[167:168]
	v_div_fmas_f64 v[1:2], v[1:2], v[3:4], v[165:166]
	v_div_fixup_f64 v[1:2], v[1:2], v[163:164], v[161:162]
	v_fma_f64 v[3:4], v[161:162], v[1:2], v[163:164]
	v_div_scale_f64 v[161:162], null, v[3:4], v[3:4], 1.0
	v_rcp_f64_e32 v[163:164], v[161:162]
	v_fma_f64 v[165:166], -v[161:162], v[163:164], 1.0
	v_fma_f64 v[163:164], v[163:164], v[165:166], v[163:164]
	v_fma_f64 v[165:166], -v[161:162], v[163:164], 1.0
	v_fma_f64 v[163:164], v[163:164], v[165:166], v[163:164]
	v_div_scale_f64 v[165:166], vcc_lo, 1.0, v[3:4], 1.0
	v_mul_f64 v[167:168], v[165:166], v[163:164]
	v_fma_f64 v[161:162], -v[161:162], v[167:168], v[165:166]
	v_div_fmas_f64 v[161:162], v[161:162], v[163:164], v[167:168]
	v_div_fixup_f64 v[3:4], v[161:162], v[3:4], 1.0
                                        ; implicit-def: $vgpr161_vgpr162
	v_mul_f64 v[1:2], v[1:2], v[3:4]
	v_xor_b32_e32 v4, 0x80000000, v4
.LBB121_483:
	s_andn2_saveexec_b32 s5, s5
	s_cbranch_execz .LBB121_485
; %bb.484:
	v_div_scale_f64 v[1:2], null, v[161:162], v[161:162], v[163:164]
	v_div_scale_f64 v[167:168], vcc_lo, v[163:164], v[161:162], v[163:164]
	v_rcp_f64_e32 v[3:4], v[1:2]
	v_fma_f64 v[165:166], -v[1:2], v[3:4], 1.0
	v_fma_f64 v[3:4], v[3:4], v[165:166], v[3:4]
	v_fma_f64 v[165:166], -v[1:2], v[3:4], 1.0
	v_fma_f64 v[3:4], v[3:4], v[165:166], v[3:4]
	v_mul_f64 v[165:166], v[167:168], v[3:4]
	v_fma_f64 v[1:2], -v[1:2], v[165:166], v[167:168]
	v_div_fmas_f64 v[1:2], v[1:2], v[3:4], v[165:166]
	v_div_fixup_f64 v[3:4], v[1:2], v[161:162], v[163:164]
	v_fma_f64 v[1:2], v[163:164], v[3:4], v[161:162]
	v_div_scale_f64 v[161:162], null, v[1:2], v[1:2], 1.0
	v_rcp_f64_e32 v[163:164], v[161:162]
	v_fma_f64 v[165:166], -v[161:162], v[163:164], 1.0
	v_fma_f64 v[163:164], v[163:164], v[165:166], v[163:164]
	v_fma_f64 v[165:166], -v[161:162], v[163:164], 1.0
	v_fma_f64 v[163:164], v[163:164], v[165:166], v[163:164]
	v_div_scale_f64 v[165:166], vcc_lo, 1.0, v[1:2], 1.0
	v_mul_f64 v[167:168], v[165:166], v[163:164]
	v_fma_f64 v[161:162], -v[161:162], v[167:168], v[165:166]
	v_div_fmas_f64 v[161:162], v[161:162], v[163:164], v[167:168]
	v_div_fixup_f64 v[1:2], v[161:162], v[1:2], 1.0
	v_mul_f64 v[3:4], v[3:4], -v[1:2]
.LBB121_485:
	s_or_b32 exec_lo, exec_lo, s5
	ds_write2_b64 v255, v[1:2], v[3:4] offset1:1
.LBB121_486:
	s_or_b32 exec_lo, exec_lo, s6
	s_waitcnt lgkmcnt(0)
	s_barrier
	buffer_gl0_inv
	ds_read2_b64 v[161:164], v255 offset1:1
	s_mov_b32 s5, exec_lo
	v_cmpx_lt_u32_e32 40, v0
	s_cbranch_execz .LBB121_489
; %bb.487:
	s_clause 0x3
	buffer_load_dword v1, off, s[0:3], 0 offset:648
	buffer_load_dword v2, off, s[0:3], 0 offset:652
	buffer_load_dword v3, off, s[0:3], 0 offset:640
	buffer_load_dword v4, off, s[0:3], 0 offset:644
	s_mov_b32 s6, 0
	s_waitcnt vmcnt(2) lgkmcnt(0)
	v_mul_f64 v[165:166], v[163:164], v[1:2]
	v_mul_f64 v[1:2], v[161:162], v[1:2]
	s_waitcnt vmcnt(0)
	v_fma_f64 v[165:166], v[161:162], v[3:4], -v[165:166]
	v_fma_f64 v[167:168], v[163:164], v[3:4], v[1:2]
	buffer_store_dword v165, off, s[0:3], 0 offset:640
	buffer_store_dword v166, off, s[0:3], 0 offset:644
	;; [unrolled: 1-line block ×4, first 2 shown]
.LBB121_488:                            ; =>This Inner Loop Header: Depth=1
	v_add3_u32 v1, v177, 0, 0x290
	v_mov_b32_e32 v6, s6
	v_add_nc_u32_e32 v5, s6, v1
	s_addk_i32 s6, 0x50
	s_cmpk_lg_i32 s6, 0x140
	ds_read2_b64 v[1:4], v5 offset1:1
	s_waitcnt lgkmcnt(0)
	v_mul_f64 v[169:170], v[3:4], v[167:168]
	v_fma_f64 v[169:170], v[1:2], v[165:166], -v[169:170]
	v_mul_f64 v[1:2], v[1:2], v[167:168]
	v_fma_f64 v[1:2], v[3:4], v[165:166], v[1:2]
	s_clause 0xf
	buffer_load_dword v3, v6, s[0:3], 0 offen offset:656
	buffer_load_dword v4, v6, s[0:3], 0 offen offset:660
	;; [unrolled: 1-line block ×16, first 2 shown]
	s_waitcnt vmcnt(14)
	v_add_f64 v[3:4], v[3:4], -v[169:170]
	s_waitcnt vmcnt(12)
	v_add_f64 v[1:2], v[171:172], -v[1:2]
	buffer_store_dword v3, v6, s[0:3], 0 offen offset:656
	buffer_store_dword v4, v6, s[0:3], 0 offen offset:660
	buffer_store_dword v1, v6, s[0:3], 0 offen offset:664
	buffer_store_dword v2, v6, s[0:3], 0 offen offset:668
	ds_read2_b64 v[1:4], v5 offset0:2 offset1:3
	s_waitcnt lgkmcnt(0)
	v_mul_f64 v[169:170], v[3:4], v[167:168]
	v_fma_f64 v[169:170], v[1:2], v[165:166], -v[169:170]
	v_mul_f64 v[1:2], v[1:2], v[167:168]
	v_fma_f64 v[1:2], v[3:4], v[165:166], v[1:2]
	s_waitcnt vmcnt(10)
	v_add_f64 v[3:4], v[173:174], -v[169:170]
	s_waitcnt vmcnt(8)
	v_add_f64 v[1:2], v[175:176], -v[1:2]
	buffer_store_dword v3, v6, s[0:3], 0 offen offset:672
	buffer_store_dword v4, v6, s[0:3], 0 offen offset:676
	buffer_store_dword v1, v6, s[0:3], 0 offen offset:680
	buffer_store_dword v2, v6, s[0:3], 0 offen offset:684
	ds_read2_b64 v[1:4], v5 offset0:4 offset1:5
	s_waitcnt lgkmcnt(0)
	v_mul_f64 v[169:170], v[3:4], v[167:168]
	v_fma_f64 v[169:170], v[1:2], v[165:166], -v[169:170]
	v_mul_f64 v[1:2], v[1:2], v[167:168]
	v_fma_f64 v[1:2], v[3:4], v[165:166], v[1:2]
	;; [unrolled: 14-line block ×4, first 2 shown]
	s_clause 0x3
	buffer_load_dword v3, v6, s[0:3], 0 offen offset:720
	buffer_load_dword v4, v6, s[0:3], 0 offen offset:724
	;; [unrolled: 1-line block ×4, first 2 shown]
	s_waitcnt vmcnt(2)
	v_add_f64 v[3:4], v[3:4], -v[169:170]
	s_waitcnt vmcnt(0)
	v_add_f64 v[1:2], v[171:172], -v[1:2]
	buffer_store_dword v4, v6, s[0:3], 0 offen offset:724
	buffer_store_dword v3, v6, s[0:3], 0 offen offset:720
	;; [unrolled: 1-line block ×4, first 2 shown]
	s_cbranch_scc1 .LBB121_488
.LBB121_489:
	s_or_b32 exec_lo, exec_lo, s5
	s_mov_b32 s6, exec_lo
	s_waitcnt lgkmcnt(0)
	s_waitcnt_vscnt null, 0x0
	s_barrier
	buffer_gl0_inv
	v_cmpx_eq_u32_e32 41, v0
	s_cbranch_execz .LBB121_496
; %bb.490:
	v_mov_b32_e32 v4, s35
	s_clause 0x3
	buffer_load_dword v1, v4, s[0:3], 0 offen
	buffer_load_dword v2, v4, s[0:3], 0 offen offset:4
	buffer_load_dword v3, v4, s[0:3], 0 offen offset:8
	;; [unrolled: 1-line block ×3, first 2 shown]
	s_waitcnt vmcnt(0)
	ds_write2_b64 v255, v[1:2], v[3:4] offset1:1
	v_mov_b32_e32 v4, s34
	s_clause 0x3
	buffer_load_dword v1, v4, s[0:3], 0 offen
	buffer_load_dword v2, v4, s[0:3], 0 offen offset:4
	buffer_load_dword v3, v4, s[0:3], 0 offen offset:8
	buffer_load_dword v4, v4, s[0:3], 0 offen offset:12
	s_waitcnt vmcnt(0)
	ds_write2_b64 v241, v[1:2], v[3:4] offset0:84 offset1:85
	v_mov_b32_e32 v4, s33
	s_clause 0x3
	buffer_load_dword v1, v4, s[0:3], 0 offen
	buffer_load_dword v2, v4, s[0:3], 0 offen offset:4
	buffer_load_dword v3, v4, s[0:3], 0 offen offset:8
	buffer_load_dword v4, v4, s[0:3], 0 offen offset:12
	s_waitcnt vmcnt(0)
	ds_write2_b64 v241, v[1:2], v[3:4] offset0:86 offset1:87
	;; [unrolled: 8-line block ×19, first 2 shown]
	ds_read2_b64 v[165:168], v255 offset1:1
	s_waitcnt lgkmcnt(0)
	v_cmp_neq_f64_e32 vcc_lo, 0, v[165:166]
	v_cmp_neq_f64_e64 s5, 0, v[167:168]
	s_or_b32 s5, vcc_lo, s5
	s_and_b32 exec_lo, exec_lo, s5
	s_cbranch_execz .LBB121_496
; %bb.491:
	v_cmp_ngt_f64_e64 s5, |v[165:166]|, |v[167:168]|
                                        ; implicit-def: $vgpr1_vgpr2
	s_and_saveexec_b32 s7, s5
	s_xor_b32 s5, exec_lo, s7
                                        ; implicit-def: $vgpr3_vgpr4
	s_cbranch_execz .LBB121_493
; %bb.492:
	v_div_scale_f64 v[1:2], null, v[167:168], v[167:168], v[165:166]
	v_div_scale_f64 v[171:172], vcc_lo, v[165:166], v[167:168], v[165:166]
	v_rcp_f64_e32 v[3:4], v[1:2]
	v_fma_f64 v[169:170], -v[1:2], v[3:4], 1.0
	v_fma_f64 v[3:4], v[3:4], v[169:170], v[3:4]
	v_fma_f64 v[169:170], -v[1:2], v[3:4], 1.0
	v_fma_f64 v[3:4], v[3:4], v[169:170], v[3:4]
	v_mul_f64 v[169:170], v[171:172], v[3:4]
	v_fma_f64 v[1:2], -v[1:2], v[169:170], v[171:172]
	v_div_fmas_f64 v[1:2], v[1:2], v[3:4], v[169:170]
	v_div_fixup_f64 v[1:2], v[1:2], v[167:168], v[165:166]
	v_fma_f64 v[3:4], v[165:166], v[1:2], v[167:168]
	v_div_scale_f64 v[165:166], null, v[3:4], v[3:4], 1.0
	v_rcp_f64_e32 v[167:168], v[165:166]
	v_fma_f64 v[169:170], -v[165:166], v[167:168], 1.0
	v_fma_f64 v[167:168], v[167:168], v[169:170], v[167:168]
	v_fma_f64 v[169:170], -v[165:166], v[167:168], 1.0
	v_fma_f64 v[167:168], v[167:168], v[169:170], v[167:168]
	v_div_scale_f64 v[169:170], vcc_lo, 1.0, v[3:4], 1.0
	v_mul_f64 v[171:172], v[169:170], v[167:168]
	v_fma_f64 v[165:166], -v[165:166], v[171:172], v[169:170]
	v_div_fmas_f64 v[165:166], v[165:166], v[167:168], v[171:172]
	v_div_fixup_f64 v[3:4], v[165:166], v[3:4], 1.0
                                        ; implicit-def: $vgpr165_vgpr166
	v_mul_f64 v[1:2], v[1:2], v[3:4]
	v_xor_b32_e32 v4, 0x80000000, v4
.LBB121_493:
	s_andn2_saveexec_b32 s5, s5
	s_cbranch_execz .LBB121_495
; %bb.494:
	v_div_scale_f64 v[1:2], null, v[165:166], v[165:166], v[167:168]
	v_div_scale_f64 v[171:172], vcc_lo, v[167:168], v[165:166], v[167:168]
	v_rcp_f64_e32 v[3:4], v[1:2]
	v_fma_f64 v[169:170], -v[1:2], v[3:4], 1.0
	v_fma_f64 v[3:4], v[3:4], v[169:170], v[3:4]
	v_fma_f64 v[169:170], -v[1:2], v[3:4], 1.0
	v_fma_f64 v[3:4], v[3:4], v[169:170], v[3:4]
	v_mul_f64 v[169:170], v[171:172], v[3:4]
	v_fma_f64 v[1:2], -v[1:2], v[169:170], v[171:172]
	v_div_fmas_f64 v[1:2], v[1:2], v[3:4], v[169:170]
	v_div_fixup_f64 v[3:4], v[1:2], v[165:166], v[167:168]
	v_fma_f64 v[1:2], v[167:168], v[3:4], v[165:166]
	v_div_scale_f64 v[165:166], null, v[1:2], v[1:2], 1.0
	v_rcp_f64_e32 v[167:168], v[165:166]
	v_fma_f64 v[169:170], -v[165:166], v[167:168], 1.0
	v_fma_f64 v[167:168], v[167:168], v[169:170], v[167:168]
	v_fma_f64 v[169:170], -v[165:166], v[167:168], 1.0
	v_fma_f64 v[167:168], v[167:168], v[169:170], v[167:168]
	v_div_scale_f64 v[169:170], vcc_lo, 1.0, v[1:2], 1.0
	v_mul_f64 v[171:172], v[169:170], v[167:168]
	v_fma_f64 v[165:166], -v[165:166], v[171:172], v[169:170]
	v_div_fmas_f64 v[165:166], v[165:166], v[167:168], v[171:172]
	v_div_fixup_f64 v[1:2], v[165:166], v[1:2], 1.0
	v_mul_f64 v[3:4], v[3:4], -v[1:2]
.LBB121_495:
	s_or_b32 exec_lo, exec_lo, s5
	ds_write2_b64 v255, v[1:2], v[3:4] offset1:1
.LBB121_496:
	s_or_b32 exec_lo, exec_lo, s6
	s_waitcnt lgkmcnt(0)
	s_barrier
	buffer_gl0_inv
	ds_read2_b64 v[165:168], v255 offset1:1
	s_mov_b32 s5, exec_lo
	v_cmpx_lt_u32_e32 41, v0
	s_cbranch_execz .LBB121_501
; %bb.497:
	s_clause 0x3
	buffer_load_dword v1, off, s[0:3], 0 offset:664
	buffer_load_dword v2, off, s[0:3], 0 offset:668
	;; [unrolled: 1-line block ×4, first 2 shown]
	s_mov_b32 s6, 0
	s_waitcnt vmcnt(2) lgkmcnt(0)
	v_mul_f64 v[169:170], v[167:168], v[1:2]
	v_mul_f64 v[1:2], v[165:166], v[1:2]
	s_waitcnt vmcnt(0)
	v_fma_f64 v[169:170], v[165:166], v[3:4], -v[169:170]
	v_fma_f64 v[171:172], v[167:168], v[3:4], v[1:2]
	buffer_store_dword v169, off, s[0:3], 0 offset:656
	buffer_store_dword v170, off, s[0:3], 0 offset:660
	;; [unrolled: 1-line block ×4, first 2 shown]
	s_branch .LBB121_499
.LBB121_498:                            ;   in Loop: Header=BB121_499 Depth=1
	s_andn2_b32 vcc_lo, exec_lo, s8
	s_cbranch_vccz .LBB121_501
.LBB121_499:                            ; =>This Inner Loop Header: Depth=1
	v_add3_u32 v1, v177, 0, 0x2a0
	v_mov_b32_e32 v4, s6
	s_mov_b32 s7, s6
	s_mov_b32 s8, -1
	s_cmpk_eq_i32 s6, 0x100
	v_add_nc_u32_e32 v1, s6, v1
	ds_read2_b64 v[173:176], v1 offset1:1
	s_waitcnt lgkmcnt(0)
	v_mul_f64 v[2:3], v[175:176], v[171:172]
	v_fma_f64 v[2:3], v[173:174], v[169:170], -v[2:3]
	v_mul_f64 v[173:174], v[173:174], v[171:172]
	v_fma_f64 v[173:174], v[175:176], v[169:170], v[173:174]
	s_clause 0xb
	buffer_load_dword v175, v4, s[0:3], 0 offen offset:672
	buffer_load_dword v176, v4, s[0:3], 0 offen offset:676
	;; [unrolled: 1-line block ×12, first 2 shown]
	s_waitcnt vmcnt(10)
	v_add_f64 v[2:3], v[175:176], -v[2:3]
	s_waitcnt vmcnt(8)
	v_add_f64 v[173:174], v[178:179], -v[173:174]
	buffer_store_dword v2, v4, s[0:3], 0 offen offset:672
	buffer_store_dword v3, v4, s[0:3], 0 offen offset:676
	;; [unrolled: 1-line block ×4, first 2 shown]
	ds_read2_b64 v[173:176], v1 offset0:2 offset1:3
	s_waitcnt lgkmcnt(0)
	v_mul_f64 v[2:3], v[175:176], v[171:172]
	v_fma_f64 v[2:3], v[173:174], v[169:170], -v[2:3]
	v_mul_f64 v[173:174], v[173:174], v[171:172]
	s_waitcnt vmcnt(6)
	v_add_f64 v[2:3], v[180:181], -v[2:3]
	v_fma_f64 v[173:174], v[175:176], v[169:170], v[173:174]
	s_waitcnt vmcnt(4)
	v_add_f64 v[173:174], v[182:183], -v[173:174]
	buffer_store_dword v2, v4, s[0:3], 0 offen offset:688
	buffer_store_dword v3, v4, s[0:3], 0 offen offset:692
	;; [unrolled: 1-line block ×4, first 2 shown]
	ds_read2_b64 v[173:176], v1 offset0:4 offset1:5
	s_waitcnt lgkmcnt(0)
	v_mul_f64 v[2:3], v[175:176], v[171:172]
	v_fma_f64 v[2:3], v[173:174], v[169:170], -v[2:3]
	v_mul_f64 v[173:174], v[173:174], v[171:172]
	s_waitcnt vmcnt(2)
	v_add_f64 v[2:3], v[184:185], -v[2:3]
	v_fma_f64 v[173:174], v[175:176], v[169:170], v[173:174]
	s_waitcnt vmcnt(0)
	v_add_f64 v[173:174], v[186:187], -v[173:174]
	buffer_store_dword v2, v4, s[0:3], 0 offen offset:704
	buffer_store_dword v3, v4, s[0:3], 0 offen offset:708
	;; [unrolled: 1-line block ×4, first 2 shown]
	s_cbranch_scc1 .LBB121_498
; %bb.500:                              ;   in Loop: Header=BB121_499 Depth=1
	ds_read2_b64 v[1:4], v1 offset0:6 offset1:7
	v_mov_b32_e32 v5, s7
	s_add_i32 s6, s6, 64
	s_mov_b32 s8, 0
	s_waitcnt lgkmcnt(0)
	v_mul_f64 v[173:174], v[3:4], v[171:172]
	v_fma_f64 v[173:174], v[1:2], v[169:170], -v[173:174]
	v_mul_f64 v[1:2], v[1:2], v[171:172]
	v_fma_f64 v[1:2], v[3:4], v[169:170], v[1:2]
	s_clause 0x3
	buffer_load_dword v3, v5, s[0:3], 0 offen offset:720
	buffer_load_dword v4, v5, s[0:3], 0 offen offset:724
	;; [unrolled: 1-line block ×4, first 2 shown]
	s_waitcnt vmcnt(2)
	v_add_f64 v[3:4], v[3:4], -v[173:174]
	s_waitcnt vmcnt(0)
	v_add_f64 v[1:2], v[175:176], -v[1:2]
	buffer_store_dword v3, v5, s[0:3], 0 offen offset:720
	buffer_store_dword v4, v5, s[0:3], 0 offen offset:724
	;; [unrolled: 1-line block ×4, first 2 shown]
	s_branch .LBB121_498
.LBB121_501:
	s_or_b32 exec_lo, exec_lo, s5
	s_mov_b32 s6, exec_lo
	s_waitcnt lgkmcnt(0)
	s_waitcnt_vscnt null, 0x0
	s_barrier
	buffer_gl0_inv
	v_cmpx_eq_u32_e32 42, v0
	s_cbranch_execz .LBB121_508
; %bb.502:
	v_mov_b32_e32 v4, s34
	s_clause 0x3
	buffer_load_dword v1, v4, s[0:3], 0 offen
	buffer_load_dword v2, v4, s[0:3], 0 offen offset:4
	buffer_load_dword v3, v4, s[0:3], 0 offen offset:8
	;; [unrolled: 1-line block ×3, first 2 shown]
	s_waitcnt vmcnt(0)
	ds_write2_b64 v255, v[1:2], v[3:4] offset1:1
	v_mov_b32_e32 v4, s33
	s_clause 0x3
	buffer_load_dword v1, v4, s[0:3], 0 offen
	buffer_load_dword v2, v4, s[0:3], 0 offen offset:4
	buffer_load_dword v3, v4, s[0:3], 0 offen offset:8
	buffer_load_dword v4, v4, s[0:3], 0 offen offset:12
	s_waitcnt vmcnt(0)
	ds_write2_b64 v241, v[1:2], v[3:4] offset0:86 offset1:87
	v_mov_b32_e32 v4, s31
	s_clause 0x3
	buffer_load_dword v1, v4, s[0:3], 0 offen
	buffer_load_dword v2, v4, s[0:3], 0 offen offset:4
	buffer_load_dword v3, v4, s[0:3], 0 offen offset:8
	buffer_load_dword v4, v4, s[0:3], 0 offen offset:12
	s_waitcnt vmcnt(0)
	ds_write2_b64 v241, v[1:2], v[3:4] offset0:88 offset1:89
	;; [unrolled: 8-line block ×18, first 2 shown]
	ds_read2_b64 v[169:172], v255 offset1:1
	s_waitcnt lgkmcnt(0)
	v_cmp_neq_f64_e32 vcc_lo, 0, v[169:170]
	v_cmp_neq_f64_e64 s5, 0, v[171:172]
	s_or_b32 s5, vcc_lo, s5
	s_and_b32 exec_lo, exec_lo, s5
	s_cbranch_execz .LBB121_508
; %bb.503:
	v_cmp_ngt_f64_e64 s5, |v[169:170]|, |v[171:172]|
                                        ; implicit-def: $vgpr1_vgpr2
	s_and_saveexec_b32 s7, s5
	s_xor_b32 s5, exec_lo, s7
                                        ; implicit-def: $vgpr3_vgpr4
	s_cbranch_execz .LBB121_505
; %bb.504:
	v_div_scale_f64 v[1:2], null, v[171:172], v[171:172], v[169:170]
	v_div_scale_f64 v[175:176], vcc_lo, v[169:170], v[171:172], v[169:170]
	v_rcp_f64_e32 v[3:4], v[1:2]
	v_fma_f64 v[173:174], -v[1:2], v[3:4], 1.0
	v_fma_f64 v[3:4], v[3:4], v[173:174], v[3:4]
	v_fma_f64 v[173:174], -v[1:2], v[3:4], 1.0
	v_fma_f64 v[3:4], v[3:4], v[173:174], v[3:4]
	v_mul_f64 v[173:174], v[175:176], v[3:4]
	v_fma_f64 v[1:2], -v[1:2], v[173:174], v[175:176]
	v_div_fmas_f64 v[1:2], v[1:2], v[3:4], v[173:174]
	v_div_fixup_f64 v[1:2], v[1:2], v[171:172], v[169:170]
	v_fma_f64 v[3:4], v[169:170], v[1:2], v[171:172]
	v_div_scale_f64 v[169:170], null, v[3:4], v[3:4], 1.0
	v_rcp_f64_e32 v[171:172], v[169:170]
	v_fma_f64 v[173:174], -v[169:170], v[171:172], 1.0
	v_fma_f64 v[171:172], v[171:172], v[173:174], v[171:172]
	v_fma_f64 v[173:174], -v[169:170], v[171:172], 1.0
	v_fma_f64 v[171:172], v[171:172], v[173:174], v[171:172]
	v_div_scale_f64 v[173:174], vcc_lo, 1.0, v[3:4], 1.0
	v_mul_f64 v[175:176], v[173:174], v[171:172]
	v_fma_f64 v[169:170], -v[169:170], v[175:176], v[173:174]
	v_div_fmas_f64 v[169:170], v[169:170], v[171:172], v[175:176]
	v_div_fixup_f64 v[3:4], v[169:170], v[3:4], 1.0
                                        ; implicit-def: $vgpr169_vgpr170
	v_mul_f64 v[1:2], v[1:2], v[3:4]
	v_xor_b32_e32 v4, 0x80000000, v4
.LBB121_505:
	s_andn2_saveexec_b32 s5, s5
	s_cbranch_execz .LBB121_507
; %bb.506:
	v_div_scale_f64 v[1:2], null, v[169:170], v[169:170], v[171:172]
	v_div_scale_f64 v[175:176], vcc_lo, v[171:172], v[169:170], v[171:172]
	v_rcp_f64_e32 v[3:4], v[1:2]
	v_fma_f64 v[173:174], -v[1:2], v[3:4], 1.0
	v_fma_f64 v[3:4], v[3:4], v[173:174], v[3:4]
	v_fma_f64 v[173:174], -v[1:2], v[3:4], 1.0
	v_fma_f64 v[3:4], v[3:4], v[173:174], v[3:4]
	v_mul_f64 v[173:174], v[175:176], v[3:4]
	v_fma_f64 v[1:2], -v[1:2], v[173:174], v[175:176]
	v_div_fmas_f64 v[1:2], v[1:2], v[3:4], v[173:174]
	v_div_fixup_f64 v[3:4], v[1:2], v[169:170], v[171:172]
	v_fma_f64 v[1:2], v[171:172], v[3:4], v[169:170]
	v_div_scale_f64 v[169:170], null, v[1:2], v[1:2], 1.0
	v_rcp_f64_e32 v[171:172], v[169:170]
	v_fma_f64 v[173:174], -v[169:170], v[171:172], 1.0
	v_fma_f64 v[171:172], v[171:172], v[173:174], v[171:172]
	v_fma_f64 v[173:174], -v[169:170], v[171:172], 1.0
	v_fma_f64 v[171:172], v[171:172], v[173:174], v[171:172]
	v_div_scale_f64 v[173:174], vcc_lo, 1.0, v[1:2], 1.0
	v_mul_f64 v[175:176], v[173:174], v[171:172]
	v_fma_f64 v[169:170], -v[169:170], v[175:176], v[173:174]
	v_div_fmas_f64 v[169:170], v[169:170], v[171:172], v[175:176]
	v_div_fixup_f64 v[1:2], v[169:170], v[1:2], 1.0
	v_mul_f64 v[3:4], v[3:4], -v[1:2]
.LBB121_507:
	s_or_b32 exec_lo, exec_lo, s5
	ds_write2_b64 v255, v[1:2], v[3:4] offset1:1
.LBB121_508:
	s_or_b32 exec_lo, exec_lo, s6
	s_waitcnt lgkmcnt(0)
	s_barrier
	buffer_gl0_inv
	ds_read2_b64 v[169:172], v255 offset1:1
	s_mov_b32 s5, exec_lo
	v_cmpx_lt_u32_e32 42, v0
	s_cbranch_execz .LBB121_511
; %bb.509:
	s_clause 0x3
	buffer_load_dword v1, off, s[0:3], 0 offset:680
	buffer_load_dword v2, off, s[0:3], 0 offset:684
	;; [unrolled: 1-line block ×4, first 2 shown]
	s_mov_b32 s6, 0
	s_waitcnt vmcnt(2) lgkmcnt(0)
	v_mul_f64 v[173:174], v[171:172], v[1:2]
	v_mul_f64 v[1:2], v[169:170], v[1:2]
	s_waitcnt vmcnt(0)
	v_fma_f64 v[173:174], v[169:170], v[3:4], -v[173:174]
	v_fma_f64 v[175:176], v[171:172], v[3:4], v[1:2]
	v_add3_u32 v1, v177, 0, 0x2b0
	buffer_store_dword v173, off, s[0:3], 0 offset:672
	buffer_store_dword v174, off, s[0:3], 0 offset:676
	;; [unrolled: 1-line block ×4, first 2 shown]
.LBB121_510:                            ; =>This Inner Loop Header: Depth=1
	v_add_nc_u32_e32 v4, s6, v1
	v_mov_b32_e32 v5, s6
	s_addk_i32 s6, 0x60
	s_cmpk_lg_i32 s6, 0x120
	ds_read2_b64 v[177:180], v4 offset1:1
	s_waitcnt lgkmcnt(0)
	v_mul_f64 v[2:3], v[179:180], v[175:176]
	v_fma_f64 v[2:3], v[177:178], v[173:174], -v[2:3]
	v_mul_f64 v[177:178], v[177:178], v[175:176]
	v_fma_f64 v[177:178], v[179:180], v[173:174], v[177:178]
	s_clause 0xf
	buffer_load_dword v179, v5, s[0:3], 0 offen offset:688
	buffer_load_dword v180, v5, s[0:3], 0 offen offset:692
	;; [unrolled: 1-line block ×16, first 2 shown]
	s_waitcnt vmcnt(14)
	v_add_f64 v[2:3], v[179:180], -v[2:3]
	s_waitcnt vmcnt(12)
	v_add_f64 v[177:178], v[181:182], -v[177:178]
	buffer_store_dword v2, v5, s[0:3], 0 offen offset:688
	buffer_store_dword v3, v5, s[0:3], 0 offen offset:692
	buffer_store_dword v177, v5, s[0:3], 0 offen offset:696
	buffer_store_dword v178, v5, s[0:3], 0 offen offset:700
	ds_read2_b64 v[177:180], v4 offset0:2 offset1:3
	s_waitcnt lgkmcnt(0)
	v_mul_f64 v[2:3], v[179:180], v[175:176]
	v_fma_f64 v[2:3], v[177:178], v[173:174], -v[2:3]
	v_mul_f64 v[177:178], v[177:178], v[175:176]
	s_waitcnt vmcnt(10)
	v_add_f64 v[2:3], v[183:184], -v[2:3]
	v_fma_f64 v[177:178], v[179:180], v[173:174], v[177:178]
	s_waitcnt vmcnt(8)
	v_add_f64 v[177:178], v[185:186], -v[177:178]
	buffer_store_dword v2, v5, s[0:3], 0 offen offset:704
	buffer_store_dword v3, v5, s[0:3], 0 offen offset:708
	buffer_store_dword v177, v5, s[0:3], 0 offen offset:712
	buffer_store_dword v178, v5, s[0:3], 0 offen offset:716
	ds_read2_b64 v[177:180], v4 offset0:4 offset1:5
	s_waitcnt lgkmcnt(0)
	v_mul_f64 v[2:3], v[179:180], v[175:176]
	v_fma_f64 v[2:3], v[177:178], v[173:174], -v[2:3]
	v_mul_f64 v[177:178], v[177:178], v[175:176]
	s_waitcnt vmcnt(6)
	v_add_f64 v[2:3], v[187:188], -v[2:3]
	v_fma_f64 v[177:178], v[179:180], v[173:174], v[177:178]
	;; [unrolled: 14-line block ×3, first 2 shown]
	s_waitcnt vmcnt(0)
	v_add_f64 v[177:178], v[193:194], -v[177:178]
	buffer_store_dword v3, v5, s[0:3], 0 offen offset:740
	buffer_store_dword v2, v5, s[0:3], 0 offen offset:736
	;; [unrolled: 1-line block ×4, first 2 shown]
	ds_read2_b64 v[177:180], v4 offset0:8 offset1:9
	s_waitcnt lgkmcnt(0)
	v_mul_f64 v[2:3], v[179:180], v[175:176]
	v_fma_f64 v[2:3], v[177:178], v[173:174], -v[2:3]
	v_mul_f64 v[177:178], v[177:178], v[175:176]
	v_fma_f64 v[177:178], v[179:180], v[173:174], v[177:178]
	s_clause 0x3
	buffer_load_dword v179, v5, s[0:3], 0 offen offset:752
	buffer_load_dword v180, v5, s[0:3], 0 offen offset:756
	;; [unrolled: 1-line block ×4, first 2 shown]
	s_waitcnt vmcnt(2)
	v_add_f64 v[2:3], v[179:180], -v[2:3]
	s_waitcnt vmcnt(0)
	v_add_f64 v[177:178], v[181:182], -v[177:178]
	buffer_store_dword v3, v5, s[0:3], 0 offen offset:756
	buffer_store_dword v2, v5, s[0:3], 0 offen offset:752
	;; [unrolled: 1-line block ×4, first 2 shown]
	ds_read2_b64 v[177:180], v4 offset0:10 offset1:11
	s_waitcnt lgkmcnt(0)
	v_mul_f64 v[2:3], v[179:180], v[175:176]
	v_fma_f64 v[2:3], v[177:178], v[173:174], -v[2:3]
	v_mul_f64 v[177:178], v[177:178], v[175:176]
	v_fma_f64 v[177:178], v[179:180], v[173:174], v[177:178]
	s_clause 0x3
	buffer_load_dword v179, v5, s[0:3], 0 offen offset:768
	buffer_load_dword v180, v5, s[0:3], 0 offen offset:772
	buffer_load_dword v181, v5, s[0:3], 0 offen offset:776
	buffer_load_dword v182, v5, s[0:3], 0 offen offset:780
	s_waitcnt vmcnt(2)
	v_add_f64 v[2:3], v[179:180], -v[2:3]
	s_waitcnt vmcnt(0)
	v_add_f64 v[177:178], v[181:182], -v[177:178]
	buffer_store_dword v3, v5, s[0:3], 0 offen offset:772
	buffer_store_dword v2, v5, s[0:3], 0 offen offset:768
	;; [unrolled: 1-line block ×4, first 2 shown]
	s_cbranch_scc1 .LBB121_510
.LBB121_511:
	s_or_b32 exec_lo, exec_lo, s5
	s_mov_b32 s6, exec_lo
	s_waitcnt lgkmcnt(0)
	s_waitcnt_vscnt null, 0x0
	s_barrier
	buffer_gl0_inv
	v_cmpx_eq_u32_e32 43, v0
	s_cbranch_execz .LBB121_518
; %bb.512:
	v_mov_b32_e32 v4, s33
	s_clause 0x3
	buffer_load_dword v1, v4, s[0:3], 0 offen
	buffer_load_dword v2, v4, s[0:3], 0 offen offset:4
	buffer_load_dword v3, v4, s[0:3], 0 offen offset:8
	;; [unrolled: 1-line block ×3, first 2 shown]
	s_waitcnt vmcnt(0)
	ds_write2_b64 v255, v[1:2], v[3:4] offset1:1
	v_mov_b32_e32 v4, s31
	s_clause 0x3
	buffer_load_dword v1, v4, s[0:3], 0 offen
	buffer_load_dword v2, v4, s[0:3], 0 offen offset:4
	buffer_load_dword v3, v4, s[0:3], 0 offen offset:8
	buffer_load_dword v4, v4, s[0:3], 0 offen offset:12
	s_waitcnt vmcnt(0)
	ds_write2_b64 v241, v[1:2], v[3:4] offset0:88 offset1:89
	v_mov_b32_e32 v4, s30
	s_clause 0x3
	buffer_load_dword v1, v4, s[0:3], 0 offen
	buffer_load_dword v2, v4, s[0:3], 0 offen offset:4
	buffer_load_dword v3, v4, s[0:3], 0 offen offset:8
	buffer_load_dword v4, v4, s[0:3], 0 offen offset:12
	s_waitcnt vmcnt(0)
	ds_write2_b64 v241, v[1:2], v[3:4] offset0:90 offset1:91
	;; [unrolled: 8-line block ×17, first 2 shown]
	ds_read2_b64 v[173:176], v255 offset1:1
	s_waitcnt lgkmcnt(0)
	v_cmp_neq_f64_e32 vcc_lo, 0, v[173:174]
	v_cmp_neq_f64_e64 s5, 0, v[175:176]
	s_or_b32 s5, vcc_lo, s5
	s_and_b32 exec_lo, exec_lo, s5
	s_cbranch_execz .LBB121_518
; %bb.513:
	v_cmp_ngt_f64_e64 s5, |v[173:174]|, |v[175:176]|
                                        ; implicit-def: $vgpr1_vgpr2
	s_and_saveexec_b32 s7, s5
	s_xor_b32 s5, exec_lo, s7
                                        ; implicit-def: $vgpr3_vgpr4
	s_cbranch_execz .LBB121_515
; %bb.514:
	v_div_scale_f64 v[1:2], null, v[175:176], v[175:176], v[173:174]
	v_div_scale_f64 v[179:180], vcc_lo, v[173:174], v[175:176], v[173:174]
	v_rcp_f64_e32 v[3:4], v[1:2]
	v_fma_f64 v[177:178], -v[1:2], v[3:4], 1.0
	v_fma_f64 v[3:4], v[3:4], v[177:178], v[3:4]
	v_fma_f64 v[177:178], -v[1:2], v[3:4], 1.0
	v_fma_f64 v[3:4], v[3:4], v[177:178], v[3:4]
	v_mul_f64 v[177:178], v[179:180], v[3:4]
	v_fma_f64 v[1:2], -v[1:2], v[177:178], v[179:180]
	v_div_fmas_f64 v[1:2], v[1:2], v[3:4], v[177:178]
	v_div_fixup_f64 v[1:2], v[1:2], v[175:176], v[173:174]
	v_fma_f64 v[3:4], v[173:174], v[1:2], v[175:176]
	v_div_scale_f64 v[173:174], null, v[3:4], v[3:4], 1.0
	v_rcp_f64_e32 v[175:176], v[173:174]
	v_fma_f64 v[177:178], -v[173:174], v[175:176], 1.0
	v_fma_f64 v[175:176], v[175:176], v[177:178], v[175:176]
	v_fma_f64 v[177:178], -v[173:174], v[175:176], 1.0
	v_fma_f64 v[175:176], v[175:176], v[177:178], v[175:176]
	v_div_scale_f64 v[177:178], vcc_lo, 1.0, v[3:4], 1.0
	v_mul_f64 v[179:180], v[177:178], v[175:176]
	v_fma_f64 v[173:174], -v[173:174], v[179:180], v[177:178]
	v_div_fmas_f64 v[173:174], v[173:174], v[175:176], v[179:180]
	v_div_fixup_f64 v[3:4], v[173:174], v[3:4], 1.0
                                        ; implicit-def: $vgpr173_vgpr174
	v_mul_f64 v[1:2], v[1:2], v[3:4]
	v_xor_b32_e32 v4, 0x80000000, v4
.LBB121_515:
	s_andn2_saveexec_b32 s5, s5
	s_cbranch_execz .LBB121_517
; %bb.516:
	v_div_scale_f64 v[1:2], null, v[173:174], v[173:174], v[175:176]
	v_div_scale_f64 v[179:180], vcc_lo, v[175:176], v[173:174], v[175:176]
	v_rcp_f64_e32 v[3:4], v[1:2]
	v_fma_f64 v[177:178], -v[1:2], v[3:4], 1.0
	v_fma_f64 v[3:4], v[3:4], v[177:178], v[3:4]
	v_fma_f64 v[177:178], -v[1:2], v[3:4], 1.0
	v_fma_f64 v[3:4], v[3:4], v[177:178], v[3:4]
	v_mul_f64 v[177:178], v[179:180], v[3:4]
	v_fma_f64 v[1:2], -v[1:2], v[177:178], v[179:180]
	v_div_fmas_f64 v[1:2], v[1:2], v[3:4], v[177:178]
	v_div_fixup_f64 v[3:4], v[1:2], v[173:174], v[175:176]
	v_fma_f64 v[1:2], v[175:176], v[3:4], v[173:174]
	v_div_scale_f64 v[173:174], null, v[1:2], v[1:2], 1.0
	v_rcp_f64_e32 v[175:176], v[173:174]
	v_fma_f64 v[177:178], -v[173:174], v[175:176], 1.0
	v_fma_f64 v[175:176], v[175:176], v[177:178], v[175:176]
	v_fma_f64 v[177:178], -v[173:174], v[175:176], 1.0
	v_fma_f64 v[175:176], v[175:176], v[177:178], v[175:176]
	v_div_scale_f64 v[177:178], vcc_lo, 1.0, v[1:2], 1.0
	v_mul_f64 v[179:180], v[177:178], v[175:176]
	v_fma_f64 v[173:174], -v[173:174], v[179:180], v[177:178]
	v_div_fmas_f64 v[173:174], v[173:174], v[175:176], v[179:180]
	v_div_fixup_f64 v[1:2], v[173:174], v[1:2], 1.0
	v_mul_f64 v[3:4], v[3:4], -v[1:2]
.LBB121_517:
	s_or_b32 exec_lo, exec_lo, s5
	ds_write2_b64 v255, v[1:2], v[3:4] offset1:1
.LBB121_518:
	s_or_b32 exec_lo, exec_lo, s6
	s_waitcnt lgkmcnt(0)
	s_barrier
	buffer_gl0_inv
	ds_read2_b64 v[173:176], v255 offset1:1
	s_mov_b32 s5, exec_lo
	v_cmpx_lt_u32_e32 43, v0
	s_cbranch_execz .LBB121_520
; %bb.519:
	s_clause 0xf
	buffer_load_dword v1, off, s[0:3], 0 offset:688
	buffer_load_dword v2, off, s[0:3], 0 offset:692
	;; [unrolled: 1-line block ×16, first 2 shown]
	s_waitcnt vmcnt(12) lgkmcnt(0)
	v_mul_f64 v[189:190], v[175:176], v[3:4]
	v_mul_f64 v[3:4], v[173:174], v[3:4]
	v_fma_f64 v[189:190], v[173:174], v[1:2], -v[189:190]
	v_fma_f64 v[191:192], v[175:176], v[1:2], v[3:4]
	buffer_store_dword v189, off, s[0:3], 0 offset:688
	buffer_store_dword v190, off, s[0:3], 0 offset:692
	buffer_store_dword v191, off, s[0:3], 0 offset:696
	buffer_store_dword v192, off, s[0:3], 0 offset:700
	ds_read2_b64 v[1:4], v241 offset0:88 offset1:89
	s_waitcnt lgkmcnt(0)
	v_mul_f64 v[193:194], v[3:4], v[191:192]
	v_fma_f64 v[193:194], v[1:2], v[189:190], -v[193:194]
	v_mul_f64 v[1:2], v[1:2], v[191:192]
	v_fma_f64 v[1:2], v[3:4], v[189:190], v[1:2]
	s_waitcnt vmcnt(10)
	v_add_f64 v[3:4], v[177:178], -v[193:194]
	s_waitcnt vmcnt(8)
	v_add_f64 v[1:2], v[179:180], -v[1:2]
	buffer_store_dword v3, off, s[0:3], 0 offset:704
	buffer_store_dword v4, off, s[0:3], 0 offset:708
	buffer_store_dword v1, off, s[0:3], 0 offset:712
	buffer_store_dword v2, off, s[0:3], 0 offset:716
	ds_read2_b64 v[1:4], v241 offset0:90 offset1:91
	s_waitcnt lgkmcnt(0)
	v_mul_f64 v[177:178], v[3:4], v[191:192]
	v_fma_f64 v[177:178], v[1:2], v[189:190], -v[177:178]
	v_mul_f64 v[1:2], v[1:2], v[191:192]
	v_fma_f64 v[1:2], v[3:4], v[189:190], v[1:2]
	s_waitcnt vmcnt(6)
	v_add_f64 v[3:4], v[181:182], -v[177:178]
	s_waitcnt vmcnt(4)
	v_add_f64 v[1:2], v[183:184], -v[1:2]
	;; [unrolled: 14-line block ×3, first 2 shown]
	buffer_store_dword v4, off, s[0:3], 0 offset:740
	buffer_store_dword v3, off, s[0:3], 0 offset:736
	buffer_store_dword v1, off, s[0:3], 0 offset:744
	buffer_store_dword v2, off, s[0:3], 0 offset:748
	ds_read2_b64 v[1:4], v241 offset0:94 offset1:95
	s_waitcnt lgkmcnt(0)
	v_mul_f64 v[177:178], v[3:4], v[191:192]
	v_fma_f64 v[177:178], v[1:2], v[189:190], -v[177:178]
	v_mul_f64 v[1:2], v[1:2], v[191:192]
	v_fma_f64 v[1:2], v[3:4], v[189:190], v[1:2]
	s_clause 0x3
	buffer_load_dword v3, off, s[0:3], 0 offset:752
	buffer_load_dword v4, off, s[0:3], 0 offset:756
	buffer_load_dword v179, off, s[0:3], 0 offset:760
	buffer_load_dword v180, off, s[0:3], 0 offset:764
	s_waitcnt vmcnt(2)
	v_add_f64 v[3:4], v[3:4], -v[177:178]
	s_waitcnt vmcnt(0)
	v_add_f64 v[1:2], v[179:180], -v[1:2]
	buffer_store_dword v4, off, s[0:3], 0 offset:756
	buffer_store_dword v3, off, s[0:3], 0 offset:752
	buffer_store_dword v2, off, s[0:3], 0 offset:764
	buffer_store_dword v1, off, s[0:3], 0 offset:760
	ds_read2_b64 v[1:4], v241 offset0:96 offset1:97
	s_waitcnt lgkmcnt(0)
	v_mul_f64 v[177:178], v[3:4], v[191:192]
	v_fma_f64 v[177:178], v[1:2], v[189:190], -v[177:178]
	v_mul_f64 v[1:2], v[1:2], v[191:192]
	v_fma_f64 v[1:2], v[3:4], v[189:190], v[1:2]
	s_clause 0x3
	buffer_load_dword v3, off, s[0:3], 0 offset:768
	buffer_load_dword v4, off, s[0:3], 0 offset:772
	buffer_load_dword v179, off, s[0:3], 0 offset:776
	buffer_load_dword v180, off, s[0:3], 0 offset:780
	s_waitcnt vmcnt(2)
	v_add_f64 v[3:4], v[3:4], -v[177:178]
	s_waitcnt vmcnt(0)
	v_add_f64 v[1:2], v[179:180], -v[1:2]
	;; [unrolled: 19-line block ×3, first 2 shown]
	buffer_store_dword v4, off, s[0:3], 0 offset:788
	buffer_store_dword v3, off, s[0:3], 0 offset:784
	buffer_store_dword v2, off, s[0:3], 0 offset:796
	buffer_store_dword v1, off, s[0:3], 0 offset:792
	ds_read2_b64 v[1:4], v241 offset0:100 offset1:101
	s_clause 0x3
	buffer_load_dword v177, off, s[0:3], 0 offset:688
	buffer_load_dword v178, off, s[0:3], 0 offset:692
	;; [unrolled: 1-line block ×4, first 2 shown]
	s_waitcnt vmcnt(0) lgkmcnt(0)
	v_mul_f64 v[181:182], v[3:4], v[179:180]
	v_fma_f64 v[181:182], v[1:2], v[177:178], -v[181:182]
	v_mul_f64 v[1:2], v[1:2], v[179:180]
	v_fma_f64 v[1:2], v[3:4], v[177:178], v[1:2]
	s_clause 0x1
	buffer_load_dword v4, off, s[0:3], 0 offset:804
	buffer_load_dword v3, off, s[0:3], 0 offset:800
	s_waitcnt vmcnt(0)
	v_add_f64 v[3:4], v[3:4], -v[181:182]
	s_clause 0x1
	buffer_load_dword v182, off, s[0:3], 0 offset:812
	buffer_load_dword v181, off, s[0:3], 0 offset:808
	s_waitcnt vmcnt(0)
	v_add_f64 v[1:2], v[181:182], -v[1:2]
	buffer_store_dword v4, off, s[0:3], 0 offset:804
	buffer_store_dword v3, off, s[0:3], 0 offset:800
	buffer_store_dword v2, off, s[0:3], 0 offset:812
	buffer_store_dword v1, off, s[0:3], 0 offset:808
	ds_read2_b64 v[1:4], v241 offset0:102 offset1:103
	s_waitcnt lgkmcnt(0)
	v_mul_f64 v[181:182], v[3:4], v[179:180]
	v_fma_f64 v[181:182], v[1:2], v[177:178], -v[181:182]
	v_mul_f64 v[1:2], v[1:2], v[179:180]
	v_fma_f64 v[1:2], v[3:4], v[177:178], v[1:2]
	s_clause 0x3
	buffer_load_dword v3, off, s[0:3], 0 offset:816
	buffer_load_dword v4, off, s[0:3], 0 offset:820
	buffer_load_dword v183, off, s[0:3], 0 offset:824
	buffer_load_dword v184, off, s[0:3], 0 offset:828
	s_waitcnt vmcnt(2)
	v_add_f64 v[3:4], v[3:4], -v[181:182]
	s_waitcnt vmcnt(0)
	v_add_f64 v[1:2], v[183:184], -v[1:2]
	buffer_store_dword v4, off, s[0:3], 0 offset:820
	buffer_store_dword v3, off, s[0:3], 0 offset:816
	buffer_store_dword v2, off, s[0:3], 0 offset:828
	buffer_store_dword v1, off, s[0:3], 0 offset:824
	ds_read2_b64 v[1:4], v241 offset0:104 offset1:105
	s_waitcnt lgkmcnt(0)
	v_mul_f64 v[181:182], v[3:4], v[179:180]
	v_fma_f64 v[181:182], v[1:2], v[177:178], -v[181:182]
	v_mul_f64 v[1:2], v[1:2], v[179:180]
	v_fma_f64 v[1:2], v[3:4], v[177:178], v[1:2]
	s_clause 0x3
	buffer_load_dword v3, off, s[0:3], 0 offset:832
	buffer_load_dword v4, off, s[0:3], 0 offset:836
	buffer_load_dword v183, off, s[0:3], 0 offset:840
	buffer_load_dword v184, off, s[0:3], 0 offset:844
	s_waitcnt vmcnt(2)
	v_add_f64 v[3:4], v[3:4], -v[181:182]
	;; [unrolled: 19-line block ×5, first 2 shown]
	s_waitcnt vmcnt(0)
	v_add_f64 v[1:2], v[177:178], -v[1:2]
	buffer_store_dword v4, off, s[0:3], 0 offset:884
	buffer_store_dword v3, off, s[0:3], 0 offset:880
	;; [unrolled: 1-line block ×4, first 2 shown]
	ds_read2_b64 v[1:4], v241 offset0:112 offset1:113
	s_clause 0x3
	buffer_load_dword v177, off, s[0:3], 0 offset:688
	buffer_load_dword v178, off, s[0:3], 0 offset:692
	;; [unrolled: 1-line block ×4, first 2 shown]
	s_waitcnt vmcnt(0) lgkmcnt(0)
	v_mul_f64 v[181:182], v[3:4], v[179:180]
	v_fma_f64 v[181:182], v[1:2], v[177:178], -v[181:182]
	v_mul_f64 v[1:2], v[1:2], v[179:180]
	v_fma_f64 v[1:2], v[3:4], v[177:178], v[1:2]
	s_clause 0x1
	buffer_load_dword v4, off, s[0:3], 0 offset:900
	buffer_load_dword v3, off, s[0:3], 0 offset:896
	s_waitcnt vmcnt(0)
	v_add_f64 v[3:4], v[3:4], -v[181:182]
	s_clause 0x1
	buffer_load_dword v182, off, s[0:3], 0 offset:908
	buffer_load_dword v181, off, s[0:3], 0 offset:904
	s_waitcnt vmcnt(0)
	v_add_f64 v[1:2], v[181:182], -v[1:2]
	buffer_store_dword v4, off, s[0:3], 0 offset:900
	buffer_store_dword v3, off, s[0:3], 0 offset:896
	buffer_store_dword v2, off, s[0:3], 0 offset:908
	buffer_store_dword v1, off, s[0:3], 0 offset:904
	ds_read2_b64 v[1:4], v241 offset0:114 offset1:115
	s_waitcnt lgkmcnt(0)
	v_mul_f64 v[181:182], v[3:4], v[179:180]
	v_fma_f64 v[181:182], v[1:2], v[177:178], -v[181:182]
	v_mul_f64 v[1:2], v[1:2], v[179:180]
	v_fma_f64 v[1:2], v[3:4], v[177:178], v[1:2]
	s_clause 0x3
	buffer_load_dword v3, off, s[0:3], 0 offset:912
	buffer_load_dword v4, off, s[0:3], 0 offset:916
	buffer_load_dword v183, off, s[0:3], 0 offset:920
	buffer_load_dword v184, off, s[0:3], 0 offset:924
	s_waitcnt vmcnt(2)
	v_add_f64 v[3:4], v[3:4], -v[181:182]
	s_waitcnt vmcnt(0)
	v_add_f64 v[1:2], v[183:184], -v[1:2]
	buffer_store_dword v4, off, s[0:3], 0 offset:916
	buffer_store_dword v3, off, s[0:3], 0 offset:912
	buffer_store_dword v2, off, s[0:3], 0 offset:924
	buffer_store_dword v1, off, s[0:3], 0 offset:920
	ds_read2_b64 v[1:4], v241 offset0:116 offset1:117
	s_waitcnt lgkmcnt(0)
	v_mul_f64 v[181:182], v[3:4], v[179:180]
	v_fma_f64 v[181:182], v[1:2], v[177:178], -v[181:182]
	v_mul_f64 v[1:2], v[1:2], v[179:180]
	v_fma_f64 v[1:2], v[3:4], v[177:178], v[1:2]
	s_clause 0x3
	buffer_load_dword v3, off, s[0:3], 0 offset:928
	buffer_load_dword v4, off, s[0:3], 0 offset:932
	buffer_load_dword v183, off, s[0:3], 0 offset:936
	buffer_load_dword v184, off, s[0:3], 0 offset:940
	s_waitcnt vmcnt(2)
	v_add_f64 v[3:4], v[3:4], -v[181:182]
	;; [unrolled: 19-line block ×4, first 2 shown]
	s_waitcnt vmcnt(0)
	v_add_f64 v[1:2], v[177:178], -v[1:2]
	buffer_store_dword v4, off, s[0:3], 0 offset:964
	buffer_store_dword v3, off, s[0:3], 0 offset:960
	;; [unrolled: 1-line block ×4, first 2 shown]
.LBB121_520:
	s_or_b32 exec_lo, exec_lo, s5
	s_mov_b32 s6, exec_lo
	s_waitcnt lgkmcnt(0)
	s_waitcnt_vscnt null, 0x0
	s_barrier
	buffer_gl0_inv
	v_cmpx_eq_u32_e32 44, v0
	s_cbranch_execz .LBB121_527
; %bb.521:
	v_mov_b32_e32 v4, s31
	s_clause 0x3
	buffer_load_dword v1, v4, s[0:3], 0 offen
	buffer_load_dword v2, v4, s[0:3], 0 offen offset:4
	buffer_load_dword v3, v4, s[0:3], 0 offen offset:8
	;; [unrolled: 1-line block ×3, first 2 shown]
	s_waitcnt vmcnt(0)
	ds_write2_b64 v255, v[1:2], v[3:4] offset1:1
	v_mov_b32_e32 v4, s30
	s_clause 0x3
	buffer_load_dword v1, v4, s[0:3], 0 offen
	buffer_load_dword v2, v4, s[0:3], 0 offen offset:4
	buffer_load_dword v3, v4, s[0:3], 0 offen offset:8
	buffer_load_dword v4, v4, s[0:3], 0 offen offset:12
	s_waitcnt vmcnt(0)
	ds_write2_b64 v241, v[1:2], v[3:4] offset0:90 offset1:91
	v_mov_b32_e32 v4, s29
	s_clause 0x3
	buffer_load_dword v1, v4, s[0:3], 0 offen
	buffer_load_dword v2, v4, s[0:3], 0 offen offset:4
	buffer_load_dword v3, v4, s[0:3], 0 offen offset:8
	buffer_load_dword v4, v4, s[0:3], 0 offen offset:12
	s_waitcnt vmcnt(0)
	ds_write2_b64 v241, v[1:2], v[3:4] offset0:92 offset1:93
	;; [unrolled: 8-line block ×16, first 2 shown]
	ds_read2_b64 v[177:180], v255 offset1:1
	s_waitcnt lgkmcnt(0)
	v_cmp_neq_f64_e32 vcc_lo, 0, v[177:178]
	v_cmp_neq_f64_e64 s5, 0, v[179:180]
	s_or_b32 s5, vcc_lo, s5
	s_and_b32 exec_lo, exec_lo, s5
	s_cbranch_execz .LBB121_527
; %bb.522:
	v_cmp_ngt_f64_e64 s5, |v[177:178]|, |v[179:180]|
                                        ; implicit-def: $vgpr1_vgpr2
	s_and_saveexec_b32 s7, s5
	s_xor_b32 s5, exec_lo, s7
                                        ; implicit-def: $vgpr3_vgpr4
	s_cbranch_execz .LBB121_524
; %bb.523:
	v_div_scale_f64 v[1:2], null, v[179:180], v[179:180], v[177:178]
	v_div_scale_f64 v[183:184], vcc_lo, v[177:178], v[179:180], v[177:178]
	v_rcp_f64_e32 v[3:4], v[1:2]
	v_fma_f64 v[181:182], -v[1:2], v[3:4], 1.0
	v_fma_f64 v[3:4], v[3:4], v[181:182], v[3:4]
	v_fma_f64 v[181:182], -v[1:2], v[3:4], 1.0
	v_fma_f64 v[3:4], v[3:4], v[181:182], v[3:4]
	v_mul_f64 v[181:182], v[183:184], v[3:4]
	v_fma_f64 v[1:2], -v[1:2], v[181:182], v[183:184]
	v_div_fmas_f64 v[1:2], v[1:2], v[3:4], v[181:182]
	v_div_fixup_f64 v[1:2], v[1:2], v[179:180], v[177:178]
	v_fma_f64 v[3:4], v[177:178], v[1:2], v[179:180]
	v_div_scale_f64 v[177:178], null, v[3:4], v[3:4], 1.0
	v_rcp_f64_e32 v[179:180], v[177:178]
	v_fma_f64 v[181:182], -v[177:178], v[179:180], 1.0
	v_fma_f64 v[179:180], v[179:180], v[181:182], v[179:180]
	v_fma_f64 v[181:182], -v[177:178], v[179:180], 1.0
	v_fma_f64 v[179:180], v[179:180], v[181:182], v[179:180]
	v_div_scale_f64 v[181:182], vcc_lo, 1.0, v[3:4], 1.0
	v_mul_f64 v[183:184], v[181:182], v[179:180]
	v_fma_f64 v[177:178], -v[177:178], v[183:184], v[181:182]
	v_div_fmas_f64 v[177:178], v[177:178], v[179:180], v[183:184]
	v_div_fixup_f64 v[3:4], v[177:178], v[3:4], 1.0
                                        ; implicit-def: $vgpr177_vgpr178
	v_mul_f64 v[1:2], v[1:2], v[3:4]
	v_xor_b32_e32 v4, 0x80000000, v4
.LBB121_524:
	s_andn2_saveexec_b32 s5, s5
	s_cbranch_execz .LBB121_526
; %bb.525:
	v_div_scale_f64 v[1:2], null, v[177:178], v[177:178], v[179:180]
	v_div_scale_f64 v[183:184], vcc_lo, v[179:180], v[177:178], v[179:180]
	v_rcp_f64_e32 v[3:4], v[1:2]
	v_fma_f64 v[181:182], -v[1:2], v[3:4], 1.0
	v_fma_f64 v[3:4], v[3:4], v[181:182], v[3:4]
	v_fma_f64 v[181:182], -v[1:2], v[3:4], 1.0
	v_fma_f64 v[3:4], v[3:4], v[181:182], v[3:4]
	v_mul_f64 v[181:182], v[183:184], v[3:4]
	v_fma_f64 v[1:2], -v[1:2], v[181:182], v[183:184]
	v_div_fmas_f64 v[1:2], v[1:2], v[3:4], v[181:182]
	v_div_fixup_f64 v[3:4], v[1:2], v[177:178], v[179:180]
	v_fma_f64 v[1:2], v[179:180], v[3:4], v[177:178]
	v_div_scale_f64 v[177:178], null, v[1:2], v[1:2], 1.0
	v_rcp_f64_e32 v[179:180], v[177:178]
	v_fma_f64 v[181:182], -v[177:178], v[179:180], 1.0
	v_fma_f64 v[179:180], v[179:180], v[181:182], v[179:180]
	v_fma_f64 v[181:182], -v[177:178], v[179:180], 1.0
	v_fma_f64 v[179:180], v[179:180], v[181:182], v[179:180]
	v_div_scale_f64 v[181:182], vcc_lo, 1.0, v[1:2], 1.0
	v_mul_f64 v[183:184], v[181:182], v[179:180]
	v_fma_f64 v[177:178], -v[177:178], v[183:184], v[181:182]
	v_div_fmas_f64 v[177:178], v[177:178], v[179:180], v[183:184]
	v_div_fixup_f64 v[1:2], v[177:178], v[1:2], 1.0
	v_mul_f64 v[3:4], v[3:4], -v[1:2]
.LBB121_526:
	s_or_b32 exec_lo, exec_lo, s5
	ds_write2_b64 v255, v[1:2], v[3:4] offset1:1
.LBB121_527:
	s_or_b32 exec_lo, exec_lo, s6
	s_waitcnt lgkmcnt(0)
	s_barrier
	buffer_gl0_inv
	ds_read2_b64 v[177:180], v255 offset1:1
	s_mov_b32 s5, exec_lo
	v_cmpx_lt_u32_e32 44, v0
	s_cbranch_execz .LBB121_529
; %bb.528:
	s_clause 0xf
	buffer_load_dword v1, off, s[0:3], 0 offset:704
	buffer_load_dword v2, off, s[0:3], 0 offset:708
	;; [unrolled: 1-line block ×16, first 2 shown]
	s_waitcnt vmcnt(12) lgkmcnt(0)
	v_mul_f64 v[193:194], v[179:180], v[3:4]
	v_mul_f64 v[3:4], v[177:178], v[3:4]
	v_fma_f64 v[193:194], v[177:178], v[1:2], -v[193:194]
	v_fma_f64 v[195:196], v[179:180], v[1:2], v[3:4]
	buffer_store_dword v193, off, s[0:3], 0 offset:704
	buffer_store_dword v194, off, s[0:3], 0 offset:708
	buffer_store_dword v195, off, s[0:3], 0 offset:712
	buffer_store_dword v196, off, s[0:3], 0 offset:716
	ds_read2_b64 v[1:4], v241 offset0:90 offset1:91
	s_waitcnt lgkmcnt(0)
	v_mul_f64 v[197:198], v[3:4], v[195:196]
	v_fma_f64 v[197:198], v[1:2], v[193:194], -v[197:198]
	v_mul_f64 v[1:2], v[1:2], v[195:196]
	v_fma_f64 v[1:2], v[3:4], v[193:194], v[1:2]
	s_waitcnt vmcnt(10)
	v_add_f64 v[3:4], v[181:182], -v[197:198]
	s_waitcnt vmcnt(8)
	v_add_f64 v[1:2], v[183:184], -v[1:2]
	buffer_store_dword v3, off, s[0:3], 0 offset:720
	buffer_store_dword v4, off, s[0:3], 0 offset:724
	buffer_store_dword v1, off, s[0:3], 0 offset:728
	buffer_store_dword v2, off, s[0:3], 0 offset:732
	ds_read2_b64 v[1:4], v241 offset0:92 offset1:93
	s_waitcnt lgkmcnt(0)
	v_mul_f64 v[181:182], v[3:4], v[195:196]
	v_fma_f64 v[181:182], v[1:2], v[193:194], -v[181:182]
	v_mul_f64 v[1:2], v[1:2], v[195:196]
	v_fma_f64 v[1:2], v[3:4], v[193:194], v[1:2]
	s_waitcnt vmcnt(6)
	v_add_f64 v[3:4], v[185:186], -v[181:182]
	s_waitcnt vmcnt(4)
	v_add_f64 v[1:2], v[187:188], -v[1:2]
	;; [unrolled: 14-line block ×3, first 2 shown]
	buffer_store_dword v4, off, s[0:3], 0 offset:756
	buffer_store_dword v3, off, s[0:3], 0 offset:752
	buffer_store_dword v1, off, s[0:3], 0 offset:760
	buffer_store_dword v2, off, s[0:3], 0 offset:764
	ds_read2_b64 v[1:4], v241 offset0:96 offset1:97
	s_waitcnt lgkmcnt(0)
	v_mul_f64 v[181:182], v[3:4], v[195:196]
	v_fma_f64 v[181:182], v[1:2], v[193:194], -v[181:182]
	v_mul_f64 v[1:2], v[1:2], v[195:196]
	v_fma_f64 v[1:2], v[3:4], v[193:194], v[1:2]
	s_clause 0x3
	buffer_load_dword v3, off, s[0:3], 0 offset:768
	buffer_load_dword v4, off, s[0:3], 0 offset:772
	buffer_load_dword v183, off, s[0:3], 0 offset:776
	buffer_load_dword v184, off, s[0:3], 0 offset:780
	s_waitcnt vmcnt(2)
	v_add_f64 v[3:4], v[3:4], -v[181:182]
	s_waitcnt vmcnt(0)
	v_add_f64 v[1:2], v[183:184], -v[1:2]
	buffer_store_dword v4, off, s[0:3], 0 offset:772
	buffer_store_dword v3, off, s[0:3], 0 offset:768
	buffer_store_dword v2, off, s[0:3], 0 offset:780
	buffer_store_dword v1, off, s[0:3], 0 offset:776
	ds_read2_b64 v[1:4], v241 offset0:98 offset1:99
	s_waitcnt lgkmcnt(0)
	v_mul_f64 v[181:182], v[3:4], v[195:196]
	v_fma_f64 v[181:182], v[1:2], v[193:194], -v[181:182]
	v_mul_f64 v[1:2], v[1:2], v[195:196]
	v_fma_f64 v[1:2], v[3:4], v[193:194], v[1:2]
	s_clause 0x3
	buffer_load_dword v3, off, s[0:3], 0 offset:784
	buffer_load_dword v4, off, s[0:3], 0 offset:788
	buffer_load_dword v183, off, s[0:3], 0 offset:792
	buffer_load_dword v184, off, s[0:3], 0 offset:796
	s_waitcnt vmcnt(2)
	v_add_f64 v[3:4], v[3:4], -v[181:182]
	s_waitcnt vmcnt(0)
	v_add_f64 v[1:2], v[183:184], -v[1:2]
	;; [unrolled: 19-line block ×3, first 2 shown]
	buffer_store_dword v4, off, s[0:3], 0 offset:804
	buffer_store_dword v3, off, s[0:3], 0 offset:800
	;; [unrolled: 1-line block ×4, first 2 shown]
	ds_read2_b64 v[1:4], v241 offset0:102 offset1:103
	s_clause 0x3
	buffer_load_dword v181, off, s[0:3], 0 offset:704
	buffer_load_dword v182, off, s[0:3], 0 offset:708
	;; [unrolled: 1-line block ×4, first 2 shown]
	s_waitcnt vmcnt(0) lgkmcnt(0)
	v_mul_f64 v[185:186], v[3:4], v[183:184]
	v_fma_f64 v[185:186], v[1:2], v[181:182], -v[185:186]
	v_mul_f64 v[1:2], v[1:2], v[183:184]
	v_fma_f64 v[1:2], v[3:4], v[181:182], v[1:2]
	s_clause 0x1
	buffer_load_dword v4, off, s[0:3], 0 offset:820
	buffer_load_dword v3, off, s[0:3], 0 offset:816
	s_waitcnt vmcnt(0)
	v_add_f64 v[3:4], v[3:4], -v[185:186]
	s_clause 0x1
	buffer_load_dword v186, off, s[0:3], 0 offset:828
	buffer_load_dword v185, off, s[0:3], 0 offset:824
	s_waitcnt vmcnt(0)
	v_add_f64 v[1:2], v[185:186], -v[1:2]
	buffer_store_dword v4, off, s[0:3], 0 offset:820
	buffer_store_dword v3, off, s[0:3], 0 offset:816
	buffer_store_dword v2, off, s[0:3], 0 offset:828
	buffer_store_dword v1, off, s[0:3], 0 offset:824
	ds_read2_b64 v[1:4], v241 offset0:104 offset1:105
	s_waitcnt lgkmcnt(0)
	v_mul_f64 v[185:186], v[3:4], v[183:184]
	v_fma_f64 v[185:186], v[1:2], v[181:182], -v[185:186]
	v_mul_f64 v[1:2], v[1:2], v[183:184]
	v_fma_f64 v[1:2], v[3:4], v[181:182], v[1:2]
	s_clause 0x3
	buffer_load_dword v3, off, s[0:3], 0 offset:832
	buffer_load_dword v4, off, s[0:3], 0 offset:836
	buffer_load_dword v187, off, s[0:3], 0 offset:840
	buffer_load_dword v188, off, s[0:3], 0 offset:844
	s_waitcnt vmcnt(2)
	v_add_f64 v[3:4], v[3:4], -v[185:186]
	s_waitcnt vmcnt(0)
	v_add_f64 v[1:2], v[187:188], -v[1:2]
	buffer_store_dword v4, off, s[0:3], 0 offset:836
	buffer_store_dword v3, off, s[0:3], 0 offset:832
	buffer_store_dword v2, off, s[0:3], 0 offset:844
	buffer_store_dword v1, off, s[0:3], 0 offset:840
	ds_read2_b64 v[1:4], v241 offset0:106 offset1:107
	s_waitcnt lgkmcnt(0)
	v_mul_f64 v[185:186], v[3:4], v[183:184]
	v_fma_f64 v[185:186], v[1:2], v[181:182], -v[185:186]
	v_mul_f64 v[1:2], v[1:2], v[183:184]
	v_fma_f64 v[1:2], v[3:4], v[181:182], v[1:2]
	s_clause 0x3
	buffer_load_dword v3, off, s[0:3], 0 offset:848
	buffer_load_dword v4, off, s[0:3], 0 offset:852
	buffer_load_dword v187, off, s[0:3], 0 offset:856
	buffer_load_dword v188, off, s[0:3], 0 offset:860
	s_waitcnt vmcnt(2)
	v_add_f64 v[3:4], v[3:4], -v[185:186]
	;; [unrolled: 19-line block ×5, first 2 shown]
	s_waitcnt vmcnt(0)
	v_add_f64 v[1:2], v[181:182], -v[1:2]
	buffer_store_dword v4, off, s[0:3], 0 offset:900
	buffer_store_dword v3, off, s[0:3], 0 offset:896
	;; [unrolled: 1-line block ×4, first 2 shown]
	ds_read2_b64 v[1:4], v241 offset0:114 offset1:115
	s_clause 0x3
	buffer_load_dword v181, off, s[0:3], 0 offset:704
	buffer_load_dword v182, off, s[0:3], 0 offset:708
	;; [unrolled: 1-line block ×4, first 2 shown]
	s_waitcnt vmcnt(0) lgkmcnt(0)
	v_mul_f64 v[185:186], v[3:4], v[183:184]
	v_fma_f64 v[185:186], v[1:2], v[181:182], -v[185:186]
	v_mul_f64 v[1:2], v[1:2], v[183:184]
	v_fma_f64 v[1:2], v[3:4], v[181:182], v[1:2]
	s_clause 0x1
	buffer_load_dword v4, off, s[0:3], 0 offset:916
	buffer_load_dword v3, off, s[0:3], 0 offset:912
	s_waitcnt vmcnt(0)
	v_add_f64 v[3:4], v[3:4], -v[185:186]
	s_clause 0x1
	buffer_load_dword v186, off, s[0:3], 0 offset:924
	buffer_load_dword v185, off, s[0:3], 0 offset:920
	s_waitcnt vmcnt(0)
	v_add_f64 v[1:2], v[185:186], -v[1:2]
	buffer_store_dword v4, off, s[0:3], 0 offset:916
	buffer_store_dword v3, off, s[0:3], 0 offset:912
	buffer_store_dword v2, off, s[0:3], 0 offset:924
	buffer_store_dword v1, off, s[0:3], 0 offset:920
	ds_read2_b64 v[1:4], v241 offset0:116 offset1:117
	s_waitcnt lgkmcnt(0)
	v_mul_f64 v[185:186], v[3:4], v[183:184]
	v_fma_f64 v[185:186], v[1:2], v[181:182], -v[185:186]
	v_mul_f64 v[1:2], v[1:2], v[183:184]
	v_fma_f64 v[1:2], v[3:4], v[181:182], v[1:2]
	s_clause 0x3
	buffer_load_dword v3, off, s[0:3], 0 offset:928
	buffer_load_dword v4, off, s[0:3], 0 offset:932
	buffer_load_dword v187, off, s[0:3], 0 offset:936
	buffer_load_dword v188, off, s[0:3], 0 offset:940
	s_waitcnt vmcnt(2)
	v_add_f64 v[3:4], v[3:4], -v[185:186]
	s_waitcnt vmcnt(0)
	v_add_f64 v[1:2], v[187:188], -v[1:2]
	buffer_store_dword v4, off, s[0:3], 0 offset:932
	buffer_store_dword v3, off, s[0:3], 0 offset:928
	buffer_store_dword v2, off, s[0:3], 0 offset:940
	buffer_store_dword v1, off, s[0:3], 0 offset:936
	ds_read2_b64 v[1:4], v241 offset0:118 offset1:119
	s_waitcnt lgkmcnt(0)
	v_mul_f64 v[185:186], v[3:4], v[183:184]
	v_fma_f64 v[185:186], v[1:2], v[181:182], -v[185:186]
	v_mul_f64 v[1:2], v[1:2], v[183:184]
	v_fma_f64 v[1:2], v[3:4], v[181:182], v[1:2]
	s_clause 0x3
	buffer_load_dword v3, off, s[0:3], 0 offset:944
	buffer_load_dword v4, off, s[0:3], 0 offset:948
	buffer_load_dword v187, off, s[0:3], 0 offset:952
	buffer_load_dword v188, off, s[0:3], 0 offset:956
	s_waitcnt vmcnt(2)
	v_add_f64 v[3:4], v[3:4], -v[185:186]
	;; [unrolled: 19-line block ×3, first 2 shown]
	s_waitcnt vmcnt(0)
	v_add_f64 v[1:2], v[181:182], -v[1:2]
	buffer_store_dword v4, off, s[0:3], 0 offset:964
	buffer_store_dword v3, off, s[0:3], 0 offset:960
	;; [unrolled: 1-line block ×4, first 2 shown]
.LBB121_529:
	s_or_b32 exec_lo, exec_lo, s5
	s_mov_b32 s6, exec_lo
	s_waitcnt lgkmcnt(0)
	s_waitcnt_vscnt null, 0x0
	s_barrier
	buffer_gl0_inv
	v_cmpx_eq_u32_e32 45, v0
	s_cbranch_execz .LBB121_536
; %bb.530:
	v_mov_b32_e32 v4, s30
	s_clause 0x3
	buffer_load_dword v1, v4, s[0:3], 0 offen
	buffer_load_dword v2, v4, s[0:3], 0 offen offset:4
	buffer_load_dword v3, v4, s[0:3], 0 offen offset:8
	;; [unrolled: 1-line block ×3, first 2 shown]
	s_waitcnt vmcnt(0)
	ds_write2_b64 v255, v[1:2], v[3:4] offset1:1
	v_mov_b32_e32 v4, s29
	s_clause 0x3
	buffer_load_dword v1, v4, s[0:3], 0 offen
	buffer_load_dword v2, v4, s[0:3], 0 offen offset:4
	buffer_load_dword v3, v4, s[0:3], 0 offen offset:8
	buffer_load_dword v4, v4, s[0:3], 0 offen offset:12
	s_waitcnt vmcnt(0)
	ds_write2_b64 v241, v[1:2], v[3:4] offset0:92 offset1:93
	v_mov_b32_e32 v4, s28
	s_clause 0x3
	buffer_load_dword v1, v4, s[0:3], 0 offen
	buffer_load_dword v2, v4, s[0:3], 0 offen offset:4
	buffer_load_dword v3, v4, s[0:3], 0 offen offset:8
	buffer_load_dword v4, v4, s[0:3], 0 offen offset:12
	s_waitcnt vmcnt(0)
	ds_write2_b64 v241, v[1:2], v[3:4] offset0:94 offset1:95
	;; [unrolled: 8-line block ×15, first 2 shown]
	ds_read2_b64 v[181:184], v255 offset1:1
	s_waitcnt lgkmcnt(0)
	v_cmp_neq_f64_e32 vcc_lo, 0, v[181:182]
	v_cmp_neq_f64_e64 s5, 0, v[183:184]
	s_or_b32 s5, vcc_lo, s5
	s_and_b32 exec_lo, exec_lo, s5
	s_cbranch_execz .LBB121_536
; %bb.531:
	v_cmp_ngt_f64_e64 s5, |v[181:182]|, |v[183:184]|
                                        ; implicit-def: $vgpr1_vgpr2
	s_and_saveexec_b32 s7, s5
	s_xor_b32 s5, exec_lo, s7
                                        ; implicit-def: $vgpr3_vgpr4
	s_cbranch_execz .LBB121_533
; %bb.532:
	v_div_scale_f64 v[1:2], null, v[183:184], v[183:184], v[181:182]
	v_div_scale_f64 v[187:188], vcc_lo, v[181:182], v[183:184], v[181:182]
	v_rcp_f64_e32 v[3:4], v[1:2]
	v_fma_f64 v[185:186], -v[1:2], v[3:4], 1.0
	v_fma_f64 v[3:4], v[3:4], v[185:186], v[3:4]
	v_fma_f64 v[185:186], -v[1:2], v[3:4], 1.0
	v_fma_f64 v[3:4], v[3:4], v[185:186], v[3:4]
	v_mul_f64 v[185:186], v[187:188], v[3:4]
	v_fma_f64 v[1:2], -v[1:2], v[185:186], v[187:188]
	v_div_fmas_f64 v[1:2], v[1:2], v[3:4], v[185:186]
	v_div_fixup_f64 v[1:2], v[1:2], v[183:184], v[181:182]
	v_fma_f64 v[3:4], v[181:182], v[1:2], v[183:184]
	v_div_scale_f64 v[181:182], null, v[3:4], v[3:4], 1.0
	v_rcp_f64_e32 v[183:184], v[181:182]
	v_fma_f64 v[185:186], -v[181:182], v[183:184], 1.0
	v_fma_f64 v[183:184], v[183:184], v[185:186], v[183:184]
	v_fma_f64 v[185:186], -v[181:182], v[183:184], 1.0
	v_fma_f64 v[183:184], v[183:184], v[185:186], v[183:184]
	v_div_scale_f64 v[185:186], vcc_lo, 1.0, v[3:4], 1.0
	v_mul_f64 v[187:188], v[185:186], v[183:184]
	v_fma_f64 v[181:182], -v[181:182], v[187:188], v[185:186]
	v_div_fmas_f64 v[181:182], v[181:182], v[183:184], v[187:188]
	v_div_fixup_f64 v[3:4], v[181:182], v[3:4], 1.0
                                        ; implicit-def: $vgpr181_vgpr182
	v_mul_f64 v[1:2], v[1:2], v[3:4]
	v_xor_b32_e32 v4, 0x80000000, v4
.LBB121_533:
	s_andn2_saveexec_b32 s5, s5
	s_cbranch_execz .LBB121_535
; %bb.534:
	v_div_scale_f64 v[1:2], null, v[181:182], v[181:182], v[183:184]
	v_div_scale_f64 v[187:188], vcc_lo, v[183:184], v[181:182], v[183:184]
	v_rcp_f64_e32 v[3:4], v[1:2]
	v_fma_f64 v[185:186], -v[1:2], v[3:4], 1.0
	v_fma_f64 v[3:4], v[3:4], v[185:186], v[3:4]
	v_fma_f64 v[185:186], -v[1:2], v[3:4], 1.0
	v_fma_f64 v[3:4], v[3:4], v[185:186], v[3:4]
	v_mul_f64 v[185:186], v[187:188], v[3:4]
	v_fma_f64 v[1:2], -v[1:2], v[185:186], v[187:188]
	v_div_fmas_f64 v[1:2], v[1:2], v[3:4], v[185:186]
	v_div_fixup_f64 v[3:4], v[1:2], v[181:182], v[183:184]
	v_fma_f64 v[1:2], v[183:184], v[3:4], v[181:182]
	v_div_scale_f64 v[181:182], null, v[1:2], v[1:2], 1.0
	v_rcp_f64_e32 v[183:184], v[181:182]
	v_fma_f64 v[185:186], -v[181:182], v[183:184], 1.0
	v_fma_f64 v[183:184], v[183:184], v[185:186], v[183:184]
	v_fma_f64 v[185:186], -v[181:182], v[183:184], 1.0
	v_fma_f64 v[183:184], v[183:184], v[185:186], v[183:184]
	v_div_scale_f64 v[185:186], vcc_lo, 1.0, v[1:2], 1.0
	v_mul_f64 v[187:188], v[185:186], v[183:184]
	v_fma_f64 v[181:182], -v[181:182], v[187:188], v[185:186]
	v_div_fmas_f64 v[181:182], v[181:182], v[183:184], v[187:188]
	v_div_fixup_f64 v[1:2], v[181:182], v[1:2], 1.0
	v_mul_f64 v[3:4], v[3:4], -v[1:2]
.LBB121_535:
	s_or_b32 exec_lo, exec_lo, s5
	ds_write2_b64 v255, v[1:2], v[3:4] offset1:1
.LBB121_536:
	s_or_b32 exec_lo, exec_lo, s6
	s_waitcnt lgkmcnt(0)
	s_barrier
	buffer_gl0_inv
	ds_read2_b64 v[181:184], v255 offset1:1
	s_mov_b32 s5, exec_lo
	v_cmpx_lt_u32_e32 45, v0
	s_cbranch_execz .LBB121_538
; %bb.537:
	s_clause 0xf
	buffer_load_dword v1, off, s[0:3], 0 offset:720
	buffer_load_dword v2, off, s[0:3], 0 offset:724
	;; [unrolled: 1-line block ×16, first 2 shown]
	s_waitcnt vmcnt(12) lgkmcnt(0)
	v_mul_f64 v[197:198], v[183:184], v[3:4]
	v_mul_f64 v[3:4], v[181:182], v[3:4]
	v_fma_f64 v[197:198], v[181:182], v[1:2], -v[197:198]
	v_fma_f64 v[199:200], v[183:184], v[1:2], v[3:4]
	buffer_store_dword v197, off, s[0:3], 0 offset:720
	buffer_store_dword v198, off, s[0:3], 0 offset:724
	buffer_store_dword v199, off, s[0:3], 0 offset:728
	buffer_store_dword v200, off, s[0:3], 0 offset:732
	ds_read2_b64 v[1:4], v241 offset0:92 offset1:93
	s_waitcnt lgkmcnt(0)
	v_mul_f64 v[201:202], v[3:4], v[199:200]
	v_fma_f64 v[201:202], v[1:2], v[197:198], -v[201:202]
	v_mul_f64 v[1:2], v[1:2], v[199:200]
	v_fma_f64 v[1:2], v[3:4], v[197:198], v[1:2]
	s_waitcnt vmcnt(10)
	v_add_f64 v[3:4], v[185:186], -v[201:202]
	s_waitcnt vmcnt(8)
	v_add_f64 v[1:2], v[187:188], -v[1:2]
	buffer_store_dword v3, off, s[0:3], 0 offset:736
	buffer_store_dword v4, off, s[0:3], 0 offset:740
	buffer_store_dword v1, off, s[0:3], 0 offset:744
	buffer_store_dword v2, off, s[0:3], 0 offset:748
	ds_read2_b64 v[1:4], v241 offset0:94 offset1:95
	s_waitcnt lgkmcnt(0)
	v_mul_f64 v[185:186], v[3:4], v[199:200]
	v_fma_f64 v[185:186], v[1:2], v[197:198], -v[185:186]
	v_mul_f64 v[1:2], v[1:2], v[199:200]
	v_fma_f64 v[1:2], v[3:4], v[197:198], v[1:2]
	s_waitcnt vmcnt(6)
	v_add_f64 v[3:4], v[189:190], -v[185:186]
	s_waitcnt vmcnt(4)
	v_add_f64 v[1:2], v[191:192], -v[1:2]
	;; [unrolled: 14-line block ×3, first 2 shown]
	buffer_store_dword v4, off, s[0:3], 0 offset:772
	buffer_store_dword v3, off, s[0:3], 0 offset:768
	buffer_store_dword v1, off, s[0:3], 0 offset:776
	buffer_store_dword v2, off, s[0:3], 0 offset:780
	ds_read2_b64 v[1:4], v241 offset0:98 offset1:99
	s_waitcnt lgkmcnt(0)
	v_mul_f64 v[185:186], v[3:4], v[199:200]
	v_fma_f64 v[185:186], v[1:2], v[197:198], -v[185:186]
	v_mul_f64 v[1:2], v[1:2], v[199:200]
	v_fma_f64 v[1:2], v[3:4], v[197:198], v[1:2]
	s_clause 0x3
	buffer_load_dword v3, off, s[0:3], 0 offset:784
	buffer_load_dword v4, off, s[0:3], 0 offset:788
	buffer_load_dword v187, off, s[0:3], 0 offset:792
	buffer_load_dword v188, off, s[0:3], 0 offset:796
	s_waitcnt vmcnt(2)
	v_add_f64 v[3:4], v[3:4], -v[185:186]
	s_waitcnt vmcnt(0)
	v_add_f64 v[1:2], v[187:188], -v[1:2]
	buffer_store_dword v4, off, s[0:3], 0 offset:788
	buffer_store_dword v3, off, s[0:3], 0 offset:784
	buffer_store_dword v2, off, s[0:3], 0 offset:796
	buffer_store_dword v1, off, s[0:3], 0 offset:792
	ds_read2_b64 v[1:4], v241 offset0:100 offset1:101
	s_waitcnt lgkmcnt(0)
	v_mul_f64 v[185:186], v[3:4], v[199:200]
	v_fma_f64 v[185:186], v[1:2], v[197:198], -v[185:186]
	v_mul_f64 v[1:2], v[1:2], v[199:200]
	v_fma_f64 v[1:2], v[3:4], v[197:198], v[1:2]
	s_clause 0x3
	buffer_load_dword v3, off, s[0:3], 0 offset:800
	buffer_load_dword v4, off, s[0:3], 0 offset:804
	buffer_load_dword v187, off, s[0:3], 0 offset:808
	buffer_load_dword v188, off, s[0:3], 0 offset:812
	s_waitcnt vmcnt(2)
	v_add_f64 v[3:4], v[3:4], -v[185:186]
	s_waitcnt vmcnt(0)
	v_add_f64 v[1:2], v[187:188], -v[1:2]
	;; [unrolled: 19-line block ×3, first 2 shown]
	buffer_store_dword v4, off, s[0:3], 0 offset:820
	buffer_store_dword v3, off, s[0:3], 0 offset:816
	;; [unrolled: 1-line block ×4, first 2 shown]
	ds_read2_b64 v[1:4], v241 offset0:104 offset1:105
	s_clause 0x3
	buffer_load_dword v185, off, s[0:3], 0 offset:720
	buffer_load_dword v186, off, s[0:3], 0 offset:724
	;; [unrolled: 1-line block ×4, first 2 shown]
	s_waitcnt vmcnt(0) lgkmcnt(0)
	v_mul_f64 v[189:190], v[3:4], v[187:188]
	v_fma_f64 v[189:190], v[1:2], v[185:186], -v[189:190]
	v_mul_f64 v[1:2], v[1:2], v[187:188]
	v_fma_f64 v[1:2], v[3:4], v[185:186], v[1:2]
	s_clause 0x1
	buffer_load_dword v4, off, s[0:3], 0 offset:836
	buffer_load_dword v3, off, s[0:3], 0 offset:832
	s_waitcnt vmcnt(0)
	v_add_f64 v[3:4], v[3:4], -v[189:190]
	s_clause 0x1
	buffer_load_dword v190, off, s[0:3], 0 offset:844
	buffer_load_dword v189, off, s[0:3], 0 offset:840
	s_waitcnt vmcnt(0)
	v_add_f64 v[1:2], v[189:190], -v[1:2]
	buffer_store_dword v4, off, s[0:3], 0 offset:836
	buffer_store_dword v3, off, s[0:3], 0 offset:832
	buffer_store_dword v2, off, s[0:3], 0 offset:844
	buffer_store_dword v1, off, s[0:3], 0 offset:840
	ds_read2_b64 v[1:4], v241 offset0:106 offset1:107
	s_waitcnt lgkmcnt(0)
	v_mul_f64 v[189:190], v[3:4], v[187:188]
	v_fma_f64 v[189:190], v[1:2], v[185:186], -v[189:190]
	v_mul_f64 v[1:2], v[1:2], v[187:188]
	v_fma_f64 v[1:2], v[3:4], v[185:186], v[1:2]
	s_clause 0x3
	buffer_load_dword v3, off, s[0:3], 0 offset:848
	buffer_load_dword v4, off, s[0:3], 0 offset:852
	buffer_load_dword v191, off, s[0:3], 0 offset:856
	buffer_load_dword v192, off, s[0:3], 0 offset:860
	s_waitcnt vmcnt(2)
	v_add_f64 v[3:4], v[3:4], -v[189:190]
	s_waitcnt vmcnt(0)
	v_add_f64 v[1:2], v[191:192], -v[1:2]
	buffer_store_dword v4, off, s[0:3], 0 offset:852
	buffer_store_dword v3, off, s[0:3], 0 offset:848
	buffer_store_dword v2, off, s[0:3], 0 offset:860
	buffer_store_dword v1, off, s[0:3], 0 offset:856
	ds_read2_b64 v[1:4], v241 offset0:108 offset1:109
	s_waitcnt lgkmcnt(0)
	v_mul_f64 v[189:190], v[3:4], v[187:188]
	v_fma_f64 v[189:190], v[1:2], v[185:186], -v[189:190]
	v_mul_f64 v[1:2], v[1:2], v[187:188]
	v_fma_f64 v[1:2], v[3:4], v[185:186], v[1:2]
	s_clause 0x3
	buffer_load_dword v3, off, s[0:3], 0 offset:864
	buffer_load_dword v4, off, s[0:3], 0 offset:868
	buffer_load_dword v191, off, s[0:3], 0 offset:872
	buffer_load_dword v192, off, s[0:3], 0 offset:876
	s_waitcnt vmcnt(2)
	v_add_f64 v[3:4], v[3:4], -v[189:190]
	;; [unrolled: 19-line block ×5, first 2 shown]
	s_waitcnt vmcnt(0)
	v_add_f64 v[1:2], v[185:186], -v[1:2]
	buffer_store_dword v4, off, s[0:3], 0 offset:916
	buffer_store_dword v3, off, s[0:3], 0 offset:912
	buffer_store_dword v2, off, s[0:3], 0 offset:924
	buffer_store_dword v1, off, s[0:3], 0 offset:920
	ds_read2_b64 v[1:4], v241 offset0:116 offset1:117
	s_clause 0x3
	buffer_load_dword v185, off, s[0:3], 0 offset:720
	buffer_load_dword v186, off, s[0:3], 0 offset:724
	;; [unrolled: 1-line block ×4, first 2 shown]
	s_waitcnt vmcnt(0) lgkmcnt(0)
	v_mul_f64 v[189:190], v[3:4], v[187:188]
	v_fma_f64 v[189:190], v[1:2], v[185:186], -v[189:190]
	v_mul_f64 v[1:2], v[1:2], v[187:188]
	v_fma_f64 v[1:2], v[3:4], v[185:186], v[1:2]
	s_clause 0x1
	buffer_load_dword v4, off, s[0:3], 0 offset:932
	buffer_load_dword v3, off, s[0:3], 0 offset:928
	s_waitcnt vmcnt(0)
	v_add_f64 v[3:4], v[3:4], -v[189:190]
	s_clause 0x1
	buffer_load_dword v190, off, s[0:3], 0 offset:940
	buffer_load_dword v189, off, s[0:3], 0 offset:936
	s_waitcnt vmcnt(0)
	v_add_f64 v[1:2], v[189:190], -v[1:2]
	buffer_store_dword v4, off, s[0:3], 0 offset:932
	buffer_store_dword v3, off, s[0:3], 0 offset:928
	;; [unrolled: 1-line block ×4, first 2 shown]
	ds_read2_b64 v[1:4], v241 offset0:118 offset1:119
	s_waitcnt lgkmcnt(0)
	v_mul_f64 v[189:190], v[3:4], v[187:188]
	v_fma_f64 v[189:190], v[1:2], v[185:186], -v[189:190]
	v_mul_f64 v[1:2], v[1:2], v[187:188]
	v_fma_f64 v[1:2], v[3:4], v[185:186], v[1:2]
	s_clause 0x3
	buffer_load_dword v3, off, s[0:3], 0 offset:944
	buffer_load_dword v4, off, s[0:3], 0 offset:948
	;; [unrolled: 1-line block ×4, first 2 shown]
	s_waitcnt vmcnt(2)
	v_add_f64 v[3:4], v[3:4], -v[189:190]
	s_waitcnt vmcnt(0)
	v_add_f64 v[1:2], v[191:192], -v[1:2]
	buffer_store_dword v4, off, s[0:3], 0 offset:948
	buffer_store_dword v3, off, s[0:3], 0 offset:944
	;; [unrolled: 1-line block ×4, first 2 shown]
	ds_read2_b64 v[1:4], v241 offset0:120 offset1:121
	s_waitcnt lgkmcnt(0)
	v_mul_f64 v[189:190], v[3:4], v[187:188]
	v_fma_f64 v[189:190], v[1:2], v[185:186], -v[189:190]
	v_mul_f64 v[1:2], v[1:2], v[187:188]
	v_fma_f64 v[1:2], v[3:4], v[185:186], v[1:2]
	s_clause 0x3
	buffer_load_dword v3, off, s[0:3], 0 offset:960
	buffer_load_dword v4, off, s[0:3], 0 offset:964
	;; [unrolled: 1-line block ×4, first 2 shown]
	s_waitcnt vmcnt(2)
	v_add_f64 v[3:4], v[3:4], -v[189:190]
	s_waitcnt vmcnt(0)
	v_add_f64 v[1:2], v[185:186], -v[1:2]
	buffer_store_dword v4, off, s[0:3], 0 offset:964
	buffer_store_dword v3, off, s[0:3], 0 offset:960
	;; [unrolled: 1-line block ×4, first 2 shown]
.LBB121_538:
	s_or_b32 exec_lo, exec_lo, s5
	s_mov_b32 s6, exec_lo
	s_waitcnt lgkmcnt(0)
	s_waitcnt_vscnt null, 0x0
	s_barrier
	buffer_gl0_inv
	v_cmpx_eq_u32_e32 46, v0
	s_cbranch_execz .LBB121_545
; %bb.539:
	v_mov_b32_e32 v4, s29
	s_clause 0x3
	buffer_load_dword v1, v4, s[0:3], 0 offen
	buffer_load_dword v2, v4, s[0:3], 0 offen offset:4
	buffer_load_dword v3, v4, s[0:3], 0 offen offset:8
	;; [unrolled: 1-line block ×3, first 2 shown]
	s_waitcnt vmcnt(0)
	ds_write2_b64 v255, v[1:2], v[3:4] offset1:1
	v_mov_b32_e32 v4, s28
	s_clause 0x3
	buffer_load_dword v1, v4, s[0:3], 0 offen
	buffer_load_dword v2, v4, s[0:3], 0 offen offset:4
	buffer_load_dword v3, v4, s[0:3], 0 offen offset:8
	buffer_load_dword v4, v4, s[0:3], 0 offen offset:12
	s_waitcnt vmcnt(0)
	ds_write2_b64 v241, v[1:2], v[3:4] offset0:94 offset1:95
	v_mov_b32_e32 v4, s27
	s_clause 0x3
	buffer_load_dword v1, v4, s[0:3], 0 offen
	buffer_load_dword v2, v4, s[0:3], 0 offen offset:4
	buffer_load_dword v3, v4, s[0:3], 0 offen offset:8
	buffer_load_dword v4, v4, s[0:3], 0 offen offset:12
	s_waitcnt vmcnt(0)
	ds_write2_b64 v241, v[1:2], v[3:4] offset0:96 offset1:97
	;; [unrolled: 8-line block ×14, first 2 shown]
	ds_read2_b64 v[185:188], v255 offset1:1
	s_waitcnt lgkmcnt(0)
	v_cmp_neq_f64_e32 vcc_lo, 0, v[185:186]
	v_cmp_neq_f64_e64 s5, 0, v[187:188]
	s_or_b32 s5, vcc_lo, s5
	s_and_b32 exec_lo, exec_lo, s5
	s_cbranch_execz .LBB121_545
; %bb.540:
	v_cmp_ngt_f64_e64 s5, |v[185:186]|, |v[187:188]|
                                        ; implicit-def: $vgpr1_vgpr2
	s_and_saveexec_b32 s7, s5
	s_xor_b32 s5, exec_lo, s7
                                        ; implicit-def: $vgpr3_vgpr4
	s_cbranch_execz .LBB121_542
; %bb.541:
	v_div_scale_f64 v[1:2], null, v[187:188], v[187:188], v[185:186]
	v_div_scale_f64 v[191:192], vcc_lo, v[185:186], v[187:188], v[185:186]
	v_rcp_f64_e32 v[3:4], v[1:2]
	v_fma_f64 v[189:190], -v[1:2], v[3:4], 1.0
	v_fma_f64 v[3:4], v[3:4], v[189:190], v[3:4]
	v_fma_f64 v[189:190], -v[1:2], v[3:4], 1.0
	v_fma_f64 v[3:4], v[3:4], v[189:190], v[3:4]
	v_mul_f64 v[189:190], v[191:192], v[3:4]
	v_fma_f64 v[1:2], -v[1:2], v[189:190], v[191:192]
	v_div_fmas_f64 v[1:2], v[1:2], v[3:4], v[189:190]
	v_div_fixup_f64 v[1:2], v[1:2], v[187:188], v[185:186]
	v_fma_f64 v[3:4], v[185:186], v[1:2], v[187:188]
	v_div_scale_f64 v[185:186], null, v[3:4], v[3:4], 1.0
	v_rcp_f64_e32 v[187:188], v[185:186]
	v_fma_f64 v[189:190], -v[185:186], v[187:188], 1.0
	v_fma_f64 v[187:188], v[187:188], v[189:190], v[187:188]
	v_fma_f64 v[189:190], -v[185:186], v[187:188], 1.0
	v_fma_f64 v[187:188], v[187:188], v[189:190], v[187:188]
	v_div_scale_f64 v[189:190], vcc_lo, 1.0, v[3:4], 1.0
	v_mul_f64 v[191:192], v[189:190], v[187:188]
	v_fma_f64 v[185:186], -v[185:186], v[191:192], v[189:190]
	v_div_fmas_f64 v[185:186], v[185:186], v[187:188], v[191:192]
	v_div_fixup_f64 v[3:4], v[185:186], v[3:4], 1.0
                                        ; implicit-def: $vgpr185_vgpr186
	v_mul_f64 v[1:2], v[1:2], v[3:4]
	v_xor_b32_e32 v4, 0x80000000, v4
.LBB121_542:
	s_andn2_saveexec_b32 s5, s5
	s_cbranch_execz .LBB121_544
; %bb.543:
	v_div_scale_f64 v[1:2], null, v[185:186], v[185:186], v[187:188]
	v_div_scale_f64 v[191:192], vcc_lo, v[187:188], v[185:186], v[187:188]
	v_rcp_f64_e32 v[3:4], v[1:2]
	v_fma_f64 v[189:190], -v[1:2], v[3:4], 1.0
	v_fma_f64 v[3:4], v[3:4], v[189:190], v[3:4]
	v_fma_f64 v[189:190], -v[1:2], v[3:4], 1.0
	v_fma_f64 v[3:4], v[3:4], v[189:190], v[3:4]
	v_mul_f64 v[189:190], v[191:192], v[3:4]
	v_fma_f64 v[1:2], -v[1:2], v[189:190], v[191:192]
	v_div_fmas_f64 v[1:2], v[1:2], v[3:4], v[189:190]
	v_div_fixup_f64 v[3:4], v[1:2], v[185:186], v[187:188]
	v_fma_f64 v[1:2], v[187:188], v[3:4], v[185:186]
	v_div_scale_f64 v[185:186], null, v[1:2], v[1:2], 1.0
	v_rcp_f64_e32 v[187:188], v[185:186]
	v_fma_f64 v[189:190], -v[185:186], v[187:188], 1.0
	v_fma_f64 v[187:188], v[187:188], v[189:190], v[187:188]
	v_fma_f64 v[189:190], -v[185:186], v[187:188], 1.0
	v_fma_f64 v[187:188], v[187:188], v[189:190], v[187:188]
	v_div_scale_f64 v[189:190], vcc_lo, 1.0, v[1:2], 1.0
	v_mul_f64 v[191:192], v[189:190], v[187:188]
	v_fma_f64 v[185:186], -v[185:186], v[191:192], v[189:190]
	v_div_fmas_f64 v[185:186], v[185:186], v[187:188], v[191:192]
	v_div_fixup_f64 v[1:2], v[185:186], v[1:2], 1.0
	v_mul_f64 v[3:4], v[3:4], -v[1:2]
.LBB121_544:
	s_or_b32 exec_lo, exec_lo, s5
	ds_write2_b64 v255, v[1:2], v[3:4] offset1:1
.LBB121_545:
	s_or_b32 exec_lo, exec_lo, s6
	s_waitcnt lgkmcnt(0)
	s_barrier
	buffer_gl0_inv
	ds_read2_b64 v[185:188], v255 offset1:1
	s_mov_b32 s5, exec_lo
	v_cmpx_lt_u32_e32 46, v0
	s_cbranch_execz .LBB121_547
; %bb.546:
	s_clause 0xf
	buffer_load_dword v1, off, s[0:3], 0 offset:736
	buffer_load_dword v2, off, s[0:3], 0 offset:740
	;; [unrolled: 1-line block ×16, first 2 shown]
	s_waitcnt vmcnt(12) lgkmcnt(0)
	v_mul_f64 v[201:202], v[187:188], v[3:4]
	v_mul_f64 v[3:4], v[185:186], v[3:4]
	v_fma_f64 v[201:202], v[185:186], v[1:2], -v[201:202]
	v_fma_f64 v[203:204], v[187:188], v[1:2], v[3:4]
	buffer_store_dword v201, off, s[0:3], 0 offset:736
	buffer_store_dword v202, off, s[0:3], 0 offset:740
	buffer_store_dword v203, off, s[0:3], 0 offset:744
	buffer_store_dword v204, off, s[0:3], 0 offset:748
	ds_read2_b64 v[1:4], v241 offset0:94 offset1:95
	s_waitcnt lgkmcnt(0)
	v_mul_f64 v[205:206], v[3:4], v[203:204]
	v_fma_f64 v[205:206], v[1:2], v[201:202], -v[205:206]
	v_mul_f64 v[1:2], v[1:2], v[203:204]
	v_fma_f64 v[1:2], v[3:4], v[201:202], v[1:2]
	s_waitcnt vmcnt(10)
	v_add_f64 v[3:4], v[189:190], -v[205:206]
	s_waitcnt vmcnt(8)
	v_add_f64 v[1:2], v[191:192], -v[1:2]
	buffer_store_dword v3, off, s[0:3], 0 offset:752
	buffer_store_dword v4, off, s[0:3], 0 offset:756
	buffer_store_dword v1, off, s[0:3], 0 offset:760
	buffer_store_dword v2, off, s[0:3], 0 offset:764
	ds_read2_b64 v[1:4], v241 offset0:96 offset1:97
	s_waitcnt lgkmcnt(0)
	v_mul_f64 v[189:190], v[3:4], v[203:204]
	v_fma_f64 v[189:190], v[1:2], v[201:202], -v[189:190]
	v_mul_f64 v[1:2], v[1:2], v[203:204]
	v_fma_f64 v[1:2], v[3:4], v[201:202], v[1:2]
	s_waitcnt vmcnt(6)
	v_add_f64 v[3:4], v[193:194], -v[189:190]
	s_waitcnt vmcnt(4)
	v_add_f64 v[1:2], v[195:196], -v[1:2]
	;; [unrolled: 14-line block ×3, first 2 shown]
	buffer_store_dword v4, off, s[0:3], 0 offset:788
	buffer_store_dword v3, off, s[0:3], 0 offset:784
	buffer_store_dword v1, off, s[0:3], 0 offset:792
	buffer_store_dword v2, off, s[0:3], 0 offset:796
	ds_read2_b64 v[1:4], v241 offset0:100 offset1:101
	s_waitcnt lgkmcnt(0)
	v_mul_f64 v[189:190], v[3:4], v[203:204]
	v_fma_f64 v[189:190], v[1:2], v[201:202], -v[189:190]
	v_mul_f64 v[1:2], v[1:2], v[203:204]
	v_fma_f64 v[1:2], v[3:4], v[201:202], v[1:2]
	s_clause 0x3
	buffer_load_dword v3, off, s[0:3], 0 offset:800
	buffer_load_dword v4, off, s[0:3], 0 offset:804
	buffer_load_dword v191, off, s[0:3], 0 offset:808
	buffer_load_dword v192, off, s[0:3], 0 offset:812
	s_waitcnt vmcnt(2)
	v_add_f64 v[3:4], v[3:4], -v[189:190]
	s_waitcnt vmcnt(0)
	v_add_f64 v[1:2], v[191:192], -v[1:2]
	buffer_store_dword v4, off, s[0:3], 0 offset:804
	buffer_store_dword v3, off, s[0:3], 0 offset:800
	buffer_store_dword v2, off, s[0:3], 0 offset:812
	buffer_store_dword v1, off, s[0:3], 0 offset:808
	ds_read2_b64 v[1:4], v241 offset0:102 offset1:103
	s_waitcnt lgkmcnt(0)
	v_mul_f64 v[189:190], v[3:4], v[203:204]
	v_fma_f64 v[189:190], v[1:2], v[201:202], -v[189:190]
	v_mul_f64 v[1:2], v[1:2], v[203:204]
	v_fma_f64 v[1:2], v[3:4], v[201:202], v[1:2]
	s_clause 0x3
	buffer_load_dword v3, off, s[0:3], 0 offset:816
	buffer_load_dword v4, off, s[0:3], 0 offset:820
	buffer_load_dword v191, off, s[0:3], 0 offset:824
	buffer_load_dword v192, off, s[0:3], 0 offset:828
	s_waitcnt vmcnt(2)
	v_add_f64 v[3:4], v[3:4], -v[189:190]
	s_waitcnt vmcnt(0)
	v_add_f64 v[1:2], v[191:192], -v[1:2]
	;; [unrolled: 19-line block ×3, first 2 shown]
	buffer_store_dword v4, off, s[0:3], 0 offset:836
	buffer_store_dword v3, off, s[0:3], 0 offset:832
	buffer_store_dword v2, off, s[0:3], 0 offset:844
	buffer_store_dword v1, off, s[0:3], 0 offset:840
	ds_read2_b64 v[1:4], v241 offset0:106 offset1:107
	s_clause 0x3
	buffer_load_dword v189, off, s[0:3], 0 offset:736
	buffer_load_dword v190, off, s[0:3], 0 offset:740
	;; [unrolled: 1-line block ×4, first 2 shown]
	s_waitcnt vmcnt(0) lgkmcnt(0)
	v_mul_f64 v[193:194], v[3:4], v[191:192]
	v_fma_f64 v[193:194], v[1:2], v[189:190], -v[193:194]
	v_mul_f64 v[1:2], v[1:2], v[191:192]
	v_fma_f64 v[1:2], v[3:4], v[189:190], v[1:2]
	s_clause 0x1
	buffer_load_dword v4, off, s[0:3], 0 offset:852
	buffer_load_dword v3, off, s[0:3], 0 offset:848
	s_waitcnt vmcnt(0)
	v_add_f64 v[3:4], v[3:4], -v[193:194]
	s_clause 0x1
	buffer_load_dword v194, off, s[0:3], 0 offset:860
	buffer_load_dword v193, off, s[0:3], 0 offset:856
	s_waitcnt vmcnt(0)
	v_add_f64 v[1:2], v[193:194], -v[1:2]
	buffer_store_dword v4, off, s[0:3], 0 offset:852
	buffer_store_dword v3, off, s[0:3], 0 offset:848
	buffer_store_dword v2, off, s[0:3], 0 offset:860
	buffer_store_dword v1, off, s[0:3], 0 offset:856
	ds_read2_b64 v[1:4], v241 offset0:108 offset1:109
	s_waitcnt lgkmcnt(0)
	v_mul_f64 v[193:194], v[3:4], v[191:192]
	v_fma_f64 v[193:194], v[1:2], v[189:190], -v[193:194]
	v_mul_f64 v[1:2], v[1:2], v[191:192]
	v_fma_f64 v[1:2], v[3:4], v[189:190], v[1:2]
	s_clause 0x3
	buffer_load_dword v3, off, s[0:3], 0 offset:864
	buffer_load_dword v4, off, s[0:3], 0 offset:868
	buffer_load_dword v195, off, s[0:3], 0 offset:872
	buffer_load_dword v196, off, s[0:3], 0 offset:876
	s_waitcnt vmcnt(2)
	v_add_f64 v[3:4], v[3:4], -v[193:194]
	s_waitcnt vmcnt(0)
	v_add_f64 v[1:2], v[195:196], -v[1:2]
	buffer_store_dword v4, off, s[0:3], 0 offset:868
	buffer_store_dword v3, off, s[0:3], 0 offset:864
	buffer_store_dword v2, off, s[0:3], 0 offset:876
	buffer_store_dword v1, off, s[0:3], 0 offset:872
	ds_read2_b64 v[1:4], v241 offset0:110 offset1:111
	s_waitcnt lgkmcnt(0)
	v_mul_f64 v[193:194], v[3:4], v[191:192]
	v_fma_f64 v[193:194], v[1:2], v[189:190], -v[193:194]
	v_mul_f64 v[1:2], v[1:2], v[191:192]
	v_fma_f64 v[1:2], v[3:4], v[189:190], v[1:2]
	s_clause 0x3
	buffer_load_dword v3, off, s[0:3], 0 offset:880
	buffer_load_dword v4, off, s[0:3], 0 offset:884
	buffer_load_dword v195, off, s[0:3], 0 offset:888
	buffer_load_dword v196, off, s[0:3], 0 offset:892
	s_waitcnt vmcnt(2)
	v_add_f64 v[3:4], v[3:4], -v[193:194]
	;; [unrolled: 19-line block ×5, first 2 shown]
	s_waitcnt vmcnt(0)
	v_add_f64 v[1:2], v[189:190], -v[1:2]
	buffer_store_dword v4, off, s[0:3], 0 offset:932
	buffer_store_dword v3, off, s[0:3], 0 offset:928
	;; [unrolled: 1-line block ×4, first 2 shown]
	ds_read2_b64 v[1:4], v241 offset0:118 offset1:119
	s_clause 0x3
	buffer_load_dword v189, off, s[0:3], 0 offset:736
	buffer_load_dword v190, off, s[0:3], 0 offset:740
	;; [unrolled: 1-line block ×4, first 2 shown]
	s_waitcnt vmcnt(0) lgkmcnt(0)
	v_mul_f64 v[193:194], v[3:4], v[191:192]
	v_fma_f64 v[193:194], v[1:2], v[189:190], -v[193:194]
	v_mul_f64 v[1:2], v[1:2], v[191:192]
	v_fma_f64 v[1:2], v[3:4], v[189:190], v[1:2]
	s_clause 0x1
	buffer_load_dword v4, off, s[0:3], 0 offset:948
	buffer_load_dword v3, off, s[0:3], 0 offset:944
	s_waitcnt vmcnt(0)
	v_add_f64 v[3:4], v[3:4], -v[193:194]
	s_clause 0x1
	buffer_load_dword v194, off, s[0:3], 0 offset:956
	buffer_load_dword v193, off, s[0:3], 0 offset:952
	s_waitcnt vmcnt(0)
	v_add_f64 v[1:2], v[193:194], -v[1:2]
	buffer_store_dword v4, off, s[0:3], 0 offset:948
	buffer_store_dword v3, off, s[0:3], 0 offset:944
	;; [unrolled: 1-line block ×4, first 2 shown]
	ds_read2_b64 v[1:4], v241 offset0:120 offset1:121
	s_waitcnt lgkmcnt(0)
	v_mul_f64 v[193:194], v[3:4], v[191:192]
	v_fma_f64 v[193:194], v[1:2], v[189:190], -v[193:194]
	v_mul_f64 v[1:2], v[1:2], v[191:192]
	v_fma_f64 v[1:2], v[3:4], v[189:190], v[1:2]
	s_clause 0x3
	buffer_load_dword v3, off, s[0:3], 0 offset:960
	buffer_load_dword v4, off, s[0:3], 0 offset:964
	;; [unrolled: 1-line block ×4, first 2 shown]
	s_waitcnt vmcnt(2)
	v_add_f64 v[3:4], v[3:4], -v[193:194]
	s_waitcnt vmcnt(0)
	v_add_f64 v[1:2], v[189:190], -v[1:2]
	buffer_store_dword v4, off, s[0:3], 0 offset:964
	buffer_store_dword v3, off, s[0:3], 0 offset:960
	;; [unrolled: 1-line block ×4, first 2 shown]
.LBB121_547:
	s_or_b32 exec_lo, exec_lo, s5
	s_mov_b32 s6, exec_lo
	s_waitcnt lgkmcnt(0)
	s_waitcnt_vscnt null, 0x0
	s_barrier
	buffer_gl0_inv
	v_cmpx_eq_u32_e32 47, v0
	s_cbranch_execz .LBB121_554
; %bb.548:
	v_mov_b32_e32 v4, s28
	s_clause 0x3
	buffer_load_dword v1, v4, s[0:3], 0 offen
	buffer_load_dword v2, v4, s[0:3], 0 offen offset:4
	buffer_load_dword v3, v4, s[0:3], 0 offen offset:8
	;; [unrolled: 1-line block ×3, first 2 shown]
	s_waitcnt vmcnt(0)
	ds_write2_b64 v255, v[1:2], v[3:4] offset1:1
	v_mov_b32_e32 v4, s27
	s_clause 0x3
	buffer_load_dword v1, v4, s[0:3], 0 offen
	buffer_load_dword v2, v4, s[0:3], 0 offen offset:4
	buffer_load_dword v3, v4, s[0:3], 0 offen offset:8
	buffer_load_dword v4, v4, s[0:3], 0 offen offset:12
	s_waitcnt vmcnt(0)
	ds_write2_b64 v241, v[1:2], v[3:4] offset0:96 offset1:97
	v_mov_b32_e32 v4, s26
	s_clause 0x3
	buffer_load_dword v1, v4, s[0:3], 0 offen
	buffer_load_dword v2, v4, s[0:3], 0 offen offset:4
	buffer_load_dword v3, v4, s[0:3], 0 offen offset:8
	buffer_load_dword v4, v4, s[0:3], 0 offen offset:12
	s_waitcnt vmcnt(0)
	ds_write2_b64 v241, v[1:2], v[3:4] offset0:98 offset1:99
	;; [unrolled: 8-line block ×13, first 2 shown]
	ds_read2_b64 v[189:192], v255 offset1:1
	s_waitcnt lgkmcnt(0)
	v_cmp_neq_f64_e32 vcc_lo, 0, v[189:190]
	v_cmp_neq_f64_e64 s5, 0, v[191:192]
	s_or_b32 s5, vcc_lo, s5
	s_and_b32 exec_lo, exec_lo, s5
	s_cbranch_execz .LBB121_554
; %bb.549:
	v_cmp_ngt_f64_e64 s5, |v[189:190]|, |v[191:192]|
                                        ; implicit-def: $vgpr1_vgpr2
	s_and_saveexec_b32 s7, s5
	s_xor_b32 s5, exec_lo, s7
                                        ; implicit-def: $vgpr3_vgpr4
	s_cbranch_execz .LBB121_551
; %bb.550:
	v_div_scale_f64 v[1:2], null, v[191:192], v[191:192], v[189:190]
	v_div_scale_f64 v[195:196], vcc_lo, v[189:190], v[191:192], v[189:190]
	v_rcp_f64_e32 v[3:4], v[1:2]
	v_fma_f64 v[193:194], -v[1:2], v[3:4], 1.0
	v_fma_f64 v[3:4], v[3:4], v[193:194], v[3:4]
	v_fma_f64 v[193:194], -v[1:2], v[3:4], 1.0
	v_fma_f64 v[3:4], v[3:4], v[193:194], v[3:4]
	v_mul_f64 v[193:194], v[195:196], v[3:4]
	v_fma_f64 v[1:2], -v[1:2], v[193:194], v[195:196]
	v_div_fmas_f64 v[1:2], v[1:2], v[3:4], v[193:194]
	v_div_fixup_f64 v[1:2], v[1:2], v[191:192], v[189:190]
	v_fma_f64 v[3:4], v[189:190], v[1:2], v[191:192]
	v_div_scale_f64 v[189:190], null, v[3:4], v[3:4], 1.0
	v_rcp_f64_e32 v[191:192], v[189:190]
	v_fma_f64 v[193:194], -v[189:190], v[191:192], 1.0
	v_fma_f64 v[191:192], v[191:192], v[193:194], v[191:192]
	v_fma_f64 v[193:194], -v[189:190], v[191:192], 1.0
	v_fma_f64 v[191:192], v[191:192], v[193:194], v[191:192]
	v_div_scale_f64 v[193:194], vcc_lo, 1.0, v[3:4], 1.0
	v_mul_f64 v[195:196], v[193:194], v[191:192]
	v_fma_f64 v[189:190], -v[189:190], v[195:196], v[193:194]
	v_div_fmas_f64 v[189:190], v[189:190], v[191:192], v[195:196]
	v_div_fixup_f64 v[3:4], v[189:190], v[3:4], 1.0
                                        ; implicit-def: $vgpr189_vgpr190
	v_mul_f64 v[1:2], v[1:2], v[3:4]
	v_xor_b32_e32 v4, 0x80000000, v4
.LBB121_551:
	s_andn2_saveexec_b32 s5, s5
	s_cbranch_execz .LBB121_553
; %bb.552:
	v_div_scale_f64 v[1:2], null, v[189:190], v[189:190], v[191:192]
	v_div_scale_f64 v[195:196], vcc_lo, v[191:192], v[189:190], v[191:192]
	v_rcp_f64_e32 v[3:4], v[1:2]
	v_fma_f64 v[193:194], -v[1:2], v[3:4], 1.0
	v_fma_f64 v[3:4], v[3:4], v[193:194], v[3:4]
	v_fma_f64 v[193:194], -v[1:2], v[3:4], 1.0
	v_fma_f64 v[3:4], v[3:4], v[193:194], v[3:4]
	v_mul_f64 v[193:194], v[195:196], v[3:4]
	v_fma_f64 v[1:2], -v[1:2], v[193:194], v[195:196]
	v_div_fmas_f64 v[1:2], v[1:2], v[3:4], v[193:194]
	v_div_fixup_f64 v[3:4], v[1:2], v[189:190], v[191:192]
	v_fma_f64 v[1:2], v[191:192], v[3:4], v[189:190]
	v_div_scale_f64 v[189:190], null, v[1:2], v[1:2], 1.0
	v_rcp_f64_e32 v[191:192], v[189:190]
	v_fma_f64 v[193:194], -v[189:190], v[191:192], 1.0
	v_fma_f64 v[191:192], v[191:192], v[193:194], v[191:192]
	v_fma_f64 v[193:194], -v[189:190], v[191:192], 1.0
	v_fma_f64 v[191:192], v[191:192], v[193:194], v[191:192]
	v_div_scale_f64 v[193:194], vcc_lo, 1.0, v[1:2], 1.0
	v_mul_f64 v[195:196], v[193:194], v[191:192]
	v_fma_f64 v[189:190], -v[189:190], v[195:196], v[193:194]
	v_div_fmas_f64 v[189:190], v[189:190], v[191:192], v[195:196]
	v_div_fixup_f64 v[1:2], v[189:190], v[1:2], 1.0
	v_mul_f64 v[3:4], v[3:4], -v[1:2]
.LBB121_553:
	s_or_b32 exec_lo, exec_lo, s5
	ds_write2_b64 v255, v[1:2], v[3:4] offset1:1
.LBB121_554:
	s_or_b32 exec_lo, exec_lo, s6
	s_waitcnt lgkmcnt(0)
	s_barrier
	buffer_gl0_inv
	ds_read2_b64 v[189:192], v255 offset1:1
	s_mov_b32 s5, exec_lo
	v_cmpx_lt_u32_e32 47, v0
	s_cbranch_execz .LBB121_556
; %bb.555:
	s_clause 0xf
	buffer_load_dword v1, off, s[0:3], 0 offset:752
	buffer_load_dword v2, off, s[0:3], 0 offset:756
	buffer_load_dword v3, off, s[0:3], 0 offset:760
	buffer_load_dword v4, off, s[0:3], 0 offset:764
	buffer_load_dword v193, off, s[0:3], 0 offset:768
	buffer_load_dword v194, off, s[0:3], 0 offset:772
	buffer_load_dword v195, off, s[0:3], 0 offset:776
	buffer_load_dword v196, off, s[0:3], 0 offset:780
	buffer_load_dword v197, off, s[0:3], 0 offset:784
	buffer_load_dword v198, off, s[0:3], 0 offset:788
	buffer_load_dword v199, off, s[0:3], 0 offset:792
	buffer_load_dword v200, off, s[0:3], 0 offset:796
	buffer_load_dword v201, off, s[0:3], 0 offset:800
	buffer_load_dword v202, off, s[0:3], 0 offset:804
	buffer_load_dword v203, off, s[0:3], 0 offset:808
	buffer_load_dword v204, off, s[0:3], 0 offset:812
	s_waitcnt vmcnt(12) lgkmcnt(0)
	v_mul_f64 v[205:206], v[191:192], v[3:4]
	v_mul_f64 v[3:4], v[189:190], v[3:4]
	v_fma_f64 v[205:206], v[189:190], v[1:2], -v[205:206]
	v_fma_f64 v[207:208], v[191:192], v[1:2], v[3:4]
	buffer_store_dword v205, off, s[0:3], 0 offset:752
	buffer_store_dword v206, off, s[0:3], 0 offset:756
	buffer_store_dword v207, off, s[0:3], 0 offset:760
	buffer_store_dword v208, off, s[0:3], 0 offset:764
	ds_read2_b64 v[1:4], v241 offset0:96 offset1:97
	s_waitcnt lgkmcnt(0)
	v_mul_f64 v[209:210], v[3:4], v[207:208]
	v_fma_f64 v[209:210], v[1:2], v[205:206], -v[209:210]
	v_mul_f64 v[1:2], v[1:2], v[207:208]
	v_fma_f64 v[1:2], v[3:4], v[205:206], v[1:2]
	s_waitcnt vmcnt(10)
	v_add_f64 v[3:4], v[193:194], -v[209:210]
	s_waitcnt vmcnt(8)
	v_add_f64 v[1:2], v[195:196], -v[1:2]
	buffer_store_dword v3, off, s[0:3], 0 offset:768
	buffer_store_dword v4, off, s[0:3], 0 offset:772
	buffer_store_dword v1, off, s[0:3], 0 offset:776
	buffer_store_dword v2, off, s[0:3], 0 offset:780
	ds_read2_b64 v[1:4], v241 offset0:98 offset1:99
	s_waitcnt lgkmcnt(0)
	v_mul_f64 v[193:194], v[3:4], v[207:208]
	v_fma_f64 v[193:194], v[1:2], v[205:206], -v[193:194]
	v_mul_f64 v[1:2], v[1:2], v[207:208]
	v_fma_f64 v[1:2], v[3:4], v[205:206], v[1:2]
	s_waitcnt vmcnt(6)
	v_add_f64 v[3:4], v[197:198], -v[193:194]
	s_waitcnt vmcnt(4)
	v_add_f64 v[1:2], v[199:200], -v[1:2]
	;; [unrolled: 14-line block ×3, first 2 shown]
	buffer_store_dword v4, off, s[0:3], 0 offset:804
	buffer_store_dword v3, off, s[0:3], 0 offset:800
	buffer_store_dword v1, off, s[0:3], 0 offset:808
	buffer_store_dword v2, off, s[0:3], 0 offset:812
	ds_read2_b64 v[1:4], v241 offset0:102 offset1:103
	s_waitcnt lgkmcnt(0)
	v_mul_f64 v[193:194], v[3:4], v[207:208]
	v_fma_f64 v[193:194], v[1:2], v[205:206], -v[193:194]
	v_mul_f64 v[1:2], v[1:2], v[207:208]
	v_fma_f64 v[1:2], v[3:4], v[205:206], v[1:2]
	s_clause 0x3
	buffer_load_dword v3, off, s[0:3], 0 offset:816
	buffer_load_dword v4, off, s[0:3], 0 offset:820
	buffer_load_dword v195, off, s[0:3], 0 offset:824
	buffer_load_dword v196, off, s[0:3], 0 offset:828
	s_waitcnt vmcnt(2)
	v_add_f64 v[3:4], v[3:4], -v[193:194]
	s_waitcnt vmcnt(0)
	v_add_f64 v[1:2], v[195:196], -v[1:2]
	buffer_store_dword v4, off, s[0:3], 0 offset:820
	buffer_store_dword v3, off, s[0:3], 0 offset:816
	buffer_store_dword v2, off, s[0:3], 0 offset:828
	buffer_store_dword v1, off, s[0:3], 0 offset:824
	ds_read2_b64 v[1:4], v241 offset0:104 offset1:105
	s_waitcnt lgkmcnt(0)
	v_mul_f64 v[193:194], v[3:4], v[207:208]
	v_fma_f64 v[193:194], v[1:2], v[205:206], -v[193:194]
	v_mul_f64 v[1:2], v[1:2], v[207:208]
	v_fma_f64 v[1:2], v[3:4], v[205:206], v[1:2]
	s_clause 0x3
	buffer_load_dword v3, off, s[0:3], 0 offset:832
	buffer_load_dword v4, off, s[0:3], 0 offset:836
	buffer_load_dword v195, off, s[0:3], 0 offset:840
	buffer_load_dword v196, off, s[0:3], 0 offset:844
	s_waitcnt vmcnt(2)
	v_add_f64 v[3:4], v[3:4], -v[193:194]
	s_waitcnt vmcnt(0)
	v_add_f64 v[1:2], v[195:196], -v[1:2]
	;; [unrolled: 19-line block ×3, first 2 shown]
	buffer_store_dword v4, off, s[0:3], 0 offset:852
	buffer_store_dword v3, off, s[0:3], 0 offset:848
	buffer_store_dword v2, off, s[0:3], 0 offset:860
	buffer_store_dword v1, off, s[0:3], 0 offset:856
	ds_read2_b64 v[1:4], v241 offset0:108 offset1:109
	s_clause 0x3
	buffer_load_dword v193, off, s[0:3], 0 offset:752
	buffer_load_dword v194, off, s[0:3], 0 offset:756
	;; [unrolled: 1-line block ×4, first 2 shown]
	s_waitcnt vmcnt(0) lgkmcnt(0)
	v_mul_f64 v[197:198], v[3:4], v[195:196]
	v_fma_f64 v[197:198], v[1:2], v[193:194], -v[197:198]
	v_mul_f64 v[1:2], v[1:2], v[195:196]
	v_fma_f64 v[1:2], v[3:4], v[193:194], v[1:2]
	s_clause 0x1
	buffer_load_dword v4, off, s[0:3], 0 offset:868
	buffer_load_dword v3, off, s[0:3], 0 offset:864
	s_waitcnt vmcnt(0)
	v_add_f64 v[3:4], v[3:4], -v[197:198]
	s_clause 0x1
	buffer_load_dword v198, off, s[0:3], 0 offset:876
	buffer_load_dword v197, off, s[0:3], 0 offset:872
	s_waitcnt vmcnt(0)
	v_add_f64 v[1:2], v[197:198], -v[1:2]
	buffer_store_dword v4, off, s[0:3], 0 offset:868
	buffer_store_dword v3, off, s[0:3], 0 offset:864
	buffer_store_dword v2, off, s[0:3], 0 offset:876
	buffer_store_dword v1, off, s[0:3], 0 offset:872
	ds_read2_b64 v[1:4], v241 offset0:110 offset1:111
	s_waitcnt lgkmcnt(0)
	v_mul_f64 v[197:198], v[3:4], v[195:196]
	v_fma_f64 v[197:198], v[1:2], v[193:194], -v[197:198]
	v_mul_f64 v[1:2], v[1:2], v[195:196]
	v_fma_f64 v[1:2], v[3:4], v[193:194], v[1:2]
	s_clause 0x3
	buffer_load_dword v3, off, s[0:3], 0 offset:880
	buffer_load_dword v4, off, s[0:3], 0 offset:884
	buffer_load_dword v199, off, s[0:3], 0 offset:888
	buffer_load_dword v200, off, s[0:3], 0 offset:892
	s_waitcnt vmcnt(2)
	v_add_f64 v[3:4], v[3:4], -v[197:198]
	s_waitcnt vmcnt(0)
	v_add_f64 v[1:2], v[199:200], -v[1:2]
	buffer_store_dword v4, off, s[0:3], 0 offset:884
	buffer_store_dword v3, off, s[0:3], 0 offset:880
	buffer_store_dword v2, off, s[0:3], 0 offset:892
	buffer_store_dword v1, off, s[0:3], 0 offset:888
	ds_read2_b64 v[1:4], v241 offset0:112 offset1:113
	s_waitcnt lgkmcnt(0)
	v_mul_f64 v[197:198], v[3:4], v[195:196]
	v_fma_f64 v[197:198], v[1:2], v[193:194], -v[197:198]
	v_mul_f64 v[1:2], v[1:2], v[195:196]
	v_fma_f64 v[1:2], v[3:4], v[193:194], v[1:2]
	s_clause 0x3
	buffer_load_dword v3, off, s[0:3], 0 offset:896
	buffer_load_dword v4, off, s[0:3], 0 offset:900
	buffer_load_dword v199, off, s[0:3], 0 offset:904
	buffer_load_dword v200, off, s[0:3], 0 offset:908
	s_waitcnt vmcnt(2)
	v_add_f64 v[3:4], v[3:4], -v[197:198]
	s_waitcnt vmcnt(0)
	v_add_f64 v[1:2], v[199:200], -v[1:2]
	buffer_store_dword v4, off, s[0:3], 0 offset:900
	buffer_store_dword v3, off, s[0:3], 0 offset:896
	buffer_store_dword v2, off, s[0:3], 0 offset:908
	buffer_store_dword v1, off, s[0:3], 0 offset:904
	ds_read2_b64 v[1:4], v241 offset0:114 offset1:115
	s_waitcnt lgkmcnt(0)
	v_mul_f64 v[197:198], v[3:4], v[195:196]
	v_fma_f64 v[197:198], v[1:2], v[193:194], -v[197:198]
	v_mul_f64 v[1:2], v[1:2], v[195:196]
	v_fma_f64 v[1:2], v[3:4], v[193:194], v[1:2]
	s_clause 0x3
	buffer_load_dword v3, off, s[0:3], 0 offset:912
	buffer_load_dword v4, off, s[0:3], 0 offset:916
	buffer_load_dword v199, off, s[0:3], 0 offset:920
	buffer_load_dword v200, off, s[0:3], 0 offset:924
	s_waitcnt vmcnt(2)
	v_add_f64 v[3:4], v[3:4], -v[197:198]
	s_waitcnt vmcnt(0)
	v_add_f64 v[1:2], v[199:200], -v[1:2]
	buffer_store_dword v4, off, s[0:3], 0 offset:916
	buffer_store_dword v3, off, s[0:3], 0 offset:912
	buffer_store_dword v2, off, s[0:3], 0 offset:924
	buffer_store_dword v1, off, s[0:3], 0 offset:920
	ds_read2_b64 v[1:4], v241 offset0:116 offset1:117
	s_waitcnt lgkmcnt(0)
	v_mul_f64 v[197:198], v[3:4], v[195:196]
	v_fma_f64 v[197:198], v[1:2], v[193:194], -v[197:198]
	v_mul_f64 v[1:2], v[1:2], v[195:196]
	v_fma_f64 v[1:2], v[3:4], v[193:194], v[1:2]
	s_clause 0x3
	buffer_load_dword v3, off, s[0:3], 0 offset:928
	buffer_load_dword v4, off, s[0:3], 0 offset:932
	buffer_load_dword v199, off, s[0:3], 0 offset:936
	buffer_load_dword v200, off, s[0:3], 0 offset:940
	s_waitcnt vmcnt(2)
	v_add_f64 v[3:4], v[3:4], -v[197:198]
	s_waitcnt vmcnt(0)
	v_add_f64 v[1:2], v[199:200], -v[1:2]
	buffer_store_dword v4, off, s[0:3], 0 offset:932
	buffer_store_dword v3, off, s[0:3], 0 offset:928
	buffer_store_dword v2, off, s[0:3], 0 offset:940
	buffer_store_dword v1, off, s[0:3], 0 offset:936
	ds_read2_b64 v[1:4], v241 offset0:118 offset1:119
	s_waitcnt lgkmcnt(0)
	v_mul_f64 v[197:198], v[3:4], v[195:196]
	v_fma_f64 v[197:198], v[1:2], v[193:194], -v[197:198]
	v_mul_f64 v[1:2], v[1:2], v[195:196]
	v_fma_f64 v[1:2], v[3:4], v[193:194], v[1:2]
	s_clause 0x3
	buffer_load_dword v3, off, s[0:3], 0 offset:944
	buffer_load_dword v4, off, s[0:3], 0 offset:948
	buffer_load_dword v193, off, s[0:3], 0 offset:952
	buffer_load_dword v194, off, s[0:3], 0 offset:956
	s_waitcnt vmcnt(2)
	v_add_f64 v[3:4], v[3:4], -v[197:198]
	s_waitcnt vmcnt(0)
	v_add_f64 v[1:2], v[193:194], -v[1:2]
	buffer_store_dword v4, off, s[0:3], 0 offset:948
	buffer_store_dword v3, off, s[0:3], 0 offset:944
	;; [unrolled: 1-line block ×4, first 2 shown]
	ds_read2_b64 v[1:4], v241 offset0:120 offset1:121
	s_clause 0x3
	buffer_load_dword v193, off, s[0:3], 0 offset:752
	buffer_load_dword v194, off, s[0:3], 0 offset:756
	;; [unrolled: 1-line block ×4, first 2 shown]
	s_waitcnt vmcnt(0) lgkmcnt(0)
	v_mul_f64 v[197:198], v[3:4], v[195:196]
	v_fma_f64 v[197:198], v[1:2], v[193:194], -v[197:198]
	v_mul_f64 v[1:2], v[1:2], v[195:196]
	v_fma_f64 v[1:2], v[3:4], v[193:194], v[1:2]
	s_clause 0x3
	buffer_load_dword v4, off, s[0:3], 0 offset:964
	buffer_load_dword v3, off, s[0:3], 0 offset:960
	;; [unrolled: 1-line block ×4, first 2 shown]
	s_waitcnt vmcnt(2)
	v_add_f64 v[3:4], v[3:4], -v[197:198]
	s_waitcnt vmcnt(0)
	v_add_f64 v[1:2], v[193:194], -v[1:2]
	buffer_store_dword v4, off, s[0:3], 0 offset:964
	buffer_store_dword v3, off, s[0:3], 0 offset:960
	;; [unrolled: 1-line block ×4, first 2 shown]
.LBB121_556:
	s_or_b32 exec_lo, exec_lo, s5
	s_mov_b32 s6, exec_lo
	s_waitcnt lgkmcnt(0)
	s_waitcnt_vscnt null, 0x0
	s_barrier
	buffer_gl0_inv
	v_cmpx_eq_u32_e32 48, v0
	s_cbranch_execz .LBB121_563
; %bb.557:
	v_mov_b32_e32 v4, s27
	s_clause 0x3
	buffer_load_dword v1, v4, s[0:3], 0 offen
	buffer_load_dword v2, v4, s[0:3], 0 offen offset:4
	buffer_load_dword v3, v4, s[0:3], 0 offen offset:8
	buffer_load_dword v4, v4, s[0:3], 0 offen offset:12
	s_waitcnt vmcnt(0)
	ds_write2_b64 v255, v[1:2], v[3:4] offset1:1
	v_mov_b32_e32 v4, s26
	s_clause 0x3
	buffer_load_dword v1, v4, s[0:3], 0 offen
	buffer_load_dword v2, v4, s[0:3], 0 offen offset:4
	buffer_load_dword v3, v4, s[0:3], 0 offen offset:8
	buffer_load_dword v4, v4, s[0:3], 0 offen offset:12
	s_waitcnt vmcnt(0)
	ds_write2_b64 v241, v[1:2], v[3:4] offset0:98 offset1:99
	v_mov_b32_e32 v4, s25
	s_clause 0x3
	buffer_load_dword v1, v4, s[0:3], 0 offen
	buffer_load_dword v2, v4, s[0:3], 0 offen offset:4
	buffer_load_dword v3, v4, s[0:3], 0 offen offset:8
	buffer_load_dword v4, v4, s[0:3], 0 offen offset:12
	s_waitcnt vmcnt(0)
	ds_write2_b64 v241, v[1:2], v[3:4] offset0:100 offset1:101
	;; [unrolled: 8-line block ×12, first 2 shown]
	ds_read2_b64 v[193:196], v255 offset1:1
	s_waitcnt lgkmcnt(0)
	v_cmp_neq_f64_e32 vcc_lo, 0, v[193:194]
	v_cmp_neq_f64_e64 s5, 0, v[195:196]
	s_or_b32 s5, vcc_lo, s5
	s_and_b32 exec_lo, exec_lo, s5
	s_cbranch_execz .LBB121_563
; %bb.558:
	v_cmp_ngt_f64_e64 s5, |v[193:194]|, |v[195:196]|
                                        ; implicit-def: $vgpr1_vgpr2
	s_and_saveexec_b32 s7, s5
	s_xor_b32 s5, exec_lo, s7
                                        ; implicit-def: $vgpr3_vgpr4
	s_cbranch_execz .LBB121_560
; %bb.559:
	v_div_scale_f64 v[1:2], null, v[195:196], v[195:196], v[193:194]
	v_div_scale_f64 v[199:200], vcc_lo, v[193:194], v[195:196], v[193:194]
	v_rcp_f64_e32 v[3:4], v[1:2]
	v_fma_f64 v[197:198], -v[1:2], v[3:4], 1.0
	v_fma_f64 v[3:4], v[3:4], v[197:198], v[3:4]
	v_fma_f64 v[197:198], -v[1:2], v[3:4], 1.0
	v_fma_f64 v[3:4], v[3:4], v[197:198], v[3:4]
	v_mul_f64 v[197:198], v[199:200], v[3:4]
	v_fma_f64 v[1:2], -v[1:2], v[197:198], v[199:200]
	v_div_fmas_f64 v[1:2], v[1:2], v[3:4], v[197:198]
	v_div_fixup_f64 v[1:2], v[1:2], v[195:196], v[193:194]
	v_fma_f64 v[3:4], v[193:194], v[1:2], v[195:196]
	v_div_scale_f64 v[193:194], null, v[3:4], v[3:4], 1.0
	v_rcp_f64_e32 v[195:196], v[193:194]
	v_fma_f64 v[197:198], -v[193:194], v[195:196], 1.0
	v_fma_f64 v[195:196], v[195:196], v[197:198], v[195:196]
	v_fma_f64 v[197:198], -v[193:194], v[195:196], 1.0
	v_fma_f64 v[195:196], v[195:196], v[197:198], v[195:196]
	v_div_scale_f64 v[197:198], vcc_lo, 1.0, v[3:4], 1.0
	v_mul_f64 v[199:200], v[197:198], v[195:196]
	v_fma_f64 v[193:194], -v[193:194], v[199:200], v[197:198]
	v_div_fmas_f64 v[193:194], v[193:194], v[195:196], v[199:200]
	v_div_fixup_f64 v[3:4], v[193:194], v[3:4], 1.0
                                        ; implicit-def: $vgpr193_vgpr194
	v_mul_f64 v[1:2], v[1:2], v[3:4]
	v_xor_b32_e32 v4, 0x80000000, v4
.LBB121_560:
	s_andn2_saveexec_b32 s5, s5
	s_cbranch_execz .LBB121_562
; %bb.561:
	v_div_scale_f64 v[1:2], null, v[193:194], v[193:194], v[195:196]
	v_div_scale_f64 v[199:200], vcc_lo, v[195:196], v[193:194], v[195:196]
	v_rcp_f64_e32 v[3:4], v[1:2]
	v_fma_f64 v[197:198], -v[1:2], v[3:4], 1.0
	v_fma_f64 v[3:4], v[3:4], v[197:198], v[3:4]
	v_fma_f64 v[197:198], -v[1:2], v[3:4], 1.0
	v_fma_f64 v[3:4], v[3:4], v[197:198], v[3:4]
	v_mul_f64 v[197:198], v[199:200], v[3:4]
	v_fma_f64 v[1:2], -v[1:2], v[197:198], v[199:200]
	v_div_fmas_f64 v[1:2], v[1:2], v[3:4], v[197:198]
	v_div_fixup_f64 v[3:4], v[1:2], v[193:194], v[195:196]
	v_fma_f64 v[1:2], v[195:196], v[3:4], v[193:194]
	v_div_scale_f64 v[193:194], null, v[1:2], v[1:2], 1.0
	v_rcp_f64_e32 v[195:196], v[193:194]
	v_fma_f64 v[197:198], -v[193:194], v[195:196], 1.0
	v_fma_f64 v[195:196], v[195:196], v[197:198], v[195:196]
	v_fma_f64 v[197:198], -v[193:194], v[195:196], 1.0
	v_fma_f64 v[195:196], v[195:196], v[197:198], v[195:196]
	v_div_scale_f64 v[197:198], vcc_lo, 1.0, v[1:2], 1.0
	v_mul_f64 v[199:200], v[197:198], v[195:196]
	v_fma_f64 v[193:194], -v[193:194], v[199:200], v[197:198]
	v_div_fmas_f64 v[193:194], v[193:194], v[195:196], v[199:200]
	v_div_fixup_f64 v[1:2], v[193:194], v[1:2], 1.0
	v_mul_f64 v[3:4], v[3:4], -v[1:2]
.LBB121_562:
	s_or_b32 exec_lo, exec_lo, s5
	ds_write2_b64 v255, v[1:2], v[3:4] offset1:1
.LBB121_563:
	s_or_b32 exec_lo, exec_lo, s6
	s_waitcnt lgkmcnt(0)
	s_barrier
	buffer_gl0_inv
	ds_read2_b64 v[193:196], v255 offset1:1
	s_mov_b32 s5, exec_lo
	v_cmpx_lt_u32_e32 48, v0
	s_cbranch_execz .LBB121_565
; %bb.564:
	s_clause 0xf
	buffer_load_dword v1, off, s[0:3], 0 offset:768
	buffer_load_dword v2, off, s[0:3], 0 offset:772
	;; [unrolled: 1-line block ×16, first 2 shown]
	s_waitcnt vmcnt(12) lgkmcnt(0)
	v_mul_f64 v[209:210], v[195:196], v[3:4]
	v_mul_f64 v[3:4], v[193:194], v[3:4]
	v_fma_f64 v[209:210], v[193:194], v[1:2], -v[209:210]
	v_fma_f64 v[211:212], v[195:196], v[1:2], v[3:4]
	buffer_store_dword v209, off, s[0:3], 0 offset:768
	buffer_store_dword v210, off, s[0:3], 0 offset:772
	buffer_store_dword v211, off, s[0:3], 0 offset:776
	buffer_store_dword v212, off, s[0:3], 0 offset:780
	ds_read2_b64 v[1:4], v241 offset0:98 offset1:99
	s_waitcnt lgkmcnt(0)
	v_mul_f64 v[213:214], v[3:4], v[211:212]
	v_fma_f64 v[213:214], v[1:2], v[209:210], -v[213:214]
	v_mul_f64 v[1:2], v[1:2], v[211:212]
	v_fma_f64 v[1:2], v[3:4], v[209:210], v[1:2]
	s_waitcnt vmcnt(10)
	v_add_f64 v[3:4], v[197:198], -v[213:214]
	s_waitcnt vmcnt(8)
	v_add_f64 v[1:2], v[199:200], -v[1:2]
	buffer_store_dword v3, off, s[0:3], 0 offset:784
	buffer_store_dword v4, off, s[0:3], 0 offset:788
	buffer_store_dword v1, off, s[0:3], 0 offset:792
	buffer_store_dword v2, off, s[0:3], 0 offset:796
	ds_read2_b64 v[1:4], v241 offset0:100 offset1:101
	s_waitcnt lgkmcnt(0)
	v_mul_f64 v[197:198], v[3:4], v[211:212]
	v_fma_f64 v[197:198], v[1:2], v[209:210], -v[197:198]
	v_mul_f64 v[1:2], v[1:2], v[211:212]
	v_fma_f64 v[1:2], v[3:4], v[209:210], v[1:2]
	s_waitcnt vmcnt(6)
	v_add_f64 v[3:4], v[201:202], -v[197:198]
	s_waitcnt vmcnt(4)
	v_add_f64 v[1:2], v[203:204], -v[1:2]
	buffer_store_dword v3, off, s[0:3], 0 offset:800
	buffer_store_dword v4, off, s[0:3], 0 offset:804
	buffer_store_dword v1, off, s[0:3], 0 offset:808
	buffer_store_dword v2, off, s[0:3], 0 offset:812
	ds_read2_b64 v[1:4], v241 offset0:102 offset1:103
	s_waitcnt lgkmcnt(0)
	v_mul_f64 v[197:198], v[3:4], v[211:212]
	v_fma_f64 v[197:198], v[1:2], v[209:210], -v[197:198]
	v_mul_f64 v[1:2], v[1:2], v[211:212]
	v_fma_f64 v[1:2], v[3:4], v[209:210], v[1:2]
	s_waitcnt vmcnt(2)
	v_add_f64 v[3:4], v[205:206], -v[197:198]
	s_waitcnt vmcnt(0)
	v_add_f64 v[1:2], v[207:208], -v[1:2]
	buffer_store_dword v4, off, s[0:3], 0 offset:820
	buffer_store_dword v3, off, s[0:3], 0 offset:816
	buffer_store_dword v1, off, s[0:3], 0 offset:824
	buffer_store_dword v2, off, s[0:3], 0 offset:828
	ds_read2_b64 v[1:4], v241 offset0:104 offset1:105
	s_waitcnt lgkmcnt(0)
	v_mul_f64 v[197:198], v[3:4], v[211:212]
	v_fma_f64 v[197:198], v[1:2], v[209:210], -v[197:198]
	v_mul_f64 v[1:2], v[1:2], v[211:212]
	v_fma_f64 v[1:2], v[3:4], v[209:210], v[1:2]
	s_clause 0x3
	buffer_load_dword v3, off, s[0:3], 0 offset:832
	buffer_load_dword v4, off, s[0:3], 0 offset:836
	buffer_load_dword v199, off, s[0:3], 0 offset:840
	buffer_load_dword v200, off, s[0:3], 0 offset:844
	s_waitcnt vmcnt(2)
	v_add_f64 v[3:4], v[3:4], -v[197:198]
	s_waitcnt vmcnt(0)
	v_add_f64 v[1:2], v[199:200], -v[1:2]
	buffer_store_dword v4, off, s[0:3], 0 offset:836
	buffer_store_dword v3, off, s[0:3], 0 offset:832
	buffer_store_dword v2, off, s[0:3], 0 offset:844
	buffer_store_dword v1, off, s[0:3], 0 offset:840
	ds_read2_b64 v[1:4], v241 offset0:106 offset1:107
	s_waitcnt lgkmcnt(0)
	v_mul_f64 v[197:198], v[3:4], v[211:212]
	v_fma_f64 v[197:198], v[1:2], v[209:210], -v[197:198]
	v_mul_f64 v[1:2], v[1:2], v[211:212]
	v_fma_f64 v[1:2], v[3:4], v[209:210], v[1:2]
	s_clause 0x3
	buffer_load_dword v3, off, s[0:3], 0 offset:848
	buffer_load_dword v4, off, s[0:3], 0 offset:852
	buffer_load_dword v199, off, s[0:3], 0 offset:856
	buffer_load_dword v200, off, s[0:3], 0 offset:860
	s_waitcnt vmcnt(2)
	v_add_f64 v[3:4], v[3:4], -v[197:198]
	s_waitcnt vmcnt(0)
	v_add_f64 v[1:2], v[199:200], -v[1:2]
	;; [unrolled: 19-line block ×3, first 2 shown]
	buffer_store_dword v4, off, s[0:3], 0 offset:868
	buffer_store_dword v3, off, s[0:3], 0 offset:864
	;; [unrolled: 1-line block ×4, first 2 shown]
	ds_read2_b64 v[1:4], v241 offset0:110 offset1:111
	s_clause 0x3
	buffer_load_dword v197, off, s[0:3], 0 offset:768
	buffer_load_dword v198, off, s[0:3], 0 offset:772
	;; [unrolled: 1-line block ×4, first 2 shown]
	s_waitcnt vmcnt(0) lgkmcnt(0)
	v_mul_f64 v[201:202], v[3:4], v[199:200]
	v_fma_f64 v[201:202], v[1:2], v[197:198], -v[201:202]
	v_mul_f64 v[1:2], v[1:2], v[199:200]
	v_fma_f64 v[1:2], v[3:4], v[197:198], v[1:2]
	s_clause 0x1
	buffer_load_dword v4, off, s[0:3], 0 offset:884
	buffer_load_dword v3, off, s[0:3], 0 offset:880
	s_waitcnt vmcnt(0)
	v_add_f64 v[3:4], v[3:4], -v[201:202]
	s_clause 0x1
	buffer_load_dword v202, off, s[0:3], 0 offset:892
	buffer_load_dword v201, off, s[0:3], 0 offset:888
	s_waitcnt vmcnt(0)
	v_add_f64 v[1:2], v[201:202], -v[1:2]
	buffer_store_dword v4, off, s[0:3], 0 offset:884
	buffer_store_dword v3, off, s[0:3], 0 offset:880
	buffer_store_dword v2, off, s[0:3], 0 offset:892
	buffer_store_dword v1, off, s[0:3], 0 offset:888
	ds_read2_b64 v[1:4], v241 offset0:112 offset1:113
	s_waitcnt lgkmcnt(0)
	v_mul_f64 v[201:202], v[3:4], v[199:200]
	v_fma_f64 v[201:202], v[1:2], v[197:198], -v[201:202]
	v_mul_f64 v[1:2], v[1:2], v[199:200]
	v_fma_f64 v[1:2], v[3:4], v[197:198], v[1:2]
	s_clause 0x3
	buffer_load_dword v3, off, s[0:3], 0 offset:896
	buffer_load_dword v4, off, s[0:3], 0 offset:900
	buffer_load_dword v203, off, s[0:3], 0 offset:904
	buffer_load_dword v204, off, s[0:3], 0 offset:908
	s_waitcnt vmcnt(2)
	v_add_f64 v[3:4], v[3:4], -v[201:202]
	s_waitcnt vmcnt(0)
	v_add_f64 v[1:2], v[203:204], -v[1:2]
	buffer_store_dword v4, off, s[0:3], 0 offset:900
	buffer_store_dword v3, off, s[0:3], 0 offset:896
	buffer_store_dword v2, off, s[0:3], 0 offset:908
	buffer_store_dword v1, off, s[0:3], 0 offset:904
	ds_read2_b64 v[1:4], v241 offset0:114 offset1:115
	s_waitcnt lgkmcnt(0)
	v_mul_f64 v[201:202], v[3:4], v[199:200]
	v_fma_f64 v[201:202], v[1:2], v[197:198], -v[201:202]
	v_mul_f64 v[1:2], v[1:2], v[199:200]
	v_fma_f64 v[1:2], v[3:4], v[197:198], v[1:2]
	s_clause 0x3
	buffer_load_dword v3, off, s[0:3], 0 offset:912
	buffer_load_dword v4, off, s[0:3], 0 offset:916
	buffer_load_dword v203, off, s[0:3], 0 offset:920
	buffer_load_dword v204, off, s[0:3], 0 offset:924
	s_waitcnt vmcnt(2)
	v_add_f64 v[3:4], v[3:4], -v[201:202]
	;; [unrolled: 19-line block ×5, first 2 shown]
	s_waitcnt vmcnt(0)
	v_add_f64 v[1:2], v[197:198], -v[1:2]
	buffer_store_dword v4, off, s[0:3], 0 offset:964
	buffer_store_dword v3, off, s[0:3], 0 offset:960
	;; [unrolled: 1-line block ×4, first 2 shown]
.LBB121_565:
	s_or_b32 exec_lo, exec_lo, s5
	s_mov_b32 s6, exec_lo
	s_waitcnt lgkmcnt(0)
	s_waitcnt_vscnt null, 0x0
	s_barrier
	buffer_gl0_inv
	v_cmpx_eq_u32_e32 49, v0
	s_cbranch_execz .LBB121_572
; %bb.566:
	v_mov_b32_e32 v4, s26
	s_clause 0x3
	buffer_load_dword v1, v4, s[0:3], 0 offen
	buffer_load_dword v2, v4, s[0:3], 0 offen offset:4
	buffer_load_dword v3, v4, s[0:3], 0 offen offset:8
	buffer_load_dword v4, v4, s[0:3], 0 offen offset:12
	s_waitcnt vmcnt(0)
	ds_write2_b64 v255, v[1:2], v[3:4] offset1:1
	v_mov_b32_e32 v4, s25
	s_clause 0x3
	buffer_load_dword v1, v4, s[0:3], 0 offen
	buffer_load_dword v2, v4, s[0:3], 0 offen offset:4
	buffer_load_dword v3, v4, s[0:3], 0 offen offset:8
	buffer_load_dword v4, v4, s[0:3], 0 offen offset:12
	s_waitcnt vmcnt(0)
	ds_write2_b64 v241, v[1:2], v[3:4] offset0:100 offset1:101
	v_mov_b32_e32 v4, s24
	s_clause 0x3
	buffer_load_dword v1, v4, s[0:3], 0 offen
	buffer_load_dword v2, v4, s[0:3], 0 offen offset:4
	buffer_load_dword v3, v4, s[0:3], 0 offen offset:8
	buffer_load_dword v4, v4, s[0:3], 0 offen offset:12
	s_waitcnt vmcnt(0)
	ds_write2_b64 v241, v[1:2], v[3:4] offset0:102 offset1:103
	v_mov_b32_e32 v4, s23
	s_clause 0x3
	buffer_load_dword v1, v4, s[0:3], 0 offen
	buffer_load_dword v2, v4, s[0:3], 0 offen offset:4
	buffer_load_dword v3, v4, s[0:3], 0 offen offset:8
	buffer_load_dword v4, v4, s[0:3], 0 offen offset:12
	s_waitcnt vmcnt(0)
	ds_write2_b64 v241, v[1:2], v[3:4] offset0:104 offset1:105
	v_mov_b32_e32 v4, s22
	s_clause 0x3
	buffer_load_dword v1, v4, s[0:3], 0 offen
	buffer_load_dword v2, v4, s[0:3], 0 offen offset:4
	buffer_load_dword v3, v4, s[0:3], 0 offen offset:8
	buffer_load_dword v4, v4, s[0:3], 0 offen offset:12
	s_waitcnt vmcnt(0)
	ds_write2_b64 v241, v[1:2], v[3:4] offset0:106 offset1:107
	v_mov_b32_e32 v4, s21
	s_clause 0x3
	buffer_load_dword v1, v4, s[0:3], 0 offen
	buffer_load_dword v2, v4, s[0:3], 0 offen offset:4
	buffer_load_dword v3, v4, s[0:3], 0 offen offset:8
	buffer_load_dword v4, v4, s[0:3], 0 offen offset:12
	s_waitcnt vmcnt(0)
	ds_write2_b64 v241, v[1:2], v[3:4] offset0:108 offset1:109
	v_mov_b32_e32 v4, s20
	s_clause 0x3
	buffer_load_dword v1, v4, s[0:3], 0 offen
	buffer_load_dword v2, v4, s[0:3], 0 offen offset:4
	buffer_load_dword v3, v4, s[0:3], 0 offen offset:8
	buffer_load_dword v4, v4, s[0:3], 0 offen offset:12
	s_waitcnt vmcnt(0)
	ds_write2_b64 v241, v[1:2], v[3:4] offset0:110 offset1:111
	v_mov_b32_e32 v4, s19
	s_clause 0x3
	buffer_load_dword v1, v4, s[0:3], 0 offen
	buffer_load_dword v2, v4, s[0:3], 0 offen offset:4
	buffer_load_dword v3, v4, s[0:3], 0 offen offset:8
	buffer_load_dword v4, v4, s[0:3], 0 offen offset:12
	s_waitcnt vmcnt(0)
	ds_write2_b64 v241, v[1:2], v[3:4] offset0:112 offset1:113
	v_mov_b32_e32 v4, s18
	s_clause 0x3
	buffer_load_dword v1, v4, s[0:3], 0 offen
	buffer_load_dword v2, v4, s[0:3], 0 offen offset:4
	buffer_load_dword v3, v4, s[0:3], 0 offen offset:8
	buffer_load_dword v4, v4, s[0:3], 0 offen offset:12
	s_waitcnt vmcnt(0)
	ds_write2_b64 v241, v[1:2], v[3:4] offset0:114 offset1:115
	v_mov_b32_e32 v4, s16
	s_clause 0x3
	buffer_load_dword v1, v4, s[0:3], 0 offen
	buffer_load_dword v2, v4, s[0:3], 0 offen offset:4
	buffer_load_dword v3, v4, s[0:3], 0 offen offset:8
	buffer_load_dword v4, v4, s[0:3], 0 offen offset:12
	s_waitcnt vmcnt(0)
	ds_write2_b64 v241, v[1:2], v[3:4] offset0:116 offset1:117
	v_mov_b32_e32 v4, s13
	s_clause 0x3
	buffer_load_dword v1, v4, s[0:3], 0 offen
	buffer_load_dword v2, v4, s[0:3], 0 offen offset:4
	buffer_load_dword v3, v4, s[0:3], 0 offen offset:8
	buffer_load_dword v4, v4, s[0:3], 0 offen offset:12
	s_waitcnt vmcnt(0)
	ds_write2_b64 v241, v[1:2], v[3:4] offset0:118 offset1:119
	v_mov_b32_e32 v4, s12
	s_clause 0x3
	buffer_load_dword v1, v4, s[0:3], 0 offen
	buffer_load_dword v2, v4, s[0:3], 0 offen offset:4
	buffer_load_dword v3, v4, s[0:3], 0 offen offset:8
	buffer_load_dword v4, v4, s[0:3], 0 offen offset:12
	s_waitcnt vmcnt(0)
	ds_write2_b64 v241, v[1:2], v[3:4] offset0:120 offset1:121
	ds_read2_b64 v[197:200], v255 offset1:1
	s_waitcnt lgkmcnt(0)
	v_cmp_neq_f64_e32 vcc_lo, 0, v[197:198]
	v_cmp_neq_f64_e64 s5, 0, v[199:200]
	s_or_b32 s5, vcc_lo, s5
	s_and_b32 exec_lo, exec_lo, s5
	s_cbranch_execz .LBB121_572
; %bb.567:
	v_cmp_ngt_f64_e64 s5, |v[197:198]|, |v[199:200]|
                                        ; implicit-def: $vgpr1_vgpr2
	s_and_saveexec_b32 s7, s5
	s_xor_b32 s5, exec_lo, s7
                                        ; implicit-def: $vgpr3_vgpr4
	s_cbranch_execz .LBB121_569
; %bb.568:
	v_div_scale_f64 v[1:2], null, v[199:200], v[199:200], v[197:198]
	v_div_scale_f64 v[203:204], vcc_lo, v[197:198], v[199:200], v[197:198]
	v_rcp_f64_e32 v[3:4], v[1:2]
	v_fma_f64 v[201:202], -v[1:2], v[3:4], 1.0
	v_fma_f64 v[3:4], v[3:4], v[201:202], v[3:4]
	v_fma_f64 v[201:202], -v[1:2], v[3:4], 1.0
	v_fma_f64 v[3:4], v[3:4], v[201:202], v[3:4]
	v_mul_f64 v[201:202], v[203:204], v[3:4]
	v_fma_f64 v[1:2], -v[1:2], v[201:202], v[203:204]
	v_div_fmas_f64 v[1:2], v[1:2], v[3:4], v[201:202]
	v_div_fixup_f64 v[1:2], v[1:2], v[199:200], v[197:198]
	v_fma_f64 v[3:4], v[197:198], v[1:2], v[199:200]
	v_div_scale_f64 v[197:198], null, v[3:4], v[3:4], 1.0
	v_rcp_f64_e32 v[199:200], v[197:198]
	v_fma_f64 v[201:202], -v[197:198], v[199:200], 1.0
	v_fma_f64 v[199:200], v[199:200], v[201:202], v[199:200]
	v_fma_f64 v[201:202], -v[197:198], v[199:200], 1.0
	v_fma_f64 v[199:200], v[199:200], v[201:202], v[199:200]
	v_div_scale_f64 v[201:202], vcc_lo, 1.0, v[3:4], 1.0
	v_mul_f64 v[203:204], v[201:202], v[199:200]
	v_fma_f64 v[197:198], -v[197:198], v[203:204], v[201:202]
	v_div_fmas_f64 v[197:198], v[197:198], v[199:200], v[203:204]
	v_div_fixup_f64 v[3:4], v[197:198], v[3:4], 1.0
                                        ; implicit-def: $vgpr197_vgpr198
	v_mul_f64 v[1:2], v[1:2], v[3:4]
	v_xor_b32_e32 v4, 0x80000000, v4
.LBB121_569:
	s_andn2_saveexec_b32 s5, s5
	s_cbranch_execz .LBB121_571
; %bb.570:
	v_div_scale_f64 v[1:2], null, v[197:198], v[197:198], v[199:200]
	v_div_scale_f64 v[203:204], vcc_lo, v[199:200], v[197:198], v[199:200]
	v_rcp_f64_e32 v[3:4], v[1:2]
	v_fma_f64 v[201:202], -v[1:2], v[3:4], 1.0
	v_fma_f64 v[3:4], v[3:4], v[201:202], v[3:4]
	v_fma_f64 v[201:202], -v[1:2], v[3:4], 1.0
	v_fma_f64 v[3:4], v[3:4], v[201:202], v[3:4]
	v_mul_f64 v[201:202], v[203:204], v[3:4]
	v_fma_f64 v[1:2], -v[1:2], v[201:202], v[203:204]
	v_div_fmas_f64 v[1:2], v[1:2], v[3:4], v[201:202]
	v_div_fixup_f64 v[3:4], v[1:2], v[197:198], v[199:200]
	v_fma_f64 v[1:2], v[199:200], v[3:4], v[197:198]
	v_div_scale_f64 v[197:198], null, v[1:2], v[1:2], 1.0
	v_rcp_f64_e32 v[199:200], v[197:198]
	v_fma_f64 v[201:202], -v[197:198], v[199:200], 1.0
	v_fma_f64 v[199:200], v[199:200], v[201:202], v[199:200]
	v_fma_f64 v[201:202], -v[197:198], v[199:200], 1.0
	v_fma_f64 v[199:200], v[199:200], v[201:202], v[199:200]
	v_div_scale_f64 v[201:202], vcc_lo, 1.0, v[1:2], 1.0
	v_mul_f64 v[203:204], v[201:202], v[199:200]
	v_fma_f64 v[197:198], -v[197:198], v[203:204], v[201:202]
	v_div_fmas_f64 v[197:198], v[197:198], v[199:200], v[203:204]
	v_div_fixup_f64 v[1:2], v[197:198], v[1:2], 1.0
	v_mul_f64 v[3:4], v[3:4], -v[1:2]
.LBB121_571:
	s_or_b32 exec_lo, exec_lo, s5
	ds_write2_b64 v255, v[1:2], v[3:4] offset1:1
.LBB121_572:
	s_or_b32 exec_lo, exec_lo, s6
	s_waitcnt lgkmcnt(0)
	s_barrier
	buffer_gl0_inv
	ds_read2_b64 v[197:200], v255 offset1:1
	s_mov_b32 s5, exec_lo
	v_cmpx_lt_u32_e32 49, v0
	s_cbranch_execz .LBB121_574
; %bb.573:
	s_clause 0xf
	buffer_load_dword v1, off, s[0:3], 0 offset:784
	buffer_load_dword v2, off, s[0:3], 0 offset:788
	;; [unrolled: 1-line block ×16, first 2 shown]
	s_waitcnt vmcnt(12) lgkmcnt(0)
	v_mul_f64 v[213:214], v[199:200], v[3:4]
	v_mul_f64 v[3:4], v[197:198], v[3:4]
	v_fma_f64 v[213:214], v[197:198], v[1:2], -v[213:214]
	v_fma_f64 v[215:216], v[199:200], v[1:2], v[3:4]
	buffer_store_dword v213, off, s[0:3], 0 offset:784
	buffer_store_dword v214, off, s[0:3], 0 offset:788
	buffer_store_dword v215, off, s[0:3], 0 offset:792
	buffer_store_dword v216, off, s[0:3], 0 offset:796
	ds_read2_b64 v[1:4], v241 offset0:100 offset1:101
	s_waitcnt lgkmcnt(0)
	v_mul_f64 v[217:218], v[3:4], v[215:216]
	v_fma_f64 v[217:218], v[1:2], v[213:214], -v[217:218]
	v_mul_f64 v[1:2], v[1:2], v[215:216]
	v_fma_f64 v[1:2], v[3:4], v[213:214], v[1:2]
	s_waitcnt vmcnt(10)
	v_add_f64 v[3:4], v[201:202], -v[217:218]
	s_waitcnt vmcnt(8)
	v_add_f64 v[1:2], v[203:204], -v[1:2]
	buffer_store_dword v3, off, s[0:3], 0 offset:800
	buffer_store_dword v4, off, s[0:3], 0 offset:804
	buffer_store_dword v1, off, s[0:3], 0 offset:808
	buffer_store_dword v2, off, s[0:3], 0 offset:812
	ds_read2_b64 v[1:4], v241 offset0:102 offset1:103
	s_waitcnt lgkmcnt(0)
	v_mul_f64 v[201:202], v[3:4], v[215:216]
	v_fma_f64 v[201:202], v[1:2], v[213:214], -v[201:202]
	v_mul_f64 v[1:2], v[1:2], v[215:216]
	v_fma_f64 v[1:2], v[3:4], v[213:214], v[1:2]
	s_waitcnt vmcnt(6)
	v_add_f64 v[3:4], v[205:206], -v[201:202]
	s_waitcnt vmcnt(4)
	v_add_f64 v[1:2], v[207:208], -v[1:2]
	;; [unrolled: 14-line block ×3, first 2 shown]
	buffer_store_dword v4, off, s[0:3], 0 offset:836
	buffer_store_dword v3, off, s[0:3], 0 offset:832
	buffer_store_dword v1, off, s[0:3], 0 offset:840
	buffer_store_dword v2, off, s[0:3], 0 offset:844
	ds_read2_b64 v[1:4], v241 offset0:106 offset1:107
	s_waitcnt lgkmcnt(0)
	v_mul_f64 v[201:202], v[3:4], v[215:216]
	v_fma_f64 v[201:202], v[1:2], v[213:214], -v[201:202]
	v_mul_f64 v[1:2], v[1:2], v[215:216]
	v_fma_f64 v[1:2], v[3:4], v[213:214], v[1:2]
	s_clause 0x3
	buffer_load_dword v3, off, s[0:3], 0 offset:848
	buffer_load_dword v4, off, s[0:3], 0 offset:852
	buffer_load_dword v203, off, s[0:3], 0 offset:856
	buffer_load_dword v204, off, s[0:3], 0 offset:860
	s_waitcnt vmcnt(2)
	v_add_f64 v[3:4], v[3:4], -v[201:202]
	s_waitcnt vmcnt(0)
	v_add_f64 v[1:2], v[203:204], -v[1:2]
	buffer_store_dword v4, off, s[0:3], 0 offset:852
	buffer_store_dword v3, off, s[0:3], 0 offset:848
	buffer_store_dword v2, off, s[0:3], 0 offset:860
	buffer_store_dword v1, off, s[0:3], 0 offset:856
	ds_read2_b64 v[1:4], v241 offset0:108 offset1:109
	s_waitcnt lgkmcnt(0)
	v_mul_f64 v[201:202], v[3:4], v[215:216]
	v_fma_f64 v[201:202], v[1:2], v[213:214], -v[201:202]
	v_mul_f64 v[1:2], v[1:2], v[215:216]
	v_fma_f64 v[1:2], v[3:4], v[213:214], v[1:2]
	s_clause 0x3
	buffer_load_dword v3, off, s[0:3], 0 offset:864
	buffer_load_dword v4, off, s[0:3], 0 offset:868
	buffer_load_dword v203, off, s[0:3], 0 offset:872
	buffer_load_dword v204, off, s[0:3], 0 offset:876
	s_waitcnt vmcnt(2)
	v_add_f64 v[3:4], v[3:4], -v[201:202]
	s_waitcnt vmcnt(0)
	v_add_f64 v[1:2], v[203:204], -v[1:2]
	;; [unrolled: 19-line block ×3, first 2 shown]
	buffer_store_dword v4, off, s[0:3], 0 offset:884
	buffer_store_dword v3, off, s[0:3], 0 offset:880
	;; [unrolled: 1-line block ×4, first 2 shown]
	ds_read2_b64 v[1:4], v241 offset0:112 offset1:113
	s_clause 0x3
	buffer_load_dword v201, off, s[0:3], 0 offset:784
	buffer_load_dword v202, off, s[0:3], 0 offset:788
	;; [unrolled: 1-line block ×4, first 2 shown]
	s_waitcnt vmcnt(0) lgkmcnt(0)
	v_mul_f64 v[205:206], v[3:4], v[203:204]
	v_fma_f64 v[205:206], v[1:2], v[201:202], -v[205:206]
	v_mul_f64 v[1:2], v[1:2], v[203:204]
	v_fma_f64 v[1:2], v[3:4], v[201:202], v[1:2]
	s_clause 0x1
	buffer_load_dword v4, off, s[0:3], 0 offset:900
	buffer_load_dword v3, off, s[0:3], 0 offset:896
	s_waitcnt vmcnt(0)
	v_add_f64 v[3:4], v[3:4], -v[205:206]
	s_clause 0x1
	buffer_load_dword v206, off, s[0:3], 0 offset:908
	buffer_load_dword v205, off, s[0:3], 0 offset:904
	s_waitcnt vmcnt(0)
	v_add_f64 v[1:2], v[205:206], -v[1:2]
	buffer_store_dword v4, off, s[0:3], 0 offset:900
	buffer_store_dword v3, off, s[0:3], 0 offset:896
	buffer_store_dword v2, off, s[0:3], 0 offset:908
	buffer_store_dword v1, off, s[0:3], 0 offset:904
	ds_read2_b64 v[1:4], v241 offset0:114 offset1:115
	s_waitcnt lgkmcnt(0)
	v_mul_f64 v[205:206], v[3:4], v[203:204]
	v_fma_f64 v[205:206], v[1:2], v[201:202], -v[205:206]
	v_mul_f64 v[1:2], v[1:2], v[203:204]
	v_fma_f64 v[1:2], v[3:4], v[201:202], v[1:2]
	s_clause 0x3
	buffer_load_dword v3, off, s[0:3], 0 offset:912
	buffer_load_dword v4, off, s[0:3], 0 offset:916
	buffer_load_dword v207, off, s[0:3], 0 offset:920
	buffer_load_dword v208, off, s[0:3], 0 offset:924
	s_waitcnt vmcnt(2)
	v_add_f64 v[3:4], v[3:4], -v[205:206]
	s_waitcnt vmcnt(0)
	v_add_f64 v[1:2], v[207:208], -v[1:2]
	buffer_store_dword v4, off, s[0:3], 0 offset:916
	buffer_store_dword v3, off, s[0:3], 0 offset:912
	buffer_store_dword v2, off, s[0:3], 0 offset:924
	buffer_store_dword v1, off, s[0:3], 0 offset:920
	ds_read2_b64 v[1:4], v241 offset0:116 offset1:117
	s_waitcnt lgkmcnt(0)
	v_mul_f64 v[205:206], v[3:4], v[203:204]
	v_fma_f64 v[205:206], v[1:2], v[201:202], -v[205:206]
	v_mul_f64 v[1:2], v[1:2], v[203:204]
	v_fma_f64 v[1:2], v[3:4], v[201:202], v[1:2]
	s_clause 0x3
	buffer_load_dword v3, off, s[0:3], 0 offset:928
	buffer_load_dword v4, off, s[0:3], 0 offset:932
	buffer_load_dword v207, off, s[0:3], 0 offset:936
	buffer_load_dword v208, off, s[0:3], 0 offset:940
	s_waitcnt vmcnt(2)
	v_add_f64 v[3:4], v[3:4], -v[205:206]
	;; [unrolled: 19-line block ×4, first 2 shown]
	s_waitcnt vmcnt(0)
	v_add_f64 v[1:2], v[201:202], -v[1:2]
	buffer_store_dword v4, off, s[0:3], 0 offset:964
	buffer_store_dword v3, off, s[0:3], 0 offset:960
	;; [unrolled: 1-line block ×4, first 2 shown]
.LBB121_574:
	s_or_b32 exec_lo, exec_lo, s5
	s_mov_b32 s6, exec_lo
	s_waitcnt lgkmcnt(0)
	s_waitcnt_vscnt null, 0x0
	s_barrier
	buffer_gl0_inv
	v_cmpx_eq_u32_e32 50, v0
	s_cbranch_execz .LBB121_581
; %bb.575:
	v_mov_b32_e32 v4, s25
	s_clause 0x3
	buffer_load_dword v1, v4, s[0:3], 0 offen
	buffer_load_dword v2, v4, s[0:3], 0 offen offset:4
	buffer_load_dword v3, v4, s[0:3], 0 offen offset:8
	;; [unrolled: 1-line block ×3, first 2 shown]
	s_waitcnt vmcnt(0)
	ds_write2_b64 v255, v[1:2], v[3:4] offset1:1
	v_mov_b32_e32 v4, s24
	s_clause 0x3
	buffer_load_dword v1, v4, s[0:3], 0 offen
	buffer_load_dword v2, v4, s[0:3], 0 offen offset:4
	buffer_load_dword v3, v4, s[0:3], 0 offen offset:8
	buffer_load_dword v4, v4, s[0:3], 0 offen offset:12
	s_waitcnt vmcnt(0)
	ds_write2_b64 v241, v[1:2], v[3:4] offset0:102 offset1:103
	v_mov_b32_e32 v4, s23
	s_clause 0x3
	buffer_load_dword v1, v4, s[0:3], 0 offen
	buffer_load_dword v2, v4, s[0:3], 0 offen offset:4
	buffer_load_dword v3, v4, s[0:3], 0 offen offset:8
	buffer_load_dword v4, v4, s[0:3], 0 offen offset:12
	s_waitcnt vmcnt(0)
	ds_write2_b64 v241, v[1:2], v[3:4] offset0:104 offset1:105
	;; [unrolled: 8-line block ×10, first 2 shown]
	ds_read2_b64 v[201:204], v255 offset1:1
	s_waitcnt lgkmcnt(0)
	v_cmp_neq_f64_e32 vcc_lo, 0, v[201:202]
	v_cmp_neq_f64_e64 s5, 0, v[203:204]
	s_or_b32 s5, vcc_lo, s5
	s_and_b32 exec_lo, exec_lo, s5
	s_cbranch_execz .LBB121_581
; %bb.576:
	v_cmp_ngt_f64_e64 s5, |v[201:202]|, |v[203:204]|
                                        ; implicit-def: $vgpr1_vgpr2
	s_and_saveexec_b32 s7, s5
	s_xor_b32 s5, exec_lo, s7
                                        ; implicit-def: $vgpr3_vgpr4
	s_cbranch_execz .LBB121_578
; %bb.577:
	v_div_scale_f64 v[1:2], null, v[203:204], v[203:204], v[201:202]
	v_div_scale_f64 v[207:208], vcc_lo, v[201:202], v[203:204], v[201:202]
	v_rcp_f64_e32 v[3:4], v[1:2]
	v_fma_f64 v[205:206], -v[1:2], v[3:4], 1.0
	v_fma_f64 v[3:4], v[3:4], v[205:206], v[3:4]
	v_fma_f64 v[205:206], -v[1:2], v[3:4], 1.0
	v_fma_f64 v[3:4], v[3:4], v[205:206], v[3:4]
	v_mul_f64 v[205:206], v[207:208], v[3:4]
	v_fma_f64 v[1:2], -v[1:2], v[205:206], v[207:208]
	v_div_fmas_f64 v[1:2], v[1:2], v[3:4], v[205:206]
	v_div_fixup_f64 v[1:2], v[1:2], v[203:204], v[201:202]
	v_fma_f64 v[3:4], v[201:202], v[1:2], v[203:204]
	v_div_scale_f64 v[201:202], null, v[3:4], v[3:4], 1.0
	v_rcp_f64_e32 v[203:204], v[201:202]
	v_fma_f64 v[205:206], -v[201:202], v[203:204], 1.0
	v_fma_f64 v[203:204], v[203:204], v[205:206], v[203:204]
	v_fma_f64 v[205:206], -v[201:202], v[203:204], 1.0
	v_fma_f64 v[203:204], v[203:204], v[205:206], v[203:204]
	v_div_scale_f64 v[205:206], vcc_lo, 1.0, v[3:4], 1.0
	v_mul_f64 v[207:208], v[205:206], v[203:204]
	v_fma_f64 v[201:202], -v[201:202], v[207:208], v[205:206]
	v_div_fmas_f64 v[201:202], v[201:202], v[203:204], v[207:208]
	v_div_fixup_f64 v[3:4], v[201:202], v[3:4], 1.0
                                        ; implicit-def: $vgpr201_vgpr202
	v_mul_f64 v[1:2], v[1:2], v[3:4]
	v_xor_b32_e32 v4, 0x80000000, v4
.LBB121_578:
	s_andn2_saveexec_b32 s5, s5
	s_cbranch_execz .LBB121_580
; %bb.579:
	v_div_scale_f64 v[1:2], null, v[201:202], v[201:202], v[203:204]
	v_div_scale_f64 v[207:208], vcc_lo, v[203:204], v[201:202], v[203:204]
	v_rcp_f64_e32 v[3:4], v[1:2]
	v_fma_f64 v[205:206], -v[1:2], v[3:4], 1.0
	v_fma_f64 v[3:4], v[3:4], v[205:206], v[3:4]
	v_fma_f64 v[205:206], -v[1:2], v[3:4], 1.0
	v_fma_f64 v[3:4], v[3:4], v[205:206], v[3:4]
	v_mul_f64 v[205:206], v[207:208], v[3:4]
	v_fma_f64 v[1:2], -v[1:2], v[205:206], v[207:208]
	v_div_fmas_f64 v[1:2], v[1:2], v[3:4], v[205:206]
	v_div_fixup_f64 v[3:4], v[1:2], v[201:202], v[203:204]
	v_fma_f64 v[1:2], v[203:204], v[3:4], v[201:202]
	v_div_scale_f64 v[201:202], null, v[1:2], v[1:2], 1.0
	v_rcp_f64_e32 v[203:204], v[201:202]
	v_fma_f64 v[205:206], -v[201:202], v[203:204], 1.0
	v_fma_f64 v[203:204], v[203:204], v[205:206], v[203:204]
	v_fma_f64 v[205:206], -v[201:202], v[203:204], 1.0
	v_fma_f64 v[203:204], v[203:204], v[205:206], v[203:204]
	v_div_scale_f64 v[205:206], vcc_lo, 1.0, v[1:2], 1.0
	v_mul_f64 v[207:208], v[205:206], v[203:204]
	v_fma_f64 v[201:202], -v[201:202], v[207:208], v[205:206]
	v_div_fmas_f64 v[201:202], v[201:202], v[203:204], v[207:208]
	v_div_fixup_f64 v[1:2], v[201:202], v[1:2], 1.0
	v_mul_f64 v[3:4], v[3:4], -v[1:2]
.LBB121_580:
	s_or_b32 exec_lo, exec_lo, s5
	ds_write2_b64 v255, v[1:2], v[3:4] offset1:1
.LBB121_581:
	s_or_b32 exec_lo, exec_lo, s6
	s_waitcnt lgkmcnt(0)
	s_barrier
	buffer_gl0_inv
	ds_read2_b64 v[201:204], v255 offset1:1
	s_mov_b32 s5, exec_lo
	v_cmpx_lt_u32_e32 50, v0
	s_cbranch_execz .LBB121_583
; %bb.582:
	s_clause 0xf
	buffer_load_dword v1, off, s[0:3], 0 offset:800
	buffer_load_dword v2, off, s[0:3], 0 offset:804
	;; [unrolled: 1-line block ×16, first 2 shown]
	s_waitcnt vmcnt(12) lgkmcnt(0)
	v_mul_f64 v[217:218], v[203:204], v[3:4]
	v_mul_f64 v[3:4], v[201:202], v[3:4]
	v_fma_f64 v[217:218], v[201:202], v[1:2], -v[217:218]
	v_fma_f64 v[219:220], v[203:204], v[1:2], v[3:4]
	buffer_store_dword v217, off, s[0:3], 0 offset:800
	buffer_store_dword v218, off, s[0:3], 0 offset:804
	buffer_store_dword v219, off, s[0:3], 0 offset:808
	buffer_store_dword v220, off, s[0:3], 0 offset:812
	ds_read2_b64 v[1:4], v241 offset0:102 offset1:103
	s_waitcnt lgkmcnt(0)
	v_mul_f64 v[221:222], v[3:4], v[219:220]
	v_fma_f64 v[221:222], v[1:2], v[217:218], -v[221:222]
	v_mul_f64 v[1:2], v[1:2], v[219:220]
	v_fma_f64 v[1:2], v[3:4], v[217:218], v[1:2]
	s_waitcnt vmcnt(10)
	v_add_f64 v[3:4], v[205:206], -v[221:222]
	s_waitcnt vmcnt(8)
	v_add_f64 v[1:2], v[207:208], -v[1:2]
	buffer_store_dword v3, off, s[0:3], 0 offset:816
	buffer_store_dword v4, off, s[0:3], 0 offset:820
	buffer_store_dword v1, off, s[0:3], 0 offset:824
	buffer_store_dword v2, off, s[0:3], 0 offset:828
	ds_read2_b64 v[1:4], v241 offset0:104 offset1:105
	s_waitcnt lgkmcnt(0)
	v_mul_f64 v[205:206], v[3:4], v[219:220]
	v_fma_f64 v[205:206], v[1:2], v[217:218], -v[205:206]
	v_mul_f64 v[1:2], v[1:2], v[219:220]
	v_fma_f64 v[1:2], v[3:4], v[217:218], v[1:2]
	s_waitcnt vmcnt(6)
	v_add_f64 v[3:4], v[209:210], -v[205:206]
	s_waitcnt vmcnt(4)
	v_add_f64 v[1:2], v[211:212], -v[1:2]
	;; [unrolled: 14-line block ×3, first 2 shown]
	buffer_store_dword v4, off, s[0:3], 0 offset:852
	buffer_store_dword v3, off, s[0:3], 0 offset:848
	buffer_store_dword v1, off, s[0:3], 0 offset:856
	buffer_store_dword v2, off, s[0:3], 0 offset:860
	ds_read2_b64 v[1:4], v241 offset0:108 offset1:109
	s_waitcnt lgkmcnt(0)
	v_mul_f64 v[205:206], v[3:4], v[219:220]
	v_fma_f64 v[205:206], v[1:2], v[217:218], -v[205:206]
	v_mul_f64 v[1:2], v[1:2], v[219:220]
	v_fma_f64 v[1:2], v[3:4], v[217:218], v[1:2]
	s_clause 0x3
	buffer_load_dword v3, off, s[0:3], 0 offset:864
	buffer_load_dword v4, off, s[0:3], 0 offset:868
	buffer_load_dword v207, off, s[0:3], 0 offset:872
	buffer_load_dword v208, off, s[0:3], 0 offset:876
	s_waitcnt vmcnt(2)
	v_add_f64 v[3:4], v[3:4], -v[205:206]
	s_waitcnt vmcnt(0)
	v_add_f64 v[1:2], v[207:208], -v[1:2]
	buffer_store_dword v4, off, s[0:3], 0 offset:868
	buffer_store_dword v3, off, s[0:3], 0 offset:864
	buffer_store_dword v2, off, s[0:3], 0 offset:876
	buffer_store_dword v1, off, s[0:3], 0 offset:872
	ds_read2_b64 v[1:4], v241 offset0:110 offset1:111
	s_waitcnt lgkmcnt(0)
	v_mul_f64 v[205:206], v[3:4], v[219:220]
	v_fma_f64 v[205:206], v[1:2], v[217:218], -v[205:206]
	v_mul_f64 v[1:2], v[1:2], v[219:220]
	v_fma_f64 v[1:2], v[3:4], v[217:218], v[1:2]
	s_clause 0x3
	buffer_load_dword v3, off, s[0:3], 0 offset:880
	buffer_load_dword v4, off, s[0:3], 0 offset:884
	buffer_load_dword v207, off, s[0:3], 0 offset:888
	buffer_load_dword v208, off, s[0:3], 0 offset:892
	s_waitcnt vmcnt(2)
	v_add_f64 v[3:4], v[3:4], -v[205:206]
	s_waitcnt vmcnt(0)
	v_add_f64 v[1:2], v[207:208], -v[1:2]
	;; [unrolled: 19-line block ×3, first 2 shown]
	buffer_store_dword v4, off, s[0:3], 0 offset:900
	buffer_store_dword v3, off, s[0:3], 0 offset:896
	;; [unrolled: 1-line block ×4, first 2 shown]
	ds_read2_b64 v[1:4], v241 offset0:114 offset1:115
	s_clause 0x3
	buffer_load_dword v205, off, s[0:3], 0 offset:800
	buffer_load_dword v206, off, s[0:3], 0 offset:804
	;; [unrolled: 1-line block ×4, first 2 shown]
	s_waitcnt vmcnt(0) lgkmcnt(0)
	v_mul_f64 v[209:210], v[3:4], v[207:208]
	v_fma_f64 v[209:210], v[1:2], v[205:206], -v[209:210]
	v_mul_f64 v[1:2], v[1:2], v[207:208]
	v_fma_f64 v[1:2], v[3:4], v[205:206], v[1:2]
	s_clause 0x1
	buffer_load_dword v4, off, s[0:3], 0 offset:916
	buffer_load_dword v3, off, s[0:3], 0 offset:912
	s_waitcnt vmcnt(0)
	v_add_f64 v[3:4], v[3:4], -v[209:210]
	s_clause 0x1
	buffer_load_dword v210, off, s[0:3], 0 offset:924
	buffer_load_dword v209, off, s[0:3], 0 offset:920
	s_waitcnt vmcnt(0)
	v_add_f64 v[1:2], v[209:210], -v[1:2]
	buffer_store_dword v4, off, s[0:3], 0 offset:916
	buffer_store_dword v3, off, s[0:3], 0 offset:912
	buffer_store_dword v2, off, s[0:3], 0 offset:924
	buffer_store_dword v1, off, s[0:3], 0 offset:920
	ds_read2_b64 v[1:4], v241 offset0:116 offset1:117
	s_waitcnt lgkmcnt(0)
	v_mul_f64 v[209:210], v[3:4], v[207:208]
	v_fma_f64 v[209:210], v[1:2], v[205:206], -v[209:210]
	v_mul_f64 v[1:2], v[1:2], v[207:208]
	v_fma_f64 v[1:2], v[3:4], v[205:206], v[1:2]
	s_clause 0x3
	buffer_load_dword v3, off, s[0:3], 0 offset:928
	buffer_load_dword v4, off, s[0:3], 0 offset:932
	buffer_load_dword v211, off, s[0:3], 0 offset:936
	buffer_load_dword v212, off, s[0:3], 0 offset:940
	s_waitcnt vmcnt(2)
	v_add_f64 v[3:4], v[3:4], -v[209:210]
	s_waitcnt vmcnt(0)
	v_add_f64 v[1:2], v[211:212], -v[1:2]
	buffer_store_dword v4, off, s[0:3], 0 offset:932
	buffer_store_dword v3, off, s[0:3], 0 offset:928
	buffer_store_dword v2, off, s[0:3], 0 offset:940
	buffer_store_dword v1, off, s[0:3], 0 offset:936
	ds_read2_b64 v[1:4], v241 offset0:118 offset1:119
	s_waitcnt lgkmcnt(0)
	v_mul_f64 v[209:210], v[3:4], v[207:208]
	v_fma_f64 v[209:210], v[1:2], v[205:206], -v[209:210]
	v_mul_f64 v[1:2], v[1:2], v[207:208]
	v_fma_f64 v[1:2], v[3:4], v[205:206], v[1:2]
	s_clause 0x3
	buffer_load_dword v3, off, s[0:3], 0 offset:944
	buffer_load_dword v4, off, s[0:3], 0 offset:948
	buffer_load_dword v211, off, s[0:3], 0 offset:952
	buffer_load_dword v212, off, s[0:3], 0 offset:956
	s_waitcnt vmcnt(2)
	v_add_f64 v[3:4], v[3:4], -v[209:210]
	;; [unrolled: 19-line block ×3, first 2 shown]
	s_waitcnt vmcnt(0)
	v_add_f64 v[1:2], v[205:206], -v[1:2]
	buffer_store_dword v4, off, s[0:3], 0 offset:964
	buffer_store_dword v3, off, s[0:3], 0 offset:960
	;; [unrolled: 1-line block ×4, first 2 shown]
.LBB121_583:
	s_or_b32 exec_lo, exec_lo, s5
	s_mov_b32 s6, exec_lo
	s_waitcnt lgkmcnt(0)
	s_waitcnt_vscnt null, 0x0
	s_barrier
	buffer_gl0_inv
	v_cmpx_eq_u32_e32 51, v0
	s_cbranch_execz .LBB121_590
; %bb.584:
	v_mov_b32_e32 v4, s24
	s_clause 0x3
	buffer_load_dword v1, v4, s[0:3], 0 offen
	buffer_load_dword v2, v4, s[0:3], 0 offen offset:4
	buffer_load_dword v3, v4, s[0:3], 0 offen offset:8
	;; [unrolled: 1-line block ×3, first 2 shown]
	s_waitcnt vmcnt(0)
	ds_write2_b64 v255, v[1:2], v[3:4] offset1:1
	v_mov_b32_e32 v4, s23
	s_clause 0x3
	buffer_load_dword v1, v4, s[0:3], 0 offen
	buffer_load_dword v2, v4, s[0:3], 0 offen offset:4
	buffer_load_dword v3, v4, s[0:3], 0 offen offset:8
	buffer_load_dword v4, v4, s[0:3], 0 offen offset:12
	s_waitcnt vmcnt(0)
	ds_write2_b64 v241, v[1:2], v[3:4] offset0:104 offset1:105
	v_mov_b32_e32 v4, s22
	s_clause 0x3
	buffer_load_dword v1, v4, s[0:3], 0 offen
	buffer_load_dword v2, v4, s[0:3], 0 offen offset:4
	buffer_load_dword v3, v4, s[0:3], 0 offen offset:8
	buffer_load_dword v4, v4, s[0:3], 0 offen offset:12
	s_waitcnt vmcnt(0)
	ds_write2_b64 v241, v[1:2], v[3:4] offset0:106 offset1:107
	;; [unrolled: 8-line block ×9, first 2 shown]
	ds_read2_b64 v[205:208], v255 offset1:1
	s_waitcnt lgkmcnt(0)
	v_cmp_neq_f64_e32 vcc_lo, 0, v[205:206]
	v_cmp_neq_f64_e64 s5, 0, v[207:208]
	s_or_b32 s5, vcc_lo, s5
	s_and_b32 exec_lo, exec_lo, s5
	s_cbranch_execz .LBB121_590
; %bb.585:
	v_cmp_ngt_f64_e64 s5, |v[205:206]|, |v[207:208]|
                                        ; implicit-def: $vgpr1_vgpr2
	s_and_saveexec_b32 s7, s5
	s_xor_b32 s5, exec_lo, s7
                                        ; implicit-def: $vgpr3_vgpr4
	s_cbranch_execz .LBB121_587
; %bb.586:
	v_div_scale_f64 v[1:2], null, v[207:208], v[207:208], v[205:206]
	v_div_scale_f64 v[211:212], vcc_lo, v[205:206], v[207:208], v[205:206]
	v_rcp_f64_e32 v[3:4], v[1:2]
	v_fma_f64 v[209:210], -v[1:2], v[3:4], 1.0
	v_fma_f64 v[3:4], v[3:4], v[209:210], v[3:4]
	v_fma_f64 v[209:210], -v[1:2], v[3:4], 1.0
	v_fma_f64 v[3:4], v[3:4], v[209:210], v[3:4]
	v_mul_f64 v[209:210], v[211:212], v[3:4]
	v_fma_f64 v[1:2], -v[1:2], v[209:210], v[211:212]
	v_div_fmas_f64 v[1:2], v[1:2], v[3:4], v[209:210]
	v_div_fixup_f64 v[1:2], v[1:2], v[207:208], v[205:206]
	v_fma_f64 v[3:4], v[205:206], v[1:2], v[207:208]
	v_div_scale_f64 v[205:206], null, v[3:4], v[3:4], 1.0
	v_rcp_f64_e32 v[207:208], v[205:206]
	v_fma_f64 v[209:210], -v[205:206], v[207:208], 1.0
	v_fma_f64 v[207:208], v[207:208], v[209:210], v[207:208]
	v_fma_f64 v[209:210], -v[205:206], v[207:208], 1.0
	v_fma_f64 v[207:208], v[207:208], v[209:210], v[207:208]
	v_div_scale_f64 v[209:210], vcc_lo, 1.0, v[3:4], 1.0
	v_mul_f64 v[211:212], v[209:210], v[207:208]
	v_fma_f64 v[205:206], -v[205:206], v[211:212], v[209:210]
	v_div_fmas_f64 v[205:206], v[205:206], v[207:208], v[211:212]
	v_div_fixup_f64 v[3:4], v[205:206], v[3:4], 1.0
                                        ; implicit-def: $vgpr205_vgpr206
	v_mul_f64 v[1:2], v[1:2], v[3:4]
	v_xor_b32_e32 v4, 0x80000000, v4
.LBB121_587:
	s_andn2_saveexec_b32 s5, s5
	s_cbranch_execz .LBB121_589
; %bb.588:
	v_div_scale_f64 v[1:2], null, v[205:206], v[205:206], v[207:208]
	v_div_scale_f64 v[211:212], vcc_lo, v[207:208], v[205:206], v[207:208]
	v_rcp_f64_e32 v[3:4], v[1:2]
	v_fma_f64 v[209:210], -v[1:2], v[3:4], 1.0
	v_fma_f64 v[3:4], v[3:4], v[209:210], v[3:4]
	v_fma_f64 v[209:210], -v[1:2], v[3:4], 1.0
	v_fma_f64 v[3:4], v[3:4], v[209:210], v[3:4]
	v_mul_f64 v[209:210], v[211:212], v[3:4]
	v_fma_f64 v[1:2], -v[1:2], v[209:210], v[211:212]
	v_div_fmas_f64 v[1:2], v[1:2], v[3:4], v[209:210]
	v_div_fixup_f64 v[3:4], v[1:2], v[205:206], v[207:208]
	v_fma_f64 v[1:2], v[207:208], v[3:4], v[205:206]
	v_div_scale_f64 v[205:206], null, v[1:2], v[1:2], 1.0
	v_rcp_f64_e32 v[207:208], v[205:206]
	v_fma_f64 v[209:210], -v[205:206], v[207:208], 1.0
	v_fma_f64 v[207:208], v[207:208], v[209:210], v[207:208]
	v_fma_f64 v[209:210], -v[205:206], v[207:208], 1.0
	v_fma_f64 v[207:208], v[207:208], v[209:210], v[207:208]
	v_div_scale_f64 v[209:210], vcc_lo, 1.0, v[1:2], 1.0
	v_mul_f64 v[211:212], v[209:210], v[207:208]
	v_fma_f64 v[205:206], -v[205:206], v[211:212], v[209:210]
	v_div_fmas_f64 v[205:206], v[205:206], v[207:208], v[211:212]
	v_div_fixup_f64 v[1:2], v[205:206], v[1:2], 1.0
	v_mul_f64 v[3:4], v[3:4], -v[1:2]
.LBB121_589:
	s_or_b32 exec_lo, exec_lo, s5
	ds_write2_b64 v255, v[1:2], v[3:4] offset1:1
.LBB121_590:
	s_or_b32 exec_lo, exec_lo, s6
	s_waitcnt lgkmcnt(0)
	s_barrier
	buffer_gl0_inv
	ds_read2_b64 v[205:208], v255 offset1:1
	s_mov_b32 s5, exec_lo
	v_cmpx_lt_u32_e32 51, v0
	s_cbranch_execz .LBB121_592
; %bb.591:
	s_clause 0xf
	buffer_load_dword v1, off, s[0:3], 0 offset:816
	buffer_load_dword v2, off, s[0:3], 0 offset:820
	;; [unrolled: 1-line block ×16, first 2 shown]
	s_waitcnt vmcnt(12) lgkmcnt(0)
	v_mul_f64 v[221:222], v[207:208], v[3:4]
	v_mul_f64 v[3:4], v[205:206], v[3:4]
	v_fma_f64 v[221:222], v[205:206], v[1:2], -v[221:222]
	v_fma_f64 v[223:224], v[207:208], v[1:2], v[3:4]
	buffer_store_dword v221, off, s[0:3], 0 offset:816
	buffer_store_dword v222, off, s[0:3], 0 offset:820
	buffer_store_dword v223, off, s[0:3], 0 offset:824
	buffer_store_dword v224, off, s[0:3], 0 offset:828
	ds_read2_b64 v[1:4], v241 offset0:104 offset1:105
	s_waitcnt lgkmcnt(0)
	v_mul_f64 v[225:226], v[3:4], v[223:224]
	v_fma_f64 v[225:226], v[1:2], v[221:222], -v[225:226]
	v_mul_f64 v[1:2], v[1:2], v[223:224]
	v_fma_f64 v[1:2], v[3:4], v[221:222], v[1:2]
	s_waitcnt vmcnt(10)
	v_add_f64 v[3:4], v[209:210], -v[225:226]
	s_waitcnt vmcnt(8)
	v_add_f64 v[1:2], v[211:212], -v[1:2]
	buffer_store_dword v3, off, s[0:3], 0 offset:832
	buffer_store_dword v4, off, s[0:3], 0 offset:836
	buffer_store_dword v1, off, s[0:3], 0 offset:840
	buffer_store_dword v2, off, s[0:3], 0 offset:844
	ds_read2_b64 v[1:4], v241 offset0:106 offset1:107
	s_waitcnt lgkmcnt(0)
	v_mul_f64 v[209:210], v[3:4], v[223:224]
	v_fma_f64 v[209:210], v[1:2], v[221:222], -v[209:210]
	v_mul_f64 v[1:2], v[1:2], v[223:224]
	v_fma_f64 v[1:2], v[3:4], v[221:222], v[1:2]
	s_waitcnt vmcnt(6)
	v_add_f64 v[3:4], v[213:214], -v[209:210]
	s_waitcnt vmcnt(4)
	v_add_f64 v[1:2], v[215:216], -v[1:2]
	;; [unrolled: 14-line block ×3, first 2 shown]
	buffer_store_dword v4, off, s[0:3], 0 offset:868
	buffer_store_dword v3, off, s[0:3], 0 offset:864
	buffer_store_dword v1, off, s[0:3], 0 offset:872
	buffer_store_dword v2, off, s[0:3], 0 offset:876
	ds_read2_b64 v[1:4], v241 offset0:110 offset1:111
	s_waitcnt lgkmcnt(0)
	v_mul_f64 v[209:210], v[3:4], v[223:224]
	v_fma_f64 v[209:210], v[1:2], v[221:222], -v[209:210]
	v_mul_f64 v[1:2], v[1:2], v[223:224]
	v_fma_f64 v[1:2], v[3:4], v[221:222], v[1:2]
	s_clause 0x3
	buffer_load_dword v3, off, s[0:3], 0 offset:880
	buffer_load_dword v4, off, s[0:3], 0 offset:884
	buffer_load_dword v211, off, s[0:3], 0 offset:888
	buffer_load_dword v212, off, s[0:3], 0 offset:892
	s_waitcnt vmcnt(2)
	v_add_f64 v[3:4], v[3:4], -v[209:210]
	s_waitcnt vmcnt(0)
	v_add_f64 v[1:2], v[211:212], -v[1:2]
	buffer_store_dword v4, off, s[0:3], 0 offset:884
	buffer_store_dword v3, off, s[0:3], 0 offset:880
	buffer_store_dword v2, off, s[0:3], 0 offset:892
	buffer_store_dword v1, off, s[0:3], 0 offset:888
	ds_read2_b64 v[1:4], v241 offset0:112 offset1:113
	s_waitcnt lgkmcnt(0)
	v_mul_f64 v[209:210], v[3:4], v[223:224]
	v_fma_f64 v[209:210], v[1:2], v[221:222], -v[209:210]
	v_mul_f64 v[1:2], v[1:2], v[223:224]
	v_fma_f64 v[1:2], v[3:4], v[221:222], v[1:2]
	s_clause 0x3
	buffer_load_dword v3, off, s[0:3], 0 offset:896
	buffer_load_dword v4, off, s[0:3], 0 offset:900
	buffer_load_dword v211, off, s[0:3], 0 offset:904
	buffer_load_dword v212, off, s[0:3], 0 offset:908
	s_waitcnt vmcnt(2)
	v_add_f64 v[3:4], v[3:4], -v[209:210]
	s_waitcnt vmcnt(0)
	v_add_f64 v[1:2], v[211:212], -v[1:2]
	;; [unrolled: 19-line block ×3, first 2 shown]
	buffer_store_dword v4, off, s[0:3], 0 offset:916
	buffer_store_dword v3, off, s[0:3], 0 offset:912
	buffer_store_dword v2, off, s[0:3], 0 offset:924
	buffer_store_dword v1, off, s[0:3], 0 offset:920
	ds_read2_b64 v[1:4], v241 offset0:116 offset1:117
	s_clause 0x3
	buffer_load_dword v209, off, s[0:3], 0 offset:816
	buffer_load_dword v210, off, s[0:3], 0 offset:820
	;; [unrolled: 1-line block ×4, first 2 shown]
	s_waitcnt vmcnt(0) lgkmcnt(0)
	v_mul_f64 v[213:214], v[3:4], v[211:212]
	v_fma_f64 v[213:214], v[1:2], v[209:210], -v[213:214]
	v_mul_f64 v[1:2], v[1:2], v[211:212]
	v_fma_f64 v[1:2], v[3:4], v[209:210], v[1:2]
	s_clause 0x1
	buffer_load_dword v4, off, s[0:3], 0 offset:932
	buffer_load_dword v3, off, s[0:3], 0 offset:928
	s_waitcnt vmcnt(0)
	v_add_f64 v[3:4], v[3:4], -v[213:214]
	s_clause 0x1
	buffer_load_dword v214, off, s[0:3], 0 offset:940
	buffer_load_dword v213, off, s[0:3], 0 offset:936
	s_waitcnt vmcnt(0)
	v_add_f64 v[1:2], v[213:214], -v[1:2]
	buffer_store_dword v4, off, s[0:3], 0 offset:932
	buffer_store_dword v3, off, s[0:3], 0 offset:928
	;; [unrolled: 1-line block ×4, first 2 shown]
	ds_read2_b64 v[1:4], v241 offset0:118 offset1:119
	s_waitcnt lgkmcnt(0)
	v_mul_f64 v[213:214], v[3:4], v[211:212]
	v_fma_f64 v[213:214], v[1:2], v[209:210], -v[213:214]
	v_mul_f64 v[1:2], v[1:2], v[211:212]
	v_fma_f64 v[1:2], v[3:4], v[209:210], v[1:2]
	s_clause 0x3
	buffer_load_dword v3, off, s[0:3], 0 offset:944
	buffer_load_dword v4, off, s[0:3], 0 offset:948
	;; [unrolled: 1-line block ×4, first 2 shown]
	s_waitcnt vmcnt(2)
	v_add_f64 v[3:4], v[3:4], -v[213:214]
	s_waitcnt vmcnt(0)
	v_add_f64 v[1:2], v[215:216], -v[1:2]
	buffer_store_dword v4, off, s[0:3], 0 offset:948
	buffer_store_dword v3, off, s[0:3], 0 offset:944
	;; [unrolled: 1-line block ×4, first 2 shown]
	ds_read2_b64 v[1:4], v241 offset0:120 offset1:121
	s_waitcnt lgkmcnt(0)
	v_mul_f64 v[213:214], v[3:4], v[211:212]
	v_fma_f64 v[213:214], v[1:2], v[209:210], -v[213:214]
	v_mul_f64 v[1:2], v[1:2], v[211:212]
	v_fma_f64 v[1:2], v[3:4], v[209:210], v[1:2]
	s_clause 0x3
	buffer_load_dword v3, off, s[0:3], 0 offset:960
	buffer_load_dword v4, off, s[0:3], 0 offset:964
	;; [unrolled: 1-line block ×4, first 2 shown]
	s_waitcnt vmcnt(2)
	v_add_f64 v[3:4], v[3:4], -v[213:214]
	s_waitcnt vmcnt(0)
	v_add_f64 v[1:2], v[209:210], -v[1:2]
	buffer_store_dword v4, off, s[0:3], 0 offset:964
	buffer_store_dword v3, off, s[0:3], 0 offset:960
	;; [unrolled: 1-line block ×4, first 2 shown]
.LBB121_592:
	s_or_b32 exec_lo, exec_lo, s5
	s_mov_b32 s6, exec_lo
	s_waitcnt lgkmcnt(0)
	s_waitcnt_vscnt null, 0x0
	s_barrier
	buffer_gl0_inv
	v_cmpx_eq_u32_e32 52, v0
	s_cbranch_execz .LBB121_599
; %bb.593:
	v_mov_b32_e32 v4, s23
	s_clause 0x3
	buffer_load_dword v1, v4, s[0:3], 0 offen
	buffer_load_dword v2, v4, s[0:3], 0 offen offset:4
	buffer_load_dword v3, v4, s[0:3], 0 offen offset:8
	;; [unrolled: 1-line block ×3, first 2 shown]
	s_waitcnt vmcnt(0)
	ds_write2_b64 v255, v[1:2], v[3:4] offset1:1
	v_mov_b32_e32 v4, s22
	s_clause 0x3
	buffer_load_dword v1, v4, s[0:3], 0 offen
	buffer_load_dword v2, v4, s[0:3], 0 offen offset:4
	buffer_load_dword v3, v4, s[0:3], 0 offen offset:8
	buffer_load_dword v4, v4, s[0:3], 0 offen offset:12
	s_waitcnt vmcnt(0)
	ds_write2_b64 v241, v[1:2], v[3:4] offset0:106 offset1:107
	v_mov_b32_e32 v4, s21
	s_clause 0x3
	buffer_load_dword v1, v4, s[0:3], 0 offen
	buffer_load_dword v2, v4, s[0:3], 0 offen offset:4
	buffer_load_dword v3, v4, s[0:3], 0 offen offset:8
	buffer_load_dword v4, v4, s[0:3], 0 offen offset:12
	s_waitcnt vmcnt(0)
	ds_write2_b64 v241, v[1:2], v[3:4] offset0:108 offset1:109
	;; [unrolled: 8-line block ×8, first 2 shown]
	ds_read2_b64 v[209:212], v255 offset1:1
	s_waitcnt lgkmcnt(0)
	v_cmp_neq_f64_e32 vcc_lo, 0, v[209:210]
	v_cmp_neq_f64_e64 s5, 0, v[211:212]
	s_or_b32 s5, vcc_lo, s5
	s_and_b32 exec_lo, exec_lo, s5
	s_cbranch_execz .LBB121_599
; %bb.594:
	v_cmp_ngt_f64_e64 s5, |v[209:210]|, |v[211:212]|
                                        ; implicit-def: $vgpr1_vgpr2
	s_and_saveexec_b32 s7, s5
	s_xor_b32 s5, exec_lo, s7
                                        ; implicit-def: $vgpr3_vgpr4
	s_cbranch_execz .LBB121_596
; %bb.595:
	v_div_scale_f64 v[1:2], null, v[211:212], v[211:212], v[209:210]
	v_div_scale_f64 v[215:216], vcc_lo, v[209:210], v[211:212], v[209:210]
	v_rcp_f64_e32 v[3:4], v[1:2]
	v_fma_f64 v[213:214], -v[1:2], v[3:4], 1.0
	v_fma_f64 v[3:4], v[3:4], v[213:214], v[3:4]
	v_fma_f64 v[213:214], -v[1:2], v[3:4], 1.0
	v_fma_f64 v[3:4], v[3:4], v[213:214], v[3:4]
	v_mul_f64 v[213:214], v[215:216], v[3:4]
	v_fma_f64 v[1:2], -v[1:2], v[213:214], v[215:216]
	v_div_fmas_f64 v[1:2], v[1:2], v[3:4], v[213:214]
	v_div_fixup_f64 v[1:2], v[1:2], v[211:212], v[209:210]
	v_fma_f64 v[3:4], v[209:210], v[1:2], v[211:212]
	v_div_scale_f64 v[209:210], null, v[3:4], v[3:4], 1.0
	v_rcp_f64_e32 v[211:212], v[209:210]
	v_fma_f64 v[213:214], -v[209:210], v[211:212], 1.0
	v_fma_f64 v[211:212], v[211:212], v[213:214], v[211:212]
	v_fma_f64 v[213:214], -v[209:210], v[211:212], 1.0
	v_fma_f64 v[211:212], v[211:212], v[213:214], v[211:212]
	v_div_scale_f64 v[213:214], vcc_lo, 1.0, v[3:4], 1.0
	v_mul_f64 v[215:216], v[213:214], v[211:212]
	v_fma_f64 v[209:210], -v[209:210], v[215:216], v[213:214]
	v_div_fmas_f64 v[209:210], v[209:210], v[211:212], v[215:216]
	v_div_fixup_f64 v[3:4], v[209:210], v[3:4], 1.0
                                        ; implicit-def: $vgpr209_vgpr210
	v_mul_f64 v[1:2], v[1:2], v[3:4]
	v_xor_b32_e32 v4, 0x80000000, v4
.LBB121_596:
	s_andn2_saveexec_b32 s5, s5
	s_cbranch_execz .LBB121_598
; %bb.597:
	v_div_scale_f64 v[1:2], null, v[209:210], v[209:210], v[211:212]
	v_div_scale_f64 v[215:216], vcc_lo, v[211:212], v[209:210], v[211:212]
	v_rcp_f64_e32 v[3:4], v[1:2]
	v_fma_f64 v[213:214], -v[1:2], v[3:4], 1.0
	v_fma_f64 v[3:4], v[3:4], v[213:214], v[3:4]
	v_fma_f64 v[213:214], -v[1:2], v[3:4], 1.0
	v_fma_f64 v[3:4], v[3:4], v[213:214], v[3:4]
	v_mul_f64 v[213:214], v[215:216], v[3:4]
	v_fma_f64 v[1:2], -v[1:2], v[213:214], v[215:216]
	v_div_fmas_f64 v[1:2], v[1:2], v[3:4], v[213:214]
	v_div_fixup_f64 v[3:4], v[1:2], v[209:210], v[211:212]
	v_fma_f64 v[1:2], v[211:212], v[3:4], v[209:210]
	v_div_scale_f64 v[209:210], null, v[1:2], v[1:2], 1.0
	v_rcp_f64_e32 v[211:212], v[209:210]
	v_fma_f64 v[213:214], -v[209:210], v[211:212], 1.0
	v_fma_f64 v[211:212], v[211:212], v[213:214], v[211:212]
	v_fma_f64 v[213:214], -v[209:210], v[211:212], 1.0
	v_fma_f64 v[211:212], v[211:212], v[213:214], v[211:212]
	v_div_scale_f64 v[213:214], vcc_lo, 1.0, v[1:2], 1.0
	v_mul_f64 v[215:216], v[213:214], v[211:212]
	v_fma_f64 v[209:210], -v[209:210], v[215:216], v[213:214]
	v_div_fmas_f64 v[209:210], v[209:210], v[211:212], v[215:216]
	v_div_fixup_f64 v[1:2], v[209:210], v[1:2], 1.0
	v_mul_f64 v[3:4], v[3:4], -v[1:2]
.LBB121_598:
	s_or_b32 exec_lo, exec_lo, s5
	ds_write2_b64 v255, v[1:2], v[3:4] offset1:1
.LBB121_599:
	s_or_b32 exec_lo, exec_lo, s6
	s_waitcnt lgkmcnt(0)
	s_barrier
	buffer_gl0_inv
	ds_read2_b64 v[209:212], v255 offset1:1
	s_mov_b32 s5, exec_lo
	v_cmpx_lt_u32_e32 52, v0
	s_cbranch_execz .LBB121_601
; %bb.600:
	s_clause 0xf
	buffer_load_dword v1, off, s[0:3], 0 offset:832
	buffer_load_dword v2, off, s[0:3], 0 offset:836
	;; [unrolled: 1-line block ×16, first 2 shown]
	s_waitcnt vmcnt(12) lgkmcnt(0)
	v_mul_f64 v[225:226], v[211:212], v[3:4]
	v_mul_f64 v[3:4], v[209:210], v[3:4]
	v_fma_f64 v[225:226], v[209:210], v[1:2], -v[225:226]
	v_fma_f64 v[227:228], v[211:212], v[1:2], v[3:4]
	buffer_store_dword v225, off, s[0:3], 0 offset:832
	buffer_store_dword v226, off, s[0:3], 0 offset:836
	buffer_store_dword v227, off, s[0:3], 0 offset:840
	buffer_store_dword v228, off, s[0:3], 0 offset:844
	ds_read2_b64 v[1:4], v241 offset0:106 offset1:107
	s_waitcnt lgkmcnt(0)
	v_mul_f64 v[229:230], v[3:4], v[227:228]
	v_fma_f64 v[229:230], v[1:2], v[225:226], -v[229:230]
	v_mul_f64 v[1:2], v[1:2], v[227:228]
	v_fma_f64 v[1:2], v[3:4], v[225:226], v[1:2]
	s_waitcnt vmcnt(10)
	v_add_f64 v[3:4], v[213:214], -v[229:230]
	s_waitcnt vmcnt(8)
	v_add_f64 v[1:2], v[215:216], -v[1:2]
	buffer_store_dword v3, off, s[0:3], 0 offset:848
	buffer_store_dword v4, off, s[0:3], 0 offset:852
	buffer_store_dword v1, off, s[0:3], 0 offset:856
	buffer_store_dword v2, off, s[0:3], 0 offset:860
	ds_read2_b64 v[1:4], v241 offset0:108 offset1:109
	s_waitcnt lgkmcnt(0)
	v_mul_f64 v[213:214], v[3:4], v[227:228]
	v_fma_f64 v[213:214], v[1:2], v[225:226], -v[213:214]
	v_mul_f64 v[1:2], v[1:2], v[227:228]
	v_fma_f64 v[1:2], v[3:4], v[225:226], v[1:2]
	s_waitcnt vmcnt(6)
	v_add_f64 v[3:4], v[217:218], -v[213:214]
	s_waitcnt vmcnt(4)
	v_add_f64 v[1:2], v[219:220], -v[1:2]
	;; [unrolled: 14-line block ×3, first 2 shown]
	buffer_store_dword v4, off, s[0:3], 0 offset:884
	buffer_store_dword v3, off, s[0:3], 0 offset:880
	buffer_store_dword v1, off, s[0:3], 0 offset:888
	buffer_store_dword v2, off, s[0:3], 0 offset:892
	ds_read2_b64 v[1:4], v241 offset0:112 offset1:113
	s_waitcnt lgkmcnt(0)
	v_mul_f64 v[213:214], v[3:4], v[227:228]
	v_fma_f64 v[213:214], v[1:2], v[225:226], -v[213:214]
	v_mul_f64 v[1:2], v[1:2], v[227:228]
	v_fma_f64 v[1:2], v[3:4], v[225:226], v[1:2]
	s_clause 0x3
	buffer_load_dword v3, off, s[0:3], 0 offset:896
	buffer_load_dword v4, off, s[0:3], 0 offset:900
	buffer_load_dword v215, off, s[0:3], 0 offset:904
	buffer_load_dword v216, off, s[0:3], 0 offset:908
	s_waitcnt vmcnt(2)
	v_add_f64 v[3:4], v[3:4], -v[213:214]
	s_waitcnt vmcnt(0)
	v_add_f64 v[1:2], v[215:216], -v[1:2]
	buffer_store_dword v4, off, s[0:3], 0 offset:900
	buffer_store_dword v3, off, s[0:3], 0 offset:896
	buffer_store_dword v2, off, s[0:3], 0 offset:908
	buffer_store_dword v1, off, s[0:3], 0 offset:904
	ds_read2_b64 v[1:4], v241 offset0:114 offset1:115
	s_waitcnt lgkmcnt(0)
	v_mul_f64 v[213:214], v[3:4], v[227:228]
	v_fma_f64 v[213:214], v[1:2], v[225:226], -v[213:214]
	v_mul_f64 v[1:2], v[1:2], v[227:228]
	v_fma_f64 v[1:2], v[3:4], v[225:226], v[1:2]
	s_clause 0x3
	buffer_load_dword v3, off, s[0:3], 0 offset:912
	buffer_load_dword v4, off, s[0:3], 0 offset:916
	buffer_load_dword v215, off, s[0:3], 0 offset:920
	buffer_load_dword v216, off, s[0:3], 0 offset:924
	s_waitcnt vmcnt(2)
	v_add_f64 v[3:4], v[3:4], -v[213:214]
	s_waitcnt vmcnt(0)
	v_add_f64 v[1:2], v[215:216], -v[1:2]
	;; [unrolled: 19-line block ×3, first 2 shown]
	buffer_store_dword v4, off, s[0:3], 0 offset:932
	buffer_store_dword v3, off, s[0:3], 0 offset:928
	;; [unrolled: 1-line block ×4, first 2 shown]
	ds_read2_b64 v[1:4], v241 offset0:118 offset1:119
	s_clause 0x3
	buffer_load_dword v213, off, s[0:3], 0 offset:832
	buffer_load_dword v214, off, s[0:3], 0 offset:836
	;; [unrolled: 1-line block ×4, first 2 shown]
	s_waitcnt vmcnt(0) lgkmcnt(0)
	v_mul_f64 v[217:218], v[3:4], v[215:216]
	v_fma_f64 v[217:218], v[1:2], v[213:214], -v[217:218]
	v_mul_f64 v[1:2], v[1:2], v[215:216]
	v_fma_f64 v[1:2], v[3:4], v[213:214], v[1:2]
	s_clause 0x1
	buffer_load_dword v4, off, s[0:3], 0 offset:948
	buffer_load_dword v3, off, s[0:3], 0 offset:944
	s_waitcnt vmcnt(0)
	v_add_f64 v[3:4], v[3:4], -v[217:218]
	s_clause 0x1
	buffer_load_dword v218, off, s[0:3], 0 offset:956
	buffer_load_dword v217, off, s[0:3], 0 offset:952
	s_waitcnt vmcnt(0)
	v_add_f64 v[1:2], v[217:218], -v[1:2]
	buffer_store_dword v4, off, s[0:3], 0 offset:948
	buffer_store_dword v3, off, s[0:3], 0 offset:944
	;; [unrolled: 1-line block ×4, first 2 shown]
	ds_read2_b64 v[1:4], v241 offset0:120 offset1:121
	s_waitcnt lgkmcnt(0)
	v_mul_f64 v[217:218], v[3:4], v[215:216]
	v_fma_f64 v[217:218], v[1:2], v[213:214], -v[217:218]
	v_mul_f64 v[1:2], v[1:2], v[215:216]
	v_fma_f64 v[1:2], v[3:4], v[213:214], v[1:2]
	s_clause 0x3
	buffer_load_dword v3, off, s[0:3], 0 offset:960
	buffer_load_dword v4, off, s[0:3], 0 offset:964
	;; [unrolled: 1-line block ×4, first 2 shown]
	s_waitcnt vmcnt(2)
	v_add_f64 v[3:4], v[3:4], -v[217:218]
	s_waitcnt vmcnt(0)
	v_add_f64 v[1:2], v[213:214], -v[1:2]
	buffer_store_dword v4, off, s[0:3], 0 offset:964
	buffer_store_dword v3, off, s[0:3], 0 offset:960
	;; [unrolled: 1-line block ×4, first 2 shown]
.LBB121_601:
	s_or_b32 exec_lo, exec_lo, s5
	s_mov_b32 s6, exec_lo
	s_waitcnt lgkmcnt(0)
	s_waitcnt_vscnt null, 0x0
	s_barrier
	buffer_gl0_inv
	v_cmpx_eq_u32_e32 53, v0
	s_cbranch_execz .LBB121_608
; %bb.602:
	v_mov_b32_e32 v4, s22
	s_clause 0x3
	buffer_load_dword v1, v4, s[0:3], 0 offen
	buffer_load_dword v2, v4, s[0:3], 0 offen offset:4
	buffer_load_dword v3, v4, s[0:3], 0 offen offset:8
	;; [unrolled: 1-line block ×3, first 2 shown]
	s_waitcnt vmcnt(0)
	ds_write2_b64 v255, v[1:2], v[3:4] offset1:1
	v_mov_b32_e32 v4, s21
	s_clause 0x3
	buffer_load_dword v1, v4, s[0:3], 0 offen
	buffer_load_dword v2, v4, s[0:3], 0 offen offset:4
	buffer_load_dword v3, v4, s[0:3], 0 offen offset:8
	buffer_load_dword v4, v4, s[0:3], 0 offen offset:12
	s_waitcnt vmcnt(0)
	ds_write2_b64 v241, v[1:2], v[3:4] offset0:108 offset1:109
	v_mov_b32_e32 v4, s20
	s_clause 0x3
	buffer_load_dword v1, v4, s[0:3], 0 offen
	buffer_load_dword v2, v4, s[0:3], 0 offen offset:4
	buffer_load_dword v3, v4, s[0:3], 0 offen offset:8
	buffer_load_dword v4, v4, s[0:3], 0 offen offset:12
	s_waitcnt vmcnt(0)
	ds_write2_b64 v241, v[1:2], v[3:4] offset0:110 offset1:111
	;; [unrolled: 8-line block ×7, first 2 shown]
	ds_read2_b64 v[213:216], v255 offset1:1
	s_waitcnt lgkmcnt(0)
	v_cmp_neq_f64_e32 vcc_lo, 0, v[213:214]
	v_cmp_neq_f64_e64 s5, 0, v[215:216]
	s_or_b32 s5, vcc_lo, s5
	s_and_b32 exec_lo, exec_lo, s5
	s_cbranch_execz .LBB121_608
; %bb.603:
	v_cmp_ngt_f64_e64 s5, |v[213:214]|, |v[215:216]|
                                        ; implicit-def: $vgpr1_vgpr2
	s_and_saveexec_b32 s7, s5
	s_xor_b32 s5, exec_lo, s7
                                        ; implicit-def: $vgpr3_vgpr4
	s_cbranch_execz .LBB121_605
; %bb.604:
	v_div_scale_f64 v[1:2], null, v[215:216], v[215:216], v[213:214]
	v_div_scale_f64 v[219:220], vcc_lo, v[213:214], v[215:216], v[213:214]
	v_rcp_f64_e32 v[3:4], v[1:2]
	v_fma_f64 v[217:218], -v[1:2], v[3:4], 1.0
	v_fma_f64 v[3:4], v[3:4], v[217:218], v[3:4]
	v_fma_f64 v[217:218], -v[1:2], v[3:4], 1.0
	v_fma_f64 v[3:4], v[3:4], v[217:218], v[3:4]
	v_mul_f64 v[217:218], v[219:220], v[3:4]
	v_fma_f64 v[1:2], -v[1:2], v[217:218], v[219:220]
	v_div_fmas_f64 v[1:2], v[1:2], v[3:4], v[217:218]
	v_div_fixup_f64 v[1:2], v[1:2], v[215:216], v[213:214]
	v_fma_f64 v[3:4], v[213:214], v[1:2], v[215:216]
	v_div_scale_f64 v[213:214], null, v[3:4], v[3:4], 1.0
	v_rcp_f64_e32 v[215:216], v[213:214]
	v_fma_f64 v[217:218], -v[213:214], v[215:216], 1.0
	v_fma_f64 v[215:216], v[215:216], v[217:218], v[215:216]
	v_fma_f64 v[217:218], -v[213:214], v[215:216], 1.0
	v_fma_f64 v[215:216], v[215:216], v[217:218], v[215:216]
	v_div_scale_f64 v[217:218], vcc_lo, 1.0, v[3:4], 1.0
	v_mul_f64 v[219:220], v[217:218], v[215:216]
	v_fma_f64 v[213:214], -v[213:214], v[219:220], v[217:218]
	v_div_fmas_f64 v[213:214], v[213:214], v[215:216], v[219:220]
	v_div_fixup_f64 v[3:4], v[213:214], v[3:4], 1.0
                                        ; implicit-def: $vgpr213_vgpr214
	v_mul_f64 v[1:2], v[1:2], v[3:4]
	v_xor_b32_e32 v4, 0x80000000, v4
.LBB121_605:
	s_andn2_saveexec_b32 s5, s5
	s_cbranch_execz .LBB121_607
; %bb.606:
	v_div_scale_f64 v[1:2], null, v[213:214], v[213:214], v[215:216]
	v_div_scale_f64 v[219:220], vcc_lo, v[215:216], v[213:214], v[215:216]
	v_rcp_f64_e32 v[3:4], v[1:2]
	v_fma_f64 v[217:218], -v[1:2], v[3:4], 1.0
	v_fma_f64 v[3:4], v[3:4], v[217:218], v[3:4]
	v_fma_f64 v[217:218], -v[1:2], v[3:4], 1.0
	v_fma_f64 v[3:4], v[3:4], v[217:218], v[3:4]
	v_mul_f64 v[217:218], v[219:220], v[3:4]
	v_fma_f64 v[1:2], -v[1:2], v[217:218], v[219:220]
	v_div_fmas_f64 v[1:2], v[1:2], v[3:4], v[217:218]
	v_div_fixup_f64 v[3:4], v[1:2], v[213:214], v[215:216]
	v_fma_f64 v[1:2], v[215:216], v[3:4], v[213:214]
	v_div_scale_f64 v[213:214], null, v[1:2], v[1:2], 1.0
	v_rcp_f64_e32 v[215:216], v[213:214]
	v_fma_f64 v[217:218], -v[213:214], v[215:216], 1.0
	v_fma_f64 v[215:216], v[215:216], v[217:218], v[215:216]
	v_fma_f64 v[217:218], -v[213:214], v[215:216], 1.0
	v_fma_f64 v[215:216], v[215:216], v[217:218], v[215:216]
	v_div_scale_f64 v[217:218], vcc_lo, 1.0, v[1:2], 1.0
	v_mul_f64 v[219:220], v[217:218], v[215:216]
	v_fma_f64 v[213:214], -v[213:214], v[219:220], v[217:218]
	v_div_fmas_f64 v[213:214], v[213:214], v[215:216], v[219:220]
	v_div_fixup_f64 v[1:2], v[213:214], v[1:2], 1.0
	v_mul_f64 v[3:4], v[3:4], -v[1:2]
.LBB121_607:
	s_or_b32 exec_lo, exec_lo, s5
	ds_write2_b64 v255, v[1:2], v[3:4] offset1:1
.LBB121_608:
	s_or_b32 exec_lo, exec_lo, s6
	s_waitcnt lgkmcnt(0)
	s_barrier
	buffer_gl0_inv
	ds_read2_b64 v[213:216], v255 offset1:1
	s_mov_b32 s5, exec_lo
	v_cmpx_lt_u32_e32 53, v0
	s_cbranch_execz .LBB121_610
; %bb.609:
	s_clause 0xf
	buffer_load_dword v1, off, s[0:3], 0 offset:848
	buffer_load_dword v2, off, s[0:3], 0 offset:852
	;; [unrolled: 1-line block ×16, first 2 shown]
	s_waitcnt vmcnt(12) lgkmcnt(0)
	v_mul_f64 v[229:230], v[215:216], v[3:4]
	v_mul_f64 v[3:4], v[213:214], v[3:4]
	v_fma_f64 v[229:230], v[213:214], v[1:2], -v[229:230]
	v_fma_f64 v[231:232], v[215:216], v[1:2], v[3:4]
	buffer_store_dword v229, off, s[0:3], 0 offset:848
	buffer_store_dword v230, off, s[0:3], 0 offset:852
	buffer_store_dword v231, off, s[0:3], 0 offset:856
	buffer_store_dword v232, off, s[0:3], 0 offset:860
	ds_read2_b64 v[1:4], v241 offset0:108 offset1:109
	s_waitcnt lgkmcnt(0)
	v_mul_f64 v[233:234], v[3:4], v[231:232]
	v_fma_f64 v[233:234], v[1:2], v[229:230], -v[233:234]
	v_mul_f64 v[1:2], v[1:2], v[231:232]
	v_fma_f64 v[1:2], v[3:4], v[229:230], v[1:2]
	s_waitcnt vmcnt(10)
	v_add_f64 v[3:4], v[217:218], -v[233:234]
	s_waitcnt vmcnt(8)
	v_add_f64 v[1:2], v[219:220], -v[1:2]
	buffer_store_dword v3, off, s[0:3], 0 offset:864
	buffer_store_dword v4, off, s[0:3], 0 offset:868
	buffer_store_dword v1, off, s[0:3], 0 offset:872
	buffer_store_dword v2, off, s[0:3], 0 offset:876
	ds_read2_b64 v[1:4], v241 offset0:110 offset1:111
	s_waitcnt lgkmcnt(0)
	v_mul_f64 v[217:218], v[3:4], v[231:232]
	v_fma_f64 v[217:218], v[1:2], v[229:230], -v[217:218]
	v_mul_f64 v[1:2], v[1:2], v[231:232]
	v_fma_f64 v[1:2], v[3:4], v[229:230], v[1:2]
	s_waitcnt vmcnt(6)
	v_add_f64 v[3:4], v[221:222], -v[217:218]
	s_waitcnt vmcnt(4)
	v_add_f64 v[1:2], v[223:224], -v[1:2]
	;; [unrolled: 14-line block ×3, first 2 shown]
	buffer_store_dword v4, off, s[0:3], 0 offset:900
	buffer_store_dword v3, off, s[0:3], 0 offset:896
	buffer_store_dword v1, off, s[0:3], 0 offset:904
	buffer_store_dword v2, off, s[0:3], 0 offset:908
	ds_read2_b64 v[1:4], v241 offset0:114 offset1:115
	s_waitcnt lgkmcnt(0)
	v_mul_f64 v[217:218], v[3:4], v[231:232]
	v_fma_f64 v[217:218], v[1:2], v[229:230], -v[217:218]
	v_mul_f64 v[1:2], v[1:2], v[231:232]
	v_fma_f64 v[1:2], v[3:4], v[229:230], v[1:2]
	s_clause 0x3
	buffer_load_dword v3, off, s[0:3], 0 offset:912
	buffer_load_dword v4, off, s[0:3], 0 offset:916
	buffer_load_dword v219, off, s[0:3], 0 offset:920
	buffer_load_dword v220, off, s[0:3], 0 offset:924
	s_waitcnt vmcnt(2)
	v_add_f64 v[3:4], v[3:4], -v[217:218]
	s_waitcnt vmcnt(0)
	v_add_f64 v[1:2], v[219:220], -v[1:2]
	buffer_store_dword v4, off, s[0:3], 0 offset:916
	buffer_store_dword v3, off, s[0:3], 0 offset:912
	buffer_store_dword v2, off, s[0:3], 0 offset:924
	buffer_store_dword v1, off, s[0:3], 0 offset:920
	ds_read2_b64 v[1:4], v241 offset0:116 offset1:117
	s_waitcnt lgkmcnt(0)
	v_mul_f64 v[217:218], v[3:4], v[231:232]
	v_fma_f64 v[217:218], v[1:2], v[229:230], -v[217:218]
	v_mul_f64 v[1:2], v[1:2], v[231:232]
	v_fma_f64 v[1:2], v[3:4], v[229:230], v[1:2]
	s_clause 0x3
	buffer_load_dword v3, off, s[0:3], 0 offset:928
	buffer_load_dword v4, off, s[0:3], 0 offset:932
	buffer_load_dword v219, off, s[0:3], 0 offset:936
	buffer_load_dword v220, off, s[0:3], 0 offset:940
	s_waitcnt vmcnt(2)
	v_add_f64 v[3:4], v[3:4], -v[217:218]
	s_waitcnt vmcnt(0)
	v_add_f64 v[1:2], v[219:220], -v[1:2]
	;; [unrolled: 19-line block ×3, first 2 shown]
	buffer_store_dword v4, off, s[0:3], 0 offset:948
	buffer_store_dword v3, off, s[0:3], 0 offset:944
	;; [unrolled: 1-line block ×4, first 2 shown]
	ds_read2_b64 v[1:4], v241 offset0:120 offset1:121
	s_clause 0x3
	buffer_load_dword v217, off, s[0:3], 0 offset:848
	buffer_load_dword v218, off, s[0:3], 0 offset:852
	;; [unrolled: 1-line block ×4, first 2 shown]
	s_waitcnt vmcnt(0) lgkmcnt(0)
	v_mul_f64 v[221:222], v[3:4], v[219:220]
	v_fma_f64 v[221:222], v[1:2], v[217:218], -v[221:222]
	v_mul_f64 v[1:2], v[1:2], v[219:220]
	v_fma_f64 v[1:2], v[3:4], v[217:218], v[1:2]
	s_clause 0x3
	buffer_load_dword v4, off, s[0:3], 0 offset:964
	buffer_load_dword v3, off, s[0:3], 0 offset:960
	;; [unrolled: 1-line block ×4, first 2 shown]
	s_waitcnt vmcnt(2)
	v_add_f64 v[3:4], v[3:4], -v[221:222]
	s_waitcnt vmcnt(0)
	v_add_f64 v[1:2], v[217:218], -v[1:2]
	buffer_store_dword v4, off, s[0:3], 0 offset:964
	buffer_store_dword v3, off, s[0:3], 0 offset:960
	;; [unrolled: 1-line block ×4, first 2 shown]
.LBB121_610:
	s_or_b32 exec_lo, exec_lo, s5
	s_mov_b32 s6, exec_lo
	s_waitcnt lgkmcnt(0)
	s_waitcnt_vscnt null, 0x0
	s_barrier
	buffer_gl0_inv
	v_cmpx_eq_u32_e32 54, v0
	s_cbranch_execz .LBB121_617
; %bb.611:
	v_mov_b32_e32 v4, s21
	s_clause 0x3
	buffer_load_dword v1, v4, s[0:3], 0 offen
	buffer_load_dword v2, v4, s[0:3], 0 offen offset:4
	buffer_load_dword v3, v4, s[0:3], 0 offen offset:8
	;; [unrolled: 1-line block ×3, first 2 shown]
	s_waitcnt vmcnt(0)
	ds_write2_b64 v255, v[1:2], v[3:4] offset1:1
	v_mov_b32_e32 v4, s20
	s_clause 0x3
	buffer_load_dword v1, v4, s[0:3], 0 offen
	buffer_load_dword v2, v4, s[0:3], 0 offen offset:4
	buffer_load_dword v3, v4, s[0:3], 0 offen offset:8
	buffer_load_dword v4, v4, s[0:3], 0 offen offset:12
	s_waitcnt vmcnt(0)
	ds_write2_b64 v241, v[1:2], v[3:4] offset0:110 offset1:111
	v_mov_b32_e32 v4, s19
	s_clause 0x3
	buffer_load_dword v1, v4, s[0:3], 0 offen
	buffer_load_dword v2, v4, s[0:3], 0 offen offset:4
	buffer_load_dword v3, v4, s[0:3], 0 offen offset:8
	buffer_load_dword v4, v4, s[0:3], 0 offen offset:12
	s_waitcnt vmcnt(0)
	ds_write2_b64 v241, v[1:2], v[3:4] offset0:112 offset1:113
	;; [unrolled: 8-line block ×6, first 2 shown]
	ds_read2_b64 v[217:220], v255 offset1:1
	s_waitcnt lgkmcnt(0)
	v_cmp_neq_f64_e32 vcc_lo, 0, v[217:218]
	v_cmp_neq_f64_e64 s5, 0, v[219:220]
	s_or_b32 s5, vcc_lo, s5
	s_and_b32 exec_lo, exec_lo, s5
	s_cbranch_execz .LBB121_617
; %bb.612:
	v_cmp_ngt_f64_e64 s5, |v[217:218]|, |v[219:220]|
                                        ; implicit-def: $vgpr1_vgpr2
	s_and_saveexec_b32 s7, s5
	s_xor_b32 s5, exec_lo, s7
                                        ; implicit-def: $vgpr3_vgpr4
	s_cbranch_execz .LBB121_614
; %bb.613:
	v_div_scale_f64 v[1:2], null, v[219:220], v[219:220], v[217:218]
	v_div_scale_f64 v[223:224], vcc_lo, v[217:218], v[219:220], v[217:218]
	v_rcp_f64_e32 v[3:4], v[1:2]
	v_fma_f64 v[221:222], -v[1:2], v[3:4], 1.0
	v_fma_f64 v[3:4], v[3:4], v[221:222], v[3:4]
	v_fma_f64 v[221:222], -v[1:2], v[3:4], 1.0
	v_fma_f64 v[3:4], v[3:4], v[221:222], v[3:4]
	v_mul_f64 v[221:222], v[223:224], v[3:4]
	v_fma_f64 v[1:2], -v[1:2], v[221:222], v[223:224]
	v_div_fmas_f64 v[1:2], v[1:2], v[3:4], v[221:222]
	v_div_fixup_f64 v[1:2], v[1:2], v[219:220], v[217:218]
	v_fma_f64 v[3:4], v[217:218], v[1:2], v[219:220]
	v_div_scale_f64 v[217:218], null, v[3:4], v[3:4], 1.0
	v_rcp_f64_e32 v[219:220], v[217:218]
	v_fma_f64 v[221:222], -v[217:218], v[219:220], 1.0
	v_fma_f64 v[219:220], v[219:220], v[221:222], v[219:220]
	v_fma_f64 v[221:222], -v[217:218], v[219:220], 1.0
	v_fma_f64 v[219:220], v[219:220], v[221:222], v[219:220]
	v_div_scale_f64 v[221:222], vcc_lo, 1.0, v[3:4], 1.0
	v_mul_f64 v[223:224], v[221:222], v[219:220]
	v_fma_f64 v[217:218], -v[217:218], v[223:224], v[221:222]
	v_div_fmas_f64 v[217:218], v[217:218], v[219:220], v[223:224]
	v_div_fixup_f64 v[3:4], v[217:218], v[3:4], 1.0
                                        ; implicit-def: $vgpr217_vgpr218
	v_mul_f64 v[1:2], v[1:2], v[3:4]
	v_xor_b32_e32 v4, 0x80000000, v4
.LBB121_614:
	s_andn2_saveexec_b32 s5, s5
	s_cbranch_execz .LBB121_616
; %bb.615:
	v_div_scale_f64 v[1:2], null, v[217:218], v[217:218], v[219:220]
	v_div_scale_f64 v[223:224], vcc_lo, v[219:220], v[217:218], v[219:220]
	v_rcp_f64_e32 v[3:4], v[1:2]
	v_fma_f64 v[221:222], -v[1:2], v[3:4], 1.0
	v_fma_f64 v[3:4], v[3:4], v[221:222], v[3:4]
	v_fma_f64 v[221:222], -v[1:2], v[3:4], 1.0
	v_fma_f64 v[3:4], v[3:4], v[221:222], v[3:4]
	v_mul_f64 v[221:222], v[223:224], v[3:4]
	v_fma_f64 v[1:2], -v[1:2], v[221:222], v[223:224]
	v_div_fmas_f64 v[1:2], v[1:2], v[3:4], v[221:222]
	v_div_fixup_f64 v[3:4], v[1:2], v[217:218], v[219:220]
	v_fma_f64 v[1:2], v[219:220], v[3:4], v[217:218]
	v_div_scale_f64 v[217:218], null, v[1:2], v[1:2], 1.0
	v_rcp_f64_e32 v[219:220], v[217:218]
	v_fma_f64 v[221:222], -v[217:218], v[219:220], 1.0
	v_fma_f64 v[219:220], v[219:220], v[221:222], v[219:220]
	v_fma_f64 v[221:222], -v[217:218], v[219:220], 1.0
	v_fma_f64 v[219:220], v[219:220], v[221:222], v[219:220]
	v_div_scale_f64 v[221:222], vcc_lo, 1.0, v[1:2], 1.0
	v_mul_f64 v[223:224], v[221:222], v[219:220]
	v_fma_f64 v[217:218], -v[217:218], v[223:224], v[221:222]
	v_div_fmas_f64 v[217:218], v[217:218], v[219:220], v[223:224]
	v_div_fixup_f64 v[1:2], v[217:218], v[1:2], 1.0
	v_mul_f64 v[3:4], v[3:4], -v[1:2]
.LBB121_616:
	s_or_b32 exec_lo, exec_lo, s5
	ds_write2_b64 v255, v[1:2], v[3:4] offset1:1
.LBB121_617:
	s_or_b32 exec_lo, exec_lo, s6
	s_waitcnt lgkmcnt(0)
	s_barrier
	buffer_gl0_inv
	ds_read2_b64 v[217:220], v255 offset1:1
	s_mov_b32 s5, exec_lo
	v_cmpx_lt_u32_e32 54, v0
	s_cbranch_execz .LBB121_619
; %bb.618:
	s_clause 0xf
	buffer_load_dword v1, off, s[0:3], 0 offset:864
	buffer_load_dword v2, off, s[0:3], 0 offset:868
	;; [unrolled: 1-line block ×16, first 2 shown]
	s_waitcnt vmcnt(12) lgkmcnt(0)
	v_mul_f64 v[233:234], v[219:220], v[3:4]
	v_mul_f64 v[3:4], v[217:218], v[3:4]
	v_fma_f64 v[233:234], v[217:218], v[1:2], -v[233:234]
	v_fma_f64 v[235:236], v[219:220], v[1:2], v[3:4]
	buffer_store_dword v233, off, s[0:3], 0 offset:864
	buffer_store_dword v234, off, s[0:3], 0 offset:868
	buffer_store_dword v235, off, s[0:3], 0 offset:872
	buffer_store_dword v236, off, s[0:3], 0 offset:876
	ds_read2_b64 v[1:4], v241 offset0:110 offset1:111
	s_waitcnt lgkmcnt(0)
	v_mul_f64 v[237:238], v[3:4], v[235:236]
	v_fma_f64 v[237:238], v[1:2], v[233:234], -v[237:238]
	v_mul_f64 v[1:2], v[1:2], v[235:236]
	v_fma_f64 v[1:2], v[3:4], v[233:234], v[1:2]
	s_waitcnt vmcnt(10)
	v_add_f64 v[3:4], v[221:222], -v[237:238]
	s_waitcnt vmcnt(8)
	v_add_f64 v[1:2], v[223:224], -v[1:2]
	buffer_store_dword v3, off, s[0:3], 0 offset:880
	buffer_store_dword v4, off, s[0:3], 0 offset:884
	buffer_store_dword v1, off, s[0:3], 0 offset:888
	buffer_store_dword v2, off, s[0:3], 0 offset:892
	ds_read2_b64 v[1:4], v241 offset0:112 offset1:113
	s_waitcnt lgkmcnt(0)
	v_mul_f64 v[221:222], v[3:4], v[235:236]
	v_fma_f64 v[221:222], v[1:2], v[233:234], -v[221:222]
	v_mul_f64 v[1:2], v[1:2], v[235:236]
	v_fma_f64 v[1:2], v[3:4], v[233:234], v[1:2]
	s_waitcnt vmcnt(6)
	v_add_f64 v[3:4], v[225:226], -v[221:222]
	s_waitcnt vmcnt(4)
	v_add_f64 v[1:2], v[227:228], -v[1:2]
	;; [unrolled: 14-line block ×3, first 2 shown]
	buffer_store_dword v4, off, s[0:3], 0 offset:916
	buffer_store_dword v3, off, s[0:3], 0 offset:912
	buffer_store_dword v1, off, s[0:3], 0 offset:920
	buffer_store_dword v2, off, s[0:3], 0 offset:924
	ds_read2_b64 v[1:4], v241 offset0:116 offset1:117
	s_waitcnt lgkmcnt(0)
	v_mul_f64 v[221:222], v[3:4], v[235:236]
	v_fma_f64 v[221:222], v[1:2], v[233:234], -v[221:222]
	v_mul_f64 v[1:2], v[1:2], v[235:236]
	v_fma_f64 v[1:2], v[3:4], v[233:234], v[1:2]
	s_clause 0x3
	buffer_load_dword v3, off, s[0:3], 0 offset:928
	buffer_load_dword v4, off, s[0:3], 0 offset:932
	buffer_load_dword v223, off, s[0:3], 0 offset:936
	buffer_load_dword v224, off, s[0:3], 0 offset:940
	s_waitcnt vmcnt(2)
	v_add_f64 v[3:4], v[3:4], -v[221:222]
	s_waitcnt vmcnt(0)
	v_add_f64 v[1:2], v[223:224], -v[1:2]
	buffer_store_dword v4, off, s[0:3], 0 offset:932
	buffer_store_dword v3, off, s[0:3], 0 offset:928
	buffer_store_dword v2, off, s[0:3], 0 offset:940
	buffer_store_dword v1, off, s[0:3], 0 offset:936
	ds_read2_b64 v[1:4], v241 offset0:118 offset1:119
	s_waitcnt lgkmcnt(0)
	v_mul_f64 v[221:222], v[3:4], v[235:236]
	v_fma_f64 v[221:222], v[1:2], v[233:234], -v[221:222]
	v_mul_f64 v[1:2], v[1:2], v[235:236]
	v_fma_f64 v[1:2], v[3:4], v[233:234], v[1:2]
	s_clause 0x3
	buffer_load_dword v3, off, s[0:3], 0 offset:944
	buffer_load_dword v4, off, s[0:3], 0 offset:948
	buffer_load_dword v223, off, s[0:3], 0 offset:952
	buffer_load_dword v224, off, s[0:3], 0 offset:956
	s_waitcnt vmcnt(2)
	v_add_f64 v[3:4], v[3:4], -v[221:222]
	s_waitcnt vmcnt(0)
	v_add_f64 v[1:2], v[223:224], -v[1:2]
	buffer_store_dword v4, off, s[0:3], 0 offset:948
	buffer_store_dword v3, off, s[0:3], 0 offset:944
	buffer_store_dword v2, off, s[0:3], 0 offset:956
	buffer_store_dword v1, off, s[0:3], 0 offset:952
	ds_read2_b64 v[1:4], v241 offset0:120 offset1:121
	s_waitcnt lgkmcnt(0)
	v_mul_f64 v[221:222], v[3:4], v[235:236]
	v_fma_f64 v[221:222], v[1:2], v[233:234], -v[221:222]
	v_mul_f64 v[1:2], v[1:2], v[235:236]
	v_fma_f64 v[1:2], v[3:4], v[233:234], v[1:2]
	s_clause 0x3
	buffer_load_dword v3, off, s[0:3], 0 offset:960
	buffer_load_dword v4, off, s[0:3], 0 offset:964
	buffer_load_dword v223, off, s[0:3], 0 offset:968
	buffer_load_dword v224, off, s[0:3], 0 offset:972
	s_waitcnt vmcnt(2)
	v_add_f64 v[3:4], v[3:4], -v[221:222]
	s_waitcnt vmcnt(0)
	v_add_f64 v[1:2], v[223:224], -v[1:2]
	buffer_store_dword v4, off, s[0:3], 0 offset:964
	buffer_store_dword v3, off, s[0:3], 0 offset:960
	;; [unrolled: 1-line block ×4, first 2 shown]
.LBB121_619:
	s_or_b32 exec_lo, exec_lo, s5
	s_mov_b32 s6, exec_lo
	s_waitcnt lgkmcnt(0)
	s_waitcnt_vscnt null, 0x0
	s_barrier
	buffer_gl0_inv
	v_cmpx_eq_u32_e32 55, v0
	s_cbranch_execz .LBB121_626
; %bb.620:
	v_mov_b32_e32 v4, s20
	s_clause 0x3
	buffer_load_dword v1, v4, s[0:3], 0 offen
	buffer_load_dword v2, v4, s[0:3], 0 offen offset:4
	buffer_load_dword v3, v4, s[0:3], 0 offen offset:8
	;; [unrolled: 1-line block ×3, first 2 shown]
	s_waitcnt vmcnt(0)
	ds_write2_b64 v255, v[1:2], v[3:4] offset1:1
	v_mov_b32_e32 v4, s19
	s_clause 0x3
	buffer_load_dword v1, v4, s[0:3], 0 offen
	buffer_load_dword v2, v4, s[0:3], 0 offen offset:4
	buffer_load_dword v3, v4, s[0:3], 0 offen offset:8
	buffer_load_dword v4, v4, s[0:3], 0 offen offset:12
	s_waitcnt vmcnt(0)
	ds_write2_b64 v241, v[1:2], v[3:4] offset0:112 offset1:113
	v_mov_b32_e32 v4, s18
	s_clause 0x3
	buffer_load_dword v1, v4, s[0:3], 0 offen
	buffer_load_dword v2, v4, s[0:3], 0 offen offset:4
	buffer_load_dword v3, v4, s[0:3], 0 offen offset:8
	buffer_load_dword v4, v4, s[0:3], 0 offen offset:12
	s_waitcnt vmcnt(0)
	ds_write2_b64 v241, v[1:2], v[3:4] offset0:114 offset1:115
	;; [unrolled: 8-line block ×5, first 2 shown]
	ds_read2_b64 v[221:224], v255 offset1:1
	s_waitcnt lgkmcnt(0)
	v_cmp_neq_f64_e32 vcc_lo, 0, v[221:222]
	v_cmp_neq_f64_e64 s5, 0, v[223:224]
	s_or_b32 s5, vcc_lo, s5
	s_and_b32 exec_lo, exec_lo, s5
	s_cbranch_execz .LBB121_626
; %bb.621:
	v_cmp_ngt_f64_e64 s5, |v[221:222]|, |v[223:224]|
                                        ; implicit-def: $vgpr1_vgpr2
	s_and_saveexec_b32 s7, s5
	s_xor_b32 s5, exec_lo, s7
                                        ; implicit-def: $vgpr3_vgpr4
	s_cbranch_execz .LBB121_623
; %bb.622:
	v_div_scale_f64 v[1:2], null, v[223:224], v[223:224], v[221:222]
	v_div_scale_f64 v[227:228], vcc_lo, v[221:222], v[223:224], v[221:222]
	v_rcp_f64_e32 v[3:4], v[1:2]
	v_fma_f64 v[225:226], -v[1:2], v[3:4], 1.0
	v_fma_f64 v[3:4], v[3:4], v[225:226], v[3:4]
	v_fma_f64 v[225:226], -v[1:2], v[3:4], 1.0
	v_fma_f64 v[3:4], v[3:4], v[225:226], v[3:4]
	v_mul_f64 v[225:226], v[227:228], v[3:4]
	v_fma_f64 v[1:2], -v[1:2], v[225:226], v[227:228]
	v_div_fmas_f64 v[1:2], v[1:2], v[3:4], v[225:226]
	v_div_fixup_f64 v[1:2], v[1:2], v[223:224], v[221:222]
	v_fma_f64 v[3:4], v[221:222], v[1:2], v[223:224]
	v_div_scale_f64 v[221:222], null, v[3:4], v[3:4], 1.0
	v_rcp_f64_e32 v[223:224], v[221:222]
	v_fma_f64 v[225:226], -v[221:222], v[223:224], 1.0
	v_fma_f64 v[223:224], v[223:224], v[225:226], v[223:224]
	v_fma_f64 v[225:226], -v[221:222], v[223:224], 1.0
	v_fma_f64 v[223:224], v[223:224], v[225:226], v[223:224]
	v_div_scale_f64 v[225:226], vcc_lo, 1.0, v[3:4], 1.0
	v_mul_f64 v[227:228], v[225:226], v[223:224]
	v_fma_f64 v[221:222], -v[221:222], v[227:228], v[225:226]
	v_div_fmas_f64 v[221:222], v[221:222], v[223:224], v[227:228]
	v_div_fixup_f64 v[3:4], v[221:222], v[3:4], 1.0
                                        ; implicit-def: $vgpr221_vgpr222
	v_mul_f64 v[1:2], v[1:2], v[3:4]
	v_xor_b32_e32 v4, 0x80000000, v4
.LBB121_623:
	s_andn2_saveexec_b32 s5, s5
	s_cbranch_execz .LBB121_625
; %bb.624:
	v_div_scale_f64 v[1:2], null, v[221:222], v[221:222], v[223:224]
	v_div_scale_f64 v[227:228], vcc_lo, v[223:224], v[221:222], v[223:224]
	v_rcp_f64_e32 v[3:4], v[1:2]
	v_fma_f64 v[225:226], -v[1:2], v[3:4], 1.0
	v_fma_f64 v[3:4], v[3:4], v[225:226], v[3:4]
	v_fma_f64 v[225:226], -v[1:2], v[3:4], 1.0
	v_fma_f64 v[3:4], v[3:4], v[225:226], v[3:4]
	v_mul_f64 v[225:226], v[227:228], v[3:4]
	v_fma_f64 v[1:2], -v[1:2], v[225:226], v[227:228]
	v_div_fmas_f64 v[1:2], v[1:2], v[3:4], v[225:226]
	v_div_fixup_f64 v[3:4], v[1:2], v[221:222], v[223:224]
	v_fma_f64 v[1:2], v[223:224], v[3:4], v[221:222]
	v_div_scale_f64 v[221:222], null, v[1:2], v[1:2], 1.0
	v_rcp_f64_e32 v[223:224], v[221:222]
	v_fma_f64 v[225:226], -v[221:222], v[223:224], 1.0
	v_fma_f64 v[223:224], v[223:224], v[225:226], v[223:224]
	v_fma_f64 v[225:226], -v[221:222], v[223:224], 1.0
	v_fma_f64 v[223:224], v[223:224], v[225:226], v[223:224]
	v_div_scale_f64 v[225:226], vcc_lo, 1.0, v[1:2], 1.0
	v_mul_f64 v[227:228], v[225:226], v[223:224]
	v_fma_f64 v[221:222], -v[221:222], v[227:228], v[225:226]
	v_div_fmas_f64 v[221:222], v[221:222], v[223:224], v[227:228]
	v_div_fixup_f64 v[1:2], v[221:222], v[1:2], 1.0
	v_mul_f64 v[3:4], v[3:4], -v[1:2]
.LBB121_625:
	s_or_b32 exec_lo, exec_lo, s5
	ds_write2_b64 v255, v[1:2], v[3:4] offset1:1
.LBB121_626:
	s_or_b32 exec_lo, exec_lo, s6
	s_waitcnt lgkmcnt(0)
	s_barrier
	buffer_gl0_inv
	ds_read2_b64 v[221:224], v255 offset1:1
	s_mov_b32 s5, exec_lo
	v_cmpx_lt_u32_e32 55, v0
	s_cbranch_execz .LBB121_628
; %bb.627:
	s_clause 0xf
	buffer_load_dword v1, off, s[0:3], 0 offset:880
	buffer_load_dword v2, off, s[0:3], 0 offset:884
	;; [unrolled: 1-line block ×16, first 2 shown]
	s_waitcnt vmcnt(12) lgkmcnt(0)
	v_mul_f64 v[237:238], v[223:224], v[3:4]
	v_mul_f64 v[3:4], v[221:222], v[3:4]
	v_fma_f64 v[237:238], v[221:222], v[1:2], -v[237:238]
	v_fma_f64 v[239:240], v[223:224], v[1:2], v[3:4]
	buffer_store_dword v237, off, s[0:3], 0 offset:880
	buffer_store_dword v238, off, s[0:3], 0 offset:884
	buffer_store_dword v239, off, s[0:3], 0 offset:888
	buffer_store_dword v240, off, s[0:3], 0 offset:892
	ds_read2_b64 v[1:4], v241 offset0:112 offset1:113
	s_waitcnt lgkmcnt(0)
	v_mul_f64 v[242:243], v[3:4], v[239:240]
	v_fma_f64 v[242:243], v[1:2], v[237:238], -v[242:243]
	v_mul_f64 v[1:2], v[1:2], v[239:240]
	v_fma_f64 v[1:2], v[3:4], v[237:238], v[1:2]
	s_waitcnt vmcnt(10)
	v_add_f64 v[3:4], v[225:226], -v[242:243]
	s_waitcnt vmcnt(8)
	v_add_f64 v[1:2], v[227:228], -v[1:2]
	buffer_store_dword v3, off, s[0:3], 0 offset:896
	buffer_store_dword v4, off, s[0:3], 0 offset:900
	buffer_store_dword v1, off, s[0:3], 0 offset:904
	buffer_store_dword v2, off, s[0:3], 0 offset:908
	ds_read2_b64 v[1:4], v241 offset0:114 offset1:115
	s_waitcnt lgkmcnt(0)
	v_mul_f64 v[225:226], v[3:4], v[239:240]
	v_fma_f64 v[225:226], v[1:2], v[237:238], -v[225:226]
	v_mul_f64 v[1:2], v[1:2], v[239:240]
	v_fma_f64 v[1:2], v[3:4], v[237:238], v[1:2]
	s_waitcnt vmcnt(6)
	v_add_f64 v[3:4], v[229:230], -v[225:226]
	s_waitcnt vmcnt(4)
	v_add_f64 v[1:2], v[231:232], -v[1:2]
	;; [unrolled: 14-line block ×3, first 2 shown]
	buffer_store_dword v4, off, s[0:3], 0 offset:932
	buffer_store_dword v3, off, s[0:3], 0 offset:928
	;; [unrolled: 1-line block ×4, first 2 shown]
	ds_read2_b64 v[1:4], v241 offset0:118 offset1:119
	s_waitcnt lgkmcnt(0)
	v_mul_f64 v[225:226], v[3:4], v[239:240]
	v_fma_f64 v[225:226], v[1:2], v[237:238], -v[225:226]
	v_mul_f64 v[1:2], v[1:2], v[239:240]
	v_fma_f64 v[1:2], v[3:4], v[237:238], v[1:2]
	s_clause 0x3
	buffer_load_dword v3, off, s[0:3], 0 offset:944
	buffer_load_dword v4, off, s[0:3], 0 offset:948
	;; [unrolled: 1-line block ×4, first 2 shown]
	s_waitcnt vmcnt(2)
	v_add_f64 v[3:4], v[3:4], -v[225:226]
	s_waitcnt vmcnt(0)
	v_add_f64 v[1:2], v[227:228], -v[1:2]
	buffer_store_dword v4, off, s[0:3], 0 offset:948
	buffer_store_dword v3, off, s[0:3], 0 offset:944
	;; [unrolled: 1-line block ×4, first 2 shown]
	ds_read2_b64 v[1:4], v241 offset0:120 offset1:121
	s_waitcnt lgkmcnt(0)
	v_mul_f64 v[225:226], v[3:4], v[239:240]
	v_fma_f64 v[225:226], v[1:2], v[237:238], -v[225:226]
	v_mul_f64 v[1:2], v[1:2], v[239:240]
	v_fma_f64 v[1:2], v[3:4], v[237:238], v[1:2]
	s_clause 0x3
	buffer_load_dword v3, off, s[0:3], 0 offset:960
	buffer_load_dword v4, off, s[0:3], 0 offset:964
	;; [unrolled: 1-line block ×4, first 2 shown]
	s_waitcnt vmcnt(2)
	v_add_f64 v[3:4], v[3:4], -v[225:226]
	s_waitcnt vmcnt(0)
	v_add_f64 v[1:2], v[227:228], -v[1:2]
	buffer_store_dword v4, off, s[0:3], 0 offset:964
	buffer_store_dword v3, off, s[0:3], 0 offset:960
	;; [unrolled: 1-line block ×4, first 2 shown]
.LBB121_628:
	s_or_b32 exec_lo, exec_lo, s5
	s_mov_b32 s6, exec_lo
	s_waitcnt lgkmcnt(0)
	s_waitcnt_vscnt null, 0x0
	s_barrier
	buffer_gl0_inv
	v_cmpx_eq_u32_e32 56, v0
	s_cbranch_execz .LBB121_635
; %bb.629:
	v_mov_b32_e32 v4, s19
	s_clause 0x3
	buffer_load_dword v1, v4, s[0:3], 0 offen
	buffer_load_dword v2, v4, s[0:3], 0 offen offset:4
	buffer_load_dword v3, v4, s[0:3], 0 offen offset:8
	;; [unrolled: 1-line block ×3, first 2 shown]
	s_waitcnt vmcnt(0)
	ds_write2_b64 v255, v[1:2], v[3:4] offset1:1
	v_mov_b32_e32 v4, s18
	s_clause 0x3
	buffer_load_dword v1, v4, s[0:3], 0 offen
	buffer_load_dword v2, v4, s[0:3], 0 offen offset:4
	buffer_load_dword v3, v4, s[0:3], 0 offen offset:8
	buffer_load_dword v4, v4, s[0:3], 0 offen offset:12
	s_waitcnt vmcnt(0)
	ds_write2_b64 v241, v[1:2], v[3:4] offset0:114 offset1:115
	v_mov_b32_e32 v4, s16
	s_clause 0x3
	buffer_load_dword v1, v4, s[0:3], 0 offen
	buffer_load_dword v2, v4, s[0:3], 0 offen offset:4
	buffer_load_dword v3, v4, s[0:3], 0 offen offset:8
	buffer_load_dword v4, v4, s[0:3], 0 offen offset:12
	s_waitcnt vmcnt(0)
	ds_write2_b64 v241, v[1:2], v[3:4] offset0:116 offset1:117
	;; [unrolled: 8-line block ×4, first 2 shown]
	ds_read2_b64 v[225:228], v255 offset1:1
	s_waitcnt lgkmcnt(0)
	v_cmp_neq_f64_e32 vcc_lo, 0, v[225:226]
	v_cmp_neq_f64_e64 s5, 0, v[227:228]
	s_or_b32 s5, vcc_lo, s5
	s_and_b32 exec_lo, exec_lo, s5
	s_cbranch_execz .LBB121_635
; %bb.630:
	v_cmp_ngt_f64_e64 s5, |v[225:226]|, |v[227:228]|
                                        ; implicit-def: $vgpr1_vgpr2
	s_and_saveexec_b32 s7, s5
	s_xor_b32 s5, exec_lo, s7
                                        ; implicit-def: $vgpr3_vgpr4
	s_cbranch_execz .LBB121_632
; %bb.631:
	v_div_scale_f64 v[1:2], null, v[227:228], v[227:228], v[225:226]
	v_div_scale_f64 v[231:232], vcc_lo, v[225:226], v[227:228], v[225:226]
	v_rcp_f64_e32 v[3:4], v[1:2]
	v_fma_f64 v[229:230], -v[1:2], v[3:4], 1.0
	v_fma_f64 v[3:4], v[3:4], v[229:230], v[3:4]
	v_fma_f64 v[229:230], -v[1:2], v[3:4], 1.0
	v_fma_f64 v[3:4], v[3:4], v[229:230], v[3:4]
	v_mul_f64 v[229:230], v[231:232], v[3:4]
	v_fma_f64 v[1:2], -v[1:2], v[229:230], v[231:232]
	v_div_fmas_f64 v[1:2], v[1:2], v[3:4], v[229:230]
	v_div_fixup_f64 v[1:2], v[1:2], v[227:228], v[225:226]
	v_fma_f64 v[3:4], v[225:226], v[1:2], v[227:228]
	v_div_scale_f64 v[225:226], null, v[3:4], v[3:4], 1.0
	v_rcp_f64_e32 v[227:228], v[225:226]
	v_fma_f64 v[229:230], -v[225:226], v[227:228], 1.0
	v_fma_f64 v[227:228], v[227:228], v[229:230], v[227:228]
	v_fma_f64 v[229:230], -v[225:226], v[227:228], 1.0
	v_fma_f64 v[227:228], v[227:228], v[229:230], v[227:228]
	v_div_scale_f64 v[229:230], vcc_lo, 1.0, v[3:4], 1.0
	v_mul_f64 v[231:232], v[229:230], v[227:228]
	v_fma_f64 v[225:226], -v[225:226], v[231:232], v[229:230]
	v_div_fmas_f64 v[225:226], v[225:226], v[227:228], v[231:232]
	v_div_fixup_f64 v[3:4], v[225:226], v[3:4], 1.0
                                        ; implicit-def: $vgpr225_vgpr226
	v_mul_f64 v[1:2], v[1:2], v[3:4]
	v_xor_b32_e32 v4, 0x80000000, v4
.LBB121_632:
	s_andn2_saveexec_b32 s5, s5
	s_cbranch_execz .LBB121_634
; %bb.633:
	v_div_scale_f64 v[1:2], null, v[225:226], v[225:226], v[227:228]
	v_div_scale_f64 v[231:232], vcc_lo, v[227:228], v[225:226], v[227:228]
	v_rcp_f64_e32 v[3:4], v[1:2]
	v_fma_f64 v[229:230], -v[1:2], v[3:4], 1.0
	v_fma_f64 v[3:4], v[3:4], v[229:230], v[3:4]
	v_fma_f64 v[229:230], -v[1:2], v[3:4], 1.0
	v_fma_f64 v[3:4], v[3:4], v[229:230], v[3:4]
	v_mul_f64 v[229:230], v[231:232], v[3:4]
	v_fma_f64 v[1:2], -v[1:2], v[229:230], v[231:232]
	v_div_fmas_f64 v[1:2], v[1:2], v[3:4], v[229:230]
	v_div_fixup_f64 v[3:4], v[1:2], v[225:226], v[227:228]
	v_fma_f64 v[1:2], v[227:228], v[3:4], v[225:226]
	v_div_scale_f64 v[225:226], null, v[1:2], v[1:2], 1.0
	v_rcp_f64_e32 v[227:228], v[225:226]
	v_fma_f64 v[229:230], -v[225:226], v[227:228], 1.0
	v_fma_f64 v[227:228], v[227:228], v[229:230], v[227:228]
	v_fma_f64 v[229:230], -v[225:226], v[227:228], 1.0
	v_fma_f64 v[227:228], v[227:228], v[229:230], v[227:228]
	v_div_scale_f64 v[229:230], vcc_lo, 1.0, v[1:2], 1.0
	v_mul_f64 v[231:232], v[229:230], v[227:228]
	v_fma_f64 v[225:226], -v[225:226], v[231:232], v[229:230]
	v_div_fmas_f64 v[225:226], v[225:226], v[227:228], v[231:232]
	v_div_fixup_f64 v[1:2], v[225:226], v[1:2], 1.0
	v_mul_f64 v[3:4], v[3:4], -v[1:2]
.LBB121_634:
	s_or_b32 exec_lo, exec_lo, s5
	ds_write2_b64 v255, v[1:2], v[3:4] offset1:1
.LBB121_635:
	s_or_b32 exec_lo, exec_lo, s6
	s_waitcnt lgkmcnt(0)
	s_barrier
	buffer_gl0_inv
	ds_read2_b64 v[225:228], v255 offset1:1
	s_mov_b32 s5, exec_lo
	v_cmpx_lt_u32_e32 56, v0
	s_cbranch_execz .LBB121_637
; %bb.636:
	s_clause 0xf
	buffer_load_dword v1, off, s[0:3], 0 offset:896
	buffer_load_dword v2, off, s[0:3], 0 offset:900
	;; [unrolled: 1-line block ×16, first 2 shown]
	s_waitcnt vmcnt(12) lgkmcnt(0)
	v_mul_f64 v[242:243], v[227:228], v[3:4]
	v_mul_f64 v[3:4], v[225:226], v[3:4]
	v_fma_f64 v[242:243], v[225:226], v[1:2], -v[242:243]
	v_fma_f64 v[5:6], v[227:228], v[1:2], v[3:4]
	buffer_store_dword v242, off, s[0:3], 0 offset:896
	buffer_store_dword v243, off, s[0:3], 0 offset:900
	buffer_store_dword v5, off, s[0:3], 0 offset:904
	buffer_store_dword v6, off, s[0:3], 0 offset:908
	ds_read2_b64 v[1:4], v241 offset0:114 offset1:115
	s_waitcnt lgkmcnt(0)
	v_mul_f64 v[7:8], v[3:4], v[5:6]
	v_fma_f64 v[7:8], v[1:2], v[242:243], -v[7:8]
	v_mul_f64 v[1:2], v[1:2], v[5:6]
	v_fma_f64 v[1:2], v[3:4], v[242:243], v[1:2]
	s_waitcnt vmcnt(10)
	v_add_f64 v[3:4], v[229:230], -v[7:8]
	s_waitcnt vmcnt(8)
	v_add_f64 v[1:2], v[231:232], -v[1:2]
	buffer_store_dword v3, off, s[0:3], 0 offset:912
	buffer_store_dword v4, off, s[0:3], 0 offset:916
	buffer_store_dword v1, off, s[0:3], 0 offset:920
	buffer_store_dword v2, off, s[0:3], 0 offset:924
	ds_read2_b64 v[1:4], v241 offset0:116 offset1:117
	s_waitcnt lgkmcnt(0)
	v_mul_f64 v[7:8], v[3:4], v[5:6]
	v_fma_f64 v[7:8], v[1:2], v[242:243], -v[7:8]
	v_mul_f64 v[1:2], v[1:2], v[5:6]
	v_fma_f64 v[1:2], v[3:4], v[242:243], v[1:2]
	s_waitcnt vmcnt(6)
	v_add_f64 v[3:4], v[233:234], -v[7:8]
	s_waitcnt vmcnt(4)
	v_add_f64 v[1:2], v[235:236], -v[1:2]
	;; [unrolled: 14-line block ×3, first 2 shown]
	buffer_store_dword v4, off, s[0:3], 0 offset:948
	buffer_store_dword v3, off, s[0:3], 0 offset:944
	;; [unrolled: 1-line block ×4, first 2 shown]
	ds_read2_b64 v[1:4], v241 offset0:120 offset1:121
	s_waitcnt lgkmcnt(0)
	v_mul_f64 v[7:8], v[3:4], v[5:6]
	v_fma_f64 v[7:8], v[1:2], v[242:243], -v[7:8]
	v_mul_f64 v[1:2], v[1:2], v[5:6]
	v_fma_f64 v[1:2], v[3:4], v[242:243], v[1:2]
	s_clause 0x3
	buffer_load_dword v3, off, s[0:3], 0 offset:960
	buffer_load_dword v4, off, s[0:3], 0 offset:964
	;; [unrolled: 1-line block ×4, first 2 shown]
	s_waitcnt vmcnt(2)
	v_add_f64 v[3:4], v[3:4], -v[7:8]
	s_waitcnt vmcnt(0)
	v_add_f64 v[1:2], v[5:6], -v[1:2]
	buffer_store_dword v4, off, s[0:3], 0 offset:964
	buffer_store_dword v3, off, s[0:3], 0 offset:960
	;; [unrolled: 1-line block ×4, first 2 shown]
.LBB121_637:
	s_or_b32 exec_lo, exec_lo, s5
	s_mov_b32 s6, exec_lo
	s_waitcnt lgkmcnt(0)
	s_waitcnt_vscnt null, 0x0
	s_barrier
	buffer_gl0_inv
	v_cmpx_eq_u32_e32 57, v0
	s_cbranch_execz .LBB121_644
; %bb.638:
	v_mov_b32_e32 v4, s18
	s_clause 0x3
	buffer_load_dword v1, v4, s[0:3], 0 offen
	buffer_load_dword v2, v4, s[0:3], 0 offen offset:4
	buffer_load_dword v3, v4, s[0:3], 0 offen offset:8
	;; [unrolled: 1-line block ×3, first 2 shown]
	s_waitcnt vmcnt(0)
	ds_write2_b64 v255, v[1:2], v[3:4] offset1:1
	v_mov_b32_e32 v4, s16
	s_clause 0x3
	buffer_load_dword v1, v4, s[0:3], 0 offen
	buffer_load_dword v2, v4, s[0:3], 0 offen offset:4
	buffer_load_dword v3, v4, s[0:3], 0 offen offset:8
	buffer_load_dword v4, v4, s[0:3], 0 offen offset:12
	s_waitcnt vmcnt(0)
	ds_write2_b64 v241, v[1:2], v[3:4] offset0:116 offset1:117
	v_mov_b32_e32 v4, s13
	s_clause 0x3
	buffer_load_dword v1, v4, s[0:3], 0 offen
	buffer_load_dword v2, v4, s[0:3], 0 offen offset:4
	buffer_load_dword v3, v4, s[0:3], 0 offen offset:8
	buffer_load_dword v4, v4, s[0:3], 0 offen offset:12
	s_waitcnt vmcnt(0)
	ds_write2_b64 v241, v[1:2], v[3:4] offset0:118 offset1:119
	;; [unrolled: 8-line block ×3, first 2 shown]
	ds_read2_b64 v[229:232], v255 offset1:1
	s_waitcnt lgkmcnt(0)
	v_cmp_neq_f64_e32 vcc_lo, 0, v[229:230]
	v_cmp_neq_f64_e64 s5, 0, v[231:232]
	s_or_b32 s5, vcc_lo, s5
	s_and_b32 exec_lo, exec_lo, s5
	s_cbranch_execz .LBB121_644
; %bb.639:
	v_cmp_ngt_f64_e64 s5, |v[229:230]|, |v[231:232]|
                                        ; implicit-def: $vgpr1_vgpr2
	s_and_saveexec_b32 s7, s5
	s_xor_b32 s5, exec_lo, s7
                                        ; implicit-def: $vgpr3_vgpr4
	s_cbranch_execz .LBB121_641
; %bb.640:
	v_div_scale_f64 v[1:2], null, v[231:232], v[231:232], v[229:230]
	v_div_scale_f64 v[7:8], vcc_lo, v[229:230], v[231:232], v[229:230]
	v_rcp_f64_e32 v[3:4], v[1:2]
	v_fma_f64 v[5:6], -v[1:2], v[3:4], 1.0
	v_fma_f64 v[3:4], v[3:4], v[5:6], v[3:4]
	v_fma_f64 v[5:6], -v[1:2], v[3:4], 1.0
	v_fma_f64 v[3:4], v[3:4], v[5:6], v[3:4]
	v_mul_f64 v[5:6], v[7:8], v[3:4]
	v_fma_f64 v[1:2], -v[1:2], v[5:6], v[7:8]
	v_div_fmas_f64 v[1:2], v[1:2], v[3:4], v[5:6]
	v_div_fixup_f64 v[1:2], v[1:2], v[231:232], v[229:230]
	v_fma_f64 v[3:4], v[229:230], v[1:2], v[231:232]
	v_div_scale_f64 v[5:6], null, v[3:4], v[3:4], 1.0
	v_rcp_f64_e32 v[7:8], v[5:6]
	v_fma_f64 v[229:230], -v[5:6], v[7:8], 1.0
	v_fma_f64 v[7:8], v[7:8], v[229:230], v[7:8]
	v_fma_f64 v[229:230], -v[5:6], v[7:8], 1.0
	v_fma_f64 v[7:8], v[7:8], v[229:230], v[7:8]
	v_div_scale_f64 v[229:230], vcc_lo, 1.0, v[3:4], 1.0
	v_mul_f64 v[231:232], v[229:230], v[7:8]
	v_fma_f64 v[5:6], -v[5:6], v[231:232], v[229:230]
	v_div_fmas_f64 v[5:6], v[5:6], v[7:8], v[231:232]
                                        ; implicit-def: $vgpr229_vgpr230
	v_div_fixup_f64 v[3:4], v[5:6], v[3:4], 1.0
	v_mul_f64 v[1:2], v[1:2], v[3:4]
	v_xor_b32_e32 v4, 0x80000000, v4
.LBB121_641:
	s_andn2_saveexec_b32 s5, s5
	s_cbranch_execz .LBB121_643
; %bb.642:
	v_div_scale_f64 v[1:2], null, v[229:230], v[229:230], v[231:232]
	v_div_scale_f64 v[7:8], vcc_lo, v[231:232], v[229:230], v[231:232]
	v_rcp_f64_e32 v[3:4], v[1:2]
	v_fma_f64 v[5:6], -v[1:2], v[3:4], 1.0
	v_fma_f64 v[3:4], v[3:4], v[5:6], v[3:4]
	v_fma_f64 v[5:6], -v[1:2], v[3:4], 1.0
	v_fma_f64 v[3:4], v[3:4], v[5:6], v[3:4]
	v_mul_f64 v[5:6], v[7:8], v[3:4]
	v_fma_f64 v[1:2], -v[1:2], v[5:6], v[7:8]
	v_div_fmas_f64 v[1:2], v[1:2], v[3:4], v[5:6]
	v_div_fixup_f64 v[3:4], v[1:2], v[229:230], v[231:232]
	v_fma_f64 v[1:2], v[231:232], v[3:4], v[229:230]
	v_div_scale_f64 v[5:6], null, v[1:2], v[1:2], 1.0
	v_rcp_f64_e32 v[7:8], v[5:6]
	v_fma_f64 v[229:230], -v[5:6], v[7:8], 1.0
	v_fma_f64 v[7:8], v[7:8], v[229:230], v[7:8]
	v_fma_f64 v[229:230], -v[5:6], v[7:8], 1.0
	v_fma_f64 v[7:8], v[7:8], v[229:230], v[7:8]
	v_div_scale_f64 v[229:230], vcc_lo, 1.0, v[1:2], 1.0
	v_mul_f64 v[231:232], v[229:230], v[7:8]
	v_fma_f64 v[5:6], -v[5:6], v[231:232], v[229:230]
	v_div_fmas_f64 v[5:6], v[5:6], v[7:8], v[231:232]
	v_div_fixup_f64 v[1:2], v[5:6], v[1:2], 1.0
	v_mul_f64 v[3:4], v[3:4], -v[1:2]
.LBB121_643:
	s_or_b32 exec_lo, exec_lo, s5
	ds_write2_b64 v255, v[1:2], v[3:4] offset1:1
.LBB121_644:
	s_or_b32 exec_lo, exec_lo, s6
	s_waitcnt lgkmcnt(0)
	s_barrier
	buffer_gl0_inv
	ds_read2_b64 v[229:232], v255 offset1:1
	s_mov_b32 s5, exec_lo
	v_cmpx_lt_u32_e32 57, v0
	s_cbranch_execz .LBB121_646
; %bb.645:
	s_clause 0xf
	buffer_load_dword v1, off, s[0:3], 0 offset:912
	buffer_load_dword v2, off, s[0:3], 0 offset:916
	;; [unrolled: 1-line block ×16, first 2 shown]
	s_waitcnt vmcnt(12) lgkmcnt(0)
	v_mul_f64 v[242:243], v[231:232], v[3:4]
	v_mul_f64 v[3:4], v[229:230], v[3:4]
	v_fma_f64 v[242:243], v[229:230], v[1:2], -v[242:243]
	v_fma_f64 v[9:10], v[231:232], v[1:2], v[3:4]
	buffer_store_dword v242, off, s[0:3], 0 offset:912
	buffer_store_dword v243, off, s[0:3], 0 offset:916
	buffer_store_dword v9, off, s[0:3], 0 offset:920
	buffer_store_dword v10, off, s[0:3], 0 offset:924
	ds_read2_b64 v[1:4], v241 offset0:116 offset1:117
	s_waitcnt lgkmcnt(0)
	v_mul_f64 v[11:12], v[3:4], v[9:10]
	v_fma_f64 v[11:12], v[1:2], v[242:243], -v[11:12]
	v_mul_f64 v[1:2], v[1:2], v[9:10]
	v_fma_f64 v[1:2], v[3:4], v[242:243], v[1:2]
	s_waitcnt vmcnt(10)
	v_add_f64 v[3:4], v[5:6], -v[11:12]
	s_waitcnt vmcnt(8)
	v_add_f64 v[1:2], v[7:8], -v[1:2]
	buffer_store_dword v3, off, s[0:3], 0 offset:928
	buffer_store_dword v4, off, s[0:3], 0 offset:932
	buffer_store_dword v1, off, s[0:3], 0 offset:936
	buffer_store_dword v2, off, s[0:3], 0 offset:940
	ds_read2_b64 v[1:4], v241 offset0:118 offset1:119
	s_waitcnt lgkmcnt(0)
	v_mul_f64 v[5:6], v[3:4], v[9:10]
	v_fma_f64 v[5:6], v[1:2], v[242:243], -v[5:6]
	v_mul_f64 v[1:2], v[1:2], v[9:10]
	v_fma_f64 v[1:2], v[3:4], v[242:243], v[1:2]
	s_waitcnt vmcnt(6)
	v_add_f64 v[3:4], v[233:234], -v[5:6]
	s_waitcnt vmcnt(4)
	v_add_f64 v[1:2], v[235:236], -v[1:2]
	;; [unrolled: 14-line block ×3, first 2 shown]
	buffer_store_dword v4, off, s[0:3], 0 offset:964
	buffer_store_dword v3, off, s[0:3], 0 offset:960
	;; [unrolled: 1-line block ×4, first 2 shown]
.LBB121_646:
	s_or_b32 exec_lo, exec_lo, s5
	s_mov_b32 s6, exec_lo
	s_waitcnt lgkmcnt(0)
	s_waitcnt_vscnt null, 0x0
	s_barrier
	buffer_gl0_inv
	v_cmpx_eq_u32_e32 58, v0
	s_cbranch_execz .LBB121_653
; %bb.647:
	v_mov_b32_e32 v4, s16
	s_clause 0x3
	buffer_load_dword v1, v4, s[0:3], 0 offen
	buffer_load_dword v2, v4, s[0:3], 0 offen offset:4
	buffer_load_dword v3, v4, s[0:3], 0 offen offset:8
	;; [unrolled: 1-line block ×3, first 2 shown]
	s_waitcnt vmcnt(0)
	ds_write2_b64 v255, v[1:2], v[3:4] offset1:1
	v_mov_b32_e32 v4, s13
	s_clause 0x3
	buffer_load_dword v1, v4, s[0:3], 0 offen
	buffer_load_dword v2, v4, s[0:3], 0 offen offset:4
	buffer_load_dword v3, v4, s[0:3], 0 offen offset:8
	;; [unrolled: 1-line block ×3, first 2 shown]
	s_waitcnt vmcnt(0)
	ds_write2_b64 v241, v[1:2], v[3:4] offset0:118 offset1:119
	v_mov_b32_e32 v4, s12
	s_clause 0x3
	buffer_load_dword v1, v4, s[0:3], 0 offen
	buffer_load_dword v2, v4, s[0:3], 0 offen offset:4
	buffer_load_dword v3, v4, s[0:3], 0 offen offset:8
	;; [unrolled: 1-line block ×3, first 2 shown]
	s_waitcnt vmcnt(0)
	ds_write2_b64 v241, v[1:2], v[3:4] offset0:120 offset1:121
	ds_read2_b64 v[233:236], v255 offset1:1
	s_waitcnt lgkmcnt(0)
	v_cmp_neq_f64_e32 vcc_lo, 0, v[233:234]
	v_cmp_neq_f64_e64 s5, 0, v[235:236]
	s_or_b32 s5, vcc_lo, s5
	s_and_b32 exec_lo, exec_lo, s5
	s_cbranch_execz .LBB121_653
; %bb.648:
	v_cmp_ngt_f64_e64 s5, |v[233:234]|, |v[235:236]|
                                        ; implicit-def: $vgpr1_vgpr2
	s_and_saveexec_b32 s7, s5
	s_xor_b32 s5, exec_lo, s7
                                        ; implicit-def: $vgpr3_vgpr4
	s_cbranch_execz .LBB121_650
; %bb.649:
	v_div_scale_f64 v[1:2], null, v[235:236], v[235:236], v[233:234]
	v_div_scale_f64 v[7:8], vcc_lo, v[233:234], v[235:236], v[233:234]
	v_rcp_f64_e32 v[3:4], v[1:2]
	v_fma_f64 v[5:6], -v[1:2], v[3:4], 1.0
	v_fma_f64 v[3:4], v[3:4], v[5:6], v[3:4]
	v_fma_f64 v[5:6], -v[1:2], v[3:4], 1.0
	v_fma_f64 v[3:4], v[3:4], v[5:6], v[3:4]
	v_mul_f64 v[5:6], v[7:8], v[3:4]
	v_fma_f64 v[1:2], -v[1:2], v[5:6], v[7:8]
	v_div_fmas_f64 v[1:2], v[1:2], v[3:4], v[5:6]
	v_div_fixup_f64 v[1:2], v[1:2], v[235:236], v[233:234]
	v_fma_f64 v[3:4], v[233:234], v[1:2], v[235:236]
                                        ; implicit-def: $vgpr233_vgpr234
	v_div_scale_f64 v[5:6], null, v[3:4], v[3:4], 1.0
	v_rcp_f64_e32 v[7:8], v[5:6]
	v_fma_f64 v[9:10], -v[5:6], v[7:8], 1.0
	v_fma_f64 v[7:8], v[7:8], v[9:10], v[7:8]
	v_fma_f64 v[9:10], -v[5:6], v[7:8], 1.0
	v_fma_f64 v[7:8], v[7:8], v[9:10], v[7:8]
	v_div_scale_f64 v[9:10], vcc_lo, 1.0, v[3:4], 1.0
	v_mul_f64 v[11:12], v[9:10], v[7:8]
	v_fma_f64 v[5:6], -v[5:6], v[11:12], v[9:10]
	v_div_fmas_f64 v[5:6], v[5:6], v[7:8], v[11:12]
	v_div_fixup_f64 v[3:4], v[5:6], v[3:4], 1.0
	v_mul_f64 v[1:2], v[1:2], v[3:4]
	v_xor_b32_e32 v4, 0x80000000, v4
.LBB121_650:
	s_andn2_saveexec_b32 s5, s5
	s_cbranch_execz .LBB121_652
; %bb.651:
	v_div_scale_f64 v[1:2], null, v[233:234], v[233:234], v[235:236]
	v_div_scale_f64 v[7:8], vcc_lo, v[235:236], v[233:234], v[235:236]
	v_rcp_f64_e32 v[3:4], v[1:2]
	v_fma_f64 v[5:6], -v[1:2], v[3:4], 1.0
	v_fma_f64 v[3:4], v[3:4], v[5:6], v[3:4]
	v_fma_f64 v[5:6], -v[1:2], v[3:4], 1.0
	v_fma_f64 v[3:4], v[3:4], v[5:6], v[3:4]
	v_mul_f64 v[5:6], v[7:8], v[3:4]
	v_fma_f64 v[1:2], -v[1:2], v[5:6], v[7:8]
	v_div_fmas_f64 v[1:2], v[1:2], v[3:4], v[5:6]
	v_div_fixup_f64 v[3:4], v[1:2], v[233:234], v[235:236]
	v_fma_f64 v[1:2], v[235:236], v[3:4], v[233:234]
	v_div_scale_f64 v[5:6], null, v[1:2], v[1:2], 1.0
	v_rcp_f64_e32 v[7:8], v[5:6]
	v_fma_f64 v[9:10], -v[5:6], v[7:8], 1.0
	v_fma_f64 v[7:8], v[7:8], v[9:10], v[7:8]
	v_fma_f64 v[9:10], -v[5:6], v[7:8], 1.0
	v_fma_f64 v[7:8], v[7:8], v[9:10], v[7:8]
	v_div_scale_f64 v[9:10], vcc_lo, 1.0, v[1:2], 1.0
	v_mul_f64 v[11:12], v[9:10], v[7:8]
	v_fma_f64 v[5:6], -v[5:6], v[11:12], v[9:10]
	v_div_fmas_f64 v[5:6], v[5:6], v[7:8], v[11:12]
	v_div_fixup_f64 v[1:2], v[5:6], v[1:2], 1.0
	v_mul_f64 v[3:4], v[3:4], -v[1:2]
.LBB121_652:
	s_or_b32 exec_lo, exec_lo, s5
	ds_write2_b64 v255, v[1:2], v[3:4] offset1:1
.LBB121_653:
	s_or_b32 exec_lo, exec_lo, s6
	s_waitcnt lgkmcnt(0)
	s_barrier
	buffer_gl0_inv
	ds_read2_b64 v[233:236], v255 offset1:1
	s_mov_b32 s5, exec_lo
	v_cmpx_lt_u32_e32 58, v0
	s_cbranch_execz .LBB121_655
; %bb.654:
	s_clause 0xb
	buffer_load_dword v1, off, s[0:3], 0 offset:928
	buffer_load_dword v2, off, s[0:3], 0 offset:932
	;; [unrolled: 1-line block ×12, first 2 shown]
	s_waitcnt vmcnt(8) lgkmcnt(0)
	v_mul_f64 v[237:238], v[235:236], v[3:4]
	v_mul_f64 v[3:4], v[233:234], v[3:4]
	v_fma_f64 v[237:238], v[233:234], v[1:2], -v[237:238]
	v_fma_f64 v[239:240], v[235:236], v[1:2], v[3:4]
	buffer_store_dword v237, off, s[0:3], 0 offset:928
	buffer_store_dword v238, off, s[0:3], 0 offset:932
	;; [unrolled: 1-line block ×4, first 2 shown]
	ds_read2_b64 v[1:4], v241 offset0:118 offset1:119
	s_waitcnt lgkmcnt(0)
	v_mul_f64 v[242:243], v[3:4], v[239:240]
	v_fma_f64 v[242:243], v[1:2], v[237:238], -v[242:243]
	v_mul_f64 v[1:2], v[1:2], v[239:240]
	v_fma_f64 v[1:2], v[3:4], v[237:238], v[1:2]
	s_waitcnt vmcnt(6)
	v_add_f64 v[3:4], v[5:6], -v[242:243]
	s_waitcnt vmcnt(4)
	v_add_f64 v[1:2], v[7:8], -v[1:2]
	buffer_store_dword v3, off, s[0:3], 0 offset:944
	buffer_store_dword v4, off, s[0:3], 0 offset:948
	buffer_store_dword v1, off, s[0:3], 0 offset:952
	buffer_store_dword v2, off, s[0:3], 0 offset:956
	ds_read2_b64 v[1:4], v241 offset0:120 offset1:121
	s_waitcnt lgkmcnt(0)
	v_mul_f64 v[5:6], v[3:4], v[239:240]
	v_fma_f64 v[5:6], v[1:2], v[237:238], -v[5:6]
	v_mul_f64 v[1:2], v[1:2], v[239:240]
	v_fma_f64 v[1:2], v[3:4], v[237:238], v[1:2]
	s_waitcnt vmcnt(2)
	v_add_f64 v[3:4], v[9:10], -v[5:6]
	s_waitcnt vmcnt(0)
	v_add_f64 v[1:2], v[11:12], -v[1:2]
	buffer_store_dword v3, off, s[0:3], 0 offset:960
	buffer_store_dword v4, off, s[0:3], 0 offset:964
	;; [unrolled: 1-line block ×4, first 2 shown]
.LBB121_655:
	s_or_b32 exec_lo, exec_lo, s5
	s_mov_b32 s6, exec_lo
	s_waitcnt lgkmcnt(0)
	s_waitcnt_vscnt null, 0x0
	s_barrier
	buffer_gl0_inv
	v_cmpx_eq_u32_e32 59, v0
	s_cbranch_execz .LBB121_662
; %bb.656:
	v_mov_b32_e32 v4, s13
	s_clause 0x3
	buffer_load_dword v1, v4, s[0:3], 0 offen
	buffer_load_dword v2, v4, s[0:3], 0 offen offset:4
	buffer_load_dword v3, v4, s[0:3], 0 offen offset:8
	;; [unrolled: 1-line block ×3, first 2 shown]
	s_waitcnt vmcnt(0)
	ds_write2_b64 v255, v[1:2], v[3:4] offset1:1
	v_mov_b32_e32 v4, s12
	s_clause 0x3
	buffer_load_dword v1, v4, s[0:3], 0 offen
	buffer_load_dword v2, v4, s[0:3], 0 offen offset:4
	buffer_load_dword v3, v4, s[0:3], 0 offen offset:8
	;; [unrolled: 1-line block ×3, first 2 shown]
	s_waitcnt vmcnt(0)
	ds_write2_b64 v241, v[1:2], v[3:4] offset0:120 offset1:121
	ds_read2_b64 v[237:240], v255 offset1:1
	s_waitcnt lgkmcnt(0)
	v_cmp_neq_f64_e32 vcc_lo, 0, v[237:238]
	v_cmp_neq_f64_e64 s5, 0, v[239:240]
	s_or_b32 s5, vcc_lo, s5
	s_and_b32 exec_lo, exec_lo, s5
	s_cbranch_execz .LBB121_662
; %bb.657:
	v_cmp_ngt_f64_e64 s5, |v[237:238]|, |v[239:240]|
                                        ; implicit-def: $vgpr1_vgpr2
	s_and_saveexec_b32 s7, s5
	s_xor_b32 s5, exec_lo, s7
                                        ; implicit-def: $vgpr3_vgpr4
	s_cbranch_execz .LBB121_659
; %bb.658:
	v_div_scale_f64 v[1:2], null, v[239:240], v[239:240], v[237:238]
	v_div_scale_f64 v[7:8], vcc_lo, v[237:238], v[239:240], v[237:238]
	v_rcp_f64_e32 v[3:4], v[1:2]
	v_fma_f64 v[5:6], -v[1:2], v[3:4], 1.0
	v_fma_f64 v[3:4], v[3:4], v[5:6], v[3:4]
	v_fma_f64 v[5:6], -v[1:2], v[3:4], 1.0
	v_fma_f64 v[3:4], v[3:4], v[5:6], v[3:4]
	v_mul_f64 v[5:6], v[7:8], v[3:4]
	v_fma_f64 v[1:2], -v[1:2], v[5:6], v[7:8]
	v_div_fmas_f64 v[1:2], v[1:2], v[3:4], v[5:6]
	v_div_fixup_f64 v[1:2], v[1:2], v[239:240], v[237:238]
	v_fma_f64 v[3:4], v[237:238], v[1:2], v[239:240]
                                        ; implicit-def: $vgpr237_vgpr238
	v_div_scale_f64 v[5:6], null, v[3:4], v[3:4], 1.0
	v_rcp_f64_e32 v[7:8], v[5:6]
	v_fma_f64 v[9:10], -v[5:6], v[7:8], 1.0
	v_fma_f64 v[7:8], v[7:8], v[9:10], v[7:8]
	v_fma_f64 v[9:10], -v[5:6], v[7:8], 1.0
	v_fma_f64 v[7:8], v[7:8], v[9:10], v[7:8]
	v_div_scale_f64 v[9:10], vcc_lo, 1.0, v[3:4], 1.0
	v_mul_f64 v[11:12], v[9:10], v[7:8]
	v_fma_f64 v[5:6], -v[5:6], v[11:12], v[9:10]
	v_div_fmas_f64 v[5:6], v[5:6], v[7:8], v[11:12]
	v_div_fixup_f64 v[3:4], v[5:6], v[3:4], 1.0
	v_mul_f64 v[1:2], v[1:2], v[3:4]
	v_xor_b32_e32 v4, 0x80000000, v4
.LBB121_659:
	s_andn2_saveexec_b32 s5, s5
	s_cbranch_execz .LBB121_661
; %bb.660:
	v_div_scale_f64 v[1:2], null, v[237:238], v[237:238], v[239:240]
	v_div_scale_f64 v[7:8], vcc_lo, v[239:240], v[237:238], v[239:240]
	v_rcp_f64_e32 v[3:4], v[1:2]
	v_fma_f64 v[5:6], -v[1:2], v[3:4], 1.0
	v_fma_f64 v[3:4], v[3:4], v[5:6], v[3:4]
	v_fma_f64 v[5:6], -v[1:2], v[3:4], 1.0
	v_fma_f64 v[3:4], v[3:4], v[5:6], v[3:4]
	v_mul_f64 v[5:6], v[7:8], v[3:4]
	v_fma_f64 v[1:2], -v[1:2], v[5:6], v[7:8]
	v_div_fmas_f64 v[1:2], v[1:2], v[3:4], v[5:6]
	v_div_fixup_f64 v[3:4], v[1:2], v[237:238], v[239:240]
	v_fma_f64 v[1:2], v[239:240], v[3:4], v[237:238]
	v_div_scale_f64 v[5:6], null, v[1:2], v[1:2], 1.0
	v_rcp_f64_e32 v[7:8], v[5:6]
	v_fma_f64 v[9:10], -v[5:6], v[7:8], 1.0
	v_fma_f64 v[7:8], v[7:8], v[9:10], v[7:8]
	v_fma_f64 v[9:10], -v[5:6], v[7:8], 1.0
	v_fma_f64 v[7:8], v[7:8], v[9:10], v[7:8]
	v_div_scale_f64 v[9:10], vcc_lo, 1.0, v[1:2], 1.0
	v_mul_f64 v[11:12], v[9:10], v[7:8]
	v_fma_f64 v[5:6], -v[5:6], v[11:12], v[9:10]
	v_div_fmas_f64 v[5:6], v[5:6], v[7:8], v[11:12]
	v_div_fixup_f64 v[1:2], v[5:6], v[1:2], 1.0
	v_mul_f64 v[3:4], v[3:4], -v[1:2]
.LBB121_661:
	s_or_b32 exec_lo, exec_lo, s5
	ds_write2_b64 v255, v[1:2], v[3:4] offset1:1
.LBB121_662:
	s_or_b32 exec_lo, exec_lo, s6
	s_waitcnt lgkmcnt(0)
	s_barrier
	buffer_gl0_inv
	ds_read2_b64 v[237:240], v255 offset1:1
	s_mov_b32 s5, exec_lo
	v_cmpx_lt_u32_e32 59, v0
	s_cbranch_execz .LBB121_664
; %bb.663:
	s_clause 0x7
	buffer_load_dword v1, off, s[0:3], 0 offset:944
	buffer_load_dword v2, off, s[0:3], 0 offset:948
	;; [unrolled: 1-line block ×8, first 2 shown]
	s_waitcnt vmcnt(4) lgkmcnt(0)
	v_mul_f64 v[9:10], v[239:240], v[3:4]
	v_mul_f64 v[3:4], v[237:238], v[3:4]
	v_fma_f64 v[9:10], v[237:238], v[1:2], -v[9:10]
	v_fma_f64 v[11:12], v[239:240], v[1:2], v[3:4]
	buffer_store_dword v9, off, s[0:3], 0 offset:944
	buffer_store_dword v10, off, s[0:3], 0 offset:948
	;; [unrolled: 1-line block ×4, first 2 shown]
	ds_read2_b64 v[1:4], v241 offset0:120 offset1:121
	s_waitcnt lgkmcnt(0)
	v_mul_f64 v[241:242], v[3:4], v[11:12]
	v_fma_f64 v[241:242], v[1:2], v[9:10], -v[241:242]
	v_mul_f64 v[1:2], v[1:2], v[11:12]
	v_fma_f64 v[1:2], v[3:4], v[9:10], v[1:2]
	s_waitcnt vmcnt(2)
	v_add_f64 v[3:4], v[5:6], -v[241:242]
	s_waitcnt vmcnt(0)
	v_add_f64 v[1:2], v[7:8], -v[1:2]
	buffer_store_dword v3, off, s[0:3], 0 offset:960
	buffer_store_dword v4, off, s[0:3], 0 offset:964
	;; [unrolled: 1-line block ×4, first 2 shown]
.LBB121_664:
	s_or_b32 exec_lo, exec_lo, s5
	s_mov_b32 s6, exec_lo
	s_waitcnt lgkmcnt(0)
	s_waitcnt_vscnt null, 0x0
	s_barrier
	buffer_gl0_inv
	v_cmpx_eq_u32_e32 60, v0
	s_cbranch_execz .LBB121_671
; %bb.665:
	v_mov_b32_e32 v1, s12
	s_clause 0x3
	buffer_load_dword v241, v1, s[0:3], 0 offen
	buffer_load_dword v242, v1, s[0:3], 0 offen offset:4
	buffer_load_dword v243, v1, s[0:3], 0 offen offset:8
	;; [unrolled: 1-line block ×3, first 2 shown]
	s_waitcnt vmcnt(2)
	v_cmp_neq_f64_e32 vcc_lo, 0, v[241:242]
	s_waitcnt vmcnt(0)
	v_cmp_neq_f64_e64 s5, 0, v[243:244]
	ds_write2_b64 v255, v[241:242], v[243:244] offset1:1
	s_or_b32 s5, vcc_lo, s5
	s_and_b32 exec_lo, exec_lo, s5
	s_cbranch_execz .LBB121_671
; %bb.666:
	v_cmp_ngt_f64_e64 s5, |v[241:242]|, |v[243:244]|
                                        ; implicit-def: $vgpr1_vgpr2
	s_and_saveexec_b32 s7, s5
	s_xor_b32 s5, exec_lo, s7
                                        ; implicit-def: $vgpr3_vgpr4
	s_cbranch_execz .LBB121_668
; %bb.667:
	v_div_scale_f64 v[1:2], null, v[243:244], v[243:244], v[241:242]
	v_div_scale_f64 v[7:8], vcc_lo, v[241:242], v[243:244], v[241:242]
	v_rcp_f64_e32 v[3:4], v[1:2]
	v_fma_f64 v[5:6], -v[1:2], v[3:4], 1.0
	v_fma_f64 v[3:4], v[3:4], v[5:6], v[3:4]
	v_fma_f64 v[5:6], -v[1:2], v[3:4], 1.0
	v_fma_f64 v[3:4], v[3:4], v[5:6], v[3:4]
	v_mul_f64 v[5:6], v[7:8], v[3:4]
	v_fma_f64 v[1:2], -v[1:2], v[5:6], v[7:8]
	v_div_fmas_f64 v[1:2], v[1:2], v[3:4], v[5:6]
	v_div_fixup_f64 v[1:2], v[1:2], v[243:244], v[241:242]
	v_fma_f64 v[3:4], v[241:242], v[1:2], v[243:244]
                                        ; implicit-def: $vgpr241_vgpr242
                                        ; implicit-def: $vgpr243_vgpr244
	v_div_scale_f64 v[5:6], null, v[3:4], v[3:4], 1.0
	v_rcp_f64_e32 v[7:8], v[5:6]
	v_fma_f64 v[9:10], -v[5:6], v[7:8], 1.0
	v_fma_f64 v[7:8], v[7:8], v[9:10], v[7:8]
	v_fma_f64 v[9:10], -v[5:6], v[7:8], 1.0
	v_fma_f64 v[7:8], v[7:8], v[9:10], v[7:8]
	v_div_scale_f64 v[9:10], vcc_lo, 1.0, v[3:4], 1.0
	v_mul_f64 v[11:12], v[9:10], v[7:8]
	v_fma_f64 v[5:6], -v[5:6], v[11:12], v[9:10]
	v_div_fmas_f64 v[5:6], v[5:6], v[7:8], v[11:12]
	v_div_fixup_f64 v[3:4], v[5:6], v[3:4], 1.0
	v_mul_f64 v[1:2], v[1:2], v[3:4]
	v_xor_b32_e32 v4, 0x80000000, v4
.LBB121_668:
	s_andn2_saveexec_b32 s5, s5
	s_cbranch_execz .LBB121_670
; %bb.669:
	v_div_scale_f64 v[1:2], null, v[241:242], v[241:242], v[243:244]
	v_div_scale_f64 v[7:8], vcc_lo, v[243:244], v[241:242], v[243:244]
	v_rcp_f64_e32 v[3:4], v[1:2]
	v_fma_f64 v[5:6], -v[1:2], v[3:4], 1.0
	v_fma_f64 v[3:4], v[3:4], v[5:6], v[3:4]
	v_fma_f64 v[5:6], -v[1:2], v[3:4], 1.0
	v_fma_f64 v[3:4], v[3:4], v[5:6], v[3:4]
	v_mul_f64 v[5:6], v[7:8], v[3:4]
	v_fma_f64 v[1:2], -v[1:2], v[5:6], v[7:8]
	v_div_fmas_f64 v[1:2], v[1:2], v[3:4], v[5:6]
	v_div_fixup_f64 v[3:4], v[1:2], v[241:242], v[243:244]
	v_fma_f64 v[1:2], v[243:244], v[3:4], v[241:242]
	v_div_scale_f64 v[5:6], null, v[1:2], v[1:2], 1.0
	v_rcp_f64_e32 v[7:8], v[5:6]
	v_fma_f64 v[9:10], -v[5:6], v[7:8], 1.0
	v_fma_f64 v[7:8], v[7:8], v[9:10], v[7:8]
	v_fma_f64 v[9:10], -v[5:6], v[7:8], 1.0
	v_fma_f64 v[7:8], v[7:8], v[9:10], v[7:8]
	v_div_scale_f64 v[9:10], vcc_lo, 1.0, v[1:2], 1.0
	v_mul_f64 v[11:12], v[9:10], v[7:8]
	v_fma_f64 v[5:6], -v[5:6], v[11:12], v[9:10]
	v_div_fmas_f64 v[5:6], v[5:6], v[7:8], v[11:12]
	v_div_fixup_f64 v[1:2], v[5:6], v[1:2], 1.0
	v_mul_f64 v[3:4], v[3:4], -v[1:2]
.LBB121_670:
	s_or_b32 exec_lo, exec_lo, s5
	ds_write2_b64 v255, v[1:2], v[3:4] offset1:1
.LBB121_671:
	s_or_b32 exec_lo, exec_lo, s6
	s_waitcnt lgkmcnt(0)
	s_barrier
	buffer_gl0_inv
	ds_read2_b64 v[241:244], v255 offset1:1
	s_mov_b32 s5, exec_lo
	v_cmpx_lt_u32_e32 60, v0
	s_cbranch_execz .LBB121_673
; %bb.672:
	s_clause 0x3
	buffer_load_dword v0, off, s[0:3], 0 offset:968
	buffer_load_dword v1, off, s[0:3], 0 offset:972
	;; [unrolled: 1-line block ×4, first 2 shown]
	s_waitcnt vmcnt(2) lgkmcnt(0)
	v_mul_f64 v[4:5], v[243:244], v[0:1]
	v_mul_f64 v[0:1], v[241:242], v[0:1]
	s_waitcnt vmcnt(0)
	v_fma_f64 v[4:5], v[241:242], v[2:3], -v[4:5]
	v_fma_f64 v[0:1], v[243:244], v[2:3], v[0:1]
	buffer_store_dword v4, off, s[0:3], 0 offset:960
	buffer_store_dword v5, off, s[0:3], 0 offset:964
	;; [unrolled: 1-line block ×4, first 2 shown]
.LBB121_673:
	s_or_b32 exec_lo, exec_lo, s5
	s_waitcnt lgkmcnt(0)
	s_waitcnt_vscnt null, 0x0
	s_barrier
	buffer_gl0_inv
	s_and_saveexec_b32 s76, s4
	s_cbranch_execz .LBB121_676
; %bb.674:
	s_clause 0x3
	buffer_load_dword v0, off, s[0:3], 0 offset:1432
	buffer_load_dword v1, off, s[0:3], 0 offset:1436
	;; [unrolled: 1-line block ×4, first 2 shown]
	v_cmp_eq_f64_e64 s9, 0, v[13:14]
	v_cmp_eq_f64_e64 s10, 0, v[113:114]
	v_cmp_eq_f64_e64 s11, 0, v[115:116]
	s_waitcnt vmcnt(2)
	v_cmp_eq_f64_e32 vcc_lo, 0, v[0:1]
	s_waitcnt vmcnt(0)
	v_cmp_eq_f64_e64 s4, 0, v[2:3]
	s_clause 0x3
	buffer_load_dword v0, off, s[0:3], 0 offset:1448
	buffer_load_dword v1, off, s[0:3], 0 offset:1452
	;; [unrolled: 1-line block ×4, first 2 shown]
	s_and_b32 s4, vcc_lo, s4
	v_cmp_eq_f64_e32 vcc_lo, 0, v[15:16]
	s_and_b32 s9, s9, vcc_lo
	s_waitcnt vmcnt(2)
	v_cmp_neq_f64_e64 s5, 0, v[0:1]
	s_waitcnt vmcnt(0)
	v_cmp_neq_f64_e64 s6, 0, v[2:3]
	s_clause 0x3
	buffer_load_dword v0, off, s[0:3], 0 offset:1464
	buffer_load_dword v1, off, s[0:3], 0 offset:1468
	;; [unrolled: 1-line block ×4, first 2 shown]
	s_or_b32 s5, s5, s6
	v_cmp_eq_f64_e64 s6, 0, v[19:20]
	s_waitcnt vmcnt(2)
	v_cmp_eq_f64_e64 s7, 0, v[0:1]
	v_cndmask_b32_e64 v0, 0, 1, s4
	s_waitcnt vmcnt(0)
	v_cmp_eq_f64_e64 s8, 0, v[2:3]
	s_or_b32 s4, s5, s4
	v_cmp_eq_f64_e64 s5, 0, v[17:18]
	v_cndmask_b32_e64 v0, 2, v0, s4
	v_cmp_eq_u32_e64 s4, 0, v0
	s_and_b32 s7, s7, s8
	v_cmp_eq_f64_e64 s8, 0, v[23:24]
	s_and_b32 s4, s7, s4
	v_cmp_eq_f64_e64 s7, 0, v[21:22]
	v_cndmask_b32_e64 v0, v0, 3, s4
	s_and_b32 s5, s5, s6
	v_cmp_eq_f64_e64 s6, 0, v[31:32]
	v_cmp_eq_u32_e64 s4, 0, v0
	s_and_b32 s4, s9, s4
	v_cmp_eq_f64_e64 s9, 0, v[27:28]
	v_cndmask_b32_e64 v0, v0, 4, s4
	v_cmp_eq_f64_e64 s4, 0, v[25:26]
	v_cmp_eq_u32_e32 vcc_lo, 0, v0
	s_and_b32 s7, s7, s8
	s_and_b32 s5, s5, vcc_lo
	v_cmp_eq_f64_e64 s8, 0, v[35:36]
	v_cndmask_b32_e64 v0, v0, 5, s5
	v_cmp_eq_f64_e64 s5, 0, v[29:30]
	v_cmp_eq_u32_e32 vcc_lo, 0, v0
	s_and_b32 s7, s7, vcc_lo
	s_and_b32 s4, s4, s9
	v_cndmask_b32_e64 v0, v0, 6, s7
	v_cmp_eq_f64_e64 s7, 0, v[33:34]
	v_cmp_eq_f64_e64 s9, 0, v[39:40]
	v_cmp_eq_u32_e32 vcc_lo, 0, v0
	s_and_b32 s4, s4, vcc_lo
	s_and_b32 s5, s5, s6
	v_cndmask_b32_e64 v0, v0, 7, s4
	v_cmp_eq_f64_e64 s4, 0, v[37:38]
	;; [unrolled: 6-line block ×20, first 2 shown]
	v_cmp_eq_f64_e64 s6, 0, v[123:124]
	v_cmp_eq_u32_e32 vcc_lo, 0, v0
	s_and_b32 s5, s5, vcc_lo
	v_cndmask_b32_e64 v0, v0, 26, s5
	s_and_b32 s5, s7, s8
	v_cmp_eq_f64_e64 s7, 0, v[117:118]
	v_cmp_eq_f64_e64 s8, 0, v[119:120]
	v_cmp_eq_u32_e32 vcc_lo, 0, v0
	s_and_b32 s5, s5, vcc_lo
	s_and_b32 s4, s4, s9
	v_cndmask_b32_e64 v0, v0, 27, s5
	v_cmp_eq_f64_e64 s5, 0, v[121:122]
	v_cmp_eq_f64_e64 s9, 0, v[125:126]
	v_cmp_eq_u32_e32 vcc_lo, 0, v0
	s_and_b32 s4, s4, vcc_lo
	v_cndmask_b32_e64 v0, v0, 28, s4
	s_and_b32 s4, s10, s11
	v_cmp_eq_f64_e64 s10, 0, v[127:128]
	v_cmp_eq_u32_e32 vcc_lo, 0, v0
	s_and_b32 s4, s4, vcc_lo
	s_and_b32 s5, s5, s6
	v_cndmask_b32_e64 v0, v0, 29, s4
	s_and_b32 s4, s7, s8
	v_cmp_eq_f64_e64 s6, 0, v[135:136]
	v_cmp_eq_u32_e32 vcc_lo, 0, v0
	s_and_b32 s4, s4, vcc_lo
	v_cmp_eq_f64_e32 vcc_lo, 0, v[129:130]
	v_cndmask_b32_e64 v0, v0, 30, s4
	v_cmp_eq_f64_e64 s4, 0, v[131:132]
	s_and_b32 s9, s9, s10
	v_cmp_eq_u32_e64 s7, 0, v0
	s_and_b32 s5, s5, s7
	v_cndmask_b32_e64 v2, v0, 31, s5
	v_cmp_eq_f64_e64 s5, 0, v[133:134]
	v_lshlrev_b64 v[0:1], 2, v[247:248]
	v_cmp_eq_u32_e64 s7, 0, v2
	v_add_co_u32 v0, s8, s14, v0
	s_and_b32 s7, s9, s7
	s_and_b32 s4, vcc_lo, s4
	v_cndmask_b32_e64 v2, v2, 32, s7
	v_add_co_ci_u32_e64 v1, null, s15, v1, s8
	v_cmp_eq_f64_e64 s8, 0, v[137:138]
	v_cmp_eq_f64_e64 s9, 0, v[139:140]
	v_cmp_eq_u32_e64 s7, 0, v2
	global_load_dword v3, v[0:1], off
	s_and_b32 s4, s4, s7
	s_and_b32 s5, s5, s6
	v_cndmask_b32_e64 v2, v2, 33, s4
	v_cmp_eq_f64_e64 s4, 0, v[141:142]
	v_cmp_eq_f64_e64 s7, 0, v[143:144]
	;; [unrolled: 1-line block ×3, first 2 shown]
	v_cmp_eq_u32_e32 vcc_lo, 0, v2
	s_and_b32 s5, s5, vcc_lo
	v_cndmask_b32_e64 v2, v2, 34, s5
	v_cmp_eq_f64_e64 s5, 0, v[145:146]
	s_and_b32 s8, s8, s9
	v_cmp_eq_f64_e64 s9, 0, v[151:152]
	v_cmp_eq_u32_e32 vcc_lo, 0, v2
	s_and_b32 s8, s8, vcc_lo
	v_cndmask_b32_e64 v2, v2, 35, s8
	s_and_b32 s4, s4, s7
	v_cmp_eq_f64_e64 s8, 0, v[149:150]
	v_cmp_eq_f64_e64 s7, 0, v[155:156]
	v_cmp_eq_u32_e32 vcc_lo, 0, v2
	s_and_b32 s4, s4, vcc_lo
	s_and_b32 s5, s5, s6
	v_cndmask_b32_e64 v2, v2, 36, s4
	v_cmp_eq_f64_e64 s4, 0, v[153:154]
	v_cmp_eq_f64_e64 s6, 0, v[159:160]
	v_cmp_eq_u32_e32 vcc_lo, 0, v2
	s_and_b32 s5, s5, vcc_lo
	v_cndmask_b32_e64 v2, v2, 37, s5
	s_and_b32 s8, s8, s9
	v_cmp_eq_f64_e64 s5, 0, v[157:158]
	v_cmp_eq_f64_e64 s9, 0, v[163:164]
	v_cmp_eq_u32_e32 vcc_lo, 0, v2
	s_and_b32 s8, s8, vcc_lo
	s_and_b32 s4, s4, s7
	v_cndmask_b32_e64 v2, v2, 38, s8
	v_cmp_eq_f64_e64 s8, 0, v[161:162]
	;; [unrolled: 12-line block ×12, first 2 shown]
	v_cmp_eq_u32_e32 vcc_lo, 0, v2
	s_and_b32 s8, s8, vcc_lo
	v_cndmask_b32_e64 v2, v2, 59, s8
	s_and_b32 s4, s4, s7
	v_cmp_eq_u32_e32 vcc_lo, 0, v2
	s_and_b32 s4, s4, vcc_lo
	v_cndmask_b32_e64 v2, v2, 60, s4
	s_and_b32 s4, s5, s6
	v_cmp_eq_u32_e32 vcc_lo, 0, v2
	s_and_b32 s4, s4, vcc_lo
	s_waitcnt vmcnt(0)
	v_cmp_eq_u32_e32 vcc_lo, 0, v3
	v_cndmask_b32_e64 v2, v2, 61, s4
	v_cmp_ne_u32_e64 s4, 0, v2
	s_and_b32 s4, vcc_lo, s4
	s_and_b32 exec_lo, exec_lo, s4
	s_cbranch_execz .LBB121_676
; %bb.675:
	v_add_nc_u32_e32 v2, s17, v2
	global_store_dword v[0:1], v2, off
.LBB121_676:
	s_or_b32 exec_lo, exec_lo, s76
	s_clause 0x3
	buffer_load_dword v0, off, s[0:3], 0
	buffer_load_dword v1, off, s[0:3], 0 offset:4
	buffer_load_dword v2, off, s[0:3], 0 offset:8
	;; [unrolled: 1-line block ×3, first 2 shown]
	v_mov_b32_e32 v7, s75
	v_mov_b32_e32 v11, s74
	;; [unrolled: 1-line block ×22, first 2 shown]
	s_clause 0x3e
	buffer_load_dword v4, v7, s[0:3], 0 offen
	buffer_load_dword v5, v7, s[0:3], 0 offen offset:4
	buffer_load_dword v6, v7, s[0:3], 0 offen offset:8
	buffer_load_dword v7, v7, s[0:3], 0 offen offset:12
	buffer_load_dword v8, v11, s[0:3], 0 offen
	buffer_load_dword v9, v11, s[0:3], 0 offen offset:4
	buffer_load_dword v10, v11, s[0:3], 0 offen offset:8
	buffer_load_dword v11, v11, s[0:3], 0 offen offset:12
	;; [unrolled: 4-line block ×15, first 2 shown]
	buffer_load_dword v64, v67, s[0:3], 0 offen
	buffer_load_dword v65, v67, s[0:3], 0 offen offset:4
	buffer_load_dword v66, v67, s[0:3], 0 offen offset:8
	s_clause 0x8
	buffer_load_dword v67, v67, s[0:3], 0 offen offset:12
	buffer_load_dword v68, v71, s[0:3], 0 offen
	buffer_load_dword v69, v71, s[0:3], 0 offen offset:4
	buffer_load_dword v70, v71, s[0:3], 0 offen offset:8
	;; [unrolled: 1-line block ×3, first 2 shown]
	buffer_load_dword v72, v75, s[0:3], 0 offen
	buffer_load_dword v73, v75, s[0:3], 0 offen offset:4
	buffer_load_dword v74, v75, s[0:3], 0 offen offset:8
	;; [unrolled: 1-line block ×3, first 2 shown]
	v_mov_b32_e32 v91, s53
	s_clause 0xb
	buffer_load_dword v76, v79, s[0:3], 0 offen
	buffer_load_dword v77, v79, s[0:3], 0 offen offset:4
	buffer_load_dword v78, v79, s[0:3], 0 offen offset:8
	buffer_load_dword v79, v79, s[0:3], 0 offen offset:12
	buffer_load_dword v80, v83, s[0:3], 0 offen
	buffer_load_dword v81, v83, s[0:3], 0 offen offset:4
	buffer_load_dword v82, v83, s[0:3], 0 offen offset:8
	buffer_load_dword v83, v83, s[0:3], 0 offen offset:12
	;; [unrolled: 4-line block ×3, first 2 shown]
	v_mov_b32_e32 v92, s52
	v_mov_b32_e32 v95, s51
	;; [unrolled: 1-line block ×37, first 2 shown]
	s_waitcnt vmcnt(62)
	global_store_dwordx4 v[253:254], v[0:3], off
	s_clause 0x9
	buffer_load_dword v0, v88, s[0:3], 0 offen
	buffer_load_dword v1, v88, s[0:3], 0 offen offset:4
	buffer_load_dword v2, v88, s[0:3], 0 offen offset:8
	buffer_load_dword v3, v88, s[0:3], 0 offen offset:12
	buffer_load_dword v88, v91, s[0:3], 0 offen
	buffer_load_dword v89, v91, s[0:3], 0 offen offset:4
	buffer_load_dword v90, v91, s[0:3], 0 offen offset:8
	buffer_load_dword v91, v91, s[0:3], 0 offen offset:12
	buffer_load_dword v93, off, s[0:3], 0 offset:1016
	buffer_load_dword v94, off, s[0:3], 0 offset:1020
	s_waitcnt vmcnt(0)
	global_store_dwordx4 v[93:94], v[4:7], off
	s_clause 0x9
	buffer_load_dword v4, v92, s[0:3], 0 offen
	buffer_load_dword v5, v92, s[0:3], 0 offen offset:4
	buffer_load_dword v6, v92, s[0:3], 0 offen offset:8
	buffer_load_dword v7, v92, s[0:3], 0 offen offset:12
	buffer_load_dword v92, v95, s[0:3], 0 offen
	buffer_load_dword v93, v95, s[0:3], 0 offen offset:4
	buffer_load_dword v94, v95, s[0:3], 0 offen offset:8
	buffer_load_dword v95, v95, s[0:3], 0 offen offset:12
	buffer_load_dword v97, off, s[0:3], 0 offset:1000
	buffer_load_dword v98, off, s[0:3], 0 offset:1004
	;; [unrolled: 13-line block ×18, first 2 shown]
	s_waitcnt vmcnt(0)
	global_store_dwordx4 v[161:162], v[72:75], off
	s_clause 0xd
	buffer_load_dword v72, v160, s[0:3], 0 offen
	buffer_load_dword v73, v160, s[0:3], 0 offen offset:4
	buffer_load_dword v74, v160, s[0:3], 0 offen offset:8
	buffer_load_dword v75, v160, s[0:3], 0 offen offset:12
	buffer_load_dword v160, v163, s[0:3], 0 offen
	buffer_load_dword v161, v163, s[0:3], 0 offen offset:4
	buffer_load_dword v162, v163, s[0:3], 0 offen offset:8
	buffer_load_dword v163, v163, s[0:3], 0 offen offset:12
	buffer_load_dword v164, v167, s[0:3], 0 offen
	buffer_load_dword v165, v167, s[0:3], 0 offen offset:4
	buffer_load_dword v166, v167, s[0:3], 0 offen offset:8
	buffer_load_dword v167, v167, s[0:3], 0 offen offset:12
	buffer_load_dword v168, off, s[0:3], 0 offset:1112
	buffer_load_dword v169, off, s[0:3], 0 offset:1116
	s_waitcnt vmcnt(0)
	global_store_dwordx4 v[168:169], v[76:79], off
	s_clause 0x1
	buffer_load_dword v76, off, s[0:3], 0 offset:1120
	buffer_load_dword v77, off, s[0:3], 0 offset:1124
	s_waitcnt vmcnt(0)
	global_store_dwordx4 v[76:77], v[80:83], off
	s_clause 0x1
	;; [unrolled: 5-line block ×38, first 2 shown]
	buffer_load_dword v0, off, s[0:3], 0 offset:1424
	buffer_load_dword v1, off, s[0:3], 0 offset:1428
	s_waitcnt vmcnt(0)
	global_store_dwordx4 v[0:1], v[156:159], off
	global_store_dwordx4 v[249:250], v[72:75], off
	;; [unrolled: 1-line block ×4, first 2 shown]
.LBB121_677:
	s_endpgm
	.section	.rodata,"a",@progbits
	.p2align	6, 0x0
	.amdhsa_kernel _ZN9rocsolver6v33100L23getf2_npvt_small_kernelILi61E19rocblas_complex_numIdEiiPS3_EEvT1_T3_lS5_lPT2_S5_S5_
		.amdhsa_group_segment_fixed_size 0
		.amdhsa_private_segment_fixed_size 1488
		.amdhsa_kernarg_size 312
		.amdhsa_user_sgpr_count 6
		.amdhsa_user_sgpr_private_segment_buffer 1
		.amdhsa_user_sgpr_dispatch_ptr 0
		.amdhsa_user_sgpr_queue_ptr 0
		.amdhsa_user_sgpr_kernarg_segment_ptr 1
		.amdhsa_user_sgpr_dispatch_id 0
		.amdhsa_user_sgpr_flat_scratch_init 0
		.amdhsa_user_sgpr_private_segment_size 0
		.amdhsa_wavefront_size32 1
		.amdhsa_uses_dynamic_stack 0
		.amdhsa_system_sgpr_private_segment_wavefront_offset 1
		.amdhsa_system_sgpr_workgroup_id_x 1
		.amdhsa_system_sgpr_workgroup_id_y 1
		.amdhsa_system_sgpr_workgroup_id_z 0
		.amdhsa_system_sgpr_workgroup_info 0
		.amdhsa_system_vgpr_workitem_id 1
		.amdhsa_next_free_vgpr 256
		.amdhsa_next_free_sgpr 102
		.amdhsa_reserve_vcc 1
		.amdhsa_reserve_flat_scratch 0
		.amdhsa_float_round_mode_32 0
		.amdhsa_float_round_mode_16_64 0
		.amdhsa_float_denorm_mode_32 3
		.amdhsa_float_denorm_mode_16_64 3
		.amdhsa_dx10_clamp 1
		.amdhsa_ieee_mode 1
		.amdhsa_fp16_overflow 0
		.amdhsa_workgroup_processor_mode 1
		.amdhsa_memory_ordered 1
		.amdhsa_forward_progress 1
		.amdhsa_shared_vgpr_count 0
		.amdhsa_exception_fp_ieee_invalid_op 0
		.amdhsa_exception_fp_denorm_src 0
		.amdhsa_exception_fp_ieee_div_zero 0
		.amdhsa_exception_fp_ieee_overflow 0
		.amdhsa_exception_fp_ieee_underflow 0
		.amdhsa_exception_fp_ieee_inexact 0
		.amdhsa_exception_int_div_zero 0
	.end_amdhsa_kernel
	.section	.text._ZN9rocsolver6v33100L23getf2_npvt_small_kernelILi61E19rocblas_complex_numIdEiiPS3_EEvT1_T3_lS5_lPT2_S5_S5_,"axG",@progbits,_ZN9rocsolver6v33100L23getf2_npvt_small_kernelILi61E19rocblas_complex_numIdEiiPS3_EEvT1_T3_lS5_lPT2_S5_S5_,comdat
.Lfunc_end121:
	.size	_ZN9rocsolver6v33100L23getf2_npvt_small_kernelILi61E19rocblas_complex_numIdEiiPS3_EEvT1_T3_lS5_lPT2_S5_S5_, .Lfunc_end121-_ZN9rocsolver6v33100L23getf2_npvt_small_kernelILi61E19rocblas_complex_numIdEiiPS3_EEvT1_T3_lS5_lPT2_S5_S5_
                                        ; -- End function
	.set _ZN9rocsolver6v33100L23getf2_npvt_small_kernelILi61E19rocblas_complex_numIdEiiPS3_EEvT1_T3_lS5_lPT2_S5_S5_.num_vgpr, 256
	.set _ZN9rocsolver6v33100L23getf2_npvt_small_kernelILi61E19rocblas_complex_numIdEiiPS3_EEvT1_T3_lS5_lPT2_S5_S5_.num_agpr, 0
	.set _ZN9rocsolver6v33100L23getf2_npvt_small_kernelILi61E19rocblas_complex_numIdEiiPS3_EEvT1_T3_lS5_lPT2_S5_S5_.numbered_sgpr, 102
	.set _ZN9rocsolver6v33100L23getf2_npvt_small_kernelILi61E19rocblas_complex_numIdEiiPS3_EEvT1_T3_lS5_lPT2_S5_S5_.num_named_barrier, 0
	.set _ZN9rocsolver6v33100L23getf2_npvt_small_kernelILi61E19rocblas_complex_numIdEiiPS3_EEvT1_T3_lS5_lPT2_S5_S5_.private_seg_size, 1488
	.set _ZN9rocsolver6v33100L23getf2_npvt_small_kernelILi61E19rocblas_complex_numIdEiiPS3_EEvT1_T3_lS5_lPT2_S5_S5_.uses_vcc, 1
	.set _ZN9rocsolver6v33100L23getf2_npvt_small_kernelILi61E19rocblas_complex_numIdEiiPS3_EEvT1_T3_lS5_lPT2_S5_S5_.uses_flat_scratch, 0
	.set _ZN9rocsolver6v33100L23getf2_npvt_small_kernelILi61E19rocblas_complex_numIdEiiPS3_EEvT1_T3_lS5_lPT2_S5_S5_.has_dyn_sized_stack, 0
	.set _ZN9rocsolver6v33100L23getf2_npvt_small_kernelILi61E19rocblas_complex_numIdEiiPS3_EEvT1_T3_lS5_lPT2_S5_S5_.has_recursion, 0
	.set _ZN9rocsolver6v33100L23getf2_npvt_small_kernelILi61E19rocblas_complex_numIdEiiPS3_EEvT1_T3_lS5_lPT2_S5_S5_.has_indirect_call, 0
	.section	.AMDGPU.csdata,"",@progbits
; Kernel info:
; codeLenInByte = 153564
; TotalNumSgprs: 104
; NumVgprs: 256
; ScratchSize: 1488
; MemoryBound: 0
; FloatMode: 240
; IeeeMode: 1
; LDSByteSize: 0 bytes/workgroup (compile time only)
; SGPRBlocks: 0
; VGPRBlocks: 31
; NumSGPRsForWavesPerEU: 104
; NumVGPRsForWavesPerEU: 256
; Occupancy: 4
; WaveLimiterHint : 1
; COMPUTE_PGM_RSRC2:SCRATCH_EN: 1
; COMPUTE_PGM_RSRC2:USER_SGPR: 6
; COMPUTE_PGM_RSRC2:TRAP_HANDLER: 0
; COMPUTE_PGM_RSRC2:TGID_X_EN: 1
; COMPUTE_PGM_RSRC2:TGID_Y_EN: 1
; COMPUTE_PGM_RSRC2:TGID_Z_EN: 0
; COMPUTE_PGM_RSRC2:TIDIG_COMP_CNT: 1
	.section	.text._ZN9rocsolver6v33100L18getf2_small_kernelILi62E19rocblas_complex_numIdEiiPS3_EEvT1_T3_lS5_lPS5_llPT2_S5_S5_S7_l,"axG",@progbits,_ZN9rocsolver6v33100L18getf2_small_kernelILi62E19rocblas_complex_numIdEiiPS3_EEvT1_T3_lS5_lPS5_llPT2_S5_S5_S7_l,comdat
	.globl	_ZN9rocsolver6v33100L18getf2_small_kernelILi62E19rocblas_complex_numIdEiiPS3_EEvT1_T3_lS5_lPS5_llPT2_S5_S5_S7_l ; -- Begin function _ZN9rocsolver6v33100L18getf2_small_kernelILi62E19rocblas_complex_numIdEiiPS3_EEvT1_T3_lS5_lPS5_llPT2_S5_S5_S7_l
	.p2align	8
	.type	_ZN9rocsolver6v33100L18getf2_small_kernelILi62E19rocblas_complex_numIdEiiPS3_EEvT1_T3_lS5_lPS5_llPT2_S5_S5_S7_l,@function
_ZN9rocsolver6v33100L18getf2_small_kernelILi62E19rocblas_complex_numIdEiiPS3_EEvT1_T3_lS5_lPS5_llPT2_S5_S5_S7_l: ; @_ZN9rocsolver6v33100L18getf2_small_kernelILi62E19rocblas_complex_numIdEiiPS3_EEvT1_T3_lS5_lPS5_llPT2_S5_S5_S7_l
; %bb.0:
	s_add_u32 s0, s0, s8
	s_clause 0x1
	s_load_dword s6, s[4:5], 0x6c
	s_load_dwordx2 s[8:9], s[4:5], 0x48
	s_addc_u32 s1, s1, 0
	s_waitcnt lgkmcnt(0)
	s_lshr_b32 s6, s6, 16
	v_mad_u64_u32 v[6:7], null, s7, s6, v[1:2]
	s_mov_b32 s6, exec_lo
	v_cmpx_gt_i32_e64 s8, v6
	s_cbranch_execnz .LBB122_1
; %bb.1436:
	s_getpc_b64 s[102:103]
.Lpost_getpc24:
	s_add_u32 s102, s102, (.LBB122_1435-.Lpost_getpc24)&4294967295
	s_addc_u32 s103, s103, (.LBB122_1435-.Lpost_getpc24)>>32
	s_setpc_b64 s[102:103]
.LBB122_1:
                                        ; implicit-def: $vgpr162 : SGPR spill to VGPR lane
	v_mov_b32_e32 v8, 0
	v_writelane_b32 v162, s8, 0
	v_ashrrev_i32_e32 v7, 31, v6
	v_mov_b32_e32 v9, 0
	v_writelane_b32 v162, s9, 1
	s_load_dwordx4 s[8:11], s[4:5], 0x50
	s_waitcnt lgkmcnt(0)
	s_cmp_eq_u64 s[8:9], 0
	s_cselect_b32 s20, -1, 0
	s_and_b32 vcc_lo, exec_lo, s20
	s_cbranch_vccnz .LBB122_3
; %bb.2:
	v_mul_lo_u32 v4, s11, v6
	v_mul_lo_u32 v5, s10, v7
	v_mad_u64_u32 v[2:3], null, s10, v6, 0
	v_add3_u32 v3, v3, v5, v4
	v_lshlrev_b64 v[2:3], 2, v[2:3]
	v_add_co_u32 v8, vcc_lo, s8, v2
	v_add_co_ci_u32_e64 v9, null, s9, v3, vcc_lo
.LBB122_3:
	s_clause 0x2
	s_load_dwordx8 s[8:15], s[4:5], 0x20
	s_load_dword s6, s[4:5], 0x18
	s_load_dwordx4 s[16:19], s[4:5], 0x8
	v_lshlrev_b32_e32 v11, 4, v0
	s_clause 0x1
	s_load_dword s57, s[4:5], 0x0
	s_load_dwordx2 s[4:5], s[4:5], 0x40
	s_movk_i32 s22, 0x90
	s_movk_i32 s23, 0xa0
	;; [unrolled: 1-line block ×14, first 2 shown]
	s_waitcnt lgkmcnt(0)
	v_mul_lo_u32 v5, s9, v6
	v_mul_lo_u32 v10, s8, v7
	v_mad_u64_u32 v[2:3], null, s8, v6, 0
	v_add3_u32 v4, s6, s6, v0
	s_lshl_b64 s[18:19], s[18:19], 4
	s_ashr_i32 s7, s6, 31
	s_movk_i32 s37, 0x170
	s_lshl_b64 s[8:9], s[6:7], 4
	v_add_nc_u32_e32 v12, s6, v4
	v_add3_u32 v3, v3, v10, v5
	v_ashrrev_i32_e32 v5, 31, v4
	s_max_i32 s7, s57, 62
	s_movk_i32 s38, 0x180
	v_add_nc_u32_e32 v14, s6, v12
	v_lshlrev_b64 v[2:3], 4, v[2:3]
	v_ashrrev_i32_e32 v13, 31, v12
	v_lshlrev_b64 v[4:5], 4, v[4:5]
	s_movk_i32 s39, 0x190
	v_add_nc_u32_e32 v16, s6, v14
	v_ashrrev_i32_e32 v15, 31, v14
	v_add_co_u32 v10, vcc_lo, s16, v2
	v_add_co_ci_u32_e64 v18, null, s17, v3, vcc_lo
	v_lshlrev_b64 v[12:13], 4, v[12:13]
	v_add_co_u32 v128, vcc_lo, v10, s18
	v_ashrrev_i32_e32 v17, 31, v16
	v_add_nc_u32_e32 v24, s6, v16
	v_add_co_ci_u32_e64 v129, null, s19, v18, vcc_lo
	v_lshlrev_b64 v[2:3], 4, v[14:15]
	v_add_co_u32 v116, vcc_lo, v128, v11
	v_lshlrev_b64 v[14:15], 4, v[16:17]
	v_add_co_ci_u32_e64 v117, null, 0, v129, vcc_lo
	v_add_co_u32 v16, vcc_lo, v128, v12
	v_add_nc_u32_e32 v34, s6, v24
	v_ashrrev_i32_e32 v25, 31, v24
	v_add_co_ci_u32_e64 v17, null, v129, v13, vcc_lo
	v_add_co_u32 v2, vcc_lo, v128, v2
	v_add_co_ci_u32_e64 v3, null, v129, v3, vcc_lo
	v_add_co_u32 v32, vcc_lo, v128, v14
	v_add_nc_u32_e32 v40, s6, v34
	v_add_co_ci_u32_e64 v33, null, v129, v15, vcc_lo
	s_clause 0x2
	global_load_dwordx4 v[12:15], v[116:117], off
	global_load_dwordx4 v[16:19], v[16:17], off
	;; [unrolled: 1-line block ×3, first 2 shown]
	v_add_co_u32 v2, vcc_lo, v116, s8
	v_lshlrev_b64 v[25:26], 4, v[24:25]
	v_writelane_b32 v162, s8, 2
	v_add_co_ci_u32_e64 v3, null, s9, v117, vcc_lo
	v_add_co_u32 v4, vcc_lo, v128, v4
	v_ashrrev_i32_e32 v41, 31, v40
	v_add_co_ci_u32_e64 v5, null, v129, v5, vcc_lo
	v_ashrrev_i32_e32 v35, 31, v34
	v_add_co_u32 v36, vcc_lo, v128, v25
	v_add_co_ci_u32_e64 v37, null, v129, v26, vcc_lo
	s_clause 0x1
	global_load_dwordx4 v[24:27], v[2:3], off
	global_load_dwordx4 v[28:31], v[4:5], off
	v_lshlrev_b64 v[4:5], 4, v[40:41]
	v_add_nc_u32_e32 v40, s6, v40
	v_lshlrev_b64 v[2:3], 4, v[34:35]
	s_clause 0x1
	global_load_dwordx4 v[32:35], v[32:33], off
	global_load_dwordx4 v[36:39], v[36:37], off
	v_writelane_b32 v162, s9, 3
	v_mov_b32_e32 v10, 0
	v_add_nc_u32_e32 v48, s6, v40
	v_ashrrev_i32_e32 v41, 31, v40
	v_add_co_u32 v2, vcc_lo, v128, v2
	v_add_co_ci_u32_e64 v3, null, v129, v3, vcc_lo
	v_add_co_u32 v4, vcc_lo, v128, v4
	v_ashrrev_i32_e32 v49, 31, v48
	v_add_co_ci_u32_e64 v5, null, v129, v5, vcc_lo
	v_add_nc_u32_e32 v50, s6, v48
	v_lshlrev_b64 v[52:53], 4, v[40:41]
	s_clause 0x1
	global_load_dwordx4 v[40:43], v[2:3], off
	global_load_dwordx4 v[44:47], v[4:5], off
	v_lshlrev_b64 v[2:3], 4, v[48:49]
	v_writelane_b32 v162, s4, 4
	v_add_nc_u32_e32 v56, s6, v50
	v_ashrrev_i32_e32 v51, 31, v50
	v_add_co_u32 v4, vcc_lo, v128, v52
	v_add_co_ci_u32_e64 v5, null, v129, v53, vcc_lo
	v_add_co_u32 v2, vcc_lo, v128, v2
	v_add_nc_u32_e32 v58, s6, v56
	v_add_co_ci_u32_e64 v3, null, v129, v3, vcc_lo
	v_lshlrev_b64 v[60:61], 4, v[50:51]
	s_clause 0x1
	global_load_dwordx4 v[48:51], v[4:5], off
	global_load_dwordx4 v[52:55], v[2:3], off
	v_add_nc_u32_e32 v4, s6, v58
	v_ashrrev_i32_e32 v57, 31, v56
	v_ashrrev_i32_e32 v59, 31, v58
	v_writelane_b32 v162, s5, 5
	s_movk_i32 s5, 0x50
	v_ashrrev_i32_e32 v5, 31, v4
	v_lshlrev_b64 v[2:3], 4, v[56:57]
	v_add_nc_u32_e32 v64, s6, v4
	v_lshlrev_b64 v[58:59], 4, v[58:59]
	v_add_co_u32 v56, vcc_lo, v128, v60
	v_lshlrev_b64 v[4:5], 4, v[4:5]
	v_add_co_ci_u32_e64 v57, null, v129, v61, vcc_lo
	v_add_co_u32 v2, vcc_lo, v128, v2
	v_add_nc_u32_e32 v72, s6, v64
	v_add_co_ci_u32_e64 v3, null, v129, v3, vcc_lo
	v_add_co_u32 v66, vcc_lo, v128, v58
	v_add_co_ci_u32_e64 v67, null, v129, v59, vcc_lo
	v_add_co_u32 v4, vcc_lo, v128, v4
	v_ashrrev_i32_e32 v65, 31, v64
	v_ashrrev_i32_e32 v73, 31, v72
	v_add_co_ci_u32_e64 v5, null, v129, v5, vcc_lo
	s_clause 0x1
	global_load_dwordx4 v[56:59], v[56:57], off
	global_load_dwordx4 v[60:63], v[2:3], off
	v_lshlrev_b64 v[2:3], 4, v[64:65]
	s_clause 0x1
	global_load_dwordx4 v[64:67], v[66:67], off
	global_load_dwordx4 v[68:71], v[4:5], off
	v_lshlrev_b64 v[4:5], 4, v[72:73]
	v_add_nc_u32_e32 v72, s6, v72
	s_movk_i32 s18, 0x70
	s_movk_i32 s19, 0x80
	v_add_co_u32 v2, vcc_lo, v128, v2
	v_add_nc_u32_e32 v80, s6, v72
	v_add_co_ci_u32_e64 v3, null, v129, v3, vcc_lo
	v_add_co_u32 v4, vcc_lo, v128, v4
	v_ashrrev_i32_e32 v73, 31, v72
	v_add_nc_u32_e32 v82, s6, v80
	v_add_co_ci_u32_e64 v5, null, v129, v5, vcc_lo
	v_ashrrev_i32_e32 v81, 31, v80
	v_lshlrev_b64 v[84:85], 4, v[72:73]
	s_clause 0x1
	global_load_dwordx4 v[72:75], v[2:3], off
	global_load_dwordx4 v[76:79], v[4:5], off
	v_add_nc_u32_e32 v4, s6, v82
	v_ashrrev_i32_e32 v83, 31, v82
	v_lshlrev_b64 v[2:3], 4, v[80:81]
	s_movk_i32 s40, 0x1a0
	v_add_co_u32 v80, vcc_lo, v128, v84
	v_add_nc_u32_e32 v88, s6, v4
	v_lshlrev_b64 v[82:83], 4, v[82:83]
	v_add_co_ci_u32_e64 v81, null, v129, v85, vcc_lo
	v_add_co_u32 v2, vcc_lo, v128, v2
	v_add_nc_u32_e32 v92, s6, v88
	v_ashrrev_i32_e32 v5, 31, v4
	v_add_co_ci_u32_e64 v3, null, v129, v3, vcc_lo
	v_ashrrev_i32_e32 v89, 31, v88
	v_add_co_u32 v90, vcc_lo, v128, v82
	v_add_nc_u32_e32 v94, s6, v92
	v_add_co_ci_u32_e64 v91, null, v129, v83, vcc_lo
	s_clause 0x1
	global_load_dwordx4 v[80:83], v[80:81], off
	global_load_dwordx4 v[84:87], v[2:3], off
	v_lshlrev_b64 v[2:3], 4, v[4:5]
	v_ashrrev_i32_e32 v93, 31, v92
	v_lshlrev_b64 v[4:5], 4, v[88:89]
	v_add_nc_u32_e32 v112, s6, v94
	v_ashrrev_i32_e32 v95, 31, v94
	global_load_dwordx4 v[88:91], v[90:91], off
	v_lshlrev_b64 v[92:93], 4, v[92:93]
	v_add_co_u32 v2, vcc_lo, v128, v2
	v_add_co_ci_u32_e64 v3, null, v129, v3, vcc_lo
	v_ashrrev_i32_e32 v113, 31, v112
	v_add_co_u32 v4, vcc_lo, v128, v4
	v_add_co_ci_u32_e64 v5, null, v129, v5, vcc_lo
	v_add_co_u32 v100, vcc_lo, v128, v92
	v_lshlrev_b64 v[104:105], 4, v[94:95]
	v_add_co_ci_u32_e64 v101, null, v129, v93, vcc_lo
	global_load_dwordx4 v[92:95], v[2:3], off
	v_lshlrev_b64 v[2:3], 4, v[112:113]
	s_clause 0x1
	global_load_dwordx4 v[96:99], v[4:5], off
	global_load_dwordx4 v[100:103], v[100:101], off
	v_add_co_u32 v4, vcc_lo, v128, v104
	v_add_co_ci_u32_e64 v5, null, v129, v105, vcc_lo
	v_add_co_u32 v2, vcc_lo, v128, v2
	v_add_co_ci_u32_e64 v3, null, v129, v3, vcc_lo
	s_clause 0x1
	global_load_dwordx4 v[104:107], v[4:5], off
	global_load_dwordx4 v[108:111], v[2:3], off
	v_add_nc_u32_e32 v2, s6, v112
	s_movk_i32 s41, 0x1b0
	s_movk_i32 s42, 0x1c0
	;; [unrolled: 1-line block ×4, first 2 shown]
	v_ashrrev_i32_e32 v3, 31, v2
	s_movk_i32 s45, 0x1f0
	s_movk_i32 s46, 0x200
	;; [unrolled: 1-line block ×4, first 2 shown]
	v_lshlrev_b64 v[3:4], 4, v[2:3]
	v_add_nc_u32_e32 v2, s6, v2
	s_movk_i32 s82, 0x230
	s_movk_i32 s83, 0x240
	;; [unrolled: 1-line block ×4, first 2 shown]
	v_add_co_u32 v3, vcc_lo, v128, v3
	v_add_co_ci_u32_e64 v4, null, v129, v4, vcc_lo
	v_add_nc_u32_e32 v118, s6, v2
	s_movk_i32 s86, 0x270
	s_movk_i32 s87, 0x280
	global_load_dwordx4 v[112:115], v[3:4], off
	v_ashrrev_i32_e32 v3, 31, v2
	v_add_nc_u32_e32 v120, s6, v118
	v_ashrrev_i32_e32 v119, 31, v118
	s_movk_i32 s88, 0x290
	s_movk_i32 s89, 0x2a0
	v_lshlrev_b64 v[122:123], 4, v[2:3]
	v_add_nc_u32_e32 v124, s6, v120
	global_load_dwordx4 v[2:5], v[116:117], off
	v_lshlrev_b64 v[116:117], 4, v[118:119]
	v_ashrrev_i32_e32 v121, 31, v120
	s_movk_i32 s90, 0x2b0
	v_add_co_u32 v118, vcc_lo, v128, v122
	v_add_nc_u32_e32 v122, s6, v124
	v_ashrrev_i32_e32 v125, 31, v124
	v_add_co_ci_u32_e64 v119, null, v129, v123, vcc_lo
	v_lshlrev_b64 v[120:121], 4, v[120:121]
	v_add_nc_u32_e32 v130, s6, v122
	v_ashrrev_i32_e32 v123, 31, v122
	v_lshlrev_b64 v[124:125], 4, v[124:125]
	v_add_co_u32 v126, vcc_lo, v128, v116
	v_add_nc_u32_e32 v136, s6, v130
	v_ashrrev_i32_e32 v131, 31, v130
	v_lshlrev_b64 v[134:135], 4, v[122:123]
	v_add_co_ci_u32_e64 v127, null, v129, v117, vcc_lo
	v_add_nc_u32_e32 v140, s6, v136
	v_add_co_u32 v132, vcc_lo, v128, v120
	v_ashrrev_i32_e32 v137, 31, v136
	v_add_co_ci_u32_e64 v133, null, v129, v121, vcc_lo
	v_add_nc_u32_e32 v144, s6, v140
	v_add_co_u32 v138, vcc_lo, v128, v124
	v_lshlrev_b64 v[130:131], 4, v[130:131]
	v_add_co_ci_u32_e64 v139, null, v129, v125, vcc_lo
	v_add_co_u32 v134, vcc_lo, v128, v134
	v_ashrrev_i32_e32 v141, 31, v140
	v_add_co_ci_u32_e64 v135, null, v129, v135, vcc_lo
	v_lshlrev_b64 v[142:143], 4, v[136:137]
	v_add_nc_u32_e32 v148, s6, v144
	v_add_co_u32 v146, vcc_lo, v128, v130
	v_ashrrev_i32_e32 v145, 31, v144
	s_clause 0x2
	global_load_dwordx4 v[116:119], v[118:119], off
	global_load_dwordx4 v[120:123], v[126:127], off
	;; [unrolled: 1-line block ×3, first 2 shown]
	v_add_co_ci_u32_e64 v147, null, v129, v131, vcc_lo
	s_clause 0x1
	global_load_dwordx4 v[130:133], v[138:139], off
	global_load_dwordx4 v[134:137], v[134:135], off
	v_lshlrev_b64 v[138:139], 4, v[140:141]
	v_add_nc_u32_e32 v152, s6, v148
	v_add_co_u32 v142, vcc_lo, v128, v142
	v_ashrrev_i32_e32 v149, 31, v148
	v_add_co_ci_u32_e64 v143, null, v129, v143, vcc_lo
	v_lshlrev_b64 v[150:151], 4, v[144:145]
	v_add_co_u32 v154, vcc_lo, v128, v138
	v_add_nc_u32_e32 v156, s6, v152
	v_add_co_ci_u32_e64 v155, null, v129, v139, vcc_lo
	s_clause 0x1
	global_load_dwordx4 v[138:141], v[146:147], off
	global_load_dwordx4 v[142:145], v[142:143], off
	v_lshlrev_b64 v[146:147], 4, v[148:149]
	v_ashrrev_i32_e32 v153, 31, v152
	v_add_co_u32 v148, vcc_lo, v128, v150
	v_ashrrev_i32_e32 v157, 31, v156
	v_add_nc_u32_e32 v158, s6, v156
	v_add_co_ci_u32_e64 v149, null, v129, v151, vcc_lo
	v_lshlrev_b64 v[150:151], 4, v[152:153]
	v_add_co_u32 v152, vcc_lo, v128, v146
	v_add_co_ci_u32_e64 v153, null, v129, v147, vcc_lo
	v_ashrrev_i32_e32 v159, 31, v158
	v_add_co_u32 v150, vcc_lo, v128, v150
	v_add_co_ci_u32_e64 v151, null, v129, v151, vcc_lo
	s_movk_i32 s91, 0x2c0
	s_movk_i32 s92, 0x2d0
	;; [unrolled: 1-line block ×12, first 2 shown]
	s_movk_i32 vcc_hi, 0x380
	s_movk_i32 s16, 0x390
	s_movk_i32 s17, 0x3a0
	;; [unrolled: 1-line block ×4, first 2 shown]
	s_cmp_lt_i32 s57, 2
	s_movk_i32 s21, 0x3d0
	s_waitcnt vmcnt(33)
	buffer_store_dword v15, off, s[0:3], 0 offset:12
	buffer_store_dword v14, off, s[0:3], 0 offset:8
	;; [unrolled: 1-line block ×3, first 2 shown]
	buffer_store_dword v12, off, s[0:3], 0
	s_clause 0x1
	global_load_dwordx4 v[12:15], v[154:155], off
	global_load_dwordx4 v[146:149], v[148:149], off
	v_lshlrev_b64 v[154:155], 4, v[156:157]
	v_add_nc_u32_e32 v156, s6, v158
	v_lshlrev_b64 v[158:159], 4, v[158:159]
	s_waitcnt vmcnt(34)
	buffer_store_dword v19, off, s[0:3], 0 offset:60
	buffer_store_dword v18, off, s[0:3], 0 offset:56
	;; [unrolled: 1-line block ×4, first 2 shown]
	s_waitcnt vmcnt(33)
	buffer_store_dword v23, off, s[0:3], 0 offset:76
	buffer_store_dword v22, off, s[0:3], 0 offset:72
	;; [unrolled: 1-line block ×4, first 2 shown]
	s_clause 0x1
	global_load_dwordx4 v[16:19], v[152:153], off
	global_load_dwordx4 v[20:23], v[150:151], off
	v_add_nc_u32_e32 v160, s6, v156
	v_ashrrev_i32_e32 v157, 31, v156
	v_add_co_u32 v154, vcc_lo, v128, v154
	s_waitcnt vmcnt(32)
	buffer_store_dword v35, off, s[0:3], 0 offset:92
	buffer_store_dword v34, off, s[0:3], 0 offset:88
	;; [unrolled: 1-line block ×4, first 2 shown]
	v_add_nc_u32_e32 v150, s6, v160
	v_lshlrev_b64 v[32:33], 4, v[156:157]
	v_ashrrev_i32_e32 v161, 31, v160
	v_add_co_ci_u32_e64 v155, null, v129, v155, vcc_lo
	v_add_co_u32 v34, vcc_lo, v128, v158
	v_add_nc_u32_e32 v156, s6, v150
	v_add_co_ci_u32_e64 v35, null, v129, v159, vcc_lo
	v_add_co_u32 v152, vcc_lo, v128, v32
	v_lshlrev_b64 v[158:159], 4, v[160:161]
	buffer_store_dword v27, off, s[0:3], 0 offset:28
	buffer_store_dword v26, off, s[0:3], 0 offset:24
	;; [unrolled: 1-line block ×4, first 2 shown]
	v_add_co_ci_u32_e64 v153, null, v129, v33, vcc_lo
	s_clause 0x1
	global_load_dwordx4 v[24:27], v[154:155], off
	global_load_dwordx4 v[32:35], v[34:35], off
	v_add_nc_u32_e32 v154, s6, v156
	v_add_co_u32 v158, vcc_lo, v128, v158
	v_add_co_ci_u32_e64 v159, null, v129, v159, vcc_lo
	v_ashrrev_i32_e32 v155, 31, v154
	v_add_nc_u32_e32 v160, s6, v154
	buffer_store_dword v31, off, s[0:3], 0 offset:44
	buffer_store_dword v30, off, s[0:3], 0 offset:40
	;; [unrolled: 1-line block ×4, first 2 shown]
	s_waitcnt vmcnt(33)
	buffer_store_dword v39, off, s[0:3], 0 offset:108
	buffer_store_dword v38, off, s[0:3], 0 offset:104
	;; [unrolled: 1-line block ×4, first 2 shown]
	s_clause 0x1
	global_load_dwordx4 v[28:31], v[152:153], off
	global_load_dwordx4 v[36:39], v[158:159], off
	v_lshlrev_b64 v[152:153], 4, v[154:155]
	v_ashrrev_i32_e32 v161, 31, v160
	v_add_nc_u32_e32 v154, s6, v160
	s_waitcnt vmcnt(34)
	buffer_store_dword v43, off, s[0:3], 0 offset:124
	buffer_store_dword v42, off, s[0:3], 0 offset:120
	;; [unrolled: 1-line block ×4, first 2 shown]
	v_ashrrev_i32_e32 v151, 31, v150
	v_ashrrev_i32_e32 v157, 31, v156
	v_lshlrev_b64 v[158:159], 4, v[160:161]
	v_add_nc_u32_e32 v160, s6, v154
	v_ashrrev_i32_e32 v155, 31, v154
	v_lshlrev_b64 v[150:151], 4, v[150:151]
	v_lshlrev_b64 v[156:157], 4, v[156:157]
	s_waitcnt vmcnt(33)
	buffer_store_dword v47, off, s[0:3], 0 offset:140
	buffer_store_dword v46, off, s[0:3], 0 offset:136
	buffer_store_dword v45, off, s[0:3], 0 offset:132
	buffer_store_dword v44, off, s[0:3], 0 offset:128
	s_waitcnt vmcnt(32)
	buffer_store_dword v51, off, s[0:3], 0 offset:156
	buffer_store_dword v50, off, s[0:3], 0 offset:152
	buffer_store_dword v49, off, s[0:3], 0 offset:148
	buffer_store_dword v48, off, s[0:3], 0 offset:144
	;; [unrolled: 5-line block ×17, first 2 shown]
	v_add_nc_u32_e32 v56, s6, v160
	v_ashrrev_i32_e32 v161, 31, v160
	v_add_co_u32 v150, vcc_lo, v128, v150
	v_add_co_ci_u32_e64 v151, null, v129, v151, vcc_lo
	v_ashrrev_i32_e32 v57, 31, v56
	v_add_co_u32 v156, vcc_lo, v128, v156
	v_lshlrev_b64 v[48:49], 4, v[154:155]
	v_add_co_ci_u32_e64 v157, null, v129, v157, vcc_lo
	v_lshlrev_b64 v[62:63], 4, v[56:57]
	v_add_nc_u32_e32 v56, s6, v56
	v_add_co_u32 v152, vcc_lo, v128, v152
	v_lshlrev_b64 v[58:59], 4, v[160:161]
	v_add_co_ci_u32_e64 v153, null, v129, v153, vcc_lo
	v_add_nc_u32_e32 v68, s6, v56
	v_ashrrev_i32_e32 v57, 31, v56
	v_add_co_u32 v52, vcc_lo, v128, v158
	v_add_co_ci_u32_e64 v53, null, v129, v159, vcc_lo
	v_add_nc_u32_e32 v72, s6, v68
	v_ashrrev_i32_e32 v69, 31, v68
	v_add_co_u32 v60, vcc_lo, v128, v48
	v_lshlrev_b64 v[70:71], 4, v[56:57]
	v_add_nc_u32_e32 v76, s6, v72
	v_ashrrev_i32_e32 v73, 31, v72
	v_add_co_ci_u32_e64 v61, null, v129, v49, vcc_lo
	v_add_co_u32 v64, vcc_lo, v128, v58
	v_add_nc_u32_e32 v80, s6, v76
	v_ashrrev_i32_e32 v77, 31, v76
	v_lshlrev_b64 v[68:69], 4, v[68:69]
	v_add_co_ci_u32_e64 v65, null, v129, v59, vcc_lo
	v_ashrrev_i32_e32 v81, 31, v80
	v_add_co_u32 v66, vcc_lo, v128, v62
	v_lshlrev_b64 v[72:73], 4, v[72:73]
	v_add_co_ci_u32_e64 v67, null, v129, v63, vcc_lo
	v_lshlrev_b64 v[84:85], 4, v[80:81]
	v_add_nc_u32_e32 v80, s6, v80
	v_add_co_u32 v70, vcc_lo, v128, v70
	v_lshlrev_b64 v[82:83], 4, v[76:77]
	v_add_co_ci_u32_e64 v71, null, v129, v71, vcc_lo
	v_add_nc_u32_e32 v88, s6, v80
	v_ashrrev_i32_e32 v81, 31, v80
	v_add_co_u32 v74, vcc_lo, v128, v68
	s_clause 0x1
	global_load_dwordx4 v[40:43], v[150:151], off
	global_load_dwordx4 v[44:47], v[156:157], off
	v_ashrrev_i32_e32 v89, 31, v88
	s_clause 0x4
	global_load_dwordx4 v[48:51], v[152:153], off
	global_load_dwordx4 v[52:55], v[52:53], off
	;; [unrolled: 1-line block ×5, first 2 shown]
	v_add_co_ci_u32_e64 v75, null, v129, v69, vcc_lo
	v_lshlrev_b64 v[92:93], 4, v[88:89]
	v_add_nc_u32_e32 v88, s6, v88
	v_add_co_u32 v78, vcc_lo, v128, v72
	s_waitcnt vmcnt(23)
	buffer_store_dword v114, off, s[0:3], 0 offset:408
	v_lshlrev_b64 v[90:91], 4, v[80:81]
	v_add_nc_u32_e32 v96, s6, v88
	v_ashrrev_i32_e32 v89, 31, v88
	v_add_co_ci_u32_e64 v79, null, v129, v73, vcc_lo
	v_add_co_u32 v82, vcc_lo, v128, v82
	v_add_nc_u32_e32 v98, s6, v96
	v_ashrrev_i32_e32 v97, 31, v96
	v_add_co_ci_u32_e64 v83, null, v129, v83, vcc_lo
	v_add_co_u32 v84, vcc_lo, v128, v84
	v_add_nc_u32_e32 v102, s6, v98
	v_lshlrev_b64 v[100:101], 4, v[88:89]
	buffer_store_dword v115, off, s[0:3], 0 offset:412
	v_add_co_ci_u32_e64 v85, null, v129, v85, vcc_lo
	v_add_nc_u32_e32 v106, s6, v102
	v_add_co_u32 v90, vcc_lo, v128, v90
	v_lshlrev_b64 v[96:97], 4, v[96:97]
	v_ashrrev_i32_e32 v99, 31, v98
	v_add_nc_u32_e32 v114, s6, v106
	v_add_co_ci_u32_e64 v91, null, v129, v91, vcc_lo
	v_add_co_u32 v92, vcc_lo, v128, v92
	v_ashrrev_i32_e32 v115, 31, v114
	v_ashrrev_i32_e32 v103, 31, v102
	v_add_co_ci_u32_e64 v93, null, v129, v93, vcc_lo
	v_add_co_u32 v100, vcc_lo, v128, v100
	v_lshlrev_b64 v[152:153], 4, v[114:115]
	v_add_nc_u32_e32 v114, s6, v114
	v_ashrrev_i32_e32 v107, 31, v106
	v_add_co_ci_u32_e64 v101, null, v129, v101, vcc_lo
	v_lshlrev_b64 v[98:99], 4, v[98:99]
	v_add_co_u32 v104, vcc_lo, v128, v96
	v_add_co_ci_u32_e64 v105, null, v129, v97, vcc_lo
	v_lshlrev_b64 v[96:97], 4, v[102:103]
	v_ashrrev_i32_e32 v115, 31, v114
	v_lshlrev_b64 v[150:151], 4, v[106:107]
	v_add_co_u32 v108, vcc_lo, v128, v98
	v_add_co_ci_u32_e64 v109, null, v129, v99, vcc_lo
	v_add_co_u32 v110, vcc_lo, v128, v96
	v_lshlrev_b64 v[154:155], 4, v[114:115]
	v_add_co_ci_u32_e64 v111, null, v129, v97, vcc_lo
	v_add_co_u32 v150, vcc_lo, v128, v150
	v_add_co_ci_u32_e64 v151, null, v129, v151, vcc_lo
	v_add_co_u32 v152, vcc_lo, v128, v152
	;; [unrolled: 2-line block ×3, first 2 shown]
	v_add_co_ci_u32_e64 v155, null, v129, v155, vcc_lo
	s_clause 0xa
	global_load_dwordx4 v[68:71], v[70:71], off
	global_load_dwordx4 v[72:75], v[74:75], off
	;; [unrolled: 1-line block ×11, first 2 shown]
	buffer_store_dword v113, off, s[0:3], 0 offset:404
	buffer_store_dword v112, off, s[0:3], 0 offset:400
	s_clause 0x2
	global_load_dwordx4 v[112:115], v[150:151], off
	global_load_dwordx4 v[150:153], v[152:153], off
	;; [unrolled: 1-line block ×3, first 2 shown]
	s_waitcnt vmcnt(35)
	buffer_store_dword v119, off, s[0:3], 0 offset:428
	buffer_store_dword v118, off, s[0:3], 0 offset:424
	buffer_store_dword v117, off, s[0:3], 0 offset:420
	buffer_store_dword v116, off, s[0:3], 0 offset:416
	s_waitcnt vmcnt(34)
	buffer_store_dword v123, off, s[0:3], 0 offset:444
	buffer_store_dword v122, off, s[0:3], 0 offset:440
	buffer_store_dword v121, off, s[0:3], 0 offset:436
	buffer_store_dword v120, off, s[0:3], 0 offset:432
	;; [unrolled: 5-line block ×22, first 2 shown]
	s_waitcnt vmcnt(13)
	buffer_store_dword v71, off, s[0:3], 0 offset:780
	v_mul_lo_u32 v13, s7, v1
	s_movk_i32 s7, 0x60
	v_lshl_add_u32 v12, v13, 4, 0
	v_lshlrev_b32_e32 v14, 4, v13
	v_add_nc_u32_e32 v1, v12, v11
	buffer_store_dword v70, off, s[0:3], 0 offset:776
	buffer_store_dword v69, off, s[0:3], 0 offset:772
	buffer_store_dword v68, off, s[0:3], 0 offset:768
	s_waitcnt vmcnt(12)
	buffer_store_dword v75, off, s[0:3], 0 offset:796
	buffer_store_dword v74, off, s[0:3], 0 offset:792
	buffer_store_dword v73, off, s[0:3], 0 offset:788
	buffer_store_dword v72, off, s[0:3], 0 offset:784
	s_waitcnt vmcnt(11)
	buffer_store_dword v79, off, s[0:3], 0 offset:812
	;; [unrolled: 5-line block ×13, first 2 shown]
	buffer_store_dword v156, off, s[0:3], 0 offset:984
	buffer_store_dword v155, off, s[0:3], 0 offset:980
	;; [unrolled: 1-line block ×3, first 2 shown]
	ds_write2_b64 v1, v[2:3], v[4:5] offset1:1
	s_waitcnt lgkmcnt(0)
	s_waitcnt_vscnt null, 0x0
	s_barrier
	buffer_gl0_inv
	ds_read2_b64 v[1:4], v12 offset1:1
	s_cbranch_scc1 .LBB122_6
; %bb.4:
	v_add3_u32 v5, v14, 0, 16
	v_mov_b32_e32 v10, 0
	s_mov_b32 s48, 1
	s_inst_prefetch 0x1
	.p2align	6
.LBB122_5:                              ; =>This Inner Loop Header: Depth=1
	s_waitcnt lgkmcnt(0)
	v_cmp_gt_f64_e32 vcc_lo, 0, v[3:4]
	v_cmp_gt_f64_e64 s4, 0, v[1:2]
	ds_read2_b64 v[15:18], v5 offset1:1
	v_xor_b32_e32 v11, 0x80000000, v2
	v_xor_b32_e32 v13, 0x80000000, v4
	v_mov_b32_e32 v19, v1
	v_mov_b32_e32 v21, v3
	v_add_nc_u32_e32 v5, 16, v5
	s_waitcnt lgkmcnt(0)
	v_mov_b32_e32 v23, v17
	v_cndmask_b32_e64 v20, v2, v11, s4
	v_cndmask_b32_e32 v22, v4, v13, vcc_lo
	v_cmp_gt_f64_e32 vcc_lo, 0, v[17:18]
	v_cmp_gt_f64_e64 s4, 0, v[15:16]
	v_xor_b32_e32 v11, 0x80000000, v16
	v_xor_b32_e32 v13, 0x80000000, v18
	v_add_f64 v[19:20], v[19:20], v[21:22]
	v_mov_b32_e32 v21, v15
	v_cndmask_b32_e32 v24, v18, v13, vcc_lo
	v_cndmask_b32_e64 v22, v16, v11, s4
	v_add_f64 v[21:22], v[21:22], v[23:24]
	v_cmp_lt_f64_e32 vcc_lo, v[19:20], v[21:22]
	v_cndmask_b32_e32 v2, v2, v16, vcc_lo
	v_cndmask_b32_e32 v1, v1, v15, vcc_lo
	;; [unrolled: 1-line block ×4, first 2 shown]
	v_cndmask_b32_e64 v10, v10, s48, vcc_lo
	s_add_i32 s48, s48, 1
	s_cmp_eq_u32 s57, s48
	s_cbranch_scc0 .LBB122_5
.LBB122_6:
	s_inst_prefetch 0x2
	s_waitcnt lgkmcnt(0)
	v_cmp_neq_f64_e32 vcc_lo, 0, v[1:2]
	v_cmp_neq_f64_e64 s4, 0, v[3:4]
	v_mov_b32_e32 v13, 1
	v_mov_b32_e32 v15, 1
	s_mov_b32 s9, 16
	s_mov_b32 s80, 32
	s_mov_b32 s79, 48
	s_mov_b32 s78, 64
	s_mov_b32 s77, s5
	s_mov_b32 s76, s7
	s_mov_b32 s75, s18
	s_mov_b32 s74, s19
	s_mov_b32 s73, s22
	s_mov_b32 s72, s23
	s_mov_b32 s71, s24
	s_mov_b32 s70, s25
	s_mov_b32 s69, s26
	s_mov_b32 s68, s27
	s_mov_b32 s67, s28
	s_mov_b32 s66, s29
	s_mov_b32 s65, s30
	s_mov_b32 s64, s31
	s_mov_b32 s63, s33
	s_mov_b32 s62, s34
	s_mov_b32 s61, s35
	s_mov_b32 s60, s36
	s_mov_b32 s59, s37
	s_mov_b32 s58, s38
	s_mov_b32 s55, s39
	s_mov_b32 s54, s40
	s_mov_b32 s53, s41
	s_mov_b32 s52, s42
	s_mov_b32 s51, s43
	s_mov_b32 s50, s44
	s_mov_b32 s49, s45
	s_mov_b32 s48, s46
	s_mov_b32 s46, s81
	s_mov_b32 s45, s82
	s_mov_b32 s44, s83
	s_mov_b32 s43, s84
	s_mov_b32 s42, s85
	s_mov_b32 s41, s86
	s_mov_b32 s40, s87
	s_mov_b32 s39, s88
	s_mov_b32 s38, s89
	s_mov_b32 s37, s90
	s_mov_b32 s36, s91
	s_mov_b32 s35, s92
	s_mov_b32 s34, s93
	s_mov_b32 s33, s94
	s_mov_b32 s31, s95
	s_mov_b32 s30, s96
	s_mov_b32 s29, s97
	s_mov_b32 s28, s98
	s_mov_b32 s27, s99
	s_mov_b32 s26, s100
	s_mov_b32 s25, s101
	s_mov_b32 s24, s104
	s_mov_b32 s23, vcc_hi
	s_mov_b32 s22, s16
	s_mov_b32 s19, s17
	;; [unrolled: 1-line block ×5, first 2 shown]
	s_or_b32 s16, vcc_lo, s4
	s_and_saveexec_b32 s4, s16
	s_cbranch_execz .LBB122_12
; %bb.7:
	v_cmp_ngt_f64_e64 s16, |v[1:2]|, |v[3:4]|
	s_and_saveexec_b32 s17, s16
	s_xor_b32 s16, exec_lo, s17
	s_cbranch_execz .LBB122_9
; %bb.8:
	v_div_scale_f64 v[15:16], null, v[3:4], v[3:4], v[1:2]
	v_div_scale_f64 v[21:22], vcc_lo, v[1:2], v[3:4], v[1:2]
	v_rcp_f64_e32 v[17:18], v[15:16]
	v_fma_f64 v[19:20], -v[15:16], v[17:18], 1.0
	v_fma_f64 v[17:18], v[17:18], v[19:20], v[17:18]
	v_fma_f64 v[19:20], -v[15:16], v[17:18], 1.0
	v_fma_f64 v[17:18], v[17:18], v[19:20], v[17:18]
	v_mul_f64 v[19:20], v[21:22], v[17:18]
	v_fma_f64 v[15:16], -v[15:16], v[19:20], v[21:22]
	v_div_fmas_f64 v[15:16], v[15:16], v[17:18], v[19:20]
	v_div_fixup_f64 v[15:16], v[15:16], v[3:4], v[1:2]
	v_fma_f64 v[1:2], v[1:2], v[15:16], v[3:4]
	v_div_scale_f64 v[3:4], null, v[1:2], v[1:2], 1.0
	v_rcp_f64_e32 v[17:18], v[3:4]
	v_fma_f64 v[19:20], -v[3:4], v[17:18], 1.0
	v_fma_f64 v[17:18], v[17:18], v[19:20], v[17:18]
	v_fma_f64 v[19:20], -v[3:4], v[17:18], 1.0
	v_fma_f64 v[17:18], v[17:18], v[19:20], v[17:18]
	v_div_scale_f64 v[19:20], vcc_lo, 1.0, v[1:2], 1.0
	v_mul_f64 v[21:22], v[19:20], v[17:18]
	v_fma_f64 v[3:4], -v[3:4], v[21:22], v[19:20]
	v_div_fmas_f64 v[3:4], v[3:4], v[17:18], v[21:22]
	v_div_fixup_f64 v[3:4], v[3:4], v[1:2], 1.0
	v_mul_f64 v[1:2], v[15:16], v[3:4]
	v_xor_b32_e32 v4, 0x80000000, v4
.LBB122_9:
	s_andn2_saveexec_b32 s16, s16
	s_cbranch_execz .LBB122_11
; %bb.10:
	v_div_scale_f64 v[15:16], null, v[1:2], v[1:2], v[3:4]
	v_div_scale_f64 v[21:22], vcc_lo, v[3:4], v[1:2], v[3:4]
	v_rcp_f64_e32 v[17:18], v[15:16]
	v_fma_f64 v[19:20], -v[15:16], v[17:18], 1.0
	v_fma_f64 v[17:18], v[17:18], v[19:20], v[17:18]
	v_fma_f64 v[19:20], -v[15:16], v[17:18], 1.0
	v_fma_f64 v[17:18], v[17:18], v[19:20], v[17:18]
	v_mul_f64 v[19:20], v[21:22], v[17:18]
	v_fma_f64 v[15:16], -v[15:16], v[19:20], v[21:22]
	v_div_fmas_f64 v[15:16], v[15:16], v[17:18], v[19:20]
	v_div_fixup_f64 v[15:16], v[15:16], v[1:2], v[3:4]
	v_fma_f64 v[1:2], v[3:4], v[15:16], v[1:2]
	v_div_scale_f64 v[3:4], null, v[1:2], v[1:2], 1.0
	v_rcp_f64_e32 v[17:18], v[3:4]
	v_fma_f64 v[19:20], -v[3:4], v[17:18], 1.0
	v_fma_f64 v[17:18], v[17:18], v[19:20], v[17:18]
	v_fma_f64 v[19:20], -v[3:4], v[17:18], 1.0
	v_fma_f64 v[17:18], v[17:18], v[19:20], v[17:18]
	v_div_scale_f64 v[19:20], vcc_lo, 1.0, v[1:2], 1.0
	v_mul_f64 v[21:22], v[19:20], v[17:18]
	v_fma_f64 v[3:4], -v[3:4], v[21:22], v[19:20]
	v_div_fmas_f64 v[3:4], v[3:4], v[17:18], v[21:22]
	v_div_fixup_f64 v[1:2], v[3:4], v[1:2], 1.0
	v_mul_f64 v[3:4], v[15:16], -v[1:2]
.LBB122_11:
	s_or_b32 exec_lo, exec_lo, s16
	v_mov_b32_e32 v15, 0
	v_mov_b32_e32 v13, 2
.LBB122_12:
	s_or_b32 exec_lo, exec_lo, s4
	s_mov_b32 s4, exec_lo
                                        ; implicit-def: $vgpr11
	v_cmpx_ne_u32_e64 v0, v10
	s_xor_b32 s4, exec_lo, s4
	s_cbranch_execz .LBB122_18
; %bb.13:
	s_mov_b32 s16, exec_lo
	v_cmpx_eq_u32_e32 0, v0
	s_cbranch_execz .LBB122_17
; %bb.14:
	v_cmp_ne_u32_e32 vcc_lo, 0, v10
	s_xor_b32 s17, s20, -1
	s_and_b32 s56, s17, vcc_lo
	s_and_saveexec_b32 s17, s56
	s_cbranch_execz .LBB122_16
; %bb.15:
	v_ashrrev_i32_e32 v11, 31, v10
	v_lshlrev_b64 v[16:17], 2, v[10:11]
	v_add_co_u32 v16, vcc_lo, v8, v16
	v_add_co_ci_u32_e64 v17, null, v9, v17, vcc_lo
	s_clause 0x1
	global_load_dword v0, v[16:17], off
	global_load_dword v5, v[8:9], off
	s_waitcnt vmcnt(1)
	global_store_dword v[8:9], v0, off
	s_waitcnt vmcnt(0)
	global_store_dword v[16:17], v5, off
.LBB122_16:
	s_or_b32 exec_lo, exec_lo, s17
	v_mov_b32_e32 v0, v10
.LBB122_17:
	s_or_b32 exec_lo, exec_lo, s16
	v_mov_b32_e32 v11, v0
                                        ; implicit-def: $vgpr0
.LBB122_18:
	s_or_saveexec_b32 s4, s4
	v_mov_b32_e32 v5, v11
	s_xor_b32 exec_lo, exec_lo, s4
	s_cbranch_execz .LBB122_24
; %bb.19:
	s_mov_b32 s16, 16
	s_branch .LBB122_21
.LBB122_20:                             ;   in Loop: Header=BB122_21 Depth=1
	s_andn2_b32 vcc_lo, exec_lo, s56
	s_cbranch_vccz .LBB122_23
.LBB122_21:                             ; =>This Inner Loop Header: Depth=1
	v_mov_b32_e32 v5, s16
	s_mov_b32 s17, s16
	s_mov_b32 s56, -1
	s_cmpk_eq_i32 s16, 0x390
	s_clause 0x13
	buffer_load_dword v10, v5, s[0:3], 0 offen
	buffer_load_dword v11, v5, s[0:3], 0 offen offset:4
	buffer_load_dword v16, v5, s[0:3], 0 offen offset:8
	;; [unrolled: 1-line block ×19, first 2 shown]
	v_add_nc_u32_e32 v5, s16, v12
	s_waitcnt vmcnt(16)
	ds_write2_b64 v5, v[10:11], v[16:17] offset1:1
	s_waitcnt vmcnt(12)
	ds_write2_b64 v5, v[18:19], v[20:21] offset0:2 offset1:3
	s_waitcnt vmcnt(8)
	ds_write2_b64 v5, v[22:23], v[24:25] offset0:4 offset1:5
	;; [unrolled: 2-line block ×4, first 2 shown]
	s_cbranch_scc1 .LBB122_20
; %bb.22:                               ;   in Loop: Header=BB122_21 Depth=1
	v_mov_b32_e32 v25, s17
	s_addk_i32 s16, 0x80
	s_mov_b32 s56, 0
	s_clause 0xb
	buffer_load_dword v10, v25, s[0:3], 0 offen offset:80
	buffer_load_dword v11, v25, s[0:3], 0 offen offset:84
	;; [unrolled: 1-line block ×12, first 2 shown]
	s_waitcnt vmcnt(8)
	ds_write2_b64 v5, v[10:11], v[16:17] offset0:10 offset1:11
	s_waitcnt vmcnt(4)
	ds_write2_b64 v5, v[18:19], v[20:21] offset0:12 offset1:13
	;; [unrolled: 2-line block ×3, first 2 shown]
	s_branch .LBB122_20
.LBB122_23:
	v_mov_b32_e32 v11, 0
	v_mov_b32_e32 v5, v0
.LBB122_24:
	s_or_b32 exec_lo, exec_lo, s4
	s_mov_b32 s4, exec_lo
	s_waitcnt lgkmcnt(0)
	s_waitcnt_vscnt null, 0x0
	s_barrier
	buffer_gl0_inv
	v_cmpx_lt_i32_e32 0, v11
	s_cbranch_execz .LBB122_29
; %bb.25:
	s_clause 0x3
	buffer_load_dword v16, off, s[0:3], 0 offset:8
	buffer_load_dword v17, off, s[0:3], 0 offset:12
	buffer_load_dword v18, off, s[0:3], 0
	buffer_load_dword v19, off, s[0:3], 0 offset:4
	s_mov_b32 s81, 16
	s_waitcnt vmcnt(2)
	v_mul_f64 v[20:21], v[3:4], v[16:17]
	v_mul_f64 v[16:17], v[1:2], v[16:17]
	s_waitcnt vmcnt(0)
	v_fma_f64 v[0:1], v[1:2], v[18:19], -v[20:21]
	v_fma_f64 v[2:3], v[3:4], v[18:19], v[16:17]
	buffer_store_dword v0, off, s[0:3], 0
	buffer_store_dword v1, off, s[0:3], 0 offset:4
	buffer_store_dword v2, off, s[0:3], 0 offset:8
	;; [unrolled: 1-line block ×3, first 2 shown]
	s_branch .LBB122_27
.LBB122_26:                             ;   in Loop: Header=BB122_27 Depth=1
	s_andn2_b32 vcc_lo, exec_lo, s16
	s_cbranch_vccz .LBB122_29
.LBB122_27:                             ; =>This Inner Loop Header: Depth=1
	v_mov_b32_e32 v10, s81
	v_add_nc_u32_e32 v4, s81, v12
	s_mov_b32 s82, s81
	s_mov_b32 s16, -1
	s_cmpk_eq_i32 s81, 0x390
	s_clause 0x13
	buffer_load_dword v36, v10, s[0:3], 0 offen
	buffer_load_dword v37, v10, s[0:3], 0 offen offset:4
	buffer_load_dword v38, v10, s[0:3], 0 offen offset:8
	;; [unrolled: 1-line block ×19, first 2 shown]
	ds_read2_b64 v[16:19], v4 offset1:1
	ds_read2_b64 v[20:23], v4 offset0:2 offset1:3
	ds_read2_b64 v[24:27], v4 offset0:4 offset1:5
	;; [unrolled: 1-line block ×4, first 2 shown]
	s_waitcnt lgkmcnt(4)
	v_mul_f64 v[56:57], v[18:19], v[2:3]
	v_mul_f64 v[58:59], v[16:17], v[2:3]
	s_waitcnt lgkmcnt(3)
	v_mul_f64 v[60:61], v[22:23], v[2:3]
	v_mul_f64 v[62:63], v[20:21], v[2:3]
	s_waitcnt lgkmcnt(2)
	v_mul_f64 v[64:65], v[26:27], v[2:3]
	v_mul_f64 v[66:67], v[24:25], v[2:3]
	s_waitcnt lgkmcnt(1)
	v_mul_f64 v[68:69], v[30:31], v[2:3]
	v_mul_f64 v[70:71], v[28:29], v[2:3]
	s_waitcnt lgkmcnt(0)
	v_mul_f64 v[72:73], v[34:35], v[2:3]
	v_mul_f64 v[74:75], v[32:33], v[2:3]
	v_fma_f64 v[16:17], v[16:17], v[0:1], -v[56:57]
	v_fma_f64 v[18:19], v[18:19], v[0:1], v[58:59]
	v_fma_f64 v[20:21], v[20:21], v[0:1], -v[60:61]
	v_fma_f64 v[22:23], v[22:23], v[0:1], v[62:63]
	;; [unrolled: 2-line block ×5, first 2 shown]
	s_waitcnt vmcnt(18)
	v_add_f64 v[16:17], v[36:37], -v[16:17]
	s_waitcnt vmcnt(16)
	v_add_f64 v[18:19], v[38:39], -v[18:19]
	;; [unrolled: 2-line block ×10, first 2 shown]
	buffer_store_dword v16, v10, s[0:3], 0 offen
	buffer_store_dword v17, v10, s[0:3], 0 offen offset:4
	buffer_store_dword v18, v10, s[0:3], 0 offen offset:8
	;; [unrolled: 1-line block ×19, first 2 shown]
	s_cbranch_scc1 .LBB122_26
; %bb.28:                               ;   in Loop: Header=BB122_27 Depth=1
	v_mov_b32_e32 v10, s82
	s_addk_i32 s81, 0x80
	s_mov_b32 s16, 0
	s_clause 0xb
	buffer_load_dword v28, v10, s[0:3], 0 offen offset:80
	buffer_load_dword v29, v10, s[0:3], 0 offen offset:84
	;; [unrolled: 1-line block ×12, first 2 shown]
	ds_read2_b64 v[16:19], v4 offset0:10 offset1:11
	ds_read2_b64 v[20:23], v4 offset0:12 offset1:13
	;; [unrolled: 1-line block ×3, first 2 shown]
	s_waitcnt lgkmcnt(2)
	v_mul_f64 v[40:41], v[18:19], v[2:3]
	v_mul_f64 v[42:43], v[16:17], v[2:3]
	s_waitcnt lgkmcnt(1)
	v_mul_f64 v[44:45], v[22:23], v[2:3]
	v_mul_f64 v[46:47], v[20:21], v[2:3]
	;; [unrolled: 3-line block ×3, first 2 shown]
	v_fma_f64 v[16:17], v[16:17], v[0:1], -v[40:41]
	v_fma_f64 v[18:19], v[18:19], v[0:1], v[42:43]
	v_fma_f64 v[20:21], v[20:21], v[0:1], -v[44:45]
	v_fma_f64 v[22:23], v[22:23], v[0:1], v[46:47]
	;; [unrolled: 2-line block ×3, first 2 shown]
	s_waitcnt vmcnt(10)
	v_add_f64 v[16:17], v[28:29], -v[16:17]
	s_waitcnt vmcnt(8)
	v_add_f64 v[18:19], v[30:31], -v[18:19]
	;; [unrolled: 2-line block ×6, first 2 shown]
	buffer_store_dword v16, v10, s[0:3], 0 offen offset:80
	buffer_store_dword v17, v10, s[0:3], 0 offen offset:84
	buffer_store_dword v18, v10, s[0:3], 0 offen offset:88
	buffer_store_dword v19, v10, s[0:3], 0 offen offset:92
	buffer_store_dword v20, v10, s[0:3], 0 offen offset:96
	buffer_store_dword v21, v10, s[0:3], 0 offen offset:100
	buffer_store_dword v22, v10, s[0:3], 0 offen offset:104
	buffer_store_dword v23, v10, s[0:3], 0 offen offset:108
	buffer_store_dword v24, v10, s[0:3], 0 offen offset:112
	buffer_store_dword v25, v10, s[0:3], 0 offen offset:116
	buffer_store_dword v26, v10, s[0:3], 0 offen offset:120
	buffer_store_dword v27, v10, s[0:3], 0 offen offset:124
	s_branch .LBB122_26
.LBB122_29:
	s_or_b32 exec_lo, exec_lo, s4
	v_mov_b32_e32 v3, s9
	s_waitcnt_vscnt null, 0x0
	s_barrier
	buffer_gl0_inv
	v_lshl_add_u32 v4, v11, 4, v12
	s_clause 0x3
	buffer_load_dword v0, v3, s[0:3], 0 offen
	buffer_load_dword v1, v3, s[0:3], 0 offen offset:4
	buffer_load_dword v2, v3, s[0:3], 0 offen offset:8
	;; [unrolled: 1-line block ×3, first 2 shown]
	s_cmp_lt_i32 s57, 3
	s_waitcnt vmcnt(0)
	ds_write2_b64 v4, v[0:1], v[2:3] offset1:1
	s_waitcnt lgkmcnt(0)
	s_barrier
	buffer_gl0_inv
	ds_read2_b64 v[0:3], v12 offset0:2 offset1:3
	v_mov_b32_e32 v4, 1
	s_cbranch_scc1 .LBB122_32
; %bb.30:
	v_add3_u32 v10, v14, 0, 32
	v_mov_b32_e32 v4, 1
	s_mov_b32 s16, 2
	s_inst_prefetch 0x1
	.p2align	6
.LBB122_31:                             ; =>This Inner Loop Header: Depth=1
	s_waitcnt lgkmcnt(0)
	v_cmp_gt_f64_e32 vcc_lo, 0, v[2:3]
	v_cmp_gt_f64_e64 s4, 0, v[0:1]
	ds_read2_b64 v[16:19], v10 offset1:1
	v_xor_b32_e32 v21, 0x80000000, v1
	v_xor_b32_e32 v23, 0x80000000, v3
	v_mov_b32_e32 v20, v0
	v_mov_b32_e32 v22, v2
	v_add_nc_u32_e32 v10, 16, v10
	s_waitcnt lgkmcnt(0)
	v_xor_b32_e32 v25, 0x80000000, v19
	v_cndmask_b32_e64 v21, v1, v21, s4
	v_cndmask_b32_e32 v23, v3, v23, vcc_lo
	v_cmp_gt_f64_e32 vcc_lo, 0, v[18:19]
	v_cmp_gt_f64_e64 s4, 0, v[16:17]
	v_mov_b32_e32 v24, v18
	v_add_f64 v[20:21], v[20:21], v[22:23]
	v_xor_b32_e32 v23, 0x80000000, v17
	v_mov_b32_e32 v22, v16
	v_cndmask_b32_e32 v25, v19, v25, vcc_lo
	v_cndmask_b32_e64 v23, v17, v23, s4
	v_add_f64 v[22:23], v[22:23], v[24:25]
	v_cmp_lt_f64_e32 vcc_lo, v[20:21], v[22:23]
	v_cndmask_b32_e32 v1, v1, v17, vcc_lo
	v_cndmask_b32_e32 v0, v0, v16, vcc_lo
	v_cndmask_b32_e32 v3, v3, v19, vcc_lo
	v_cndmask_b32_e32 v2, v2, v18, vcc_lo
	v_cndmask_b32_e64 v4, v4, s16, vcc_lo
	s_add_i32 s16, s16, 1
	s_cmp_lg_u32 s57, s16
	s_cbranch_scc1 .LBB122_31
.LBB122_32:
	s_inst_prefetch 0x2
	s_waitcnt lgkmcnt(0)
	v_cmp_neq_f64_e32 vcc_lo, 0, v[0:1]
	v_cmp_neq_f64_e64 s4, 0, v[2:3]
	s_or_b32 s16, vcc_lo, s4
	s_and_saveexec_b32 s4, s16
	s_cbranch_execz .LBB122_38
; %bb.33:
	v_cmp_ngt_f64_e64 s16, |v[0:1]|, |v[2:3]|
	s_and_saveexec_b32 s17, s16
	s_xor_b32 s16, exec_lo, s17
	s_cbranch_execz .LBB122_35
; %bb.34:
	v_div_scale_f64 v[16:17], null, v[2:3], v[2:3], v[0:1]
	v_div_scale_f64 v[22:23], vcc_lo, v[0:1], v[2:3], v[0:1]
	v_rcp_f64_e32 v[18:19], v[16:17]
	v_fma_f64 v[20:21], -v[16:17], v[18:19], 1.0
	v_fma_f64 v[18:19], v[18:19], v[20:21], v[18:19]
	v_fma_f64 v[20:21], -v[16:17], v[18:19], 1.0
	v_fma_f64 v[18:19], v[18:19], v[20:21], v[18:19]
	v_mul_f64 v[20:21], v[22:23], v[18:19]
	v_fma_f64 v[16:17], -v[16:17], v[20:21], v[22:23]
	v_div_fmas_f64 v[16:17], v[16:17], v[18:19], v[20:21]
	v_div_fixup_f64 v[16:17], v[16:17], v[2:3], v[0:1]
	v_fma_f64 v[0:1], v[0:1], v[16:17], v[2:3]
	v_div_scale_f64 v[2:3], null, v[0:1], v[0:1], 1.0
	v_rcp_f64_e32 v[18:19], v[2:3]
	v_fma_f64 v[20:21], -v[2:3], v[18:19], 1.0
	v_fma_f64 v[18:19], v[18:19], v[20:21], v[18:19]
	v_fma_f64 v[20:21], -v[2:3], v[18:19], 1.0
	v_fma_f64 v[18:19], v[18:19], v[20:21], v[18:19]
	v_div_scale_f64 v[20:21], vcc_lo, 1.0, v[0:1], 1.0
	v_mul_f64 v[22:23], v[20:21], v[18:19]
	v_fma_f64 v[2:3], -v[2:3], v[22:23], v[20:21]
	v_div_fmas_f64 v[2:3], v[2:3], v[18:19], v[22:23]
	v_div_fixup_f64 v[2:3], v[2:3], v[0:1], 1.0
	v_mul_f64 v[0:1], v[16:17], v[2:3]
	v_xor_b32_e32 v3, 0x80000000, v3
.LBB122_35:
	s_andn2_saveexec_b32 s16, s16
	s_cbranch_execz .LBB122_37
; %bb.36:
	v_div_scale_f64 v[16:17], null, v[0:1], v[0:1], v[2:3]
	v_div_scale_f64 v[22:23], vcc_lo, v[2:3], v[0:1], v[2:3]
	v_rcp_f64_e32 v[18:19], v[16:17]
	v_fma_f64 v[20:21], -v[16:17], v[18:19], 1.0
	v_fma_f64 v[18:19], v[18:19], v[20:21], v[18:19]
	v_fma_f64 v[20:21], -v[16:17], v[18:19], 1.0
	v_fma_f64 v[18:19], v[18:19], v[20:21], v[18:19]
	v_mul_f64 v[20:21], v[22:23], v[18:19]
	v_fma_f64 v[16:17], -v[16:17], v[20:21], v[22:23]
	v_div_fmas_f64 v[16:17], v[16:17], v[18:19], v[20:21]
	v_div_fixup_f64 v[16:17], v[16:17], v[0:1], v[2:3]
	v_fma_f64 v[0:1], v[2:3], v[16:17], v[0:1]
	v_div_scale_f64 v[2:3], null, v[0:1], v[0:1], 1.0
	v_rcp_f64_e32 v[18:19], v[2:3]
	v_fma_f64 v[20:21], -v[2:3], v[18:19], 1.0
	v_fma_f64 v[18:19], v[18:19], v[20:21], v[18:19]
	v_fma_f64 v[20:21], -v[2:3], v[18:19], 1.0
	v_fma_f64 v[18:19], v[18:19], v[20:21], v[18:19]
	v_div_scale_f64 v[20:21], vcc_lo, 1.0, v[0:1], 1.0
	v_mul_f64 v[22:23], v[20:21], v[18:19]
	v_fma_f64 v[2:3], -v[2:3], v[22:23], v[20:21]
	v_div_fmas_f64 v[2:3], v[2:3], v[18:19], v[22:23]
	v_div_fixup_f64 v[0:1], v[2:3], v[0:1], 1.0
	v_mul_f64 v[2:3], v[16:17], -v[0:1]
.LBB122_37:
	s_or_b32 exec_lo, exec_lo, s16
	v_mov_b32_e32 v13, v15
.LBB122_38:
	s_or_b32 exec_lo, exec_lo, s4
	s_mov_b32 s4, exec_lo
	v_cmpx_ne_u32_e64 v11, v4
	s_xor_b32 s4, exec_lo, s4
	s_cbranch_execz .LBB122_44
; %bb.39:
	s_mov_b32 s16, exec_lo
	v_cmpx_eq_u32_e32 1, v11
	s_cbranch_execz .LBB122_43
; %bb.40:
	v_cmp_ne_u32_e32 vcc_lo, 1, v4
	s_xor_b32 s17, s20, -1
	s_and_b32 s56, s17, vcc_lo
	s_and_saveexec_b32 s17, s56
	s_cbranch_execz .LBB122_42
; %bb.41:
	v_ashrrev_i32_e32 v5, 31, v4
	v_lshlrev_b64 v[10:11], 2, v[4:5]
	v_add_co_u32 v10, vcc_lo, v8, v10
	v_add_co_ci_u32_e64 v11, null, v9, v11, vcc_lo
	s_clause 0x1
	global_load_dword v5, v[10:11], off
	global_load_dword v15, v[8:9], off offset:4
	s_waitcnt vmcnt(1)
	global_store_dword v[8:9], v5, off offset:4
	s_waitcnt vmcnt(0)
	global_store_dword v[10:11], v15, off
.LBB122_42:
	s_or_b32 exec_lo, exec_lo, s17
	v_mov_b32_e32 v11, v4
	v_mov_b32_e32 v5, v4
.LBB122_43:
	s_or_b32 exec_lo, exec_lo, s16
.LBB122_44:
	s_andn2_saveexec_b32 s4, s4
	s_cbranch_execz .LBB122_48
; %bb.45:
	s_mov_b32 s81, 32
.LBB122_46:                             ; =>This Inner Loop Header: Depth=1
	v_mov_b32_e32 v4, s81
	s_clause 0x3b
	buffer_load_dword v10, v4, s[0:3], 0 offen
	buffer_load_dword v11, v4, s[0:3], 0 offen offset:4
	buffer_load_dword v15, v4, s[0:3], 0 offen offset:8
	;; [unrolled: 1-line block ×59, first 2 shown]
	v_add_nc_u32_e32 v4, s81, v12
	s_addk_i32 s81, 0xf0
	s_waitcnt vmcnt(56)
	ds_write2_b64 v4, v[10:11], v[15:16] offset1:1
	s_waitcnt vmcnt(52)
	ds_write2_b64 v4, v[17:18], v[19:20] offset0:2 offset1:3
	s_waitcnt vmcnt(48)
	ds_write2_b64 v4, v[21:22], v[23:24] offset0:4 offset1:5
	;; [unrolled: 2-line block ×4, first 2 shown]
	ds_write2_b64 v4, v[33:34], v[31:32] offset0:10 offset1:11
	s_waitcnt vmcnt(28)
	ds_write2_b64 v4, v[43:44], v[37:38] offset0:12 offset1:13
	ds_write2_b64 v4, v[41:42], v[39:40] offset0:14 offset1:15
	s_waitcnt vmcnt(24)
	ds_write2_b64 v4, v[45:46], v[47:48] offset0:16 offset1:17
	s_waitcnt vmcnt(20)
	;; [unrolled: 2-line block ×7, first 2 shown]
	ds_write2_b64 v4, v[69:70], v[71:72] offset0:28 offset1:29
	s_cmpk_eq_i32 s81, 0x3e0
	s_cbranch_scc0 .LBB122_46
; %bb.47:
	v_mov_b32_e32 v11, 1
.LBB122_48:
	s_or_b32 exec_lo, exec_lo, s4
	s_mov_b32 s4, exec_lo
	s_waitcnt lgkmcnt(0)
	s_waitcnt_vscnt null, 0x0
	s_barrier
	buffer_gl0_inv
	v_cmpx_lt_i32_e32 1, v11
	s_cbranch_execz .LBB122_51
; %bb.49:
	s_clause 0x3
	buffer_load_dword v15, off, s[0:3], 0 offset:24
	buffer_load_dword v16, off, s[0:3], 0 offset:28
	;; [unrolled: 1-line block ×4, first 2 shown]
	s_mov_b32 s81, 32
	s_waitcnt vmcnt(2)
	v_mul_f64 v[19:20], v[2:3], v[15:16]
	v_mul_f64 v[15:16], v[0:1], v[15:16]
	s_waitcnt vmcnt(0)
	v_fma_f64 v[0:1], v[0:1], v[17:18], -v[19:20]
	v_fma_f64 v[2:3], v[2:3], v[17:18], v[15:16]
	buffer_store_dword v0, off, s[0:3], 0 offset:16
	buffer_store_dword v1, off, s[0:3], 0 offset:20
	;; [unrolled: 1-line block ×4, first 2 shown]
.LBB122_50:                             ; =>This Inner Loop Header: Depth=1
	v_mov_b32_e32 v4, s81
	v_add_nc_u32_e32 v10, s81, v12
	s_addk_i32 s81, 0x60
	s_clause 0x3
	buffer_load_dword v23, v4, s[0:3], 0 offen
	buffer_load_dword v24, v4, s[0:3], 0 offen offset:4
	buffer_load_dword v25, v4, s[0:3], 0 offen offset:8
	buffer_load_dword v26, v4, s[0:3], 0 offen offset:12
	ds_read2_b64 v[15:18], v10 offset1:1
	s_clause 0x7
	buffer_load_dword v35, v4, s[0:3], 0 offen offset:16
	buffer_load_dword v37, v4, s[0:3], 0 offen offset:24
	;; [unrolled: 1-line block ×8, first 2 shown]
	ds_read2_b64 v[19:22], v10 offset0:2 offset1:3
	s_cmpk_lg_i32 s81, 0x3e0
	s_waitcnt lgkmcnt(1)
	v_mul_f64 v[27:28], v[17:18], v[2:3]
	v_mul_f64 v[2:3], v[15:16], v[2:3]
	v_fma_f64 v[15:16], v[15:16], v[0:1], -v[27:28]
	v_fma_f64 v[0:1], v[17:18], v[0:1], v[2:3]
	s_waitcnt vmcnt(10)
	v_add_f64 v[2:3], v[23:24], -v[15:16]
	s_waitcnt vmcnt(8)
	v_add_f64 v[0:1], v[25:26], -v[0:1]
	buffer_store_dword v3, v4, s[0:3], 0 offen offset:4
	buffer_store_dword v2, v4, s[0:3], 0 offen
	buffer_store_dword v1, v4, s[0:3], 0 offen offset:12
	buffer_store_dword v0, v4, s[0:3], 0 offen offset:8
	s_clause 0xf
	buffer_load_dword v3, off, s[0:3], 0 offset:28
	buffer_load_dword v2, off, s[0:3], 0 offset:24
	;; [unrolled: 1-line block ×4, first 2 shown]
	buffer_load_dword v43, v4, s[0:3], 0 offen offset:48
	buffer_load_dword v44, v4, s[0:3], 0 offen offset:52
	;; [unrolled: 1-line block ×12, first 2 shown]
	ds_read2_b64 v[15:18], v10 offset0:4 offset1:5
	ds_read2_b64 v[23:26], v10 offset0:6 offset1:7
	;; [unrolled: 1-line block ×4, first 2 shown]
	s_waitcnt vmcnt(14) lgkmcnt(4)
	v_mul_f64 v[55:56], v[21:22], v[2:3]
	v_mul_f64 v[57:58], v[19:20], v[2:3]
	s_waitcnt lgkmcnt(3)
	v_mul_f64 v[59:60], v[17:18], v[2:3]
	v_mul_f64 v[61:62], v[15:16], v[2:3]
	s_waitcnt lgkmcnt(2)
	;; [unrolled: 3-line block ×4, first 2 shown]
	v_mul_f64 v[71:72], v[33:34], v[2:3]
	v_mul_f64 v[73:74], v[31:32], v[2:3]
	s_waitcnt vmcnt(12)
	v_fma_f64 v[19:20], v[19:20], v[0:1], -v[55:56]
	v_fma_f64 v[21:22], v[21:22], v[0:1], v[57:58]
	v_fma_f64 v[15:16], v[15:16], v[0:1], -v[59:60]
	v_fma_f64 v[17:18], v[17:18], v[0:1], v[61:62]
	;; [unrolled: 2-line block ×5, first 2 shown]
	v_add_f64 v[19:20], v[35:36], -v[19:20]
	v_add_f64 v[21:22], v[37:38], -v[21:22]
	;; [unrolled: 1-line block ×4, first 2 shown]
	s_waitcnt vmcnt(10)
	v_add_f64 v[23:24], v[43:44], -v[23:24]
	s_waitcnt vmcnt(8)
	v_add_f64 v[25:26], v[45:46], -v[25:26]
	s_waitcnt vmcnt(6)
	v_add_f64 v[27:28], v[47:48], -v[27:28]
	s_waitcnt vmcnt(4)
	v_add_f64 v[29:30], v[49:50], -v[29:30]
	s_waitcnt vmcnt(2)
	v_add_f64 v[31:32], v[51:52], -v[31:32]
	s_waitcnt vmcnt(0)
	v_add_f64 v[33:34], v[53:54], -v[33:34]
	buffer_store_dword v19, v4, s[0:3], 0 offen offset:16
	buffer_store_dword v20, v4, s[0:3], 0 offen offset:20
	;; [unrolled: 1-line block ×20, first 2 shown]
	s_cbranch_scc1 .LBB122_50
.LBB122_51:
	s_or_b32 exec_lo, exec_lo, s4
	v_mov_b32_e32 v3, s80
	s_waitcnt_vscnt null, 0x0
	s_barrier
	buffer_gl0_inv
	v_lshl_add_u32 v4, v11, 4, v12
	s_clause 0x3
	buffer_load_dword v0, v3, s[0:3], 0 offen
	buffer_load_dword v1, v3, s[0:3], 0 offen offset:4
	buffer_load_dword v2, v3, s[0:3], 0 offen offset:8
	;; [unrolled: 1-line block ×3, first 2 shown]
	s_cmp_lt_i32 s57, 4
	s_waitcnt vmcnt(0)
	ds_write2_b64 v4, v[0:1], v[2:3] offset1:1
	s_waitcnt lgkmcnt(0)
	s_barrier
	buffer_gl0_inv
	ds_read2_b64 v[0:3], v12 offset0:4 offset1:5
	v_mov_b32_e32 v4, 2
	s_cbranch_scc1 .LBB122_54
; %bb.52:
	v_add3_u32 v10, v14, 0, 48
	v_mov_b32_e32 v4, 2
	s_mov_b32 s16, 3
	s_inst_prefetch 0x1
	.p2align	6
.LBB122_53:                             ; =>This Inner Loop Header: Depth=1
	s_waitcnt lgkmcnt(0)
	v_cmp_gt_f64_e32 vcc_lo, 0, v[2:3]
	v_cmp_gt_f64_e64 s4, 0, v[0:1]
	ds_read2_b64 v[15:18], v10 offset1:1
	v_xor_b32_e32 v20, 0x80000000, v1
	v_xor_b32_e32 v22, 0x80000000, v3
	v_mov_b32_e32 v19, v0
	v_mov_b32_e32 v21, v2
	v_add_nc_u32_e32 v10, 16, v10
	s_waitcnt lgkmcnt(0)
	v_xor_b32_e32 v24, 0x80000000, v18
	v_cndmask_b32_e64 v20, v1, v20, s4
	v_cndmask_b32_e32 v22, v3, v22, vcc_lo
	v_cmp_gt_f64_e32 vcc_lo, 0, v[17:18]
	v_cmp_gt_f64_e64 s4, 0, v[15:16]
	v_mov_b32_e32 v23, v17
	v_add_f64 v[19:20], v[19:20], v[21:22]
	v_xor_b32_e32 v22, 0x80000000, v16
	v_mov_b32_e32 v21, v15
	v_cndmask_b32_e32 v24, v18, v24, vcc_lo
	v_cndmask_b32_e64 v22, v16, v22, s4
	v_add_f64 v[21:22], v[21:22], v[23:24]
	v_cmp_lt_f64_e32 vcc_lo, v[19:20], v[21:22]
	v_cndmask_b32_e32 v1, v1, v16, vcc_lo
	v_cndmask_b32_e32 v0, v0, v15, vcc_lo
	;; [unrolled: 1-line block ×4, first 2 shown]
	v_cndmask_b32_e64 v4, v4, s16, vcc_lo
	s_add_i32 s16, s16, 1
	s_cmp_lg_u32 s57, s16
	s_cbranch_scc1 .LBB122_53
.LBB122_54:
	s_inst_prefetch 0x2
	s_waitcnt lgkmcnt(0)
	v_cmp_eq_f64_e32 vcc_lo, 0, v[0:1]
	v_cmp_eq_f64_e64 s4, 0, v[2:3]
	s_and_b32 s4, vcc_lo, s4
	s_and_saveexec_b32 s16, s4
	s_xor_b32 s4, exec_lo, s16
; %bb.55:
	v_cmp_ne_u32_e32 vcc_lo, 0, v13
	v_cndmask_b32_e32 v13, 3, v13, vcc_lo
; %bb.56:
	s_andn2_saveexec_b32 s4, s4
	s_cbranch_execz .LBB122_62
; %bb.57:
	v_cmp_ngt_f64_e64 s16, |v[0:1]|, |v[2:3]|
	s_and_saveexec_b32 s17, s16
	s_xor_b32 s16, exec_lo, s17
	s_cbranch_execz .LBB122_59
; %bb.58:
	v_div_scale_f64 v[15:16], null, v[2:3], v[2:3], v[0:1]
	v_div_scale_f64 v[21:22], vcc_lo, v[0:1], v[2:3], v[0:1]
	v_rcp_f64_e32 v[17:18], v[15:16]
	v_fma_f64 v[19:20], -v[15:16], v[17:18], 1.0
	v_fma_f64 v[17:18], v[17:18], v[19:20], v[17:18]
	v_fma_f64 v[19:20], -v[15:16], v[17:18], 1.0
	v_fma_f64 v[17:18], v[17:18], v[19:20], v[17:18]
	v_mul_f64 v[19:20], v[21:22], v[17:18]
	v_fma_f64 v[15:16], -v[15:16], v[19:20], v[21:22]
	v_div_fmas_f64 v[15:16], v[15:16], v[17:18], v[19:20]
	v_div_fixup_f64 v[15:16], v[15:16], v[2:3], v[0:1]
	v_fma_f64 v[0:1], v[0:1], v[15:16], v[2:3]
	v_div_scale_f64 v[2:3], null, v[0:1], v[0:1], 1.0
	v_rcp_f64_e32 v[17:18], v[2:3]
	v_fma_f64 v[19:20], -v[2:3], v[17:18], 1.0
	v_fma_f64 v[17:18], v[17:18], v[19:20], v[17:18]
	v_fma_f64 v[19:20], -v[2:3], v[17:18], 1.0
	v_fma_f64 v[17:18], v[17:18], v[19:20], v[17:18]
	v_div_scale_f64 v[19:20], vcc_lo, 1.0, v[0:1], 1.0
	v_mul_f64 v[21:22], v[19:20], v[17:18]
	v_fma_f64 v[2:3], -v[2:3], v[21:22], v[19:20]
	v_div_fmas_f64 v[2:3], v[2:3], v[17:18], v[21:22]
	v_div_fixup_f64 v[2:3], v[2:3], v[0:1], 1.0
	v_mul_f64 v[0:1], v[15:16], v[2:3]
	v_xor_b32_e32 v3, 0x80000000, v3
.LBB122_59:
	s_andn2_saveexec_b32 s16, s16
	s_cbranch_execz .LBB122_61
; %bb.60:
	v_div_scale_f64 v[15:16], null, v[0:1], v[0:1], v[2:3]
	v_div_scale_f64 v[21:22], vcc_lo, v[2:3], v[0:1], v[2:3]
	v_rcp_f64_e32 v[17:18], v[15:16]
	v_fma_f64 v[19:20], -v[15:16], v[17:18], 1.0
	v_fma_f64 v[17:18], v[17:18], v[19:20], v[17:18]
	v_fma_f64 v[19:20], -v[15:16], v[17:18], 1.0
	v_fma_f64 v[17:18], v[17:18], v[19:20], v[17:18]
	v_mul_f64 v[19:20], v[21:22], v[17:18]
	v_fma_f64 v[15:16], -v[15:16], v[19:20], v[21:22]
	v_div_fmas_f64 v[15:16], v[15:16], v[17:18], v[19:20]
	v_div_fixup_f64 v[15:16], v[15:16], v[0:1], v[2:3]
	v_fma_f64 v[0:1], v[2:3], v[15:16], v[0:1]
	v_div_scale_f64 v[2:3], null, v[0:1], v[0:1], 1.0
	v_rcp_f64_e32 v[17:18], v[2:3]
	v_fma_f64 v[19:20], -v[2:3], v[17:18], 1.0
	v_fma_f64 v[17:18], v[17:18], v[19:20], v[17:18]
	v_fma_f64 v[19:20], -v[2:3], v[17:18], 1.0
	v_fma_f64 v[17:18], v[17:18], v[19:20], v[17:18]
	v_div_scale_f64 v[19:20], vcc_lo, 1.0, v[0:1], 1.0
	v_mul_f64 v[21:22], v[19:20], v[17:18]
	v_fma_f64 v[2:3], -v[2:3], v[21:22], v[19:20]
	v_div_fmas_f64 v[2:3], v[2:3], v[17:18], v[21:22]
	v_div_fixup_f64 v[0:1], v[2:3], v[0:1], 1.0
	v_mul_f64 v[2:3], v[15:16], -v[0:1]
.LBB122_61:
	s_or_b32 exec_lo, exec_lo, s16
.LBB122_62:
	s_or_b32 exec_lo, exec_lo, s4
	s_mov_b32 s4, exec_lo
	v_cmpx_ne_u32_e64 v11, v4
	s_xor_b32 s4, exec_lo, s4
	s_cbranch_execz .LBB122_68
; %bb.63:
	s_mov_b32 s16, exec_lo
	v_cmpx_eq_u32_e32 2, v11
	s_cbranch_execz .LBB122_67
; %bb.64:
	v_cmp_ne_u32_e32 vcc_lo, 2, v4
	s_xor_b32 s17, s20, -1
	s_and_b32 s56, s17, vcc_lo
	s_and_saveexec_b32 s17, s56
	s_cbranch_execz .LBB122_66
; %bb.65:
	v_ashrrev_i32_e32 v5, 31, v4
	v_lshlrev_b64 v[10:11], 2, v[4:5]
	v_add_co_u32 v10, vcc_lo, v8, v10
	v_add_co_ci_u32_e64 v11, null, v9, v11, vcc_lo
	s_clause 0x1
	global_load_dword v5, v[10:11], off
	global_load_dword v15, v[8:9], off offset:8
	s_waitcnt vmcnt(1)
	global_store_dword v[8:9], v5, off offset:8
	s_waitcnt vmcnt(0)
	global_store_dword v[10:11], v15, off
.LBB122_66:
	s_or_b32 exec_lo, exec_lo, s17
	v_mov_b32_e32 v11, v4
	v_mov_b32_e32 v5, v4
.LBB122_67:
	s_or_b32 exec_lo, exec_lo, s16
.LBB122_68:
	s_andn2_saveexec_b32 s4, s4
	s_cbranch_execz .LBB122_74
; %bb.69:
	s_mov_b32 s16, 48
	s_branch .LBB122_71
.LBB122_70:                             ;   in Loop: Header=BB122_71 Depth=1
	s_andn2_b32 vcc_lo, exec_lo, s56
	s_cbranch_vccz .LBB122_73
.LBB122_71:                             ; =>This Inner Loop Header: Depth=1
	v_mov_b32_e32 v4, s16
	s_mov_b32 s17, s16
	s_mov_b32 s56, -1
	s_cmpk_eq_i32 s16, 0x3b0
	s_clause 0xb
	buffer_load_dword v10, v4, s[0:3], 0 offen
	buffer_load_dword v11, v4, s[0:3], 0 offen offset:4
	buffer_load_dword v15, v4, s[0:3], 0 offen offset:8
	;; [unrolled: 1-line block ×11, first 2 shown]
	v_add_nc_u32_e32 v4, s16, v12
	s_waitcnt vmcnt(8)
	ds_write2_b64 v4, v[10:11], v[15:16] offset1:1
	s_waitcnt vmcnt(4)
	ds_write2_b64 v4, v[17:18], v[19:20] offset0:2 offset1:3
	s_waitcnt vmcnt(0)
	ds_write2_b64 v4, v[21:22], v[23:24] offset0:4 offset1:5
	s_cbranch_scc1 .LBB122_70
; %bb.72:                               ;   in Loop: Header=BB122_71 Depth=1
	v_mov_b32_e32 v31, s17
	s_addk_i32 s16, 0x80
	s_mov_b32 s56, 0
	s_clause 0x13
	buffer_load_dword v10, v31, s[0:3], 0 offen offset:48
	buffer_load_dword v11, v31, s[0:3], 0 offen offset:52
	;; [unrolled: 1-line block ×20, first 2 shown]
	s_waitcnt vmcnt(16)
	ds_write2_b64 v4, v[10:11], v[15:16] offset0:6 offset1:7
	s_waitcnt vmcnt(12)
	ds_write2_b64 v4, v[17:18], v[19:20] offset0:8 offset1:9
	;; [unrolled: 2-line block ×5, first 2 shown]
	s_branch .LBB122_70
.LBB122_73:
	v_mov_b32_e32 v11, 2
.LBB122_74:
	s_or_b32 exec_lo, exec_lo, s4
	s_mov_b32 s4, exec_lo
	s_waitcnt lgkmcnt(0)
	s_waitcnt_vscnt null, 0x0
	s_barrier
	buffer_gl0_inv
	v_cmpx_lt_i32_e32 2, v11
	s_cbranch_execz .LBB122_79
; %bb.75:
	s_clause 0x3
	buffer_load_dword v15, off, s[0:3], 0 offset:40
	buffer_load_dword v16, off, s[0:3], 0 offset:44
	;; [unrolled: 1-line block ×4, first 2 shown]
	s_mov_b32 s81, 48
	s_waitcnt vmcnt(2)
	v_mul_f64 v[19:20], v[2:3], v[15:16]
	v_mul_f64 v[15:16], v[0:1], v[15:16]
	s_waitcnt vmcnt(0)
	v_fma_f64 v[0:1], v[0:1], v[17:18], -v[19:20]
	v_fma_f64 v[2:3], v[2:3], v[17:18], v[15:16]
	buffer_store_dword v0, off, s[0:3], 0 offset:32
	buffer_store_dword v1, off, s[0:3], 0 offset:36
	;; [unrolled: 1-line block ×4, first 2 shown]
	s_branch .LBB122_77
.LBB122_76:                             ;   in Loop: Header=BB122_77 Depth=1
	s_andn2_b32 vcc_lo, exec_lo, s17
	s_cbranch_vccz .LBB122_79
.LBB122_77:                             ; =>This Inner Loop Header: Depth=1
	v_mov_b32_e32 v10, s81
	v_add_nc_u32_e32 v4, s81, v12
	s_mov_b32 s16, s81
	s_mov_b32 s17, -1
	s_cmpk_eq_i32 s81, 0x3b0
	s_clause 0x3
	buffer_load_dword v23, v10, s[0:3], 0 offen
	buffer_load_dword v24, v10, s[0:3], 0 offen offset:4
	buffer_load_dword v25, v10, s[0:3], 0 offen offset:8
	;; [unrolled: 1-line block ×3, first 2 shown]
	ds_read2_b64 v[15:18], v4 offset1:1
	ds_read2_b64 v[19:22], v4 offset0:2 offset1:3
	s_waitcnt lgkmcnt(1)
	v_mul_f64 v[27:28], v[17:18], v[2:3]
	v_mul_f64 v[2:3], v[15:16], v[2:3]
	v_fma_f64 v[15:16], v[15:16], v[0:1], -v[27:28]
	v_fma_f64 v[0:1], v[17:18], v[0:1], v[2:3]
	s_clause 0x2
	buffer_load_dword v2, v10, s[0:3], 0 offen offset:20
	buffer_load_dword v17, v10, s[0:3], 0 offen offset:28
	buffer_load_dword v27, v10, s[0:3], 0 offen offset:40
	s_waitcnt vmcnt(5)
	v_add_f64 v[15:16], v[23:24], -v[15:16]
	s_waitcnt vmcnt(3)
	v_add_f64 v[0:1], v[25:26], -v[0:1]
	buffer_store_dword v16, v10, s[0:3], 0 offen offset:4
	buffer_store_dword v15, v10, s[0:3], 0 offen
	buffer_store_dword v1, v10, s[0:3], 0 offen offset:12
	buffer_store_dword v0, v10, s[0:3], 0 offen offset:8
	s_clause 0x6
	buffer_load_dword v16, v10, s[0:3], 0 offen offset:24
	buffer_load_dword v23, v10, s[0:3], 0 offen offset:36
	buffer_load_dword v25, off, s[0:3], 0 offset:44
	buffer_load_dword v24, off, s[0:3], 0 offset:40
	;; [unrolled: 1-line block ×4, first 2 shown]
	buffer_load_dword v1, v10, s[0:3], 0 offen offset:16
	s_waitcnt vmcnt(3) lgkmcnt(0)
	v_mul_f64 v[30:31], v[21:22], v[24:25]
	v_mul_f64 v[24:25], v[19:20], v[24:25]
	s_waitcnt vmcnt(1)
	v_fma_f64 v[18:19], v[19:20], v[28:29], -v[30:31]
	v_fma_f64 v[20:21], v[21:22], v[28:29], v[24:25]
	s_waitcnt vmcnt(0)
	v_add_f64 v[0:1], v[1:2], -v[18:19]
	v_add_f64 v[2:3], v[16:17], -v[20:21]
	buffer_store_dword v1, v10, s[0:3], 0 offen offset:20
	buffer_store_dword v0, v10, s[0:3], 0 offen offset:16
	;; [unrolled: 1-line block ×4, first 2 shown]
	s_clause 0x5
	buffer_load_dword v28, v10, s[0:3], 0 offen offset:44
	buffer_load_dword v2, off, s[0:3], 0 offset:40
	buffer_load_dword v3, off, s[0:3], 0 offset:44
	;; [unrolled: 1-line block ×4, first 2 shown]
	buffer_load_dword v22, v10, s[0:3], 0 offen offset:32
	ds_read2_b64 v[15:18], v4 offset0:4 offset1:5
	s_waitcnt vmcnt(3) lgkmcnt(0)
	v_mul_f64 v[19:20], v[17:18], v[2:3]
	v_mul_f64 v[24:25], v[15:16], v[2:3]
	s_waitcnt vmcnt(1)
	v_fma_f64 v[15:16], v[15:16], v[0:1], -v[19:20]
	v_fma_f64 v[17:18], v[17:18], v[0:1], v[24:25]
	s_waitcnt vmcnt(0)
	v_add_f64 v[15:16], v[22:23], -v[15:16]
	v_add_f64 v[17:18], v[27:28], -v[17:18]
	buffer_store_dword v16, v10, s[0:3], 0 offen offset:36
	buffer_store_dword v15, v10, s[0:3], 0 offen offset:32
	;; [unrolled: 1-line block ×4, first 2 shown]
	s_cbranch_scc1 .LBB122_76
; %bb.78:                               ;   in Loop: Header=BB122_77 Depth=1
	v_mov_b32_e32 v10, s16
	s_add_i32 s81, s81, 64
	s_mov_b32 s17, 0
	s_clause 0x3
	buffer_load_dword v19, v10, s[0:3], 0 offen offset:48
	buffer_load_dword v20, v10, s[0:3], 0 offen offset:52
	buffer_load_dword v21, v10, s[0:3], 0 offen offset:56
	buffer_load_dword v22, v10, s[0:3], 0 offen offset:60
	ds_read2_b64 v[15:18], v4 offset0:6 offset1:7
	s_waitcnt lgkmcnt(0)
	v_mul_f64 v[23:24], v[17:18], v[2:3]
	v_mul_f64 v[25:26], v[15:16], v[2:3]
	v_fma_f64 v[15:16], v[15:16], v[0:1], -v[23:24]
	v_fma_f64 v[17:18], v[17:18], v[0:1], v[25:26]
	s_waitcnt vmcnt(2)
	v_add_f64 v[15:16], v[19:20], -v[15:16]
	s_waitcnt vmcnt(0)
	v_add_f64 v[17:18], v[21:22], -v[17:18]
	buffer_store_dword v15, v10, s[0:3], 0 offen offset:48
	buffer_store_dword v16, v10, s[0:3], 0 offen offset:52
	;; [unrolled: 1-line block ×4, first 2 shown]
	s_branch .LBB122_76
.LBB122_79:
	s_or_b32 exec_lo, exec_lo, s4
	v_mov_b32_e32 v3, s79
	s_waitcnt_vscnt null, 0x0
	s_barrier
	buffer_gl0_inv
	v_lshl_add_u32 v4, v11, 4, v12
	s_clause 0x3
	buffer_load_dword v0, v3, s[0:3], 0 offen
	buffer_load_dword v1, v3, s[0:3], 0 offen offset:4
	buffer_load_dword v2, v3, s[0:3], 0 offen offset:8
	buffer_load_dword v3, v3, s[0:3], 0 offen offset:12
	s_cmp_lt_i32 s57, 5
	s_mov_b32 s16, 4
	s_waitcnt vmcnt(0)
	ds_write2_b64 v4, v[0:1], v[2:3] offset1:1
	s_waitcnt lgkmcnt(0)
	s_barrier
	buffer_gl0_inv
	ds_read2_b64 v[0:3], v12 offset0:6 offset1:7
	v_mov_b32_e32 v4, 3
	s_cbranch_scc1 .LBB122_82
; %bb.80:
	v_add3_u32 v10, v14, 0, 64
	v_mov_b32_e32 v4, 3
	s_inst_prefetch 0x1
	.p2align	6
.LBB122_81:                             ; =>This Inner Loop Header: Depth=1
	s_waitcnt lgkmcnt(0)
	v_cmp_gt_f64_e32 vcc_lo, 0, v[2:3]
	v_cmp_gt_f64_e64 s4, 0, v[0:1]
	ds_read2_b64 v[15:18], v10 offset1:1
	v_xor_b32_e32 v20, 0x80000000, v1
	v_xor_b32_e32 v22, 0x80000000, v3
	v_mov_b32_e32 v19, v0
	v_mov_b32_e32 v21, v2
	v_add_nc_u32_e32 v10, 16, v10
	s_waitcnt lgkmcnt(0)
	v_xor_b32_e32 v24, 0x80000000, v18
	v_cndmask_b32_e64 v20, v1, v20, s4
	v_cndmask_b32_e32 v22, v3, v22, vcc_lo
	v_cmp_gt_f64_e32 vcc_lo, 0, v[17:18]
	v_cmp_gt_f64_e64 s4, 0, v[15:16]
	v_mov_b32_e32 v23, v17
	v_add_f64 v[19:20], v[19:20], v[21:22]
	v_xor_b32_e32 v22, 0x80000000, v16
	v_mov_b32_e32 v21, v15
	v_cndmask_b32_e32 v24, v18, v24, vcc_lo
	v_cndmask_b32_e64 v22, v16, v22, s4
	v_add_f64 v[21:22], v[21:22], v[23:24]
	v_cmp_lt_f64_e32 vcc_lo, v[19:20], v[21:22]
	v_cndmask_b32_e32 v1, v1, v16, vcc_lo
	v_cndmask_b32_e32 v0, v0, v15, vcc_lo
	;; [unrolled: 1-line block ×4, first 2 shown]
	v_cndmask_b32_e64 v4, v4, s16, vcc_lo
	s_add_i32 s16, s16, 1
	s_cmp_lg_u32 s57, s16
	s_cbranch_scc1 .LBB122_81
.LBB122_82:
	s_inst_prefetch 0x2
	s_waitcnt lgkmcnt(0)
	v_cmp_eq_f64_e32 vcc_lo, 0, v[0:1]
	v_cmp_eq_f64_e64 s4, 0, v[2:3]
	s_and_b32 s4, vcc_lo, s4
	s_and_saveexec_b32 s16, s4
	s_xor_b32 s4, exec_lo, s16
; %bb.83:
	v_cmp_ne_u32_e32 vcc_lo, 0, v13
	v_cndmask_b32_e32 v13, 4, v13, vcc_lo
; %bb.84:
	s_andn2_saveexec_b32 s4, s4
	s_cbranch_execz .LBB122_90
; %bb.85:
	v_cmp_ngt_f64_e64 s16, |v[0:1]|, |v[2:3]|
	s_and_saveexec_b32 s17, s16
	s_xor_b32 s16, exec_lo, s17
	s_cbranch_execz .LBB122_87
; %bb.86:
	v_div_scale_f64 v[15:16], null, v[2:3], v[2:3], v[0:1]
	v_div_scale_f64 v[21:22], vcc_lo, v[0:1], v[2:3], v[0:1]
	v_rcp_f64_e32 v[17:18], v[15:16]
	v_fma_f64 v[19:20], -v[15:16], v[17:18], 1.0
	v_fma_f64 v[17:18], v[17:18], v[19:20], v[17:18]
	v_fma_f64 v[19:20], -v[15:16], v[17:18], 1.0
	v_fma_f64 v[17:18], v[17:18], v[19:20], v[17:18]
	v_mul_f64 v[19:20], v[21:22], v[17:18]
	v_fma_f64 v[15:16], -v[15:16], v[19:20], v[21:22]
	v_div_fmas_f64 v[15:16], v[15:16], v[17:18], v[19:20]
	v_div_fixup_f64 v[15:16], v[15:16], v[2:3], v[0:1]
	v_fma_f64 v[0:1], v[0:1], v[15:16], v[2:3]
	v_div_scale_f64 v[2:3], null, v[0:1], v[0:1], 1.0
	v_rcp_f64_e32 v[17:18], v[2:3]
	v_fma_f64 v[19:20], -v[2:3], v[17:18], 1.0
	v_fma_f64 v[17:18], v[17:18], v[19:20], v[17:18]
	v_fma_f64 v[19:20], -v[2:3], v[17:18], 1.0
	v_fma_f64 v[17:18], v[17:18], v[19:20], v[17:18]
	v_div_scale_f64 v[19:20], vcc_lo, 1.0, v[0:1], 1.0
	v_mul_f64 v[21:22], v[19:20], v[17:18]
	v_fma_f64 v[2:3], -v[2:3], v[21:22], v[19:20]
	v_div_fmas_f64 v[2:3], v[2:3], v[17:18], v[21:22]
	v_div_fixup_f64 v[2:3], v[2:3], v[0:1], 1.0
	v_mul_f64 v[0:1], v[15:16], v[2:3]
	v_xor_b32_e32 v3, 0x80000000, v3
.LBB122_87:
	s_andn2_saveexec_b32 s16, s16
	s_cbranch_execz .LBB122_89
; %bb.88:
	v_div_scale_f64 v[15:16], null, v[0:1], v[0:1], v[2:3]
	v_div_scale_f64 v[21:22], vcc_lo, v[2:3], v[0:1], v[2:3]
	v_rcp_f64_e32 v[17:18], v[15:16]
	v_fma_f64 v[19:20], -v[15:16], v[17:18], 1.0
	v_fma_f64 v[17:18], v[17:18], v[19:20], v[17:18]
	v_fma_f64 v[19:20], -v[15:16], v[17:18], 1.0
	v_fma_f64 v[17:18], v[17:18], v[19:20], v[17:18]
	v_mul_f64 v[19:20], v[21:22], v[17:18]
	v_fma_f64 v[15:16], -v[15:16], v[19:20], v[21:22]
	v_div_fmas_f64 v[15:16], v[15:16], v[17:18], v[19:20]
	v_div_fixup_f64 v[15:16], v[15:16], v[0:1], v[2:3]
	v_fma_f64 v[0:1], v[2:3], v[15:16], v[0:1]
	v_div_scale_f64 v[2:3], null, v[0:1], v[0:1], 1.0
	v_rcp_f64_e32 v[17:18], v[2:3]
	v_fma_f64 v[19:20], -v[2:3], v[17:18], 1.0
	v_fma_f64 v[17:18], v[17:18], v[19:20], v[17:18]
	v_fma_f64 v[19:20], -v[2:3], v[17:18], 1.0
	v_fma_f64 v[17:18], v[17:18], v[19:20], v[17:18]
	v_div_scale_f64 v[19:20], vcc_lo, 1.0, v[0:1], 1.0
	v_mul_f64 v[21:22], v[19:20], v[17:18]
	v_fma_f64 v[2:3], -v[2:3], v[21:22], v[19:20]
	v_div_fmas_f64 v[2:3], v[2:3], v[17:18], v[21:22]
	v_div_fixup_f64 v[0:1], v[2:3], v[0:1], 1.0
	v_mul_f64 v[2:3], v[15:16], -v[0:1]
.LBB122_89:
	s_or_b32 exec_lo, exec_lo, s16
.LBB122_90:
	s_or_b32 exec_lo, exec_lo, s4
	s_mov_b32 s4, exec_lo
	v_cmpx_ne_u32_e64 v11, v4
	s_xor_b32 s4, exec_lo, s4
	s_cbranch_execz .LBB122_96
; %bb.91:
	s_mov_b32 s16, exec_lo
	v_cmpx_eq_u32_e32 3, v11
	s_cbranch_execz .LBB122_95
; %bb.92:
	v_cmp_ne_u32_e32 vcc_lo, 3, v4
	s_xor_b32 s17, s20, -1
	s_and_b32 s56, s17, vcc_lo
	s_and_saveexec_b32 s17, s56
	s_cbranch_execz .LBB122_94
; %bb.93:
	v_ashrrev_i32_e32 v5, 31, v4
	v_lshlrev_b64 v[10:11], 2, v[4:5]
	v_add_co_u32 v10, vcc_lo, v8, v10
	v_add_co_ci_u32_e64 v11, null, v9, v11, vcc_lo
	s_clause 0x1
	global_load_dword v5, v[10:11], off
	global_load_dword v15, v[8:9], off offset:12
	s_waitcnt vmcnt(1)
	global_store_dword v[8:9], v5, off offset:12
	s_waitcnt vmcnt(0)
	global_store_dword v[10:11], v15, off
.LBB122_94:
	s_or_b32 exec_lo, exec_lo, s17
	v_mov_b32_e32 v11, v4
	v_mov_b32_e32 v5, v4
.LBB122_95:
	s_or_b32 exec_lo, exec_lo, s16
.LBB122_96:
	s_andn2_saveexec_b32 s4, s4
	s_cbranch_execz .LBB122_100
; %bb.97:
	s_mov_b32 s16, 64
	.p2align	6
.LBB122_98:                             ; =>This Inner Loop Header: Depth=1
	v_mov_b32_e32 v4, s16
	s_clause 0x7
	buffer_load_dword v10, v4, s[0:3], 0 offen
	buffer_load_dword v11, v4, s[0:3], 0 offen offset:4
	buffer_load_dword v15, v4, s[0:3], 0 offen offset:8
	;; [unrolled: 1-line block ×7, first 2 shown]
	v_add_nc_u32_e32 v4, s16, v12
	s_add_i32 s16, s16, 32
	s_waitcnt vmcnt(4)
	ds_write2_b64 v4, v[10:11], v[15:16] offset1:1
	s_waitcnt vmcnt(0)
	ds_write2_b64 v4, v[17:18], v[19:20] offset0:2 offset1:3
	s_cmpk_eq_i32 s16, 0x3e0
	s_cbranch_scc0 .LBB122_98
; %bb.99:
	v_mov_b32_e32 v11, 3
.LBB122_100:
	s_or_b32 exec_lo, exec_lo, s4
	s_mov_b32 s4, exec_lo
	s_waitcnt lgkmcnt(0)
	s_waitcnt_vscnt null, 0x0
	s_barrier
	buffer_gl0_inv
	v_cmpx_lt_i32_e32 3, v11
	s_cbranch_execz .LBB122_103
; %bb.101:
	s_clause 0x3
	buffer_load_dword v15, off, s[0:3], 0 offset:56
	buffer_load_dword v16, off, s[0:3], 0 offset:60
	;; [unrolled: 1-line block ×4, first 2 shown]
	s_mov_b32 s16, 64
	s_waitcnt vmcnt(2)
	v_mul_f64 v[19:20], v[2:3], v[15:16]
	v_mul_f64 v[15:16], v[0:1], v[15:16]
	s_waitcnt vmcnt(0)
	v_fma_f64 v[0:1], v[0:1], v[17:18], -v[19:20]
	v_fma_f64 v[2:3], v[2:3], v[17:18], v[15:16]
	buffer_store_dword v0, off, s[0:3], 0 offset:48
	buffer_store_dword v1, off, s[0:3], 0 offset:52
	;; [unrolled: 1-line block ×4, first 2 shown]
.LBB122_102:                            ; =>This Inner Loop Header: Depth=1
	s_clause 0x3
	buffer_load_dword v19, off, s[0:3], 0 offset:56
	buffer_load_dword v20, off, s[0:3], 0 offset:60
	;; [unrolled: 1-line block ×4, first 2 shown]
	v_mov_b32_e32 v4, s16
	v_add_nc_u32_e32 v10, s16, v12
	s_add_i32 s16, s16, 32
	s_clause 0x3
	buffer_load_dword v23, v4, s[0:3], 0 offen
	buffer_load_dword v24, v4, s[0:3], 0 offen offset:4
	buffer_load_dword v25, v4, s[0:3], 0 offen offset:8
	;; [unrolled: 1-line block ×3, first 2 shown]
	ds_read2_b64 v[0:3], v10 offset1:1
	ds_read2_b64 v[15:18], v10 offset0:2 offset1:3
	s_cmpk_lg_i32 s16, 0x3e0
	s_waitcnt vmcnt(6) lgkmcnt(1)
	v_mul_f64 v[27:28], v[2:3], v[19:20]
	v_mul_f64 v[19:20], v[0:1], v[19:20]
	s_waitcnt vmcnt(4)
	v_fma_f64 v[0:1], v[0:1], v[21:22], -v[27:28]
	v_fma_f64 v[2:3], v[2:3], v[21:22], v[19:20]
	s_clause 0x3
	buffer_load_dword v19, v4, s[0:3], 0 offen offset:16
	buffer_load_dword v20, v4, s[0:3], 0 offen offset:20
	;; [unrolled: 1-line block ×4, first 2 shown]
	s_waitcnt vmcnt(6)
	v_add_f64 v[0:1], v[23:24], -v[0:1]
	s_waitcnt vmcnt(4)
	v_add_f64 v[2:3], v[25:26], -v[2:3]
	buffer_store_dword v1, v4, s[0:3], 0 offen offset:4
	buffer_store_dword v0, v4, s[0:3], 0 offen
	buffer_store_dword v3, v4, s[0:3], 0 offen offset:12
	buffer_store_dword v2, v4, s[0:3], 0 offen offset:8
	s_clause 0x3
	buffer_load_dword v1, off, s[0:3], 0 offset:60
	buffer_load_dword v0, off, s[0:3], 0 offset:56
	;; [unrolled: 1-line block ×4, first 2 shown]
	s_waitcnt vmcnt(2) lgkmcnt(0)
	v_mul_f64 v[23:24], v[17:18], v[0:1]
	v_mul_f64 v[0:1], v[15:16], v[0:1]
	s_waitcnt vmcnt(0)
	v_fma_f64 v[15:16], v[15:16], v[2:3], -v[23:24]
	v_fma_f64 v[0:1], v[17:18], v[2:3], v[0:1]
	v_add_f64 v[2:3], v[19:20], -v[15:16]
	v_add_f64 v[0:1], v[21:22], -v[0:1]
	buffer_store_dword v3, v4, s[0:3], 0 offen offset:20
	buffer_store_dword v2, v4, s[0:3], 0 offen offset:16
	;; [unrolled: 1-line block ×4, first 2 shown]
	s_cbranch_scc1 .LBB122_102
.LBB122_103:
	s_or_b32 exec_lo, exec_lo, s4
	v_mov_b32_e32 v3, s78
	s_waitcnt_vscnt null, 0x0
	s_barrier
	buffer_gl0_inv
	v_lshl_add_u32 v4, v11, 4, v12
	s_clause 0x3
	buffer_load_dword v0, v3, s[0:3], 0 offen
	buffer_load_dword v1, v3, s[0:3], 0 offen offset:4
	buffer_load_dword v2, v3, s[0:3], 0 offen offset:8
	;; [unrolled: 1-line block ×3, first 2 shown]
	s_cmp_lt_i32 s57, 6
	s_waitcnt vmcnt(0)
	ds_write2_b64 v4, v[0:1], v[2:3] offset1:1
	s_waitcnt lgkmcnt(0)
	s_barrier
	buffer_gl0_inv
	ds_read2_b64 v[0:3], v12 offset0:8 offset1:9
	v_mov_b32_e32 v4, 4
	s_cbranch_scc1 .LBB122_106
; %bb.104:
	v_mov_b32_e32 v4, 4
	v_add3_u32 v10, v14, 0, 0x50
	s_mov_b32 s16, 5
	s_inst_prefetch 0x1
	.p2align	6
.LBB122_105:                            ; =>This Inner Loop Header: Depth=1
	s_waitcnt lgkmcnt(0)
	v_cmp_gt_f64_e32 vcc_lo, 0, v[2:3]
	v_cmp_gt_f64_e64 s4, 0, v[0:1]
	ds_read2_b64 v[15:18], v10 offset1:1
	v_xor_b32_e32 v20, 0x80000000, v1
	v_xor_b32_e32 v22, 0x80000000, v3
	v_mov_b32_e32 v19, v0
	v_mov_b32_e32 v21, v2
	v_add_nc_u32_e32 v10, 16, v10
	s_waitcnt lgkmcnt(0)
	v_xor_b32_e32 v24, 0x80000000, v18
	v_cndmask_b32_e64 v20, v1, v20, s4
	v_cndmask_b32_e32 v22, v3, v22, vcc_lo
	v_cmp_gt_f64_e32 vcc_lo, 0, v[17:18]
	v_cmp_gt_f64_e64 s4, 0, v[15:16]
	v_mov_b32_e32 v23, v17
	v_add_f64 v[19:20], v[19:20], v[21:22]
	v_xor_b32_e32 v22, 0x80000000, v16
	v_mov_b32_e32 v21, v15
	v_cndmask_b32_e32 v24, v18, v24, vcc_lo
	v_cndmask_b32_e64 v22, v16, v22, s4
	v_add_f64 v[21:22], v[21:22], v[23:24]
	v_cmp_lt_f64_e32 vcc_lo, v[19:20], v[21:22]
	v_cndmask_b32_e32 v1, v1, v16, vcc_lo
	v_cndmask_b32_e32 v0, v0, v15, vcc_lo
	;; [unrolled: 1-line block ×4, first 2 shown]
	v_cndmask_b32_e64 v4, v4, s16, vcc_lo
	s_add_i32 s16, s16, 1
	s_cmp_lg_u32 s57, s16
	s_cbranch_scc1 .LBB122_105
.LBB122_106:
	s_inst_prefetch 0x2
	s_waitcnt lgkmcnt(0)
	v_cmp_eq_f64_e32 vcc_lo, 0, v[0:1]
	v_cmp_eq_f64_e64 s4, 0, v[2:3]
	s_and_b32 s4, vcc_lo, s4
	s_and_saveexec_b32 s16, s4
	s_xor_b32 s4, exec_lo, s16
; %bb.107:
	v_cmp_ne_u32_e32 vcc_lo, 0, v13
	v_cndmask_b32_e32 v13, 5, v13, vcc_lo
; %bb.108:
	s_andn2_saveexec_b32 s4, s4
	s_cbranch_execz .LBB122_114
; %bb.109:
	v_cmp_ngt_f64_e64 s16, |v[0:1]|, |v[2:3]|
	s_and_saveexec_b32 s17, s16
	s_xor_b32 s16, exec_lo, s17
	s_cbranch_execz .LBB122_111
; %bb.110:
	v_div_scale_f64 v[15:16], null, v[2:3], v[2:3], v[0:1]
	v_div_scale_f64 v[21:22], vcc_lo, v[0:1], v[2:3], v[0:1]
	v_rcp_f64_e32 v[17:18], v[15:16]
	v_fma_f64 v[19:20], -v[15:16], v[17:18], 1.0
	v_fma_f64 v[17:18], v[17:18], v[19:20], v[17:18]
	v_fma_f64 v[19:20], -v[15:16], v[17:18], 1.0
	v_fma_f64 v[17:18], v[17:18], v[19:20], v[17:18]
	v_mul_f64 v[19:20], v[21:22], v[17:18]
	v_fma_f64 v[15:16], -v[15:16], v[19:20], v[21:22]
	v_div_fmas_f64 v[15:16], v[15:16], v[17:18], v[19:20]
	v_div_fixup_f64 v[15:16], v[15:16], v[2:3], v[0:1]
	v_fma_f64 v[0:1], v[0:1], v[15:16], v[2:3]
	v_div_scale_f64 v[2:3], null, v[0:1], v[0:1], 1.0
	v_rcp_f64_e32 v[17:18], v[2:3]
	v_fma_f64 v[19:20], -v[2:3], v[17:18], 1.0
	v_fma_f64 v[17:18], v[17:18], v[19:20], v[17:18]
	v_fma_f64 v[19:20], -v[2:3], v[17:18], 1.0
	v_fma_f64 v[17:18], v[17:18], v[19:20], v[17:18]
	v_div_scale_f64 v[19:20], vcc_lo, 1.0, v[0:1], 1.0
	v_mul_f64 v[21:22], v[19:20], v[17:18]
	v_fma_f64 v[2:3], -v[2:3], v[21:22], v[19:20]
	v_div_fmas_f64 v[2:3], v[2:3], v[17:18], v[21:22]
	v_div_fixup_f64 v[2:3], v[2:3], v[0:1], 1.0
	v_mul_f64 v[0:1], v[15:16], v[2:3]
	v_xor_b32_e32 v3, 0x80000000, v3
.LBB122_111:
	s_andn2_saveexec_b32 s16, s16
	s_cbranch_execz .LBB122_113
; %bb.112:
	v_div_scale_f64 v[15:16], null, v[0:1], v[0:1], v[2:3]
	v_div_scale_f64 v[21:22], vcc_lo, v[2:3], v[0:1], v[2:3]
	v_rcp_f64_e32 v[17:18], v[15:16]
	v_fma_f64 v[19:20], -v[15:16], v[17:18], 1.0
	v_fma_f64 v[17:18], v[17:18], v[19:20], v[17:18]
	v_fma_f64 v[19:20], -v[15:16], v[17:18], 1.0
	v_fma_f64 v[17:18], v[17:18], v[19:20], v[17:18]
	v_mul_f64 v[19:20], v[21:22], v[17:18]
	v_fma_f64 v[15:16], -v[15:16], v[19:20], v[21:22]
	v_div_fmas_f64 v[15:16], v[15:16], v[17:18], v[19:20]
	v_div_fixup_f64 v[15:16], v[15:16], v[0:1], v[2:3]
	v_fma_f64 v[0:1], v[2:3], v[15:16], v[0:1]
	v_div_scale_f64 v[2:3], null, v[0:1], v[0:1], 1.0
	v_rcp_f64_e32 v[17:18], v[2:3]
	v_fma_f64 v[19:20], -v[2:3], v[17:18], 1.0
	v_fma_f64 v[17:18], v[17:18], v[19:20], v[17:18]
	v_fma_f64 v[19:20], -v[2:3], v[17:18], 1.0
	v_fma_f64 v[17:18], v[17:18], v[19:20], v[17:18]
	v_div_scale_f64 v[19:20], vcc_lo, 1.0, v[0:1], 1.0
	v_mul_f64 v[21:22], v[19:20], v[17:18]
	v_fma_f64 v[2:3], -v[2:3], v[21:22], v[19:20]
	v_div_fmas_f64 v[2:3], v[2:3], v[17:18], v[21:22]
	v_div_fixup_f64 v[0:1], v[2:3], v[0:1], 1.0
	v_mul_f64 v[2:3], v[15:16], -v[0:1]
.LBB122_113:
	s_or_b32 exec_lo, exec_lo, s16
.LBB122_114:
	s_or_b32 exec_lo, exec_lo, s4
	s_mov_b32 s4, exec_lo
	v_cmpx_ne_u32_e64 v11, v4
	s_xor_b32 s4, exec_lo, s4
	s_cbranch_execz .LBB122_120
; %bb.115:
	s_mov_b32 s16, exec_lo
	v_cmpx_eq_u32_e32 4, v11
	s_cbranch_execz .LBB122_119
; %bb.116:
	v_cmp_ne_u32_e32 vcc_lo, 4, v4
	s_xor_b32 s17, s20, -1
	s_and_b32 s56, s17, vcc_lo
	s_and_saveexec_b32 s17, s56
	s_cbranch_execz .LBB122_118
; %bb.117:
	v_ashrrev_i32_e32 v5, 31, v4
	v_lshlrev_b64 v[10:11], 2, v[4:5]
	v_add_co_u32 v10, vcc_lo, v8, v10
	v_add_co_ci_u32_e64 v11, null, v9, v11, vcc_lo
	s_clause 0x1
	global_load_dword v5, v[10:11], off
	global_load_dword v15, v[8:9], off offset:16
	s_waitcnt vmcnt(1)
	global_store_dword v[8:9], v5, off offset:16
	s_waitcnt vmcnt(0)
	global_store_dword v[10:11], v15, off
.LBB122_118:
	s_or_b32 exec_lo, exec_lo, s17
	v_mov_b32_e32 v11, v4
	v_mov_b32_e32 v5, v4
.LBB122_119:
	s_or_b32 exec_lo, exec_lo, s16
.LBB122_120:
	s_andn2_saveexec_b32 s4, s4
	s_cbranch_execz .LBB122_124
; %bb.121:
	s_movk_i32 s16, 0x50
	s_inst_prefetch 0x1
	.p2align	6
.LBB122_122:                            ; =>This Inner Loop Header: Depth=1
	v_mov_b32_e32 v4, s16
	s_clause 0xb
	buffer_load_dword v10, v4, s[0:3], 0 offen
	buffer_load_dword v11, v4, s[0:3], 0 offen offset:4
	buffer_load_dword v15, v4, s[0:3], 0 offen offset:8
	;; [unrolled: 1-line block ×11, first 2 shown]
	v_add_nc_u32_e32 v4, s16, v12
	s_add_i32 s16, s16, 48
	s_waitcnt vmcnt(8)
	ds_write2_b64 v4, v[10:11], v[15:16] offset1:1
	s_waitcnt vmcnt(4)
	ds_write2_b64 v4, v[17:18], v[19:20] offset0:2 offset1:3
	s_waitcnt vmcnt(0)
	ds_write2_b64 v4, v[21:22], v[23:24] offset0:4 offset1:5
	s_cmpk_eq_i32 s16, 0x3e0
	s_cbranch_scc0 .LBB122_122
; %bb.123:
	s_inst_prefetch 0x2
	v_mov_b32_e32 v11, 4
.LBB122_124:
	s_or_b32 exec_lo, exec_lo, s4
	s_mov_b32 s4, exec_lo
	s_waitcnt lgkmcnt(0)
	s_waitcnt_vscnt null, 0x0
	s_barrier
	buffer_gl0_inv
	v_cmpx_lt_i32_e32 4, v11
	s_cbranch_execz .LBB122_127
; %bb.125:
	s_clause 0x3
	buffer_load_dword v15, off, s[0:3], 0 offset:72
	buffer_load_dword v16, off, s[0:3], 0 offset:76
	;; [unrolled: 1-line block ×4, first 2 shown]
	s_movk_i32 s16, 0x50
	s_waitcnt vmcnt(2)
	v_mul_f64 v[19:20], v[2:3], v[15:16]
	v_mul_f64 v[15:16], v[0:1], v[15:16]
	s_waitcnt vmcnt(0)
	v_fma_f64 v[0:1], v[0:1], v[17:18], -v[19:20]
	v_fma_f64 v[2:3], v[2:3], v[17:18], v[15:16]
	buffer_store_dword v0, off, s[0:3], 0 offset:64
	buffer_store_dword v1, off, s[0:3], 0 offset:68
	;; [unrolled: 1-line block ×4, first 2 shown]
.LBB122_126:                            ; =>This Inner Loop Header: Depth=1
	s_clause 0x3
	buffer_load_dword v19, off, s[0:3], 0 offset:72
	buffer_load_dword v20, off, s[0:3], 0 offset:76
	buffer_load_dword v21, off, s[0:3], 0 offset:64
	buffer_load_dword v22, off, s[0:3], 0 offset:68
	v_mov_b32_e32 v4, s16
	v_add_nc_u32_e32 v10, s16, v12
	s_add_i32 s16, s16, 48
	s_clause 0x3
	buffer_load_dword v23, v4, s[0:3], 0 offen
	buffer_load_dword v24, v4, s[0:3], 0 offen offset:4
	buffer_load_dword v25, v4, s[0:3], 0 offen offset:8
	;; [unrolled: 1-line block ×3, first 2 shown]
	ds_read2_b64 v[0:3], v10 offset1:1
	ds_read2_b64 v[15:18], v10 offset0:2 offset1:3
	s_cmpk_lg_i32 s16, 0x3e0
	s_waitcnt vmcnt(6) lgkmcnt(1)
	v_mul_f64 v[27:28], v[2:3], v[19:20]
	v_mul_f64 v[19:20], v[0:1], v[19:20]
	s_waitcnt vmcnt(4)
	v_fma_f64 v[0:1], v[0:1], v[21:22], -v[27:28]
	v_fma_f64 v[2:3], v[2:3], v[21:22], v[19:20]
	s_clause 0x3
	buffer_load_dword v19, v4, s[0:3], 0 offen offset:16
	buffer_load_dword v20, v4, s[0:3], 0 offen offset:20
	;; [unrolled: 1-line block ×4, first 2 shown]
	s_waitcnt vmcnt(6)
	v_add_f64 v[0:1], v[23:24], -v[0:1]
	s_waitcnt vmcnt(4)
	v_add_f64 v[2:3], v[25:26], -v[2:3]
	buffer_store_dword v1, v4, s[0:3], 0 offen offset:4
	buffer_store_dword v0, v4, s[0:3], 0 offen
	buffer_store_dword v3, v4, s[0:3], 0 offen offset:12
	buffer_store_dword v2, v4, s[0:3], 0 offen offset:8
	s_clause 0x3
	buffer_load_dword v1, off, s[0:3], 0 offset:76
	buffer_load_dword v0, off, s[0:3], 0 offset:72
	;; [unrolled: 1-line block ×4, first 2 shown]
	s_waitcnt vmcnt(2) lgkmcnt(0)
	v_mul_f64 v[23:24], v[17:18], v[0:1]
	v_mul_f64 v[0:1], v[15:16], v[0:1]
	s_waitcnt vmcnt(0)
	v_fma_f64 v[15:16], v[15:16], v[2:3], -v[23:24]
	v_fma_f64 v[0:1], v[17:18], v[2:3], v[0:1]
	v_add_f64 v[2:3], v[19:20], -v[15:16]
	v_add_f64 v[0:1], v[21:22], -v[0:1]
	s_clause 0x3
	buffer_load_dword v15, v4, s[0:3], 0 offen offset:32
	buffer_load_dword v16, v4, s[0:3], 0 offen offset:36
	;; [unrolled: 1-line block ×4, first 2 shown]
	buffer_store_dword v3, v4, s[0:3], 0 offen offset:20
	buffer_store_dword v2, v4, s[0:3], 0 offen offset:16
	;; [unrolled: 1-line block ×4, first 2 shown]
	s_clause 0x3
	buffer_load_dword v19, off, s[0:3], 0 offset:72
	buffer_load_dword v20, off, s[0:3], 0 offset:76
	;; [unrolled: 1-line block ×4, first 2 shown]
	ds_read2_b64 v[0:3], v10 offset0:4 offset1:5
	s_waitcnt vmcnt(2) lgkmcnt(0)
	v_mul_f64 v[23:24], v[2:3], v[19:20]
	v_mul_f64 v[19:20], v[0:1], v[19:20]
	s_waitcnt vmcnt(0)
	v_fma_f64 v[0:1], v[0:1], v[21:22], -v[23:24]
	v_fma_f64 v[2:3], v[2:3], v[21:22], v[19:20]
	v_add_f64 v[0:1], v[15:16], -v[0:1]
	v_add_f64 v[2:3], v[17:18], -v[2:3]
	buffer_store_dword v1, v4, s[0:3], 0 offen offset:36
	buffer_store_dword v0, v4, s[0:3], 0 offen offset:32
	;; [unrolled: 1-line block ×4, first 2 shown]
	s_cbranch_scc1 .LBB122_126
.LBB122_127:
	s_or_b32 exec_lo, exec_lo, s4
	v_mov_b32_e32 v3, s77
	s_waitcnt_vscnt null, 0x0
	s_barrier
	buffer_gl0_inv
	v_lshl_add_u32 v4, v11, 4, v12
	s_clause 0x3
	buffer_load_dword v0, v3, s[0:3], 0 offen
	buffer_load_dword v1, v3, s[0:3], 0 offen offset:4
	buffer_load_dword v2, v3, s[0:3], 0 offen offset:8
	;; [unrolled: 1-line block ×3, first 2 shown]
	s_cmp_lt_i32 s57, 7
	s_waitcnt vmcnt(0)
	ds_write2_b64 v4, v[0:1], v[2:3] offset1:1
	s_waitcnt lgkmcnt(0)
	s_barrier
	buffer_gl0_inv
	ds_read2_b64 v[0:3], v12 offset0:10 offset1:11
	v_mov_b32_e32 v4, 5
	s_cbranch_scc1 .LBB122_130
; %bb.128:
	v_add3_u32 v10, v14, 0, 0x60
	v_mov_b32_e32 v4, 5
	s_mov_b32 s16, 6
	s_inst_prefetch 0x1
	.p2align	6
.LBB122_129:                            ; =>This Inner Loop Header: Depth=1
	s_waitcnt lgkmcnt(0)
	v_cmp_gt_f64_e32 vcc_lo, 0, v[2:3]
	v_cmp_gt_f64_e64 s4, 0, v[0:1]
	ds_read2_b64 v[15:18], v10 offset1:1
	v_xor_b32_e32 v20, 0x80000000, v1
	v_xor_b32_e32 v22, 0x80000000, v3
	v_mov_b32_e32 v19, v0
	v_mov_b32_e32 v21, v2
	v_add_nc_u32_e32 v10, 16, v10
	s_waitcnt lgkmcnt(0)
	v_xor_b32_e32 v24, 0x80000000, v18
	v_cndmask_b32_e64 v20, v1, v20, s4
	v_cndmask_b32_e32 v22, v3, v22, vcc_lo
	v_cmp_gt_f64_e32 vcc_lo, 0, v[17:18]
	v_cmp_gt_f64_e64 s4, 0, v[15:16]
	v_mov_b32_e32 v23, v17
	v_add_f64 v[19:20], v[19:20], v[21:22]
	v_xor_b32_e32 v22, 0x80000000, v16
	v_mov_b32_e32 v21, v15
	v_cndmask_b32_e32 v24, v18, v24, vcc_lo
	v_cndmask_b32_e64 v22, v16, v22, s4
	v_add_f64 v[21:22], v[21:22], v[23:24]
	v_cmp_lt_f64_e32 vcc_lo, v[19:20], v[21:22]
	v_cndmask_b32_e32 v1, v1, v16, vcc_lo
	v_cndmask_b32_e32 v0, v0, v15, vcc_lo
	;; [unrolled: 1-line block ×4, first 2 shown]
	v_cndmask_b32_e64 v4, v4, s16, vcc_lo
	s_add_i32 s16, s16, 1
	s_cmp_lg_u32 s57, s16
	s_cbranch_scc1 .LBB122_129
.LBB122_130:
	s_inst_prefetch 0x2
	s_waitcnt lgkmcnt(0)
	v_cmp_eq_f64_e32 vcc_lo, 0, v[0:1]
	v_cmp_eq_f64_e64 s4, 0, v[2:3]
	s_and_b32 s4, vcc_lo, s4
	s_and_saveexec_b32 s16, s4
	s_xor_b32 s4, exec_lo, s16
; %bb.131:
	v_cmp_ne_u32_e32 vcc_lo, 0, v13
	v_cndmask_b32_e32 v13, 6, v13, vcc_lo
; %bb.132:
	s_andn2_saveexec_b32 s4, s4
	s_cbranch_execz .LBB122_138
; %bb.133:
	v_cmp_ngt_f64_e64 s16, |v[0:1]|, |v[2:3]|
	s_and_saveexec_b32 s17, s16
	s_xor_b32 s16, exec_lo, s17
	s_cbranch_execz .LBB122_135
; %bb.134:
	v_div_scale_f64 v[15:16], null, v[2:3], v[2:3], v[0:1]
	v_div_scale_f64 v[21:22], vcc_lo, v[0:1], v[2:3], v[0:1]
	v_rcp_f64_e32 v[17:18], v[15:16]
	v_fma_f64 v[19:20], -v[15:16], v[17:18], 1.0
	v_fma_f64 v[17:18], v[17:18], v[19:20], v[17:18]
	v_fma_f64 v[19:20], -v[15:16], v[17:18], 1.0
	v_fma_f64 v[17:18], v[17:18], v[19:20], v[17:18]
	v_mul_f64 v[19:20], v[21:22], v[17:18]
	v_fma_f64 v[15:16], -v[15:16], v[19:20], v[21:22]
	v_div_fmas_f64 v[15:16], v[15:16], v[17:18], v[19:20]
	v_div_fixup_f64 v[15:16], v[15:16], v[2:3], v[0:1]
	v_fma_f64 v[0:1], v[0:1], v[15:16], v[2:3]
	v_div_scale_f64 v[2:3], null, v[0:1], v[0:1], 1.0
	v_rcp_f64_e32 v[17:18], v[2:3]
	v_fma_f64 v[19:20], -v[2:3], v[17:18], 1.0
	v_fma_f64 v[17:18], v[17:18], v[19:20], v[17:18]
	v_fma_f64 v[19:20], -v[2:3], v[17:18], 1.0
	v_fma_f64 v[17:18], v[17:18], v[19:20], v[17:18]
	v_div_scale_f64 v[19:20], vcc_lo, 1.0, v[0:1], 1.0
	v_mul_f64 v[21:22], v[19:20], v[17:18]
	v_fma_f64 v[2:3], -v[2:3], v[21:22], v[19:20]
	v_div_fmas_f64 v[2:3], v[2:3], v[17:18], v[21:22]
	v_div_fixup_f64 v[2:3], v[2:3], v[0:1], 1.0
	v_mul_f64 v[0:1], v[15:16], v[2:3]
	v_xor_b32_e32 v3, 0x80000000, v3
.LBB122_135:
	s_andn2_saveexec_b32 s16, s16
	s_cbranch_execz .LBB122_137
; %bb.136:
	v_div_scale_f64 v[15:16], null, v[0:1], v[0:1], v[2:3]
	v_div_scale_f64 v[21:22], vcc_lo, v[2:3], v[0:1], v[2:3]
	v_rcp_f64_e32 v[17:18], v[15:16]
	v_fma_f64 v[19:20], -v[15:16], v[17:18], 1.0
	v_fma_f64 v[17:18], v[17:18], v[19:20], v[17:18]
	v_fma_f64 v[19:20], -v[15:16], v[17:18], 1.0
	v_fma_f64 v[17:18], v[17:18], v[19:20], v[17:18]
	v_mul_f64 v[19:20], v[21:22], v[17:18]
	v_fma_f64 v[15:16], -v[15:16], v[19:20], v[21:22]
	v_div_fmas_f64 v[15:16], v[15:16], v[17:18], v[19:20]
	v_div_fixup_f64 v[15:16], v[15:16], v[0:1], v[2:3]
	v_fma_f64 v[0:1], v[2:3], v[15:16], v[0:1]
	v_div_scale_f64 v[2:3], null, v[0:1], v[0:1], 1.0
	v_rcp_f64_e32 v[17:18], v[2:3]
	v_fma_f64 v[19:20], -v[2:3], v[17:18], 1.0
	v_fma_f64 v[17:18], v[17:18], v[19:20], v[17:18]
	v_fma_f64 v[19:20], -v[2:3], v[17:18], 1.0
	v_fma_f64 v[17:18], v[17:18], v[19:20], v[17:18]
	v_div_scale_f64 v[19:20], vcc_lo, 1.0, v[0:1], 1.0
	v_mul_f64 v[21:22], v[19:20], v[17:18]
	v_fma_f64 v[2:3], -v[2:3], v[21:22], v[19:20]
	v_div_fmas_f64 v[2:3], v[2:3], v[17:18], v[21:22]
	v_div_fixup_f64 v[0:1], v[2:3], v[0:1], 1.0
	v_mul_f64 v[2:3], v[15:16], -v[0:1]
.LBB122_137:
	s_or_b32 exec_lo, exec_lo, s16
.LBB122_138:
	s_or_b32 exec_lo, exec_lo, s4
	s_mov_b32 s4, exec_lo
	v_cmpx_ne_u32_e64 v11, v4
	s_xor_b32 s4, exec_lo, s4
	s_cbranch_execz .LBB122_144
; %bb.139:
	s_mov_b32 s16, exec_lo
	v_cmpx_eq_u32_e32 5, v11
	s_cbranch_execz .LBB122_143
; %bb.140:
	v_cmp_ne_u32_e32 vcc_lo, 5, v4
	s_xor_b32 s17, s20, -1
	s_and_b32 s56, s17, vcc_lo
	s_and_saveexec_b32 s17, s56
	s_cbranch_execz .LBB122_142
; %bb.141:
	v_ashrrev_i32_e32 v5, 31, v4
	v_lshlrev_b64 v[10:11], 2, v[4:5]
	v_add_co_u32 v10, vcc_lo, v8, v10
	v_add_co_ci_u32_e64 v11, null, v9, v11, vcc_lo
	s_clause 0x1
	global_load_dword v5, v[10:11], off
	global_load_dword v15, v[8:9], off offset:20
	s_waitcnt vmcnt(1)
	global_store_dword v[8:9], v5, off offset:20
	s_waitcnt vmcnt(0)
	global_store_dword v[10:11], v15, off
.LBB122_142:
	s_or_b32 exec_lo, exec_lo, s17
	v_mov_b32_e32 v11, v4
	v_mov_b32_e32 v5, v4
.LBB122_143:
	s_or_b32 exec_lo, exec_lo, s16
.LBB122_144:
	s_andn2_saveexec_b32 s4, s4
	s_cbranch_execz .LBB122_148
; %bb.145:
	s_movk_i32 s16, 0x60
.LBB122_146:                            ; =>This Inner Loop Header: Depth=1
	v_mov_b32_e32 v4, s16
	s_clause 0x37
	buffer_load_dword v10, v4, s[0:3], 0 offen
	buffer_load_dword v11, v4, s[0:3], 0 offen offset:4
	buffer_load_dword v15, v4, s[0:3], 0 offen offset:8
	buffer_load_dword v16, v4, s[0:3], 0 offen offset:12
	buffer_load_dword v17, v4, s[0:3], 0 offen offset:16
	buffer_load_dword v18, v4, s[0:3], 0 offen offset:20
	buffer_load_dword v19, v4, s[0:3], 0 offen offset:24
	buffer_load_dword v20, v4, s[0:3], 0 offen offset:28
	buffer_load_dword v21, v4, s[0:3], 0 offen offset:32
	buffer_load_dword v22, v4, s[0:3], 0 offen offset:36
	buffer_load_dword v23, v4, s[0:3], 0 offen offset:40
	buffer_load_dword v24, v4, s[0:3], 0 offen offset:44
	buffer_load_dword v25, v4, s[0:3], 0 offen offset:48
	buffer_load_dword v26, v4, s[0:3], 0 offen offset:52
	buffer_load_dword v27, v4, s[0:3], 0 offen offset:56
	buffer_load_dword v28, v4, s[0:3], 0 offen offset:60
	buffer_load_dword v30, v4, s[0:3], 0 offen offset:76
	buffer_load_dword v32, v4, s[0:3], 0 offen offset:92
	buffer_load_dword v31, v4, s[0:3], 0 offen offset:88
	buffer_load_dword v34, v4, s[0:3], 0 offen offset:84
	buffer_load_dword v33, v4, s[0:3], 0 offen offset:80
	buffer_load_dword v29, v4, s[0:3], 0 offen offset:72
	buffer_load_dword v36, v4, s[0:3], 0 offen offset:68
	buffer_load_dword v35, v4, s[0:3], 0 offen offset:64
	buffer_load_dword v38, v4, s[0:3], 0 offen offset:108
	buffer_load_dword v40, v4, s[0:3], 0 offen offset:124
	buffer_load_dword v39, v4, s[0:3], 0 offen offset:120
	buffer_load_dword v42, v4, s[0:3], 0 offen offset:116
	buffer_load_dword v41, v4, s[0:3], 0 offen offset:112
	buffer_load_dword v37, v4, s[0:3], 0 offen offset:104
	buffer_load_dword v44, v4, s[0:3], 0 offen offset:100
	buffer_load_dword v43, v4, s[0:3], 0 offen offset:96
	buffer_load_dword v45, v4, s[0:3], 0 offen offset:128
	buffer_load_dword v46, v4, s[0:3], 0 offen offset:132
	buffer_load_dword v47, v4, s[0:3], 0 offen offset:136
	buffer_load_dword v48, v4, s[0:3], 0 offen offset:140
	buffer_load_dword v49, v4, s[0:3], 0 offen offset:144
	buffer_load_dword v50, v4, s[0:3], 0 offen offset:148
	buffer_load_dword v51, v4, s[0:3], 0 offen offset:152
	buffer_load_dword v52, v4, s[0:3], 0 offen offset:156
	buffer_load_dword v53, v4, s[0:3], 0 offen offset:160
	buffer_load_dword v54, v4, s[0:3], 0 offen offset:164
	buffer_load_dword v55, v4, s[0:3], 0 offen offset:168
	buffer_load_dword v56, v4, s[0:3], 0 offen offset:172
	buffer_load_dword v57, v4, s[0:3], 0 offen offset:176
	buffer_load_dword v58, v4, s[0:3], 0 offen offset:180
	buffer_load_dword v59, v4, s[0:3], 0 offen offset:184
	buffer_load_dword v60, v4, s[0:3], 0 offen offset:188
	buffer_load_dword v61, v4, s[0:3], 0 offen offset:192
	buffer_load_dword v62, v4, s[0:3], 0 offen offset:196
	buffer_load_dword v63, v4, s[0:3], 0 offen offset:200
	buffer_load_dword v64, v4, s[0:3], 0 offen offset:204
	buffer_load_dword v65, v4, s[0:3], 0 offen offset:208
	buffer_load_dword v66, v4, s[0:3], 0 offen offset:212
	buffer_load_dword v67, v4, s[0:3], 0 offen offset:216
	buffer_load_dword v68, v4, s[0:3], 0 offen offset:220
	v_add_nc_u32_e32 v4, s16, v12
	s_addk_i32 s16, 0xe0
	s_waitcnt vmcnt(52)
	ds_write2_b64 v4, v[10:11], v[15:16] offset1:1
	s_waitcnt vmcnt(48)
	ds_write2_b64 v4, v[17:18], v[19:20] offset0:2 offset1:3
	s_waitcnt vmcnt(44)
	ds_write2_b64 v4, v[21:22], v[23:24] offset0:4 offset1:5
	;; [unrolled: 2-line block ×4, first 2 shown]
	ds_write2_b64 v4, v[33:34], v[31:32] offset0:10 offset1:11
	s_waitcnt vmcnt(24)
	ds_write2_b64 v4, v[43:44], v[37:38] offset0:12 offset1:13
	ds_write2_b64 v4, v[41:42], v[39:40] offset0:14 offset1:15
	s_waitcnt vmcnt(20)
	ds_write2_b64 v4, v[45:46], v[47:48] offset0:16 offset1:17
	s_waitcnt vmcnt(16)
	;; [unrolled: 2-line block ×6, first 2 shown]
	ds_write2_b64 v4, v[65:66], v[67:68] offset0:26 offset1:27
	s_cmpk_eq_i32 s16, 0x3e0
	s_cbranch_scc0 .LBB122_146
; %bb.147:
	v_mov_b32_e32 v11, 5
.LBB122_148:
	s_or_b32 exec_lo, exec_lo, s4
	s_mov_b32 s4, exec_lo
	s_waitcnt lgkmcnt(0)
	s_waitcnt_vscnt null, 0x0
	s_barrier
	buffer_gl0_inv
	v_cmpx_lt_i32_e32 5, v11
	s_cbranch_execz .LBB122_151
; %bb.149:
	s_clause 0x3
	buffer_load_dword v15, off, s[0:3], 0 offset:88
	buffer_load_dword v16, off, s[0:3], 0 offset:92
	;; [unrolled: 1-line block ×4, first 2 shown]
	s_movk_i32 s81, 0x60
	s_waitcnt vmcnt(2)
	v_mul_f64 v[19:20], v[2:3], v[15:16]
	v_mul_f64 v[15:16], v[0:1], v[15:16]
	s_waitcnt vmcnt(0)
	v_fma_f64 v[0:1], v[0:1], v[17:18], -v[19:20]
	v_fma_f64 v[2:3], v[2:3], v[17:18], v[15:16]
	buffer_store_dword v0, off, s[0:3], 0 offset:80
	buffer_store_dword v1, off, s[0:3], 0 offset:84
	buffer_store_dword v2, off, s[0:3], 0 offset:88
	buffer_store_dword v3, off, s[0:3], 0 offset:92
.LBB122_150:                            ; =>This Inner Loop Header: Depth=1
	v_mov_b32_e32 v10, s81
	v_add_nc_u32_e32 v38, s81, v12
	s_addk_i32 s81, 0x70
	s_clause 0x3
	buffer_load_dword v23, v10, s[0:3], 0 offen
	buffer_load_dword v24, v10, s[0:3], 0 offen offset:4
	buffer_load_dword v25, v10, s[0:3], 0 offen offset:8
	;; [unrolled: 1-line block ×3, first 2 shown]
	ds_read2_b64 v[15:18], v38 offset1:1
	ds_read2_b64 v[19:22], v38 offset0:2 offset1:3
	s_clause 0x7
	buffer_load_dword v27, v10, s[0:3], 0 offen offset:16
	buffer_load_dword v29, v10, s[0:3], 0 offen offset:24
	;; [unrolled: 1-line block ×8, first 2 shown]
	s_cmpk_lg_i32 s81, 0x3e0
	s_waitcnt lgkmcnt(1)
	v_mul_f64 v[36:37], v[17:18], v[2:3]
	v_mul_f64 v[2:3], v[15:16], v[2:3]
	v_fma_f64 v[15:16], v[15:16], v[0:1], -v[36:37]
	v_fma_f64 v[0:1], v[17:18], v[0:1], v[2:3]
	s_waitcnt vmcnt(10)
	v_add_f64 v[2:3], v[23:24], -v[15:16]
	s_waitcnt vmcnt(8)
	v_add_f64 v[0:1], v[25:26], -v[0:1]
	buffer_store_dword v3, v10, s[0:3], 0 offen offset:4
	buffer_store_dword v2, v10, s[0:3], 0 offen
	buffer_store_dword v1, v10, s[0:3], 0 offen offset:12
	buffer_store_dword v0, v10, s[0:3], 0 offen offset:8
	s_clause 0x7
	buffer_load_dword v1, off, s[0:3], 0 offset:92
	buffer_load_dword v0, off, s[0:3], 0 offset:88
	buffer_load_dword v3, off, s[0:3], 0 offset:84
	buffer_load_dword v2, off, s[0:3], 0 offset:80
	buffer_load_dword v31, v10, s[0:3], 0 offen offset:32
	buffer_load_dword v34, v10, s[0:3], 0 offen offset:44
	;; [unrolled: 1-line block ×4, first 2 shown]
	s_waitcnt vmcnt(6) lgkmcnt(0)
	v_mul_f64 v[15:16], v[21:22], v[0:1]
	v_mul_f64 v[0:1], v[19:20], v[0:1]
	s_waitcnt vmcnt(4)
	v_fma_f64 v[15:16], v[19:20], v[2:3], -v[15:16]
	v_fma_f64 v[0:1], v[21:22], v[2:3], v[0:1]
	v_add_f64 v[2:3], v[27:28], -v[15:16]
	v_add_f64 v[0:1], v[29:30], -v[0:1]
	buffer_store_dword v3, v10, s[0:3], 0 offen offset:20
	buffer_store_dword v2, v10, s[0:3], 0 offen offset:16
	;; [unrolled: 1-line block ×4, first 2 shown]
	s_clause 0x3
	buffer_load_dword v19, off, s[0:3], 0 offset:88
	buffer_load_dword v20, off, s[0:3], 0 offset:92
	;; [unrolled: 1-line block ×4, first 2 shown]
	ds_read2_b64 v[0:3], v38 offset0:4 offset1:5
	ds_read2_b64 v[15:18], v38 offset0:6 offset1:7
	s_waitcnt vmcnt(2) lgkmcnt(1)
	v_mul_f64 v[24:25], v[2:3], v[19:20]
	v_mul_f64 v[19:20], v[0:1], v[19:20]
	s_waitcnt vmcnt(0)
	v_fma_f64 v[0:1], v[0:1], v[21:22], -v[24:25]
	v_fma_f64 v[2:3], v[2:3], v[21:22], v[19:20]
	v_add_f64 v[0:1], v[31:32], -v[0:1]
	v_add_f64 v[2:3], v[33:34], -v[2:3]
	buffer_store_dword v1, v10, s[0:3], 0 offen offset:36
	buffer_store_dword v0, v10, s[0:3], 0 offen offset:32
	buffer_store_dword v3, v10, s[0:3], 0 offen offset:44
	buffer_store_dword v2, v10, s[0:3], 0 offen offset:40
	s_clause 0x7
	buffer_load_dword v0, off, s[0:3], 0 offset:88
	buffer_load_dword v1, off, s[0:3], 0 offset:92
	;; [unrolled: 1-line block ×4, first 2 shown]
	buffer_load_dword v3, v10, s[0:3], 0 offen offset:48
	buffer_load_dword v21, v10, s[0:3], 0 offen offset:68
	;; [unrolled: 1-line block ×4, first 2 shown]
	s_waitcnt vmcnt(6) lgkmcnt(0)
	v_mul_f64 v[27:28], v[17:18], v[0:1]
	v_mul_f64 v[0:1], v[15:16], v[0:1]
	s_waitcnt vmcnt(4)
	v_fma_f64 v[15:16], v[15:16], v[19:20], -v[27:28]
	v_fma_f64 v[0:1], v[17:18], v[19:20], v[0:1]
	s_waitcnt vmcnt(3)
	v_add_f64 v[2:3], v[3:4], -v[15:16]
	v_add_f64 v[0:1], v[35:36], -v[0:1]
	buffer_store_dword v3, v10, s[0:3], 0 offen offset:52
	buffer_store_dword v2, v10, s[0:3], 0 offen offset:48
	;; [unrolled: 1-line block ×4, first 2 shown]
	s_clause 0x5
	buffer_load_dword v28, off, s[0:3], 0 offset:88
	buffer_load_dword v29, off, s[0:3], 0 offset:92
	;; [unrolled: 1-line block ×4, first 2 shown]
	buffer_load_dword v20, v10, s[0:3], 0 offen offset:64
	buffer_load_dword v24, v10, s[0:3], 0 offen offset:76
	ds_read2_b64 v[0:3], v38 offset0:8 offset1:9
	ds_read2_b64 v[15:18], v38 offset0:10 offset1:11
	s_clause 0x1
	buffer_load_dword v32, v10, s[0:3], 0 offen offset:88
	buffer_load_dword v27, v10, s[0:3], 0 offen offset:100
	s_waitcnt vmcnt(6) lgkmcnt(1)
	v_mul_f64 v[33:34], v[2:3], v[28:29]
	v_mul_f64 v[28:29], v[0:1], v[28:29]
	s_waitcnt vmcnt(4)
	v_fma_f64 v[0:1], v[0:1], v[30:31], -v[33:34]
	v_fma_f64 v[2:3], v[2:3], v[30:31], v[28:29]
	s_waitcnt vmcnt(3)
	v_add_f64 v[0:1], v[20:21], -v[0:1]
	s_waitcnt vmcnt(2)
	v_add_f64 v[2:3], v[23:24], -v[2:3]
	buffer_store_dword v1, v10, s[0:3], 0 offen offset:68
	buffer_store_dword v0, v10, s[0:3], 0 offen offset:64
	;; [unrolled: 1-line block ×4, first 2 shown]
	s_clause 0x7
	buffer_load_dword v2, off, s[0:3], 0 offset:88
	buffer_load_dword v3, off, s[0:3], 0 offset:92
	;; [unrolled: 1-line block ×4, first 2 shown]
	buffer_load_dword v24, v10, s[0:3], 0 offen offset:80
	buffer_load_dword v33, v10, s[0:3], 0 offen offset:92
	;; [unrolled: 1-line block ×4, first 2 shown]
	ds_read2_b64 v[19:22], v38 offset0:12 offset1:13
	s_waitcnt vmcnt(6) lgkmcnt(1)
	v_mul_f64 v[30:31], v[17:18], v[2:3]
	v_mul_f64 v[34:35], v[15:16], v[2:3]
	s_waitcnt lgkmcnt(0)
	v_mul_f64 v[36:37], v[21:22], v[2:3]
	v_mul_f64 v[38:39], v[19:20], v[2:3]
	s_waitcnt vmcnt(4)
	v_fma_f64 v[15:16], v[15:16], v[0:1], -v[30:31]
	v_fma_f64 v[17:18], v[17:18], v[0:1], v[34:35]
	v_fma_f64 v[19:20], v[19:20], v[0:1], -v[36:37]
	v_fma_f64 v[21:22], v[21:22], v[0:1], v[38:39]
	s_waitcnt vmcnt(3)
	v_add_f64 v[15:16], v[24:25], -v[15:16]
	s_waitcnt vmcnt(2)
	v_add_f64 v[17:18], v[32:33], -v[17:18]
	v_add_f64 v[19:20], v[26:27], -v[19:20]
	s_waitcnt vmcnt(0)
	v_add_f64 v[21:22], v[28:29], -v[21:22]
	buffer_store_dword v16, v10, s[0:3], 0 offen offset:84
	buffer_store_dword v15, v10, s[0:3], 0 offen offset:80
	;; [unrolled: 1-line block ×8, first 2 shown]
	s_cbranch_scc1 .LBB122_150
.LBB122_151:
	s_or_b32 exec_lo, exec_lo, s4
	v_mov_b32_e32 v3, s76
	s_waitcnt_vscnt null, 0x0
	s_barrier
	buffer_gl0_inv
	v_lshl_add_u32 v4, v11, 4, v12
	s_clause 0x3
	buffer_load_dword v0, v3, s[0:3], 0 offen
	buffer_load_dword v1, v3, s[0:3], 0 offen offset:4
	buffer_load_dword v2, v3, s[0:3], 0 offen offset:8
	;; [unrolled: 1-line block ×3, first 2 shown]
	s_cmp_lt_i32 s57, 8
	s_waitcnt vmcnt(0)
	ds_write2_b64 v4, v[0:1], v[2:3] offset1:1
	s_waitcnt lgkmcnt(0)
	s_barrier
	buffer_gl0_inv
	ds_read2_b64 v[0:3], v12 offset0:12 offset1:13
	v_mov_b32_e32 v4, 6
	s_cbranch_scc1 .LBB122_154
; %bb.152:
	v_add3_u32 v10, v14, 0, 0x70
	v_mov_b32_e32 v4, 6
	s_mov_b32 s16, 7
	s_inst_prefetch 0x1
	.p2align	6
.LBB122_153:                            ; =>This Inner Loop Header: Depth=1
	s_waitcnt lgkmcnt(0)
	v_cmp_gt_f64_e32 vcc_lo, 0, v[2:3]
	v_cmp_gt_f64_e64 s4, 0, v[0:1]
	ds_read2_b64 v[15:18], v10 offset1:1
	v_xor_b32_e32 v20, 0x80000000, v1
	v_xor_b32_e32 v22, 0x80000000, v3
	v_mov_b32_e32 v19, v0
	v_mov_b32_e32 v21, v2
	v_add_nc_u32_e32 v10, 16, v10
	s_waitcnt lgkmcnt(0)
	v_xor_b32_e32 v24, 0x80000000, v18
	v_cndmask_b32_e64 v20, v1, v20, s4
	v_cndmask_b32_e32 v22, v3, v22, vcc_lo
	v_cmp_gt_f64_e32 vcc_lo, 0, v[17:18]
	v_cmp_gt_f64_e64 s4, 0, v[15:16]
	v_mov_b32_e32 v23, v17
	v_add_f64 v[19:20], v[19:20], v[21:22]
	v_xor_b32_e32 v22, 0x80000000, v16
	v_mov_b32_e32 v21, v15
	v_cndmask_b32_e32 v24, v18, v24, vcc_lo
	v_cndmask_b32_e64 v22, v16, v22, s4
	v_add_f64 v[21:22], v[21:22], v[23:24]
	v_cmp_lt_f64_e32 vcc_lo, v[19:20], v[21:22]
	v_cndmask_b32_e32 v1, v1, v16, vcc_lo
	v_cndmask_b32_e32 v0, v0, v15, vcc_lo
	;; [unrolled: 1-line block ×4, first 2 shown]
	v_cndmask_b32_e64 v4, v4, s16, vcc_lo
	s_add_i32 s16, s16, 1
	s_cmp_lg_u32 s57, s16
	s_cbranch_scc1 .LBB122_153
.LBB122_154:
	s_inst_prefetch 0x2
	s_waitcnt lgkmcnt(0)
	v_cmp_eq_f64_e32 vcc_lo, 0, v[0:1]
	v_cmp_eq_f64_e64 s4, 0, v[2:3]
	s_and_b32 s4, vcc_lo, s4
	s_and_saveexec_b32 s16, s4
	s_xor_b32 s4, exec_lo, s16
; %bb.155:
	v_cmp_ne_u32_e32 vcc_lo, 0, v13
	v_cndmask_b32_e32 v13, 7, v13, vcc_lo
; %bb.156:
	s_andn2_saveexec_b32 s4, s4
	s_cbranch_execz .LBB122_162
; %bb.157:
	v_cmp_ngt_f64_e64 s16, |v[0:1]|, |v[2:3]|
	s_and_saveexec_b32 s17, s16
	s_xor_b32 s16, exec_lo, s17
	s_cbranch_execz .LBB122_159
; %bb.158:
	v_div_scale_f64 v[15:16], null, v[2:3], v[2:3], v[0:1]
	v_div_scale_f64 v[21:22], vcc_lo, v[0:1], v[2:3], v[0:1]
	v_rcp_f64_e32 v[17:18], v[15:16]
	v_fma_f64 v[19:20], -v[15:16], v[17:18], 1.0
	v_fma_f64 v[17:18], v[17:18], v[19:20], v[17:18]
	v_fma_f64 v[19:20], -v[15:16], v[17:18], 1.0
	v_fma_f64 v[17:18], v[17:18], v[19:20], v[17:18]
	v_mul_f64 v[19:20], v[21:22], v[17:18]
	v_fma_f64 v[15:16], -v[15:16], v[19:20], v[21:22]
	v_div_fmas_f64 v[15:16], v[15:16], v[17:18], v[19:20]
	v_div_fixup_f64 v[15:16], v[15:16], v[2:3], v[0:1]
	v_fma_f64 v[0:1], v[0:1], v[15:16], v[2:3]
	v_div_scale_f64 v[2:3], null, v[0:1], v[0:1], 1.0
	v_rcp_f64_e32 v[17:18], v[2:3]
	v_fma_f64 v[19:20], -v[2:3], v[17:18], 1.0
	v_fma_f64 v[17:18], v[17:18], v[19:20], v[17:18]
	v_fma_f64 v[19:20], -v[2:3], v[17:18], 1.0
	v_fma_f64 v[17:18], v[17:18], v[19:20], v[17:18]
	v_div_scale_f64 v[19:20], vcc_lo, 1.0, v[0:1], 1.0
	v_mul_f64 v[21:22], v[19:20], v[17:18]
	v_fma_f64 v[2:3], -v[2:3], v[21:22], v[19:20]
	v_div_fmas_f64 v[2:3], v[2:3], v[17:18], v[21:22]
	v_div_fixup_f64 v[2:3], v[2:3], v[0:1], 1.0
	v_mul_f64 v[0:1], v[15:16], v[2:3]
	v_xor_b32_e32 v3, 0x80000000, v3
.LBB122_159:
	s_andn2_saveexec_b32 s16, s16
	s_cbranch_execz .LBB122_161
; %bb.160:
	v_div_scale_f64 v[15:16], null, v[0:1], v[0:1], v[2:3]
	v_div_scale_f64 v[21:22], vcc_lo, v[2:3], v[0:1], v[2:3]
	v_rcp_f64_e32 v[17:18], v[15:16]
	v_fma_f64 v[19:20], -v[15:16], v[17:18], 1.0
	v_fma_f64 v[17:18], v[17:18], v[19:20], v[17:18]
	v_fma_f64 v[19:20], -v[15:16], v[17:18], 1.0
	v_fma_f64 v[17:18], v[17:18], v[19:20], v[17:18]
	v_mul_f64 v[19:20], v[21:22], v[17:18]
	v_fma_f64 v[15:16], -v[15:16], v[19:20], v[21:22]
	v_div_fmas_f64 v[15:16], v[15:16], v[17:18], v[19:20]
	v_div_fixup_f64 v[15:16], v[15:16], v[0:1], v[2:3]
	v_fma_f64 v[0:1], v[2:3], v[15:16], v[0:1]
	v_div_scale_f64 v[2:3], null, v[0:1], v[0:1], 1.0
	v_rcp_f64_e32 v[17:18], v[2:3]
	v_fma_f64 v[19:20], -v[2:3], v[17:18], 1.0
	v_fma_f64 v[17:18], v[17:18], v[19:20], v[17:18]
	v_fma_f64 v[19:20], -v[2:3], v[17:18], 1.0
	v_fma_f64 v[17:18], v[17:18], v[19:20], v[17:18]
	v_div_scale_f64 v[19:20], vcc_lo, 1.0, v[0:1], 1.0
	v_mul_f64 v[21:22], v[19:20], v[17:18]
	v_fma_f64 v[2:3], -v[2:3], v[21:22], v[19:20]
	v_div_fmas_f64 v[2:3], v[2:3], v[17:18], v[21:22]
	v_div_fixup_f64 v[0:1], v[2:3], v[0:1], 1.0
	v_mul_f64 v[2:3], v[15:16], -v[0:1]
.LBB122_161:
	s_or_b32 exec_lo, exec_lo, s16
.LBB122_162:
	s_or_b32 exec_lo, exec_lo, s4
	s_mov_b32 s4, exec_lo
	v_cmpx_ne_u32_e64 v11, v4
	s_xor_b32 s4, exec_lo, s4
	s_cbranch_execz .LBB122_168
; %bb.163:
	s_mov_b32 s16, exec_lo
	v_cmpx_eq_u32_e32 6, v11
	s_cbranch_execz .LBB122_167
; %bb.164:
	v_cmp_ne_u32_e32 vcc_lo, 6, v4
	s_xor_b32 s17, s20, -1
	s_and_b32 s56, s17, vcc_lo
	s_and_saveexec_b32 s17, s56
	s_cbranch_execz .LBB122_166
; %bb.165:
	v_ashrrev_i32_e32 v5, 31, v4
	v_lshlrev_b64 v[10:11], 2, v[4:5]
	v_add_co_u32 v10, vcc_lo, v8, v10
	v_add_co_ci_u32_e64 v11, null, v9, v11, vcc_lo
	s_clause 0x1
	global_load_dword v5, v[10:11], off
	global_load_dword v15, v[8:9], off offset:24
	s_waitcnt vmcnt(1)
	global_store_dword v[8:9], v5, off offset:24
	s_waitcnt vmcnt(0)
	global_store_dword v[10:11], v15, off
.LBB122_166:
	s_or_b32 exec_lo, exec_lo, s17
	v_mov_b32_e32 v11, v4
	v_mov_b32_e32 v5, v4
.LBB122_167:
	s_or_b32 exec_lo, exec_lo, s16
.LBB122_168:
	s_andn2_saveexec_b32 s4, s4
	s_cbranch_execz .LBB122_172
; %bb.169:
	s_movk_i32 s16, 0x70
.LBB122_170:                            ; =>This Inner Loop Header: Depth=1
	v_mov_b32_e32 v4, s16
	s_clause 0x2b
	buffer_load_dword v10, v4, s[0:3], 0 offen
	buffer_load_dword v11, v4, s[0:3], 0 offen offset:4
	buffer_load_dword v15, v4, s[0:3], 0 offen offset:8
	;; [unrolled: 1-line block ×43, first 2 shown]
	v_add_nc_u32_e32 v4, s16, v12
	s_addk_i32 s16, 0xb0
	s_waitcnt vmcnt(40)
	ds_write2_b64 v4, v[10:11], v[15:16] offset1:1
	s_waitcnt vmcnt(36)
	ds_write2_b64 v4, v[17:18], v[19:20] offset0:2 offset1:3
	s_waitcnt vmcnt(32)
	ds_write2_b64 v4, v[21:22], v[23:24] offset0:4 offset1:5
	;; [unrolled: 2-line block ×4, first 2 shown]
	ds_write2_b64 v4, v[33:34], v[31:32] offset0:10 offset1:11
	s_waitcnt vmcnt(12)
	ds_write2_b64 v4, v[43:44], v[37:38] offset0:12 offset1:13
	ds_write2_b64 v4, v[41:42], v[39:40] offset0:14 offset1:15
	s_waitcnt vmcnt(8)
	ds_write2_b64 v4, v[45:46], v[47:48] offset0:16 offset1:17
	s_waitcnt vmcnt(4)
	;; [unrolled: 2-line block ×3, first 2 shown]
	ds_write2_b64 v4, v[53:54], v[55:56] offset0:20 offset1:21
	s_cmpk_eq_i32 s16, 0x3e0
	s_cbranch_scc0 .LBB122_170
; %bb.171:
	v_mov_b32_e32 v11, 6
.LBB122_172:
	s_or_b32 exec_lo, exec_lo, s4
	s_mov_b32 s4, exec_lo
	s_waitcnt lgkmcnt(0)
	s_waitcnt_vscnt null, 0x0
	s_barrier
	buffer_gl0_inv
	v_cmpx_lt_i32_e32 6, v11
	s_cbranch_execz .LBB122_175
; %bb.173:
	s_clause 0x3
	buffer_load_dword v15, off, s[0:3], 0 offset:104
	buffer_load_dword v16, off, s[0:3], 0 offset:108
	;; [unrolled: 1-line block ×4, first 2 shown]
	s_movk_i32 s81, 0x70
	s_waitcnt vmcnt(2)
	v_mul_f64 v[19:20], v[2:3], v[15:16]
	v_mul_f64 v[15:16], v[0:1], v[15:16]
	s_waitcnt vmcnt(0)
	v_fma_f64 v[0:1], v[0:1], v[17:18], -v[19:20]
	v_fma_f64 v[2:3], v[2:3], v[17:18], v[15:16]
	buffer_store_dword v0, off, s[0:3], 0 offset:96
	buffer_store_dword v1, off, s[0:3], 0 offset:100
	;; [unrolled: 1-line block ×4, first 2 shown]
.LBB122_174:                            ; =>This Inner Loop Header: Depth=1
	s_clause 0x3
	buffer_load_dword v19, off, s[0:3], 0 offset:104
	buffer_load_dword v20, off, s[0:3], 0 offset:108
	;; [unrolled: 1-line block ×4, first 2 shown]
	v_mov_b32_e32 v4, s81
	v_add_nc_u32_e32 v10, s81, v12
	s_addk_i32 s81, 0x50
	s_clause 0x3
	buffer_load_dword v23, v4, s[0:3], 0 offen
	buffer_load_dword v24, v4, s[0:3], 0 offen offset:4
	buffer_load_dword v25, v4, s[0:3], 0 offen offset:8
	;; [unrolled: 1-line block ×3, first 2 shown]
	ds_read2_b64 v[0:3], v10 offset1:1
	ds_read2_b64 v[15:18], v10 offset0:2 offset1:3
	s_cmpk_lg_i32 s81, 0x3e0
	s_waitcnt vmcnt(6) lgkmcnt(1)
	v_mul_f64 v[27:28], v[2:3], v[19:20]
	v_mul_f64 v[19:20], v[0:1], v[19:20]
	s_waitcnt vmcnt(4)
	v_fma_f64 v[0:1], v[0:1], v[21:22], -v[27:28]
	v_fma_f64 v[2:3], v[2:3], v[21:22], v[19:20]
	s_clause 0x3
	buffer_load_dword v19, v4, s[0:3], 0 offen offset:16
	buffer_load_dword v20, v4, s[0:3], 0 offen offset:20
	;; [unrolled: 1-line block ×4, first 2 shown]
	s_waitcnt vmcnt(6)
	v_add_f64 v[0:1], v[23:24], -v[0:1]
	s_waitcnt vmcnt(4)
	v_add_f64 v[2:3], v[25:26], -v[2:3]
	buffer_store_dword v1, v4, s[0:3], 0 offen offset:4
	buffer_store_dword v0, v4, s[0:3], 0 offen
	buffer_store_dword v3, v4, s[0:3], 0 offen offset:12
	buffer_store_dword v2, v4, s[0:3], 0 offen offset:8
	s_clause 0x3
	buffer_load_dword v1, off, s[0:3], 0 offset:108
	buffer_load_dword v0, off, s[0:3], 0 offset:104
	;; [unrolled: 1-line block ×4, first 2 shown]
	s_waitcnt vmcnt(2) lgkmcnt(0)
	v_mul_f64 v[23:24], v[17:18], v[0:1]
	v_mul_f64 v[0:1], v[15:16], v[0:1]
	s_waitcnt vmcnt(0)
	v_fma_f64 v[15:16], v[15:16], v[2:3], -v[23:24]
	v_fma_f64 v[0:1], v[17:18], v[2:3], v[0:1]
	v_add_f64 v[2:3], v[19:20], -v[15:16]
	v_add_f64 v[0:1], v[21:22], -v[0:1]
	s_clause 0x3
	buffer_load_dword v19, v4, s[0:3], 0 offen offset:32
	buffer_load_dword v20, v4, s[0:3], 0 offen offset:36
	;; [unrolled: 1-line block ×4, first 2 shown]
	buffer_store_dword v3, v4, s[0:3], 0 offen offset:20
	buffer_store_dword v2, v4, s[0:3], 0 offen offset:16
	;; [unrolled: 1-line block ×4, first 2 shown]
	s_clause 0x3
	buffer_load_dword v23, off, s[0:3], 0 offset:104
	buffer_load_dword v24, off, s[0:3], 0 offset:108
	;; [unrolled: 1-line block ×4, first 2 shown]
	ds_read2_b64 v[0:3], v10 offset0:4 offset1:5
	ds_read2_b64 v[15:18], v10 offset0:6 offset1:7
	s_waitcnt vmcnt(2) lgkmcnt(1)
	v_mul_f64 v[27:28], v[2:3], v[23:24]
	v_mul_f64 v[23:24], v[0:1], v[23:24]
	s_waitcnt vmcnt(0)
	v_fma_f64 v[0:1], v[0:1], v[25:26], -v[27:28]
	v_fma_f64 v[2:3], v[2:3], v[25:26], v[23:24]
	v_add_f64 v[0:1], v[19:20], -v[0:1]
	v_add_f64 v[2:3], v[21:22], -v[2:3]
	buffer_store_dword v1, v4, s[0:3], 0 offen offset:36
	buffer_store_dword v0, v4, s[0:3], 0 offen offset:32
	;; [unrolled: 1-line block ×4, first 2 shown]
	s_clause 0x7
	buffer_load_dword v0, off, s[0:3], 0 offset:104
	buffer_load_dword v1, off, s[0:3], 0 offset:108
	;; [unrolled: 1-line block ×4, first 2 shown]
	buffer_load_dword v19, v4, s[0:3], 0 offen offset:48
	buffer_load_dword v20, v4, s[0:3], 0 offen offset:52
	;; [unrolled: 1-line block ×4, first 2 shown]
	s_waitcnt vmcnt(6) lgkmcnt(0)
	v_mul_f64 v[23:24], v[17:18], v[0:1]
	v_mul_f64 v[0:1], v[15:16], v[0:1]
	s_waitcnt vmcnt(4)
	v_fma_f64 v[15:16], v[15:16], v[2:3], -v[23:24]
	v_fma_f64 v[0:1], v[17:18], v[2:3], v[0:1]
	s_waitcnt vmcnt(2)
	v_add_f64 v[2:3], v[19:20], -v[15:16]
	s_waitcnt vmcnt(0)
	v_add_f64 v[0:1], v[21:22], -v[0:1]
	buffer_store_dword v3, v4, s[0:3], 0 offen offset:52
	buffer_store_dword v2, v4, s[0:3], 0 offen offset:48
	;; [unrolled: 1-line block ×4, first 2 shown]
	s_clause 0x7
	buffer_load_dword v15, off, s[0:3], 0 offset:104
	buffer_load_dword v16, off, s[0:3], 0 offset:108
	;; [unrolled: 1-line block ×4, first 2 shown]
	buffer_load_dword v19, v4, s[0:3], 0 offen offset:64
	buffer_load_dword v20, v4, s[0:3], 0 offen offset:68
	;; [unrolled: 1-line block ×4, first 2 shown]
	ds_read2_b64 v[0:3], v10 offset0:8 offset1:9
	s_waitcnt vmcnt(6) lgkmcnt(0)
	v_mul_f64 v[23:24], v[2:3], v[15:16]
	v_mul_f64 v[15:16], v[0:1], v[15:16]
	s_waitcnt vmcnt(4)
	v_fma_f64 v[0:1], v[0:1], v[17:18], -v[23:24]
	v_fma_f64 v[2:3], v[2:3], v[17:18], v[15:16]
	s_waitcnt vmcnt(2)
	v_add_f64 v[0:1], v[19:20], -v[0:1]
	s_waitcnt vmcnt(0)
	v_add_f64 v[2:3], v[21:22], -v[2:3]
	buffer_store_dword v1, v4, s[0:3], 0 offen offset:68
	buffer_store_dword v0, v4, s[0:3], 0 offen offset:64
	;; [unrolled: 1-line block ×4, first 2 shown]
	s_cbranch_scc1 .LBB122_174
.LBB122_175:
	s_or_b32 exec_lo, exec_lo, s4
	v_mov_b32_e32 v3, s75
	s_waitcnt_vscnt null, 0x0
	s_barrier
	buffer_gl0_inv
	v_lshl_add_u32 v4, v11, 4, v12
	s_clause 0x3
	buffer_load_dword v0, v3, s[0:3], 0 offen
	buffer_load_dword v1, v3, s[0:3], 0 offen offset:4
	buffer_load_dword v2, v3, s[0:3], 0 offen offset:8
	;; [unrolled: 1-line block ×3, first 2 shown]
	s_cmp_lt_i32 s57, 9
	s_waitcnt vmcnt(0)
	ds_write2_b64 v4, v[0:1], v[2:3] offset1:1
	s_waitcnt lgkmcnt(0)
	s_barrier
	buffer_gl0_inv
	ds_read2_b64 v[0:3], v12 offset0:14 offset1:15
	v_mov_b32_e32 v4, 7
	s_cbranch_scc1 .LBB122_178
; %bb.176:
	v_add3_u32 v10, v14, 0, 0x80
	v_mov_b32_e32 v4, 7
	s_mov_b32 s16, 8
	s_inst_prefetch 0x1
	.p2align	6
.LBB122_177:                            ; =>This Inner Loop Header: Depth=1
	s_waitcnt lgkmcnt(0)
	v_cmp_gt_f64_e32 vcc_lo, 0, v[2:3]
	v_cmp_gt_f64_e64 s4, 0, v[0:1]
	ds_read2_b64 v[15:18], v10 offset1:1
	v_xor_b32_e32 v20, 0x80000000, v1
	v_xor_b32_e32 v22, 0x80000000, v3
	v_mov_b32_e32 v19, v0
	v_mov_b32_e32 v21, v2
	v_add_nc_u32_e32 v10, 16, v10
	s_waitcnt lgkmcnt(0)
	v_xor_b32_e32 v24, 0x80000000, v18
	v_cndmask_b32_e64 v20, v1, v20, s4
	v_cndmask_b32_e32 v22, v3, v22, vcc_lo
	v_cmp_gt_f64_e32 vcc_lo, 0, v[17:18]
	v_cmp_gt_f64_e64 s4, 0, v[15:16]
	v_mov_b32_e32 v23, v17
	v_add_f64 v[19:20], v[19:20], v[21:22]
	v_xor_b32_e32 v22, 0x80000000, v16
	v_mov_b32_e32 v21, v15
	v_cndmask_b32_e32 v24, v18, v24, vcc_lo
	v_cndmask_b32_e64 v22, v16, v22, s4
	v_add_f64 v[21:22], v[21:22], v[23:24]
	v_cmp_lt_f64_e32 vcc_lo, v[19:20], v[21:22]
	v_cndmask_b32_e32 v1, v1, v16, vcc_lo
	v_cndmask_b32_e32 v0, v0, v15, vcc_lo
	;; [unrolled: 1-line block ×4, first 2 shown]
	v_cndmask_b32_e64 v4, v4, s16, vcc_lo
	s_add_i32 s16, s16, 1
	s_cmp_lg_u32 s57, s16
	s_cbranch_scc1 .LBB122_177
.LBB122_178:
	s_inst_prefetch 0x2
	s_waitcnt lgkmcnt(0)
	v_cmp_eq_f64_e32 vcc_lo, 0, v[0:1]
	v_cmp_eq_f64_e64 s4, 0, v[2:3]
	s_and_b32 s4, vcc_lo, s4
	s_and_saveexec_b32 s16, s4
	s_xor_b32 s4, exec_lo, s16
; %bb.179:
	v_cmp_ne_u32_e32 vcc_lo, 0, v13
	v_cndmask_b32_e32 v13, 8, v13, vcc_lo
; %bb.180:
	s_andn2_saveexec_b32 s4, s4
	s_cbranch_execz .LBB122_186
; %bb.181:
	v_cmp_ngt_f64_e64 s16, |v[0:1]|, |v[2:3]|
	s_and_saveexec_b32 s17, s16
	s_xor_b32 s16, exec_lo, s17
	s_cbranch_execz .LBB122_183
; %bb.182:
	v_div_scale_f64 v[15:16], null, v[2:3], v[2:3], v[0:1]
	v_div_scale_f64 v[21:22], vcc_lo, v[0:1], v[2:3], v[0:1]
	v_rcp_f64_e32 v[17:18], v[15:16]
	v_fma_f64 v[19:20], -v[15:16], v[17:18], 1.0
	v_fma_f64 v[17:18], v[17:18], v[19:20], v[17:18]
	v_fma_f64 v[19:20], -v[15:16], v[17:18], 1.0
	v_fma_f64 v[17:18], v[17:18], v[19:20], v[17:18]
	v_mul_f64 v[19:20], v[21:22], v[17:18]
	v_fma_f64 v[15:16], -v[15:16], v[19:20], v[21:22]
	v_div_fmas_f64 v[15:16], v[15:16], v[17:18], v[19:20]
	v_div_fixup_f64 v[15:16], v[15:16], v[2:3], v[0:1]
	v_fma_f64 v[0:1], v[0:1], v[15:16], v[2:3]
	v_div_scale_f64 v[2:3], null, v[0:1], v[0:1], 1.0
	v_rcp_f64_e32 v[17:18], v[2:3]
	v_fma_f64 v[19:20], -v[2:3], v[17:18], 1.0
	v_fma_f64 v[17:18], v[17:18], v[19:20], v[17:18]
	v_fma_f64 v[19:20], -v[2:3], v[17:18], 1.0
	v_fma_f64 v[17:18], v[17:18], v[19:20], v[17:18]
	v_div_scale_f64 v[19:20], vcc_lo, 1.0, v[0:1], 1.0
	v_mul_f64 v[21:22], v[19:20], v[17:18]
	v_fma_f64 v[2:3], -v[2:3], v[21:22], v[19:20]
	v_div_fmas_f64 v[2:3], v[2:3], v[17:18], v[21:22]
	v_div_fixup_f64 v[2:3], v[2:3], v[0:1], 1.0
	v_mul_f64 v[0:1], v[15:16], v[2:3]
	v_xor_b32_e32 v3, 0x80000000, v3
.LBB122_183:
	s_andn2_saveexec_b32 s16, s16
	s_cbranch_execz .LBB122_185
; %bb.184:
	v_div_scale_f64 v[15:16], null, v[0:1], v[0:1], v[2:3]
	v_div_scale_f64 v[21:22], vcc_lo, v[2:3], v[0:1], v[2:3]
	v_rcp_f64_e32 v[17:18], v[15:16]
	v_fma_f64 v[19:20], -v[15:16], v[17:18], 1.0
	v_fma_f64 v[17:18], v[17:18], v[19:20], v[17:18]
	v_fma_f64 v[19:20], -v[15:16], v[17:18], 1.0
	v_fma_f64 v[17:18], v[17:18], v[19:20], v[17:18]
	v_mul_f64 v[19:20], v[21:22], v[17:18]
	v_fma_f64 v[15:16], -v[15:16], v[19:20], v[21:22]
	v_div_fmas_f64 v[15:16], v[15:16], v[17:18], v[19:20]
	v_div_fixup_f64 v[15:16], v[15:16], v[0:1], v[2:3]
	v_fma_f64 v[0:1], v[2:3], v[15:16], v[0:1]
	v_div_scale_f64 v[2:3], null, v[0:1], v[0:1], 1.0
	v_rcp_f64_e32 v[17:18], v[2:3]
	v_fma_f64 v[19:20], -v[2:3], v[17:18], 1.0
	v_fma_f64 v[17:18], v[17:18], v[19:20], v[17:18]
	v_fma_f64 v[19:20], -v[2:3], v[17:18], 1.0
	v_fma_f64 v[17:18], v[17:18], v[19:20], v[17:18]
	v_div_scale_f64 v[19:20], vcc_lo, 1.0, v[0:1], 1.0
	v_mul_f64 v[21:22], v[19:20], v[17:18]
	v_fma_f64 v[2:3], -v[2:3], v[21:22], v[19:20]
	v_div_fmas_f64 v[2:3], v[2:3], v[17:18], v[21:22]
	v_div_fixup_f64 v[0:1], v[2:3], v[0:1], 1.0
	v_mul_f64 v[2:3], v[15:16], -v[0:1]
.LBB122_185:
	s_or_b32 exec_lo, exec_lo, s16
.LBB122_186:
	s_or_b32 exec_lo, exec_lo, s4
	s_mov_b32 s4, exec_lo
	v_cmpx_ne_u32_e64 v11, v4
	s_xor_b32 s4, exec_lo, s4
	s_cbranch_execz .LBB122_192
; %bb.187:
	s_mov_b32 s16, exec_lo
	v_cmpx_eq_u32_e32 7, v11
	s_cbranch_execz .LBB122_191
; %bb.188:
	v_cmp_ne_u32_e32 vcc_lo, 7, v4
	s_xor_b32 s17, s20, -1
	s_and_b32 s56, s17, vcc_lo
	s_and_saveexec_b32 s17, s56
	s_cbranch_execz .LBB122_190
; %bb.189:
	v_ashrrev_i32_e32 v5, 31, v4
	v_lshlrev_b64 v[10:11], 2, v[4:5]
	v_add_co_u32 v10, vcc_lo, v8, v10
	v_add_co_ci_u32_e64 v11, null, v9, v11, vcc_lo
	s_clause 0x1
	global_load_dword v5, v[10:11], off
	global_load_dword v15, v[8:9], off offset:28
	s_waitcnt vmcnt(1)
	global_store_dword v[8:9], v5, off offset:28
	s_waitcnt vmcnt(0)
	global_store_dword v[10:11], v15, off
.LBB122_190:
	s_or_b32 exec_lo, exec_lo, s17
	v_mov_b32_e32 v11, v4
	v_mov_b32_e32 v5, v4
.LBB122_191:
	s_or_b32 exec_lo, exec_lo, s16
.LBB122_192:
	s_andn2_saveexec_b32 s4, s4
	s_cbranch_execz .LBB122_196
; %bb.193:
	s_movk_i32 s81, 0x80
.LBB122_194:                            ; =>This Inner Loop Header: Depth=1
	v_mov_b32_e32 v4, s81
	s_clause 0x3e
	buffer_load_dword v10, v4, s[0:3], 0 offen
	buffer_load_dword v11, v4, s[0:3], 0 offen offset:4
	buffer_load_dword v15, v4, s[0:3], 0 offen offset:8
	;; [unrolled: 1-line block ×62, first 2 shown]
	s_clause 0x8
	buffer_load_dword v76, v4, s[0:3], 0 offen offset:252
	buffer_load_dword v77, v4, s[0:3], 0 offen offset:256
	;; [unrolled: 1-line block ×9, first 2 shown]
	v_add_nc_u32_e32 v4, s81, v12
	s_addk_i32 s81, 0x120
	s_waitcnt vmcnt(62)
	ds_write2_b64 v4, v[10:11], v[15:16] offset1:1
	ds_write2_b64 v4, v[17:18], v[19:20] offset0:2 offset1:3
	s_waitcnt vmcnt(60)
	ds_write2_b64 v4, v[21:22], v[23:24] offset0:4 offset1:5
	s_waitcnt vmcnt(56)
	;; [unrolled: 2-line block ×3, first 2 shown]
	ds_write2_b64 v4, v[35:36], v[29:30] offset0:8 offset1:9
	ds_write2_b64 v4, v[33:34], v[31:32] offset0:10 offset1:11
	s_waitcnt vmcnt(40)
	ds_write2_b64 v4, v[43:44], v[37:38] offset0:12 offset1:13
	ds_write2_b64 v4, v[41:42], v[39:40] offset0:14 offset1:15
	s_waitcnt vmcnt(36)
	ds_write2_b64 v4, v[45:46], v[47:48] offset0:16 offset1:17
	s_waitcnt vmcnt(32)
	ds_write2_b64 v4, v[49:50], v[51:52] offset0:18 offset1:19
	s_waitcnt vmcnt(28)
	ds_write2_b64 v4, v[53:54], v[55:56] offset0:20 offset1:21
	s_waitcnt vmcnt(24)
	ds_write2_b64 v4, v[57:58], v[59:60] offset0:22 offset1:23
	s_waitcnt vmcnt(20)
	ds_write2_b64 v4, v[61:62], v[63:64] offset0:24 offset1:25
	s_waitcnt vmcnt(16)
	ds_write2_b64 v4, v[65:66], v[67:68] offset0:26 offset1:27
	s_waitcnt vmcnt(12)
	ds_write2_b64 v4, v[69:70], v[71:72] offset0:28 offset1:29
	s_waitcnt vmcnt(8)
	ds_write2_b64 v4, v[73:74], v[75:76] offset0:30 offset1:31
	s_waitcnt vmcnt(4)
	ds_write2_b64 v4, v[77:78], v[79:80] offset0:32 offset1:33
	s_waitcnt vmcnt(0)
	ds_write2_b64 v4, v[81:82], v[83:84] offset0:34 offset1:35
	s_cmpk_eq_i32 s81, 0x3e0
	s_cbranch_scc0 .LBB122_194
; %bb.195:
	v_mov_b32_e32 v11, 7
.LBB122_196:
	s_or_b32 exec_lo, exec_lo, s4
	s_mov_b32 s4, exec_lo
	s_waitcnt lgkmcnt(0)
	s_waitcnt_vscnt null, 0x0
	s_barrier
	buffer_gl0_inv
	v_cmpx_lt_i32_e32 7, v11
	s_cbranch_execz .LBB122_199
; %bb.197:
	s_clause 0x3
	buffer_load_dword v15, off, s[0:3], 0 offset:120
	buffer_load_dword v16, off, s[0:3], 0 offset:124
	;; [unrolled: 1-line block ×4, first 2 shown]
	s_movk_i32 s81, 0x80
	s_waitcnt vmcnt(2)
	v_mul_f64 v[19:20], v[2:3], v[15:16]
	v_mul_f64 v[15:16], v[0:1], v[15:16]
	s_waitcnt vmcnt(0)
	v_fma_f64 v[0:1], v[0:1], v[17:18], -v[19:20]
	v_fma_f64 v[2:3], v[2:3], v[17:18], v[15:16]
	buffer_store_dword v0, off, s[0:3], 0 offset:112
	buffer_store_dword v1, off, s[0:3], 0 offset:116
	;; [unrolled: 1-line block ×4, first 2 shown]
.LBB122_198:                            ; =>This Inner Loop Header: Depth=1
	s_clause 0x3
	buffer_load_dword v19, off, s[0:3], 0 offset:120
	buffer_load_dword v20, off, s[0:3], 0 offset:124
	buffer_load_dword v21, off, s[0:3], 0 offset:112
	buffer_load_dword v22, off, s[0:3], 0 offset:116
	v_mov_b32_e32 v4, s81
	v_add_nc_u32_e32 v10, s81, v12
	s_addk_i32 s81, 0x60
	s_clause 0x3
	buffer_load_dword v23, v4, s[0:3], 0 offen
	buffer_load_dword v24, v4, s[0:3], 0 offen offset:4
	buffer_load_dword v25, v4, s[0:3], 0 offen offset:8
	buffer_load_dword v26, v4, s[0:3], 0 offen offset:12
	ds_read2_b64 v[0:3], v10 offset1:1
	s_clause 0x3
	buffer_load_dword v27, v4, s[0:3], 0 offen offset:16
	buffer_load_dword v28, v4, s[0:3], 0 offen offset:20
	buffer_load_dword v29, v4, s[0:3], 0 offen offset:24
	buffer_load_dword v30, v4, s[0:3], 0 offen offset:28
	ds_read2_b64 v[15:18], v10 offset0:2 offset1:3
	s_cmpk_lg_i32 s81, 0x3e0
	s_waitcnt vmcnt(10) lgkmcnt(1)
	v_mul_f64 v[31:32], v[2:3], v[19:20]
	v_mul_f64 v[19:20], v[0:1], v[19:20]
	s_waitcnt vmcnt(8)
	v_fma_f64 v[0:1], v[0:1], v[21:22], -v[31:32]
	v_fma_f64 v[2:3], v[2:3], v[21:22], v[19:20]
	s_waitcnt vmcnt(6)
	v_add_f64 v[0:1], v[23:24], -v[0:1]
	s_waitcnt vmcnt(4)
	v_add_f64 v[2:3], v[25:26], -v[2:3]
	buffer_store_dword v1, v4, s[0:3], 0 offen offset:4
	buffer_store_dword v0, v4, s[0:3], 0 offen
	buffer_store_dword v3, v4, s[0:3], 0 offen offset:12
	buffer_store_dword v2, v4, s[0:3], 0 offen offset:8
	s_clause 0x3
	buffer_load_dword v1, off, s[0:3], 0 offset:124
	buffer_load_dword v0, off, s[0:3], 0 offset:120
	;; [unrolled: 1-line block ×4, first 2 shown]
	s_waitcnt vmcnt(2) lgkmcnt(0)
	v_mul_f64 v[19:20], v[17:18], v[0:1]
	v_mul_f64 v[0:1], v[15:16], v[0:1]
	s_waitcnt vmcnt(0)
	v_fma_f64 v[15:16], v[15:16], v[2:3], -v[19:20]
	v_fma_f64 v[0:1], v[17:18], v[2:3], v[0:1]
	s_clause 0x3
	buffer_load_dword v19, v4, s[0:3], 0 offen offset:32
	buffer_load_dword v20, v4, s[0:3], 0 offen offset:36
	;; [unrolled: 1-line block ×4, first 2 shown]
	v_add_f64 v[2:3], v[27:28], -v[15:16]
	v_add_f64 v[0:1], v[29:30], -v[0:1]
	buffer_store_dword v3, v4, s[0:3], 0 offen offset:20
	buffer_store_dword v2, v4, s[0:3], 0 offen offset:16
	;; [unrolled: 1-line block ×4, first 2 shown]
	s_clause 0x3
	buffer_load_dword v23, off, s[0:3], 0 offset:120
	buffer_load_dword v24, off, s[0:3], 0 offset:124
	;; [unrolled: 1-line block ×4, first 2 shown]
	ds_read2_b64 v[0:3], v10 offset0:4 offset1:5
	ds_read2_b64 v[15:18], v10 offset0:6 offset1:7
	s_waitcnt vmcnt(2) lgkmcnt(1)
	v_mul_f64 v[27:28], v[2:3], v[23:24]
	v_mul_f64 v[23:24], v[0:1], v[23:24]
	s_waitcnt vmcnt(0)
	v_fma_f64 v[0:1], v[0:1], v[25:26], -v[27:28]
	v_fma_f64 v[2:3], v[2:3], v[25:26], v[23:24]
	v_add_f64 v[0:1], v[19:20], -v[0:1]
	v_add_f64 v[2:3], v[21:22], -v[2:3]
	buffer_store_dword v1, v4, s[0:3], 0 offen offset:36
	buffer_store_dword v0, v4, s[0:3], 0 offen offset:32
	;; [unrolled: 1-line block ×4, first 2 shown]
	s_clause 0x7
	buffer_load_dword v0, off, s[0:3], 0 offset:120
	buffer_load_dword v1, off, s[0:3], 0 offset:124
	;; [unrolled: 1-line block ×4, first 2 shown]
	buffer_load_dword v19, v4, s[0:3], 0 offen offset:48
	buffer_load_dword v20, v4, s[0:3], 0 offen offset:52
	;; [unrolled: 1-line block ×4, first 2 shown]
	s_waitcnt vmcnt(6) lgkmcnt(0)
	v_mul_f64 v[23:24], v[17:18], v[0:1]
	v_mul_f64 v[0:1], v[15:16], v[0:1]
	s_waitcnt vmcnt(4)
	v_fma_f64 v[15:16], v[15:16], v[2:3], -v[23:24]
	v_fma_f64 v[0:1], v[17:18], v[2:3], v[0:1]
	s_waitcnt vmcnt(2)
	v_add_f64 v[2:3], v[19:20], -v[15:16]
	s_waitcnt vmcnt(0)
	v_add_f64 v[0:1], v[21:22], -v[0:1]
	buffer_store_dword v3, v4, s[0:3], 0 offen offset:52
	buffer_store_dword v2, v4, s[0:3], 0 offen offset:48
	;; [unrolled: 1-line block ×4, first 2 shown]
	s_clause 0x7
	buffer_load_dword v19, off, s[0:3], 0 offset:120
	buffer_load_dword v20, off, s[0:3], 0 offset:124
	;; [unrolled: 1-line block ×4, first 2 shown]
	buffer_load_dword v23, v4, s[0:3], 0 offen offset:64
	buffer_load_dword v24, v4, s[0:3], 0 offen offset:68
	;; [unrolled: 1-line block ×4, first 2 shown]
	ds_read2_b64 v[0:3], v10 offset0:8 offset1:9
	ds_read2_b64 v[15:18], v10 offset0:10 offset1:11
	s_waitcnt vmcnt(6) lgkmcnt(1)
	v_mul_f64 v[27:28], v[2:3], v[19:20]
	v_mul_f64 v[19:20], v[0:1], v[19:20]
	s_waitcnt vmcnt(4)
	v_fma_f64 v[0:1], v[0:1], v[21:22], -v[27:28]
	v_fma_f64 v[2:3], v[2:3], v[21:22], v[19:20]
	s_waitcnt vmcnt(2)
	v_add_f64 v[0:1], v[23:24], -v[0:1]
	s_waitcnt vmcnt(0)
	v_add_f64 v[2:3], v[25:26], -v[2:3]
	buffer_store_dword v1, v4, s[0:3], 0 offen offset:68
	buffer_store_dword v0, v4, s[0:3], 0 offen offset:64
	;; [unrolled: 1-line block ×4, first 2 shown]
	s_clause 0x7
	buffer_load_dword v0, off, s[0:3], 0 offset:120
	buffer_load_dword v1, off, s[0:3], 0 offset:124
	;; [unrolled: 1-line block ×4, first 2 shown]
	buffer_load_dword v19, v4, s[0:3], 0 offen offset:80
	buffer_load_dword v20, v4, s[0:3], 0 offen offset:84
	;; [unrolled: 1-line block ×4, first 2 shown]
	s_waitcnt vmcnt(6) lgkmcnt(0)
	v_mul_f64 v[23:24], v[17:18], v[0:1]
	v_mul_f64 v[0:1], v[15:16], v[0:1]
	s_waitcnt vmcnt(4)
	v_fma_f64 v[15:16], v[15:16], v[2:3], -v[23:24]
	v_fma_f64 v[0:1], v[17:18], v[2:3], v[0:1]
	s_waitcnt vmcnt(2)
	v_add_f64 v[2:3], v[19:20], -v[15:16]
	s_waitcnt vmcnt(0)
	v_add_f64 v[0:1], v[21:22], -v[0:1]
	buffer_store_dword v3, v4, s[0:3], 0 offen offset:84
	buffer_store_dword v2, v4, s[0:3], 0 offen offset:80
	;; [unrolled: 1-line block ×4, first 2 shown]
	s_cbranch_scc1 .LBB122_198
.LBB122_199:
	s_or_b32 exec_lo, exec_lo, s4
	v_mov_b32_e32 v3, s74
	s_waitcnt_vscnt null, 0x0
	s_barrier
	buffer_gl0_inv
	v_lshl_add_u32 v4, v11, 4, v12
	s_clause 0x3
	buffer_load_dword v0, v3, s[0:3], 0 offen
	buffer_load_dword v1, v3, s[0:3], 0 offen offset:4
	buffer_load_dword v2, v3, s[0:3], 0 offen offset:8
	;; [unrolled: 1-line block ×3, first 2 shown]
	s_cmp_lt_i32 s57, 10
	s_waitcnt vmcnt(0)
	ds_write2_b64 v4, v[0:1], v[2:3] offset1:1
	s_waitcnt lgkmcnt(0)
	s_barrier
	buffer_gl0_inv
	ds_read2_b64 v[0:3], v12 offset0:16 offset1:17
	v_mov_b32_e32 v4, 8
	s_cbranch_scc1 .LBB122_202
; %bb.200:
	v_add3_u32 v10, v14, 0, 0x90
	v_mov_b32_e32 v4, 8
	s_mov_b32 s16, 9
	s_inst_prefetch 0x1
	.p2align	6
.LBB122_201:                            ; =>This Inner Loop Header: Depth=1
	s_waitcnt lgkmcnt(0)
	v_cmp_gt_f64_e32 vcc_lo, 0, v[2:3]
	v_cmp_gt_f64_e64 s4, 0, v[0:1]
	ds_read2_b64 v[15:18], v10 offset1:1
	v_xor_b32_e32 v20, 0x80000000, v1
	v_xor_b32_e32 v22, 0x80000000, v3
	v_mov_b32_e32 v19, v0
	v_mov_b32_e32 v21, v2
	v_add_nc_u32_e32 v10, 16, v10
	s_waitcnt lgkmcnt(0)
	v_xor_b32_e32 v24, 0x80000000, v18
	v_cndmask_b32_e64 v20, v1, v20, s4
	v_cndmask_b32_e32 v22, v3, v22, vcc_lo
	v_cmp_gt_f64_e32 vcc_lo, 0, v[17:18]
	v_cmp_gt_f64_e64 s4, 0, v[15:16]
	v_mov_b32_e32 v23, v17
	v_add_f64 v[19:20], v[19:20], v[21:22]
	v_xor_b32_e32 v22, 0x80000000, v16
	v_mov_b32_e32 v21, v15
	v_cndmask_b32_e32 v24, v18, v24, vcc_lo
	v_cndmask_b32_e64 v22, v16, v22, s4
	v_add_f64 v[21:22], v[21:22], v[23:24]
	v_cmp_lt_f64_e32 vcc_lo, v[19:20], v[21:22]
	v_cndmask_b32_e32 v1, v1, v16, vcc_lo
	v_cndmask_b32_e32 v0, v0, v15, vcc_lo
	;; [unrolled: 1-line block ×4, first 2 shown]
	v_cndmask_b32_e64 v4, v4, s16, vcc_lo
	s_add_i32 s16, s16, 1
	s_cmp_lg_u32 s57, s16
	s_cbranch_scc1 .LBB122_201
.LBB122_202:
	s_inst_prefetch 0x2
	s_waitcnt lgkmcnt(0)
	v_cmp_eq_f64_e32 vcc_lo, 0, v[0:1]
	v_cmp_eq_f64_e64 s4, 0, v[2:3]
	s_and_b32 s4, vcc_lo, s4
	s_and_saveexec_b32 s16, s4
	s_xor_b32 s4, exec_lo, s16
; %bb.203:
	v_cmp_ne_u32_e32 vcc_lo, 0, v13
	v_cndmask_b32_e32 v13, 9, v13, vcc_lo
; %bb.204:
	s_andn2_saveexec_b32 s4, s4
	s_cbranch_execz .LBB122_210
; %bb.205:
	v_cmp_ngt_f64_e64 s16, |v[0:1]|, |v[2:3]|
	s_and_saveexec_b32 s17, s16
	s_xor_b32 s16, exec_lo, s17
	s_cbranch_execz .LBB122_207
; %bb.206:
	v_div_scale_f64 v[15:16], null, v[2:3], v[2:3], v[0:1]
	v_div_scale_f64 v[21:22], vcc_lo, v[0:1], v[2:3], v[0:1]
	v_rcp_f64_e32 v[17:18], v[15:16]
	v_fma_f64 v[19:20], -v[15:16], v[17:18], 1.0
	v_fma_f64 v[17:18], v[17:18], v[19:20], v[17:18]
	v_fma_f64 v[19:20], -v[15:16], v[17:18], 1.0
	v_fma_f64 v[17:18], v[17:18], v[19:20], v[17:18]
	v_mul_f64 v[19:20], v[21:22], v[17:18]
	v_fma_f64 v[15:16], -v[15:16], v[19:20], v[21:22]
	v_div_fmas_f64 v[15:16], v[15:16], v[17:18], v[19:20]
	v_div_fixup_f64 v[15:16], v[15:16], v[2:3], v[0:1]
	v_fma_f64 v[0:1], v[0:1], v[15:16], v[2:3]
	v_div_scale_f64 v[2:3], null, v[0:1], v[0:1], 1.0
	v_rcp_f64_e32 v[17:18], v[2:3]
	v_fma_f64 v[19:20], -v[2:3], v[17:18], 1.0
	v_fma_f64 v[17:18], v[17:18], v[19:20], v[17:18]
	v_fma_f64 v[19:20], -v[2:3], v[17:18], 1.0
	v_fma_f64 v[17:18], v[17:18], v[19:20], v[17:18]
	v_div_scale_f64 v[19:20], vcc_lo, 1.0, v[0:1], 1.0
	v_mul_f64 v[21:22], v[19:20], v[17:18]
	v_fma_f64 v[2:3], -v[2:3], v[21:22], v[19:20]
	v_div_fmas_f64 v[2:3], v[2:3], v[17:18], v[21:22]
	v_div_fixup_f64 v[2:3], v[2:3], v[0:1], 1.0
	v_mul_f64 v[0:1], v[15:16], v[2:3]
	v_xor_b32_e32 v3, 0x80000000, v3
.LBB122_207:
	s_andn2_saveexec_b32 s16, s16
	s_cbranch_execz .LBB122_209
; %bb.208:
	v_div_scale_f64 v[15:16], null, v[0:1], v[0:1], v[2:3]
	v_div_scale_f64 v[21:22], vcc_lo, v[2:3], v[0:1], v[2:3]
	v_rcp_f64_e32 v[17:18], v[15:16]
	v_fma_f64 v[19:20], -v[15:16], v[17:18], 1.0
	v_fma_f64 v[17:18], v[17:18], v[19:20], v[17:18]
	v_fma_f64 v[19:20], -v[15:16], v[17:18], 1.0
	v_fma_f64 v[17:18], v[17:18], v[19:20], v[17:18]
	v_mul_f64 v[19:20], v[21:22], v[17:18]
	v_fma_f64 v[15:16], -v[15:16], v[19:20], v[21:22]
	v_div_fmas_f64 v[15:16], v[15:16], v[17:18], v[19:20]
	v_div_fixup_f64 v[15:16], v[15:16], v[0:1], v[2:3]
	v_fma_f64 v[0:1], v[2:3], v[15:16], v[0:1]
	v_div_scale_f64 v[2:3], null, v[0:1], v[0:1], 1.0
	v_rcp_f64_e32 v[17:18], v[2:3]
	v_fma_f64 v[19:20], -v[2:3], v[17:18], 1.0
	v_fma_f64 v[17:18], v[17:18], v[19:20], v[17:18]
	v_fma_f64 v[19:20], -v[2:3], v[17:18], 1.0
	v_fma_f64 v[17:18], v[17:18], v[19:20], v[17:18]
	v_div_scale_f64 v[19:20], vcc_lo, 1.0, v[0:1], 1.0
	v_mul_f64 v[21:22], v[19:20], v[17:18]
	v_fma_f64 v[2:3], -v[2:3], v[21:22], v[19:20]
	v_div_fmas_f64 v[2:3], v[2:3], v[17:18], v[21:22]
	v_div_fixup_f64 v[0:1], v[2:3], v[0:1], 1.0
	v_mul_f64 v[2:3], v[15:16], -v[0:1]
.LBB122_209:
	s_or_b32 exec_lo, exec_lo, s16
.LBB122_210:
	s_or_b32 exec_lo, exec_lo, s4
	s_mov_b32 s4, exec_lo
	v_cmpx_ne_u32_e64 v11, v4
	s_xor_b32 s4, exec_lo, s4
	s_cbranch_execz .LBB122_216
; %bb.211:
	s_mov_b32 s16, exec_lo
	v_cmpx_eq_u32_e32 8, v11
	s_cbranch_execz .LBB122_215
; %bb.212:
	v_cmp_ne_u32_e32 vcc_lo, 8, v4
	s_xor_b32 s17, s20, -1
	s_and_b32 s56, s17, vcc_lo
	s_and_saveexec_b32 s17, s56
	s_cbranch_execz .LBB122_214
; %bb.213:
	v_ashrrev_i32_e32 v5, 31, v4
	v_lshlrev_b64 v[10:11], 2, v[4:5]
	v_add_co_u32 v10, vcc_lo, v8, v10
	v_add_co_ci_u32_e64 v11, null, v9, v11, vcc_lo
	s_clause 0x1
	global_load_dword v5, v[10:11], off
	global_load_dword v15, v[8:9], off offset:32
	s_waitcnt vmcnt(1)
	global_store_dword v[8:9], v5, off offset:32
	s_waitcnt vmcnt(0)
	global_store_dword v[10:11], v15, off
.LBB122_214:
	s_or_b32 exec_lo, exec_lo, s17
	v_mov_b32_e32 v11, v4
	v_mov_b32_e32 v5, v4
.LBB122_215:
	s_or_b32 exec_lo, exec_lo, s16
.LBB122_216:
	s_andn2_saveexec_b32 s4, s4
	s_cbranch_execz .LBB122_222
; %bb.217:
	s_movk_i32 s16, 0x90
	s_branch .LBB122_219
.LBB122_218:                            ;   in Loop: Header=BB122_219 Depth=1
	s_andn2_b32 vcc_lo, exec_lo, s56
	s_cbranch_vccz .LBB122_221
.LBB122_219:                            ; =>This Inner Loop Header: Depth=1
	v_mov_b32_e32 v4, s16
	s_mov_b32 s17, s16
	s_mov_b32 s56, -1
	s_cmpk_eq_i32 s16, 0x390
	s_clause 0x13
	buffer_load_dword v10, v4, s[0:3], 0 offen
	buffer_load_dword v11, v4, s[0:3], 0 offen offset:4
	buffer_load_dword v15, v4, s[0:3], 0 offen offset:8
	;; [unrolled: 1-line block ×19, first 2 shown]
	v_add_nc_u32_e32 v4, s16, v12
	s_waitcnt vmcnt(16)
	ds_write2_b64 v4, v[10:11], v[15:16] offset1:1
	s_waitcnt vmcnt(12)
	ds_write2_b64 v4, v[17:18], v[19:20] offset0:2 offset1:3
	s_waitcnt vmcnt(8)
	ds_write2_b64 v4, v[21:22], v[23:24] offset0:4 offset1:5
	;; [unrolled: 2-line block ×4, first 2 shown]
	s_cbranch_scc1 .LBB122_218
; %bb.220:                              ;   in Loop: Header=BB122_219 Depth=1
	v_mov_b32_e32 v24, s17
	s_addk_i32 s16, 0x80
	s_mov_b32 s56, 0
	s_clause 0xb
	buffer_load_dword v10, v24, s[0:3], 0 offen offset:80
	buffer_load_dword v11, v24, s[0:3], 0 offen offset:84
	;; [unrolled: 1-line block ×12, first 2 shown]
	s_waitcnt vmcnt(8)
	ds_write2_b64 v4, v[10:11], v[15:16] offset0:10 offset1:11
	s_waitcnt vmcnt(4)
	ds_write2_b64 v4, v[17:18], v[19:20] offset0:12 offset1:13
	;; [unrolled: 2-line block ×3, first 2 shown]
	s_branch .LBB122_218
.LBB122_221:
	v_mov_b32_e32 v11, 8
.LBB122_222:
	s_or_b32 exec_lo, exec_lo, s4
	s_mov_b32 s4, exec_lo
	s_waitcnt lgkmcnt(0)
	s_waitcnt_vscnt null, 0x0
	s_barrier
	buffer_gl0_inv
	v_cmpx_lt_i32_e32 8, v11
	s_cbranch_execz .LBB122_227
; %bb.223:
	s_clause 0x3
	buffer_load_dword v15, off, s[0:3], 0 offset:136
	buffer_load_dword v16, off, s[0:3], 0 offset:140
	;; [unrolled: 1-line block ×4, first 2 shown]
	s_movk_i32 s81, 0x90
	s_waitcnt vmcnt(2)
	v_mul_f64 v[19:20], v[2:3], v[15:16]
	v_mul_f64 v[15:16], v[0:1], v[15:16]
	s_waitcnt vmcnt(0)
	v_fma_f64 v[0:1], v[0:1], v[17:18], -v[19:20]
	v_fma_f64 v[2:3], v[2:3], v[17:18], v[15:16]
	buffer_store_dword v0, off, s[0:3], 0 offset:128
	buffer_store_dword v1, off, s[0:3], 0 offset:132
	;; [unrolled: 1-line block ×4, first 2 shown]
	s_branch .LBB122_225
.LBB122_224:                            ;   in Loop: Header=BB122_225 Depth=1
	s_andn2_b32 vcc_lo, exec_lo, s17
	s_cbranch_vccz .LBB122_227
.LBB122_225:                            ; =>This Inner Loop Header: Depth=1
	v_mov_b32_e32 v10, s81
	v_add_nc_u32_e32 v4, s81, v12
	s_mov_b32 s16, s81
	s_mov_b32 s17, -1
	s_cmpk_eq_i32 s81, 0x3d0
	s_clause 0x3
	buffer_load_dword v19, v10, s[0:3], 0 offen
	buffer_load_dword v20, v10, s[0:3], 0 offen offset:4
	buffer_load_dword v21, v10, s[0:3], 0 offen offset:8
	buffer_load_dword v22, v10, s[0:3], 0 offen offset:12
	ds_read2_b64 v[15:18], v4 offset1:1
	s_waitcnt vmcnt(4) lgkmcnt(0)
	v_mul_f64 v[23:24], v[17:18], v[2:3]
	v_mul_f64 v[2:3], v[15:16], v[2:3]
	v_fma_f64 v[15:16], v[15:16], v[0:1], -v[23:24]
	v_fma_f64 v[0:1], v[17:18], v[0:1], v[2:3]
	s_waitcnt vmcnt(2)
	v_add_f64 v[2:3], v[19:20], -v[15:16]
	s_waitcnt vmcnt(0)
	v_add_f64 v[0:1], v[21:22], -v[0:1]
	buffer_store_dword v2, v10, s[0:3], 0 offen
	buffer_store_dword v3, v10, s[0:3], 0 offen offset:4
	buffer_store_dword v0, v10, s[0:3], 0 offen offset:8
	;; [unrolled: 1-line block ×3, first 2 shown]
                                        ; implicit-def: $vgpr0_vgpr1
                                        ; implicit-def: $vgpr2_vgpr3
	s_cbranch_scc1 .LBB122_224
; %bb.226:                              ;   in Loop: Header=BB122_225 Depth=1
	s_clause 0x3
	buffer_load_dword v19, off, s[0:3], 0 offset:136
	buffer_load_dword v20, off, s[0:3], 0 offset:140
	;; [unrolled: 1-line block ×4, first 2 shown]
	v_mov_b32_e32 v10, s16
	s_add_i32 s81, s81, 64
	s_mov_b32 s17, 0
	s_clause 0x3
	buffer_load_dword v23, v10, s[0:3], 0 offen offset:16
	buffer_load_dword v24, v10, s[0:3], 0 offen offset:20
	buffer_load_dword v25, v10, s[0:3], 0 offen offset:24
	buffer_load_dword v26, v10, s[0:3], 0 offen offset:28
	ds_read2_b64 v[0:3], v4 offset0:2 offset1:3
	ds_read2_b64 v[15:18], v4 offset0:4 offset1:5
	s_waitcnt vmcnt(6) lgkmcnt(1)
	v_mul_f64 v[27:28], v[2:3], v[19:20]
	v_mul_f64 v[19:20], v[0:1], v[19:20]
	s_waitcnt vmcnt(4)
	v_fma_f64 v[0:1], v[0:1], v[21:22], -v[27:28]
	v_fma_f64 v[2:3], v[2:3], v[21:22], v[19:20]
	s_waitcnt vmcnt(2)
	v_add_f64 v[0:1], v[23:24], -v[0:1]
	s_waitcnt vmcnt(0)
	v_add_f64 v[2:3], v[25:26], -v[2:3]
	buffer_store_dword v1, v10, s[0:3], 0 offen offset:20
	buffer_store_dword v0, v10, s[0:3], 0 offen offset:16
	;; [unrolled: 1-line block ×4, first 2 shown]
	s_clause 0x7
	buffer_load_dword v1, v10, s[0:3], 0 offen offset:36
	buffer_load_dword v2, v10, s[0:3], 0 offen offset:40
	;; [unrolled: 1-line block ×3, first 2 shown]
	buffer_load_dword v20, off, s[0:3], 0 offset:140
	buffer_load_dword v19, off, s[0:3], 0 offset:136
	;; [unrolled: 1-line block ×4, first 2 shown]
	buffer_load_dword v0, v10, s[0:3], 0 offen offset:32
	s_waitcnt vmcnt(3) lgkmcnt(0)
	v_mul_f64 v[23:24], v[17:18], v[19:20]
	v_mul_f64 v[19:20], v[15:16], v[19:20]
	s_waitcnt vmcnt(1)
	v_fma_f64 v[15:16], v[15:16], v[21:22], -v[23:24]
	v_fma_f64 v[17:18], v[17:18], v[21:22], v[19:20]
	s_waitcnt vmcnt(0)
	v_add_f64 v[0:1], v[0:1], -v[15:16]
	v_add_f64 v[2:3], v[2:3], -v[17:18]
	buffer_store_dword v1, v10, s[0:3], 0 offen offset:36
	buffer_store_dword v0, v10, s[0:3], 0 offen offset:32
	;; [unrolled: 1-line block ×4, first 2 shown]
	s_clause 0x7
	buffer_load_dword v16, v10, s[0:3], 0 offen offset:52
	buffer_load_dword v17, v10, s[0:3], 0 offen offset:56
	;; [unrolled: 1-line block ×3, first 2 shown]
	buffer_load_dword v19, off, s[0:3], 0 offset:136
	buffer_load_dword v20, off, s[0:3], 0 offset:140
	;; [unrolled: 1-line block ×4, first 2 shown]
	buffer_load_dword v15, v10, s[0:3], 0 offen offset:48
	ds_read2_b64 v[0:3], v4 offset0:6 offset1:7
	s_waitcnt vmcnt(3) lgkmcnt(0)
	v_mul_f64 v[23:24], v[2:3], v[19:20]
	v_mul_f64 v[19:20], v[0:1], v[19:20]
	s_waitcnt vmcnt(1)
	v_fma_f64 v[0:1], v[0:1], v[21:22], -v[23:24]
	v_fma_f64 v[2:3], v[2:3], v[21:22], v[19:20]
	s_waitcnt vmcnt(0)
	v_add_f64 v[0:1], v[15:16], -v[0:1]
	v_add_f64 v[2:3], v[17:18], -v[2:3]
	buffer_store_dword v1, v10, s[0:3], 0 offen offset:52
	buffer_store_dword v0, v10, s[0:3], 0 offen offset:48
	;; [unrolled: 1-line block ×4, first 2 shown]
	s_clause 0x3
	buffer_load_dword v0, off, s[0:3], 0 offset:128
	buffer_load_dword v1, off, s[0:3], 0 offset:132
	;; [unrolled: 1-line block ×4, first 2 shown]
	s_branch .LBB122_224
.LBB122_227:
	s_or_b32 exec_lo, exec_lo, s4
	s_waitcnt vmcnt(0)
	v_mov_b32_e32 v3, s73
	s_waitcnt_vscnt null, 0x0
	s_barrier
	buffer_gl0_inv
	v_lshl_add_u32 v4, v11, 4, v12
	s_clause 0x3
	buffer_load_dword v0, v3, s[0:3], 0 offen
	buffer_load_dword v1, v3, s[0:3], 0 offen offset:4
	buffer_load_dword v2, v3, s[0:3], 0 offen offset:8
	;; [unrolled: 1-line block ×3, first 2 shown]
	s_cmp_lt_i32 s57, 11
	s_waitcnt vmcnt(0)
	ds_write2_b64 v4, v[0:1], v[2:3] offset1:1
	s_waitcnt lgkmcnt(0)
	s_barrier
	buffer_gl0_inv
	ds_read2_b64 v[0:3], v12 offset0:18 offset1:19
	v_mov_b32_e32 v4, 9
	s_cbranch_scc1 .LBB122_230
; %bb.228:
	v_add3_u32 v10, v14, 0, 0xa0
	v_mov_b32_e32 v4, 9
	s_mov_b32 s16, 10
	s_inst_prefetch 0x1
	.p2align	6
.LBB122_229:                            ; =>This Inner Loop Header: Depth=1
	s_waitcnt lgkmcnt(0)
	v_cmp_gt_f64_e32 vcc_lo, 0, v[2:3]
	v_cmp_gt_f64_e64 s4, 0, v[0:1]
	ds_read2_b64 v[15:18], v10 offset1:1
	v_xor_b32_e32 v20, 0x80000000, v1
	v_xor_b32_e32 v22, 0x80000000, v3
	v_mov_b32_e32 v19, v0
	v_mov_b32_e32 v21, v2
	v_add_nc_u32_e32 v10, 16, v10
	s_waitcnt lgkmcnt(0)
	v_xor_b32_e32 v24, 0x80000000, v18
	v_cndmask_b32_e64 v20, v1, v20, s4
	v_cndmask_b32_e32 v22, v3, v22, vcc_lo
	v_cmp_gt_f64_e32 vcc_lo, 0, v[17:18]
	v_cmp_gt_f64_e64 s4, 0, v[15:16]
	v_mov_b32_e32 v23, v17
	v_add_f64 v[19:20], v[19:20], v[21:22]
	v_xor_b32_e32 v22, 0x80000000, v16
	v_mov_b32_e32 v21, v15
	v_cndmask_b32_e32 v24, v18, v24, vcc_lo
	v_cndmask_b32_e64 v22, v16, v22, s4
	v_add_f64 v[21:22], v[21:22], v[23:24]
	v_cmp_lt_f64_e32 vcc_lo, v[19:20], v[21:22]
	v_cndmask_b32_e32 v1, v1, v16, vcc_lo
	v_cndmask_b32_e32 v0, v0, v15, vcc_lo
	;; [unrolled: 1-line block ×4, first 2 shown]
	v_cndmask_b32_e64 v4, v4, s16, vcc_lo
	s_add_i32 s16, s16, 1
	s_cmp_lg_u32 s57, s16
	s_cbranch_scc1 .LBB122_229
.LBB122_230:
	s_inst_prefetch 0x2
	s_waitcnt lgkmcnt(0)
	v_cmp_eq_f64_e32 vcc_lo, 0, v[0:1]
	v_cmp_eq_f64_e64 s4, 0, v[2:3]
	s_and_b32 s4, vcc_lo, s4
	s_and_saveexec_b32 s16, s4
	s_xor_b32 s4, exec_lo, s16
; %bb.231:
	v_cmp_ne_u32_e32 vcc_lo, 0, v13
	v_cndmask_b32_e32 v13, 10, v13, vcc_lo
; %bb.232:
	s_andn2_saveexec_b32 s4, s4
	s_cbranch_execz .LBB122_238
; %bb.233:
	v_cmp_ngt_f64_e64 s16, |v[0:1]|, |v[2:3]|
	s_and_saveexec_b32 s17, s16
	s_xor_b32 s16, exec_lo, s17
	s_cbranch_execz .LBB122_235
; %bb.234:
	v_div_scale_f64 v[15:16], null, v[2:3], v[2:3], v[0:1]
	v_div_scale_f64 v[21:22], vcc_lo, v[0:1], v[2:3], v[0:1]
	v_rcp_f64_e32 v[17:18], v[15:16]
	v_fma_f64 v[19:20], -v[15:16], v[17:18], 1.0
	v_fma_f64 v[17:18], v[17:18], v[19:20], v[17:18]
	v_fma_f64 v[19:20], -v[15:16], v[17:18], 1.0
	v_fma_f64 v[17:18], v[17:18], v[19:20], v[17:18]
	v_mul_f64 v[19:20], v[21:22], v[17:18]
	v_fma_f64 v[15:16], -v[15:16], v[19:20], v[21:22]
	v_div_fmas_f64 v[15:16], v[15:16], v[17:18], v[19:20]
	v_div_fixup_f64 v[15:16], v[15:16], v[2:3], v[0:1]
	v_fma_f64 v[0:1], v[0:1], v[15:16], v[2:3]
	v_div_scale_f64 v[2:3], null, v[0:1], v[0:1], 1.0
	v_rcp_f64_e32 v[17:18], v[2:3]
	v_fma_f64 v[19:20], -v[2:3], v[17:18], 1.0
	v_fma_f64 v[17:18], v[17:18], v[19:20], v[17:18]
	v_fma_f64 v[19:20], -v[2:3], v[17:18], 1.0
	v_fma_f64 v[17:18], v[17:18], v[19:20], v[17:18]
	v_div_scale_f64 v[19:20], vcc_lo, 1.0, v[0:1], 1.0
	v_mul_f64 v[21:22], v[19:20], v[17:18]
	v_fma_f64 v[2:3], -v[2:3], v[21:22], v[19:20]
	v_div_fmas_f64 v[2:3], v[2:3], v[17:18], v[21:22]
	v_div_fixup_f64 v[2:3], v[2:3], v[0:1], 1.0
	v_mul_f64 v[0:1], v[15:16], v[2:3]
	v_xor_b32_e32 v3, 0x80000000, v3
.LBB122_235:
	s_andn2_saveexec_b32 s16, s16
	s_cbranch_execz .LBB122_237
; %bb.236:
	v_div_scale_f64 v[15:16], null, v[0:1], v[0:1], v[2:3]
	v_div_scale_f64 v[21:22], vcc_lo, v[2:3], v[0:1], v[2:3]
	v_rcp_f64_e32 v[17:18], v[15:16]
	v_fma_f64 v[19:20], -v[15:16], v[17:18], 1.0
	v_fma_f64 v[17:18], v[17:18], v[19:20], v[17:18]
	v_fma_f64 v[19:20], -v[15:16], v[17:18], 1.0
	v_fma_f64 v[17:18], v[17:18], v[19:20], v[17:18]
	v_mul_f64 v[19:20], v[21:22], v[17:18]
	v_fma_f64 v[15:16], -v[15:16], v[19:20], v[21:22]
	v_div_fmas_f64 v[15:16], v[15:16], v[17:18], v[19:20]
	v_div_fixup_f64 v[15:16], v[15:16], v[0:1], v[2:3]
	v_fma_f64 v[0:1], v[2:3], v[15:16], v[0:1]
	v_div_scale_f64 v[2:3], null, v[0:1], v[0:1], 1.0
	v_rcp_f64_e32 v[17:18], v[2:3]
	v_fma_f64 v[19:20], -v[2:3], v[17:18], 1.0
	v_fma_f64 v[17:18], v[17:18], v[19:20], v[17:18]
	v_fma_f64 v[19:20], -v[2:3], v[17:18], 1.0
	v_fma_f64 v[17:18], v[17:18], v[19:20], v[17:18]
	v_div_scale_f64 v[19:20], vcc_lo, 1.0, v[0:1], 1.0
	v_mul_f64 v[21:22], v[19:20], v[17:18]
	v_fma_f64 v[2:3], -v[2:3], v[21:22], v[19:20]
	v_div_fmas_f64 v[2:3], v[2:3], v[17:18], v[21:22]
	v_div_fixup_f64 v[0:1], v[2:3], v[0:1], 1.0
	v_mul_f64 v[2:3], v[15:16], -v[0:1]
.LBB122_237:
	s_or_b32 exec_lo, exec_lo, s16
.LBB122_238:
	s_or_b32 exec_lo, exec_lo, s4
	s_mov_b32 s4, exec_lo
	v_cmpx_ne_u32_e64 v11, v4
	s_xor_b32 s4, exec_lo, s4
	s_cbranch_execz .LBB122_244
; %bb.239:
	s_mov_b32 s16, exec_lo
	v_cmpx_eq_u32_e32 9, v11
	s_cbranch_execz .LBB122_243
; %bb.240:
	v_cmp_ne_u32_e32 vcc_lo, 9, v4
	s_xor_b32 s17, s20, -1
	s_and_b32 s56, s17, vcc_lo
	s_and_saveexec_b32 s17, s56
	s_cbranch_execz .LBB122_242
; %bb.241:
	v_ashrrev_i32_e32 v5, 31, v4
	v_lshlrev_b64 v[10:11], 2, v[4:5]
	v_add_co_u32 v10, vcc_lo, v8, v10
	v_add_co_ci_u32_e64 v11, null, v9, v11, vcc_lo
	s_clause 0x1
	global_load_dword v5, v[10:11], off
	global_load_dword v15, v[8:9], off offset:36
	s_waitcnt vmcnt(1)
	global_store_dword v[8:9], v5, off offset:36
	s_waitcnt vmcnt(0)
	global_store_dword v[10:11], v15, off
.LBB122_242:
	s_or_b32 exec_lo, exec_lo, s17
	v_mov_b32_e32 v11, v4
	v_mov_b32_e32 v5, v4
.LBB122_243:
	s_or_b32 exec_lo, exec_lo, s16
.LBB122_244:
	s_andn2_saveexec_b32 s4, s4
	s_cbranch_execz .LBB122_248
; %bb.245:
	s_movk_i32 s16, 0xa0
.LBB122_246:                            ; =>This Inner Loop Header: Depth=1
	v_mov_b32_e32 v4, s16
	s_clause 0x33
	buffer_load_dword v10, v4, s[0:3], 0 offen
	buffer_load_dword v11, v4, s[0:3], 0 offen offset:4
	buffer_load_dword v15, v4, s[0:3], 0 offen offset:8
	buffer_load_dword v16, v4, s[0:3], 0 offen offset:12
	buffer_load_dword v17, v4, s[0:3], 0 offen offset:16
	buffer_load_dword v18, v4, s[0:3], 0 offen offset:20
	buffer_load_dword v19, v4, s[0:3], 0 offen offset:24
	buffer_load_dword v20, v4, s[0:3], 0 offen offset:28
	buffer_load_dword v21, v4, s[0:3], 0 offen offset:32
	buffer_load_dword v22, v4, s[0:3], 0 offen offset:36
	buffer_load_dword v23, v4, s[0:3], 0 offen offset:40
	buffer_load_dword v24, v4, s[0:3], 0 offen offset:44
	buffer_load_dword v25, v4, s[0:3], 0 offen offset:48
	buffer_load_dword v26, v4, s[0:3], 0 offen offset:52
	buffer_load_dword v27, v4, s[0:3], 0 offen offset:56
	buffer_load_dword v28, v4, s[0:3], 0 offen offset:60
	buffer_load_dword v30, v4, s[0:3], 0 offen offset:76
	buffer_load_dword v32, v4, s[0:3], 0 offen offset:92
	buffer_load_dword v31, v4, s[0:3], 0 offen offset:88
	buffer_load_dword v34, v4, s[0:3], 0 offen offset:84
	buffer_load_dword v33, v4, s[0:3], 0 offen offset:80
	buffer_load_dword v29, v4, s[0:3], 0 offen offset:72
	buffer_load_dword v36, v4, s[0:3], 0 offen offset:68
	buffer_load_dword v35, v4, s[0:3], 0 offen offset:64
	buffer_load_dword v38, v4, s[0:3], 0 offen offset:108
	buffer_load_dword v40, v4, s[0:3], 0 offen offset:124
	buffer_load_dword v39, v4, s[0:3], 0 offen offset:120
	buffer_load_dword v42, v4, s[0:3], 0 offen offset:116
	buffer_load_dword v41, v4, s[0:3], 0 offen offset:112
	buffer_load_dword v37, v4, s[0:3], 0 offen offset:104
	buffer_load_dword v44, v4, s[0:3], 0 offen offset:100
	buffer_load_dword v43, v4, s[0:3], 0 offen offset:96
	buffer_load_dword v45, v4, s[0:3], 0 offen offset:128
	buffer_load_dword v46, v4, s[0:3], 0 offen offset:132
	buffer_load_dword v47, v4, s[0:3], 0 offen offset:136
	buffer_load_dword v48, v4, s[0:3], 0 offen offset:140
	buffer_load_dword v49, v4, s[0:3], 0 offen offset:144
	buffer_load_dword v50, v4, s[0:3], 0 offen offset:148
	buffer_load_dword v51, v4, s[0:3], 0 offen offset:152
	buffer_load_dword v52, v4, s[0:3], 0 offen offset:156
	buffer_load_dword v53, v4, s[0:3], 0 offen offset:160
	buffer_load_dword v54, v4, s[0:3], 0 offen offset:164
	buffer_load_dword v55, v4, s[0:3], 0 offen offset:168
	buffer_load_dword v56, v4, s[0:3], 0 offen offset:172
	buffer_load_dword v57, v4, s[0:3], 0 offen offset:176
	buffer_load_dword v58, v4, s[0:3], 0 offen offset:180
	buffer_load_dword v59, v4, s[0:3], 0 offen offset:184
	buffer_load_dword v60, v4, s[0:3], 0 offen offset:188
	buffer_load_dword v61, v4, s[0:3], 0 offen offset:192
	buffer_load_dword v62, v4, s[0:3], 0 offen offset:196
	buffer_load_dword v63, v4, s[0:3], 0 offen offset:200
	buffer_load_dword v64, v4, s[0:3], 0 offen offset:204
	v_add_nc_u32_e32 v4, s16, v12
	s_addk_i32 s16, 0xd0
	s_waitcnt vmcnt(48)
	ds_write2_b64 v4, v[10:11], v[15:16] offset1:1
	s_waitcnt vmcnt(44)
	ds_write2_b64 v4, v[17:18], v[19:20] offset0:2 offset1:3
	s_waitcnt vmcnt(40)
	ds_write2_b64 v4, v[21:22], v[23:24] offset0:4 offset1:5
	;; [unrolled: 2-line block ×4, first 2 shown]
	ds_write2_b64 v4, v[33:34], v[31:32] offset0:10 offset1:11
	s_waitcnt vmcnt(20)
	ds_write2_b64 v4, v[43:44], v[37:38] offset0:12 offset1:13
	ds_write2_b64 v4, v[41:42], v[39:40] offset0:14 offset1:15
	s_waitcnt vmcnt(16)
	ds_write2_b64 v4, v[45:46], v[47:48] offset0:16 offset1:17
	s_waitcnt vmcnt(12)
	;; [unrolled: 2-line block ×5, first 2 shown]
	ds_write2_b64 v4, v[61:62], v[63:64] offset0:24 offset1:25
	s_cmpk_eq_i32 s16, 0x3e0
	s_cbranch_scc0 .LBB122_246
; %bb.247:
	v_mov_b32_e32 v11, 9
.LBB122_248:
	s_or_b32 exec_lo, exec_lo, s4
	s_mov_b32 s4, exec_lo
	s_waitcnt lgkmcnt(0)
	s_waitcnt_vscnt null, 0x0
	s_barrier
	buffer_gl0_inv
	v_cmpx_lt_i32_e32 9, v11
	s_cbranch_execz .LBB122_251
; %bb.249:
	s_clause 0x3
	buffer_load_dword v15, off, s[0:3], 0 offset:152
	buffer_load_dword v16, off, s[0:3], 0 offset:156
	;; [unrolled: 1-line block ×4, first 2 shown]
	s_movk_i32 s81, 0xa0
	s_waitcnt vmcnt(2)
	v_mul_f64 v[19:20], v[2:3], v[15:16]
	v_mul_f64 v[15:16], v[0:1], v[15:16]
	s_waitcnt vmcnt(0)
	v_fma_f64 v[0:1], v[0:1], v[17:18], -v[19:20]
	v_fma_f64 v[2:3], v[2:3], v[17:18], v[15:16]
	buffer_store_dword v0, off, s[0:3], 0 offset:144
	buffer_store_dword v1, off, s[0:3], 0 offset:148
	;; [unrolled: 1-line block ×4, first 2 shown]
.LBB122_250:                            ; =>This Inner Loop Header: Depth=1
	s_clause 0x3
	buffer_load_dword v19, off, s[0:3], 0 offset:152
	buffer_load_dword v20, off, s[0:3], 0 offset:156
	;; [unrolled: 1-line block ×4, first 2 shown]
	v_mov_b32_e32 v4, s81
	v_add_nc_u32_e32 v10, s81, v12
	s_add_i32 s81, s81, 64
	s_clause 0x3
	buffer_load_dword v23, v4, s[0:3], 0 offen
	buffer_load_dword v24, v4, s[0:3], 0 offen offset:4
	buffer_load_dword v25, v4, s[0:3], 0 offen offset:8
	;; [unrolled: 1-line block ×3, first 2 shown]
	ds_read2_b64 v[0:3], v10 offset1:1
	ds_read2_b64 v[15:18], v10 offset0:2 offset1:3
	s_cmpk_lg_i32 s81, 0x3e0
	s_waitcnt vmcnt(6) lgkmcnt(1)
	v_mul_f64 v[27:28], v[2:3], v[19:20]
	v_mul_f64 v[19:20], v[0:1], v[19:20]
	s_waitcnt vmcnt(4)
	v_fma_f64 v[0:1], v[0:1], v[21:22], -v[27:28]
	v_fma_f64 v[2:3], v[2:3], v[21:22], v[19:20]
	s_clause 0x3
	buffer_load_dword v19, v4, s[0:3], 0 offen offset:16
	buffer_load_dword v20, v4, s[0:3], 0 offen offset:20
	;; [unrolled: 1-line block ×4, first 2 shown]
	s_waitcnt vmcnt(6)
	v_add_f64 v[0:1], v[23:24], -v[0:1]
	s_waitcnt vmcnt(4)
	v_add_f64 v[2:3], v[25:26], -v[2:3]
	buffer_store_dword v1, v4, s[0:3], 0 offen offset:4
	buffer_store_dword v0, v4, s[0:3], 0 offen
	buffer_store_dword v3, v4, s[0:3], 0 offen offset:12
	buffer_store_dword v2, v4, s[0:3], 0 offen offset:8
	s_clause 0x3
	buffer_load_dword v1, off, s[0:3], 0 offset:156
	buffer_load_dword v0, off, s[0:3], 0 offset:152
	;; [unrolled: 1-line block ×4, first 2 shown]
	s_waitcnt vmcnt(2) lgkmcnt(0)
	v_mul_f64 v[23:24], v[17:18], v[0:1]
	v_mul_f64 v[0:1], v[15:16], v[0:1]
	s_waitcnt vmcnt(0)
	v_fma_f64 v[15:16], v[15:16], v[2:3], -v[23:24]
	v_fma_f64 v[0:1], v[17:18], v[2:3], v[0:1]
	v_add_f64 v[2:3], v[19:20], -v[15:16]
	v_add_f64 v[0:1], v[21:22], -v[0:1]
	s_clause 0x3
	buffer_load_dword v19, v4, s[0:3], 0 offen offset:32
	buffer_load_dword v20, v4, s[0:3], 0 offen offset:36
	;; [unrolled: 1-line block ×4, first 2 shown]
	buffer_store_dword v3, v4, s[0:3], 0 offen offset:20
	buffer_store_dword v2, v4, s[0:3], 0 offen offset:16
	;; [unrolled: 1-line block ×4, first 2 shown]
	s_clause 0x3
	buffer_load_dword v23, off, s[0:3], 0 offset:152
	buffer_load_dword v24, off, s[0:3], 0 offset:156
	;; [unrolled: 1-line block ×4, first 2 shown]
	ds_read2_b64 v[0:3], v10 offset0:4 offset1:5
	ds_read2_b64 v[15:18], v10 offset0:6 offset1:7
	s_waitcnt vmcnt(2) lgkmcnt(1)
	v_mul_f64 v[27:28], v[2:3], v[23:24]
	v_mul_f64 v[23:24], v[0:1], v[23:24]
	s_waitcnt vmcnt(0)
	v_fma_f64 v[0:1], v[0:1], v[25:26], -v[27:28]
	v_fma_f64 v[2:3], v[2:3], v[25:26], v[23:24]
	v_add_f64 v[0:1], v[19:20], -v[0:1]
	v_add_f64 v[2:3], v[21:22], -v[2:3]
	buffer_store_dword v1, v4, s[0:3], 0 offen offset:36
	buffer_store_dword v0, v4, s[0:3], 0 offen offset:32
	buffer_store_dword v3, v4, s[0:3], 0 offen offset:44
	buffer_store_dword v2, v4, s[0:3], 0 offen offset:40
	s_clause 0x7
	buffer_load_dword v0, off, s[0:3], 0 offset:152
	buffer_load_dword v1, off, s[0:3], 0 offset:156
	;; [unrolled: 1-line block ×4, first 2 shown]
	buffer_load_dword v19, v4, s[0:3], 0 offen offset:48
	buffer_load_dword v20, v4, s[0:3], 0 offen offset:52
	;; [unrolled: 1-line block ×4, first 2 shown]
	s_waitcnt vmcnt(6) lgkmcnt(0)
	v_mul_f64 v[23:24], v[17:18], v[0:1]
	v_mul_f64 v[0:1], v[15:16], v[0:1]
	s_waitcnt vmcnt(4)
	v_fma_f64 v[15:16], v[15:16], v[2:3], -v[23:24]
	v_fma_f64 v[0:1], v[17:18], v[2:3], v[0:1]
	s_waitcnt vmcnt(2)
	v_add_f64 v[2:3], v[19:20], -v[15:16]
	s_waitcnt vmcnt(0)
	v_add_f64 v[0:1], v[21:22], -v[0:1]
	buffer_store_dword v3, v4, s[0:3], 0 offen offset:52
	buffer_store_dword v2, v4, s[0:3], 0 offen offset:48
	;; [unrolled: 1-line block ×4, first 2 shown]
	s_cbranch_scc1 .LBB122_250
.LBB122_251:
	s_or_b32 exec_lo, exec_lo, s4
	v_mov_b32_e32 v3, s72
	s_waitcnt_vscnt null, 0x0
	s_barrier
	buffer_gl0_inv
	v_lshl_add_u32 v4, v11, 4, v12
	s_clause 0x3
	buffer_load_dword v0, v3, s[0:3], 0 offen
	buffer_load_dword v1, v3, s[0:3], 0 offen offset:4
	buffer_load_dword v2, v3, s[0:3], 0 offen offset:8
	;; [unrolled: 1-line block ×3, first 2 shown]
	s_cmp_lt_i32 s57, 12
	s_waitcnt vmcnt(0)
	ds_write2_b64 v4, v[0:1], v[2:3] offset1:1
	s_waitcnt lgkmcnt(0)
	s_barrier
	buffer_gl0_inv
	ds_read2_b64 v[0:3], v12 offset0:20 offset1:21
	v_mov_b32_e32 v4, 10
	s_cbranch_scc1 .LBB122_254
; %bb.252:
	v_add3_u32 v10, v14, 0, 0xb0
	v_mov_b32_e32 v4, 10
	s_mov_b32 s16, 11
	s_inst_prefetch 0x1
	.p2align	6
.LBB122_253:                            ; =>This Inner Loop Header: Depth=1
	s_waitcnt lgkmcnt(0)
	v_cmp_gt_f64_e32 vcc_lo, 0, v[2:3]
	v_cmp_gt_f64_e64 s4, 0, v[0:1]
	ds_read2_b64 v[15:18], v10 offset1:1
	v_xor_b32_e32 v20, 0x80000000, v1
	v_xor_b32_e32 v22, 0x80000000, v3
	v_mov_b32_e32 v19, v0
	v_mov_b32_e32 v21, v2
	v_add_nc_u32_e32 v10, 16, v10
	s_waitcnt lgkmcnt(0)
	v_xor_b32_e32 v24, 0x80000000, v18
	v_cndmask_b32_e64 v20, v1, v20, s4
	v_cndmask_b32_e32 v22, v3, v22, vcc_lo
	v_cmp_gt_f64_e32 vcc_lo, 0, v[17:18]
	v_cmp_gt_f64_e64 s4, 0, v[15:16]
	v_mov_b32_e32 v23, v17
	v_add_f64 v[19:20], v[19:20], v[21:22]
	v_xor_b32_e32 v22, 0x80000000, v16
	v_mov_b32_e32 v21, v15
	v_cndmask_b32_e32 v24, v18, v24, vcc_lo
	v_cndmask_b32_e64 v22, v16, v22, s4
	v_add_f64 v[21:22], v[21:22], v[23:24]
	v_cmp_lt_f64_e32 vcc_lo, v[19:20], v[21:22]
	v_cndmask_b32_e32 v1, v1, v16, vcc_lo
	v_cndmask_b32_e32 v0, v0, v15, vcc_lo
	;; [unrolled: 1-line block ×4, first 2 shown]
	v_cndmask_b32_e64 v4, v4, s16, vcc_lo
	s_add_i32 s16, s16, 1
	s_cmp_lg_u32 s57, s16
	s_cbranch_scc1 .LBB122_253
.LBB122_254:
	s_inst_prefetch 0x2
	s_waitcnt lgkmcnt(0)
	v_cmp_eq_f64_e32 vcc_lo, 0, v[0:1]
	v_cmp_eq_f64_e64 s4, 0, v[2:3]
	s_and_b32 s4, vcc_lo, s4
	s_and_saveexec_b32 s16, s4
	s_xor_b32 s4, exec_lo, s16
; %bb.255:
	v_cmp_ne_u32_e32 vcc_lo, 0, v13
	v_cndmask_b32_e32 v13, 11, v13, vcc_lo
; %bb.256:
	s_andn2_saveexec_b32 s4, s4
	s_cbranch_execz .LBB122_262
; %bb.257:
	v_cmp_ngt_f64_e64 s16, |v[0:1]|, |v[2:3]|
	s_and_saveexec_b32 s17, s16
	s_xor_b32 s16, exec_lo, s17
	s_cbranch_execz .LBB122_259
; %bb.258:
	v_div_scale_f64 v[15:16], null, v[2:3], v[2:3], v[0:1]
	v_div_scale_f64 v[21:22], vcc_lo, v[0:1], v[2:3], v[0:1]
	v_rcp_f64_e32 v[17:18], v[15:16]
	v_fma_f64 v[19:20], -v[15:16], v[17:18], 1.0
	v_fma_f64 v[17:18], v[17:18], v[19:20], v[17:18]
	v_fma_f64 v[19:20], -v[15:16], v[17:18], 1.0
	v_fma_f64 v[17:18], v[17:18], v[19:20], v[17:18]
	v_mul_f64 v[19:20], v[21:22], v[17:18]
	v_fma_f64 v[15:16], -v[15:16], v[19:20], v[21:22]
	v_div_fmas_f64 v[15:16], v[15:16], v[17:18], v[19:20]
	v_div_fixup_f64 v[15:16], v[15:16], v[2:3], v[0:1]
	v_fma_f64 v[0:1], v[0:1], v[15:16], v[2:3]
	v_div_scale_f64 v[2:3], null, v[0:1], v[0:1], 1.0
	v_rcp_f64_e32 v[17:18], v[2:3]
	v_fma_f64 v[19:20], -v[2:3], v[17:18], 1.0
	v_fma_f64 v[17:18], v[17:18], v[19:20], v[17:18]
	v_fma_f64 v[19:20], -v[2:3], v[17:18], 1.0
	v_fma_f64 v[17:18], v[17:18], v[19:20], v[17:18]
	v_div_scale_f64 v[19:20], vcc_lo, 1.0, v[0:1], 1.0
	v_mul_f64 v[21:22], v[19:20], v[17:18]
	v_fma_f64 v[2:3], -v[2:3], v[21:22], v[19:20]
	v_div_fmas_f64 v[2:3], v[2:3], v[17:18], v[21:22]
	v_div_fixup_f64 v[2:3], v[2:3], v[0:1], 1.0
	v_mul_f64 v[0:1], v[15:16], v[2:3]
	v_xor_b32_e32 v3, 0x80000000, v3
.LBB122_259:
	s_andn2_saveexec_b32 s16, s16
	s_cbranch_execz .LBB122_261
; %bb.260:
	v_div_scale_f64 v[15:16], null, v[0:1], v[0:1], v[2:3]
	v_div_scale_f64 v[21:22], vcc_lo, v[2:3], v[0:1], v[2:3]
	v_rcp_f64_e32 v[17:18], v[15:16]
	v_fma_f64 v[19:20], -v[15:16], v[17:18], 1.0
	v_fma_f64 v[17:18], v[17:18], v[19:20], v[17:18]
	v_fma_f64 v[19:20], -v[15:16], v[17:18], 1.0
	v_fma_f64 v[17:18], v[17:18], v[19:20], v[17:18]
	v_mul_f64 v[19:20], v[21:22], v[17:18]
	v_fma_f64 v[15:16], -v[15:16], v[19:20], v[21:22]
	v_div_fmas_f64 v[15:16], v[15:16], v[17:18], v[19:20]
	v_div_fixup_f64 v[15:16], v[15:16], v[0:1], v[2:3]
	v_fma_f64 v[0:1], v[2:3], v[15:16], v[0:1]
	v_div_scale_f64 v[2:3], null, v[0:1], v[0:1], 1.0
	v_rcp_f64_e32 v[17:18], v[2:3]
	v_fma_f64 v[19:20], -v[2:3], v[17:18], 1.0
	v_fma_f64 v[17:18], v[17:18], v[19:20], v[17:18]
	v_fma_f64 v[19:20], -v[2:3], v[17:18], 1.0
	v_fma_f64 v[17:18], v[17:18], v[19:20], v[17:18]
	v_div_scale_f64 v[19:20], vcc_lo, 1.0, v[0:1], 1.0
	v_mul_f64 v[21:22], v[19:20], v[17:18]
	v_fma_f64 v[2:3], -v[2:3], v[21:22], v[19:20]
	v_div_fmas_f64 v[2:3], v[2:3], v[17:18], v[21:22]
	v_div_fixup_f64 v[0:1], v[2:3], v[0:1], 1.0
	v_mul_f64 v[2:3], v[15:16], -v[0:1]
.LBB122_261:
	s_or_b32 exec_lo, exec_lo, s16
.LBB122_262:
	s_or_b32 exec_lo, exec_lo, s4
	s_mov_b32 s4, exec_lo
	v_cmpx_ne_u32_e64 v11, v4
	s_xor_b32 s4, exec_lo, s4
	s_cbranch_execz .LBB122_268
; %bb.263:
	s_mov_b32 s16, exec_lo
	v_cmpx_eq_u32_e32 10, v11
	s_cbranch_execz .LBB122_267
; %bb.264:
	v_cmp_ne_u32_e32 vcc_lo, 10, v4
	s_xor_b32 s17, s20, -1
	s_and_b32 s56, s17, vcc_lo
	s_and_saveexec_b32 s17, s56
	s_cbranch_execz .LBB122_266
; %bb.265:
	v_ashrrev_i32_e32 v5, 31, v4
	v_lshlrev_b64 v[10:11], 2, v[4:5]
	v_add_co_u32 v10, vcc_lo, v8, v10
	v_add_co_ci_u32_e64 v11, null, v9, v11, vcc_lo
	s_clause 0x1
	global_load_dword v5, v[10:11], off
	global_load_dword v15, v[8:9], off offset:40
	s_waitcnt vmcnt(1)
	global_store_dword v[8:9], v5, off offset:40
	s_waitcnt vmcnt(0)
	global_store_dword v[10:11], v15, off
.LBB122_266:
	s_or_b32 exec_lo, exec_lo, s17
	v_mov_b32_e32 v11, v4
	v_mov_b32_e32 v5, v4
.LBB122_267:
	s_or_b32 exec_lo, exec_lo, s16
.LBB122_268:
	s_andn2_saveexec_b32 s4, s4
	s_cbranch_execz .LBB122_272
; %bb.269:
	s_movk_i32 s81, 0xb0
.LBB122_270:                            ; =>This Inner Loop Header: Depth=1
	v_mov_b32_e32 v4, s81
	s_clause 0x3e
	buffer_load_dword v10, v4, s[0:3], 0 offen
	buffer_load_dword v11, v4, s[0:3], 0 offen offset:4
	buffer_load_dword v15, v4, s[0:3], 0 offen offset:8
	;; [unrolled: 1-line block ×62, first 2 shown]
	s_clause 0x4
	buffer_load_dword v76, v4, s[0:3], 0 offen offset:252
	buffer_load_dword v77, v4, s[0:3], 0 offen offset:256
	buffer_load_dword v78, v4, s[0:3], 0 offen offset:260
	buffer_load_dword v79, v4, s[0:3], 0 offen offset:264
	buffer_load_dword v80, v4, s[0:3], 0 offen offset:268
	v_add_nc_u32_e32 v4, s81, v12
	s_addk_i32 s81, 0x110
	s_waitcnt vmcnt(62)
	ds_write2_b64 v4, v[10:11], v[15:16] offset1:1
	s_waitcnt vmcnt(60)
	ds_write2_b64 v4, v[17:18], v[19:20] offset0:2 offset1:3
	s_waitcnt vmcnt(56)
	ds_write2_b64 v4, v[21:22], v[23:24] offset0:4 offset1:5
	;; [unrolled: 2-line block ×4, first 2 shown]
	ds_write2_b64 v4, v[33:34], v[31:32] offset0:10 offset1:11
	s_waitcnt vmcnt(36)
	ds_write2_b64 v4, v[43:44], v[37:38] offset0:12 offset1:13
	ds_write2_b64 v4, v[41:42], v[39:40] offset0:14 offset1:15
	s_waitcnt vmcnt(32)
	ds_write2_b64 v4, v[45:46], v[47:48] offset0:16 offset1:17
	s_waitcnt vmcnt(28)
	;; [unrolled: 2-line block ×9, first 2 shown]
	ds_write2_b64 v4, v[77:78], v[79:80] offset0:32 offset1:33
	s_cmpk_eq_i32 s81, 0x3e0
	s_cbranch_scc0 .LBB122_270
; %bb.271:
	v_mov_b32_e32 v11, 10
.LBB122_272:
	s_or_b32 exec_lo, exec_lo, s4
	s_mov_b32 s4, exec_lo
	s_waitcnt lgkmcnt(0)
	s_waitcnt_vscnt null, 0x0
	s_barrier
	buffer_gl0_inv
	v_cmpx_lt_i32_e32 10, v11
	s_cbranch_execz .LBB122_275
; %bb.273:
	s_clause 0x3
	buffer_load_dword v15, off, s[0:3], 0 offset:168
	buffer_load_dword v16, off, s[0:3], 0 offset:172
	;; [unrolled: 1-line block ×4, first 2 shown]
	s_movk_i32 s16, 0xb0
	s_waitcnt vmcnt(2)
	v_mul_f64 v[19:20], v[2:3], v[15:16]
	v_mul_f64 v[15:16], v[0:1], v[15:16]
	s_waitcnt vmcnt(0)
	v_fma_f64 v[0:1], v[0:1], v[17:18], -v[19:20]
	v_fma_f64 v[2:3], v[2:3], v[17:18], v[15:16]
	buffer_store_dword v0, off, s[0:3], 0 offset:160
	buffer_store_dword v1, off, s[0:3], 0 offset:164
	;; [unrolled: 1-line block ×4, first 2 shown]
.LBB122_274:                            ; =>This Inner Loop Header: Depth=1
	s_clause 0x3
	buffer_load_dword v19, off, s[0:3], 0 offset:168
	buffer_load_dword v20, off, s[0:3], 0 offset:172
	;; [unrolled: 1-line block ×4, first 2 shown]
	v_mov_b32_e32 v4, s16
	v_add_nc_u32_e32 v10, s16, v12
	s_add_i32 s16, s16, 48
	s_clause 0x3
	buffer_load_dword v23, v4, s[0:3], 0 offen
	buffer_load_dword v24, v4, s[0:3], 0 offen offset:4
	buffer_load_dword v25, v4, s[0:3], 0 offen offset:8
	buffer_load_dword v26, v4, s[0:3], 0 offen offset:12
	ds_read2_b64 v[0:3], v10 offset1:1
	ds_read2_b64 v[15:18], v10 offset0:2 offset1:3
	s_cmpk_lg_i32 s16, 0x3e0
	s_waitcnt vmcnt(6) lgkmcnt(1)
	v_mul_f64 v[27:28], v[2:3], v[19:20]
	v_mul_f64 v[19:20], v[0:1], v[19:20]
	s_waitcnt vmcnt(4)
	v_fma_f64 v[0:1], v[0:1], v[21:22], -v[27:28]
	v_fma_f64 v[2:3], v[2:3], v[21:22], v[19:20]
	s_clause 0x3
	buffer_load_dword v19, v4, s[0:3], 0 offen offset:16
	buffer_load_dword v20, v4, s[0:3], 0 offen offset:20
	;; [unrolled: 1-line block ×4, first 2 shown]
	s_waitcnt vmcnt(6)
	v_add_f64 v[0:1], v[23:24], -v[0:1]
	s_waitcnt vmcnt(4)
	v_add_f64 v[2:3], v[25:26], -v[2:3]
	buffer_store_dword v1, v4, s[0:3], 0 offen offset:4
	buffer_store_dword v0, v4, s[0:3], 0 offen
	buffer_store_dword v3, v4, s[0:3], 0 offen offset:12
	buffer_store_dword v2, v4, s[0:3], 0 offen offset:8
	s_clause 0x3
	buffer_load_dword v1, off, s[0:3], 0 offset:172
	buffer_load_dword v0, off, s[0:3], 0 offset:168
	;; [unrolled: 1-line block ×4, first 2 shown]
	s_waitcnt vmcnt(2) lgkmcnt(0)
	v_mul_f64 v[23:24], v[17:18], v[0:1]
	v_mul_f64 v[0:1], v[15:16], v[0:1]
	s_waitcnt vmcnt(0)
	v_fma_f64 v[15:16], v[15:16], v[2:3], -v[23:24]
	v_fma_f64 v[0:1], v[17:18], v[2:3], v[0:1]
	v_add_f64 v[2:3], v[19:20], -v[15:16]
	v_add_f64 v[0:1], v[21:22], -v[0:1]
	s_clause 0x3
	buffer_load_dword v15, v4, s[0:3], 0 offen offset:32
	buffer_load_dword v16, v4, s[0:3], 0 offen offset:36
	;; [unrolled: 1-line block ×4, first 2 shown]
	buffer_store_dword v3, v4, s[0:3], 0 offen offset:20
	buffer_store_dword v2, v4, s[0:3], 0 offen offset:16
	buffer_store_dword v1, v4, s[0:3], 0 offen offset:28
	buffer_store_dword v0, v4, s[0:3], 0 offen offset:24
	s_clause 0x3
	buffer_load_dword v19, off, s[0:3], 0 offset:168
	buffer_load_dword v20, off, s[0:3], 0 offset:172
	;; [unrolled: 1-line block ×4, first 2 shown]
	ds_read2_b64 v[0:3], v10 offset0:4 offset1:5
	s_waitcnt vmcnt(2) lgkmcnt(0)
	v_mul_f64 v[23:24], v[2:3], v[19:20]
	v_mul_f64 v[19:20], v[0:1], v[19:20]
	s_waitcnt vmcnt(0)
	v_fma_f64 v[0:1], v[0:1], v[21:22], -v[23:24]
	v_fma_f64 v[2:3], v[2:3], v[21:22], v[19:20]
	v_add_f64 v[0:1], v[15:16], -v[0:1]
	v_add_f64 v[2:3], v[17:18], -v[2:3]
	buffer_store_dword v1, v4, s[0:3], 0 offen offset:36
	buffer_store_dword v0, v4, s[0:3], 0 offen offset:32
	;; [unrolled: 1-line block ×4, first 2 shown]
	s_cbranch_scc1 .LBB122_274
.LBB122_275:
	s_or_b32 exec_lo, exec_lo, s4
	v_mov_b32_e32 v3, s71
	s_waitcnt_vscnt null, 0x0
	s_barrier
	buffer_gl0_inv
	v_lshl_add_u32 v4, v11, 4, v12
	s_clause 0x3
	buffer_load_dword v0, v3, s[0:3], 0 offen
	buffer_load_dword v1, v3, s[0:3], 0 offen offset:4
	buffer_load_dword v2, v3, s[0:3], 0 offen offset:8
	;; [unrolled: 1-line block ×3, first 2 shown]
	s_cmp_lt_i32 s57, 13
	s_waitcnt vmcnt(0)
	ds_write2_b64 v4, v[0:1], v[2:3] offset1:1
	s_waitcnt lgkmcnt(0)
	s_barrier
	buffer_gl0_inv
	ds_read2_b64 v[0:3], v12 offset0:22 offset1:23
	v_mov_b32_e32 v4, 11
	s_cbranch_scc1 .LBB122_278
; %bb.276:
	v_add3_u32 v10, v14, 0, 0xc0
	v_mov_b32_e32 v4, 11
	s_mov_b32 s16, 12
	s_inst_prefetch 0x1
	.p2align	6
.LBB122_277:                            ; =>This Inner Loop Header: Depth=1
	s_waitcnt lgkmcnt(0)
	v_cmp_gt_f64_e32 vcc_lo, 0, v[2:3]
	v_cmp_gt_f64_e64 s4, 0, v[0:1]
	ds_read2_b64 v[15:18], v10 offset1:1
	v_xor_b32_e32 v20, 0x80000000, v1
	v_xor_b32_e32 v22, 0x80000000, v3
	v_mov_b32_e32 v19, v0
	v_mov_b32_e32 v21, v2
	v_add_nc_u32_e32 v10, 16, v10
	s_waitcnt lgkmcnt(0)
	v_xor_b32_e32 v24, 0x80000000, v18
	v_cndmask_b32_e64 v20, v1, v20, s4
	v_cndmask_b32_e32 v22, v3, v22, vcc_lo
	v_cmp_gt_f64_e32 vcc_lo, 0, v[17:18]
	v_cmp_gt_f64_e64 s4, 0, v[15:16]
	v_mov_b32_e32 v23, v17
	v_add_f64 v[19:20], v[19:20], v[21:22]
	v_xor_b32_e32 v22, 0x80000000, v16
	v_mov_b32_e32 v21, v15
	v_cndmask_b32_e32 v24, v18, v24, vcc_lo
	v_cndmask_b32_e64 v22, v16, v22, s4
	v_add_f64 v[21:22], v[21:22], v[23:24]
	v_cmp_lt_f64_e32 vcc_lo, v[19:20], v[21:22]
	v_cndmask_b32_e32 v1, v1, v16, vcc_lo
	v_cndmask_b32_e32 v0, v0, v15, vcc_lo
	;; [unrolled: 1-line block ×4, first 2 shown]
	v_cndmask_b32_e64 v4, v4, s16, vcc_lo
	s_add_i32 s16, s16, 1
	s_cmp_lg_u32 s57, s16
	s_cbranch_scc1 .LBB122_277
.LBB122_278:
	s_inst_prefetch 0x2
	s_waitcnt lgkmcnt(0)
	v_cmp_eq_f64_e32 vcc_lo, 0, v[0:1]
	v_cmp_eq_f64_e64 s4, 0, v[2:3]
	s_and_b32 s4, vcc_lo, s4
	s_and_saveexec_b32 s16, s4
	s_xor_b32 s4, exec_lo, s16
; %bb.279:
	v_cmp_ne_u32_e32 vcc_lo, 0, v13
	v_cndmask_b32_e32 v13, 12, v13, vcc_lo
; %bb.280:
	s_andn2_saveexec_b32 s4, s4
	s_cbranch_execz .LBB122_286
; %bb.281:
	v_cmp_ngt_f64_e64 s16, |v[0:1]|, |v[2:3]|
	s_and_saveexec_b32 s17, s16
	s_xor_b32 s16, exec_lo, s17
	s_cbranch_execz .LBB122_283
; %bb.282:
	v_div_scale_f64 v[15:16], null, v[2:3], v[2:3], v[0:1]
	v_div_scale_f64 v[21:22], vcc_lo, v[0:1], v[2:3], v[0:1]
	v_rcp_f64_e32 v[17:18], v[15:16]
	v_fma_f64 v[19:20], -v[15:16], v[17:18], 1.0
	v_fma_f64 v[17:18], v[17:18], v[19:20], v[17:18]
	v_fma_f64 v[19:20], -v[15:16], v[17:18], 1.0
	v_fma_f64 v[17:18], v[17:18], v[19:20], v[17:18]
	v_mul_f64 v[19:20], v[21:22], v[17:18]
	v_fma_f64 v[15:16], -v[15:16], v[19:20], v[21:22]
	v_div_fmas_f64 v[15:16], v[15:16], v[17:18], v[19:20]
	v_div_fixup_f64 v[15:16], v[15:16], v[2:3], v[0:1]
	v_fma_f64 v[0:1], v[0:1], v[15:16], v[2:3]
	v_div_scale_f64 v[2:3], null, v[0:1], v[0:1], 1.0
	v_rcp_f64_e32 v[17:18], v[2:3]
	v_fma_f64 v[19:20], -v[2:3], v[17:18], 1.0
	v_fma_f64 v[17:18], v[17:18], v[19:20], v[17:18]
	v_fma_f64 v[19:20], -v[2:3], v[17:18], 1.0
	v_fma_f64 v[17:18], v[17:18], v[19:20], v[17:18]
	v_div_scale_f64 v[19:20], vcc_lo, 1.0, v[0:1], 1.0
	v_mul_f64 v[21:22], v[19:20], v[17:18]
	v_fma_f64 v[2:3], -v[2:3], v[21:22], v[19:20]
	v_div_fmas_f64 v[2:3], v[2:3], v[17:18], v[21:22]
	v_div_fixup_f64 v[2:3], v[2:3], v[0:1], 1.0
	v_mul_f64 v[0:1], v[15:16], v[2:3]
	v_xor_b32_e32 v3, 0x80000000, v3
.LBB122_283:
	s_andn2_saveexec_b32 s16, s16
	s_cbranch_execz .LBB122_285
; %bb.284:
	v_div_scale_f64 v[15:16], null, v[0:1], v[0:1], v[2:3]
	v_div_scale_f64 v[21:22], vcc_lo, v[2:3], v[0:1], v[2:3]
	v_rcp_f64_e32 v[17:18], v[15:16]
	v_fma_f64 v[19:20], -v[15:16], v[17:18], 1.0
	v_fma_f64 v[17:18], v[17:18], v[19:20], v[17:18]
	v_fma_f64 v[19:20], -v[15:16], v[17:18], 1.0
	v_fma_f64 v[17:18], v[17:18], v[19:20], v[17:18]
	v_mul_f64 v[19:20], v[21:22], v[17:18]
	v_fma_f64 v[15:16], -v[15:16], v[19:20], v[21:22]
	v_div_fmas_f64 v[15:16], v[15:16], v[17:18], v[19:20]
	v_div_fixup_f64 v[15:16], v[15:16], v[0:1], v[2:3]
	v_fma_f64 v[0:1], v[2:3], v[15:16], v[0:1]
	v_div_scale_f64 v[2:3], null, v[0:1], v[0:1], 1.0
	v_rcp_f64_e32 v[17:18], v[2:3]
	v_fma_f64 v[19:20], -v[2:3], v[17:18], 1.0
	v_fma_f64 v[17:18], v[17:18], v[19:20], v[17:18]
	v_fma_f64 v[19:20], -v[2:3], v[17:18], 1.0
	v_fma_f64 v[17:18], v[17:18], v[19:20], v[17:18]
	v_div_scale_f64 v[19:20], vcc_lo, 1.0, v[0:1], 1.0
	v_mul_f64 v[21:22], v[19:20], v[17:18]
	v_fma_f64 v[2:3], -v[2:3], v[21:22], v[19:20]
	v_div_fmas_f64 v[2:3], v[2:3], v[17:18], v[21:22]
	v_div_fixup_f64 v[0:1], v[2:3], v[0:1], 1.0
	v_mul_f64 v[2:3], v[15:16], -v[0:1]
.LBB122_285:
	s_or_b32 exec_lo, exec_lo, s16
.LBB122_286:
	s_or_b32 exec_lo, exec_lo, s4
	s_mov_b32 s4, exec_lo
	v_cmpx_ne_u32_e64 v11, v4
	s_xor_b32 s4, exec_lo, s4
	s_cbranch_execz .LBB122_292
; %bb.287:
	s_mov_b32 s16, exec_lo
	v_cmpx_eq_u32_e32 11, v11
	s_cbranch_execz .LBB122_291
; %bb.288:
	v_cmp_ne_u32_e32 vcc_lo, 11, v4
	s_xor_b32 s17, s20, -1
	s_and_b32 s56, s17, vcc_lo
	s_and_saveexec_b32 s17, s56
	s_cbranch_execz .LBB122_290
; %bb.289:
	v_ashrrev_i32_e32 v5, 31, v4
	v_lshlrev_b64 v[10:11], 2, v[4:5]
	v_add_co_u32 v10, vcc_lo, v8, v10
	v_add_co_ci_u32_e64 v11, null, v9, v11, vcc_lo
	s_clause 0x1
	global_load_dword v5, v[10:11], off
	global_load_dword v15, v[8:9], off offset:44
	s_waitcnt vmcnt(1)
	global_store_dword v[8:9], v5, off offset:44
	s_waitcnt vmcnt(0)
	global_store_dword v[10:11], v15, off
.LBB122_290:
	s_or_b32 exec_lo, exec_lo, s17
	v_mov_b32_e32 v11, v4
	v_mov_b32_e32 v5, v4
.LBB122_291:
	s_or_b32 exec_lo, exec_lo, s16
.LBB122_292:
	s_andn2_saveexec_b32 s4, s4
	s_cbranch_execz .LBB122_296
; %bb.293:
	s_movk_i32 s16, 0xc0
.LBB122_294:                            ; =>This Inner Loop Header: Depth=1
	v_mov_b32_e32 v4, s16
	s_clause 0x27
	buffer_load_dword v10, v4, s[0:3], 0 offen
	buffer_load_dword v11, v4, s[0:3], 0 offen offset:4
	buffer_load_dword v15, v4, s[0:3], 0 offen offset:8
	;; [unrolled: 1-line block ×39, first 2 shown]
	v_add_nc_u32_e32 v4, s16, v12
	s_addk_i32 s16, 0xa0
	s_waitcnt vmcnt(36)
	ds_write2_b64 v4, v[10:11], v[15:16] offset1:1
	s_waitcnt vmcnt(32)
	ds_write2_b64 v4, v[17:18], v[19:20] offset0:2 offset1:3
	s_waitcnt vmcnt(28)
	ds_write2_b64 v4, v[21:22], v[23:24] offset0:4 offset1:5
	;; [unrolled: 2-line block ×4, first 2 shown]
	ds_write2_b64 v4, v[33:34], v[31:32] offset0:10 offset1:11
	s_waitcnt vmcnt(8)
	ds_write2_b64 v4, v[43:44], v[37:38] offset0:12 offset1:13
	ds_write2_b64 v4, v[41:42], v[39:40] offset0:14 offset1:15
	s_waitcnt vmcnt(4)
	ds_write2_b64 v4, v[45:46], v[47:48] offset0:16 offset1:17
	s_waitcnt vmcnt(0)
	ds_write2_b64 v4, v[49:50], v[51:52] offset0:18 offset1:19
	s_cmpk_eq_i32 s16, 0x3e0
	s_cbranch_scc0 .LBB122_294
; %bb.295:
	v_mov_b32_e32 v11, 11
.LBB122_296:
	s_or_b32 exec_lo, exec_lo, s4
	s_mov_b32 s4, exec_lo
	s_waitcnt lgkmcnt(0)
	s_waitcnt_vscnt null, 0x0
	s_barrier
	buffer_gl0_inv
	v_cmpx_lt_i32_e32 11, v11
	s_cbranch_execz .LBB122_299
; %bb.297:
	s_clause 0x3
	buffer_load_dword v15, off, s[0:3], 0 offset:184
	buffer_load_dword v16, off, s[0:3], 0 offset:188
	;; [unrolled: 1-line block ×4, first 2 shown]
	s_movk_i32 s81, 0xc0
	s_waitcnt vmcnt(2)
	v_mul_f64 v[19:20], v[2:3], v[15:16]
	v_mul_f64 v[15:16], v[0:1], v[15:16]
	s_waitcnt vmcnt(0)
	v_fma_f64 v[0:1], v[0:1], v[17:18], -v[19:20]
	v_fma_f64 v[2:3], v[2:3], v[17:18], v[15:16]
	buffer_store_dword v0, off, s[0:3], 0 offset:176
	buffer_store_dword v1, off, s[0:3], 0 offset:180
	;; [unrolled: 1-line block ×4, first 2 shown]
.LBB122_298:                            ; =>This Inner Loop Header: Depth=1
	s_clause 0x3
	buffer_load_dword v19, off, s[0:3], 0 offset:184
	buffer_load_dword v20, off, s[0:3], 0 offset:188
	;; [unrolled: 1-line block ×4, first 2 shown]
	v_mov_b32_e32 v4, s81
	v_add_nc_u32_e32 v10, s81, v12
	s_addk_i32 s81, 0x50
	s_clause 0x3
	buffer_load_dword v23, v4, s[0:3], 0 offen
	buffer_load_dword v24, v4, s[0:3], 0 offen offset:4
	buffer_load_dword v25, v4, s[0:3], 0 offen offset:8
	;; [unrolled: 1-line block ×3, first 2 shown]
	ds_read2_b64 v[0:3], v10 offset1:1
	ds_read2_b64 v[15:18], v10 offset0:2 offset1:3
	s_cmpk_lg_i32 s81, 0x3e0
	s_waitcnt vmcnt(6) lgkmcnt(1)
	v_mul_f64 v[27:28], v[2:3], v[19:20]
	v_mul_f64 v[19:20], v[0:1], v[19:20]
	s_waitcnt vmcnt(4)
	v_fma_f64 v[0:1], v[0:1], v[21:22], -v[27:28]
	v_fma_f64 v[2:3], v[2:3], v[21:22], v[19:20]
	s_clause 0x3
	buffer_load_dword v19, v4, s[0:3], 0 offen offset:16
	buffer_load_dword v20, v4, s[0:3], 0 offen offset:20
	;; [unrolled: 1-line block ×4, first 2 shown]
	s_waitcnt vmcnt(6)
	v_add_f64 v[0:1], v[23:24], -v[0:1]
	s_waitcnt vmcnt(4)
	v_add_f64 v[2:3], v[25:26], -v[2:3]
	buffer_store_dword v1, v4, s[0:3], 0 offen offset:4
	buffer_store_dword v0, v4, s[0:3], 0 offen
	buffer_store_dword v3, v4, s[0:3], 0 offen offset:12
	buffer_store_dword v2, v4, s[0:3], 0 offen offset:8
	s_clause 0x3
	buffer_load_dword v1, off, s[0:3], 0 offset:188
	buffer_load_dword v0, off, s[0:3], 0 offset:184
	buffer_load_dword v3, off, s[0:3], 0 offset:180
	buffer_load_dword v2, off, s[0:3], 0 offset:176
	s_waitcnt vmcnt(2) lgkmcnt(0)
	v_mul_f64 v[23:24], v[17:18], v[0:1]
	v_mul_f64 v[0:1], v[15:16], v[0:1]
	s_waitcnt vmcnt(0)
	v_fma_f64 v[15:16], v[15:16], v[2:3], -v[23:24]
	v_fma_f64 v[0:1], v[17:18], v[2:3], v[0:1]
	v_add_f64 v[2:3], v[19:20], -v[15:16]
	v_add_f64 v[0:1], v[21:22], -v[0:1]
	s_clause 0x3
	buffer_load_dword v19, v4, s[0:3], 0 offen offset:32
	buffer_load_dword v20, v4, s[0:3], 0 offen offset:36
	;; [unrolled: 1-line block ×4, first 2 shown]
	buffer_store_dword v3, v4, s[0:3], 0 offen offset:20
	buffer_store_dword v2, v4, s[0:3], 0 offen offset:16
	;; [unrolled: 1-line block ×4, first 2 shown]
	s_clause 0x3
	buffer_load_dword v23, off, s[0:3], 0 offset:184
	buffer_load_dword v24, off, s[0:3], 0 offset:188
	;; [unrolled: 1-line block ×4, first 2 shown]
	ds_read2_b64 v[0:3], v10 offset0:4 offset1:5
	ds_read2_b64 v[15:18], v10 offset0:6 offset1:7
	s_waitcnt vmcnt(2) lgkmcnt(1)
	v_mul_f64 v[27:28], v[2:3], v[23:24]
	v_mul_f64 v[23:24], v[0:1], v[23:24]
	s_waitcnt vmcnt(0)
	v_fma_f64 v[0:1], v[0:1], v[25:26], -v[27:28]
	v_fma_f64 v[2:3], v[2:3], v[25:26], v[23:24]
	v_add_f64 v[0:1], v[19:20], -v[0:1]
	v_add_f64 v[2:3], v[21:22], -v[2:3]
	buffer_store_dword v1, v4, s[0:3], 0 offen offset:36
	buffer_store_dword v0, v4, s[0:3], 0 offen offset:32
	;; [unrolled: 1-line block ×4, first 2 shown]
	s_clause 0x7
	buffer_load_dword v0, off, s[0:3], 0 offset:184
	buffer_load_dword v1, off, s[0:3], 0 offset:188
	;; [unrolled: 1-line block ×4, first 2 shown]
	buffer_load_dword v19, v4, s[0:3], 0 offen offset:48
	buffer_load_dword v20, v4, s[0:3], 0 offen offset:52
	;; [unrolled: 1-line block ×4, first 2 shown]
	s_waitcnt vmcnt(6) lgkmcnt(0)
	v_mul_f64 v[23:24], v[17:18], v[0:1]
	v_mul_f64 v[0:1], v[15:16], v[0:1]
	s_waitcnt vmcnt(4)
	v_fma_f64 v[15:16], v[15:16], v[2:3], -v[23:24]
	v_fma_f64 v[0:1], v[17:18], v[2:3], v[0:1]
	s_waitcnt vmcnt(2)
	v_add_f64 v[2:3], v[19:20], -v[15:16]
	s_waitcnt vmcnt(0)
	v_add_f64 v[0:1], v[21:22], -v[0:1]
	buffer_store_dword v3, v4, s[0:3], 0 offen offset:52
	buffer_store_dword v2, v4, s[0:3], 0 offen offset:48
	buffer_store_dword v1, v4, s[0:3], 0 offen offset:60
	buffer_store_dword v0, v4, s[0:3], 0 offen offset:56
	s_clause 0x7
	buffer_load_dword v15, off, s[0:3], 0 offset:184
	buffer_load_dword v16, off, s[0:3], 0 offset:188
	;; [unrolled: 1-line block ×4, first 2 shown]
	buffer_load_dword v19, v4, s[0:3], 0 offen offset:64
	buffer_load_dword v20, v4, s[0:3], 0 offen offset:68
	buffer_load_dword v21, v4, s[0:3], 0 offen offset:72
	buffer_load_dword v22, v4, s[0:3], 0 offen offset:76
	ds_read2_b64 v[0:3], v10 offset0:8 offset1:9
	s_waitcnt vmcnt(6) lgkmcnt(0)
	v_mul_f64 v[23:24], v[2:3], v[15:16]
	v_mul_f64 v[15:16], v[0:1], v[15:16]
	s_waitcnt vmcnt(4)
	v_fma_f64 v[0:1], v[0:1], v[17:18], -v[23:24]
	v_fma_f64 v[2:3], v[2:3], v[17:18], v[15:16]
	s_waitcnt vmcnt(2)
	v_add_f64 v[0:1], v[19:20], -v[0:1]
	s_waitcnt vmcnt(0)
	v_add_f64 v[2:3], v[21:22], -v[2:3]
	buffer_store_dword v1, v4, s[0:3], 0 offen offset:68
	buffer_store_dword v0, v4, s[0:3], 0 offen offset:64
	;; [unrolled: 1-line block ×4, first 2 shown]
	s_cbranch_scc1 .LBB122_298
.LBB122_299:
	s_or_b32 exec_lo, exec_lo, s4
	v_mov_b32_e32 v3, s70
	s_waitcnt_vscnt null, 0x0
	s_barrier
	buffer_gl0_inv
	v_lshl_add_u32 v4, v11, 4, v12
	s_clause 0x3
	buffer_load_dword v0, v3, s[0:3], 0 offen
	buffer_load_dword v1, v3, s[0:3], 0 offen offset:4
	buffer_load_dword v2, v3, s[0:3], 0 offen offset:8
	buffer_load_dword v3, v3, s[0:3], 0 offen offset:12
	s_cmp_lt_i32 s57, 14
	s_waitcnt vmcnt(0)
	ds_write2_b64 v4, v[0:1], v[2:3] offset1:1
	s_waitcnt lgkmcnt(0)
	s_barrier
	buffer_gl0_inv
	ds_read2_b64 v[0:3], v12 offset0:24 offset1:25
	v_mov_b32_e32 v4, 12
	s_cbranch_scc1 .LBB122_302
; %bb.300:
	v_add3_u32 v10, v14, 0, 0xd0
	v_mov_b32_e32 v4, 12
	s_mov_b32 s16, 13
	s_inst_prefetch 0x1
	.p2align	6
.LBB122_301:                            ; =>This Inner Loop Header: Depth=1
	s_waitcnt lgkmcnt(0)
	v_cmp_gt_f64_e32 vcc_lo, 0, v[2:3]
	v_cmp_gt_f64_e64 s4, 0, v[0:1]
	ds_read2_b64 v[15:18], v10 offset1:1
	v_xor_b32_e32 v20, 0x80000000, v1
	v_xor_b32_e32 v22, 0x80000000, v3
	v_mov_b32_e32 v19, v0
	v_mov_b32_e32 v21, v2
	v_add_nc_u32_e32 v10, 16, v10
	s_waitcnt lgkmcnt(0)
	v_xor_b32_e32 v24, 0x80000000, v18
	v_cndmask_b32_e64 v20, v1, v20, s4
	v_cndmask_b32_e32 v22, v3, v22, vcc_lo
	v_cmp_gt_f64_e32 vcc_lo, 0, v[17:18]
	v_cmp_gt_f64_e64 s4, 0, v[15:16]
	v_mov_b32_e32 v23, v17
	v_add_f64 v[19:20], v[19:20], v[21:22]
	v_xor_b32_e32 v22, 0x80000000, v16
	v_mov_b32_e32 v21, v15
	v_cndmask_b32_e32 v24, v18, v24, vcc_lo
	v_cndmask_b32_e64 v22, v16, v22, s4
	v_add_f64 v[21:22], v[21:22], v[23:24]
	v_cmp_lt_f64_e32 vcc_lo, v[19:20], v[21:22]
	v_cndmask_b32_e32 v1, v1, v16, vcc_lo
	v_cndmask_b32_e32 v0, v0, v15, vcc_lo
	;; [unrolled: 1-line block ×4, first 2 shown]
	v_cndmask_b32_e64 v4, v4, s16, vcc_lo
	s_add_i32 s16, s16, 1
	s_cmp_lg_u32 s57, s16
	s_cbranch_scc1 .LBB122_301
.LBB122_302:
	s_inst_prefetch 0x2
	s_waitcnt lgkmcnt(0)
	v_cmp_eq_f64_e32 vcc_lo, 0, v[0:1]
	v_cmp_eq_f64_e64 s4, 0, v[2:3]
	s_and_b32 s4, vcc_lo, s4
	s_and_saveexec_b32 s16, s4
	s_xor_b32 s4, exec_lo, s16
; %bb.303:
	v_cmp_ne_u32_e32 vcc_lo, 0, v13
	v_cndmask_b32_e32 v13, 13, v13, vcc_lo
; %bb.304:
	s_andn2_saveexec_b32 s4, s4
	s_cbranch_execz .LBB122_310
; %bb.305:
	v_cmp_ngt_f64_e64 s16, |v[0:1]|, |v[2:3]|
	s_and_saveexec_b32 s17, s16
	s_xor_b32 s16, exec_lo, s17
	s_cbranch_execz .LBB122_307
; %bb.306:
	v_div_scale_f64 v[15:16], null, v[2:3], v[2:3], v[0:1]
	v_div_scale_f64 v[21:22], vcc_lo, v[0:1], v[2:3], v[0:1]
	v_rcp_f64_e32 v[17:18], v[15:16]
	v_fma_f64 v[19:20], -v[15:16], v[17:18], 1.0
	v_fma_f64 v[17:18], v[17:18], v[19:20], v[17:18]
	v_fma_f64 v[19:20], -v[15:16], v[17:18], 1.0
	v_fma_f64 v[17:18], v[17:18], v[19:20], v[17:18]
	v_mul_f64 v[19:20], v[21:22], v[17:18]
	v_fma_f64 v[15:16], -v[15:16], v[19:20], v[21:22]
	v_div_fmas_f64 v[15:16], v[15:16], v[17:18], v[19:20]
	v_div_fixup_f64 v[15:16], v[15:16], v[2:3], v[0:1]
	v_fma_f64 v[0:1], v[0:1], v[15:16], v[2:3]
	v_div_scale_f64 v[2:3], null, v[0:1], v[0:1], 1.0
	v_rcp_f64_e32 v[17:18], v[2:3]
	v_fma_f64 v[19:20], -v[2:3], v[17:18], 1.0
	v_fma_f64 v[17:18], v[17:18], v[19:20], v[17:18]
	v_fma_f64 v[19:20], -v[2:3], v[17:18], 1.0
	v_fma_f64 v[17:18], v[17:18], v[19:20], v[17:18]
	v_div_scale_f64 v[19:20], vcc_lo, 1.0, v[0:1], 1.0
	v_mul_f64 v[21:22], v[19:20], v[17:18]
	v_fma_f64 v[2:3], -v[2:3], v[21:22], v[19:20]
	v_div_fmas_f64 v[2:3], v[2:3], v[17:18], v[21:22]
	v_div_fixup_f64 v[2:3], v[2:3], v[0:1], 1.0
	v_mul_f64 v[0:1], v[15:16], v[2:3]
	v_xor_b32_e32 v3, 0x80000000, v3
.LBB122_307:
	s_andn2_saveexec_b32 s16, s16
	s_cbranch_execz .LBB122_309
; %bb.308:
	v_div_scale_f64 v[15:16], null, v[0:1], v[0:1], v[2:3]
	v_div_scale_f64 v[21:22], vcc_lo, v[2:3], v[0:1], v[2:3]
	v_rcp_f64_e32 v[17:18], v[15:16]
	v_fma_f64 v[19:20], -v[15:16], v[17:18], 1.0
	v_fma_f64 v[17:18], v[17:18], v[19:20], v[17:18]
	v_fma_f64 v[19:20], -v[15:16], v[17:18], 1.0
	v_fma_f64 v[17:18], v[17:18], v[19:20], v[17:18]
	v_mul_f64 v[19:20], v[21:22], v[17:18]
	v_fma_f64 v[15:16], -v[15:16], v[19:20], v[21:22]
	v_div_fmas_f64 v[15:16], v[15:16], v[17:18], v[19:20]
	v_div_fixup_f64 v[15:16], v[15:16], v[0:1], v[2:3]
	v_fma_f64 v[0:1], v[2:3], v[15:16], v[0:1]
	v_div_scale_f64 v[2:3], null, v[0:1], v[0:1], 1.0
	v_rcp_f64_e32 v[17:18], v[2:3]
	v_fma_f64 v[19:20], -v[2:3], v[17:18], 1.0
	v_fma_f64 v[17:18], v[17:18], v[19:20], v[17:18]
	v_fma_f64 v[19:20], -v[2:3], v[17:18], 1.0
	v_fma_f64 v[17:18], v[17:18], v[19:20], v[17:18]
	v_div_scale_f64 v[19:20], vcc_lo, 1.0, v[0:1], 1.0
	v_mul_f64 v[21:22], v[19:20], v[17:18]
	v_fma_f64 v[2:3], -v[2:3], v[21:22], v[19:20]
	v_div_fmas_f64 v[2:3], v[2:3], v[17:18], v[21:22]
	v_div_fixup_f64 v[0:1], v[2:3], v[0:1], 1.0
	v_mul_f64 v[2:3], v[15:16], -v[0:1]
.LBB122_309:
	s_or_b32 exec_lo, exec_lo, s16
.LBB122_310:
	s_or_b32 exec_lo, exec_lo, s4
	s_mov_b32 s4, exec_lo
	v_cmpx_ne_u32_e64 v11, v4
	s_xor_b32 s4, exec_lo, s4
	s_cbranch_execz .LBB122_316
; %bb.311:
	s_mov_b32 s16, exec_lo
	v_cmpx_eq_u32_e32 12, v11
	s_cbranch_execz .LBB122_315
; %bb.312:
	v_cmp_ne_u32_e32 vcc_lo, 12, v4
	s_xor_b32 s17, s20, -1
	s_and_b32 s56, s17, vcc_lo
	s_and_saveexec_b32 s17, s56
	s_cbranch_execz .LBB122_314
; %bb.313:
	v_ashrrev_i32_e32 v5, 31, v4
	v_lshlrev_b64 v[10:11], 2, v[4:5]
	v_add_co_u32 v10, vcc_lo, v8, v10
	v_add_co_ci_u32_e64 v11, null, v9, v11, vcc_lo
	s_clause 0x1
	global_load_dword v5, v[10:11], off
	global_load_dword v15, v[8:9], off offset:48
	s_waitcnt vmcnt(1)
	global_store_dword v[8:9], v5, off offset:48
	s_waitcnt vmcnt(0)
	global_store_dword v[10:11], v15, off
.LBB122_314:
	s_or_b32 exec_lo, exec_lo, s17
	v_mov_b32_e32 v11, v4
	v_mov_b32_e32 v5, v4
.LBB122_315:
	s_or_b32 exec_lo, exec_lo, s16
.LBB122_316:
	s_andn2_saveexec_b32 s4, s4
	s_cbranch_execz .LBB122_320
; %bb.317:
	s_movk_i32 s16, 0xd0
.LBB122_318:                            ; =>This Inner Loop Header: Depth=1
	v_mov_b32_e32 v4, s16
	s_clause 0x1b
	buffer_load_dword v10, v4, s[0:3], 0 offen
	buffer_load_dword v11, v4, s[0:3], 0 offen offset:4
	buffer_load_dword v15, v4, s[0:3], 0 offen offset:8
	;; [unrolled: 1-line block ×27, first 2 shown]
	v_add_nc_u32_e32 v4, s16, v12
	s_addk_i32 s16, 0x70
	s_waitcnt vmcnt(24)
	ds_write2_b64 v4, v[10:11], v[15:16] offset1:1
	s_waitcnt vmcnt(20)
	ds_write2_b64 v4, v[17:18], v[19:20] offset0:2 offset1:3
	s_waitcnt vmcnt(16)
	ds_write2_b64 v4, v[21:22], v[23:24] offset0:4 offset1:5
	s_waitcnt vmcnt(12)
	ds_write2_b64 v4, v[25:26], v[27:28] offset0:6 offset1:7
	s_waitcnt vmcnt(4)
	ds_write2_b64 v4, v[35:36], v[29:30] offset0:8 offset1:9
	ds_write2_b64 v4, v[33:34], v[31:32] offset0:10 offset1:11
	s_waitcnt vmcnt(0)
	ds_write2_b64 v4, v[39:40], v[37:38] offset0:12 offset1:13
	s_cmpk_eq_i32 s16, 0x3e0
	s_cbranch_scc0 .LBB122_318
; %bb.319:
	v_mov_b32_e32 v11, 12
.LBB122_320:
	s_or_b32 exec_lo, exec_lo, s4
	s_mov_b32 s4, exec_lo
	s_waitcnt lgkmcnt(0)
	s_waitcnt_vscnt null, 0x0
	s_barrier
	buffer_gl0_inv
	v_cmpx_lt_i32_e32 12, v11
	s_cbranch_execz .LBB122_323
; %bb.321:
	s_clause 0x3
	buffer_load_dword v15, off, s[0:3], 0 offset:200
	buffer_load_dword v16, off, s[0:3], 0 offset:204
	;; [unrolled: 1-line block ×4, first 2 shown]
	s_movk_i32 s81, 0xd0
	s_waitcnt vmcnt(2)
	v_mul_f64 v[19:20], v[2:3], v[15:16]
	v_mul_f64 v[15:16], v[0:1], v[15:16]
	s_waitcnt vmcnt(0)
	v_fma_f64 v[0:1], v[0:1], v[17:18], -v[19:20]
	v_fma_f64 v[2:3], v[2:3], v[17:18], v[15:16]
	buffer_store_dword v0, off, s[0:3], 0 offset:192
	buffer_store_dword v1, off, s[0:3], 0 offset:196
	;; [unrolled: 1-line block ×4, first 2 shown]
.LBB122_322:                            ; =>This Inner Loop Header: Depth=1
	s_clause 0x3
	buffer_load_dword v19, off, s[0:3], 0 offset:200
	buffer_load_dword v20, off, s[0:3], 0 offset:204
	;; [unrolled: 1-line block ×4, first 2 shown]
	v_mov_b32_e32 v4, s81
	v_add_nc_u32_e32 v10, s81, v12
	s_addk_i32 s81, 0x70
	s_clause 0x3
	buffer_load_dword v23, v4, s[0:3], 0 offen
	buffer_load_dword v24, v4, s[0:3], 0 offen offset:4
	buffer_load_dword v25, v4, s[0:3], 0 offen offset:8
	;; [unrolled: 1-line block ×3, first 2 shown]
	ds_read2_b64 v[0:3], v10 offset1:1
	s_clause 0x3
	buffer_load_dword v27, v4, s[0:3], 0 offen offset:16
	buffer_load_dword v28, v4, s[0:3], 0 offen offset:20
	;; [unrolled: 1-line block ×4, first 2 shown]
	ds_read2_b64 v[15:18], v10 offset0:2 offset1:3
	s_cmpk_lg_i32 s81, 0x3e0
	s_waitcnt vmcnt(10) lgkmcnt(1)
	v_mul_f64 v[31:32], v[2:3], v[19:20]
	v_mul_f64 v[19:20], v[0:1], v[19:20]
	s_waitcnt vmcnt(8)
	v_fma_f64 v[0:1], v[0:1], v[21:22], -v[31:32]
	v_fma_f64 v[2:3], v[2:3], v[21:22], v[19:20]
	s_waitcnt vmcnt(6)
	v_add_f64 v[0:1], v[23:24], -v[0:1]
	s_waitcnt vmcnt(4)
	v_add_f64 v[2:3], v[25:26], -v[2:3]
	buffer_store_dword v1, v4, s[0:3], 0 offen offset:4
	buffer_store_dword v0, v4, s[0:3], 0 offen
	buffer_store_dword v3, v4, s[0:3], 0 offen offset:12
	buffer_store_dword v2, v4, s[0:3], 0 offen offset:8
	s_clause 0x7
	buffer_load_dword v1, off, s[0:3], 0 offset:204
	buffer_load_dword v0, off, s[0:3], 0 offset:200
	;; [unrolled: 1-line block ×4, first 2 shown]
	buffer_load_dword v19, v4, s[0:3], 0 offen offset:32
	buffer_load_dword v20, v4, s[0:3], 0 offen offset:36
	;; [unrolled: 1-line block ×4, first 2 shown]
	s_waitcnt vmcnt(6) lgkmcnt(0)
	v_mul_f64 v[23:24], v[17:18], v[0:1]
	v_mul_f64 v[0:1], v[15:16], v[0:1]
	s_waitcnt vmcnt(4)
	v_fma_f64 v[15:16], v[15:16], v[2:3], -v[23:24]
	v_fma_f64 v[0:1], v[17:18], v[2:3], v[0:1]
	v_add_f64 v[2:3], v[27:28], -v[15:16]
	v_add_f64 v[0:1], v[29:30], -v[0:1]
	buffer_store_dword v3, v4, s[0:3], 0 offen offset:20
	buffer_store_dword v2, v4, s[0:3], 0 offen offset:16
	;; [unrolled: 1-line block ×4, first 2 shown]
	s_clause 0x3
	buffer_load_dword v23, off, s[0:3], 0 offset:200
	buffer_load_dword v24, off, s[0:3], 0 offset:204
	;; [unrolled: 1-line block ×4, first 2 shown]
	ds_read2_b64 v[0:3], v10 offset0:4 offset1:5
	ds_read2_b64 v[15:18], v10 offset0:6 offset1:7
	s_waitcnt vmcnt(2) lgkmcnt(1)
	v_mul_f64 v[27:28], v[2:3], v[23:24]
	v_mul_f64 v[23:24], v[0:1], v[23:24]
	s_waitcnt vmcnt(0)
	v_fma_f64 v[0:1], v[0:1], v[25:26], -v[27:28]
	v_fma_f64 v[2:3], v[2:3], v[25:26], v[23:24]
	v_add_f64 v[0:1], v[19:20], -v[0:1]
	v_add_f64 v[2:3], v[21:22], -v[2:3]
	buffer_store_dword v1, v4, s[0:3], 0 offen offset:36
	buffer_store_dword v0, v4, s[0:3], 0 offen offset:32
	;; [unrolled: 1-line block ×4, first 2 shown]
	s_clause 0x7
	buffer_load_dword v0, off, s[0:3], 0 offset:200
	buffer_load_dword v1, off, s[0:3], 0 offset:204
	;; [unrolled: 1-line block ×4, first 2 shown]
	buffer_load_dword v19, v4, s[0:3], 0 offen offset:48
	buffer_load_dword v20, v4, s[0:3], 0 offen offset:52
	;; [unrolled: 1-line block ×4, first 2 shown]
	s_waitcnt vmcnt(6) lgkmcnt(0)
	v_mul_f64 v[23:24], v[17:18], v[0:1]
	v_mul_f64 v[0:1], v[15:16], v[0:1]
	s_waitcnt vmcnt(4)
	v_fma_f64 v[15:16], v[15:16], v[2:3], -v[23:24]
	v_fma_f64 v[0:1], v[17:18], v[2:3], v[0:1]
	s_waitcnt vmcnt(2)
	v_add_f64 v[2:3], v[19:20], -v[15:16]
	s_waitcnt vmcnt(0)
	v_add_f64 v[0:1], v[21:22], -v[0:1]
	buffer_store_dword v3, v4, s[0:3], 0 offen offset:52
	buffer_store_dword v2, v4, s[0:3], 0 offen offset:48
	;; [unrolled: 1-line block ×4, first 2 shown]
	s_clause 0x7
	buffer_load_dword v19, off, s[0:3], 0 offset:200
	buffer_load_dword v20, off, s[0:3], 0 offset:204
	buffer_load_dword v21, off, s[0:3], 0 offset:192
	buffer_load_dword v22, off, s[0:3], 0 offset:196
	buffer_load_dword v23, v4, s[0:3], 0 offen offset:64
	buffer_load_dword v24, v4, s[0:3], 0 offen offset:68
	;; [unrolled: 1-line block ×4, first 2 shown]
	ds_read2_b64 v[0:3], v10 offset0:8 offset1:9
	ds_read2_b64 v[15:18], v10 offset0:10 offset1:11
	s_waitcnt vmcnt(6) lgkmcnt(1)
	v_mul_f64 v[27:28], v[2:3], v[19:20]
	v_mul_f64 v[19:20], v[0:1], v[19:20]
	s_waitcnt vmcnt(4)
	v_fma_f64 v[0:1], v[0:1], v[21:22], -v[27:28]
	v_fma_f64 v[2:3], v[2:3], v[21:22], v[19:20]
	s_waitcnt vmcnt(2)
	v_add_f64 v[0:1], v[23:24], -v[0:1]
	s_waitcnt vmcnt(0)
	v_add_f64 v[2:3], v[25:26], -v[2:3]
	buffer_store_dword v1, v4, s[0:3], 0 offen offset:68
	buffer_store_dword v0, v4, s[0:3], 0 offen offset:64
	;; [unrolled: 1-line block ×4, first 2 shown]
	s_clause 0x7
	buffer_load_dword v0, off, s[0:3], 0 offset:200
	buffer_load_dword v1, off, s[0:3], 0 offset:204
	buffer_load_dword v2, off, s[0:3], 0 offset:192
	buffer_load_dword v3, off, s[0:3], 0 offset:196
	buffer_load_dword v19, v4, s[0:3], 0 offen offset:80
	buffer_load_dword v20, v4, s[0:3], 0 offen offset:84
	;; [unrolled: 1-line block ×4, first 2 shown]
	s_waitcnt vmcnt(6) lgkmcnt(0)
	v_mul_f64 v[23:24], v[17:18], v[0:1]
	v_mul_f64 v[0:1], v[15:16], v[0:1]
	s_waitcnt vmcnt(4)
	v_fma_f64 v[15:16], v[15:16], v[2:3], -v[23:24]
	v_fma_f64 v[0:1], v[17:18], v[2:3], v[0:1]
	s_waitcnt vmcnt(2)
	v_add_f64 v[2:3], v[19:20], -v[15:16]
	s_waitcnt vmcnt(0)
	v_add_f64 v[0:1], v[21:22], -v[0:1]
	buffer_store_dword v3, v4, s[0:3], 0 offen offset:84
	buffer_store_dword v2, v4, s[0:3], 0 offen offset:80
	;; [unrolled: 1-line block ×4, first 2 shown]
	s_clause 0x7
	buffer_load_dword v15, off, s[0:3], 0 offset:200
	buffer_load_dword v16, off, s[0:3], 0 offset:204
	;; [unrolled: 1-line block ×4, first 2 shown]
	buffer_load_dword v19, v4, s[0:3], 0 offen offset:96
	buffer_load_dword v20, v4, s[0:3], 0 offen offset:100
	;; [unrolled: 1-line block ×4, first 2 shown]
	ds_read2_b64 v[0:3], v10 offset0:12 offset1:13
	s_waitcnt vmcnt(6) lgkmcnt(0)
	v_mul_f64 v[23:24], v[2:3], v[15:16]
	v_mul_f64 v[15:16], v[0:1], v[15:16]
	s_waitcnt vmcnt(4)
	v_fma_f64 v[0:1], v[0:1], v[17:18], -v[23:24]
	v_fma_f64 v[2:3], v[2:3], v[17:18], v[15:16]
	s_waitcnt vmcnt(2)
	v_add_f64 v[0:1], v[19:20], -v[0:1]
	s_waitcnt vmcnt(0)
	v_add_f64 v[2:3], v[21:22], -v[2:3]
	buffer_store_dword v1, v4, s[0:3], 0 offen offset:100
	buffer_store_dword v0, v4, s[0:3], 0 offen offset:96
	;; [unrolled: 1-line block ×4, first 2 shown]
	s_cbranch_scc1 .LBB122_322
.LBB122_323:
	s_or_b32 exec_lo, exec_lo, s4
	v_mov_b32_e32 v3, s69
	s_waitcnt_vscnt null, 0x0
	s_barrier
	buffer_gl0_inv
	v_lshl_add_u32 v4, v11, 4, v12
	s_clause 0x3
	buffer_load_dword v0, v3, s[0:3], 0 offen
	buffer_load_dword v1, v3, s[0:3], 0 offen offset:4
	buffer_load_dword v2, v3, s[0:3], 0 offen offset:8
	buffer_load_dword v3, v3, s[0:3], 0 offen offset:12
	s_cmp_lt_i32 s57, 15
	s_waitcnt vmcnt(0)
	ds_write2_b64 v4, v[0:1], v[2:3] offset1:1
	s_waitcnt lgkmcnt(0)
	s_barrier
	buffer_gl0_inv
	ds_read2_b64 v[0:3], v12 offset0:26 offset1:27
	v_mov_b32_e32 v4, 13
	s_cbranch_scc1 .LBB122_326
; %bb.324:
	v_add3_u32 v10, v14, 0, 0xe0
	v_mov_b32_e32 v4, 13
	s_mov_b32 s16, 14
	s_inst_prefetch 0x1
	.p2align	6
.LBB122_325:                            ; =>This Inner Loop Header: Depth=1
	s_waitcnt lgkmcnt(0)
	v_cmp_gt_f64_e32 vcc_lo, 0, v[2:3]
	v_cmp_gt_f64_e64 s4, 0, v[0:1]
	ds_read2_b64 v[15:18], v10 offset1:1
	v_xor_b32_e32 v20, 0x80000000, v1
	v_xor_b32_e32 v22, 0x80000000, v3
	v_mov_b32_e32 v19, v0
	v_mov_b32_e32 v21, v2
	v_add_nc_u32_e32 v10, 16, v10
	s_waitcnt lgkmcnt(0)
	v_xor_b32_e32 v24, 0x80000000, v18
	v_cndmask_b32_e64 v20, v1, v20, s4
	v_cndmask_b32_e32 v22, v3, v22, vcc_lo
	v_cmp_gt_f64_e32 vcc_lo, 0, v[17:18]
	v_cmp_gt_f64_e64 s4, 0, v[15:16]
	v_mov_b32_e32 v23, v17
	v_add_f64 v[19:20], v[19:20], v[21:22]
	v_xor_b32_e32 v22, 0x80000000, v16
	v_mov_b32_e32 v21, v15
	v_cndmask_b32_e32 v24, v18, v24, vcc_lo
	v_cndmask_b32_e64 v22, v16, v22, s4
	v_add_f64 v[21:22], v[21:22], v[23:24]
	v_cmp_lt_f64_e32 vcc_lo, v[19:20], v[21:22]
	v_cndmask_b32_e32 v1, v1, v16, vcc_lo
	v_cndmask_b32_e32 v0, v0, v15, vcc_lo
	;; [unrolled: 1-line block ×4, first 2 shown]
	v_cndmask_b32_e64 v4, v4, s16, vcc_lo
	s_add_i32 s16, s16, 1
	s_cmp_lg_u32 s57, s16
	s_cbranch_scc1 .LBB122_325
.LBB122_326:
	s_inst_prefetch 0x2
	s_waitcnt lgkmcnt(0)
	v_cmp_eq_f64_e32 vcc_lo, 0, v[0:1]
	v_cmp_eq_f64_e64 s4, 0, v[2:3]
	s_and_b32 s4, vcc_lo, s4
	s_and_saveexec_b32 s16, s4
	s_xor_b32 s4, exec_lo, s16
; %bb.327:
	v_cmp_ne_u32_e32 vcc_lo, 0, v13
	v_cndmask_b32_e32 v13, 14, v13, vcc_lo
; %bb.328:
	s_andn2_saveexec_b32 s4, s4
	s_cbranch_execz .LBB122_334
; %bb.329:
	v_cmp_ngt_f64_e64 s16, |v[0:1]|, |v[2:3]|
	s_and_saveexec_b32 s17, s16
	s_xor_b32 s16, exec_lo, s17
	s_cbranch_execz .LBB122_331
; %bb.330:
	v_div_scale_f64 v[15:16], null, v[2:3], v[2:3], v[0:1]
	v_div_scale_f64 v[21:22], vcc_lo, v[0:1], v[2:3], v[0:1]
	v_rcp_f64_e32 v[17:18], v[15:16]
	v_fma_f64 v[19:20], -v[15:16], v[17:18], 1.0
	v_fma_f64 v[17:18], v[17:18], v[19:20], v[17:18]
	v_fma_f64 v[19:20], -v[15:16], v[17:18], 1.0
	v_fma_f64 v[17:18], v[17:18], v[19:20], v[17:18]
	v_mul_f64 v[19:20], v[21:22], v[17:18]
	v_fma_f64 v[15:16], -v[15:16], v[19:20], v[21:22]
	v_div_fmas_f64 v[15:16], v[15:16], v[17:18], v[19:20]
	v_div_fixup_f64 v[15:16], v[15:16], v[2:3], v[0:1]
	v_fma_f64 v[0:1], v[0:1], v[15:16], v[2:3]
	v_div_scale_f64 v[2:3], null, v[0:1], v[0:1], 1.0
	v_rcp_f64_e32 v[17:18], v[2:3]
	v_fma_f64 v[19:20], -v[2:3], v[17:18], 1.0
	v_fma_f64 v[17:18], v[17:18], v[19:20], v[17:18]
	v_fma_f64 v[19:20], -v[2:3], v[17:18], 1.0
	v_fma_f64 v[17:18], v[17:18], v[19:20], v[17:18]
	v_div_scale_f64 v[19:20], vcc_lo, 1.0, v[0:1], 1.0
	v_mul_f64 v[21:22], v[19:20], v[17:18]
	v_fma_f64 v[2:3], -v[2:3], v[21:22], v[19:20]
	v_div_fmas_f64 v[2:3], v[2:3], v[17:18], v[21:22]
	v_div_fixup_f64 v[2:3], v[2:3], v[0:1], 1.0
	v_mul_f64 v[0:1], v[15:16], v[2:3]
	v_xor_b32_e32 v3, 0x80000000, v3
.LBB122_331:
	s_andn2_saveexec_b32 s16, s16
	s_cbranch_execz .LBB122_333
; %bb.332:
	v_div_scale_f64 v[15:16], null, v[0:1], v[0:1], v[2:3]
	v_div_scale_f64 v[21:22], vcc_lo, v[2:3], v[0:1], v[2:3]
	v_rcp_f64_e32 v[17:18], v[15:16]
	v_fma_f64 v[19:20], -v[15:16], v[17:18], 1.0
	v_fma_f64 v[17:18], v[17:18], v[19:20], v[17:18]
	v_fma_f64 v[19:20], -v[15:16], v[17:18], 1.0
	v_fma_f64 v[17:18], v[17:18], v[19:20], v[17:18]
	v_mul_f64 v[19:20], v[21:22], v[17:18]
	v_fma_f64 v[15:16], -v[15:16], v[19:20], v[21:22]
	v_div_fmas_f64 v[15:16], v[15:16], v[17:18], v[19:20]
	v_div_fixup_f64 v[15:16], v[15:16], v[0:1], v[2:3]
	v_fma_f64 v[0:1], v[2:3], v[15:16], v[0:1]
	v_div_scale_f64 v[2:3], null, v[0:1], v[0:1], 1.0
	v_rcp_f64_e32 v[17:18], v[2:3]
	v_fma_f64 v[19:20], -v[2:3], v[17:18], 1.0
	v_fma_f64 v[17:18], v[17:18], v[19:20], v[17:18]
	v_fma_f64 v[19:20], -v[2:3], v[17:18], 1.0
	v_fma_f64 v[17:18], v[17:18], v[19:20], v[17:18]
	v_div_scale_f64 v[19:20], vcc_lo, 1.0, v[0:1], 1.0
	v_mul_f64 v[21:22], v[19:20], v[17:18]
	v_fma_f64 v[2:3], -v[2:3], v[21:22], v[19:20]
	v_div_fmas_f64 v[2:3], v[2:3], v[17:18], v[21:22]
	v_div_fixup_f64 v[0:1], v[2:3], v[0:1], 1.0
	v_mul_f64 v[2:3], v[15:16], -v[0:1]
.LBB122_333:
	s_or_b32 exec_lo, exec_lo, s16
.LBB122_334:
	s_or_b32 exec_lo, exec_lo, s4
	s_mov_b32 s4, exec_lo
	v_cmpx_ne_u32_e64 v11, v4
	s_xor_b32 s4, exec_lo, s4
	s_cbranch_execz .LBB122_340
; %bb.335:
	s_mov_b32 s16, exec_lo
	v_cmpx_eq_u32_e32 13, v11
	s_cbranch_execz .LBB122_339
; %bb.336:
	v_cmp_ne_u32_e32 vcc_lo, 13, v4
	s_xor_b32 s17, s20, -1
	s_and_b32 s56, s17, vcc_lo
	s_and_saveexec_b32 s17, s56
	s_cbranch_execz .LBB122_338
; %bb.337:
	v_ashrrev_i32_e32 v5, 31, v4
	v_lshlrev_b64 v[10:11], 2, v[4:5]
	v_add_co_u32 v10, vcc_lo, v8, v10
	v_add_co_ci_u32_e64 v11, null, v9, v11, vcc_lo
	s_clause 0x1
	global_load_dword v5, v[10:11], off
	global_load_dword v15, v[8:9], off offset:52
	s_waitcnt vmcnt(1)
	global_store_dword v[8:9], v5, off offset:52
	s_waitcnt vmcnt(0)
	global_store_dword v[10:11], v15, off
.LBB122_338:
	s_or_b32 exec_lo, exec_lo, s17
	v_mov_b32_e32 v11, v4
	v_mov_b32_e32 v5, v4
.LBB122_339:
	s_or_b32 exec_lo, exec_lo, s16
.LBB122_340:
	s_andn2_saveexec_b32 s4, s4
	s_cbranch_execz .LBB122_344
; %bb.341:
	s_movk_i32 s81, 0xe0
.LBB122_342:                            ; =>This Inner Loop Header: Depth=1
	v_mov_b32_e32 v4, s81
	s_clause 0x3e
	buffer_load_dword v10, v4, s[0:3], 0 offen
	buffer_load_dword v11, v4, s[0:3], 0 offen offset:4
	buffer_load_dword v15, v4, s[0:3], 0 offen offset:8
	;; [unrolled: 1-line block ×63, first 2 shown]
	v_add_nc_u32_e32 v4, s81, v12
	s_addk_i32 s81, 0x100
	s_waitcnt vmcnt(60)
	ds_write2_b64 v4, v[10:11], v[15:16] offset1:1
	s_waitcnt vmcnt(56)
	ds_write2_b64 v4, v[17:18], v[19:20] offset0:2 offset1:3
	s_waitcnt vmcnt(52)
	ds_write2_b64 v4, v[21:22], v[23:24] offset0:4 offset1:5
	;; [unrolled: 2-line block ×4, first 2 shown]
	ds_write2_b64 v4, v[33:34], v[31:32] offset0:10 offset1:11
	s_waitcnt vmcnt(32)
	ds_write2_b64 v4, v[43:44], v[37:38] offset0:12 offset1:13
	ds_write2_b64 v4, v[41:42], v[39:40] offset0:14 offset1:15
	s_waitcnt vmcnt(28)
	ds_write2_b64 v4, v[45:46], v[47:48] offset0:16 offset1:17
	s_waitcnt vmcnt(24)
	;; [unrolled: 2-line block ×8, first 2 shown]
	ds_write2_b64 v4, v[73:74], v[75:76] offset0:30 offset1:31
	s_cmpk_eq_i32 s81, 0x3e0
	s_cbranch_scc0 .LBB122_342
; %bb.343:
	v_mov_b32_e32 v11, 13
.LBB122_344:
	s_or_b32 exec_lo, exec_lo, s4
	s_mov_b32 s4, exec_lo
	s_waitcnt lgkmcnt(0)
	s_waitcnt_vscnt null, 0x0
	s_barrier
	buffer_gl0_inv
	v_cmpx_lt_i32_e32 13, v11
	s_cbranch_execz .LBB122_347
; %bb.345:
	s_clause 0x3
	buffer_load_dword v15, off, s[0:3], 0 offset:216
	buffer_load_dword v16, off, s[0:3], 0 offset:220
	;; [unrolled: 1-line block ×4, first 2 shown]
	s_movk_i32 s81, 0xe0
	s_waitcnt vmcnt(2)
	v_mul_f64 v[19:20], v[2:3], v[15:16]
	v_mul_f64 v[15:16], v[0:1], v[15:16]
	s_waitcnt vmcnt(0)
	v_fma_f64 v[0:1], v[0:1], v[17:18], -v[19:20]
	v_fma_f64 v[2:3], v[2:3], v[17:18], v[15:16]
	buffer_store_dword v0, off, s[0:3], 0 offset:208
	buffer_store_dword v1, off, s[0:3], 0 offset:212
	;; [unrolled: 1-line block ×4, first 2 shown]
.LBB122_346:                            ; =>This Inner Loop Header: Depth=1
	s_clause 0x3
	buffer_load_dword v19, off, s[0:3], 0 offset:216
	buffer_load_dword v20, off, s[0:3], 0 offset:220
	;; [unrolled: 1-line block ×4, first 2 shown]
	v_mov_b32_e32 v4, s81
	v_add_nc_u32_e32 v10, s81, v12
	s_addk_i32 s81, 0x60
	s_clause 0x3
	buffer_load_dword v23, v4, s[0:3], 0 offen
	buffer_load_dword v24, v4, s[0:3], 0 offen offset:4
	buffer_load_dword v25, v4, s[0:3], 0 offen offset:8
	;; [unrolled: 1-line block ×3, first 2 shown]
	ds_read2_b64 v[0:3], v10 offset1:1
	s_clause 0x3
	buffer_load_dword v27, v4, s[0:3], 0 offen offset:16
	buffer_load_dword v28, v4, s[0:3], 0 offen offset:20
	;; [unrolled: 1-line block ×4, first 2 shown]
	ds_read2_b64 v[15:18], v10 offset0:2 offset1:3
	s_cmpk_lg_i32 s81, 0x3e0
	s_waitcnt vmcnt(10) lgkmcnt(1)
	v_mul_f64 v[31:32], v[2:3], v[19:20]
	v_mul_f64 v[19:20], v[0:1], v[19:20]
	s_waitcnt vmcnt(8)
	v_fma_f64 v[0:1], v[0:1], v[21:22], -v[31:32]
	v_fma_f64 v[2:3], v[2:3], v[21:22], v[19:20]
	s_waitcnt vmcnt(6)
	v_add_f64 v[0:1], v[23:24], -v[0:1]
	s_waitcnt vmcnt(4)
	v_add_f64 v[2:3], v[25:26], -v[2:3]
	buffer_store_dword v1, v4, s[0:3], 0 offen offset:4
	buffer_store_dword v0, v4, s[0:3], 0 offen
	buffer_store_dword v3, v4, s[0:3], 0 offen offset:12
	buffer_store_dword v2, v4, s[0:3], 0 offen offset:8
	s_clause 0x3
	buffer_load_dword v1, off, s[0:3], 0 offset:220
	buffer_load_dword v0, off, s[0:3], 0 offset:216
	buffer_load_dword v3, off, s[0:3], 0 offset:212
	buffer_load_dword v2, off, s[0:3], 0 offset:208
	s_waitcnt vmcnt(2) lgkmcnt(0)
	v_mul_f64 v[19:20], v[17:18], v[0:1]
	v_mul_f64 v[0:1], v[15:16], v[0:1]
	s_waitcnt vmcnt(0)
	v_fma_f64 v[15:16], v[15:16], v[2:3], -v[19:20]
	v_fma_f64 v[0:1], v[17:18], v[2:3], v[0:1]
	s_clause 0x3
	buffer_load_dword v19, v4, s[0:3], 0 offen offset:32
	buffer_load_dword v20, v4, s[0:3], 0 offen offset:36
	;; [unrolled: 1-line block ×4, first 2 shown]
	v_add_f64 v[2:3], v[27:28], -v[15:16]
	v_add_f64 v[0:1], v[29:30], -v[0:1]
	buffer_store_dword v3, v4, s[0:3], 0 offen offset:20
	buffer_store_dword v2, v4, s[0:3], 0 offen offset:16
	;; [unrolled: 1-line block ×4, first 2 shown]
	s_clause 0x3
	buffer_load_dword v23, off, s[0:3], 0 offset:216
	buffer_load_dword v24, off, s[0:3], 0 offset:220
	;; [unrolled: 1-line block ×4, first 2 shown]
	ds_read2_b64 v[0:3], v10 offset0:4 offset1:5
	ds_read2_b64 v[15:18], v10 offset0:6 offset1:7
	s_waitcnt vmcnt(2) lgkmcnt(1)
	v_mul_f64 v[27:28], v[2:3], v[23:24]
	v_mul_f64 v[23:24], v[0:1], v[23:24]
	s_waitcnt vmcnt(0)
	v_fma_f64 v[0:1], v[0:1], v[25:26], -v[27:28]
	v_fma_f64 v[2:3], v[2:3], v[25:26], v[23:24]
	v_add_f64 v[0:1], v[19:20], -v[0:1]
	v_add_f64 v[2:3], v[21:22], -v[2:3]
	buffer_store_dword v1, v4, s[0:3], 0 offen offset:36
	buffer_store_dword v0, v4, s[0:3], 0 offen offset:32
	;; [unrolled: 1-line block ×4, first 2 shown]
	s_clause 0x7
	buffer_load_dword v0, off, s[0:3], 0 offset:216
	buffer_load_dword v1, off, s[0:3], 0 offset:220
	;; [unrolled: 1-line block ×4, first 2 shown]
	buffer_load_dword v19, v4, s[0:3], 0 offen offset:48
	buffer_load_dword v20, v4, s[0:3], 0 offen offset:52
	;; [unrolled: 1-line block ×4, first 2 shown]
	s_waitcnt vmcnt(6) lgkmcnt(0)
	v_mul_f64 v[23:24], v[17:18], v[0:1]
	v_mul_f64 v[0:1], v[15:16], v[0:1]
	s_waitcnt vmcnt(4)
	v_fma_f64 v[15:16], v[15:16], v[2:3], -v[23:24]
	v_fma_f64 v[0:1], v[17:18], v[2:3], v[0:1]
	s_waitcnt vmcnt(2)
	v_add_f64 v[2:3], v[19:20], -v[15:16]
	s_waitcnt vmcnt(0)
	v_add_f64 v[0:1], v[21:22], -v[0:1]
	buffer_store_dword v3, v4, s[0:3], 0 offen offset:52
	buffer_store_dword v2, v4, s[0:3], 0 offen offset:48
	;; [unrolled: 1-line block ×4, first 2 shown]
	s_clause 0x7
	buffer_load_dword v19, off, s[0:3], 0 offset:216
	buffer_load_dword v20, off, s[0:3], 0 offset:220
	;; [unrolled: 1-line block ×4, first 2 shown]
	buffer_load_dword v23, v4, s[0:3], 0 offen offset:64
	buffer_load_dword v24, v4, s[0:3], 0 offen offset:68
	;; [unrolled: 1-line block ×4, first 2 shown]
	ds_read2_b64 v[0:3], v10 offset0:8 offset1:9
	ds_read2_b64 v[15:18], v10 offset0:10 offset1:11
	s_waitcnt vmcnt(6) lgkmcnt(1)
	v_mul_f64 v[27:28], v[2:3], v[19:20]
	v_mul_f64 v[19:20], v[0:1], v[19:20]
	s_waitcnt vmcnt(4)
	v_fma_f64 v[0:1], v[0:1], v[21:22], -v[27:28]
	v_fma_f64 v[2:3], v[2:3], v[21:22], v[19:20]
	s_waitcnt vmcnt(2)
	v_add_f64 v[0:1], v[23:24], -v[0:1]
	s_waitcnt vmcnt(0)
	v_add_f64 v[2:3], v[25:26], -v[2:3]
	buffer_store_dword v1, v4, s[0:3], 0 offen offset:68
	buffer_store_dword v0, v4, s[0:3], 0 offen offset:64
	;; [unrolled: 1-line block ×4, first 2 shown]
	s_clause 0x7
	buffer_load_dword v0, off, s[0:3], 0 offset:216
	buffer_load_dword v1, off, s[0:3], 0 offset:220
	;; [unrolled: 1-line block ×4, first 2 shown]
	buffer_load_dword v19, v4, s[0:3], 0 offen offset:80
	buffer_load_dword v20, v4, s[0:3], 0 offen offset:84
	;; [unrolled: 1-line block ×4, first 2 shown]
	s_waitcnt vmcnt(6) lgkmcnt(0)
	v_mul_f64 v[23:24], v[17:18], v[0:1]
	v_mul_f64 v[0:1], v[15:16], v[0:1]
	s_waitcnt vmcnt(4)
	v_fma_f64 v[15:16], v[15:16], v[2:3], -v[23:24]
	v_fma_f64 v[0:1], v[17:18], v[2:3], v[0:1]
	s_waitcnt vmcnt(2)
	v_add_f64 v[2:3], v[19:20], -v[15:16]
	s_waitcnt vmcnt(0)
	v_add_f64 v[0:1], v[21:22], -v[0:1]
	buffer_store_dword v3, v4, s[0:3], 0 offen offset:84
	buffer_store_dword v2, v4, s[0:3], 0 offen offset:80
	buffer_store_dword v1, v4, s[0:3], 0 offen offset:92
	buffer_store_dword v0, v4, s[0:3], 0 offen offset:88
	s_cbranch_scc1 .LBB122_346
.LBB122_347:
	s_or_b32 exec_lo, exec_lo, s4
	v_mov_b32_e32 v3, s68
	s_waitcnt_vscnt null, 0x0
	s_barrier
	buffer_gl0_inv
	v_lshl_add_u32 v4, v11, 4, v12
	s_clause 0x3
	buffer_load_dword v0, v3, s[0:3], 0 offen
	buffer_load_dword v1, v3, s[0:3], 0 offen offset:4
	buffer_load_dword v2, v3, s[0:3], 0 offen offset:8
	;; [unrolled: 1-line block ×3, first 2 shown]
	s_cmp_lt_i32 s57, 16
	s_waitcnt vmcnt(0)
	ds_write2_b64 v4, v[0:1], v[2:3] offset1:1
	s_waitcnt lgkmcnt(0)
	s_barrier
	buffer_gl0_inv
	ds_read2_b64 v[0:3], v12 offset0:28 offset1:29
	v_mov_b32_e32 v4, 14
	s_cbranch_scc1 .LBB122_350
; %bb.348:
	v_add3_u32 v10, v14, 0, 0xf0
	v_mov_b32_e32 v4, 14
	s_mov_b32 s16, 15
	s_inst_prefetch 0x1
	.p2align	6
.LBB122_349:                            ; =>This Inner Loop Header: Depth=1
	s_waitcnt lgkmcnt(0)
	v_cmp_gt_f64_e32 vcc_lo, 0, v[2:3]
	v_cmp_gt_f64_e64 s4, 0, v[0:1]
	ds_read2_b64 v[15:18], v10 offset1:1
	v_xor_b32_e32 v20, 0x80000000, v1
	v_xor_b32_e32 v22, 0x80000000, v3
	v_mov_b32_e32 v19, v0
	v_mov_b32_e32 v21, v2
	v_add_nc_u32_e32 v10, 16, v10
	s_waitcnt lgkmcnt(0)
	v_xor_b32_e32 v24, 0x80000000, v18
	v_cndmask_b32_e64 v20, v1, v20, s4
	v_cndmask_b32_e32 v22, v3, v22, vcc_lo
	v_cmp_gt_f64_e32 vcc_lo, 0, v[17:18]
	v_cmp_gt_f64_e64 s4, 0, v[15:16]
	v_mov_b32_e32 v23, v17
	v_add_f64 v[19:20], v[19:20], v[21:22]
	v_xor_b32_e32 v22, 0x80000000, v16
	v_mov_b32_e32 v21, v15
	v_cndmask_b32_e32 v24, v18, v24, vcc_lo
	v_cndmask_b32_e64 v22, v16, v22, s4
	v_add_f64 v[21:22], v[21:22], v[23:24]
	v_cmp_lt_f64_e32 vcc_lo, v[19:20], v[21:22]
	v_cndmask_b32_e32 v1, v1, v16, vcc_lo
	v_cndmask_b32_e32 v0, v0, v15, vcc_lo
	;; [unrolled: 1-line block ×4, first 2 shown]
	v_cndmask_b32_e64 v4, v4, s16, vcc_lo
	s_add_i32 s16, s16, 1
	s_cmp_lg_u32 s57, s16
	s_cbranch_scc1 .LBB122_349
.LBB122_350:
	s_inst_prefetch 0x2
	s_waitcnt lgkmcnt(0)
	v_cmp_eq_f64_e32 vcc_lo, 0, v[0:1]
	v_cmp_eq_f64_e64 s4, 0, v[2:3]
	s_and_b32 s4, vcc_lo, s4
	s_and_saveexec_b32 s16, s4
	s_xor_b32 s4, exec_lo, s16
; %bb.351:
	v_cmp_ne_u32_e32 vcc_lo, 0, v13
	v_cndmask_b32_e32 v13, 15, v13, vcc_lo
; %bb.352:
	s_andn2_saveexec_b32 s4, s4
	s_cbranch_execz .LBB122_358
; %bb.353:
	v_cmp_ngt_f64_e64 s16, |v[0:1]|, |v[2:3]|
	s_and_saveexec_b32 s17, s16
	s_xor_b32 s16, exec_lo, s17
	s_cbranch_execz .LBB122_355
; %bb.354:
	v_div_scale_f64 v[15:16], null, v[2:3], v[2:3], v[0:1]
	v_div_scale_f64 v[21:22], vcc_lo, v[0:1], v[2:3], v[0:1]
	v_rcp_f64_e32 v[17:18], v[15:16]
	v_fma_f64 v[19:20], -v[15:16], v[17:18], 1.0
	v_fma_f64 v[17:18], v[17:18], v[19:20], v[17:18]
	v_fma_f64 v[19:20], -v[15:16], v[17:18], 1.0
	v_fma_f64 v[17:18], v[17:18], v[19:20], v[17:18]
	v_mul_f64 v[19:20], v[21:22], v[17:18]
	v_fma_f64 v[15:16], -v[15:16], v[19:20], v[21:22]
	v_div_fmas_f64 v[15:16], v[15:16], v[17:18], v[19:20]
	v_div_fixup_f64 v[15:16], v[15:16], v[2:3], v[0:1]
	v_fma_f64 v[0:1], v[0:1], v[15:16], v[2:3]
	v_div_scale_f64 v[2:3], null, v[0:1], v[0:1], 1.0
	v_rcp_f64_e32 v[17:18], v[2:3]
	v_fma_f64 v[19:20], -v[2:3], v[17:18], 1.0
	v_fma_f64 v[17:18], v[17:18], v[19:20], v[17:18]
	v_fma_f64 v[19:20], -v[2:3], v[17:18], 1.0
	v_fma_f64 v[17:18], v[17:18], v[19:20], v[17:18]
	v_div_scale_f64 v[19:20], vcc_lo, 1.0, v[0:1], 1.0
	v_mul_f64 v[21:22], v[19:20], v[17:18]
	v_fma_f64 v[2:3], -v[2:3], v[21:22], v[19:20]
	v_div_fmas_f64 v[2:3], v[2:3], v[17:18], v[21:22]
	v_div_fixup_f64 v[2:3], v[2:3], v[0:1], 1.0
	v_mul_f64 v[0:1], v[15:16], v[2:3]
	v_xor_b32_e32 v3, 0x80000000, v3
.LBB122_355:
	s_andn2_saveexec_b32 s16, s16
	s_cbranch_execz .LBB122_357
; %bb.356:
	v_div_scale_f64 v[15:16], null, v[0:1], v[0:1], v[2:3]
	v_div_scale_f64 v[21:22], vcc_lo, v[2:3], v[0:1], v[2:3]
	v_rcp_f64_e32 v[17:18], v[15:16]
	v_fma_f64 v[19:20], -v[15:16], v[17:18], 1.0
	v_fma_f64 v[17:18], v[17:18], v[19:20], v[17:18]
	v_fma_f64 v[19:20], -v[15:16], v[17:18], 1.0
	v_fma_f64 v[17:18], v[17:18], v[19:20], v[17:18]
	v_mul_f64 v[19:20], v[21:22], v[17:18]
	v_fma_f64 v[15:16], -v[15:16], v[19:20], v[21:22]
	v_div_fmas_f64 v[15:16], v[15:16], v[17:18], v[19:20]
	v_div_fixup_f64 v[15:16], v[15:16], v[0:1], v[2:3]
	v_fma_f64 v[0:1], v[2:3], v[15:16], v[0:1]
	v_div_scale_f64 v[2:3], null, v[0:1], v[0:1], 1.0
	v_rcp_f64_e32 v[17:18], v[2:3]
	v_fma_f64 v[19:20], -v[2:3], v[17:18], 1.0
	v_fma_f64 v[17:18], v[17:18], v[19:20], v[17:18]
	v_fma_f64 v[19:20], -v[2:3], v[17:18], 1.0
	v_fma_f64 v[17:18], v[17:18], v[19:20], v[17:18]
	v_div_scale_f64 v[19:20], vcc_lo, 1.0, v[0:1], 1.0
	v_mul_f64 v[21:22], v[19:20], v[17:18]
	v_fma_f64 v[2:3], -v[2:3], v[21:22], v[19:20]
	v_div_fmas_f64 v[2:3], v[2:3], v[17:18], v[21:22]
	v_div_fixup_f64 v[0:1], v[2:3], v[0:1], 1.0
	v_mul_f64 v[2:3], v[15:16], -v[0:1]
.LBB122_357:
	s_or_b32 exec_lo, exec_lo, s16
.LBB122_358:
	s_or_b32 exec_lo, exec_lo, s4
	s_mov_b32 s4, exec_lo
	v_cmpx_ne_u32_e64 v11, v4
	s_xor_b32 s4, exec_lo, s4
	s_cbranch_execz .LBB122_364
; %bb.359:
	s_mov_b32 s16, exec_lo
	v_cmpx_eq_u32_e32 14, v11
	s_cbranch_execz .LBB122_363
; %bb.360:
	v_cmp_ne_u32_e32 vcc_lo, 14, v4
	s_xor_b32 s17, s20, -1
	s_and_b32 s56, s17, vcc_lo
	s_and_saveexec_b32 s17, s56
	s_cbranch_execz .LBB122_362
; %bb.361:
	v_ashrrev_i32_e32 v5, 31, v4
	v_lshlrev_b64 v[10:11], 2, v[4:5]
	v_add_co_u32 v10, vcc_lo, v8, v10
	v_add_co_ci_u32_e64 v11, null, v9, v11, vcc_lo
	s_clause 0x1
	global_load_dword v5, v[10:11], off
	global_load_dword v15, v[8:9], off offset:56
	s_waitcnt vmcnt(1)
	global_store_dword v[8:9], v5, off offset:56
	s_waitcnt vmcnt(0)
	global_store_dword v[10:11], v15, off
.LBB122_362:
	s_or_b32 exec_lo, exec_lo, s17
	v_mov_b32_e32 v11, v4
	v_mov_b32_e32 v5, v4
.LBB122_363:
	s_or_b32 exec_lo, exec_lo, s16
.LBB122_364:
	s_andn2_saveexec_b32 s4, s4
	s_cbranch_execz .LBB122_370
; %bb.365:
	s_movk_i32 s16, 0xf0
	s_branch .LBB122_367
.LBB122_366:                            ;   in Loop: Header=BB122_367 Depth=1
	s_andn2_b32 vcc_lo, exec_lo, s56
	s_cbranch_vccz .LBB122_369
.LBB122_367:                            ; =>This Inner Loop Header: Depth=1
	v_mov_b32_e32 v4, s16
	s_mov_b32 s17, s16
	s_mov_b32 s56, -1
	s_cmpk_eq_i32 s16, 0x370
	s_clause 0x1b
	buffer_load_dword v10, v4, s[0:3], 0 offen
	buffer_load_dword v11, v4, s[0:3], 0 offen offset:4
	buffer_load_dword v15, v4, s[0:3], 0 offen offset:8
	;; [unrolled: 1-line block ×27, first 2 shown]
	v_add_nc_u32_e32 v4, s16, v12
	s_waitcnt vmcnt(24)
	ds_write2_b64 v4, v[10:11], v[15:16] offset1:1
	s_waitcnt vmcnt(20)
	ds_write2_b64 v4, v[17:18], v[19:20] offset0:2 offset1:3
	s_waitcnt vmcnt(16)
	ds_write2_b64 v4, v[21:22], v[23:24] offset0:4 offset1:5
	;; [unrolled: 2-line block ×4, first 2 shown]
	ds_write2_b64 v4, v[33:34], v[31:32] offset0:10 offset1:11
	s_waitcnt vmcnt(0)
	ds_write2_b64 v4, v[39:40], v[37:38] offset0:12 offset1:13
	s_cbranch_scc1 .LBB122_366
; %bb.368:                              ;   in Loop: Header=BB122_367 Depth=1
	v_mov_b32_e32 v16, s17
	s_addk_i32 s16, 0x80
	s_mov_b32 s56, 0
	s_clause 0x3
	buffer_load_dword v10, v16, s[0:3], 0 offen offset:112
	buffer_load_dword v11, v16, s[0:3], 0 offen offset:116
	;; [unrolled: 1-line block ×4, first 2 shown]
	s_waitcnt vmcnt(0)
	ds_write2_b64 v4, v[10:11], v[15:16] offset0:14 offset1:15
	s_branch .LBB122_366
.LBB122_369:
	v_mov_b32_e32 v11, 14
.LBB122_370:
	s_or_b32 exec_lo, exec_lo, s4
	s_mov_b32 s4, exec_lo
	s_waitcnt lgkmcnt(0)
	s_waitcnt_vscnt null, 0x0
	s_barrier
	buffer_gl0_inv
	v_cmpx_lt_i32_e32 14, v11
	s_cbranch_execz .LBB122_375
; %bb.371:
	s_clause 0x3
	buffer_load_dword v15, off, s[0:3], 0 offset:232
	buffer_load_dword v16, off, s[0:3], 0 offset:236
	;; [unrolled: 1-line block ×4, first 2 shown]
	s_movk_i32 s81, 0xf0
	s_waitcnt vmcnt(2)
	v_mul_f64 v[19:20], v[2:3], v[15:16]
	v_mul_f64 v[15:16], v[0:1], v[15:16]
	s_waitcnt vmcnt(0)
	v_fma_f64 v[0:1], v[0:1], v[17:18], -v[19:20]
	v_fma_f64 v[2:3], v[2:3], v[17:18], v[15:16]
	buffer_store_dword v0, off, s[0:3], 0 offset:224
	buffer_store_dword v1, off, s[0:3], 0 offset:228
	;; [unrolled: 1-line block ×4, first 2 shown]
	s_branch .LBB122_373
.LBB122_372:                            ;   in Loop: Header=BB122_373 Depth=1
	s_andn2_b32 vcc_lo, exec_lo, s17
	s_cbranch_vccz .LBB122_375
.LBB122_373:                            ; =>This Inner Loop Header: Depth=1
	v_mov_b32_e32 v10, s81
	v_add_nc_u32_e32 v4, s81, v12
	s_mov_b32 s16, s81
	s_mov_b32 s17, -1
	s_cmpk_eq_i32 s81, 0x3b0
	s_clause 0x3
	buffer_load_dword v23, v10, s[0:3], 0 offen
	buffer_load_dword v24, v10, s[0:3], 0 offen offset:4
	buffer_load_dword v25, v10, s[0:3], 0 offen offset:8
	;; [unrolled: 1-line block ×3, first 2 shown]
	ds_read2_b64 v[15:18], v4 offset1:1
	ds_read2_b64 v[19:22], v4 offset0:2 offset1:3
	s_waitcnt vmcnt(5) lgkmcnt(1)
	v_mul_f64 v[27:28], v[17:18], v[2:3]
	v_mul_f64 v[2:3], v[15:16], v[2:3]
	s_waitcnt vmcnt(4)
	v_fma_f64 v[15:16], v[15:16], v[0:1], -v[27:28]
	v_fma_f64 v[0:1], v[17:18], v[0:1], v[2:3]
	s_clause 0x2
	buffer_load_dword v2, v10, s[0:3], 0 offen offset:20
	buffer_load_dword v17, v10, s[0:3], 0 offen offset:28
	;; [unrolled: 1-line block ×3, first 2 shown]
	s_waitcnt vmcnt(5)
	v_add_f64 v[15:16], v[23:24], -v[15:16]
	s_waitcnt vmcnt(3)
	v_add_f64 v[0:1], v[25:26], -v[0:1]
	buffer_store_dword v16, v10, s[0:3], 0 offen offset:4
	buffer_store_dword v15, v10, s[0:3], 0 offen
	buffer_store_dword v1, v10, s[0:3], 0 offen offset:12
	buffer_store_dword v0, v10, s[0:3], 0 offen offset:8
	s_clause 0x6
	buffer_load_dword v16, v10, s[0:3], 0 offen offset:24
	buffer_load_dword v23, v10, s[0:3], 0 offen offset:36
	buffer_load_dword v25, off, s[0:3], 0 offset:236
	buffer_load_dword v24, off, s[0:3], 0 offset:232
	buffer_load_dword v27, off, s[0:3], 0 offset:228
	buffer_load_dword v26, off, s[0:3], 0 offset:224
	buffer_load_dword v1, v10, s[0:3], 0 offen offset:16
	s_waitcnt vmcnt(3) lgkmcnt(0)
	v_mul_f64 v[28:29], v[21:22], v[24:25]
	v_mul_f64 v[24:25], v[19:20], v[24:25]
	s_waitcnt vmcnt(1)
	v_fma_f64 v[19:20], v[19:20], v[26:27], -v[28:29]
	v_fma_f64 v[21:22], v[21:22], v[26:27], v[24:25]
	s_waitcnt vmcnt(0)
	v_add_f64 v[0:1], v[1:2], -v[19:20]
	v_add_f64 v[2:3], v[16:17], -v[21:22]
	buffer_store_dword v1, v10, s[0:3], 0 offen offset:20
	buffer_store_dword v0, v10, s[0:3], 0 offen offset:16
	;; [unrolled: 1-line block ×4, first 2 shown]
	s_clause 0x5
	buffer_load_dword v19, v10, s[0:3], 0 offen offset:44
	buffer_load_dword v15, off, s[0:3], 0 offset:232
	buffer_load_dword v16, off, s[0:3], 0 offset:236
	;; [unrolled: 1-line block ×4, first 2 shown]
	buffer_load_dword v22, v10, s[0:3], 0 offen offset:32
	ds_read2_b64 v[0:3], v4 offset0:4 offset1:5
	s_waitcnt vmcnt(3) lgkmcnt(0)
	v_mul_f64 v[24:25], v[2:3], v[15:16]
	v_mul_f64 v[15:16], v[0:1], v[15:16]
	s_waitcnt vmcnt(1)
	v_fma_f64 v[0:1], v[0:1], v[20:21], -v[24:25]
	v_fma_f64 v[2:3], v[2:3], v[20:21], v[15:16]
	s_waitcnt vmcnt(0)
	v_add_f64 v[0:1], v[22:23], -v[0:1]
	v_add_f64 v[2:3], v[18:19], -v[2:3]
	buffer_store_dword v1, v10, s[0:3], 0 offen offset:36
	buffer_store_dword v0, v10, s[0:3], 0 offen offset:32
	buffer_store_dword v3, v10, s[0:3], 0 offen offset:44
	buffer_store_dword v2, v10, s[0:3], 0 offen offset:40
                                        ; implicit-def: $vgpr0_vgpr1
                                        ; implicit-def: $vgpr2_vgpr3
	s_cbranch_scc1 .LBB122_372
; %bb.374:                              ;   in Loop: Header=BB122_373 Depth=1
	s_clause 0x3
	buffer_load_dword v15, off, s[0:3], 0 offset:232
	buffer_load_dword v16, off, s[0:3], 0 offset:236
	;; [unrolled: 1-line block ×4, first 2 shown]
	v_mov_b32_e32 v10, s16
	s_add_i32 s81, s81, 64
	s_mov_b32 s17, 0
	s_clause 0x3
	buffer_load_dword v19, v10, s[0:3], 0 offen offset:48
	buffer_load_dword v20, v10, s[0:3], 0 offen offset:52
	;; [unrolled: 1-line block ×4, first 2 shown]
	ds_read2_b64 v[0:3], v4 offset0:6 offset1:7
	s_waitcnt vmcnt(6) lgkmcnt(0)
	v_mul_f64 v[23:24], v[2:3], v[15:16]
	v_mul_f64 v[15:16], v[0:1], v[15:16]
	s_waitcnt vmcnt(4)
	v_fma_f64 v[0:1], v[0:1], v[17:18], -v[23:24]
	v_fma_f64 v[2:3], v[2:3], v[17:18], v[15:16]
	s_waitcnt vmcnt(2)
	v_add_f64 v[0:1], v[19:20], -v[0:1]
	s_waitcnt vmcnt(0)
	v_add_f64 v[2:3], v[21:22], -v[2:3]
	buffer_store_dword v1, v10, s[0:3], 0 offen offset:52
	buffer_store_dword v0, v10, s[0:3], 0 offen offset:48
	;; [unrolled: 1-line block ×4, first 2 shown]
	s_clause 0x3
	buffer_load_dword v1, off, s[0:3], 0 offset:228
	buffer_load_dword v3, off, s[0:3], 0 offset:236
	;; [unrolled: 1-line block ×4, first 2 shown]
	s_branch .LBB122_372
.LBB122_375:
	s_or_b32 exec_lo, exec_lo, s4
	s_waitcnt vmcnt(2)
	v_mov_b32_e32 v3, s67
	s_waitcnt vmcnt(0)
	s_waitcnt_vscnt null, 0x0
	s_barrier
	buffer_gl0_inv
	v_lshl_add_u32 v4, v11, 4, v12
	s_clause 0x3
	buffer_load_dword v0, v3, s[0:3], 0 offen
	buffer_load_dword v1, v3, s[0:3], 0 offen offset:4
	buffer_load_dword v2, v3, s[0:3], 0 offen offset:8
	;; [unrolled: 1-line block ×3, first 2 shown]
	s_cmp_lt_i32 s57, 17
	s_waitcnt vmcnt(0)
	ds_write2_b64 v4, v[0:1], v[2:3] offset1:1
	s_waitcnt lgkmcnt(0)
	s_barrier
	buffer_gl0_inv
	ds_read2_b64 v[0:3], v12 offset0:30 offset1:31
	v_mov_b32_e32 v4, 15
	s_cbranch_scc1 .LBB122_378
; %bb.376:
	v_add3_u32 v10, v14, 0, 0x100
	v_mov_b32_e32 v4, 15
	s_mov_b32 s16, 16
	s_inst_prefetch 0x1
	.p2align	6
.LBB122_377:                            ; =>This Inner Loop Header: Depth=1
	s_waitcnt lgkmcnt(0)
	v_cmp_gt_f64_e32 vcc_lo, 0, v[2:3]
	v_cmp_gt_f64_e64 s4, 0, v[0:1]
	ds_read2_b64 v[15:18], v10 offset1:1
	v_xor_b32_e32 v20, 0x80000000, v1
	v_xor_b32_e32 v22, 0x80000000, v3
	v_mov_b32_e32 v19, v0
	v_mov_b32_e32 v21, v2
	v_add_nc_u32_e32 v10, 16, v10
	s_waitcnt lgkmcnt(0)
	v_xor_b32_e32 v24, 0x80000000, v18
	v_cndmask_b32_e64 v20, v1, v20, s4
	v_cndmask_b32_e32 v22, v3, v22, vcc_lo
	v_cmp_gt_f64_e32 vcc_lo, 0, v[17:18]
	v_cmp_gt_f64_e64 s4, 0, v[15:16]
	v_mov_b32_e32 v23, v17
	v_add_f64 v[19:20], v[19:20], v[21:22]
	v_xor_b32_e32 v22, 0x80000000, v16
	v_mov_b32_e32 v21, v15
	v_cndmask_b32_e32 v24, v18, v24, vcc_lo
	v_cndmask_b32_e64 v22, v16, v22, s4
	v_add_f64 v[21:22], v[21:22], v[23:24]
	v_cmp_lt_f64_e32 vcc_lo, v[19:20], v[21:22]
	v_cndmask_b32_e32 v1, v1, v16, vcc_lo
	v_cndmask_b32_e32 v0, v0, v15, vcc_lo
	;; [unrolled: 1-line block ×4, first 2 shown]
	v_cndmask_b32_e64 v4, v4, s16, vcc_lo
	s_add_i32 s16, s16, 1
	s_cmp_lg_u32 s57, s16
	s_cbranch_scc1 .LBB122_377
.LBB122_378:
	s_inst_prefetch 0x2
	s_waitcnt lgkmcnt(0)
	v_cmp_eq_f64_e32 vcc_lo, 0, v[0:1]
	v_cmp_eq_f64_e64 s4, 0, v[2:3]
	s_and_b32 s4, vcc_lo, s4
	s_and_saveexec_b32 s16, s4
	s_xor_b32 s4, exec_lo, s16
; %bb.379:
	v_cmp_ne_u32_e32 vcc_lo, 0, v13
	v_cndmask_b32_e32 v13, 16, v13, vcc_lo
; %bb.380:
	s_andn2_saveexec_b32 s4, s4
	s_cbranch_execz .LBB122_386
; %bb.381:
	v_cmp_ngt_f64_e64 s16, |v[0:1]|, |v[2:3]|
	s_and_saveexec_b32 s17, s16
	s_xor_b32 s16, exec_lo, s17
	s_cbranch_execz .LBB122_383
; %bb.382:
	v_div_scale_f64 v[15:16], null, v[2:3], v[2:3], v[0:1]
	v_div_scale_f64 v[21:22], vcc_lo, v[0:1], v[2:3], v[0:1]
	v_rcp_f64_e32 v[17:18], v[15:16]
	v_fma_f64 v[19:20], -v[15:16], v[17:18], 1.0
	v_fma_f64 v[17:18], v[17:18], v[19:20], v[17:18]
	v_fma_f64 v[19:20], -v[15:16], v[17:18], 1.0
	v_fma_f64 v[17:18], v[17:18], v[19:20], v[17:18]
	v_mul_f64 v[19:20], v[21:22], v[17:18]
	v_fma_f64 v[15:16], -v[15:16], v[19:20], v[21:22]
	v_div_fmas_f64 v[15:16], v[15:16], v[17:18], v[19:20]
	v_div_fixup_f64 v[15:16], v[15:16], v[2:3], v[0:1]
	v_fma_f64 v[0:1], v[0:1], v[15:16], v[2:3]
	v_div_scale_f64 v[2:3], null, v[0:1], v[0:1], 1.0
	v_rcp_f64_e32 v[17:18], v[2:3]
	v_fma_f64 v[19:20], -v[2:3], v[17:18], 1.0
	v_fma_f64 v[17:18], v[17:18], v[19:20], v[17:18]
	v_fma_f64 v[19:20], -v[2:3], v[17:18], 1.0
	v_fma_f64 v[17:18], v[17:18], v[19:20], v[17:18]
	v_div_scale_f64 v[19:20], vcc_lo, 1.0, v[0:1], 1.0
	v_mul_f64 v[21:22], v[19:20], v[17:18]
	v_fma_f64 v[2:3], -v[2:3], v[21:22], v[19:20]
	v_div_fmas_f64 v[2:3], v[2:3], v[17:18], v[21:22]
	v_div_fixup_f64 v[2:3], v[2:3], v[0:1], 1.0
	v_mul_f64 v[0:1], v[15:16], v[2:3]
	v_xor_b32_e32 v3, 0x80000000, v3
.LBB122_383:
	s_andn2_saveexec_b32 s16, s16
	s_cbranch_execz .LBB122_385
; %bb.384:
	v_div_scale_f64 v[15:16], null, v[0:1], v[0:1], v[2:3]
	v_div_scale_f64 v[21:22], vcc_lo, v[2:3], v[0:1], v[2:3]
	v_rcp_f64_e32 v[17:18], v[15:16]
	v_fma_f64 v[19:20], -v[15:16], v[17:18], 1.0
	v_fma_f64 v[17:18], v[17:18], v[19:20], v[17:18]
	v_fma_f64 v[19:20], -v[15:16], v[17:18], 1.0
	v_fma_f64 v[17:18], v[17:18], v[19:20], v[17:18]
	v_mul_f64 v[19:20], v[21:22], v[17:18]
	v_fma_f64 v[15:16], -v[15:16], v[19:20], v[21:22]
	v_div_fmas_f64 v[15:16], v[15:16], v[17:18], v[19:20]
	v_div_fixup_f64 v[15:16], v[15:16], v[0:1], v[2:3]
	v_fma_f64 v[0:1], v[2:3], v[15:16], v[0:1]
	v_div_scale_f64 v[2:3], null, v[0:1], v[0:1], 1.0
	v_rcp_f64_e32 v[17:18], v[2:3]
	v_fma_f64 v[19:20], -v[2:3], v[17:18], 1.0
	v_fma_f64 v[17:18], v[17:18], v[19:20], v[17:18]
	v_fma_f64 v[19:20], -v[2:3], v[17:18], 1.0
	v_fma_f64 v[17:18], v[17:18], v[19:20], v[17:18]
	v_div_scale_f64 v[19:20], vcc_lo, 1.0, v[0:1], 1.0
	v_mul_f64 v[21:22], v[19:20], v[17:18]
	v_fma_f64 v[2:3], -v[2:3], v[21:22], v[19:20]
	v_div_fmas_f64 v[2:3], v[2:3], v[17:18], v[21:22]
	v_div_fixup_f64 v[0:1], v[2:3], v[0:1], 1.0
	v_mul_f64 v[2:3], v[15:16], -v[0:1]
.LBB122_385:
	s_or_b32 exec_lo, exec_lo, s16
.LBB122_386:
	s_or_b32 exec_lo, exec_lo, s4
	s_mov_b32 s4, exec_lo
	v_cmpx_ne_u32_e64 v11, v4
	s_xor_b32 s4, exec_lo, s4
	s_cbranch_execz .LBB122_392
; %bb.387:
	s_mov_b32 s16, exec_lo
	v_cmpx_eq_u32_e32 15, v11
	s_cbranch_execz .LBB122_391
; %bb.388:
	v_cmp_ne_u32_e32 vcc_lo, 15, v4
	s_xor_b32 s17, s20, -1
	s_and_b32 s56, s17, vcc_lo
	s_and_saveexec_b32 s17, s56
	s_cbranch_execz .LBB122_390
; %bb.389:
	v_ashrrev_i32_e32 v5, 31, v4
	v_lshlrev_b64 v[10:11], 2, v[4:5]
	v_add_co_u32 v10, vcc_lo, v8, v10
	v_add_co_ci_u32_e64 v11, null, v9, v11, vcc_lo
	s_clause 0x1
	global_load_dword v5, v[10:11], off
	global_load_dword v15, v[8:9], off offset:60
	s_waitcnt vmcnt(1)
	global_store_dword v[8:9], v5, off offset:60
	s_waitcnt vmcnt(0)
	global_store_dword v[10:11], v15, off
.LBB122_390:
	s_or_b32 exec_lo, exec_lo, s17
	v_mov_b32_e32 v11, v4
	v_mov_b32_e32 v5, v4
.LBB122_391:
	s_or_b32 exec_lo, exec_lo, s16
.LBB122_392:
	s_andn2_saveexec_b32 s4, s4
	s_cbranch_execz .LBB122_396
; %bb.393:
	s_movk_i32 s16, 0x100
	.p2align	6
.LBB122_394:                            ; =>This Inner Loop Header: Depth=1
	v_mov_b32_e32 v4, s16
	s_clause 0x7
	buffer_load_dword v10, v4, s[0:3], 0 offen
	buffer_load_dword v11, v4, s[0:3], 0 offen offset:4
	buffer_load_dword v15, v4, s[0:3], 0 offen offset:8
	;; [unrolled: 1-line block ×7, first 2 shown]
	v_add_nc_u32_e32 v4, s16, v12
	s_add_i32 s16, s16, 32
	s_waitcnt vmcnt(4)
	ds_write2_b64 v4, v[10:11], v[15:16] offset1:1
	s_waitcnt vmcnt(0)
	ds_write2_b64 v4, v[17:18], v[19:20] offset0:2 offset1:3
	s_cmpk_eq_i32 s16, 0x3e0
	s_cbranch_scc0 .LBB122_394
; %bb.395:
	v_mov_b32_e32 v11, 15
.LBB122_396:
	s_or_b32 exec_lo, exec_lo, s4
	s_mov_b32 s4, exec_lo
	s_waitcnt lgkmcnt(0)
	s_waitcnt_vscnt null, 0x0
	s_barrier
	buffer_gl0_inv
	v_cmpx_lt_i32_e32 15, v11
	s_cbranch_execz .LBB122_399
; %bb.397:
	s_clause 0x3
	buffer_load_dword v15, off, s[0:3], 0 offset:248
	buffer_load_dword v16, off, s[0:3], 0 offset:252
	buffer_load_dword v17, off, s[0:3], 0 offset:240
	buffer_load_dword v18, off, s[0:3], 0 offset:244
	s_movk_i32 s16, 0x100
	s_waitcnt vmcnt(2)
	v_mul_f64 v[19:20], v[2:3], v[15:16]
	v_mul_f64 v[15:16], v[0:1], v[15:16]
	s_waitcnt vmcnt(0)
	v_fma_f64 v[0:1], v[0:1], v[17:18], -v[19:20]
	v_fma_f64 v[2:3], v[2:3], v[17:18], v[15:16]
	buffer_store_dword v0, off, s[0:3], 0 offset:240
	buffer_store_dword v1, off, s[0:3], 0 offset:244
	;; [unrolled: 1-line block ×4, first 2 shown]
.LBB122_398:                            ; =>This Inner Loop Header: Depth=1
	s_clause 0x3
	buffer_load_dword v19, off, s[0:3], 0 offset:248
	buffer_load_dword v20, off, s[0:3], 0 offset:252
	;; [unrolled: 1-line block ×4, first 2 shown]
	v_mov_b32_e32 v4, s16
	v_add_nc_u32_e32 v10, s16, v12
	s_add_i32 s16, s16, 32
	s_clause 0x3
	buffer_load_dword v23, v4, s[0:3], 0 offen
	buffer_load_dword v24, v4, s[0:3], 0 offen offset:4
	buffer_load_dword v25, v4, s[0:3], 0 offen offset:8
	;; [unrolled: 1-line block ×3, first 2 shown]
	ds_read2_b64 v[0:3], v10 offset1:1
	ds_read2_b64 v[15:18], v10 offset0:2 offset1:3
	s_cmpk_lg_i32 s16, 0x3e0
	s_waitcnt vmcnt(6) lgkmcnt(1)
	v_mul_f64 v[27:28], v[2:3], v[19:20]
	v_mul_f64 v[19:20], v[0:1], v[19:20]
	s_waitcnt vmcnt(4)
	v_fma_f64 v[0:1], v[0:1], v[21:22], -v[27:28]
	v_fma_f64 v[2:3], v[2:3], v[21:22], v[19:20]
	s_clause 0x3
	buffer_load_dword v19, v4, s[0:3], 0 offen offset:16
	buffer_load_dword v20, v4, s[0:3], 0 offen offset:20
	;; [unrolled: 1-line block ×4, first 2 shown]
	s_waitcnt vmcnt(6)
	v_add_f64 v[0:1], v[23:24], -v[0:1]
	s_waitcnt vmcnt(4)
	v_add_f64 v[2:3], v[25:26], -v[2:3]
	buffer_store_dword v1, v4, s[0:3], 0 offen offset:4
	buffer_store_dword v0, v4, s[0:3], 0 offen
	buffer_store_dword v3, v4, s[0:3], 0 offen offset:12
	buffer_store_dword v2, v4, s[0:3], 0 offen offset:8
	s_clause 0x3
	buffer_load_dword v1, off, s[0:3], 0 offset:252
	buffer_load_dword v0, off, s[0:3], 0 offset:248
	;; [unrolled: 1-line block ×4, first 2 shown]
	s_waitcnt vmcnt(2) lgkmcnt(0)
	v_mul_f64 v[23:24], v[17:18], v[0:1]
	v_mul_f64 v[0:1], v[15:16], v[0:1]
	s_waitcnt vmcnt(0)
	v_fma_f64 v[15:16], v[15:16], v[2:3], -v[23:24]
	v_fma_f64 v[0:1], v[17:18], v[2:3], v[0:1]
	v_add_f64 v[2:3], v[19:20], -v[15:16]
	v_add_f64 v[0:1], v[21:22], -v[0:1]
	buffer_store_dword v3, v4, s[0:3], 0 offen offset:20
	buffer_store_dword v2, v4, s[0:3], 0 offen offset:16
	;; [unrolled: 1-line block ×4, first 2 shown]
	s_cbranch_scc1 .LBB122_398
.LBB122_399:
	s_or_b32 exec_lo, exec_lo, s4
	v_mov_b32_e32 v3, s66
	s_waitcnt_vscnt null, 0x0
	s_barrier
	buffer_gl0_inv
	v_lshl_add_u32 v4, v11, 4, v12
	s_clause 0x3
	buffer_load_dword v0, v3, s[0:3], 0 offen
	buffer_load_dword v1, v3, s[0:3], 0 offen offset:4
	buffer_load_dword v2, v3, s[0:3], 0 offen offset:8
	buffer_load_dword v3, v3, s[0:3], 0 offen offset:12
	s_cmp_lt_i32 s57, 18
	s_waitcnt vmcnt(0)
	ds_write2_b64 v4, v[0:1], v[2:3] offset1:1
	s_waitcnt lgkmcnt(0)
	s_barrier
	buffer_gl0_inv
	ds_read2_b64 v[0:3], v12 offset0:32 offset1:33
	v_mov_b32_e32 v4, 16
	s_cbranch_scc1 .LBB122_402
; %bb.400:
	v_add3_u32 v10, v14, 0, 0x110
	v_mov_b32_e32 v4, 16
	s_mov_b32 s16, 17
	s_inst_prefetch 0x1
	.p2align	6
.LBB122_401:                            ; =>This Inner Loop Header: Depth=1
	s_waitcnt lgkmcnt(0)
	v_cmp_gt_f64_e32 vcc_lo, 0, v[2:3]
	v_cmp_gt_f64_e64 s4, 0, v[0:1]
	ds_read2_b64 v[15:18], v10 offset1:1
	v_xor_b32_e32 v20, 0x80000000, v1
	v_xor_b32_e32 v22, 0x80000000, v3
	v_mov_b32_e32 v19, v0
	v_mov_b32_e32 v21, v2
	v_add_nc_u32_e32 v10, 16, v10
	s_waitcnt lgkmcnt(0)
	v_xor_b32_e32 v24, 0x80000000, v18
	v_cndmask_b32_e64 v20, v1, v20, s4
	v_cndmask_b32_e32 v22, v3, v22, vcc_lo
	v_cmp_gt_f64_e32 vcc_lo, 0, v[17:18]
	v_cmp_gt_f64_e64 s4, 0, v[15:16]
	v_mov_b32_e32 v23, v17
	v_add_f64 v[19:20], v[19:20], v[21:22]
	v_xor_b32_e32 v22, 0x80000000, v16
	v_mov_b32_e32 v21, v15
	v_cndmask_b32_e32 v24, v18, v24, vcc_lo
	v_cndmask_b32_e64 v22, v16, v22, s4
	v_add_f64 v[21:22], v[21:22], v[23:24]
	v_cmp_lt_f64_e32 vcc_lo, v[19:20], v[21:22]
	v_cndmask_b32_e32 v1, v1, v16, vcc_lo
	v_cndmask_b32_e32 v0, v0, v15, vcc_lo
	;; [unrolled: 1-line block ×4, first 2 shown]
	v_cndmask_b32_e64 v4, v4, s16, vcc_lo
	s_add_i32 s16, s16, 1
	s_cmp_lg_u32 s57, s16
	s_cbranch_scc1 .LBB122_401
.LBB122_402:
	s_inst_prefetch 0x2
	s_waitcnt lgkmcnt(0)
	v_cmp_eq_f64_e32 vcc_lo, 0, v[0:1]
	v_cmp_eq_f64_e64 s4, 0, v[2:3]
	s_and_b32 s4, vcc_lo, s4
	s_and_saveexec_b32 s16, s4
	s_xor_b32 s4, exec_lo, s16
; %bb.403:
	v_cmp_ne_u32_e32 vcc_lo, 0, v13
	v_cndmask_b32_e32 v13, 17, v13, vcc_lo
; %bb.404:
	s_andn2_saveexec_b32 s4, s4
	s_cbranch_execz .LBB122_410
; %bb.405:
	v_cmp_ngt_f64_e64 s16, |v[0:1]|, |v[2:3]|
	s_and_saveexec_b32 s17, s16
	s_xor_b32 s16, exec_lo, s17
	s_cbranch_execz .LBB122_407
; %bb.406:
	v_div_scale_f64 v[15:16], null, v[2:3], v[2:3], v[0:1]
	v_div_scale_f64 v[21:22], vcc_lo, v[0:1], v[2:3], v[0:1]
	v_rcp_f64_e32 v[17:18], v[15:16]
	v_fma_f64 v[19:20], -v[15:16], v[17:18], 1.0
	v_fma_f64 v[17:18], v[17:18], v[19:20], v[17:18]
	v_fma_f64 v[19:20], -v[15:16], v[17:18], 1.0
	v_fma_f64 v[17:18], v[17:18], v[19:20], v[17:18]
	v_mul_f64 v[19:20], v[21:22], v[17:18]
	v_fma_f64 v[15:16], -v[15:16], v[19:20], v[21:22]
	v_div_fmas_f64 v[15:16], v[15:16], v[17:18], v[19:20]
	v_div_fixup_f64 v[15:16], v[15:16], v[2:3], v[0:1]
	v_fma_f64 v[0:1], v[0:1], v[15:16], v[2:3]
	v_div_scale_f64 v[2:3], null, v[0:1], v[0:1], 1.0
	v_rcp_f64_e32 v[17:18], v[2:3]
	v_fma_f64 v[19:20], -v[2:3], v[17:18], 1.0
	v_fma_f64 v[17:18], v[17:18], v[19:20], v[17:18]
	v_fma_f64 v[19:20], -v[2:3], v[17:18], 1.0
	v_fma_f64 v[17:18], v[17:18], v[19:20], v[17:18]
	v_div_scale_f64 v[19:20], vcc_lo, 1.0, v[0:1], 1.0
	v_mul_f64 v[21:22], v[19:20], v[17:18]
	v_fma_f64 v[2:3], -v[2:3], v[21:22], v[19:20]
	v_div_fmas_f64 v[2:3], v[2:3], v[17:18], v[21:22]
	v_div_fixup_f64 v[2:3], v[2:3], v[0:1], 1.0
	v_mul_f64 v[0:1], v[15:16], v[2:3]
	v_xor_b32_e32 v3, 0x80000000, v3
.LBB122_407:
	s_andn2_saveexec_b32 s16, s16
	s_cbranch_execz .LBB122_409
; %bb.408:
	v_div_scale_f64 v[15:16], null, v[0:1], v[0:1], v[2:3]
	v_div_scale_f64 v[21:22], vcc_lo, v[2:3], v[0:1], v[2:3]
	v_rcp_f64_e32 v[17:18], v[15:16]
	v_fma_f64 v[19:20], -v[15:16], v[17:18], 1.0
	v_fma_f64 v[17:18], v[17:18], v[19:20], v[17:18]
	v_fma_f64 v[19:20], -v[15:16], v[17:18], 1.0
	v_fma_f64 v[17:18], v[17:18], v[19:20], v[17:18]
	v_mul_f64 v[19:20], v[21:22], v[17:18]
	v_fma_f64 v[15:16], -v[15:16], v[19:20], v[21:22]
	v_div_fmas_f64 v[15:16], v[15:16], v[17:18], v[19:20]
	v_div_fixup_f64 v[15:16], v[15:16], v[0:1], v[2:3]
	v_fma_f64 v[0:1], v[2:3], v[15:16], v[0:1]
	v_div_scale_f64 v[2:3], null, v[0:1], v[0:1], 1.0
	v_rcp_f64_e32 v[17:18], v[2:3]
	v_fma_f64 v[19:20], -v[2:3], v[17:18], 1.0
	v_fma_f64 v[17:18], v[17:18], v[19:20], v[17:18]
	v_fma_f64 v[19:20], -v[2:3], v[17:18], 1.0
	v_fma_f64 v[17:18], v[17:18], v[19:20], v[17:18]
	v_div_scale_f64 v[19:20], vcc_lo, 1.0, v[0:1], 1.0
	v_mul_f64 v[21:22], v[19:20], v[17:18]
	v_fma_f64 v[2:3], -v[2:3], v[21:22], v[19:20]
	v_div_fmas_f64 v[2:3], v[2:3], v[17:18], v[21:22]
	v_div_fixup_f64 v[0:1], v[2:3], v[0:1], 1.0
	v_mul_f64 v[2:3], v[15:16], -v[0:1]
.LBB122_409:
	s_or_b32 exec_lo, exec_lo, s16
.LBB122_410:
	s_or_b32 exec_lo, exec_lo, s4
	s_mov_b32 s4, exec_lo
	v_cmpx_ne_u32_e64 v11, v4
	s_xor_b32 s4, exec_lo, s4
	s_cbranch_execz .LBB122_416
; %bb.411:
	s_mov_b32 s16, exec_lo
	v_cmpx_eq_u32_e32 16, v11
	s_cbranch_execz .LBB122_415
; %bb.412:
	v_cmp_ne_u32_e32 vcc_lo, 16, v4
	s_xor_b32 s17, s20, -1
	s_and_b32 s56, s17, vcc_lo
	s_and_saveexec_b32 s17, s56
	s_cbranch_execz .LBB122_414
; %bb.413:
	v_ashrrev_i32_e32 v5, 31, v4
	v_lshlrev_b64 v[10:11], 2, v[4:5]
	v_add_co_u32 v10, vcc_lo, v8, v10
	v_add_co_ci_u32_e64 v11, null, v9, v11, vcc_lo
	s_clause 0x1
	global_load_dword v5, v[10:11], off
	global_load_dword v15, v[8:9], off offset:64
	s_waitcnt vmcnt(1)
	global_store_dword v[8:9], v5, off offset:64
	s_waitcnt vmcnt(0)
	global_store_dword v[10:11], v15, off
.LBB122_414:
	s_or_b32 exec_lo, exec_lo, s17
	v_mov_b32_e32 v11, v4
	v_mov_b32_e32 v5, v4
.LBB122_415:
	s_or_b32 exec_lo, exec_lo, s16
.LBB122_416:
	s_andn2_saveexec_b32 s4, s4
	s_cbranch_execz .LBB122_420
; %bb.417:
	s_movk_i32 s81, 0x110
.LBB122_418:                            ; =>This Inner Loop Header: Depth=1
	v_mov_b32_e32 v4, s81
	s_clause 0x3b
	buffer_load_dword v10, v4, s[0:3], 0 offen
	buffer_load_dword v11, v4, s[0:3], 0 offen offset:4
	buffer_load_dword v15, v4, s[0:3], 0 offen offset:8
	;; [unrolled: 1-line block ×59, first 2 shown]
	v_add_nc_u32_e32 v4, s81, v12
	s_addk_i32 s81, 0xf0
	s_waitcnt vmcnt(56)
	ds_write2_b64 v4, v[10:11], v[15:16] offset1:1
	s_waitcnt vmcnt(52)
	ds_write2_b64 v4, v[17:18], v[19:20] offset0:2 offset1:3
	s_waitcnt vmcnt(48)
	ds_write2_b64 v4, v[21:22], v[23:24] offset0:4 offset1:5
	;; [unrolled: 2-line block ×4, first 2 shown]
	ds_write2_b64 v4, v[33:34], v[31:32] offset0:10 offset1:11
	s_waitcnt vmcnt(28)
	ds_write2_b64 v4, v[43:44], v[37:38] offset0:12 offset1:13
	ds_write2_b64 v4, v[41:42], v[39:40] offset0:14 offset1:15
	s_waitcnt vmcnt(24)
	ds_write2_b64 v4, v[45:46], v[47:48] offset0:16 offset1:17
	s_waitcnt vmcnt(20)
	;; [unrolled: 2-line block ×7, first 2 shown]
	ds_write2_b64 v4, v[69:70], v[71:72] offset0:28 offset1:29
	s_cmpk_eq_i32 s81, 0x3e0
	s_cbranch_scc0 .LBB122_418
; %bb.419:
	v_mov_b32_e32 v11, 16
.LBB122_420:
	s_or_b32 exec_lo, exec_lo, s4
	s_mov_b32 s4, exec_lo
	s_waitcnt lgkmcnt(0)
	s_waitcnt_vscnt null, 0x0
	s_barrier
	buffer_gl0_inv
	v_cmpx_lt_i32_e32 16, v11
	s_cbranch_execz .LBB122_423
; %bb.421:
	s_clause 0x3
	buffer_load_dword v15, off, s[0:3], 0 offset:264
	buffer_load_dword v16, off, s[0:3], 0 offset:268
	;; [unrolled: 1-line block ×4, first 2 shown]
	s_movk_i32 s81, 0x110
	s_waitcnt vmcnt(2)
	v_mul_f64 v[19:20], v[2:3], v[15:16]
	v_mul_f64 v[15:16], v[0:1], v[15:16]
	s_waitcnt vmcnt(0)
	v_fma_f64 v[0:1], v[0:1], v[17:18], -v[19:20]
	v_fma_f64 v[2:3], v[2:3], v[17:18], v[15:16]
	buffer_store_dword v0, off, s[0:3], 0 offset:256
	buffer_store_dword v1, off, s[0:3], 0 offset:260
	;; [unrolled: 1-line block ×4, first 2 shown]
.LBB122_422:                            ; =>This Inner Loop Header: Depth=1
	s_clause 0x3
	buffer_load_dword v19, off, s[0:3], 0 offset:264
	buffer_load_dword v20, off, s[0:3], 0 offset:268
	;; [unrolled: 1-line block ×4, first 2 shown]
	v_mov_b32_e32 v4, s81
	v_add_nc_u32_e32 v10, s81, v12
	s_addk_i32 s81, 0x50
	s_clause 0x3
	buffer_load_dword v23, v4, s[0:3], 0 offen
	buffer_load_dword v24, v4, s[0:3], 0 offen offset:4
	buffer_load_dword v25, v4, s[0:3], 0 offen offset:8
	;; [unrolled: 1-line block ×3, first 2 shown]
	ds_read2_b64 v[0:3], v10 offset1:1
	ds_read2_b64 v[15:18], v10 offset0:2 offset1:3
	s_cmpk_lg_i32 s81, 0x3e0
	s_waitcnt vmcnt(6) lgkmcnt(1)
	v_mul_f64 v[27:28], v[2:3], v[19:20]
	v_mul_f64 v[19:20], v[0:1], v[19:20]
	s_waitcnt vmcnt(4)
	v_fma_f64 v[0:1], v[0:1], v[21:22], -v[27:28]
	v_fma_f64 v[2:3], v[2:3], v[21:22], v[19:20]
	s_clause 0x3
	buffer_load_dword v19, v4, s[0:3], 0 offen offset:16
	buffer_load_dword v20, v4, s[0:3], 0 offen offset:20
	;; [unrolled: 1-line block ×4, first 2 shown]
	s_waitcnt vmcnt(6)
	v_add_f64 v[0:1], v[23:24], -v[0:1]
	s_waitcnt vmcnt(4)
	v_add_f64 v[2:3], v[25:26], -v[2:3]
	buffer_store_dword v1, v4, s[0:3], 0 offen offset:4
	buffer_store_dword v0, v4, s[0:3], 0 offen
	buffer_store_dword v3, v4, s[0:3], 0 offen offset:12
	buffer_store_dword v2, v4, s[0:3], 0 offen offset:8
	s_clause 0x3
	buffer_load_dword v1, off, s[0:3], 0 offset:268
	buffer_load_dword v0, off, s[0:3], 0 offset:264
	buffer_load_dword v3, off, s[0:3], 0 offset:260
	buffer_load_dword v2, off, s[0:3], 0 offset:256
	s_waitcnt vmcnt(2) lgkmcnt(0)
	v_mul_f64 v[23:24], v[17:18], v[0:1]
	v_mul_f64 v[0:1], v[15:16], v[0:1]
	s_waitcnt vmcnt(0)
	v_fma_f64 v[15:16], v[15:16], v[2:3], -v[23:24]
	v_fma_f64 v[0:1], v[17:18], v[2:3], v[0:1]
	v_add_f64 v[2:3], v[19:20], -v[15:16]
	v_add_f64 v[0:1], v[21:22], -v[0:1]
	s_clause 0x3
	buffer_load_dword v19, v4, s[0:3], 0 offen offset:32
	buffer_load_dword v20, v4, s[0:3], 0 offen offset:36
	;; [unrolled: 1-line block ×4, first 2 shown]
	buffer_store_dword v3, v4, s[0:3], 0 offen offset:20
	buffer_store_dword v2, v4, s[0:3], 0 offen offset:16
	;; [unrolled: 1-line block ×4, first 2 shown]
	s_clause 0x3
	buffer_load_dword v23, off, s[0:3], 0 offset:264
	buffer_load_dword v24, off, s[0:3], 0 offset:268
	;; [unrolled: 1-line block ×4, first 2 shown]
	ds_read2_b64 v[0:3], v10 offset0:4 offset1:5
	ds_read2_b64 v[15:18], v10 offset0:6 offset1:7
	s_waitcnt vmcnt(2) lgkmcnt(1)
	v_mul_f64 v[27:28], v[2:3], v[23:24]
	v_mul_f64 v[23:24], v[0:1], v[23:24]
	s_waitcnt vmcnt(0)
	v_fma_f64 v[0:1], v[0:1], v[25:26], -v[27:28]
	v_fma_f64 v[2:3], v[2:3], v[25:26], v[23:24]
	v_add_f64 v[0:1], v[19:20], -v[0:1]
	v_add_f64 v[2:3], v[21:22], -v[2:3]
	buffer_store_dword v1, v4, s[0:3], 0 offen offset:36
	buffer_store_dword v0, v4, s[0:3], 0 offen offset:32
	buffer_store_dword v3, v4, s[0:3], 0 offen offset:44
	buffer_store_dword v2, v4, s[0:3], 0 offen offset:40
	s_clause 0x7
	buffer_load_dword v0, off, s[0:3], 0 offset:264
	buffer_load_dword v1, off, s[0:3], 0 offset:268
	buffer_load_dword v2, off, s[0:3], 0 offset:256
	buffer_load_dword v3, off, s[0:3], 0 offset:260
	buffer_load_dword v19, v4, s[0:3], 0 offen offset:48
	buffer_load_dword v20, v4, s[0:3], 0 offen offset:52
	;; [unrolled: 1-line block ×4, first 2 shown]
	s_waitcnt vmcnt(6) lgkmcnt(0)
	v_mul_f64 v[23:24], v[17:18], v[0:1]
	v_mul_f64 v[0:1], v[15:16], v[0:1]
	s_waitcnt vmcnt(4)
	v_fma_f64 v[15:16], v[15:16], v[2:3], -v[23:24]
	v_fma_f64 v[0:1], v[17:18], v[2:3], v[0:1]
	s_waitcnt vmcnt(2)
	v_add_f64 v[2:3], v[19:20], -v[15:16]
	s_waitcnt vmcnt(0)
	v_add_f64 v[0:1], v[21:22], -v[0:1]
	buffer_store_dword v3, v4, s[0:3], 0 offen offset:52
	buffer_store_dword v2, v4, s[0:3], 0 offen offset:48
	;; [unrolled: 1-line block ×4, first 2 shown]
	s_clause 0x7
	buffer_load_dword v15, off, s[0:3], 0 offset:264
	buffer_load_dword v16, off, s[0:3], 0 offset:268
	;; [unrolled: 1-line block ×4, first 2 shown]
	buffer_load_dword v19, v4, s[0:3], 0 offen offset:64
	buffer_load_dword v20, v4, s[0:3], 0 offen offset:68
	;; [unrolled: 1-line block ×4, first 2 shown]
	ds_read2_b64 v[0:3], v10 offset0:8 offset1:9
	s_waitcnt vmcnt(6) lgkmcnt(0)
	v_mul_f64 v[23:24], v[2:3], v[15:16]
	v_mul_f64 v[15:16], v[0:1], v[15:16]
	s_waitcnt vmcnt(4)
	v_fma_f64 v[0:1], v[0:1], v[17:18], -v[23:24]
	v_fma_f64 v[2:3], v[2:3], v[17:18], v[15:16]
	s_waitcnt vmcnt(2)
	v_add_f64 v[0:1], v[19:20], -v[0:1]
	s_waitcnt vmcnt(0)
	v_add_f64 v[2:3], v[21:22], -v[2:3]
	buffer_store_dword v1, v4, s[0:3], 0 offen offset:68
	buffer_store_dword v0, v4, s[0:3], 0 offen offset:64
	;; [unrolled: 1-line block ×4, first 2 shown]
	s_cbranch_scc1 .LBB122_422
.LBB122_423:
	s_or_b32 exec_lo, exec_lo, s4
	v_mov_b32_e32 v3, s65
	s_waitcnt_vscnt null, 0x0
	s_barrier
	buffer_gl0_inv
	v_lshl_add_u32 v4, v11, 4, v12
	s_clause 0x3
	buffer_load_dword v0, v3, s[0:3], 0 offen
	buffer_load_dword v1, v3, s[0:3], 0 offen offset:4
	buffer_load_dword v2, v3, s[0:3], 0 offen offset:8
	;; [unrolled: 1-line block ×3, first 2 shown]
	s_cmp_lt_i32 s57, 19
	s_waitcnt vmcnt(0)
	ds_write2_b64 v4, v[0:1], v[2:3] offset1:1
	s_waitcnt lgkmcnt(0)
	s_barrier
	buffer_gl0_inv
	ds_read2_b64 v[0:3], v12 offset0:34 offset1:35
	v_mov_b32_e32 v4, 17
	s_cbranch_scc1 .LBB122_426
; %bb.424:
	v_add3_u32 v10, v14, 0, 0x120
	v_mov_b32_e32 v4, 17
	s_mov_b32 s16, 18
	s_inst_prefetch 0x1
	.p2align	6
.LBB122_425:                            ; =>This Inner Loop Header: Depth=1
	s_waitcnt lgkmcnt(0)
	v_cmp_gt_f64_e32 vcc_lo, 0, v[2:3]
	v_cmp_gt_f64_e64 s4, 0, v[0:1]
	ds_read2_b64 v[15:18], v10 offset1:1
	v_xor_b32_e32 v20, 0x80000000, v1
	v_xor_b32_e32 v22, 0x80000000, v3
	v_mov_b32_e32 v19, v0
	v_mov_b32_e32 v21, v2
	v_add_nc_u32_e32 v10, 16, v10
	s_waitcnt lgkmcnt(0)
	v_xor_b32_e32 v24, 0x80000000, v18
	v_cndmask_b32_e64 v20, v1, v20, s4
	v_cndmask_b32_e32 v22, v3, v22, vcc_lo
	v_cmp_gt_f64_e32 vcc_lo, 0, v[17:18]
	v_cmp_gt_f64_e64 s4, 0, v[15:16]
	v_mov_b32_e32 v23, v17
	v_add_f64 v[19:20], v[19:20], v[21:22]
	v_xor_b32_e32 v22, 0x80000000, v16
	v_mov_b32_e32 v21, v15
	v_cndmask_b32_e32 v24, v18, v24, vcc_lo
	v_cndmask_b32_e64 v22, v16, v22, s4
	v_add_f64 v[21:22], v[21:22], v[23:24]
	v_cmp_lt_f64_e32 vcc_lo, v[19:20], v[21:22]
	v_cndmask_b32_e32 v1, v1, v16, vcc_lo
	v_cndmask_b32_e32 v0, v0, v15, vcc_lo
	;; [unrolled: 1-line block ×4, first 2 shown]
	v_cndmask_b32_e64 v4, v4, s16, vcc_lo
	s_add_i32 s16, s16, 1
	s_cmp_lg_u32 s57, s16
	s_cbranch_scc1 .LBB122_425
.LBB122_426:
	s_inst_prefetch 0x2
	s_waitcnt lgkmcnt(0)
	v_cmp_eq_f64_e32 vcc_lo, 0, v[0:1]
	v_cmp_eq_f64_e64 s4, 0, v[2:3]
	s_and_b32 s4, vcc_lo, s4
	s_and_saveexec_b32 s16, s4
	s_xor_b32 s4, exec_lo, s16
; %bb.427:
	v_cmp_ne_u32_e32 vcc_lo, 0, v13
	v_cndmask_b32_e32 v13, 18, v13, vcc_lo
; %bb.428:
	s_andn2_saveexec_b32 s4, s4
	s_cbranch_execz .LBB122_434
; %bb.429:
	v_cmp_ngt_f64_e64 s16, |v[0:1]|, |v[2:3]|
	s_and_saveexec_b32 s17, s16
	s_xor_b32 s16, exec_lo, s17
	s_cbranch_execz .LBB122_431
; %bb.430:
	v_div_scale_f64 v[15:16], null, v[2:3], v[2:3], v[0:1]
	v_div_scale_f64 v[21:22], vcc_lo, v[0:1], v[2:3], v[0:1]
	v_rcp_f64_e32 v[17:18], v[15:16]
	v_fma_f64 v[19:20], -v[15:16], v[17:18], 1.0
	v_fma_f64 v[17:18], v[17:18], v[19:20], v[17:18]
	v_fma_f64 v[19:20], -v[15:16], v[17:18], 1.0
	v_fma_f64 v[17:18], v[17:18], v[19:20], v[17:18]
	v_mul_f64 v[19:20], v[21:22], v[17:18]
	v_fma_f64 v[15:16], -v[15:16], v[19:20], v[21:22]
	v_div_fmas_f64 v[15:16], v[15:16], v[17:18], v[19:20]
	v_div_fixup_f64 v[15:16], v[15:16], v[2:3], v[0:1]
	v_fma_f64 v[0:1], v[0:1], v[15:16], v[2:3]
	v_div_scale_f64 v[2:3], null, v[0:1], v[0:1], 1.0
	v_rcp_f64_e32 v[17:18], v[2:3]
	v_fma_f64 v[19:20], -v[2:3], v[17:18], 1.0
	v_fma_f64 v[17:18], v[17:18], v[19:20], v[17:18]
	v_fma_f64 v[19:20], -v[2:3], v[17:18], 1.0
	v_fma_f64 v[17:18], v[17:18], v[19:20], v[17:18]
	v_div_scale_f64 v[19:20], vcc_lo, 1.0, v[0:1], 1.0
	v_mul_f64 v[21:22], v[19:20], v[17:18]
	v_fma_f64 v[2:3], -v[2:3], v[21:22], v[19:20]
	v_div_fmas_f64 v[2:3], v[2:3], v[17:18], v[21:22]
	v_div_fixup_f64 v[2:3], v[2:3], v[0:1], 1.0
	v_mul_f64 v[0:1], v[15:16], v[2:3]
	v_xor_b32_e32 v3, 0x80000000, v3
.LBB122_431:
	s_andn2_saveexec_b32 s16, s16
	s_cbranch_execz .LBB122_433
; %bb.432:
	v_div_scale_f64 v[15:16], null, v[0:1], v[0:1], v[2:3]
	v_div_scale_f64 v[21:22], vcc_lo, v[2:3], v[0:1], v[2:3]
	v_rcp_f64_e32 v[17:18], v[15:16]
	v_fma_f64 v[19:20], -v[15:16], v[17:18], 1.0
	v_fma_f64 v[17:18], v[17:18], v[19:20], v[17:18]
	v_fma_f64 v[19:20], -v[15:16], v[17:18], 1.0
	v_fma_f64 v[17:18], v[17:18], v[19:20], v[17:18]
	v_mul_f64 v[19:20], v[21:22], v[17:18]
	v_fma_f64 v[15:16], -v[15:16], v[19:20], v[21:22]
	v_div_fmas_f64 v[15:16], v[15:16], v[17:18], v[19:20]
	v_div_fixup_f64 v[15:16], v[15:16], v[0:1], v[2:3]
	v_fma_f64 v[0:1], v[2:3], v[15:16], v[0:1]
	v_div_scale_f64 v[2:3], null, v[0:1], v[0:1], 1.0
	v_rcp_f64_e32 v[17:18], v[2:3]
	v_fma_f64 v[19:20], -v[2:3], v[17:18], 1.0
	v_fma_f64 v[17:18], v[17:18], v[19:20], v[17:18]
	v_fma_f64 v[19:20], -v[2:3], v[17:18], 1.0
	v_fma_f64 v[17:18], v[17:18], v[19:20], v[17:18]
	v_div_scale_f64 v[19:20], vcc_lo, 1.0, v[0:1], 1.0
	v_mul_f64 v[21:22], v[19:20], v[17:18]
	v_fma_f64 v[2:3], -v[2:3], v[21:22], v[19:20]
	v_div_fmas_f64 v[2:3], v[2:3], v[17:18], v[21:22]
	v_div_fixup_f64 v[0:1], v[2:3], v[0:1], 1.0
	v_mul_f64 v[2:3], v[15:16], -v[0:1]
.LBB122_433:
	s_or_b32 exec_lo, exec_lo, s16
.LBB122_434:
	s_or_b32 exec_lo, exec_lo, s4
	s_mov_b32 s4, exec_lo
	v_cmpx_ne_u32_e64 v11, v4
	s_xor_b32 s4, exec_lo, s4
	s_cbranch_execz .LBB122_440
; %bb.435:
	s_mov_b32 s16, exec_lo
	v_cmpx_eq_u32_e32 17, v11
	s_cbranch_execz .LBB122_439
; %bb.436:
	v_cmp_ne_u32_e32 vcc_lo, 17, v4
	s_xor_b32 s17, s20, -1
	s_and_b32 s56, s17, vcc_lo
	s_and_saveexec_b32 s17, s56
	s_cbranch_execz .LBB122_438
; %bb.437:
	v_ashrrev_i32_e32 v5, 31, v4
	v_lshlrev_b64 v[10:11], 2, v[4:5]
	v_add_co_u32 v10, vcc_lo, v8, v10
	v_add_co_ci_u32_e64 v11, null, v9, v11, vcc_lo
	s_clause 0x1
	global_load_dword v5, v[10:11], off
	global_load_dword v15, v[8:9], off offset:68
	s_waitcnt vmcnt(1)
	global_store_dword v[8:9], v5, off offset:68
	s_waitcnt vmcnt(0)
	global_store_dword v[10:11], v15, off
.LBB122_438:
	s_or_b32 exec_lo, exec_lo, s17
	v_mov_b32_e32 v11, v4
	v_mov_b32_e32 v5, v4
.LBB122_439:
	s_or_b32 exec_lo, exec_lo, s16
.LBB122_440:
	s_andn2_saveexec_b32 s4, s4
	s_cbranch_execz .LBB122_444
; %bb.441:
	s_movk_i32 s16, 0x120
.LBB122_442:                            ; =>This Inner Loop Header: Depth=1
	v_mov_b32_e32 v4, s16
	s_clause 0x2b
	buffer_load_dword v10, v4, s[0:3], 0 offen
	buffer_load_dword v11, v4, s[0:3], 0 offen offset:4
	buffer_load_dword v15, v4, s[0:3], 0 offen offset:8
	;; [unrolled: 1-line block ×43, first 2 shown]
	v_add_nc_u32_e32 v4, s16, v12
	s_addk_i32 s16, 0xb0
	s_waitcnt vmcnt(40)
	ds_write2_b64 v4, v[10:11], v[15:16] offset1:1
	s_waitcnt vmcnt(36)
	ds_write2_b64 v4, v[17:18], v[19:20] offset0:2 offset1:3
	s_waitcnt vmcnt(32)
	ds_write2_b64 v4, v[21:22], v[23:24] offset0:4 offset1:5
	;; [unrolled: 2-line block ×4, first 2 shown]
	ds_write2_b64 v4, v[33:34], v[31:32] offset0:10 offset1:11
	s_waitcnt vmcnt(12)
	ds_write2_b64 v4, v[43:44], v[37:38] offset0:12 offset1:13
	ds_write2_b64 v4, v[41:42], v[39:40] offset0:14 offset1:15
	s_waitcnt vmcnt(8)
	ds_write2_b64 v4, v[45:46], v[47:48] offset0:16 offset1:17
	s_waitcnt vmcnt(4)
	;; [unrolled: 2-line block ×3, first 2 shown]
	ds_write2_b64 v4, v[53:54], v[55:56] offset0:20 offset1:21
	s_cmpk_eq_i32 s16, 0x3e0
	s_cbranch_scc0 .LBB122_442
; %bb.443:
	v_mov_b32_e32 v11, 17
.LBB122_444:
	s_or_b32 exec_lo, exec_lo, s4
	s_mov_b32 s4, exec_lo
	s_waitcnt lgkmcnt(0)
	s_waitcnt_vscnt null, 0x0
	s_barrier
	buffer_gl0_inv
	v_cmpx_lt_i32_e32 17, v11
	s_cbranch_execz .LBB122_447
; %bb.445:
	s_clause 0x3
	buffer_load_dword v15, off, s[0:3], 0 offset:280
	buffer_load_dword v16, off, s[0:3], 0 offset:284
	;; [unrolled: 1-line block ×4, first 2 shown]
	s_movk_i32 s81, 0x120
	s_waitcnt vmcnt(2)
	v_mul_f64 v[19:20], v[2:3], v[15:16]
	v_mul_f64 v[15:16], v[0:1], v[15:16]
	s_waitcnt vmcnt(0)
	v_fma_f64 v[0:1], v[0:1], v[17:18], -v[19:20]
	v_fma_f64 v[2:3], v[2:3], v[17:18], v[15:16]
	buffer_store_dword v0, off, s[0:3], 0 offset:272
	buffer_store_dword v1, off, s[0:3], 0 offset:276
	;; [unrolled: 1-line block ×4, first 2 shown]
.LBB122_446:                            ; =>This Inner Loop Header: Depth=1
	s_clause 0x3
	buffer_load_dword v19, off, s[0:3], 0 offset:280
	buffer_load_dword v20, off, s[0:3], 0 offset:284
	buffer_load_dword v21, off, s[0:3], 0 offset:272
	buffer_load_dword v22, off, s[0:3], 0 offset:276
	v_mov_b32_e32 v4, s81
	v_add_nc_u32_e32 v10, s81, v12
	s_add_i32 s81, s81, 64
	s_clause 0x3
	buffer_load_dword v23, v4, s[0:3], 0 offen
	buffer_load_dword v24, v4, s[0:3], 0 offen offset:4
	buffer_load_dword v25, v4, s[0:3], 0 offen offset:8
	buffer_load_dword v26, v4, s[0:3], 0 offen offset:12
	ds_read2_b64 v[0:3], v10 offset1:1
	ds_read2_b64 v[15:18], v10 offset0:2 offset1:3
	s_cmpk_lg_i32 s81, 0x3e0
	s_waitcnt vmcnt(6) lgkmcnt(1)
	v_mul_f64 v[27:28], v[2:3], v[19:20]
	v_mul_f64 v[19:20], v[0:1], v[19:20]
	s_waitcnt vmcnt(4)
	v_fma_f64 v[0:1], v[0:1], v[21:22], -v[27:28]
	v_fma_f64 v[2:3], v[2:3], v[21:22], v[19:20]
	s_clause 0x3
	buffer_load_dword v19, v4, s[0:3], 0 offen offset:16
	buffer_load_dword v20, v4, s[0:3], 0 offen offset:20
	;; [unrolled: 1-line block ×4, first 2 shown]
	s_waitcnt vmcnt(6)
	v_add_f64 v[0:1], v[23:24], -v[0:1]
	s_waitcnt vmcnt(4)
	v_add_f64 v[2:3], v[25:26], -v[2:3]
	buffer_store_dword v1, v4, s[0:3], 0 offen offset:4
	buffer_store_dword v0, v4, s[0:3], 0 offen
	buffer_store_dword v3, v4, s[0:3], 0 offen offset:12
	buffer_store_dword v2, v4, s[0:3], 0 offen offset:8
	s_clause 0x3
	buffer_load_dword v1, off, s[0:3], 0 offset:284
	buffer_load_dword v0, off, s[0:3], 0 offset:280
	;; [unrolled: 1-line block ×4, first 2 shown]
	s_waitcnt vmcnt(2) lgkmcnt(0)
	v_mul_f64 v[23:24], v[17:18], v[0:1]
	v_mul_f64 v[0:1], v[15:16], v[0:1]
	s_waitcnt vmcnt(0)
	v_fma_f64 v[15:16], v[15:16], v[2:3], -v[23:24]
	v_fma_f64 v[0:1], v[17:18], v[2:3], v[0:1]
	v_add_f64 v[2:3], v[19:20], -v[15:16]
	v_add_f64 v[0:1], v[21:22], -v[0:1]
	s_clause 0x3
	buffer_load_dword v19, v4, s[0:3], 0 offen offset:32
	buffer_load_dword v20, v4, s[0:3], 0 offen offset:36
	;; [unrolled: 1-line block ×4, first 2 shown]
	buffer_store_dword v3, v4, s[0:3], 0 offen offset:20
	buffer_store_dword v2, v4, s[0:3], 0 offen offset:16
	buffer_store_dword v1, v4, s[0:3], 0 offen offset:28
	buffer_store_dword v0, v4, s[0:3], 0 offen offset:24
	s_clause 0x3
	buffer_load_dword v23, off, s[0:3], 0 offset:280
	buffer_load_dword v24, off, s[0:3], 0 offset:284
	;; [unrolled: 1-line block ×4, first 2 shown]
	ds_read2_b64 v[0:3], v10 offset0:4 offset1:5
	ds_read2_b64 v[15:18], v10 offset0:6 offset1:7
	s_waitcnt vmcnt(2) lgkmcnt(1)
	v_mul_f64 v[27:28], v[2:3], v[23:24]
	v_mul_f64 v[23:24], v[0:1], v[23:24]
	s_waitcnt vmcnt(0)
	v_fma_f64 v[0:1], v[0:1], v[25:26], -v[27:28]
	v_fma_f64 v[2:3], v[2:3], v[25:26], v[23:24]
	v_add_f64 v[0:1], v[19:20], -v[0:1]
	v_add_f64 v[2:3], v[21:22], -v[2:3]
	buffer_store_dword v1, v4, s[0:3], 0 offen offset:36
	buffer_store_dword v0, v4, s[0:3], 0 offen offset:32
	;; [unrolled: 1-line block ×4, first 2 shown]
	s_clause 0x7
	buffer_load_dword v0, off, s[0:3], 0 offset:280
	buffer_load_dword v1, off, s[0:3], 0 offset:284
	buffer_load_dword v2, off, s[0:3], 0 offset:272
	buffer_load_dword v3, off, s[0:3], 0 offset:276
	buffer_load_dword v19, v4, s[0:3], 0 offen offset:48
	buffer_load_dword v20, v4, s[0:3], 0 offen offset:52
	;; [unrolled: 1-line block ×4, first 2 shown]
	s_waitcnt vmcnt(6) lgkmcnt(0)
	v_mul_f64 v[23:24], v[17:18], v[0:1]
	v_mul_f64 v[0:1], v[15:16], v[0:1]
	s_waitcnt vmcnt(4)
	v_fma_f64 v[15:16], v[15:16], v[2:3], -v[23:24]
	v_fma_f64 v[0:1], v[17:18], v[2:3], v[0:1]
	s_waitcnt vmcnt(2)
	v_add_f64 v[2:3], v[19:20], -v[15:16]
	s_waitcnt vmcnt(0)
	v_add_f64 v[0:1], v[21:22], -v[0:1]
	buffer_store_dword v3, v4, s[0:3], 0 offen offset:52
	buffer_store_dword v2, v4, s[0:3], 0 offen offset:48
	;; [unrolled: 1-line block ×4, first 2 shown]
	s_cbranch_scc1 .LBB122_446
.LBB122_447:
	s_or_b32 exec_lo, exec_lo, s4
	v_mov_b32_e32 v3, s64
	s_waitcnt_vscnt null, 0x0
	s_barrier
	buffer_gl0_inv
	v_lshl_add_u32 v4, v11, 4, v12
	s_clause 0x3
	buffer_load_dword v0, v3, s[0:3], 0 offen
	buffer_load_dword v1, v3, s[0:3], 0 offen offset:4
	buffer_load_dword v2, v3, s[0:3], 0 offen offset:8
	;; [unrolled: 1-line block ×3, first 2 shown]
	s_cmp_lt_i32 s57, 20
	s_waitcnt vmcnt(0)
	ds_write2_b64 v4, v[0:1], v[2:3] offset1:1
	s_waitcnt lgkmcnt(0)
	s_barrier
	buffer_gl0_inv
	ds_read2_b64 v[0:3], v12 offset0:36 offset1:37
	v_mov_b32_e32 v4, 18
	s_cbranch_scc1 .LBB122_450
; %bb.448:
	v_add3_u32 v10, v14, 0, 0x130
	v_mov_b32_e32 v4, 18
	s_mov_b32 s16, 19
	s_inst_prefetch 0x1
	.p2align	6
.LBB122_449:                            ; =>This Inner Loop Header: Depth=1
	s_waitcnt lgkmcnt(0)
	v_cmp_gt_f64_e32 vcc_lo, 0, v[2:3]
	v_cmp_gt_f64_e64 s4, 0, v[0:1]
	ds_read2_b64 v[15:18], v10 offset1:1
	v_xor_b32_e32 v20, 0x80000000, v1
	v_xor_b32_e32 v22, 0x80000000, v3
	v_mov_b32_e32 v19, v0
	v_mov_b32_e32 v21, v2
	v_add_nc_u32_e32 v10, 16, v10
	s_waitcnt lgkmcnt(0)
	v_xor_b32_e32 v24, 0x80000000, v18
	v_cndmask_b32_e64 v20, v1, v20, s4
	v_cndmask_b32_e32 v22, v3, v22, vcc_lo
	v_cmp_gt_f64_e32 vcc_lo, 0, v[17:18]
	v_cmp_gt_f64_e64 s4, 0, v[15:16]
	v_mov_b32_e32 v23, v17
	v_add_f64 v[19:20], v[19:20], v[21:22]
	v_xor_b32_e32 v22, 0x80000000, v16
	v_mov_b32_e32 v21, v15
	v_cndmask_b32_e32 v24, v18, v24, vcc_lo
	v_cndmask_b32_e64 v22, v16, v22, s4
	v_add_f64 v[21:22], v[21:22], v[23:24]
	v_cmp_lt_f64_e32 vcc_lo, v[19:20], v[21:22]
	v_cndmask_b32_e32 v1, v1, v16, vcc_lo
	v_cndmask_b32_e32 v0, v0, v15, vcc_lo
	;; [unrolled: 1-line block ×4, first 2 shown]
	v_cndmask_b32_e64 v4, v4, s16, vcc_lo
	s_add_i32 s16, s16, 1
	s_cmp_lg_u32 s57, s16
	s_cbranch_scc1 .LBB122_449
.LBB122_450:
	s_inst_prefetch 0x2
	s_waitcnt lgkmcnt(0)
	v_cmp_eq_f64_e32 vcc_lo, 0, v[0:1]
	v_cmp_eq_f64_e64 s4, 0, v[2:3]
	s_and_b32 s4, vcc_lo, s4
	s_and_saveexec_b32 s16, s4
	s_xor_b32 s4, exec_lo, s16
; %bb.451:
	v_cmp_ne_u32_e32 vcc_lo, 0, v13
	v_cndmask_b32_e32 v13, 19, v13, vcc_lo
; %bb.452:
	s_andn2_saveexec_b32 s4, s4
	s_cbranch_execz .LBB122_458
; %bb.453:
	v_cmp_ngt_f64_e64 s16, |v[0:1]|, |v[2:3]|
	s_and_saveexec_b32 s17, s16
	s_xor_b32 s16, exec_lo, s17
	s_cbranch_execz .LBB122_455
; %bb.454:
	v_div_scale_f64 v[15:16], null, v[2:3], v[2:3], v[0:1]
	v_div_scale_f64 v[21:22], vcc_lo, v[0:1], v[2:3], v[0:1]
	v_rcp_f64_e32 v[17:18], v[15:16]
	v_fma_f64 v[19:20], -v[15:16], v[17:18], 1.0
	v_fma_f64 v[17:18], v[17:18], v[19:20], v[17:18]
	v_fma_f64 v[19:20], -v[15:16], v[17:18], 1.0
	v_fma_f64 v[17:18], v[17:18], v[19:20], v[17:18]
	v_mul_f64 v[19:20], v[21:22], v[17:18]
	v_fma_f64 v[15:16], -v[15:16], v[19:20], v[21:22]
	v_div_fmas_f64 v[15:16], v[15:16], v[17:18], v[19:20]
	v_div_fixup_f64 v[15:16], v[15:16], v[2:3], v[0:1]
	v_fma_f64 v[0:1], v[0:1], v[15:16], v[2:3]
	v_div_scale_f64 v[2:3], null, v[0:1], v[0:1], 1.0
	v_rcp_f64_e32 v[17:18], v[2:3]
	v_fma_f64 v[19:20], -v[2:3], v[17:18], 1.0
	v_fma_f64 v[17:18], v[17:18], v[19:20], v[17:18]
	v_fma_f64 v[19:20], -v[2:3], v[17:18], 1.0
	v_fma_f64 v[17:18], v[17:18], v[19:20], v[17:18]
	v_div_scale_f64 v[19:20], vcc_lo, 1.0, v[0:1], 1.0
	v_mul_f64 v[21:22], v[19:20], v[17:18]
	v_fma_f64 v[2:3], -v[2:3], v[21:22], v[19:20]
	v_div_fmas_f64 v[2:3], v[2:3], v[17:18], v[21:22]
	v_div_fixup_f64 v[2:3], v[2:3], v[0:1], 1.0
	v_mul_f64 v[0:1], v[15:16], v[2:3]
	v_xor_b32_e32 v3, 0x80000000, v3
.LBB122_455:
	s_andn2_saveexec_b32 s16, s16
	s_cbranch_execz .LBB122_457
; %bb.456:
	v_div_scale_f64 v[15:16], null, v[0:1], v[0:1], v[2:3]
	v_div_scale_f64 v[21:22], vcc_lo, v[2:3], v[0:1], v[2:3]
	v_rcp_f64_e32 v[17:18], v[15:16]
	v_fma_f64 v[19:20], -v[15:16], v[17:18], 1.0
	v_fma_f64 v[17:18], v[17:18], v[19:20], v[17:18]
	v_fma_f64 v[19:20], -v[15:16], v[17:18], 1.0
	v_fma_f64 v[17:18], v[17:18], v[19:20], v[17:18]
	v_mul_f64 v[19:20], v[21:22], v[17:18]
	v_fma_f64 v[15:16], -v[15:16], v[19:20], v[21:22]
	v_div_fmas_f64 v[15:16], v[15:16], v[17:18], v[19:20]
	v_div_fixup_f64 v[15:16], v[15:16], v[0:1], v[2:3]
	v_fma_f64 v[0:1], v[2:3], v[15:16], v[0:1]
	v_div_scale_f64 v[2:3], null, v[0:1], v[0:1], 1.0
	v_rcp_f64_e32 v[17:18], v[2:3]
	v_fma_f64 v[19:20], -v[2:3], v[17:18], 1.0
	v_fma_f64 v[17:18], v[17:18], v[19:20], v[17:18]
	v_fma_f64 v[19:20], -v[2:3], v[17:18], 1.0
	v_fma_f64 v[17:18], v[17:18], v[19:20], v[17:18]
	v_div_scale_f64 v[19:20], vcc_lo, 1.0, v[0:1], 1.0
	v_mul_f64 v[21:22], v[19:20], v[17:18]
	v_fma_f64 v[2:3], -v[2:3], v[21:22], v[19:20]
	v_div_fmas_f64 v[2:3], v[2:3], v[17:18], v[21:22]
	v_div_fixup_f64 v[0:1], v[2:3], v[0:1], 1.0
	v_mul_f64 v[2:3], v[15:16], -v[0:1]
.LBB122_457:
	s_or_b32 exec_lo, exec_lo, s16
.LBB122_458:
	s_or_b32 exec_lo, exec_lo, s4
	s_mov_b32 s4, exec_lo
	v_cmpx_ne_u32_e64 v11, v4
	s_xor_b32 s4, exec_lo, s4
	s_cbranch_execz .LBB122_464
; %bb.459:
	s_mov_b32 s16, exec_lo
	v_cmpx_eq_u32_e32 18, v11
	s_cbranch_execz .LBB122_463
; %bb.460:
	v_cmp_ne_u32_e32 vcc_lo, 18, v4
	s_xor_b32 s17, s20, -1
	s_and_b32 s56, s17, vcc_lo
	s_and_saveexec_b32 s17, s56
	s_cbranch_execz .LBB122_462
; %bb.461:
	v_ashrrev_i32_e32 v5, 31, v4
	v_lshlrev_b64 v[10:11], 2, v[4:5]
	v_add_co_u32 v10, vcc_lo, v8, v10
	v_add_co_ci_u32_e64 v11, null, v9, v11, vcc_lo
	s_clause 0x1
	global_load_dword v5, v[10:11], off
	global_load_dword v15, v[8:9], off offset:72
	s_waitcnt vmcnt(1)
	global_store_dword v[8:9], v5, off offset:72
	s_waitcnt vmcnt(0)
	global_store_dword v[10:11], v15, off
.LBB122_462:
	s_or_b32 exec_lo, exec_lo, s17
	v_mov_b32_e32 v11, v4
	v_mov_b32_e32 v5, v4
.LBB122_463:
	s_or_b32 exec_lo, exec_lo, s16
.LBB122_464:
	s_andn2_saveexec_b32 s4, s4
	s_cbranch_execz .LBB122_470
; %bb.465:
	s_movk_i32 s16, 0x130
	s_branch .LBB122_467
.LBB122_466:                            ;   in Loop: Header=BB122_467 Depth=1
	s_andn2_b32 vcc_lo, exec_lo, s56
	s_cbranch_vccz .LBB122_469
.LBB122_467:                            ; =>This Inner Loop Header: Depth=1
	v_mov_b32_e32 v4, s16
	s_mov_b32 s17, s16
	s_mov_b32 s56, -1
	s_cmpk_eq_i32 s16, 0x3b0
	s_clause 0xb
	buffer_load_dword v10, v4, s[0:3], 0 offen
	buffer_load_dword v11, v4, s[0:3], 0 offen offset:4
	buffer_load_dword v15, v4, s[0:3], 0 offen offset:8
	;; [unrolled: 1-line block ×11, first 2 shown]
	v_add_nc_u32_e32 v4, s16, v12
	s_waitcnt vmcnt(8)
	ds_write2_b64 v4, v[10:11], v[15:16] offset1:1
	s_waitcnt vmcnt(4)
	ds_write2_b64 v4, v[17:18], v[19:20] offset0:2 offset1:3
	s_waitcnt vmcnt(0)
	ds_write2_b64 v4, v[21:22], v[23:24] offset0:4 offset1:5
	s_cbranch_scc1 .LBB122_466
; %bb.468:                              ;   in Loop: Header=BB122_467 Depth=1
	v_mov_b32_e32 v31, s17
	s_addk_i32 s16, 0x80
	s_mov_b32 s56, 0
	s_clause 0x13
	buffer_load_dword v10, v31, s[0:3], 0 offen offset:48
	buffer_load_dword v11, v31, s[0:3], 0 offen offset:52
	;; [unrolled: 1-line block ×20, first 2 shown]
	s_waitcnt vmcnt(16)
	ds_write2_b64 v4, v[10:11], v[15:16] offset0:6 offset1:7
	s_waitcnt vmcnt(12)
	ds_write2_b64 v4, v[17:18], v[19:20] offset0:8 offset1:9
	;; [unrolled: 2-line block ×5, first 2 shown]
	s_branch .LBB122_466
.LBB122_469:
	v_mov_b32_e32 v11, 18
.LBB122_470:
	s_or_b32 exec_lo, exec_lo, s4
	s_mov_b32 s4, exec_lo
	s_waitcnt lgkmcnt(0)
	s_waitcnt_vscnt null, 0x0
	s_barrier
	buffer_gl0_inv
	v_cmpx_lt_i32_e32 18, v11
	s_cbranch_execz .LBB122_475
; %bb.471:
	s_clause 0x3
	buffer_load_dword v15, off, s[0:3], 0 offset:296
	buffer_load_dword v16, off, s[0:3], 0 offset:300
	;; [unrolled: 1-line block ×4, first 2 shown]
	s_movk_i32 s81, 0x130
	s_waitcnt vmcnt(2)
	v_mul_f64 v[19:20], v[2:3], v[15:16]
	v_mul_f64 v[15:16], v[0:1], v[15:16]
	s_waitcnt vmcnt(0)
	v_fma_f64 v[0:1], v[0:1], v[17:18], -v[19:20]
	v_fma_f64 v[2:3], v[2:3], v[17:18], v[15:16]
	buffer_store_dword v0, off, s[0:3], 0 offset:288
	buffer_store_dword v1, off, s[0:3], 0 offset:292
	;; [unrolled: 1-line block ×4, first 2 shown]
	s_branch .LBB122_473
.LBB122_472:                            ;   in Loop: Header=BB122_473 Depth=1
	s_andn2_b32 vcc_lo, exec_lo, s17
	s_cbranch_vccz .LBB122_475
.LBB122_473:                            ; =>This Inner Loop Header: Depth=1
	v_mov_b32_e32 v10, s81
	v_add_nc_u32_e32 v4, s81, v12
	s_mov_b32 s16, s81
	s_mov_b32 s17, -1
	s_cmpk_eq_i32 s81, 0x3b0
	s_clause 0x3
	buffer_load_dword v23, v10, s[0:3], 0 offen
	buffer_load_dword v24, v10, s[0:3], 0 offen offset:4
	buffer_load_dword v25, v10, s[0:3], 0 offen offset:8
	;; [unrolled: 1-line block ×3, first 2 shown]
	ds_read2_b64 v[15:18], v4 offset1:1
	ds_read2_b64 v[19:22], v4 offset0:2 offset1:3
	s_waitcnt vmcnt(5) lgkmcnt(1)
	v_mul_f64 v[27:28], v[17:18], v[2:3]
	v_mul_f64 v[2:3], v[15:16], v[2:3]
	s_waitcnt vmcnt(4)
	v_fma_f64 v[15:16], v[15:16], v[0:1], -v[27:28]
	v_fma_f64 v[0:1], v[17:18], v[0:1], v[2:3]
	s_clause 0x2
	buffer_load_dword v2, v10, s[0:3], 0 offen offset:20
	buffer_load_dword v17, v10, s[0:3], 0 offen offset:28
	;; [unrolled: 1-line block ×3, first 2 shown]
	s_waitcnt vmcnt(5)
	v_add_f64 v[15:16], v[23:24], -v[15:16]
	s_waitcnt vmcnt(3)
	v_add_f64 v[0:1], v[25:26], -v[0:1]
	buffer_store_dword v16, v10, s[0:3], 0 offen offset:4
	buffer_store_dword v15, v10, s[0:3], 0 offen
	buffer_store_dword v1, v10, s[0:3], 0 offen offset:12
	buffer_store_dword v0, v10, s[0:3], 0 offen offset:8
	s_clause 0x6
	buffer_load_dword v16, v10, s[0:3], 0 offen offset:24
	buffer_load_dword v23, v10, s[0:3], 0 offen offset:36
	buffer_load_dword v25, off, s[0:3], 0 offset:300
	buffer_load_dword v24, off, s[0:3], 0 offset:296
	;; [unrolled: 1-line block ×4, first 2 shown]
	buffer_load_dword v1, v10, s[0:3], 0 offen offset:16
	s_waitcnt vmcnt(3) lgkmcnt(0)
	v_mul_f64 v[28:29], v[21:22], v[24:25]
	v_mul_f64 v[24:25], v[19:20], v[24:25]
	s_waitcnt vmcnt(1)
	v_fma_f64 v[19:20], v[19:20], v[26:27], -v[28:29]
	v_fma_f64 v[21:22], v[21:22], v[26:27], v[24:25]
	s_waitcnt vmcnt(0)
	v_add_f64 v[0:1], v[1:2], -v[19:20]
	v_add_f64 v[2:3], v[16:17], -v[21:22]
	buffer_store_dword v1, v10, s[0:3], 0 offen offset:20
	buffer_store_dword v0, v10, s[0:3], 0 offen offset:16
	;; [unrolled: 1-line block ×4, first 2 shown]
	s_clause 0x5
	buffer_load_dword v19, v10, s[0:3], 0 offen offset:44
	buffer_load_dword v15, off, s[0:3], 0 offset:296
	buffer_load_dword v16, off, s[0:3], 0 offset:300
	;; [unrolled: 1-line block ×4, first 2 shown]
	buffer_load_dword v22, v10, s[0:3], 0 offen offset:32
	ds_read2_b64 v[0:3], v4 offset0:4 offset1:5
	s_waitcnt vmcnt(3) lgkmcnt(0)
	v_mul_f64 v[24:25], v[2:3], v[15:16]
	v_mul_f64 v[15:16], v[0:1], v[15:16]
	s_waitcnt vmcnt(1)
	v_fma_f64 v[0:1], v[0:1], v[20:21], -v[24:25]
	v_fma_f64 v[2:3], v[2:3], v[20:21], v[15:16]
	s_waitcnt vmcnt(0)
	v_add_f64 v[0:1], v[22:23], -v[0:1]
	v_add_f64 v[2:3], v[18:19], -v[2:3]
	buffer_store_dword v1, v10, s[0:3], 0 offen offset:36
	buffer_store_dword v0, v10, s[0:3], 0 offen offset:32
	;; [unrolled: 1-line block ×4, first 2 shown]
                                        ; implicit-def: $vgpr0_vgpr1
                                        ; implicit-def: $vgpr2_vgpr3
	s_cbranch_scc1 .LBB122_472
; %bb.474:                              ;   in Loop: Header=BB122_473 Depth=1
	s_clause 0x3
	buffer_load_dword v15, off, s[0:3], 0 offset:296
	buffer_load_dword v16, off, s[0:3], 0 offset:300
	;; [unrolled: 1-line block ×4, first 2 shown]
	v_mov_b32_e32 v10, s16
	s_add_i32 s81, s81, 64
	s_mov_b32 s17, 0
	s_clause 0x3
	buffer_load_dword v19, v10, s[0:3], 0 offen offset:48
	buffer_load_dword v20, v10, s[0:3], 0 offen offset:52
	;; [unrolled: 1-line block ×4, first 2 shown]
	ds_read2_b64 v[0:3], v4 offset0:6 offset1:7
	s_waitcnt vmcnt(6) lgkmcnt(0)
	v_mul_f64 v[23:24], v[2:3], v[15:16]
	v_mul_f64 v[15:16], v[0:1], v[15:16]
	s_waitcnt vmcnt(4)
	v_fma_f64 v[0:1], v[0:1], v[17:18], -v[23:24]
	v_fma_f64 v[2:3], v[2:3], v[17:18], v[15:16]
	s_waitcnt vmcnt(2)
	v_add_f64 v[0:1], v[19:20], -v[0:1]
	s_waitcnt vmcnt(0)
	v_add_f64 v[2:3], v[21:22], -v[2:3]
	buffer_store_dword v1, v10, s[0:3], 0 offen offset:52
	buffer_store_dword v0, v10, s[0:3], 0 offen offset:48
	;; [unrolled: 1-line block ×4, first 2 shown]
	s_clause 0x3
	buffer_load_dword v1, off, s[0:3], 0 offset:292
	buffer_load_dword v3, off, s[0:3], 0 offset:300
	;; [unrolled: 1-line block ×4, first 2 shown]
	s_branch .LBB122_472
.LBB122_475:
	s_or_b32 exec_lo, exec_lo, s4
	s_waitcnt vmcnt(2)
	v_mov_b32_e32 v3, s63
	s_waitcnt vmcnt(0)
	s_waitcnt_vscnt null, 0x0
	s_barrier
	buffer_gl0_inv
	v_lshl_add_u32 v4, v11, 4, v12
	s_clause 0x3
	buffer_load_dword v0, v3, s[0:3], 0 offen
	buffer_load_dword v1, v3, s[0:3], 0 offen offset:4
	buffer_load_dword v2, v3, s[0:3], 0 offen offset:8
	;; [unrolled: 1-line block ×3, first 2 shown]
	s_cmp_lt_i32 s57, 21
	s_waitcnt vmcnt(0)
	ds_write2_b64 v4, v[0:1], v[2:3] offset1:1
	s_waitcnt lgkmcnt(0)
	s_barrier
	buffer_gl0_inv
	ds_read2_b64 v[0:3], v12 offset0:38 offset1:39
	v_mov_b32_e32 v4, 19
	s_cbranch_scc1 .LBB122_478
; %bb.476:
	v_add3_u32 v10, v14, 0, 0x140
	v_mov_b32_e32 v4, 19
	s_mov_b32 s16, 20
	s_inst_prefetch 0x1
	.p2align	6
.LBB122_477:                            ; =>This Inner Loop Header: Depth=1
	s_waitcnt lgkmcnt(0)
	v_cmp_gt_f64_e32 vcc_lo, 0, v[2:3]
	v_cmp_gt_f64_e64 s4, 0, v[0:1]
	ds_read2_b64 v[15:18], v10 offset1:1
	v_xor_b32_e32 v20, 0x80000000, v1
	v_xor_b32_e32 v22, 0x80000000, v3
	v_mov_b32_e32 v19, v0
	v_mov_b32_e32 v21, v2
	v_add_nc_u32_e32 v10, 16, v10
	s_waitcnt lgkmcnt(0)
	v_xor_b32_e32 v24, 0x80000000, v18
	v_cndmask_b32_e64 v20, v1, v20, s4
	v_cndmask_b32_e32 v22, v3, v22, vcc_lo
	v_cmp_gt_f64_e32 vcc_lo, 0, v[17:18]
	v_cmp_gt_f64_e64 s4, 0, v[15:16]
	v_mov_b32_e32 v23, v17
	v_add_f64 v[19:20], v[19:20], v[21:22]
	v_xor_b32_e32 v22, 0x80000000, v16
	v_mov_b32_e32 v21, v15
	v_cndmask_b32_e32 v24, v18, v24, vcc_lo
	v_cndmask_b32_e64 v22, v16, v22, s4
	v_add_f64 v[21:22], v[21:22], v[23:24]
	v_cmp_lt_f64_e32 vcc_lo, v[19:20], v[21:22]
	v_cndmask_b32_e32 v1, v1, v16, vcc_lo
	v_cndmask_b32_e32 v0, v0, v15, vcc_lo
	;; [unrolled: 1-line block ×4, first 2 shown]
	v_cndmask_b32_e64 v4, v4, s16, vcc_lo
	s_add_i32 s16, s16, 1
	s_cmp_lg_u32 s57, s16
	s_cbranch_scc1 .LBB122_477
.LBB122_478:
	s_inst_prefetch 0x2
	s_waitcnt lgkmcnt(0)
	v_cmp_eq_f64_e32 vcc_lo, 0, v[0:1]
	v_cmp_eq_f64_e64 s4, 0, v[2:3]
	s_and_b32 s4, vcc_lo, s4
	s_and_saveexec_b32 s16, s4
	s_xor_b32 s4, exec_lo, s16
; %bb.479:
	v_cmp_ne_u32_e32 vcc_lo, 0, v13
	v_cndmask_b32_e32 v13, 20, v13, vcc_lo
; %bb.480:
	s_andn2_saveexec_b32 s4, s4
	s_cbranch_execz .LBB122_486
; %bb.481:
	v_cmp_ngt_f64_e64 s16, |v[0:1]|, |v[2:3]|
	s_and_saveexec_b32 s17, s16
	s_xor_b32 s16, exec_lo, s17
	s_cbranch_execz .LBB122_483
; %bb.482:
	v_div_scale_f64 v[15:16], null, v[2:3], v[2:3], v[0:1]
	v_div_scale_f64 v[21:22], vcc_lo, v[0:1], v[2:3], v[0:1]
	v_rcp_f64_e32 v[17:18], v[15:16]
	v_fma_f64 v[19:20], -v[15:16], v[17:18], 1.0
	v_fma_f64 v[17:18], v[17:18], v[19:20], v[17:18]
	v_fma_f64 v[19:20], -v[15:16], v[17:18], 1.0
	v_fma_f64 v[17:18], v[17:18], v[19:20], v[17:18]
	v_mul_f64 v[19:20], v[21:22], v[17:18]
	v_fma_f64 v[15:16], -v[15:16], v[19:20], v[21:22]
	v_div_fmas_f64 v[15:16], v[15:16], v[17:18], v[19:20]
	v_div_fixup_f64 v[15:16], v[15:16], v[2:3], v[0:1]
	v_fma_f64 v[0:1], v[0:1], v[15:16], v[2:3]
	v_div_scale_f64 v[2:3], null, v[0:1], v[0:1], 1.0
	v_rcp_f64_e32 v[17:18], v[2:3]
	v_fma_f64 v[19:20], -v[2:3], v[17:18], 1.0
	v_fma_f64 v[17:18], v[17:18], v[19:20], v[17:18]
	v_fma_f64 v[19:20], -v[2:3], v[17:18], 1.0
	v_fma_f64 v[17:18], v[17:18], v[19:20], v[17:18]
	v_div_scale_f64 v[19:20], vcc_lo, 1.0, v[0:1], 1.0
	v_mul_f64 v[21:22], v[19:20], v[17:18]
	v_fma_f64 v[2:3], -v[2:3], v[21:22], v[19:20]
	v_div_fmas_f64 v[2:3], v[2:3], v[17:18], v[21:22]
	v_div_fixup_f64 v[2:3], v[2:3], v[0:1], 1.0
	v_mul_f64 v[0:1], v[15:16], v[2:3]
	v_xor_b32_e32 v3, 0x80000000, v3
.LBB122_483:
	s_andn2_saveexec_b32 s16, s16
	s_cbranch_execz .LBB122_485
; %bb.484:
	v_div_scale_f64 v[15:16], null, v[0:1], v[0:1], v[2:3]
	v_div_scale_f64 v[21:22], vcc_lo, v[2:3], v[0:1], v[2:3]
	v_rcp_f64_e32 v[17:18], v[15:16]
	v_fma_f64 v[19:20], -v[15:16], v[17:18], 1.0
	v_fma_f64 v[17:18], v[17:18], v[19:20], v[17:18]
	v_fma_f64 v[19:20], -v[15:16], v[17:18], 1.0
	v_fma_f64 v[17:18], v[17:18], v[19:20], v[17:18]
	v_mul_f64 v[19:20], v[21:22], v[17:18]
	v_fma_f64 v[15:16], -v[15:16], v[19:20], v[21:22]
	v_div_fmas_f64 v[15:16], v[15:16], v[17:18], v[19:20]
	v_div_fixup_f64 v[15:16], v[15:16], v[0:1], v[2:3]
	v_fma_f64 v[0:1], v[2:3], v[15:16], v[0:1]
	v_div_scale_f64 v[2:3], null, v[0:1], v[0:1], 1.0
	v_rcp_f64_e32 v[17:18], v[2:3]
	v_fma_f64 v[19:20], -v[2:3], v[17:18], 1.0
	v_fma_f64 v[17:18], v[17:18], v[19:20], v[17:18]
	v_fma_f64 v[19:20], -v[2:3], v[17:18], 1.0
	v_fma_f64 v[17:18], v[17:18], v[19:20], v[17:18]
	v_div_scale_f64 v[19:20], vcc_lo, 1.0, v[0:1], 1.0
	v_mul_f64 v[21:22], v[19:20], v[17:18]
	v_fma_f64 v[2:3], -v[2:3], v[21:22], v[19:20]
	v_div_fmas_f64 v[2:3], v[2:3], v[17:18], v[21:22]
	v_div_fixup_f64 v[0:1], v[2:3], v[0:1], 1.0
	v_mul_f64 v[2:3], v[15:16], -v[0:1]
.LBB122_485:
	s_or_b32 exec_lo, exec_lo, s16
.LBB122_486:
	s_or_b32 exec_lo, exec_lo, s4
	s_mov_b32 s4, exec_lo
	v_cmpx_ne_u32_e64 v11, v4
	s_xor_b32 s4, exec_lo, s4
	s_cbranch_execz .LBB122_492
; %bb.487:
	s_mov_b32 s16, exec_lo
	v_cmpx_eq_u32_e32 19, v11
	s_cbranch_execz .LBB122_491
; %bb.488:
	v_cmp_ne_u32_e32 vcc_lo, 19, v4
	s_xor_b32 s17, s20, -1
	s_and_b32 s56, s17, vcc_lo
	s_and_saveexec_b32 s17, s56
	s_cbranch_execz .LBB122_490
; %bb.489:
	v_ashrrev_i32_e32 v5, 31, v4
	v_lshlrev_b64 v[10:11], 2, v[4:5]
	v_add_co_u32 v10, vcc_lo, v8, v10
	v_add_co_ci_u32_e64 v11, null, v9, v11, vcc_lo
	s_clause 0x1
	global_load_dword v5, v[10:11], off
	global_load_dword v15, v[8:9], off offset:76
	s_waitcnt vmcnt(1)
	global_store_dword v[8:9], v5, off offset:76
	s_waitcnt vmcnt(0)
	global_store_dword v[10:11], v15, off
.LBB122_490:
	s_or_b32 exec_lo, exec_lo, s17
	v_mov_b32_e32 v11, v4
	v_mov_b32_e32 v5, v4
.LBB122_491:
	s_or_b32 exec_lo, exec_lo, s16
.LBB122_492:
	s_andn2_saveexec_b32 s4, s4
	s_cbranch_execz .LBB122_496
; %bb.493:
	s_movk_i32 s16, 0x140
.LBB122_494:                            ; =>This Inner Loop Header: Depth=1
	v_mov_b32_e32 v4, s16
	s_clause 0x37
	buffer_load_dword v10, v4, s[0:3], 0 offen
	buffer_load_dword v11, v4, s[0:3], 0 offen offset:4
	buffer_load_dword v15, v4, s[0:3], 0 offen offset:8
	;; [unrolled: 1-line block ×55, first 2 shown]
	v_add_nc_u32_e32 v4, s16, v12
	s_addk_i32 s16, 0xe0
	s_waitcnt vmcnt(52)
	ds_write2_b64 v4, v[10:11], v[15:16] offset1:1
	s_waitcnt vmcnt(48)
	ds_write2_b64 v4, v[17:18], v[19:20] offset0:2 offset1:3
	s_waitcnt vmcnt(44)
	ds_write2_b64 v4, v[21:22], v[23:24] offset0:4 offset1:5
	s_waitcnt vmcnt(40)
	ds_write2_b64 v4, v[25:26], v[27:28] offset0:6 offset1:7
	s_waitcnt vmcnt(32)
	ds_write2_b64 v4, v[35:36], v[29:30] offset0:8 offset1:9
	ds_write2_b64 v4, v[33:34], v[31:32] offset0:10 offset1:11
	s_waitcnt vmcnt(24)
	ds_write2_b64 v4, v[43:44], v[37:38] offset0:12 offset1:13
	ds_write2_b64 v4, v[41:42], v[39:40] offset0:14 offset1:15
	s_waitcnt vmcnt(20)
	ds_write2_b64 v4, v[45:46], v[47:48] offset0:16 offset1:17
	s_waitcnt vmcnt(16)
	;; [unrolled: 2-line block ×6, first 2 shown]
	ds_write2_b64 v4, v[65:66], v[67:68] offset0:26 offset1:27
	s_cmpk_eq_i32 s16, 0x3e0
	s_cbranch_scc0 .LBB122_494
; %bb.495:
	v_mov_b32_e32 v11, 19
.LBB122_496:
	s_or_b32 exec_lo, exec_lo, s4
	s_mov_b32 s4, exec_lo
	s_waitcnt lgkmcnt(0)
	s_waitcnt_vscnt null, 0x0
	s_barrier
	buffer_gl0_inv
	v_cmpx_lt_i32_e32 19, v11
	s_cbranch_execz .LBB122_499
; %bb.497:
	s_clause 0x3
	buffer_load_dword v15, off, s[0:3], 0 offset:312
	buffer_load_dword v16, off, s[0:3], 0 offset:316
	;; [unrolled: 1-line block ×4, first 2 shown]
	s_movk_i32 s81, 0x140
	s_waitcnt vmcnt(2)
	v_mul_f64 v[19:20], v[2:3], v[15:16]
	v_mul_f64 v[15:16], v[0:1], v[15:16]
	s_waitcnt vmcnt(0)
	v_fma_f64 v[0:1], v[0:1], v[17:18], -v[19:20]
	v_fma_f64 v[2:3], v[2:3], v[17:18], v[15:16]
	buffer_store_dword v0, off, s[0:3], 0 offset:304
	buffer_store_dword v1, off, s[0:3], 0 offset:308
	;; [unrolled: 1-line block ×4, first 2 shown]
.LBB122_498:                            ; =>This Inner Loop Header: Depth=1
	s_clause 0x3
	buffer_load_dword v19, off, s[0:3], 0 offset:312
	buffer_load_dword v20, off, s[0:3], 0 offset:316
	;; [unrolled: 1-line block ×4, first 2 shown]
	v_mov_b32_e32 v4, s81
	v_add_nc_u32_e32 v10, s81, v12
	s_addk_i32 s81, 0x70
	s_clause 0x3
	buffer_load_dword v23, v4, s[0:3], 0 offen
	buffer_load_dword v24, v4, s[0:3], 0 offen offset:4
	buffer_load_dword v25, v4, s[0:3], 0 offen offset:8
	;; [unrolled: 1-line block ×3, first 2 shown]
	ds_read2_b64 v[0:3], v10 offset1:1
	s_clause 0x3
	buffer_load_dword v27, v4, s[0:3], 0 offen offset:16
	buffer_load_dword v28, v4, s[0:3], 0 offen offset:20
	;; [unrolled: 1-line block ×4, first 2 shown]
	ds_read2_b64 v[15:18], v10 offset0:2 offset1:3
	s_cmpk_lg_i32 s81, 0x3e0
	s_waitcnt vmcnt(10) lgkmcnt(1)
	v_mul_f64 v[31:32], v[2:3], v[19:20]
	v_mul_f64 v[19:20], v[0:1], v[19:20]
	s_waitcnt vmcnt(8)
	v_fma_f64 v[0:1], v[0:1], v[21:22], -v[31:32]
	v_fma_f64 v[2:3], v[2:3], v[21:22], v[19:20]
	s_waitcnt vmcnt(6)
	v_add_f64 v[0:1], v[23:24], -v[0:1]
	s_waitcnt vmcnt(4)
	v_add_f64 v[2:3], v[25:26], -v[2:3]
	buffer_store_dword v1, v4, s[0:3], 0 offen offset:4
	buffer_store_dword v0, v4, s[0:3], 0 offen
	buffer_store_dword v3, v4, s[0:3], 0 offen offset:12
	buffer_store_dword v2, v4, s[0:3], 0 offen offset:8
	s_clause 0x7
	buffer_load_dword v1, off, s[0:3], 0 offset:316
	buffer_load_dword v0, off, s[0:3], 0 offset:312
	;; [unrolled: 1-line block ×4, first 2 shown]
	buffer_load_dword v19, v4, s[0:3], 0 offen offset:32
	buffer_load_dword v20, v4, s[0:3], 0 offen offset:36
	;; [unrolled: 1-line block ×4, first 2 shown]
	s_waitcnt vmcnt(6) lgkmcnt(0)
	v_mul_f64 v[23:24], v[17:18], v[0:1]
	v_mul_f64 v[0:1], v[15:16], v[0:1]
	s_waitcnt vmcnt(4)
	v_fma_f64 v[15:16], v[15:16], v[2:3], -v[23:24]
	v_fma_f64 v[0:1], v[17:18], v[2:3], v[0:1]
	v_add_f64 v[2:3], v[27:28], -v[15:16]
	v_add_f64 v[0:1], v[29:30], -v[0:1]
	buffer_store_dword v3, v4, s[0:3], 0 offen offset:20
	buffer_store_dword v2, v4, s[0:3], 0 offen offset:16
	;; [unrolled: 1-line block ×4, first 2 shown]
	s_clause 0x3
	buffer_load_dword v23, off, s[0:3], 0 offset:312
	buffer_load_dword v24, off, s[0:3], 0 offset:316
	;; [unrolled: 1-line block ×4, first 2 shown]
	ds_read2_b64 v[0:3], v10 offset0:4 offset1:5
	ds_read2_b64 v[15:18], v10 offset0:6 offset1:7
	s_waitcnt vmcnt(2) lgkmcnt(1)
	v_mul_f64 v[27:28], v[2:3], v[23:24]
	v_mul_f64 v[23:24], v[0:1], v[23:24]
	s_waitcnt vmcnt(0)
	v_fma_f64 v[0:1], v[0:1], v[25:26], -v[27:28]
	v_fma_f64 v[2:3], v[2:3], v[25:26], v[23:24]
	v_add_f64 v[0:1], v[19:20], -v[0:1]
	v_add_f64 v[2:3], v[21:22], -v[2:3]
	buffer_store_dword v1, v4, s[0:3], 0 offen offset:36
	buffer_store_dword v0, v4, s[0:3], 0 offen offset:32
	;; [unrolled: 1-line block ×4, first 2 shown]
	s_clause 0x7
	buffer_load_dword v0, off, s[0:3], 0 offset:312
	buffer_load_dword v1, off, s[0:3], 0 offset:316
	;; [unrolled: 1-line block ×4, first 2 shown]
	buffer_load_dword v19, v4, s[0:3], 0 offen offset:48
	buffer_load_dword v20, v4, s[0:3], 0 offen offset:52
	;; [unrolled: 1-line block ×4, first 2 shown]
	s_waitcnt vmcnt(6) lgkmcnt(0)
	v_mul_f64 v[23:24], v[17:18], v[0:1]
	v_mul_f64 v[0:1], v[15:16], v[0:1]
	s_waitcnt vmcnt(4)
	v_fma_f64 v[15:16], v[15:16], v[2:3], -v[23:24]
	v_fma_f64 v[0:1], v[17:18], v[2:3], v[0:1]
	s_waitcnt vmcnt(2)
	v_add_f64 v[2:3], v[19:20], -v[15:16]
	s_waitcnt vmcnt(0)
	v_add_f64 v[0:1], v[21:22], -v[0:1]
	buffer_store_dword v3, v4, s[0:3], 0 offen offset:52
	buffer_store_dword v2, v4, s[0:3], 0 offen offset:48
	;; [unrolled: 1-line block ×4, first 2 shown]
	s_clause 0x7
	buffer_load_dword v19, off, s[0:3], 0 offset:312
	buffer_load_dword v20, off, s[0:3], 0 offset:316
	;; [unrolled: 1-line block ×4, first 2 shown]
	buffer_load_dword v23, v4, s[0:3], 0 offen offset:64
	buffer_load_dword v24, v4, s[0:3], 0 offen offset:68
	;; [unrolled: 1-line block ×4, first 2 shown]
	ds_read2_b64 v[0:3], v10 offset0:8 offset1:9
	ds_read2_b64 v[15:18], v10 offset0:10 offset1:11
	s_waitcnt vmcnt(6) lgkmcnt(1)
	v_mul_f64 v[27:28], v[2:3], v[19:20]
	v_mul_f64 v[19:20], v[0:1], v[19:20]
	s_waitcnt vmcnt(4)
	v_fma_f64 v[0:1], v[0:1], v[21:22], -v[27:28]
	v_fma_f64 v[2:3], v[2:3], v[21:22], v[19:20]
	s_waitcnt vmcnt(2)
	v_add_f64 v[0:1], v[23:24], -v[0:1]
	s_waitcnt vmcnt(0)
	v_add_f64 v[2:3], v[25:26], -v[2:3]
	buffer_store_dword v1, v4, s[0:3], 0 offen offset:68
	buffer_store_dword v0, v4, s[0:3], 0 offen offset:64
	;; [unrolled: 1-line block ×4, first 2 shown]
	s_clause 0x7
	buffer_load_dword v0, off, s[0:3], 0 offset:312
	buffer_load_dword v1, off, s[0:3], 0 offset:316
	;; [unrolled: 1-line block ×4, first 2 shown]
	buffer_load_dword v19, v4, s[0:3], 0 offen offset:80
	buffer_load_dword v20, v4, s[0:3], 0 offen offset:84
	;; [unrolled: 1-line block ×4, first 2 shown]
	s_waitcnt vmcnt(6) lgkmcnt(0)
	v_mul_f64 v[23:24], v[17:18], v[0:1]
	v_mul_f64 v[0:1], v[15:16], v[0:1]
	s_waitcnt vmcnt(4)
	v_fma_f64 v[15:16], v[15:16], v[2:3], -v[23:24]
	v_fma_f64 v[0:1], v[17:18], v[2:3], v[0:1]
	s_waitcnt vmcnt(2)
	v_add_f64 v[2:3], v[19:20], -v[15:16]
	s_waitcnt vmcnt(0)
	v_add_f64 v[0:1], v[21:22], -v[0:1]
	buffer_store_dword v3, v4, s[0:3], 0 offen offset:84
	buffer_store_dword v2, v4, s[0:3], 0 offen offset:80
	;; [unrolled: 1-line block ×4, first 2 shown]
	s_clause 0x7
	buffer_load_dword v15, off, s[0:3], 0 offset:312
	buffer_load_dword v16, off, s[0:3], 0 offset:316
	;; [unrolled: 1-line block ×4, first 2 shown]
	buffer_load_dword v19, v4, s[0:3], 0 offen offset:96
	buffer_load_dword v20, v4, s[0:3], 0 offen offset:100
	;; [unrolled: 1-line block ×4, first 2 shown]
	ds_read2_b64 v[0:3], v10 offset0:12 offset1:13
	s_waitcnt vmcnt(6) lgkmcnt(0)
	v_mul_f64 v[23:24], v[2:3], v[15:16]
	v_mul_f64 v[15:16], v[0:1], v[15:16]
	s_waitcnt vmcnt(4)
	v_fma_f64 v[0:1], v[0:1], v[17:18], -v[23:24]
	v_fma_f64 v[2:3], v[2:3], v[17:18], v[15:16]
	s_waitcnt vmcnt(2)
	v_add_f64 v[0:1], v[19:20], -v[0:1]
	s_waitcnt vmcnt(0)
	v_add_f64 v[2:3], v[21:22], -v[2:3]
	buffer_store_dword v1, v4, s[0:3], 0 offen offset:100
	buffer_store_dword v0, v4, s[0:3], 0 offen offset:96
	;; [unrolled: 1-line block ×4, first 2 shown]
	s_cbranch_scc1 .LBB122_498
.LBB122_499:
	s_or_b32 exec_lo, exec_lo, s4
	v_mov_b32_e32 v3, s62
	s_waitcnt_vscnt null, 0x0
	s_barrier
	buffer_gl0_inv
	v_lshl_add_u32 v4, v11, 4, v12
	s_clause 0x3
	buffer_load_dword v0, v3, s[0:3], 0 offen
	buffer_load_dword v1, v3, s[0:3], 0 offen offset:4
	buffer_load_dword v2, v3, s[0:3], 0 offen offset:8
	;; [unrolled: 1-line block ×3, first 2 shown]
	s_cmp_lt_i32 s57, 22
	s_waitcnt vmcnt(0)
	ds_write2_b64 v4, v[0:1], v[2:3] offset1:1
	s_waitcnt lgkmcnt(0)
	s_barrier
	buffer_gl0_inv
	ds_read2_b64 v[0:3], v12 offset0:40 offset1:41
	v_mov_b32_e32 v4, 20
	s_cbranch_scc1 .LBB122_502
; %bb.500:
	v_add3_u32 v10, v14, 0, 0x150
	v_mov_b32_e32 v4, 20
	s_mov_b32 s16, 21
	s_inst_prefetch 0x1
	.p2align	6
.LBB122_501:                            ; =>This Inner Loop Header: Depth=1
	s_waitcnt lgkmcnt(0)
	v_cmp_gt_f64_e32 vcc_lo, 0, v[2:3]
	v_cmp_gt_f64_e64 s4, 0, v[0:1]
	ds_read2_b64 v[15:18], v10 offset1:1
	v_xor_b32_e32 v20, 0x80000000, v1
	v_xor_b32_e32 v22, 0x80000000, v3
	v_mov_b32_e32 v19, v0
	v_mov_b32_e32 v21, v2
	v_add_nc_u32_e32 v10, 16, v10
	s_waitcnt lgkmcnt(0)
	v_xor_b32_e32 v24, 0x80000000, v18
	v_cndmask_b32_e64 v20, v1, v20, s4
	v_cndmask_b32_e32 v22, v3, v22, vcc_lo
	v_cmp_gt_f64_e32 vcc_lo, 0, v[17:18]
	v_cmp_gt_f64_e64 s4, 0, v[15:16]
	v_mov_b32_e32 v23, v17
	v_add_f64 v[19:20], v[19:20], v[21:22]
	v_xor_b32_e32 v22, 0x80000000, v16
	v_mov_b32_e32 v21, v15
	v_cndmask_b32_e32 v24, v18, v24, vcc_lo
	v_cndmask_b32_e64 v22, v16, v22, s4
	v_add_f64 v[21:22], v[21:22], v[23:24]
	v_cmp_lt_f64_e32 vcc_lo, v[19:20], v[21:22]
	v_cndmask_b32_e32 v1, v1, v16, vcc_lo
	v_cndmask_b32_e32 v0, v0, v15, vcc_lo
	v_cndmask_b32_e32 v3, v3, v18, vcc_lo
	v_cndmask_b32_e32 v2, v2, v17, vcc_lo
	v_cndmask_b32_e64 v4, v4, s16, vcc_lo
	s_add_i32 s16, s16, 1
	s_cmp_lg_u32 s57, s16
	s_cbranch_scc1 .LBB122_501
.LBB122_502:
	s_inst_prefetch 0x2
	s_waitcnt lgkmcnt(0)
	v_cmp_eq_f64_e32 vcc_lo, 0, v[0:1]
	v_cmp_eq_f64_e64 s4, 0, v[2:3]
	s_and_b32 s4, vcc_lo, s4
	s_and_saveexec_b32 s16, s4
	s_xor_b32 s4, exec_lo, s16
; %bb.503:
	v_cmp_ne_u32_e32 vcc_lo, 0, v13
	v_cndmask_b32_e32 v13, 21, v13, vcc_lo
; %bb.504:
	s_andn2_saveexec_b32 s4, s4
	s_cbranch_execz .LBB122_510
; %bb.505:
	v_cmp_ngt_f64_e64 s16, |v[0:1]|, |v[2:3]|
	s_and_saveexec_b32 s17, s16
	s_xor_b32 s16, exec_lo, s17
	s_cbranch_execz .LBB122_507
; %bb.506:
	v_div_scale_f64 v[15:16], null, v[2:3], v[2:3], v[0:1]
	v_div_scale_f64 v[21:22], vcc_lo, v[0:1], v[2:3], v[0:1]
	v_rcp_f64_e32 v[17:18], v[15:16]
	v_fma_f64 v[19:20], -v[15:16], v[17:18], 1.0
	v_fma_f64 v[17:18], v[17:18], v[19:20], v[17:18]
	v_fma_f64 v[19:20], -v[15:16], v[17:18], 1.0
	v_fma_f64 v[17:18], v[17:18], v[19:20], v[17:18]
	v_mul_f64 v[19:20], v[21:22], v[17:18]
	v_fma_f64 v[15:16], -v[15:16], v[19:20], v[21:22]
	v_div_fmas_f64 v[15:16], v[15:16], v[17:18], v[19:20]
	v_div_fixup_f64 v[15:16], v[15:16], v[2:3], v[0:1]
	v_fma_f64 v[0:1], v[0:1], v[15:16], v[2:3]
	v_div_scale_f64 v[2:3], null, v[0:1], v[0:1], 1.0
	v_rcp_f64_e32 v[17:18], v[2:3]
	v_fma_f64 v[19:20], -v[2:3], v[17:18], 1.0
	v_fma_f64 v[17:18], v[17:18], v[19:20], v[17:18]
	v_fma_f64 v[19:20], -v[2:3], v[17:18], 1.0
	v_fma_f64 v[17:18], v[17:18], v[19:20], v[17:18]
	v_div_scale_f64 v[19:20], vcc_lo, 1.0, v[0:1], 1.0
	v_mul_f64 v[21:22], v[19:20], v[17:18]
	v_fma_f64 v[2:3], -v[2:3], v[21:22], v[19:20]
	v_div_fmas_f64 v[2:3], v[2:3], v[17:18], v[21:22]
	v_div_fixup_f64 v[2:3], v[2:3], v[0:1], 1.0
	v_mul_f64 v[0:1], v[15:16], v[2:3]
	v_xor_b32_e32 v3, 0x80000000, v3
.LBB122_507:
	s_andn2_saveexec_b32 s16, s16
	s_cbranch_execz .LBB122_509
; %bb.508:
	v_div_scale_f64 v[15:16], null, v[0:1], v[0:1], v[2:3]
	v_div_scale_f64 v[21:22], vcc_lo, v[2:3], v[0:1], v[2:3]
	v_rcp_f64_e32 v[17:18], v[15:16]
	v_fma_f64 v[19:20], -v[15:16], v[17:18], 1.0
	v_fma_f64 v[17:18], v[17:18], v[19:20], v[17:18]
	v_fma_f64 v[19:20], -v[15:16], v[17:18], 1.0
	v_fma_f64 v[17:18], v[17:18], v[19:20], v[17:18]
	v_mul_f64 v[19:20], v[21:22], v[17:18]
	v_fma_f64 v[15:16], -v[15:16], v[19:20], v[21:22]
	v_div_fmas_f64 v[15:16], v[15:16], v[17:18], v[19:20]
	v_div_fixup_f64 v[15:16], v[15:16], v[0:1], v[2:3]
	v_fma_f64 v[0:1], v[2:3], v[15:16], v[0:1]
	v_div_scale_f64 v[2:3], null, v[0:1], v[0:1], 1.0
	v_rcp_f64_e32 v[17:18], v[2:3]
	v_fma_f64 v[19:20], -v[2:3], v[17:18], 1.0
	v_fma_f64 v[17:18], v[17:18], v[19:20], v[17:18]
	v_fma_f64 v[19:20], -v[2:3], v[17:18], 1.0
	v_fma_f64 v[17:18], v[17:18], v[19:20], v[17:18]
	v_div_scale_f64 v[19:20], vcc_lo, 1.0, v[0:1], 1.0
	v_mul_f64 v[21:22], v[19:20], v[17:18]
	v_fma_f64 v[2:3], -v[2:3], v[21:22], v[19:20]
	v_div_fmas_f64 v[2:3], v[2:3], v[17:18], v[21:22]
	v_div_fixup_f64 v[0:1], v[2:3], v[0:1], 1.0
	v_mul_f64 v[2:3], v[15:16], -v[0:1]
.LBB122_509:
	s_or_b32 exec_lo, exec_lo, s16
.LBB122_510:
	s_or_b32 exec_lo, exec_lo, s4
	s_mov_b32 s4, exec_lo
	v_cmpx_ne_u32_e64 v11, v4
	s_xor_b32 s4, exec_lo, s4
	s_cbranch_execz .LBB122_516
; %bb.511:
	s_mov_b32 s16, exec_lo
	v_cmpx_eq_u32_e32 20, v11
	s_cbranch_execz .LBB122_515
; %bb.512:
	v_cmp_ne_u32_e32 vcc_lo, 20, v4
	s_xor_b32 s17, s20, -1
	s_and_b32 s56, s17, vcc_lo
	s_and_saveexec_b32 s17, s56
	s_cbranch_execz .LBB122_514
; %bb.513:
	v_ashrrev_i32_e32 v5, 31, v4
	v_lshlrev_b64 v[10:11], 2, v[4:5]
	v_add_co_u32 v10, vcc_lo, v8, v10
	v_add_co_ci_u32_e64 v11, null, v9, v11, vcc_lo
	s_clause 0x1
	global_load_dword v5, v[10:11], off
	global_load_dword v15, v[8:9], off offset:80
	s_waitcnt vmcnt(1)
	global_store_dword v[8:9], v5, off offset:80
	s_waitcnt vmcnt(0)
	global_store_dword v[10:11], v15, off
.LBB122_514:
	s_or_b32 exec_lo, exec_lo, s17
	v_mov_b32_e32 v11, v4
	v_mov_b32_e32 v5, v4
.LBB122_515:
	s_or_b32 exec_lo, exec_lo, s16
.LBB122_516:
	s_andn2_saveexec_b32 s4, s4
	s_cbranch_execz .LBB122_522
; %bb.517:
	s_movk_i32 s16, 0x150
	s_branch .LBB122_519
.LBB122_518:                            ;   in Loop: Header=BB122_519 Depth=1
	s_andn2_b32 vcc_lo, exec_lo, s56
	s_cbranch_vccz .LBB122_521
.LBB122_519:                            ; =>This Inner Loop Header: Depth=1
	v_mov_b32_e32 v4, s16
	s_mov_b32 s17, s16
	s_cmpk_eq_i32 s16, 0x3d0
	s_mov_b32 s56, -1
	s_clause 0x3
	buffer_load_dword v10, v4, s[0:3], 0 offen
	buffer_load_dword v11, v4, s[0:3], 0 offen offset:4
	buffer_load_dword v15, v4, s[0:3], 0 offen offset:8
	;; [unrolled: 1-line block ×3, first 2 shown]
	v_add_nc_u32_e32 v4, s16, v12
	s_waitcnt vmcnt(0)
	ds_write2_b64 v4, v[10:11], v[15:16] offset1:1
	s_cbranch_scc1 .LBB122_518
; %bb.520:                              ;   in Loop: Header=BB122_519 Depth=1
	v_mov_b32_e32 v39, s17
	s_addk_i32 s16, 0x80
	s_mov_b32 s56, 0
	s_clause 0x1b
	buffer_load_dword v10, v39, s[0:3], 0 offen offset:16
	buffer_load_dword v11, v39, s[0:3], 0 offen offset:20
	;; [unrolled: 1-line block ×28, first 2 shown]
	s_waitcnt vmcnt(24)
	ds_write2_b64 v4, v[10:11], v[15:16] offset0:2 offset1:3
	s_waitcnt vmcnt(20)
	ds_write2_b64 v4, v[17:18], v[19:20] offset0:4 offset1:5
	;; [unrolled: 2-line block ×5, first 2 shown]
	ds_write2_b64 v4, v[33:34], v[31:32] offset0:12 offset1:13
	s_waitcnt vmcnt(0)
	ds_write2_b64 v4, v[39:40], v[37:38] offset0:14 offset1:15
	s_branch .LBB122_518
.LBB122_521:
	v_mov_b32_e32 v11, 20
.LBB122_522:
	s_or_b32 exec_lo, exec_lo, s4
	s_mov_b32 s4, exec_lo
	s_waitcnt lgkmcnt(0)
	s_waitcnt_vscnt null, 0x0
	s_barrier
	buffer_gl0_inv
	v_cmpx_lt_i32_e32 20, v11
	s_cbranch_execz .LBB122_527
; %bb.523:
	s_clause 0x3
	buffer_load_dword v15, off, s[0:3], 0 offset:328
	buffer_load_dword v16, off, s[0:3], 0 offset:332
	;; [unrolled: 1-line block ×4, first 2 shown]
	s_movk_i32 s81, 0x150
	s_waitcnt vmcnt(2)
	v_mul_f64 v[19:20], v[2:3], v[15:16]
	v_mul_f64 v[15:16], v[0:1], v[15:16]
	s_waitcnt vmcnt(0)
	v_fma_f64 v[0:1], v[0:1], v[17:18], -v[19:20]
	v_fma_f64 v[2:3], v[2:3], v[17:18], v[15:16]
	buffer_store_dword v0, off, s[0:3], 0 offset:320
	buffer_store_dword v1, off, s[0:3], 0 offset:324
	;; [unrolled: 1-line block ×4, first 2 shown]
	s_branch .LBB122_525
.LBB122_524:                            ;   in Loop: Header=BB122_525 Depth=1
	s_andn2_b32 vcc_lo, exec_lo, s17
	s_cbranch_vccz .LBB122_527
.LBB122_525:                            ; =>This Inner Loop Header: Depth=1
	v_mov_b32_e32 v10, s81
	v_add_nc_u32_e32 v4, s81, v12
	s_mov_b32 s16, s81
	s_mov_b32 s17, -1
	s_cmpk_eq_i32 s81, 0x3d0
	s_clause 0x3
	buffer_load_dword v19, v10, s[0:3], 0 offen
	buffer_load_dword v20, v10, s[0:3], 0 offen offset:4
	buffer_load_dword v21, v10, s[0:3], 0 offen offset:8
	;; [unrolled: 1-line block ×3, first 2 shown]
	ds_read2_b64 v[15:18], v4 offset1:1
	s_waitcnt vmcnt(4) lgkmcnt(0)
	v_mul_f64 v[23:24], v[17:18], v[2:3]
	v_mul_f64 v[2:3], v[15:16], v[2:3]
	v_fma_f64 v[15:16], v[15:16], v[0:1], -v[23:24]
	v_fma_f64 v[0:1], v[17:18], v[0:1], v[2:3]
	s_waitcnt vmcnt(2)
	v_add_f64 v[2:3], v[19:20], -v[15:16]
	s_waitcnt vmcnt(0)
	v_add_f64 v[0:1], v[21:22], -v[0:1]
	buffer_store_dword v2, v10, s[0:3], 0 offen
	buffer_store_dword v3, v10, s[0:3], 0 offen offset:4
	buffer_store_dword v0, v10, s[0:3], 0 offen offset:8
	;; [unrolled: 1-line block ×3, first 2 shown]
                                        ; implicit-def: $vgpr0_vgpr1
                                        ; implicit-def: $vgpr2_vgpr3
	s_cbranch_scc1 .LBB122_524
; %bb.526:                              ;   in Loop: Header=BB122_525 Depth=1
	s_clause 0x3
	buffer_load_dword v19, off, s[0:3], 0 offset:328
	buffer_load_dword v20, off, s[0:3], 0 offset:332
	;; [unrolled: 1-line block ×4, first 2 shown]
	v_mov_b32_e32 v10, s16
	s_add_i32 s81, s81, 64
	s_mov_b32 s17, 0
	s_clause 0x3
	buffer_load_dword v23, v10, s[0:3], 0 offen offset:16
	buffer_load_dword v24, v10, s[0:3], 0 offen offset:20
	;; [unrolled: 1-line block ×4, first 2 shown]
	ds_read2_b64 v[0:3], v4 offset0:2 offset1:3
	ds_read2_b64 v[15:18], v4 offset0:4 offset1:5
	s_waitcnt vmcnt(6) lgkmcnt(1)
	v_mul_f64 v[27:28], v[2:3], v[19:20]
	v_mul_f64 v[19:20], v[0:1], v[19:20]
	s_waitcnt vmcnt(4)
	v_fma_f64 v[0:1], v[0:1], v[21:22], -v[27:28]
	v_fma_f64 v[2:3], v[2:3], v[21:22], v[19:20]
	s_waitcnt vmcnt(2)
	v_add_f64 v[0:1], v[23:24], -v[0:1]
	s_waitcnt vmcnt(0)
	v_add_f64 v[2:3], v[25:26], -v[2:3]
	buffer_store_dword v1, v10, s[0:3], 0 offen offset:20
	buffer_store_dword v0, v10, s[0:3], 0 offen offset:16
	;; [unrolled: 1-line block ×4, first 2 shown]
	s_clause 0x7
	buffer_load_dword v1, v10, s[0:3], 0 offen offset:36
	buffer_load_dword v2, v10, s[0:3], 0 offen offset:40
	;; [unrolled: 1-line block ×3, first 2 shown]
	buffer_load_dword v20, off, s[0:3], 0 offset:332
	buffer_load_dword v19, off, s[0:3], 0 offset:328
	;; [unrolled: 1-line block ×4, first 2 shown]
	buffer_load_dword v0, v10, s[0:3], 0 offen offset:32
	s_waitcnt vmcnt(3) lgkmcnt(0)
	v_mul_f64 v[23:24], v[17:18], v[19:20]
	v_mul_f64 v[19:20], v[15:16], v[19:20]
	s_waitcnt vmcnt(1)
	v_fma_f64 v[15:16], v[15:16], v[21:22], -v[23:24]
	v_fma_f64 v[17:18], v[17:18], v[21:22], v[19:20]
	s_waitcnt vmcnt(0)
	v_add_f64 v[0:1], v[0:1], -v[15:16]
	v_add_f64 v[2:3], v[2:3], -v[17:18]
	buffer_store_dword v1, v10, s[0:3], 0 offen offset:36
	buffer_store_dword v0, v10, s[0:3], 0 offen offset:32
	;; [unrolled: 1-line block ×4, first 2 shown]
	s_clause 0x7
	buffer_load_dword v16, v10, s[0:3], 0 offen offset:52
	buffer_load_dword v17, v10, s[0:3], 0 offen offset:56
	;; [unrolled: 1-line block ×3, first 2 shown]
	buffer_load_dword v19, off, s[0:3], 0 offset:328
	buffer_load_dword v20, off, s[0:3], 0 offset:332
	;; [unrolled: 1-line block ×4, first 2 shown]
	buffer_load_dword v15, v10, s[0:3], 0 offen offset:48
	ds_read2_b64 v[0:3], v4 offset0:6 offset1:7
	s_waitcnt vmcnt(3) lgkmcnt(0)
	v_mul_f64 v[23:24], v[2:3], v[19:20]
	v_mul_f64 v[19:20], v[0:1], v[19:20]
	s_waitcnt vmcnt(1)
	v_fma_f64 v[0:1], v[0:1], v[21:22], -v[23:24]
	v_fma_f64 v[2:3], v[2:3], v[21:22], v[19:20]
	s_waitcnt vmcnt(0)
	v_add_f64 v[0:1], v[15:16], -v[0:1]
	v_add_f64 v[2:3], v[17:18], -v[2:3]
	buffer_store_dword v1, v10, s[0:3], 0 offen offset:52
	buffer_store_dword v0, v10, s[0:3], 0 offen offset:48
	;; [unrolled: 1-line block ×4, first 2 shown]
	s_clause 0x3
	buffer_load_dword v0, off, s[0:3], 0 offset:320
	buffer_load_dword v1, off, s[0:3], 0 offset:324
	;; [unrolled: 1-line block ×4, first 2 shown]
	s_branch .LBB122_524
.LBB122_527:
	s_or_b32 exec_lo, exec_lo, s4
	s_waitcnt vmcnt(0)
	v_mov_b32_e32 v3, s61
	s_waitcnt_vscnt null, 0x0
	s_barrier
	buffer_gl0_inv
	v_lshl_add_u32 v4, v11, 4, v12
	s_clause 0x3
	buffer_load_dword v0, v3, s[0:3], 0 offen
	buffer_load_dword v1, v3, s[0:3], 0 offen offset:4
	buffer_load_dword v2, v3, s[0:3], 0 offen offset:8
	;; [unrolled: 1-line block ×3, first 2 shown]
	s_cmp_lt_i32 s57, 23
	s_waitcnt vmcnt(0)
	ds_write2_b64 v4, v[0:1], v[2:3] offset1:1
	s_waitcnt lgkmcnt(0)
	s_barrier
	buffer_gl0_inv
	ds_read2_b64 v[0:3], v12 offset0:42 offset1:43
	v_mov_b32_e32 v4, 21
	s_cbranch_scc1 .LBB122_530
; %bb.528:
	v_add3_u32 v10, v14, 0, 0x160
	v_mov_b32_e32 v4, 21
	s_mov_b32 s16, 22
	s_inst_prefetch 0x1
	.p2align	6
.LBB122_529:                            ; =>This Inner Loop Header: Depth=1
	s_waitcnt lgkmcnt(0)
	v_cmp_gt_f64_e32 vcc_lo, 0, v[2:3]
	v_cmp_gt_f64_e64 s4, 0, v[0:1]
	ds_read2_b64 v[15:18], v10 offset1:1
	v_xor_b32_e32 v20, 0x80000000, v1
	v_xor_b32_e32 v22, 0x80000000, v3
	v_mov_b32_e32 v19, v0
	v_mov_b32_e32 v21, v2
	v_add_nc_u32_e32 v10, 16, v10
	s_waitcnt lgkmcnt(0)
	v_xor_b32_e32 v24, 0x80000000, v18
	v_cndmask_b32_e64 v20, v1, v20, s4
	v_cndmask_b32_e32 v22, v3, v22, vcc_lo
	v_cmp_gt_f64_e32 vcc_lo, 0, v[17:18]
	v_cmp_gt_f64_e64 s4, 0, v[15:16]
	v_mov_b32_e32 v23, v17
	v_add_f64 v[19:20], v[19:20], v[21:22]
	v_xor_b32_e32 v22, 0x80000000, v16
	v_mov_b32_e32 v21, v15
	v_cndmask_b32_e32 v24, v18, v24, vcc_lo
	v_cndmask_b32_e64 v22, v16, v22, s4
	v_add_f64 v[21:22], v[21:22], v[23:24]
	v_cmp_lt_f64_e32 vcc_lo, v[19:20], v[21:22]
	v_cndmask_b32_e32 v1, v1, v16, vcc_lo
	v_cndmask_b32_e32 v0, v0, v15, vcc_lo
	;; [unrolled: 1-line block ×4, first 2 shown]
	v_cndmask_b32_e64 v4, v4, s16, vcc_lo
	s_add_i32 s16, s16, 1
	s_cmp_lg_u32 s57, s16
	s_cbranch_scc1 .LBB122_529
.LBB122_530:
	s_inst_prefetch 0x2
	s_waitcnt lgkmcnt(0)
	v_cmp_eq_f64_e32 vcc_lo, 0, v[0:1]
	v_cmp_eq_f64_e64 s4, 0, v[2:3]
	s_and_b32 s4, vcc_lo, s4
	s_and_saveexec_b32 s16, s4
	s_xor_b32 s4, exec_lo, s16
; %bb.531:
	v_cmp_ne_u32_e32 vcc_lo, 0, v13
	v_cndmask_b32_e32 v13, 22, v13, vcc_lo
; %bb.532:
	s_andn2_saveexec_b32 s4, s4
	s_cbranch_execz .LBB122_538
; %bb.533:
	v_cmp_ngt_f64_e64 s16, |v[0:1]|, |v[2:3]|
	s_and_saveexec_b32 s17, s16
	s_xor_b32 s16, exec_lo, s17
	s_cbranch_execz .LBB122_535
; %bb.534:
	v_div_scale_f64 v[15:16], null, v[2:3], v[2:3], v[0:1]
	v_div_scale_f64 v[21:22], vcc_lo, v[0:1], v[2:3], v[0:1]
	v_rcp_f64_e32 v[17:18], v[15:16]
	v_fma_f64 v[19:20], -v[15:16], v[17:18], 1.0
	v_fma_f64 v[17:18], v[17:18], v[19:20], v[17:18]
	v_fma_f64 v[19:20], -v[15:16], v[17:18], 1.0
	v_fma_f64 v[17:18], v[17:18], v[19:20], v[17:18]
	v_mul_f64 v[19:20], v[21:22], v[17:18]
	v_fma_f64 v[15:16], -v[15:16], v[19:20], v[21:22]
	v_div_fmas_f64 v[15:16], v[15:16], v[17:18], v[19:20]
	v_div_fixup_f64 v[15:16], v[15:16], v[2:3], v[0:1]
	v_fma_f64 v[0:1], v[0:1], v[15:16], v[2:3]
	v_div_scale_f64 v[2:3], null, v[0:1], v[0:1], 1.0
	v_rcp_f64_e32 v[17:18], v[2:3]
	v_fma_f64 v[19:20], -v[2:3], v[17:18], 1.0
	v_fma_f64 v[17:18], v[17:18], v[19:20], v[17:18]
	v_fma_f64 v[19:20], -v[2:3], v[17:18], 1.0
	v_fma_f64 v[17:18], v[17:18], v[19:20], v[17:18]
	v_div_scale_f64 v[19:20], vcc_lo, 1.0, v[0:1], 1.0
	v_mul_f64 v[21:22], v[19:20], v[17:18]
	v_fma_f64 v[2:3], -v[2:3], v[21:22], v[19:20]
	v_div_fmas_f64 v[2:3], v[2:3], v[17:18], v[21:22]
	v_div_fixup_f64 v[2:3], v[2:3], v[0:1], 1.0
	v_mul_f64 v[0:1], v[15:16], v[2:3]
	v_xor_b32_e32 v3, 0x80000000, v3
.LBB122_535:
	s_andn2_saveexec_b32 s16, s16
	s_cbranch_execz .LBB122_537
; %bb.536:
	v_div_scale_f64 v[15:16], null, v[0:1], v[0:1], v[2:3]
	v_div_scale_f64 v[21:22], vcc_lo, v[2:3], v[0:1], v[2:3]
	v_rcp_f64_e32 v[17:18], v[15:16]
	v_fma_f64 v[19:20], -v[15:16], v[17:18], 1.0
	v_fma_f64 v[17:18], v[17:18], v[19:20], v[17:18]
	v_fma_f64 v[19:20], -v[15:16], v[17:18], 1.0
	v_fma_f64 v[17:18], v[17:18], v[19:20], v[17:18]
	v_mul_f64 v[19:20], v[21:22], v[17:18]
	v_fma_f64 v[15:16], -v[15:16], v[19:20], v[21:22]
	v_div_fmas_f64 v[15:16], v[15:16], v[17:18], v[19:20]
	v_div_fixup_f64 v[15:16], v[15:16], v[0:1], v[2:3]
	v_fma_f64 v[0:1], v[2:3], v[15:16], v[0:1]
	v_div_scale_f64 v[2:3], null, v[0:1], v[0:1], 1.0
	v_rcp_f64_e32 v[17:18], v[2:3]
	v_fma_f64 v[19:20], -v[2:3], v[17:18], 1.0
	v_fma_f64 v[17:18], v[17:18], v[19:20], v[17:18]
	v_fma_f64 v[19:20], -v[2:3], v[17:18], 1.0
	v_fma_f64 v[17:18], v[17:18], v[19:20], v[17:18]
	v_div_scale_f64 v[19:20], vcc_lo, 1.0, v[0:1], 1.0
	v_mul_f64 v[21:22], v[19:20], v[17:18]
	v_fma_f64 v[2:3], -v[2:3], v[21:22], v[19:20]
	v_div_fmas_f64 v[2:3], v[2:3], v[17:18], v[21:22]
	v_div_fixup_f64 v[0:1], v[2:3], v[0:1], 1.0
	v_mul_f64 v[2:3], v[15:16], -v[0:1]
.LBB122_537:
	s_or_b32 exec_lo, exec_lo, s16
.LBB122_538:
	s_or_b32 exec_lo, exec_lo, s4
	s_mov_b32 s4, exec_lo
	v_cmpx_ne_u32_e64 v11, v4
	s_xor_b32 s4, exec_lo, s4
	s_cbranch_execz .LBB122_544
; %bb.539:
	s_mov_b32 s16, exec_lo
	v_cmpx_eq_u32_e32 21, v11
	s_cbranch_execz .LBB122_543
; %bb.540:
	v_cmp_ne_u32_e32 vcc_lo, 21, v4
	s_xor_b32 s17, s20, -1
	s_and_b32 s56, s17, vcc_lo
	s_and_saveexec_b32 s17, s56
	s_cbranch_execz .LBB122_542
; %bb.541:
	v_ashrrev_i32_e32 v5, 31, v4
	v_lshlrev_b64 v[10:11], 2, v[4:5]
	v_add_co_u32 v10, vcc_lo, v8, v10
	v_add_co_ci_u32_e64 v11, null, v9, v11, vcc_lo
	s_clause 0x1
	global_load_dword v5, v[10:11], off
	global_load_dword v15, v[8:9], off offset:84
	s_waitcnt vmcnt(1)
	global_store_dword v[8:9], v5, off offset:84
	s_waitcnt vmcnt(0)
	global_store_dword v[10:11], v15, off
.LBB122_542:
	s_or_b32 exec_lo, exec_lo, s17
	v_mov_b32_e32 v11, v4
	v_mov_b32_e32 v5, v4
.LBB122_543:
	s_or_b32 exec_lo, exec_lo, s16
.LBB122_544:
	s_andn2_saveexec_b32 s4, s4
	s_cbranch_execz .LBB122_548
; %bb.545:
	s_movk_i32 s16, 0x160
.LBB122_546:                            ; =>This Inner Loop Header: Depth=1
	v_mov_b32_e32 v4, s16
	s_clause 0x27
	buffer_load_dword v10, v4, s[0:3], 0 offen
	buffer_load_dword v11, v4, s[0:3], 0 offen offset:4
	buffer_load_dword v15, v4, s[0:3], 0 offen offset:8
	;; [unrolled: 1-line block ×39, first 2 shown]
	v_add_nc_u32_e32 v4, s16, v12
	s_addk_i32 s16, 0xa0
	s_waitcnt vmcnt(36)
	ds_write2_b64 v4, v[10:11], v[15:16] offset1:1
	s_waitcnt vmcnt(32)
	ds_write2_b64 v4, v[17:18], v[19:20] offset0:2 offset1:3
	s_waitcnt vmcnt(28)
	ds_write2_b64 v4, v[21:22], v[23:24] offset0:4 offset1:5
	;; [unrolled: 2-line block ×4, first 2 shown]
	ds_write2_b64 v4, v[33:34], v[31:32] offset0:10 offset1:11
	s_waitcnt vmcnt(8)
	ds_write2_b64 v4, v[43:44], v[37:38] offset0:12 offset1:13
	ds_write2_b64 v4, v[41:42], v[39:40] offset0:14 offset1:15
	s_waitcnt vmcnt(4)
	ds_write2_b64 v4, v[45:46], v[47:48] offset0:16 offset1:17
	s_waitcnt vmcnt(0)
	ds_write2_b64 v4, v[49:50], v[51:52] offset0:18 offset1:19
	s_cmpk_eq_i32 s16, 0x3e0
	s_cbranch_scc0 .LBB122_546
; %bb.547:
	v_mov_b32_e32 v11, 21
.LBB122_548:
	s_or_b32 exec_lo, exec_lo, s4
	s_mov_b32 s4, exec_lo
	s_waitcnt lgkmcnt(0)
	s_waitcnt_vscnt null, 0x0
	s_barrier
	buffer_gl0_inv
	v_cmpx_lt_i32_e32 21, v11
	s_cbranch_execz .LBB122_551
; %bb.549:
	s_clause 0x3
	buffer_load_dword v15, off, s[0:3], 0 offset:344
	buffer_load_dword v16, off, s[0:3], 0 offset:348
	;; [unrolled: 1-line block ×4, first 2 shown]
	s_movk_i32 s81, 0x160
	s_waitcnt vmcnt(2)
	v_mul_f64 v[19:20], v[2:3], v[15:16]
	v_mul_f64 v[15:16], v[0:1], v[15:16]
	s_waitcnt vmcnt(0)
	v_fma_f64 v[0:1], v[0:1], v[17:18], -v[19:20]
	v_fma_f64 v[2:3], v[2:3], v[17:18], v[15:16]
	buffer_store_dword v0, off, s[0:3], 0 offset:336
	buffer_store_dword v1, off, s[0:3], 0 offset:340
	buffer_store_dword v2, off, s[0:3], 0 offset:344
	buffer_store_dword v3, off, s[0:3], 0 offset:348
.LBB122_550:                            ; =>This Inner Loop Header: Depth=1
	s_clause 0x3
	buffer_load_dword v19, off, s[0:3], 0 offset:344
	buffer_load_dword v20, off, s[0:3], 0 offset:348
	;; [unrolled: 1-line block ×4, first 2 shown]
	v_mov_b32_e32 v4, s81
	v_add_nc_u32_e32 v10, s81, v12
	s_addk_i32 s81, 0x50
	s_clause 0x3
	buffer_load_dword v23, v4, s[0:3], 0 offen
	buffer_load_dword v24, v4, s[0:3], 0 offen offset:4
	buffer_load_dword v25, v4, s[0:3], 0 offen offset:8
	;; [unrolled: 1-line block ×3, first 2 shown]
	ds_read2_b64 v[0:3], v10 offset1:1
	ds_read2_b64 v[15:18], v10 offset0:2 offset1:3
	s_cmpk_lg_i32 s81, 0x3e0
	s_waitcnt vmcnt(6) lgkmcnt(1)
	v_mul_f64 v[27:28], v[2:3], v[19:20]
	v_mul_f64 v[19:20], v[0:1], v[19:20]
	s_waitcnt vmcnt(4)
	v_fma_f64 v[0:1], v[0:1], v[21:22], -v[27:28]
	v_fma_f64 v[2:3], v[2:3], v[21:22], v[19:20]
	s_clause 0x3
	buffer_load_dword v19, v4, s[0:3], 0 offen offset:16
	buffer_load_dword v20, v4, s[0:3], 0 offen offset:20
	;; [unrolled: 1-line block ×4, first 2 shown]
	s_waitcnt vmcnt(6)
	v_add_f64 v[0:1], v[23:24], -v[0:1]
	s_waitcnt vmcnt(4)
	v_add_f64 v[2:3], v[25:26], -v[2:3]
	buffer_store_dword v1, v4, s[0:3], 0 offen offset:4
	buffer_store_dword v0, v4, s[0:3], 0 offen
	buffer_store_dword v3, v4, s[0:3], 0 offen offset:12
	buffer_store_dword v2, v4, s[0:3], 0 offen offset:8
	s_clause 0x3
	buffer_load_dword v1, off, s[0:3], 0 offset:348
	buffer_load_dword v0, off, s[0:3], 0 offset:344
	;; [unrolled: 1-line block ×4, first 2 shown]
	s_waitcnt vmcnt(2) lgkmcnt(0)
	v_mul_f64 v[23:24], v[17:18], v[0:1]
	v_mul_f64 v[0:1], v[15:16], v[0:1]
	s_waitcnt vmcnt(0)
	v_fma_f64 v[15:16], v[15:16], v[2:3], -v[23:24]
	v_fma_f64 v[0:1], v[17:18], v[2:3], v[0:1]
	v_add_f64 v[2:3], v[19:20], -v[15:16]
	v_add_f64 v[0:1], v[21:22], -v[0:1]
	s_clause 0x3
	buffer_load_dword v19, v4, s[0:3], 0 offen offset:32
	buffer_load_dword v20, v4, s[0:3], 0 offen offset:36
	;; [unrolled: 1-line block ×4, first 2 shown]
	buffer_store_dword v3, v4, s[0:3], 0 offen offset:20
	buffer_store_dword v2, v4, s[0:3], 0 offen offset:16
	;; [unrolled: 1-line block ×4, first 2 shown]
	s_clause 0x3
	buffer_load_dword v23, off, s[0:3], 0 offset:344
	buffer_load_dword v24, off, s[0:3], 0 offset:348
	buffer_load_dword v25, off, s[0:3], 0 offset:336
	buffer_load_dword v26, off, s[0:3], 0 offset:340
	ds_read2_b64 v[0:3], v10 offset0:4 offset1:5
	ds_read2_b64 v[15:18], v10 offset0:6 offset1:7
	s_waitcnt vmcnt(2) lgkmcnt(1)
	v_mul_f64 v[27:28], v[2:3], v[23:24]
	v_mul_f64 v[23:24], v[0:1], v[23:24]
	s_waitcnt vmcnt(0)
	v_fma_f64 v[0:1], v[0:1], v[25:26], -v[27:28]
	v_fma_f64 v[2:3], v[2:3], v[25:26], v[23:24]
	v_add_f64 v[0:1], v[19:20], -v[0:1]
	v_add_f64 v[2:3], v[21:22], -v[2:3]
	buffer_store_dword v1, v4, s[0:3], 0 offen offset:36
	buffer_store_dword v0, v4, s[0:3], 0 offen offset:32
	buffer_store_dword v3, v4, s[0:3], 0 offen offset:44
	buffer_store_dword v2, v4, s[0:3], 0 offen offset:40
	s_clause 0x7
	buffer_load_dword v0, off, s[0:3], 0 offset:344
	buffer_load_dword v1, off, s[0:3], 0 offset:348
	;; [unrolled: 1-line block ×4, first 2 shown]
	buffer_load_dword v19, v4, s[0:3], 0 offen offset:48
	buffer_load_dword v20, v4, s[0:3], 0 offen offset:52
	;; [unrolled: 1-line block ×4, first 2 shown]
	s_waitcnt vmcnt(6) lgkmcnt(0)
	v_mul_f64 v[23:24], v[17:18], v[0:1]
	v_mul_f64 v[0:1], v[15:16], v[0:1]
	s_waitcnt vmcnt(4)
	v_fma_f64 v[15:16], v[15:16], v[2:3], -v[23:24]
	v_fma_f64 v[0:1], v[17:18], v[2:3], v[0:1]
	s_waitcnt vmcnt(2)
	v_add_f64 v[2:3], v[19:20], -v[15:16]
	s_waitcnt vmcnt(0)
	v_add_f64 v[0:1], v[21:22], -v[0:1]
	buffer_store_dword v3, v4, s[0:3], 0 offen offset:52
	buffer_store_dword v2, v4, s[0:3], 0 offen offset:48
	;; [unrolled: 1-line block ×4, first 2 shown]
	s_clause 0x7
	buffer_load_dword v15, off, s[0:3], 0 offset:344
	buffer_load_dword v16, off, s[0:3], 0 offset:348
	;; [unrolled: 1-line block ×4, first 2 shown]
	buffer_load_dword v19, v4, s[0:3], 0 offen offset:64
	buffer_load_dword v20, v4, s[0:3], 0 offen offset:68
	;; [unrolled: 1-line block ×4, first 2 shown]
	ds_read2_b64 v[0:3], v10 offset0:8 offset1:9
	s_waitcnt vmcnt(6) lgkmcnt(0)
	v_mul_f64 v[23:24], v[2:3], v[15:16]
	v_mul_f64 v[15:16], v[0:1], v[15:16]
	s_waitcnt vmcnt(4)
	v_fma_f64 v[0:1], v[0:1], v[17:18], -v[23:24]
	v_fma_f64 v[2:3], v[2:3], v[17:18], v[15:16]
	s_waitcnt vmcnt(2)
	v_add_f64 v[0:1], v[19:20], -v[0:1]
	s_waitcnt vmcnt(0)
	v_add_f64 v[2:3], v[21:22], -v[2:3]
	buffer_store_dword v1, v4, s[0:3], 0 offen offset:68
	buffer_store_dword v0, v4, s[0:3], 0 offen offset:64
	;; [unrolled: 1-line block ×4, first 2 shown]
	s_cbranch_scc1 .LBB122_550
.LBB122_551:
	s_or_b32 exec_lo, exec_lo, s4
	v_mov_b32_e32 v3, s60
	s_waitcnt_vscnt null, 0x0
	s_barrier
	buffer_gl0_inv
	v_lshl_add_u32 v4, v11, 4, v12
	s_clause 0x3
	buffer_load_dword v0, v3, s[0:3], 0 offen
	buffer_load_dword v1, v3, s[0:3], 0 offen offset:4
	buffer_load_dword v2, v3, s[0:3], 0 offen offset:8
	;; [unrolled: 1-line block ×3, first 2 shown]
	s_cmp_lt_i32 s57, 24
	s_waitcnt vmcnt(0)
	ds_write2_b64 v4, v[0:1], v[2:3] offset1:1
	s_waitcnt lgkmcnt(0)
	s_barrier
	buffer_gl0_inv
	ds_read2_b64 v[0:3], v12 offset0:44 offset1:45
	v_mov_b32_e32 v4, 22
	s_cbranch_scc1 .LBB122_554
; %bb.552:
	v_add3_u32 v10, v14, 0, 0x170
	v_mov_b32_e32 v4, 22
	s_mov_b32 s16, 23
	s_inst_prefetch 0x1
	.p2align	6
.LBB122_553:                            ; =>This Inner Loop Header: Depth=1
	s_waitcnt lgkmcnt(0)
	v_cmp_gt_f64_e32 vcc_lo, 0, v[2:3]
	v_cmp_gt_f64_e64 s4, 0, v[0:1]
	ds_read2_b64 v[15:18], v10 offset1:1
	v_xor_b32_e32 v20, 0x80000000, v1
	v_xor_b32_e32 v22, 0x80000000, v3
	v_mov_b32_e32 v19, v0
	v_mov_b32_e32 v21, v2
	v_add_nc_u32_e32 v10, 16, v10
	s_waitcnt lgkmcnt(0)
	v_xor_b32_e32 v24, 0x80000000, v18
	v_cndmask_b32_e64 v20, v1, v20, s4
	v_cndmask_b32_e32 v22, v3, v22, vcc_lo
	v_cmp_gt_f64_e32 vcc_lo, 0, v[17:18]
	v_cmp_gt_f64_e64 s4, 0, v[15:16]
	v_mov_b32_e32 v23, v17
	v_add_f64 v[19:20], v[19:20], v[21:22]
	v_xor_b32_e32 v22, 0x80000000, v16
	v_mov_b32_e32 v21, v15
	v_cndmask_b32_e32 v24, v18, v24, vcc_lo
	v_cndmask_b32_e64 v22, v16, v22, s4
	v_add_f64 v[21:22], v[21:22], v[23:24]
	v_cmp_lt_f64_e32 vcc_lo, v[19:20], v[21:22]
	v_cndmask_b32_e32 v1, v1, v16, vcc_lo
	v_cndmask_b32_e32 v0, v0, v15, vcc_lo
	;; [unrolled: 1-line block ×4, first 2 shown]
	v_cndmask_b32_e64 v4, v4, s16, vcc_lo
	s_add_i32 s16, s16, 1
	s_cmp_lg_u32 s57, s16
	s_cbranch_scc1 .LBB122_553
.LBB122_554:
	s_inst_prefetch 0x2
	s_waitcnt lgkmcnt(0)
	v_cmp_eq_f64_e32 vcc_lo, 0, v[0:1]
	v_cmp_eq_f64_e64 s4, 0, v[2:3]
	s_and_b32 s4, vcc_lo, s4
	s_and_saveexec_b32 s16, s4
	s_xor_b32 s4, exec_lo, s16
; %bb.555:
	v_cmp_ne_u32_e32 vcc_lo, 0, v13
	v_cndmask_b32_e32 v13, 23, v13, vcc_lo
; %bb.556:
	s_andn2_saveexec_b32 s4, s4
	s_cbranch_execz .LBB122_562
; %bb.557:
	v_cmp_ngt_f64_e64 s16, |v[0:1]|, |v[2:3]|
	s_and_saveexec_b32 s17, s16
	s_xor_b32 s16, exec_lo, s17
	s_cbranch_execz .LBB122_559
; %bb.558:
	v_div_scale_f64 v[15:16], null, v[2:3], v[2:3], v[0:1]
	v_div_scale_f64 v[21:22], vcc_lo, v[0:1], v[2:3], v[0:1]
	v_rcp_f64_e32 v[17:18], v[15:16]
	v_fma_f64 v[19:20], -v[15:16], v[17:18], 1.0
	v_fma_f64 v[17:18], v[17:18], v[19:20], v[17:18]
	v_fma_f64 v[19:20], -v[15:16], v[17:18], 1.0
	v_fma_f64 v[17:18], v[17:18], v[19:20], v[17:18]
	v_mul_f64 v[19:20], v[21:22], v[17:18]
	v_fma_f64 v[15:16], -v[15:16], v[19:20], v[21:22]
	v_div_fmas_f64 v[15:16], v[15:16], v[17:18], v[19:20]
	v_div_fixup_f64 v[15:16], v[15:16], v[2:3], v[0:1]
	v_fma_f64 v[0:1], v[0:1], v[15:16], v[2:3]
	v_div_scale_f64 v[2:3], null, v[0:1], v[0:1], 1.0
	v_rcp_f64_e32 v[17:18], v[2:3]
	v_fma_f64 v[19:20], -v[2:3], v[17:18], 1.0
	v_fma_f64 v[17:18], v[17:18], v[19:20], v[17:18]
	v_fma_f64 v[19:20], -v[2:3], v[17:18], 1.0
	v_fma_f64 v[17:18], v[17:18], v[19:20], v[17:18]
	v_div_scale_f64 v[19:20], vcc_lo, 1.0, v[0:1], 1.0
	v_mul_f64 v[21:22], v[19:20], v[17:18]
	v_fma_f64 v[2:3], -v[2:3], v[21:22], v[19:20]
	v_div_fmas_f64 v[2:3], v[2:3], v[17:18], v[21:22]
	v_div_fixup_f64 v[2:3], v[2:3], v[0:1], 1.0
	v_mul_f64 v[0:1], v[15:16], v[2:3]
	v_xor_b32_e32 v3, 0x80000000, v3
.LBB122_559:
	s_andn2_saveexec_b32 s16, s16
	s_cbranch_execz .LBB122_561
; %bb.560:
	v_div_scale_f64 v[15:16], null, v[0:1], v[0:1], v[2:3]
	v_div_scale_f64 v[21:22], vcc_lo, v[2:3], v[0:1], v[2:3]
	v_rcp_f64_e32 v[17:18], v[15:16]
	v_fma_f64 v[19:20], -v[15:16], v[17:18], 1.0
	v_fma_f64 v[17:18], v[17:18], v[19:20], v[17:18]
	v_fma_f64 v[19:20], -v[15:16], v[17:18], 1.0
	v_fma_f64 v[17:18], v[17:18], v[19:20], v[17:18]
	v_mul_f64 v[19:20], v[21:22], v[17:18]
	v_fma_f64 v[15:16], -v[15:16], v[19:20], v[21:22]
	v_div_fmas_f64 v[15:16], v[15:16], v[17:18], v[19:20]
	v_div_fixup_f64 v[15:16], v[15:16], v[0:1], v[2:3]
	v_fma_f64 v[0:1], v[2:3], v[15:16], v[0:1]
	v_div_scale_f64 v[2:3], null, v[0:1], v[0:1], 1.0
	v_rcp_f64_e32 v[17:18], v[2:3]
	v_fma_f64 v[19:20], -v[2:3], v[17:18], 1.0
	v_fma_f64 v[17:18], v[17:18], v[19:20], v[17:18]
	v_fma_f64 v[19:20], -v[2:3], v[17:18], 1.0
	v_fma_f64 v[17:18], v[17:18], v[19:20], v[17:18]
	v_div_scale_f64 v[19:20], vcc_lo, 1.0, v[0:1], 1.0
	v_mul_f64 v[21:22], v[19:20], v[17:18]
	v_fma_f64 v[2:3], -v[2:3], v[21:22], v[19:20]
	v_div_fmas_f64 v[2:3], v[2:3], v[17:18], v[21:22]
	v_div_fixup_f64 v[0:1], v[2:3], v[0:1], 1.0
	v_mul_f64 v[2:3], v[15:16], -v[0:1]
.LBB122_561:
	s_or_b32 exec_lo, exec_lo, s16
.LBB122_562:
	s_or_b32 exec_lo, exec_lo, s4
	s_mov_b32 s4, exec_lo
	v_cmpx_ne_u32_e64 v11, v4
	s_xor_b32 s4, exec_lo, s4
	s_cbranch_execz .LBB122_568
; %bb.563:
	s_mov_b32 s16, exec_lo
	v_cmpx_eq_u32_e32 22, v11
	s_cbranch_execz .LBB122_567
; %bb.564:
	v_cmp_ne_u32_e32 vcc_lo, 22, v4
	s_xor_b32 s17, s20, -1
	s_and_b32 s56, s17, vcc_lo
	s_and_saveexec_b32 s17, s56
	s_cbranch_execz .LBB122_566
; %bb.565:
	v_ashrrev_i32_e32 v5, 31, v4
	v_lshlrev_b64 v[10:11], 2, v[4:5]
	v_add_co_u32 v10, vcc_lo, v8, v10
	v_add_co_ci_u32_e64 v11, null, v9, v11, vcc_lo
	s_clause 0x1
	global_load_dword v5, v[10:11], off
	global_load_dword v15, v[8:9], off offset:88
	s_waitcnt vmcnt(1)
	global_store_dword v[8:9], v5, off offset:88
	s_waitcnt vmcnt(0)
	global_store_dword v[10:11], v15, off
.LBB122_566:
	s_or_b32 exec_lo, exec_lo, s17
	v_mov_b32_e32 v11, v4
	v_mov_b32_e32 v5, v4
.LBB122_567:
	s_or_b32 exec_lo, exec_lo, s16
.LBB122_568:
	s_andn2_saveexec_b32 s4, s4
	s_cbranch_execz .LBB122_572
; %bb.569:
	s_movk_i32 s16, 0x170
.LBB122_570:                            ; =>This Inner Loop Header: Depth=1
	v_mov_b32_e32 v4, s16
	s_clause 0x33
	buffer_load_dword v10, v4, s[0:3], 0 offen
	buffer_load_dword v11, v4, s[0:3], 0 offen offset:4
	buffer_load_dword v15, v4, s[0:3], 0 offen offset:8
	;; [unrolled: 1-line block ×51, first 2 shown]
	v_add_nc_u32_e32 v4, s16, v12
	s_addk_i32 s16, 0xd0
	s_waitcnt vmcnt(48)
	ds_write2_b64 v4, v[10:11], v[15:16] offset1:1
	s_waitcnt vmcnt(44)
	ds_write2_b64 v4, v[17:18], v[19:20] offset0:2 offset1:3
	s_waitcnt vmcnt(40)
	ds_write2_b64 v4, v[21:22], v[23:24] offset0:4 offset1:5
	;; [unrolled: 2-line block ×4, first 2 shown]
	ds_write2_b64 v4, v[33:34], v[31:32] offset0:10 offset1:11
	s_waitcnt vmcnt(20)
	ds_write2_b64 v4, v[43:44], v[37:38] offset0:12 offset1:13
	ds_write2_b64 v4, v[41:42], v[39:40] offset0:14 offset1:15
	s_waitcnt vmcnt(16)
	ds_write2_b64 v4, v[45:46], v[47:48] offset0:16 offset1:17
	s_waitcnt vmcnt(12)
	;; [unrolled: 2-line block ×5, first 2 shown]
	ds_write2_b64 v4, v[61:62], v[63:64] offset0:24 offset1:25
	s_cmpk_eq_i32 s16, 0x3e0
	s_cbranch_scc0 .LBB122_570
; %bb.571:
	v_mov_b32_e32 v11, 22
.LBB122_572:
	s_or_b32 exec_lo, exec_lo, s4
	s_mov_b32 s4, exec_lo
	s_waitcnt lgkmcnt(0)
	s_waitcnt_vscnt null, 0x0
	s_barrier
	buffer_gl0_inv
	v_cmpx_lt_i32_e32 22, v11
	s_cbranch_execz .LBB122_575
; %bb.573:
	s_clause 0x3
	buffer_load_dword v15, off, s[0:3], 0 offset:360
	buffer_load_dword v16, off, s[0:3], 0 offset:364
	;; [unrolled: 1-line block ×4, first 2 shown]
	s_movk_i32 s16, 0x170
	s_waitcnt vmcnt(2)
	v_mul_f64 v[19:20], v[2:3], v[15:16]
	v_mul_f64 v[15:16], v[0:1], v[15:16]
	s_waitcnt vmcnt(0)
	v_fma_f64 v[0:1], v[0:1], v[17:18], -v[19:20]
	v_fma_f64 v[2:3], v[2:3], v[17:18], v[15:16]
	buffer_store_dword v0, off, s[0:3], 0 offset:352
	buffer_store_dword v1, off, s[0:3], 0 offset:356
	;; [unrolled: 1-line block ×4, first 2 shown]
.LBB122_574:                            ; =>This Inner Loop Header: Depth=1
	s_clause 0x3
	buffer_load_dword v19, off, s[0:3], 0 offset:360
	buffer_load_dword v20, off, s[0:3], 0 offset:364
	;; [unrolled: 1-line block ×4, first 2 shown]
	v_mov_b32_e32 v4, s16
	v_add_nc_u32_e32 v10, s16, v12
	s_add_i32 s16, s16, 48
	s_clause 0x3
	buffer_load_dword v23, v4, s[0:3], 0 offen
	buffer_load_dword v24, v4, s[0:3], 0 offen offset:4
	buffer_load_dword v25, v4, s[0:3], 0 offen offset:8
	buffer_load_dword v26, v4, s[0:3], 0 offen offset:12
	ds_read2_b64 v[0:3], v10 offset1:1
	ds_read2_b64 v[15:18], v10 offset0:2 offset1:3
	s_cmpk_lg_i32 s16, 0x3e0
	s_waitcnt vmcnt(6) lgkmcnt(1)
	v_mul_f64 v[27:28], v[2:3], v[19:20]
	v_mul_f64 v[19:20], v[0:1], v[19:20]
	s_waitcnt vmcnt(4)
	v_fma_f64 v[0:1], v[0:1], v[21:22], -v[27:28]
	v_fma_f64 v[2:3], v[2:3], v[21:22], v[19:20]
	s_clause 0x3
	buffer_load_dword v19, v4, s[0:3], 0 offen offset:16
	buffer_load_dword v20, v4, s[0:3], 0 offen offset:20
	;; [unrolled: 1-line block ×4, first 2 shown]
	s_waitcnt vmcnt(6)
	v_add_f64 v[0:1], v[23:24], -v[0:1]
	s_waitcnt vmcnt(4)
	v_add_f64 v[2:3], v[25:26], -v[2:3]
	buffer_store_dword v1, v4, s[0:3], 0 offen offset:4
	buffer_store_dword v0, v4, s[0:3], 0 offen
	buffer_store_dword v3, v4, s[0:3], 0 offen offset:12
	buffer_store_dword v2, v4, s[0:3], 0 offen offset:8
	s_clause 0x3
	buffer_load_dword v1, off, s[0:3], 0 offset:364
	buffer_load_dword v0, off, s[0:3], 0 offset:360
	;; [unrolled: 1-line block ×4, first 2 shown]
	s_waitcnt vmcnt(2) lgkmcnt(0)
	v_mul_f64 v[23:24], v[17:18], v[0:1]
	v_mul_f64 v[0:1], v[15:16], v[0:1]
	s_waitcnt vmcnt(0)
	v_fma_f64 v[15:16], v[15:16], v[2:3], -v[23:24]
	v_fma_f64 v[0:1], v[17:18], v[2:3], v[0:1]
	v_add_f64 v[2:3], v[19:20], -v[15:16]
	v_add_f64 v[0:1], v[21:22], -v[0:1]
	s_clause 0x3
	buffer_load_dword v15, v4, s[0:3], 0 offen offset:32
	buffer_load_dword v16, v4, s[0:3], 0 offen offset:36
	;; [unrolled: 1-line block ×4, first 2 shown]
	buffer_store_dword v3, v4, s[0:3], 0 offen offset:20
	buffer_store_dword v2, v4, s[0:3], 0 offen offset:16
	;; [unrolled: 1-line block ×4, first 2 shown]
	s_clause 0x3
	buffer_load_dword v19, off, s[0:3], 0 offset:360
	buffer_load_dword v20, off, s[0:3], 0 offset:364
	;; [unrolled: 1-line block ×4, first 2 shown]
	ds_read2_b64 v[0:3], v10 offset0:4 offset1:5
	s_waitcnt vmcnt(2) lgkmcnt(0)
	v_mul_f64 v[23:24], v[2:3], v[19:20]
	v_mul_f64 v[19:20], v[0:1], v[19:20]
	s_waitcnt vmcnt(0)
	v_fma_f64 v[0:1], v[0:1], v[21:22], -v[23:24]
	v_fma_f64 v[2:3], v[2:3], v[21:22], v[19:20]
	v_add_f64 v[0:1], v[15:16], -v[0:1]
	v_add_f64 v[2:3], v[17:18], -v[2:3]
	buffer_store_dword v1, v4, s[0:3], 0 offen offset:36
	buffer_store_dword v0, v4, s[0:3], 0 offen offset:32
	;; [unrolled: 1-line block ×4, first 2 shown]
	s_cbranch_scc1 .LBB122_574
.LBB122_575:
	s_or_b32 exec_lo, exec_lo, s4
	v_mov_b32_e32 v3, s59
	s_waitcnt_vscnt null, 0x0
	s_barrier
	buffer_gl0_inv
	v_lshl_add_u32 v4, v11, 4, v12
	s_clause 0x3
	buffer_load_dword v0, v3, s[0:3], 0 offen
	buffer_load_dword v1, v3, s[0:3], 0 offen offset:4
	buffer_load_dword v2, v3, s[0:3], 0 offen offset:8
	;; [unrolled: 1-line block ×3, first 2 shown]
	s_cmp_lt_i32 s57, 25
	s_waitcnt vmcnt(0)
	ds_write2_b64 v4, v[0:1], v[2:3] offset1:1
	s_waitcnt lgkmcnt(0)
	s_barrier
	buffer_gl0_inv
	ds_read2_b64 v[0:3], v12 offset0:46 offset1:47
	v_mov_b32_e32 v4, 23
	s_cbranch_scc1 .LBB122_578
; %bb.576:
	v_add3_u32 v10, v14, 0, 0x180
	v_mov_b32_e32 v4, 23
	s_mov_b32 s16, 24
	s_inst_prefetch 0x1
	.p2align	6
.LBB122_577:                            ; =>This Inner Loop Header: Depth=1
	s_waitcnt lgkmcnt(0)
	v_cmp_gt_f64_e32 vcc_lo, 0, v[2:3]
	v_cmp_gt_f64_e64 s4, 0, v[0:1]
	ds_read2_b64 v[15:18], v10 offset1:1
	v_xor_b32_e32 v20, 0x80000000, v1
	v_xor_b32_e32 v22, 0x80000000, v3
	v_mov_b32_e32 v19, v0
	v_mov_b32_e32 v21, v2
	v_add_nc_u32_e32 v10, 16, v10
	s_waitcnt lgkmcnt(0)
	v_xor_b32_e32 v24, 0x80000000, v18
	v_cndmask_b32_e64 v20, v1, v20, s4
	v_cndmask_b32_e32 v22, v3, v22, vcc_lo
	v_cmp_gt_f64_e32 vcc_lo, 0, v[17:18]
	v_cmp_gt_f64_e64 s4, 0, v[15:16]
	v_mov_b32_e32 v23, v17
	v_add_f64 v[19:20], v[19:20], v[21:22]
	v_xor_b32_e32 v22, 0x80000000, v16
	v_mov_b32_e32 v21, v15
	v_cndmask_b32_e32 v24, v18, v24, vcc_lo
	v_cndmask_b32_e64 v22, v16, v22, s4
	v_add_f64 v[21:22], v[21:22], v[23:24]
	v_cmp_lt_f64_e32 vcc_lo, v[19:20], v[21:22]
	v_cndmask_b32_e32 v1, v1, v16, vcc_lo
	v_cndmask_b32_e32 v0, v0, v15, vcc_lo
	;; [unrolled: 1-line block ×4, first 2 shown]
	v_cndmask_b32_e64 v4, v4, s16, vcc_lo
	s_add_i32 s16, s16, 1
	s_cmp_lg_u32 s57, s16
	s_cbranch_scc1 .LBB122_577
.LBB122_578:
	s_inst_prefetch 0x2
	s_waitcnt lgkmcnt(0)
	v_cmp_eq_f64_e32 vcc_lo, 0, v[0:1]
	v_cmp_eq_f64_e64 s4, 0, v[2:3]
	s_and_b32 s4, vcc_lo, s4
	s_and_saveexec_b32 s16, s4
	s_xor_b32 s4, exec_lo, s16
; %bb.579:
	v_cmp_ne_u32_e32 vcc_lo, 0, v13
	v_cndmask_b32_e32 v13, 24, v13, vcc_lo
; %bb.580:
	s_andn2_saveexec_b32 s4, s4
	s_cbranch_execz .LBB122_586
; %bb.581:
	v_cmp_ngt_f64_e64 s16, |v[0:1]|, |v[2:3]|
	s_and_saveexec_b32 s17, s16
	s_xor_b32 s16, exec_lo, s17
	s_cbranch_execz .LBB122_583
; %bb.582:
	v_div_scale_f64 v[15:16], null, v[2:3], v[2:3], v[0:1]
	v_div_scale_f64 v[21:22], vcc_lo, v[0:1], v[2:3], v[0:1]
	v_rcp_f64_e32 v[17:18], v[15:16]
	v_fma_f64 v[19:20], -v[15:16], v[17:18], 1.0
	v_fma_f64 v[17:18], v[17:18], v[19:20], v[17:18]
	v_fma_f64 v[19:20], -v[15:16], v[17:18], 1.0
	v_fma_f64 v[17:18], v[17:18], v[19:20], v[17:18]
	v_mul_f64 v[19:20], v[21:22], v[17:18]
	v_fma_f64 v[15:16], -v[15:16], v[19:20], v[21:22]
	v_div_fmas_f64 v[15:16], v[15:16], v[17:18], v[19:20]
	v_div_fixup_f64 v[15:16], v[15:16], v[2:3], v[0:1]
	v_fma_f64 v[0:1], v[0:1], v[15:16], v[2:3]
	v_div_scale_f64 v[2:3], null, v[0:1], v[0:1], 1.0
	v_rcp_f64_e32 v[17:18], v[2:3]
	v_fma_f64 v[19:20], -v[2:3], v[17:18], 1.0
	v_fma_f64 v[17:18], v[17:18], v[19:20], v[17:18]
	v_fma_f64 v[19:20], -v[2:3], v[17:18], 1.0
	v_fma_f64 v[17:18], v[17:18], v[19:20], v[17:18]
	v_div_scale_f64 v[19:20], vcc_lo, 1.0, v[0:1], 1.0
	v_mul_f64 v[21:22], v[19:20], v[17:18]
	v_fma_f64 v[2:3], -v[2:3], v[21:22], v[19:20]
	v_div_fmas_f64 v[2:3], v[2:3], v[17:18], v[21:22]
	v_div_fixup_f64 v[2:3], v[2:3], v[0:1], 1.0
	v_mul_f64 v[0:1], v[15:16], v[2:3]
	v_xor_b32_e32 v3, 0x80000000, v3
.LBB122_583:
	s_andn2_saveexec_b32 s16, s16
	s_cbranch_execz .LBB122_585
; %bb.584:
	v_div_scale_f64 v[15:16], null, v[0:1], v[0:1], v[2:3]
	v_div_scale_f64 v[21:22], vcc_lo, v[2:3], v[0:1], v[2:3]
	v_rcp_f64_e32 v[17:18], v[15:16]
	v_fma_f64 v[19:20], -v[15:16], v[17:18], 1.0
	v_fma_f64 v[17:18], v[17:18], v[19:20], v[17:18]
	v_fma_f64 v[19:20], -v[15:16], v[17:18], 1.0
	v_fma_f64 v[17:18], v[17:18], v[19:20], v[17:18]
	v_mul_f64 v[19:20], v[21:22], v[17:18]
	v_fma_f64 v[15:16], -v[15:16], v[19:20], v[21:22]
	v_div_fmas_f64 v[15:16], v[15:16], v[17:18], v[19:20]
	v_div_fixup_f64 v[15:16], v[15:16], v[0:1], v[2:3]
	v_fma_f64 v[0:1], v[2:3], v[15:16], v[0:1]
	v_div_scale_f64 v[2:3], null, v[0:1], v[0:1], 1.0
	v_rcp_f64_e32 v[17:18], v[2:3]
	v_fma_f64 v[19:20], -v[2:3], v[17:18], 1.0
	v_fma_f64 v[17:18], v[17:18], v[19:20], v[17:18]
	v_fma_f64 v[19:20], -v[2:3], v[17:18], 1.0
	v_fma_f64 v[17:18], v[17:18], v[19:20], v[17:18]
	v_div_scale_f64 v[19:20], vcc_lo, 1.0, v[0:1], 1.0
	v_mul_f64 v[21:22], v[19:20], v[17:18]
	v_fma_f64 v[2:3], -v[2:3], v[21:22], v[19:20]
	v_div_fmas_f64 v[2:3], v[2:3], v[17:18], v[21:22]
	v_div_fixup_f64 v[0:1], v[2:3], v[0:1], 1.0
	v_mul_f64 v[2:3], v[15:16], -v[0:1]
.LBB122_585:
	s_or_b32 exec_lo, exec_lo, s16
.LBB122_586:
	s_or_b32 exec_lo, exec_lo, s4
	s_mov_b32 s4, exec_lo
	v_cmpx_ne_u32_e64 v11, v4
	s_xor_b32 s4, exec_lo, s4
	s_cbranch_execz .LBB122_592
; %bb.587:
	s_mov_b32 s16, exec_lo
	v_cmpx_eq_u32_e32 23, v11
	s_cbranch_execz .LBB122_591
; %bb.588:
	v_cmp_ne_u32_e32 vcc_lo, 23, v4
	s_xor_b32 s17, s20, -1
	s_and_b32 s56, s17, vcc_lo
	s_and_saveexec_b32 s17, s56
	s_cbranch_execz .LBB122_590
; %bb.589:
	v_ashrrev_i32_e32 v5, 31, v4
	v_lshlrev_b64 v[10:11], 2, v[4:5]
	v_add_co_u32 v10, vcc_lo, v8, v10
	v_add_co_ci_u32_e64 v11, null, v9, v11, vcc_lo
	s_clause 0x1
	global_load_dword v5, v[10:11], off
	global_load_dword v15, v[8:9], off offset:92
	s_waitcnt vmcnt(1)
	global_store_dword v[8:9], v5, off offset:92
	s_waitcnt vmcnt(0)
	global_store_dword v[10:11], v15, off
.LBB122_590:
	s_or_b32 exec_lo, exec_lo, s17
	v_mov_b32_e32 v11, v4
	v_mov_b32_e32 v5, v4
.LBB122_591:
	s_or_b32 exec_lo, exec_lo, s16
.LBB122_592:
	s_andn2_saveexec_b32 s4, s4
	s_cbranch_execz .LBB122_596
; %bb.593:
	s_movk_i32 s16, 0x180
	.p2align	6
.LBB122_594:                            ; =>This Inner Loop Header: Depth=1
	v_mov_b32_e32 v4, s16
	s_clause 0x7
	buffer_load_dword v10, v4, s[0:3], 0 offen
	buffer_load_dword v11, v4, s[0:3], 0 offen offset:4
	buffer_load_dword v15, v4, s[0:3], 0 offen offset:8
	;; [unrolled: 1-line block ×7, first 2 shown]
	v_add_nc_u32_e32 v4, s16, v12
	s_add_i32 s16, s16, 32
	s_waitcnt vmcnt(4)
	ds_write2_b64 v4, v[10:11], v[15:16] offset1:1
	s_waitcnt vmcnt(0)
	ds_write2_b64 v4, v[17:18], v[19:20] offset0:2 offset1:3
	s_cmpk_eq_i32 s16, 0x3e0
	s_cbranch_scc0 .LBB122_594
; %bb.595:
	v_mov_b32_e32 v11, 23
.LBB122_596:
	s_or_b32 exec_lo, exec_lo, s4
	s_mov_b32 s4, exec_lo
	s_waitcnt lgkmcnt(0)
	s_waitcnt_vscnt null, 0x0
	s_barrier
	buffer_gl0_inv
	v_cmpx_lt_i32_e32 23, v11
	s_cbranch_execz .LBB122_599
; %bb.597:
	s_clause 0x3
	buffer_load_dword v15, off, s[0:3], 0 offset:376
	buffer_load_dword v16, off, s[0:3], 0 offset:380
	;; [unrolled: 1-line block ×4, first 2 shown]
	s_movk_i32 s16, 0x180
	s_waitcnt vmcnt(2)
	v_mul_f64 v[19:20], v[2:3], v[15:16]
	v_mul_f64 v[15:16], v[0:1], v[15:16]
	s_waitcnt vmcnt(0)
	v_fma_f64 v[0:1], v[0:1], v[17:18], -v[19:20]
	v_fma_f64 v[2:3], v[2:3], v[17:18], v[15:16]
	buffer_store_dword v0, off, s[0:3], 0 offset:368
	buffer_store_dword v1, off, s[0:3], 0 offset:372
	;; [unrolled: 1-line block ×4, first 2 shown]
.LBB122_598:                            ; =>This Inner Loop Header: Depth=1
	s_clause 0x3
	buffer_load_dword v19, off, s[0:3], 0 offset:376
	buffer_load_dword v20, off, s[0:3], 0 offset:380
	;; [unrolled: 1-line block ×4, first 2 shown]
	v_mov_b32_e32 v4, s16
	v_add_nc_u32_e32 v10, s16, v12
	s_add_i32 s16, s16, 32
	s_clause 0x3
	buffer_load_dword v23, v4, s[0:3], 0 offen
	buffer_load_dword v24, v4, s[0:3], 0 offen offset:4
	buffer_load_dword v25, v4, s[0:3], 0 offen offset:8
	;; [unrolled: 1-line block ×3, first 2 shown]
	ds_read2_b64 v[0:3], v10 offset1:1
	ds_read2_b64 v[15:18], v10 offset0:2 offset1:3
	s_cmpk_lg_i32 s16, 0x3e0
	s_waitcnt vmcnt(6) lgkmcnt(1)
	v_mul_f64 v[27:28], v[2:3], v[19:20]
	v_mul_f64 v[19:20], v[0:1], v[19:20]
	s_waitcnt vmcnt(4)
	v_fma_f64 v[0:1], v[0:1], v[21:22], -v[27:28]
	v_fma_f64 v[2:3], v[2:3], v[21:22], v[19:20]
	s_clause 0x3
	buffer_load_dword v19, v4, s[0:3], 0 offen offset:16
	buffer_load_dword v20, v4, s[0:3], 0 offen offset:20
	;; [unrolled: 1-line block ×4, first 2 shown]
	s_waitcnt vmcnt(6)
	v_add_f64 v[0:1], v[23:24], -v[0:1]
	s_waitcnt vmcnt(4)
	v_add_f64 v[2:3], v[25:26], -v[2:3]
	buffer_store_dword v1, v4, s[0:3], 0 offen offset:4
	buffer_store_dword v0, v4, s[0:3], 0 offen
	buffer_store_dword v3, v4, s[0:3], 0 offen offset:12
	buffer_store_dword v2, v4, s[0:3], 0 offen offset:8
	s_clause 0x3
	buffer_load_dword v1, off, s[0:3], 0 offset:380
	buffer_load_dword v0, off, s[0:3], 0 offset:376
	;; [unrolled: 1-line block ×4, first 2 shown]
	s_waitcnt vmcnt(2) lgkmcnt(0)
	v_mul_f64 v[23:24], v[17:18], v[0:1]
	v_mul_f64 v[0:1], v[15:16], v[0:1]
	s_waitcnt vmcnt(0)
	v_fma_f64 v[15:16], v[15:16], v[2:3], -v[23:24]
	v_fma_f64 v[0:1], v[17:18], v[2:3], v[0:1]
	v_add_f64 v[2:3], v[19:20], -v[15:16]
	v_add_f64 v[0:1], v[21:22], -v[0:1]
	buffer_store_dword v3, v4, s[0:3], 0 offen offset:20
	buffer_store_dword v2, v4, s[0:3], 0 offen offset:16
	;; [unrolled: 1-line block ×4, first 2 shown]
	s_cbranch_scc1 .LBB122_598
.LBB122_599:
	s_or_b32 exec_lo, exec_lo, s4
	v_mov_b32_e32 v3, s58
	s_waitcnt_vscnt null, 0x0
	s_barrier
	buffer_gl0_inv
	v_lshl_add_u32 v4, v11, 4, v12
	s_clause 0x3
	buffer_load_dword v0, v3, s[0:3], 0 offen
	buffer_load_dword v1, v3, s[0:3], 0 offen offset:4
	buffer_load_dword v2, v3, s[0:3], 0 offen offset:8
	;; [unrolled: 1-line block ×3, first 2 shown]
	s_cmp_lt_i32 s57, 26
	s_waitcnt vmcnt(0)
	ds_write2_b64 v4, v[0:1], v[2:3] offset1:1
	s_waitcnt lgkmcnt(0)
	s_barrier
	buffer_gl0_inv
	ds_read2_b64 v[0:3], v12 offset0:48 offset1:49
	v_mov_b32_e32 v4, 24
	s_cbranch_scc1 .LBB122_602
; %bb.600:
	v_add3_u32 v10, v14, 0, 0x190
	v_mov_b32_e32 v4, 24
	s_mov_b32 s16, 25
	s_inst_prefetch 0x1
	.p2align	6
.LBB122_601:                            ; =>This Inner Loop Header: Depth=1
	s_waitcnt lgkmcnt(0)
	v_cmp_gt_f64_e32 vcc_lo, 0, v[2:3]
	v_cmp_gt_f64_e64 s4, 0, v[0:1]
	ds_read2_b64 v[15:18], v10 offset1:1
	v_xor_b32_e32 v20, 0x80000000, v1
	v_xor_b32_e32 v22, 0x80000000, v3
	v_mov_b32_e32 v19, v0
	v_mov_b32_e32 v21, v2
	v_add_nc_u32_e32 v10, 16, v10
	s_waitcnt lgkmcnt(0)
	v_xor_b32_e32 v24, 0x80000000, v18
	v_cndmask_b32_e64 v20, v1, v20, s4
	v_cndmask_b32_e32 v22, v3, v22, vcc_lo
	v_cmp_gt_f64_e32 vcc_lo, 0, v[17:18]
	v_cmp_gt_f64_e64 s4, 0, v[15:16]
	v_mov_b32_e32 v23, v17
	v_add_f64 v[19:20], v[19:20], v[21:22]
	v_xor_b32_e32 v22, 0x80000000, v16
	v_mov_b32_e32 v21, v15
	v_cndmask_b32_e32 v24, v18, v24, vcc_lo
	v_cndmask_b32_e64 v22, v16, v22, s4
	v_add_f64 v[21:22], v[21:22], v[23:24]
	v_cmp_lt_f64_e32 vcc_lo, v[19:20], v[21:22]
	v_cndmask_b32_e32 v1, v1, v16, vcc_lo
	v_cndmask_b32_e32 v0, v0, v15, vcc_lo
	;; [unrolled: 1-line block ×4, first 2 shown]
	v_cndmask_b32_e64 v4, v4, s16, vcc_lo
	s_add_i32 s16, s16, 1
	s_cmp_lg_u32 s57, s16
	s_cbranch_scc1 .LBB122_601
.LBB122_602:
	s_inst_prefetch 0x2
	s_waitcnt lgkmcnt(0)
	v_cmp_eq_f64_e32 vcc_lo, 0, v[0:1]
	v_cmp_eq_f64_e64 s4, 0, v[2:3]
	s_and_b32 s4, vcc_lo, s4
	s_and_saveexec_b32 s16, s4
	s_xor_b32 s4, exec_lo, s16
; %bb.603:
	v_cmp_ne_u32_e32 vcc_lo, 0, v13
	v_cndmask_b32_e32 v13, 25, v13, vcc_lo
; %bb.604:
	s_andn2_saveexec_b32 s4, s4
	s_cbranch_execz .LBB122_610
; %bb.605:
	v_cmp_ngt_f64_e64 s16, |v[0:1]|, |v[2:3]|
	s_and_saveexec_b32 s17, s16
	s_xor_b32 s16, exec_lo, s17
	s_cbranch_execz .LBB122_607
; %bb.606:
	v_div_scale_f64 v[15:16], null, v[2:3], v[2:3], v[0:1]
	v_div_scale_f64 v[21:22], vcc_lo, v[0:1], v[2:3], v[0:1]
	v_rcp_f64_e32 v[17:18], v[15:16]
	v_fma_f64 v[19:20], -v[15:16], v[17:18], 1.0
	v_fma_f64 v[17:18], v[17:18], v[19:20], v[17:18]
	v_fma_f64 v[19:20], -v[15:16], v[17:18], 1.0
	v_fma_f64 v[17:18], v[17:18], v[19:20], v[17:18]
	v_mul_f64 v[19:20], v[21:22], v[17:18]
	v_fma_f64 v[15:16], -v[15:16], v[19:20], v[21:22]
	v_div_fmas_f64 v[15:16], v[15:16], v[17:18], v[19:20]
	v_div_fixup_f64 v[15:16], v[15:16], v[2:3], v[0:1]
	v_fma_f64 v[0:1], v[0:1], v[15:16], v[2:3]
	v_div_scale_f64 v[2:3], null, v[0:1], v[0:1], 1.0
	v_rcp_f64_e32 v[17:18], v[2:3]
	v_fma_f64 v[19:20], -v[2:3], v[17:18], 1.0
	v_fma_f64 v[17:18], v[17:18], v[19:20], v[17:18]
	v_fma_f64 v[19:20], -v[2:3], v[17:18], 1.0
	v_fma_f64 v[17:18], v[17:18], v[19:20], v[17:18]
	v_div_scale_f64 v[19:20], vcc_lo, 1.0, v[0:1], 1.0
	v_mul_f64 v[21:22], v[19:20], v[17:18]
	v_fma_f64 v[2:3], -v[2:3], v[21:22], v[19:20]
	v_div_fmas_f64 v[2:3], v[2:3], v[17:18], v[21:22]
	v_div_fixup_f64 v[2:3], v[2:3], v[0:1], 1.0
	v_mul_f64 v[0:1], v[15:16], v[2:3]
	v_xor_b32_e32 v3, 0x80000000, v3
.LBB122_607:
	s_andn2_saveexec_b32 s16, s16
	s_cbranch_execz .LBB122_609
; %bb.608:
	v_div_scale_f64 v[15:16], null, v[0:1], v[0:1], v[2:3]
	v_div_scale_f64 v[21:22], vcc_lo, v[2:3], v[0:1], v[2:3]
	v_rcp_f64_e32 v[17:18], v[15:16]
	v_fma_f64 v[19:20], -v[15:16], v[17:18], 1.0
	v_fma_f64 v[17:18], v[17:18], v[19:20], v[17:18]
	v_fma_f64 v[19:20], -v[15:16], v[17:18], 1.0
	v_fma_f64 v[17:18], v[17:18], v[19:20], v[17:18]
	v_mul_f64 v[19:20], v[21:22], v[17:18]
	v_fma_f64 v[15:16], -v[15:16], v[19:20], v[21:22]
	v_div_fmas_f64 v[15:16], v[15:16], v[17:18], v[19:20]
	v_div_fixup_f64 v[15:16], v[15:16], v[0:1], v[2:3]
	v_fma_f64 v[0:1], v[2:3], v[15:16], v[0:1]
	v_div_scale_f64 v[2:3], null, v[0:1], v[0:1], 1.0
	v_rcp_f64_e32 v[17:18], v[2:3]
	v_fma_f64 v[19:20], -v[2:3], v[17:18], 1.0
	v_fma_f64 v[17:18], v[17:18], v[19:20], v[17:18]
	v_fma_f64 v[19:20], -v[2:3], v[17:18], 1.0
	v_fma_f64 v[17:18], v[17:18], v[19:20], v[17:18]
	v_div_scale_f64 v[19:20], vcc_lo, 1.0, v[0:1], 1.0
	v_mul_f64 v[21:22], v[19:20], v[17:18]
	v_fma_f64 v[2:3], -v[2:3], v[21:22], v[19:20]
	v_div_fmas_f64 v[2:3], v[2:3], v[17:18], v[21:22]
	v_div_fixup_f64 v[0:1], v[2:3], v[0:1], 1.0
	v_mul_f64 v[2:3], v[15:16], -v[0:1]
.LBB122_609:
	s_or_b32 exec_lo, exec_lo, s16
.LBB122_610:
	s_or_b32 exec_lo, exec_lo, s4
	s_mov_b32 s4, exec_lo
	v_cmpx_ne_u32_e64 v11, v4
	s_xor_b32 s4, exec_lo, s4
	s_cbranch_execz .LBB122_616
; %bb.611:
	s_mov_b32 s16, exec_lo
	v_cmpx_eq_u32_e32 24, v11
	s_cbranch_execz .LBB122_615
; %bb.612:
	v_cmp_ne_u32_e32 vcc_lo, 24, v4
	s_xor_b32 s17, s20, -1
	s_and_b32 s56, s17, vcc_lo
	s_and_saveexec_b32 s17, s56
	s_cbranch_execz .LBB122_614
; %bb.613:
	v_ashrrev_i32_e32 v5, 31, v4
	v_lshlrev_b64 v[10:11], 2, v[4:5]
	v_add_co_u32 v10, vcc_lo, v8, v10
	v_add_co_ci_u32_e64 v11, null, v9, v11, vcc_lo
	s_clause 0x1
	global_load_dword v5, v[10:11], off
	global_load_dword v15, v[8:9], off offset:96
	s_waitcnt vmcnt(1)
	global_store_dword v[8:9], v5, off offset:96
	s_waitcnt vmcnt(0)
	global_store_dword v[10:11], v15, off
.LBB122_614:
	s_or_b32 exec_lo, exec_lo, s17
	v_mov_b32_e32 v11, v4
	v_mov_b32_e32 v5, v4
.LBB122_615:
	s_or_b32 exec_lo, exec_lo, s16
.LBB122_616:
	s_andn2_saveexec_b32 s4, s4
	s_cbranch_execz .LBB122_622
; %bb.617:
	v_add3_u32 v4, v14, 0, 0x190
	s_mov_b32 s16, 0
	s_branch .LBB122_619
.LBB122_618:                            ;   in Loop: Header=BB122_619 Depth=1
	s_andn2_b32 vcc_lo, exec_lo, s56
	s_cbranch_vccz .LBB122_621
.LBB122_619:                            ; =>This Inner Loop Header: Depth=1
	s_add_i32 s17, s55, s16
	s_mov_b32 s56, -1
	v_mov_b32_e32 v10, s17
	s_cmpk_eq_i32 s16, 0x200
	s_clause 0x13
	buffer_load_dword v15, v10, s[0:3], 0 offen
	buffer_load_dword v16, v10, s[0:3], 0 offen offset:4
	buffer_load_dword v17, v10, s[0:3], 0 offen offset:8
	;; [unrolled: 1-line block ×19, first 2 shown]
	v_add_nc_u32_e32 v10, s16, v4
	s_waitcnt vmcnt(16)
	ds_write2_b64 v10, v[15:16], v[17:18] offset1:1
	s_waitcnt vmcnt(12)
	ds_write2_b64 v10, v[19:20], v[21:22] offset0:2 offset1:3
	s_waitcnt vmcnt(8)
	ds_write2_b64 v10, v[23:24], v[25:26] offset0:4 offset1:5
	s_waitcnt vmcnt(4)
	ds_write2_b64 v10, v[27:28], v[29:30] offset0:6 offset1:7
	s_waitcnt vmcnt(0)
	ds_write2_b64 v10, v[33:34], v[31:32] offset0:8 offset1:9
	s_cbranch_scc1 .LBB122_618
; %bb.620:                              ;   in Loop: Header=BB122_619 Depth=1
	v_mov_b32_e32 v11, s17
	s_addk_i32 s16, 0x80
	s_mov_b32 s56, 0
	s_clause 0xb
	buffer_load_dword v15, v11, s[0:3], 0 offen offset:80
	buffer_load_dword v16, v11, s[0:3], 0 offen offset:84
	;; [unrolled: 1-line block ×12, first 2 shown]
	s_waitcnt vmcnt(8)
	ds_write2_b64 v10, v[15:16], v[17:18] offset0:10 offset1:11
	s_waitcnt vmcnt(4)
	ds_write2_b64 v10, v[19:20], v[21:22] offset0:12 offset1:13
	;; [unrolled: 2-line block ×3, first 2 shown]
	s_branch .LBB122_618
.LBB122_621:
	v_mov_b32_e32 v11, 24
.LBB122_622:
	s_or_b32 exec_lo, exec_lo, s4
	s_mov_b32 s4, exec_lo
	s_waitcnt lgkmcnt(0)
	s_waitcnt_vscnt null, 0x0
	s_barrier
	buffer_gl0_inv
	v_cmpx_lt_i32_e32 24, v11
	s_cbranch_execz .LBB122_627
; %bb.623:
	s_clause 0x3
	buffer_load_dword v15, off, s[0:3], 0 offset:392
	buffer_load_dword v16, off, s[0:3], 0 offset:396
	;; [unrolled: 1-line block ×4, first 2 shown]
	s_movk_i32 s81, 0x190
	s_waitcnt vmcnt(2)
	v_mul_f64 v[19:20], v[2:3], v[15:16]
	v_mul_f64 v[15:16], v[0:1], v[15:16]
	s_waitcnt vmcnt(0)
	v_fma_f64 v[0:1], v[0:1], v[17:18], -v[19:20]
	v_fma_f64 v[2:3], v[2:3], v[17:18], v[15:16]
	buffer_store_dword v0, off, s[0:3], 0 offset:384
	buffer_store_dword v1, off, s[0:3], 0 offset:388
	buffer_store_dword v2, off, s[0:3], 0 offset:392
	buffer_store_dword v3, off, s[0:3], 0 offset:396
	s_branch .LBB122_625
.LBB122_624:                            ;   in Loop: Header=BB122_625 Depth=1
	s_andn2_b32 vcc_lo, exec_lo, s17
	s_cbranch_vccz .LBB122_627
.LBB122_625:                            ; =>This Inner Loop Header: Depth=1
	v_mov_b32_e32 v10, s81
	v_add_nc_u32_e32 v4, s81, v12
	s_mov_b32 s16, s81
	s_mov_b32 s17, -1
	s_cmpk_eq_i32 s81, 0x3d0
	s_clause 0x3
	buffer_load_dword v19, v10, s[0:3], 0 offen
	buffer_load_dword v20, v10, s[0:3], 0 offen offset:4
	buffer_load_dword v21, v10, s[0:3], 0 offen offset:8
	;; [unrolled: 1-line block ×3, first 2 shown]
	ds_read2_b64 v[15:18], v4 offset1:1
	s_waitcnt vmcnt(4) lgkmcnt(0)
	v_mul_f64 v[23:24], v[17:18], v[2:3]
	v_mul_f64 v[2:3], v[15:16], v[2:3]
	v_fma_f64 v[15:16], v[15:16], v[0:1], -v[23:24]
	v_fma_f64 v[0:1], v[17:18], v[0:1], v[2:3]
	s_waitcnt vmcnt(2)
	v_add_f64 v[2:3], v[19:20], -v[15:16]
	s_waitcnt vmcnt(0)
	v_add_f64 v[0:1], v[21:22], -v[0:1]
	buffer_store_dword v2, v10, s[0:3], 0 offen
	buffer_store_dword v3, v10, s[0:3], 0 offen offset:4
	buffer_store_dword v0, v10, s[0:3], 0 offen offset:8
	;; [unrolled: 1-line block ×3, first 2 shown]
                                        ; implicit-def: $vgpr0_vgpr1
                                        ; implicit-def: $vgpr2_vgpr3
	s_cbranch_scc1 .LBB122_624
; %bb.626:                              ;   in Loop: Header=BB122_625 Depth=1
	s_clause 0x3
	buffer_load_dword v19, off, s[0:3], 0 offset:392
	buffer_load_dword v20, off, s[0:3], 0 offset:396
	;; [unrolled: 1-line block ×4, first 2 shown]
	v_mov_b32_e32 v10, s16
	s_add_i32 s81, s81, 64
	s_mov_b32 s17, 0
	s_clause 0x3
	buffer_load_dword v23, v10, s[0:3], 0 offen offset:16
	buffer_load_dword v24, v10, s[0:3], 0 offen offset:20
	;; [unrolled: 1-line block ×4, first 2 shown]
	ds_read2_b64 v[0:3], v4 offset0:2 offset1:3
	ds_read2_b64 v[15:18], v4 offset0:4 offset1:5
	s_waitcnt vmcnt(6) lgkmcnt(1)
	v_mul_f64 v[27:28], v[2:3], v[19:20]
	v_mul_f64 v[19:20], v[0:1], v[19:20]
	s_waitcnt vmcnt(4)
	v_fma_f64 v[0:1], v[0:1], v[21:22], -v[27:28]
	v_fma_f64 v[2:3], v[2:3], v[21:22], v[19:20]
	s_waitcnt vmcnt(2)
	v_add_f64 v[0:1], v[23:24], -v[0:1]
	s_waitcnt vmcnt(0)
	v_add_f64 v[2:3], v[25:26], -v[2:3]
	buffer_store_dword v1, v10, s[0:3], 0 offen offset:20
	buffer_store_dword v0, v10, s[0:3], 0 offen offset:16
	;; [unrolled: 1-line block ×4, first 2 shown]
	s_clause 0x7
	buffer_load_dword v1, v10, s[0:3], 0 offen offset:36
	buffer_load_dword v2, v10, s[0:3], 0 offen offset:40
	;; [unrolled: 1-line block ×3, first 2 shown]
	buffer_load_dword v20, off, s[0:3], 0 offset:396
	buffer_load_dword v19, off, s[0:3], 0 offset:392
	;; [unrolled: 1-line block ×4, first 2 shown]
	buffer_load_dword v0, v10, s[0:3], 0 offen offset:32
	s_waitcnt vmcnt(3) lgkmcnt(0)
	v_mul_f64 v[23:24], v[17:18], v[19:20]
	v_mul_f64 v[19:20], v[15:16], v[19:20]
	s_waitcnt vmcnt(1)
	v_fma_f64 v[15:16], v[15:16], v[21:22], -v[23:24]
	v_fma_f64 v[17:18], v[17:18], v[21:22], v[19:20]
	s_waitcnt vmcnt(0)
	v_add_f64 v[0:1], v[0:1], -v[15:16]
	v_add_f64 v[2:3], v[2:3], -v[17:18]
	buffer_store_dword v1, v10, s[0:3], 0 offen offset:36
	buffer_store_dword v0, v10, s[0:3], 0 offen offset:32
	;; [unrolled: 1-line block ×4, first 2 shown]
	s_clause 0x7
	buffer_load_dword v16, v10, s[0:3], 0 offen offset:52
	buffer_load_dword v17, v10, s[0:3], 0 offen offset:56
	;; [unrolled: 1-line block ×3, first 2 shown]
	buffer_load_dword v19, off, s[0:3], 0 offset:392
	buffer_load_dword v20, off, s[0:3], 0 offset:396
	;; [unrolled: 1-line block ×4, first 2 shown]
	buffer_load_dword v15, v10, s[0:3], 0 offen offset:48
	ds_read2_b64 v[0:3], v4 offset0:6 offset1:7
	s_waitcnt vmcnt(3) lgkmcnt(0)
	v_mul_f64 v[23:24], v[2:3], v[19:20]
	v_mul_f64 v[19:20], v[0:1], v[19:20]
	s_waitcnt vmcnt(1)
	v_fma_f64 v[0:1], v[0:1], v[21:22], -v[23:24]
	v_fma_f64 v[2:3], v[2:3], v[21:22], v[19:20]
	s_waitcnt vmcnt(0)
	v_add_f64 v[0:1], v[15:16], -v[0:1]
	v_add_f64 v[2:3], v[17:18], -v[2:3]
	buffer_store_dword v1, v10, s[0:3], 0 offen offset:52
	buffer_store_dword v0, v10, s[0:3], 0 offen offset:48
	;; [unrolled: 1-line block ×4, first 2 shown]
	s_clause 0x3
	buffer_load_dword v0, off, s[0:3], 0 offset:384
	buffer_load_dword v1, off, s[0:3], 0 offset:388
	;; [unrolled: 1-line block ×4, first 2 shown]
	s_branch .LBB122_624
.LBB122_627:
	s_or_b32 exec_lo, exec_lo, s4
	s_waitcnt vmcnt(0)
	v_mov_b32_e32 v3, s55
	s_waitcnt_vscnt null, 0x0
	s_barrier
	buffer_gl0_inv
	v_lshl_add_u32 v4, v11, 4, v12
	s_clause 0x3
	buffer_load_dword v0, v3, s[0:3], 0 offen
	buffer_load_dword v1, v3, s[0:3], 0 offen offset:4
	buffer_load_dword v2, v3, s[0:3], 0 offen offset:8
	;; [unrolled: 1-line block ×3, first 2 shown]
	s_cmp_lt_i32 s57, 27
	s_waitcnt vmcnt(0)
	ds_write2_b64 v4, v[0:1], v[2:3] offset1:1
	s_waitcnt lgkmcnt(0)
	s_barrier
	buffer_gl0_inv
	ds_read2_b64 v[0:3], v12 offset0:50 offset1:51
	v_mov_b32_e32 v4, 25
	s_cbranch_scc1 .LBB122_630
; %bb.628:
	v_add3_u32 v10, v14, 0, 0x1a0
	v_mov_b32_e32 v4, 25
	s_mov_b32 s16, 26
	s_inst_prefetch 0x1
	.p2align	6
.LBB122_629:                            ; =>This Inner Loop Header: Depth=1
	s_waitcnt lgkmcnt(0)
	v_cmp_gt_f64_e32 vcc_lo, 0, v[2:3]
	v_cmp_gt_f64_e64 s4, 0, v[0:1]
	ds_read2_b64 v[15:18], v10 offset1:1
	v_xor_b32_e32 v20, 0x80000000, v1
	v_xor_b32_e32 v22, 0x80000000, v3
	v_mov_b32_e32 v19, v0
	v_mov_b32_e32 v21, v2
	v_add_nc_u32_e32 v10, 16, v10
	s_waitcnt lgkmcnt(0)
	v_xor_b32_e32 v24, 0x80000000, v18
	v_cndmask_b32_e64 v20, v1, v20, s4
	v_cndmask_b32_e32 v22, v3, v22, vcc_lo
	v_cmp_gt_f64_e32 vcc_lo, 0, v[17:18]
	v_cmp_gt_f64_e64 s4, 0, v[15:16]
	v_mov_b32_e32 v23, v17
	v_add_f64 v[19:20], v[19:20], v[21:22]
	v_xor_b32_e32 v22, 0x80000000, v16
	v_mov_b32_e32 v21, v15
	v_cndmask_b32_e32 v24, v18, v24, vcc_lo
	v_cndmask_b32_e64 v22, v16, v22, s4
	v_add_f64 v[21:22], v[21:22], v[23:24]
	v_cmp_lt_f64_e32 vcc_lo, v[19:20], v[21:22]
	v_cndmask_b32_e32 v1, v1, v16, vcc_lo
	v_cndmask_b32_e32 v0, v0, v15, vcc_lo
	;; [unrolled: 1-line block ×4, first 2 shown]
	v_cndmask_b32_e64 v4, v4, s16, vcc_lo
	s_add_i32 s16, s16, 1
	s_cmp_lg_u32 s57, s16
	s_cbranch_scc1 .LBB122_629
.LBB122_630:
	s_inst_prefetch 0x2
	s_waitcnt lgkmcnt(0)
	v_cmp_eq_f64_e32 vcc_lo, 0, v[0:1]
	v_cmp_eq_f64_e64 s4, 0, v[2:3]
	s_and_b32 s4, vcc_lo, s4
	s_and_saveexec_b32 s16, s4
	s_xor_b32 s4, exec_lo, s16
; %bb.631:
	v_cmp_ne_u32_e32 vcc_lo, 0, v13
	v_cndmask_b32_e32 v13, 26, v13, vcc_lo
; %bb.632:
	s_andn2_saveexec_b32 s4, s4
	s_cbranch_execz .LBB122_638
; %bb.633:
	v_cmp_ngt_f64_e64 s16, |v[0:1]|, |v[2:3]|
	s_and_saveexec_b32 s17, s16
	s_xor_b32 s16, exec_lo, s17
	s_cbranch_execz .LBB122_635
; %bb.634:
	v_div_scale_f64 v[15:16], null, v[2:3], v[2:3], v[0:1]
	v_div_scale_f64 v[21:22], vcc_lo, v[0:1], v[2:3], v[0:1]
	v_rcp_f64_e32 v[17:18], v[15:16]
	v_fma_f64 v[19:20], -v[15:16], v[17:18], 1.0
	v_fma_f64 v[17:18], v[17:18], v[19:20], v[17:18]
	v_fma_f64 v[19:20], -v[15:16], v[17:18], 1.0
	v_fma_f64 v[17:18], v[17:18], v[19:20], v[17:18]
	v_mul_f64 v[19:20], v[21:22], v[17:18]
	v_fma_f64 v[15:16], -v[15:16], v[19:20], v[21:22]
	v_div_fmas_f64 v[15:16], v[15:16], v[17:18], v[19:20]
	v_div_fixup_f64 v[15:16], v[15:16], v[2:3], v[0:1]
	v_fma_f64 v[0:1], v[0:1], v[15:16], v[2:3]
	v_div_scale_f64 v[2:3], null, v[0:1], v[0:1], 1.0
	v_rcp_f64_e32 v[17:18], v[2:3]
	v_fma_f64 v[19:20], -v[2:3], v[17:18], 1.0
	v_fma_f64 v[17:18], v[17:18], v[19:20], v[17:18]
	v_fma_f64 v[19:20], -v[2:3], v[17:18], 1.0
	v_fma_f64 v[17:18], v[17:18], v[19:20], v[17:18]
	v_div_scale_f64 v[19:20], vcc_lo, 1.0, v[0:1], 1.0
	v_mul_f64 v[21:22], v[19:20], v[17:18]
	v_fma_f64 v[2:3], -v[2:3], v[21:22], v[19:20]
	v_div_fmas_f64 v[2:3], v[2:3], v[17:18], v[21:22]
	v_div_fixup_f64 v[2:3], v[2:3], v[0:1], 1.0
	v_mul_f64 v[0:1], v[15:16], v[2:3]
	v_xor_b32_e32 v3, 0x80000000, v3
.LBB122_635:
	s_andn2_saveexec_b32 s16, s16
	s_cbranch_execz .LBB122_637
; %bb.636:
	v_div_scale_f64 v[15:16], null, v[0:1], v[0:1], v[2:3]
	v_div_scale_f64 v[21:22], vcc_lo, v[2:3], v[0:1], v[2:3]
	v_rcp_f64_e32 v[17:18], v[15:16]
	v_fma_f64 v[19:20], -v[15:16], v[17:18], 1.0
	v_fma_f64 v[17:18], v[17:18], v[19:20], v[17:18]
	v_fma_f64 v[19:20], -v[15:16], v[17:18], 1.0
	v_fma_f64 v[17:18], v[17:18], v[19:20], v[17:18]
	v_mul_f64 v[19:20], v[21:22], v[17:18]
	v_fma_f64 v[15:16], -v[15:16], v[19:20], v[21:22]
	v_div_fmas_f64 v[15:16], v[15:16], v[17:18], v[19:20]
	v_div_fixup_f64 v[15:16], v[15:16], v[0:1], v[2:3]
	v_fma_f64 v[0:1], v[2:3], v[15:16], v[0:1]
	v_div_scale_f64 v[2:3], null, v[0:1], v[0:1], 1.0
	v_rcp_f64_e32 v[17:18], v[2:3]
	v_fma_f64 v[19:20], -v[2:3], v[17:18], 1.0
	v_fma_f64 v[17:18], v[17:18], v[19:20], v[17:18]
	v_fma_f64 v[19:20], -v[2:3], v[17:18], 1.0
	v_fma_f64 v[17:18], v[17:18], v[19:20], v[17:18]
	v_div_scale_f64 v[19:20], vcc_lo, 1.0, v[0:1], 1.0
	v_mul_f64 v[21:22], v[19:20], v[17:18]
	v_fma_f64 v[2:3], -v[2:3], v[21:22], v[19:20]
	v_div_fmas_f64 v[2:3], v[2:3], v[17:18], v[21:22]
	v_div_fixup_f64 v[0:1], v[2:3], v[0:1], 1.0
	v_mul_f64 v[2:3], v[15:16], -v[0:1]
.LBB122_637:
	s_or_b32 exec_lo, exec_lo, s16
.LBB122_638:
	s_or_b32 exec_lo, exec_lo, s4
	s_mov_b32 s4, exec_lo
	v_cmpx_ne_u32_e64 v11, v4
	s_xor_b32 s4, exec_lo, s4
	s_cbranch_execz .LBB122_644
; %bb.639:
	s_mov_b32 s16, exec_lo
	v_cmpx_eq_u32_e32 25, v11
	s_cbranch_execz .LBB122_643
; %bb.640:
	v_cmp_ne_u32_e32 vcc_lo, 25, v4
	s_xor_b32 s17, s20, -1
	s_and_b32 s56, s17, vcc_lo
	s_and_saveexec_b32 s17, s56
	s_cbranch_execz .LBB122_642
; %bb.641:
	v_ashrrev_i32_e32 v5, 31, v4
	v_lshlrev_b64 v[10:11], 2, v[4:5]
	v_add_co_u32 v10, vcc_lo, v8, v10
	v_add_co_ci_u32_e64 v11, null, v9, v11, vcc_lo
	s_clause 0x1
	global_load_dword v5, v[10:11], off
	global_load_dword v15, v[8:9], off offset:100
	s_waitcnt vmcnt(1)
	global_store_dword v[8:9], v5, off offset:100
	s_waitcnt vmcnt(0)
	global_store_dword v[10:11], v15, off
.LBB122_642:
	s_or_b32 exec_lo, exec_lo, s17
	v_mov_b32_e32 v11, v4
	v_mov_b32_e32 v5, v4
.LBB122_643:
	s_or_b32 exec_lo, exec_lo, s16
.LBB122_644:
	s_andn2_saveexec_b32 s4, s4
	s_cbranch_execz .LBB122_646
; %bb.645:
	v_mov_b32_e32 v4, s54
	v_mov_b32_e32 v10, s53
	;; [unrolled: 1-line block ×5, first 2 shown]
	s_clause 0x7
	buffer_load_dword v15, v4, s[0:3], 0 offen
	buffer_load_dword v16, v4, s[0:3], 0 offen offset:4
	buffer_load_dword v17, v4, s[0:3], 0 offen offset:8
	buffer_load_dword v18, v4, s[0:3], 0 offen offset:12
	buffer_load_dword v19, v10, s[0:3], 0 offen
	buffer_load_dword v20, v10, s[0:3], 0 offen offset:4
	buffer_load_dword v21, v10, s[0:3], 0 offen offset:8
	buffer_load_dword v22, v10, s[0:3], 0 offen offset:12
	v_mov_b32_e32 v10, s50
	v_mov_b32_e32 v4, s51
	s_clause 0x7
	buffer_load_dword v23, v11, s[0:3], 0 offen
	buffer_load_dword v24, v11, s[0:3], 0 offen offset:4
	buffer_load_dword v25, v11, s[0:3], 0 offen offset:8
	buffer_load_dword v26, v11, s[0:3], 0 offen offset:12
	buffer_load_dword v27, v4, s[0:3], 0 offen
	buffer_load_dword v28, v4, s[0:3], 0 offen offset:4
	buffer_load_dword v29, v4, s[0:3], 0 offen offset:8
	buffer_load_dword v30, v4, s[0:3], 0 offen offset:12
	v_mov_b32_e32 v4, s49
	v_mov_b32_e32 v11, s48
	;; [unrolled: 11-line block ×5, first 2 shown]
	s_clause 0x7
	buffer_load_dword v55, v11, s[0:3], 0 offen
	buffer_load_dword v56, v11, s[0:3], 0 offen offset:4
	buffer_load_dword v57, v11, s[0:3], 0 offen offset:8
	buffer_load_dword v58, v11, s[0:3], 0 offen offset:12
	buffer_load_dword v59, v4, s[0:3], 0 offen
	buffer_load_dword v60, v4, s[0:3], 0 offen offset:4
	buffer_load_dword v61, v4, s[0:3], 0 offen offset:8
	buffer_load_dword v62, v4, s[0:3], 0 offen offset:12
	v_mov_b32_e32 v4, s41
	s_clause 0x7
	buffer_load_dword v63, v10, s[0:3], 0 offen
	buffer_load_dword v64, v10, s[0:3], 0 offen offset:4
	buffer_load_dword v65, v10, s[0:3], 0 offen offset:8
	;; [unrolled: 1-line block ×3, first 2 shown]
	buffer_load_dword v67, v4, s[0:3], 0 offen
	buffer_load_dword v68, v4, s[0:3], 0 offen offset:4
	buffer_load_dword v69, v4, s[0:3], 0 offen offset:8
	;; [unrolled: 1-line block ×3, first 2 shown]
	v_mov_b32_e32 v4, s40
	v_mov_b32_e32 v10, s39
	v_mov_b32_e32 v94, s35
	v_mov_b32_e32 v98, s34
	v_mov_b32_e32 v102, s33
	v_mov_b32_e32 v106, s31
	v_mov_b32_e32 v110, s30
	v_mov_b32_e32 v114, s29
	v_mov_b32_e32 v118, s28
	v_mov_b32_e32 v122, s27
	v_mov_b32_e32 v126, s26
	v_mov_b32_e32 v137, s24
	v_mov_b32_e32 v141, s23
	v_mov_b32_e32 v145, s22
	v_mov_b32_e32 v149, s19
	v_mov_b32_e32 v153, s18
	v_mov_b32_e32 v157, s7
	v_mov_b32_e32 v161, s5
	v_mov_b32_e32 v11, s38
	v_mov_b32_e32 v127, s25
	s_clause 0x3e
	buffer_load_dword v71, v4, s[0:3], 0 offen
	buffer_load_dword v72, v4, s[0:3], 0 offen offset:4
	buffer_load_dword v73, v4, s[0:3], 0 offen offset:8
	buffer_load_dword v74, v4, s[0:3], 0 offen offset:12
	buffer_load_dword v75, v10, s[0:3], 0 offen
	buffer_load_dword v76, v10, s[0:3], 0 offen offset:4
	buffer_load_dword v77, v10, s[0:3], 0 offen offset:8
	buffer_load_dword v78, v10, s[0:3], 0 offen offset:12
	;; [unrolled: 4-line block ×15, first 2 shown]
	buffer_load_dword v134, v137, s[0:3], 0 offen
	buffer_load_dword v135, v137, s[0:3], 0 offen offset:4
	buffer_load_dword v136, v137, s[0:3], 0 offen offset:8
	s_clause 0x18
	buffer_load_dword v137, v137, s[0:3], 0 offen offset:12
	buffer_load_dword v138, v141, s[0:3], 0 offen
	buffer_load_dword v139, v141, s[0:3], 0 offen offset:4
	buffer_load_dword v140, v141, s[0:3], 0 offen offset:8
	buffer_load_dword v141, v141, s[0:3], 0 offen offset:12
	buffer_load_dword v142, v145, s[0:3], 0 offen
	buffer_load_dword v143, v145, s[0:3], 0 offen offset:4
	buffer_load_dword v144, v145, s[0:3], 0 offen offset:8
	;; [unrolled: 4-line block ×6, first 2 shown]
	buffer_load_dword v161, v161, s[0:3], 0 offen offset:12
	v_mov_b32_e32 v11, 25
	s_waitcnt vmcnt(62)
	ds_write2_b64 v12, v[15:16], v[17:18] offset0:52 offset1:53
	ds_write2_b64 v12, v[19:20], v[21:22] offset0:54 offset1:55
	;; [unrolled: 1-line block ×20, first 2 shown]
	s_waitcnt vmcnt(60)
	ds_write2_b64 v12, v[95:96], v[97:98] offset0:92 offset1:93
	s_waitcnt vmcnt(56)
	ds_write2_b64 v12, v[99:100], v[101:102] offset0:94 offset1:95
	;; [unrolled: 2-line block ×16, first 2 shown]
.LBB122_646:
	s_or_b32 exec_lo, exec_lo, s4
	s_mov_b32 s4, exec_lo
	s_waitcnt lgkmcnt(0)
	s_waitcnt_vscnt null, 0x0
	s_barrier
	buffer_gl0_inv
	v_cmpx_lt_i32_e32 25, v11
	s_cbranch_execz .LBB122_649
; %bb.647:
	s_clause 0x3
	buffer_load_dword v15, off, s[0:3], 0 offset:408
	buffer_load_dword v16, off, s[0:3], 0 offset:412
	;; [unrolled: 1-line block ×4, first 2 shown]
	s_movk_i32 s81, 0x1a0
	s_waitcnt vmcnt(2)
	v_mul_f64 v[19:20], v[2:3], v[15:16]
	v_mul_f64 v[15:16], v[0:1], v[15:16]
	s_waitcnt vmcnt(0)
	v_fma_f64 v[0:1], v[0:1], v[17:18], -v[19:20]
	v_fma_f64 v[2:3], v[2:3], v[17:18], v[15:16]
	buffer_store_dword v0, off, s[0:3], 0 offset:400
	buffer_store_dword v1, off, s[0:3], 0 offset:404
	;; [unrolled: 1-line block ×4, first 2 shown]
.LBB122_648:                            ; =>This Inner Loop Header: Depth=1
	s_clause 0x3
	buffer_load_dword v19, off, s[0:3], 0 offset:408
	buffer_load_dword v20, off, s[0:3], 0 offset:412
	;; [unrolled: 1-line block ×4, first 2 shown]
	v_mov_b32_e32 v4, s81
	v_add_nc_u32_e32 v10, s81, v12
	s_addk_i32 s81, 0x60
	s_clause 0x3
	buffer_load_dword v23, v4, s[0:3], 0 offen
	buffer_load_dword v24, v4, s[0:3], 0 offen offset:4
	buffer_load_dword v25, v4, s[0:3], 0 offen offset:8
	buffer_load_dword v26, v4, s[0:3], 0 offen offset:12
	ds_read2_b64 v[0:3], v10 offset1:1
	s_clause 0x3
	buffer_load_dword v27, v4, s[0:3], 0 offen offset:16
	buffer_load_dword v28, v4, s[0:3], 0 offen offset:20
	;; [unrolled: 1-line block ×4, first 2 shown]
	ds_read2_b64 v[15:18], v10 offset0:2 offset1:3
	s_cmpk_lg_i32 s81, 0x3e0
	s_waitcnt vmcnt(10) lgkmcnt(1)
	v_mul_f64 v[31:32], v[2:3], v[19:20]
	v_mul_f64 v[19:20], v[0:1], v[19:20]
	s_waitcnt vmcnt(8)
	v_fma_f64 v[0:1], v[0:1], v[21:22], -v[31:32]
	v_fma_f64 v[2:3], v[2:3], v[21:22], v[19:20]
	s_waitcnt vmcnt(6)
	v_add_f64 v[0:1], v[23:24], -v[0:1]
	s_waitcnt vmcnt(4)
	v_add_f64 v[2:3], v[25:26], -v[2:3]
	buffer_store_dword v1, v4, s[0:3], 0 offen offset:4
	buffer_store_dword v0, v4, s[0:3], 0 offen
	buffer_store_dword v3, v4, s[0:3], 0 offen offset:12
	buffer_store_dword v2, v4, s[0:3], 0 offen offset:8
	s_clause 0x3
	buffer_load_dword v1, off, s[0:3], 0 offset:412
	buffer_load_dword v0, off, s[0:3], 0 offset:408
	;; [unrolled: 1-line block ×4, first 2 shown]
	s_waitcnt vmcnt(2) lgkmcnt(0)
	v_mul_f64 v[19:20], v[17:18], v[0:1]
	v_mul_f64 v[0:1], v[15:16], v[0:1]
	s_waitcnt vmcnt(0)
	v_fma_f64 v[15:16], v[15:16], v[2:3], -v[19:20]
	v_fma_f64 v[0:1], v[17:18], v[2:3], v[0:1]
	s_clause 0x3
	buffer_load_dword v19, v4, s[0:3], 0 offen offset:32
	buffer_load_dword v20, v4, s[0:3], 0 offen offset:36
	;; [unrolled: 1-line block ×4, first 2 shown]
	v_add_f64 v[2:3], v[27:28], -v[15:16]
	v_add_f64 v[0:1], v[29:30], -v[0:1]
	buffer_store_dword v3, v4, s[0:3], 0 offen offset:20
	buffer_store_dword v2, v4, s[0:3], 0 offen offset:16
	;; [unrolled: 1-line block ×4, first 2 shown]
	s_clause 0x3
	buffer_load_dword v23, off, s[0:3], 0 offset:408
	buffer_load_dword v24, off, s[0:3], 0 offset:412
	;; [unrolled: 1-line block ×4, first 2 shown]
	ds_read2_b64 v[0:3], v10 offset0:4 offset1:5
	ds_read2_b64 v[15:18], v10 offset0:6 offset1:7
	s_waitcnt vmcnt(2) lgkmcnt(1)
	v_mul_f64 v[27:28], v[2:3], v[23:24]
	v_mul_f64 v[23:24], v[0:1], v[23:24]
	s_waitcnt vmcnt(0)
	v_fma_f64 v[0:1], v[0:1], v[25:26], -v[27:28]
	v_fma_f64 v[2:3], v[2:3], v[25:26], v[23:24]
	v_add_f64 v[0:1], v[19:20], -v[0:1]
	v_add_f64 v[2:3], v[21:22], -v[2:3]
	buffer_store_dword v1, v4, s[0:3], 0 offen offset:36
	buffer_store_dword v0, v4, s[0:3], 0 offen offset:32
	;; [unrolled: 1-line block ×4, first 2 shown]
	s_clause 0x7
	buffer_load_dword v0, off, s[0:3], 0 offset:408
	buffer_load_dword v1, off, s[0:3], 0 offset:412
	;; [unrolled: 1-line block ×4, first 2 shown]
	buffer_load_dword v19, v4, s[0:3], 0 offen offset:48
	buffer_load_dword v20, v4, s[0:3], 0 offen offset:52
	;; [unrolled: 1-line block ×4, first 2 shown]
	s_waitcnt vmcnt(6) lgkmcnt(0)
	v_mul_f64 v[23:24], v[17:18], v[0:1]
	v_mul_f64 v[0:1], v[15:16], v[0:1]
	s_waitcnt vmcnt(4)
	v_fma_f64 v[15:16], v[15:16], v[2:3], -v[23:24]
	v_fma_f64 v[0:1], v[17:18], v[2:3], v[0:1]
	s_waitcnt vmcnt(2)
	v_add_f64 v[2:3], v[19:20], -v[15:16]
	s_waitcnt vmcnt(0)
	v_add_f64 v[0:1], v[21:22], -v[0:1]
	buffer_store_dword v3, v4, s[0:3], 0 offen offset:52
	buffer_store_dword v2, v4, s[0:3], 0 offen offset:48
	;; [unrolled: 1-line block ×4, first 2 shown]
	s_clause 0x7
	buffer_load_dword v19, off, s[0:3], 0 offset:408
	buffer_load_dword v20, off, s[0:3], 0 offset:412
	;; [unrolled: 1-line block ×4, first 2 shown]
	buffer_load_dword v23, v4, s[0:3], 0 offen offset:64
	buffer_load_dword v24, v4, s[0:3], 0 offen offset:68
	;; [unrolled: 1-line block ×4, first 2 shown]
	ds_read2_b64 v[0:3], v10 offset0:8 offset1:9
	ds_read2_b64 v[15:18], v10 offset0:10 offset1:11
	s_waitcnt vmcnt(6) lgkmcnt(1)
	v_mul_f64 v[27:28], v[2:3], v[19:20]
	v_mul_f64 v[19:20], v[0:1], v[19:20]
	s_waitcnt vmcnt(4)
	v_fma_f64 v[0:1], v[0:1], v[21:22], -v[27:28]
	v_fma_f64 v[2:3], v[2:3], v[21:22], v[19:20]
	s_waitcnt vmcnt(2)
	v_add_f64 v[0:1], v[23:24], -v[0:1]
	s_waitcnt vmcnt(0)
	v_add_f64 v[2:3], v[25:26], -v[2:3]
	buffer_store_dword v1, v4, s[0:3], 0 offen offset:68
	buffer_store_dword v0, v4, s[0:3], 0 offen offset:64
	;; [unrolled: 1-line block ×4, first 2 shown]
	s_clause 0x7
	buffer_load_dword v0, off, s[0:3], 0 offset:408
	buffer_load_dword v1, off, s[0:3], 0 offset:412
	;; [unrolled: 1-line block ×4, first 2 shown]
	buffer_load_dword v19, v4, s[0:3], 0 offen offset:80
	buffer_load_dword v20, v4, s[0:3], 0 offen offset:84
	;; [unrolled: 1-line block ×4, first 2 shown]
	s_waitcnt vmcnt(6) lgkmcnt(0)
	v_mul_f64 v[23:24], v[17:18], v[0:1]
	v_mul_f64 v[0:1], v[15:16], v[0:1]
	s_waitcnt vmcnt(4)
	v_fma_f64 v[15:16], v[15:16], v[2:3], -v[23:24]
	v_fma_f64 v[0:1], v[17:18], v[2:3], v[0:1]
	s_waitcnt vmcnt(2)
	v_add_f64 v[2:3], v[19:20], -v[15:16]
	s_waitcnt vmcnt(0)
	v_add_f64 v[0:1], v[21:22], -v[0:1]
	buffer_store_dword v3, v4, s[0:3], 0 offen offset:84
	buffer_store_dword v2, v4, s[0:3], 0 offen offset:80
	;; [unrolled: 1-line block ×4, first 2 shown]
	s_cbranch_scc1 .LBB122_648
.LBB122_649:
	s_or_b32 exec_lo, exec_lo, s4
	v_mov_b32_e32 v3, s54
	s_waitcnt_vscnt null, 0x0
	s_barrier
	buffer_gl0_inv
	v_lshl_add_u32 v4, v11, 4, v12
	s_clause 0x3
	buffer_load_dword v0, v3, s[0:3], 0 offen
	buffer_load_dword v1, v3, s[0:3], 0 offen offset:4
	buffer_load_dword v2, v3, s[0:3], 0 offen offset:8
	;; [unrolled: 1-line block ×3, first 2 shown]
	s_cmp_lt_i32 s57, 28
	s_waitcnt vmcnt(0)
	ds_write2_b64 v4, v[0:1], v[2:3] offset1:1
	s_waitcnt lgkmcnt(0)
	s_barrier
	buffer_gl0_inv
	ds_read2_b64 v[0:3], v12 offset0:52 offset1:53
	v_mov_b32_e32 v4, 26
	s_cbranch_scc1 .LBB122_652
; %bb.650:
	v_add3_u32 v10, v14, 0, 0x1b0
	v_mov_b32_e32 v4, 26
	s_mov_b32 s16, 27
	s_inst_prefetch 0x1
	.p2align	6
.LBB122_651:                            ; =>This Inner Loop Header: Depth=1
	s_waitcnt lgkmcnt(0)
	v_cmp_gt_f64_e32 vcc_lo, 0, v[2:3]
	v_cmp_gt_f64_e64 s4, 0, v[0:1]
	ds_read2_b64 v[15:18], v10 offset1:1
	v_xor_b32_e32 v20, 0x80000000, v1
	v_xor_b32_e32 v22, 0x80000000, v3
	v_mov_b32_e32 v19, v0
	v_mov_b32_e32 v21, v2
	v_add_nc_u32_e32 v10, 16, v10
	s_waitcnt lgkmcnt(0)
	v_xor_b32_e32 v24, 0x80000000, v18
	v_cndmask_b32_e64 v20, v1, v20, s4
	v_cndmask_b32_e32 v22, v3, v22, vcc_lo
	v_cmp_gt_f64_e32 vcc_lo, 0, v[17:18]
	v_cmp_gt_f64_e64 s4, 0, v[15:16]
	v_mov_b32_e32 v23, v17
	v_add_f64 v[19:20], v[19:20], v[21:22]
	v_xor_b32_e32 v22, 0x80000000, v16
	v_mov_b32_e32 v21, v15
	v_cndmask_b32_e32 v24, v18, v24, vcc_lo
	v_cndmask_b32_e64 v22, v16, v22, s4
	v_add_f64 v[21:22], v[21:22], v[23:24]
	v_cmp_lt_f64_e32 vcc_lo, v[19:20], v[21:22]
	v_cndmask_b32_e32 v1, v1, v16, vcc_lo
	v_cndmask_b32_e32 v0, v0, v15, vcc_lo
	;; [unrolled: 1-line block ×4, first 2 shown]
	v_cndmask_b32_e64 v4, v4, s16, vcc_lo
	s_add_i32 s16, s16, 1
	s_cmp_lg_u32 s57, s16
	s_cbranch_scc1 .LBB122_651
.LBB122_652:
	s_inst_prefetch 0x2
	s_waitcnt lgkmcnt(0)
	v_cmp_eq_f64_e32 vcc_lo, 0, v[0:1]
	v_cmp_eq_f64_e64 s4, 0, v[2:3]
	s_and_b32 s4, vcc_lo, s4
	s_and_saveexec_b32 s16, s4
	s_xor_b32 s4, exec_lo, s16
; %bb.653:
	v_cmp_ne_u32_e32 vcc_lo, 0, v13
	v_cndmask_b32_e32 v13, 27, v13, vcc_lo
; %bb.654:
	s_andn2_saveexec_b32 s4, s4
	s_cbranch_execz .LBB122_660
; %bb.655:
	v_cmp_ngt_f64_e64 s16, |v[0:1]|, |v[2:3]|
	s_and_saveexec_b32 s17, s16
	s_xor_b32 s16, exec_lo, s17
	s_cbranch_execz .LBB122_657
; %bb.656:
	v_div_scale_f64 v[15:16], null, v[2:3], v[2:3], v[0:1]
	v_div_scale_f64 v[21:22], vcc_lo, v[0:1], v[2:3], v[0:1]
	v_rcp_f64_e32 v[17:18], v[15:16]
	v_fma_f64 v[19:20], -v[15:16], v[17:18], 1.0
	v_fma_f64 v[17:18], v[17:18], v[19:20], v[17:18]
	v_fma_f64 v[19:20], -v[15:16], v[17:18], 1.0
	v_fma_f64 v[17:18], v[17:18], v[19:20], v[17:18]
	v_mul_f64 v[19:20], v[21:22], v[17:18]
	v_fma_f64 v[15:16], -v[15:16], v[19:20], v[21:22]
	v_div_fmas_f64 v[15:16], v[15:16], v[17:18], v[19:20]
	v_div_fixup_f64 v[15:16], v[15:16], v[2:3], v[0:1]
	v_fma_f64 v[0:1], v[0:1], v[15:16], v[2:3]
	v_div_scale_f64 v[2:3], null, v[0:1], v[0:1], 1.0
	v_rcp_f64_e32 v[17:18], v[2:3]
	v_fma_f64 v[19:20], -v[2:3], v[17:18], 1.0
	v_fma_f64 v[17:18], v[17:18], v[19:20], v[17:18]
	v_fma_f64 v[19:20], -v[2:3], v[17:18], 1.0
	v_fma_f64 v[17:18], v[17:18], v[19:20], v[17:18]
	v_div_scale_f64 v[19:20], vcc_lo, 1.0, v[0:1], 1.0
	v_mul_f64 v[21:22], v[19:20], v[17:18]
	v_fma_f64 v[2:3], -v[2:3], v[21:22], v[19:20]
	v_div_fmas_f64 v[2:3], v[2:3], v[17:18], v[21:22]
	v_div_fixup_f64 v[2:3], v[2:3], v[0:1], 1.0
	v_mul_f64 v[0:1], v[15:16], v[2:3]
	v_xor_b32_e32 v3, 0x80000000, v3
.LBB122_657:
	s_andn2_saveexec_b32 s16, s16
	s_cbranch_execz .LBB122_659
; %bb.658:
	v_div_scale_f64 v[15:16], null, v[0:1], v[0:1], v[2:3]
	v_div_scale_f64 v[21:22], vcc_lo, v[2:3], v[0:1], v[2:3]
	v_rcp_f64_e32 v[17:18], v[15:16]
	v_fma_f64 v[19:20], -v[15:16], v[17:18], 1.0
	v_fma_f64 v[17:18], v[17:18], v[19:20], v[17:18]
	v_fma_f64 v[19:20], -v[15:16], v[17:18], 1.0
	v_fma_f64 v[17:18], v[17:18], v[19:20], v[17:18]
	v_mul_f64 v[19:20], v[21:22], v[17:18]
	v_fma_f64 v[15:16], -v[15:16], v[19:20], v[21:22]
	v_div_fmas_f64 v[15:16], v[15:16], v[17:18], v[19:20]
	v_div_fixup_f64 v[15:16], v[15:16], v[0:1], v[2:3]
	v_fma_f64 v[0:1], v[2:3], v[15:16], v[0:1]
	v_div_scale_f64 v[2:3], null, v[0:1], v[0:1], 1.0
	v_rcp_f64_e32 v[17:18], v[2:3]
	v_fma_f64 v[19:20], -v[2:3], v[17:18], 1.0
	v_fma_f64 v[17:18], v[17:18], v[19:20], v[17:18]
	v_fma_f64 v[19:20], -v[2:3], v[17:18], 1.0
	v_fma_f64 v[17:18], v[17:18], v[19:20], v[17:18]
	v_div_scale_f64 v[19:20], vcc_lo, 1.0, v[0:1], 1.0
	v_mul_f64 v[21:22], v[19:20], v[17:18]
	v_fma_f64 v[2:3], -v[2:3], v[21:22], v[19:20]
	v_div_fmas_f64 v[2:3], v[2:3], v[17:18], v[21:22]
	v_div_fixup_f64 v[0:1], v[2:3], v[0:1], 1.0
	v_mul_f64 v[2:3], v[15:16], -v[0:1]
.LBB122_659:
	s_or_b32 exec_lo, exec_lo, s16
.LBB122_660:
	s_or_b32 exec_lo, exec_lo, s4
	s_mov_b32 s4, exec_lo
	v_cmpx_ne_u32_e64 v11, v4
	s_xor_b32 s4, exec_lo, s4
	s_cbranch_execz .LBB122_666
; %bb.661:
	s_mov_b32 s16, exec_lo
	v_cmpx_eq_u32_e32 26, v11
	s_cbranch_execz .LBB122_665
; %bb.662:
	v_cmp_ne_u32_e32 vcc_lo, 26, v4
	s_xor_b32 s17, s20, -1
	s_and_b32 s56, s17, vcc_lo
	s_and_saveexec_b32 s17, s56
	s_cbranch_execz .LBB122_664
; %bb.663:
	v_ashrrev_i32_e32 v5, 31, v4
	v_lshlrev_b64 v[10:11], 2, v[4:5]
	v_add_co_u32 v10, vcc_lo, v8, v10
	v_add_co_ci_u32_e64 v11, null, v9, v11, vcc_lo
	s_clause 0x1
	global_load_dword v5, v[10:11], off
	global_load_dword v15, v[8:9], off offset:104
	s_waitcnt vmcnt(1)
	global_store_dword v[8:9], v5, off offset:104
	s_waitcnt vmcnt(0)
	global_store_dword v[10:11], v15, off
.LBB122_664:
	s_or_b32 exec_lo, exec_lo, s17
	v_mov_b32_e32 v11, v4
	v_mov_b32_e32 v5, v4
.LBB122_665:
	s_or_b32 exec_lo, exec_lo, s16
.LBB122_666:
	s_andn2_saveexec_b32 s4, s4
	s_cbranch_execz .LBB122_668
; %bb.667:
	v_mov_b32_e32 v4, s53
	v_mov_b32_e32 v11, s51
	;; [unrolled: 1-line block ×5, first 2 shown]
	s_clause 0x7
	buffer_load_dword v15, v4, s[0:3], 0 offen
	buffer_load_dword v16, v4, s[0:3], 0 offen offset:4
	buffer_load_dword v17, v4, s[0:3], 0 offen offset:8
	;; [unrolled: 1-line block ×3, first 2 shown]
	buffer_load_dword v19, v10, s[0:3], 0 offen
	buffer_load_dword v20, v10, s[0:3], 0 offen offset:4
	buffer_load_dword v21, v10, s[0:3], 0 offen offset:8
	;; [unrolled: 1-line block ×3, first 2 shown]
	v_mov_b32_e32 v4, s50
	v_mov_b32_e32 v10, s49
	s_clause 0x7
	buffer_load_dword v23, v11, s[0:3], 0 offen
	buffer_load_dword v24, v11, s[0:3], 0 offen offset:4
	buffer_load_dword v25, v11, s[0:3], 0 offen offset:8
	;; [unrolled: 1-line block ×3, first 2 shown]
	buffer_load_dword v27, v4, s[0:3], 0 offen
	buffer_load_dword v28, v4, s[0:3], 0 offen offset:4
	buffer_load_dword v29, v4, s[0:3], 0 offen offset:8
	;; [unrolled: 1-line block ×3, first 2 shown]
	v_mov_b32_e32 v11, s47
	v_mov_b32_e32 v4, s48
	s_clause 0x7
	buffer_load_dword v31, v10, s[0:3], 0 offen
	buffer_load_dword v32, v10, s[0:3], 0 offen offset:4
	buffer_load_dword v33, v10, s[0:3], 0 offen offset:8
	;; [unrolled: 1-line block ×3, first 2 shown]
	buffer_load_dword v35, v4, s[0:3], 0 offen
	buffer_load_dword v36, v4, s[0:3], 0 offen offset:4
	buffer_load_dword v37, v4, s[0:3], 0 offen offset:8
	;; [unrolled: 1-line block ×3, first 2 shown]
	v_mov_b32_e32 v4, s46
	s_clause 0x7
	buffer_load_dword v39, v11, s[0:3], 0 offen
	buffer_load_dword v40, v11, s[0:3], 0 offen offset:4
	buffer_load_dword v41, v11, s[0:3], 0 offen offset:8
	;; [unrolled: 1-line block ×3, first 2 shown]
	buffer_load_dword v43, v4, s[0:3], 0 offen
	buffer_load_dword v44, v4, s[0:3], 0 offen offset:4
	buffer_load_dword v45, v4, s[0:3], 0 offen offset:8
	;; [unrolled: 1-line block ×3, first 2 shown]
	v_mov_b32_e32 v4, s45
	v_mov_b32_e32 v10, s44
	v_mov_b32_e32 v66, s41
	v_mov_b32_e32 v70, s40
	v_mov_b32_e32 v74, s39
	v_mov_b32_e32 v78, s38
	v_mov_b32_e32 v82, s37
	v_mov_b32_e32 v86, s36
	v_mov_b32_e32 v90, s35
	v_mov_b32_e32 v94, s34
	v_mov_b32_e32 v98, s33
	v_mov_b32_e32 v102, s31
	v_mov_b32_e32 v106, s30
	v_mov_b32_e32 v110, s29
	v_mov_b32_e32 v114, s28
	v_mov_b32_e32 v118, s27
	v_mov_b32_e32 v122, s26
	v_mov_b32_e32 v126, s25
	v_mov_b32_e32 v137, s23
	v_mov_b32_e32 v141, s22
	v_mov_b32_e32 v145, s19
	v_mov_b32_e32 v153, s7
	v_mov_b32_e32 v11, s43
	v_mov_b32_e32 v127, s24
	s_clause 0x3e
	buffer_load_dword v47, v4, s[0:3], 0 offen
	buffer_load_dword v48, v4, s[0:3], 0 offen offset:4
	buffer_load_dword v49, v4, s[0:3], 0 offen offset:8
	buffer_load_dword v50, v4, s[0:3], 0 offen offset:12
	buffer_load_dword v51, v10, s[0:3], 0 offen
	buffer_load_dword v52, v10, s[0:3], 0 offen offset:4
	buffer_load_dword v53, v10, s[0:3], 0 offen offset:8
	buffer_load_dword v54, v10, s[0:3], 0 offen offset:12
	;; [unrolled: 4-line block ×15, first 2 shown]
	buffer_load_dword v107, v110, s[0:3], 0 offen
	buffer_load_dword v108, v110, s[0:3], 0 offen offset:4
	buffer_load_dword v109, v110, s[0:3], 0 offen offset:8
	s_clause 0x20
	buffer_load_dword v110, v110, s[0:3], 0 offen offset:12
	buffer_load_dword v111, v114, s[0:3], 0 offen
	buffer_load_dword v112, v114, s[0:3], 0 offen offset:4
	buffer_load_dword v113, v114, s[0:3], 0 offen offset:8
	buffer_load_dword v114, v114, s[0:3], 0 offen offset:12
	buffer_load_dword v115, v118, s[0:3], 0 offen
	buffer_load_dword v116, v118, s[0:3], 0 offen offset:4
	buffer_load_dword v117, v118, s[0:3], 0 offen offset:8
	;; [unrolled: 4-line block ×8, first 2 shown]
	buffer_load_dword v145, v145, s[0:3], 0 offen offset:12
	v_mov_b32_e32 v4, s5
	s_clause 0xb
	buffer_load_dword v146, v149, s[0:3], 0 offen
	buffer_load_dword v147, v149, s[0:3], 0 offen offset:4
	buffer_load_dword v148, v149, s[0:3], 0 offen offset:8
	buffer_load_dword v149, v149, s[0:3], 0 offen offset:12
	buffer_load_dword v150, v153, s[0:3], 0 offen
	buffer_load_dword v151, v153, s[0:3], 0 offen offset:4
	buffer_load_dword v152, v153, s[0:3], 0 offen offset:8
	buffer_load_dword v153, v153, s[0:3], 0 offen offset:12
	buffer_load_dword v154, v4, s[0:3], 0 offen
	buffer_load_dword v155, v4, s[0:3], 0 offen offset:4
	buffer_load_dword v156, v4, s[0:3], 0 offen offset:8
	buffer_load_dword v157, v4, s[0:3], 0 offen offset:12
	v_mov_b32_e32 v11, 26
	s_waitcnt vmcnt(62)
	ds_write2_b64 v12, v[15:16], v[17:18] offset0:54 offset1:55
	ds_write2_b64 v12, v[19:20], v[21:22] offset0:56 offset1:57
	;; [unrolled: 1-line block ×19, first 2 shown]
	s_waitcnt vmcnt(60)
	ds_write2_b64 v12, v[91:92], v[93:94] offset0:92 offset1:93
	s_waitcnt vmcnt(56)
	ds_write2_b64 v12, v[95:96], v[97:98] offset0:94 offset1:95
	;; [unrolled: 2-line block ×16, first 2 shown]
.LBB122_668:
	s_or_b32 exec_lo, exec_lo, s4
	s_mov_b32 s4, exec_lo
	s_waitcnt lgkmcnt(0)
	s_waitcnt_vscnt null, 0x0
	s_barrier
	buffer_gl0_inv
	v_cmpx_lt_i32_e32 26, v11
	s_cbranch_execz .LBB122_671
; %bb.669:
	s_clause 0x3
	buffer_load_dword v15, off, s[0:3], 0 offset:424
	buffer_load_dword v16, off, s[0:3], 0 offset:428
	;; [unrolled: 1-line block ×4, first 2 shown]
	s_movk_i32 s81, 0x1b0
	s_waitcnt vmcnt(2)
	v_mul_f64 v[19:20], v[2:3], v[15:16]
	v_mul_f64 v[15:16], v[0:1], v[15:16]
	s_waitcnt vmcnt(0)
	v_fma_f64 v[0:1], v[0:1], v[17:18], -v[19:20]
	v_fma_f64 v[2:3], v[2:3], v[17:18], v[15:16]
	buffer_store_dword v0, off, s[0:3], 0 offset:416
	buffer_store_dword v1, off, s[0:3], 0 offset:420
	;; [unrolled: 1-line block ×4, first 2 shown]
.LBB122_670:                            ; =>This Inner Loop Header: Depth=1
	s_clause 0x3
	buffer_load_dword v19, off, s[0:3], 0 offset:424
	buffer_load_dword v20, off, s[0:3], 0 offset:428
	;; [unrolled: 1-line block ×4, first 2 shown]
	v_mov_b32_e32 v4, s81
	v_add_nc_u32_e32 v10, s81, v12
	s_addk_i32 s81, 0x70
	s_clause 0x3
	buffer_load_dword v23, v4, s[0:3], 0 offen
	buffer_load_dword v24, v4, s[0:3], 0 offen offset:4
	buffer_load_dword v25, v4, s[0:3], 0 offen offset:8
	buffer_load_dword v26, v4, s[0:3], 0 offen offset:12
	ds_read2_b64 v[0:3], v10 offset1:1
	s_clause 0x3
	buffer_load_dword v27, v4, s[0:3], 0 offen offset:16
	buffer_load_dword v28, v4, s[0:3], 0 offen offset:20
	;; [unrolled: 1-line block ×4, first 2 shown]
	ds_read2_b64 v[15:18], v10 offset0:2 offset1:3
	s_cmpk_lg_i32 s81, 0x3e0
	s_waitcnt vmcnt(10) lgkmcnt(1)
	v_mul_f64 v[31:32], v[2:3], v[19:20]
	v_mul_f64 v[19:20], v[0:1], v[19:20]
	s_waitcnt vmcnt(8)
	v_fma_f64 v[0:1], v[0:1], v[21:22], -v[31:32]
	v_fma_f64 v[2:3], v[2:3], v[21:22], v[19:20]
	s_waitcnt vmcnt(6)
	v_add_f64 v[0:1], v[23:24], -v[0:1]
	s_waitcnt vmcnt(4)
	v_add_f64 v[2:3], v[25:26], -v[2:3]
	buffer_store_dword v1, v4, s[0:3], 0 offen offset:4
	buffer_store_dword v0, v4, s[0:3], 0 offen
	buffer_store_dword v3, v4, s[0:3], 0 offen offset:12
	buffer_store_dword v2, v4, s[0:3], 0 offen offset:8
	s_clause 0x7
	buffer_load_dword v1, off, s[0:3], 0 offset:428
	buffer_load_dword v0, off, s[0:3], 0 offset:424
	;; [unrolled: 1-line block ×4, first 2 shown]
	buffer_load_dword v19, v4, s[0:3], 0 offen offset:32
	buffer_load_dword v20, v4, s[0:3], 0 offen offset:36
	;; [unrolled: 1-line block ×4, first 2 shown]
	s_waitcnt vmcnt(6) lgkmcnt(0)
	v_mul_f64 v[23:24], v[17:18], v[0:1]
	v_mul_f64 v[0:1], v[15:16], v[0:1]
	s_waitcnt vmcnt(4)
	v_fma_f64 v[15:16], v[15:16], v[2:3], -v[23:24]
	v_fma_f64 v[0:1], v[17:18], v[2:3], v[0:1]
	v_add_f64 v[2:3], v[27:28], -v[15:16]
	v_add_f64 v[0:1], v[29:30], -v[0:1]
	buffer_store_dword v3, v4, s[0:3], 0 offen offset:20
	buffer_store_dword v2, v4, s[0:3], 0 offen offset:16
	;; [unrolled: 1-line block ×4, first 2 shown]
	s_clause 0x3
	buffer_load_dword v23, off, s[0:3], 0 offset:424
	buffer_load_dword v24, off, s[0:3], 0 offset:428
	;; [unrolled: 1-line block ×4, first 2 shown]
	ds_read2_b64 v[0:3], v10 offset0:4 offset1:5
	ds_read2_b64 v[15:18], v10 offset0:6 offset1:7
	s_waitcnt vmcnt(2) lgkmcnt(1)
	v_mul_f64 v[27:28], v[2:3], v[23:24]
	v_mul_f64 v[23:24], v[0:1], v[23:24]
	s_waitcnt vmcnt(0)
	v_fma_f64 v[0:1], v[0:1], v[25:26], -v[27:28]
	v_fma_f64 v[2:3], v[2:3], v[25:26], v[23:24]
	v_add_f64 v[0:1], v[19:20], -v[0:1]
	v_add_f64 v[2:3], v[21:22], -v[2:3]
	buffer_store_dword v1, v4, s[0:3], 0 offen offset:36
	buffer_store_dword v0, v4, s[0:3], 0 offen offset:32
	buffer_store_dword v3, v4, s[0:3], 0 offen offset:44
	buffer_store_dword v2, v4, s[0:3], 0 offen offset:40
	s_clause 0x7
	buffer_load_dword v0, off, s[0:3], 0 offset:424
	buffer_load_dword v1, off, s[0:3], 0 offset:428
	;; [unrolled: 1-line block ×4, first 2 shown]
	buffer_load_dword v19, v4, s[0:3], 0 offen offset:48
	buffer_load_dword v20, v4, s[0:3], 0 offen offset:52
	;; [unrolled: 1-line block ×4, first 2 shown]
	s_waitcnt vmcnt(6) lgkmcnt(0)
	v_mul_f64 v[23:24], v[17:18], v[0:1]
	v_mul_f64 v[0:1], v[15:16], v[0:1]
	s_waitcnt vmcnt(4)
	v_fma_f64 v[15:16], v[15:16], v[2:3], -v[23:24]
	v_fma_f64 v[0:1], v[17:18], v[2:3], v[0:1]
	s_waitcnt vmcnt(2)
	v_add_f64 v[2:3], v[19:20], -v[15:16]
	s_waitcnt vmcnt(0)
	v_add_f64 v[0:1], v[21:22], -v[0:1]
	buffer_store_dword v3, v4, s[0:3], 0 offen offset:52
	buffer_store_dword v2, v4, s[0:3], 0 offen offset:48
	;; [unrolled: 1-line block ×4, first 2 shown]
	s_clause 0x7
	buffer_load_dword v19, off, s[0:3], 0 offset:424
	buffer_load_dword v20, off, s[0:3], 0 offset:428
	;; [unrolled: 1-line block ×4, first 2 shown]
	buffer_load_dword v23, v4, s[0:3], 0 offen offset:64
	buffer_load_dword v24, v4, s[0:3], 0 offen offset:68
	;; [unrolled: 1-line block ×4, first 2 shown]
	ds_read2_b64 v[0:3], v10 offset0:8 offset1:9
	ds_read2_b64 v[15:18], v10 offset0:10 offset1:11
	s_waitcnt vmcnt(6) lgkmcnt(1)
	v_mul_f64 v[27:28], v[2:3], v[19:20]
	v_mul_f64 v[19:20], v[0:1], v[19:20]
	s_waitcnt vmcnt(4)
	v_fma_f64 v[0:1], v[0:1], v[21:22], -v[27:28]
	v_fma_f64 v[2:3], v[2:3], v[21:22], v[19:20]
	s_waitcnt vmcnt(2)
	v_add_f64 v[0:1], v[23:24], -v[0:1]
	s_waitcnt vmcnt(0)
	v_add_f64 v[2:3], v[25:26], -v[2:3]
	buffer_store_dword v1, v4, s[0:3], 0 offen offset:68
	buffer_store_dword v0, v4, s[0:3], 0 offen offset:64
	;; [unrolled: 1-line block ×4, first 2 shown]
	s_clause 0x7
	buffer_load_dword v0, off, s[0:3], 0 offset:424
	buffer_load_dword v1, off, s[0:3], 0 offset:428
	;; [unrolled: 1-line block ×4, first 2 shown]
	buffer_load_dword v19, v4, s[0:3], 0 offen offset:80
	buffer_load_dword v20, v4, s[0:3], 0 offen offset:84
	;; [unrolled: 1-line block ×4, first 2 shown]
	s_waitcnt vmcnt(6) lgkmcnt(0)
	v_mul_f64 v[23:24], v[17:18], v[0:1]
	v_mul_f64 v[0:1], v[15:16], v[0:1]
	s_waitcnt vmcnt(4)
	v_fma_f64 v[15:16], v[15:16], v[2:3], -v[23:24]
	v_fma_f64 v[0:1], v[17:18], v[2:3], v[0:1]
	s_waitcnt vmcnt(2)
	v_add_f64 v[2:3], v[19:20], -v[15:16]
	s_waitcnt vmcnt(0)
	v_add_f64 v[0:1], v[21:22], -v[0:1]
	buffer_store_dword v3, v4, s[0:3], 0 offen offset:84
	buffer_store_dword v2, v4, s[0:3], 0 offen offset:80
	;; [unrolled: 1-line block ×4, first 2 shown]
	s_clause 0x7
	buffer_load_dword v15, off, s[0:3], 0 offset:424
	buffer_load_dword v16, off, s[0:3], 0 offset:428
	;; [unrolled: 1-line block ×4, first 2 shown]
	buffer_load_dword v19, v4, s[0:3], 0 offen offset:96
	buffer_load_dword v20, v4, s[0:3], 0 offen offset:100
	;; [unrolled: 1-line block ×4, first 2 shown]
	ds_read2_b64 v[0:3], v10 offset0:12 offset1:13
	s_waitcnt vmcnt(6) lgkmcnt(0)
	v_mul_f64 v[23:24], v[2:3], v[15:16]
	v_mul_f64 v[15:16], v[0:1], v[15:16]
	s_waitcnt vmcnt(4)
	v_fma_f64 v[0:1], v[0:1], v[17:18], -v[23:24]
	v_fma_f64 v[2:3], v[2:3], v[17:18], v[15:16]
	s_waitcnt vmcnt(2)
	v_add_f64 v[0:1], v[19:20], -v[0:1]
	s_waitcnt vmcnt(0)
	v_add_f64 v[2:3], v[21:22], -v[2:3]
	buffer_store_dword v1, v4, s[0:3], 0 offen offset:100
	buffer_store_dword v0, v4, s[0:3], 0 offen offset:96
	;; [unrolled: 1-line block ×4, first 2 shown]
	s_cbranch_scc1 .LBB122_670
.LBB122_671:
	s_or_b32 exec_lo, exec_lo, s4
	v_mov_b32_e32 v3, s53
	s_waitcnt_vscnt null, 0x0
	s_barrier
	buffer_gl0_inv
	v_lshl_add_u32 v4, v11, 4, v12
	s_clause 0x3
	buffer_load_dword v0, v3, s[0:3], 0 offen
	buffer_load_dword v1, v3, s[0:3], 0 offen offset:4
	buffer_load_dword v2, v3, s[0:3], 0 offen offset:8
	;; [unrolled: 1-line block ×3, first 2 shown]
	s_cmp_lt_i32 s57, 29
	s_waitcnt vmcnt(0)
	ds_write2_b64 v4, v[0:1], v[2:3] offset1:1
	s_waitcnt lgkmcnt(0)
	s_barrier
	buffer_gl0_inv
	ds_read2_b64 v[0:3], v12 offset0:54 offset1:55
	v_mov_b32_e32 v4, 27
	s_cbranch_scc1 .LBB122_674
; %bb.672:
	v_add3_u32 v10, v14, 0, 0x1c0
	v_mov_b32_e32 v4, 27
	s_mov_b32 s16, 28
	s_inst_prefetch 0x1
	.p2align	6
.LBB122_673:                            ; =>This Inner Loop Header: Depth=1
	s_waitcnt lgkmcnt(0)
	v_cmp_gt_f64_e32 vcc_lo, 0, v[2:3]
	v_cmp_gt_f64_e64 s4, 0, v[0:1]
	ds_read2_b64 v[15:18], v10 offset1:1
	v_xor_b32_e32 v20, 0x80000000, v1
	v_xor_b32_e32 v22, 0x80000000, v3
	v_mov_b32_e32 v19, v0
	v_mov_b32_e32 v21, v2
	v_add_nc_u32_e32 v10, 16, v10
	s_waitcnt lgkmcnt(0)
	v_xor_b32_e32 v24, 0x80000000, v18
	v_cndmask_b32_e64 v20, v1, v20, s4
	v_cndmask_b32_e32 v22, v3, v22, vcc_lo
	v_cmp_gt_f64_e32 vcc_lo, 0, v[17:18]
	v_cmp_gt_f64_e64 s4, 0, v[15:16]
	v_mov_b32_e32 v23, v17
	v_add_f64 v[19:20], v[19:20], v[21:22]
	v_xor_b32_e32 v22, 0x80000000, v16
	v_mov_b32_e32 v21, v15
	v_cndmask_b32_e32 v24, v18, v24, vcc_lo
	v_cndmask_b32_e64 v22, v16, v22, s4
	v_add_f64 v[21:22], v[21:22], v[23:24]
	v_cmp_lt_f64_e32 vcc_lo, v[19:20], v[21:22]
	v_cndmask_b32_e32 v1, v1, v16, vcc_lo
	v_cndmask_b32_e32 v0, v0, v15, vcc_lo
	;; [unrolled: 1-line block ×4, first 2 shown]
	v_cndmask_b32_e64 v4, v4, s16, vcc_lo
	s_add_i32 s16, s16, 1
	s_cmp_lg_u32 s57, s16
	s_cbranch_scc1 .LBB122_673
.LBB122_674:
	s_inst_prefetch 0x2
	s_waitcnt lgkmcnt(0)
	v_cmp_eq_f64_e32 vcc_lo, 0, v[0:1]
	v_cmp_eq_f64_e64 s4, 0, v[2:3]
	s_and_b32 s4, vcc_lo, s4
	s_and_saveexec_b32 s16, s4
	s_xor_b32 s4, exec_lo, s16
; %bb.675:
	v_cmp_ne_u32_e32 vcc_lo, 0, v13
	v_cndmask_b32_e32 v13, 28, v13, vcc_lo
; %bb.676:
	s_andn2_saveexec_b32 s4, s4
	s_cbranch_execz .LBB122_682
; %bb.677:
	v_cmp_ngt_f64_e64 s16, |v[0:1]|, |v[2:3]|
	s_and_saveexec_b32 s17, s16
	s_xor_b32 s16, exec_lo, s17
	s_cbranch_execz .LBB122_679
; %bb.678:
	v_div_scale_f64 v[15:16], null, v[2:3], v[2:3], v[0:1]
	v_div_scale_f64 v[21:22], vcc_lo, v[0:1], v[2:3], v[0:1]
	v_rcp_f64_e32 v[17:18], v[15:16]
	v_fma_f64 v[19:20], -v[15:16], v[17:18], 1.0
	v_fma_f64 v[17:18], v[17:18], v[19:20], v[17:18]
	v_fma_f64 v[19:20], -v[15:16], v[17:18], 1.0
	v_fma_f64 v[17:18], v[17:18], v[19:20], v[17:18]
	v_mul_f64 v[19:20], v[21:22], v[17:18]
	v_fma_f64 v[15:16], -v[15:16], v[19:20], v[21:22]
	v_div_fmas_f64 v[15:16], v[15:16], v[17:18], v[19:20]
	v_div_fixup_f64 v[15:16], v[15:16], v[2:3], v[0:1]
	v_fma_f64 v[0:1], v[0:1], v[15:16], v[2:3]
	v_div_scale_f64 v[2:3], null, v[0:1], v[0:1], 1.0
	v_rcp_f64_e32 v[17:18], v[2:3]
	v_fma_f64 v[19:20], -v[2:3], v[17:18], 1.0
	v_fma_f64 v[17:18], v[17:18], v[19:20], v[17:18]
	v_fma_f64 v[19:20], -v[2:3], v[17:18], 1.0
	v_fma_f64 v[17:18], v[17:18], v[19:20], v[17:18]
	v_div_scale_f64 v[19:20], vcc_lo, 1.0, v[0:1], 1.0
	v_mul_f64 v[21:22], v[19:20], v[17:18]
	v_fma_f64 v[2:3], -v[2:3], v[21:22], v[19:20]
	v_div_fmas_f64 v[2:3], v[2:3], v[17:18], v[21:22]
	v_div_fixup_f64 v[2:3], v[2:3], v[0:1], 1.0
	v_mul_f64 v[0:1], v[15:16], v[2:3]
	v_xor_b32_e32 v3, 0x80000000, v3
.LBB122_679:
	s_andn2_saveexec_b32 s16, s16
	s_cbranch_execz .LBB122_681
; %bb.680:
	v_div_scale_f64 v[15:16], null, v[0:1], v[0:1], v[2:3]
	v_div_scale_f64 v[21:22], vcc_lo, v[2:3], v[0:1], v[2:3]
	v_rcp_f64_e32 v[17:18], v[15:16]
	v_fma_f64 v[19:20], -v[15:16], v[17:18], 1.0
	v_fma_f64 v[17:18], v[17:18], v[19:20], v[17:18]
	v_fma_f64 v[19:20], -v[15:16], v[17:18], 1.0
	v_fma_f64 v[17:18], v[17:18], v[19:20], v[17:18]
	v_mul_f64 v[19:20], v[21:22], v[17:18]
	v_fma_f64 v[15:16], -v[15:16], v[19:20], v[21:22]
	v_div_fmas_f64 v[15:16], v[15:16], v[17:18], v[19:20]
	v_div_fixup_f64 v[15:16], v[15:16], v[0:1], v[2:3]
	v_fma_f64 v[0:1], v[2:3], v[15:16], v[0:1]
	v_div_scale_f64 v[2:3], null, v[0:1], v[0:1], 1.0
	v_rcp_f64_e32 v[17:18], v[2:3]
	v_fma_f64 v[19:20], -v[2:3], v[17:18], 1.0
	v_fma_f64 v[17:18], v[17:18], v[19:20], v[17:18]
	v_fma_f64 v[19:20], -v[2:3], v[17:18], 1.0
	v_fma_f64 v[17:18], v[17:18], v[19:20], v[17:18]
	v_div_scale_f64 v[19:20], vcc_lo, 1.0, v[0:1], 1.0
	v_mul_f64 v[21:22], v[19:20], v[17:18]
	v_fma_f64 v[2:3], -v[2:3], v[21:22], v[19:20]
	v_div_fmas_f64 v[2:3], v[2:3], v[17:18], v[21:22]
	v_div_fixup_f64 v[0:1], v[2:3], v[0:1], 1.0
	v_mul_f64 v[2:3], v[15:16], -v[0:1]
.LBB122_681:
	s_or_b32 exec_lo, exec_lo, s16
.LBB122_682:
	s_or_b32 exec_lo, exec_lo, s4
	s_mov_b32 s4, exec_lo
	v_cmpx_ne_u32_e64 v11, v4
	s_xor_b32 s4, exec_lo, s4
	s_cbranch_execz .LBB122_688
; %bb.683:
	s_mov_b32 s16, exec_lo
	v_cmpx_eq_u32_e32 27, v11
	s_cbranch_execz .LBB122_687
; %bb.684:
	v_cmp_ne_u32_e32 vcc_lo, 27, v4
	s_xor_b32 s17, s20, -1
	s_and_b32 s56, s17, vcc_lo
	s_and_saveexec_b32 s17, s56
	s_cbranch_execz .LBB122_686
; %bb.685:
	v_ashrrev_i32_e32 v5, 31, v4
	v_lshlrev_b64 v[10:11], 2, v[4:5]
	v_add_co_u32 v10, vcc_lo, v8, v10
	v_add_co_ci_u32_e64 v11, null, v9, v11, vcc_lo
	s_clause 0x1
	global_load_dword v5, v[10:11], off
	global_load_dword v15, v[8:9], off offset:108
	s_waitcnt vmcnt(1)
	global_store_dword v[8:9], v5, off offset:108
	s_waitcnt vmcnt(0)
	global_store_dword v[10:11], v15, off
.LBB122_686:
	s_or_b32 exec_lo, exec_lo, s17
	v_mov_b32_e32 v11, v4
	v_mov_b32_e32 v5, v4
.LBB122_687:
	s_or_b32 exec_lo, exec_lo, s16
.LBB122_688:
	s_andn2_saveexec_b32 s4, s4
	s_cbranch_execz .LBB122_690
; %bb.689:
	v_mov_b32_e32 v4, s52
	v_mov_b32_e32 v11, s50
	v_mov_b32_e32 v10, s51
	v_mov_b32_e32 v46, s45
	v_mov_b32_e32 v50, s44
	s_clause 0x7
	buffer_load_dword v15, v4, s[0:3], 0 offen
	buffer_load_dword v16, v4, s[0:3], 0 offen offset:4
	buffer_load_dword v17, v4, s[0:3], 0 offen offset:8
	;; [unrolled: 1-line block ×3, first 2 shown]
	buffer_load_dword v19, v10, s[0:3], 0 offen
	buffer_load_dword v20, v10, s[0:3], 0 offen offset:4
	buffer_load_dword v21, v10, s[0:3], 0 offen offset:8
	;; [unrolled: 1-line block ×3, first 2 shown]
	v_mov_b32_e32 v4, s49
	s_clause 0x7
	buffer_load_dword v23, v11, s[0:3], 0 offen
	buffer_load_dword v24, v11, s[0:3], 0 offen offset:4
	buffer_load_dword v25, v11, s[0:3], 0 offen offset:8
	;; [unrolled: 1-line block ×3, first 2 shown]
	buffer_load_dword v27, v4, s[0:3], 0 offen
	buffer_load_dword v28, v4, s[0:3], 0 offen offset:4
	buffer_load_dword v29, v4, s[0:3], 0 offen offset:8
	;; [unrolled: 1-line block ×3, first 2 shown]
	v_mov_b32_e32 v4, s48
	v_mov_b32_e32 v10, s47
	;; [unrolled: 1-line block ×28, first 2 shown]
	s_clause 0x3e
	buffer_load_dword v31, v4, s[0:3], 0 offen
	buffer_load_dword v32, v4, s[0:3], 0 offen offset:4
	buffer_load_dword v33, v4, s[0:3], 0 offen offset:8
	buffer_load_dword v34, v4, s[0:3], 0 offen offset:12
	buffer_load_dword v35, v10, s[0:3], 0 offen
	buffer_load_dword v36, v10, s[0:3], 0 offen offset:4
	buffer_load_dword v37, v10, s[0:3], 0 offen offset:8
	buffer_load_dword v38, v10, s[0:3], 0 offen offset:12
	;; [unrolled: 4-line block ×15, first 2 shown]
	buffer_load_dword v91, v94, s[0:3], 0 offen
	buffer_load_dword v92, v94, s[0:3], 0 offen offset:4
	buffer_load_dword v93, v94, s[0:3], 0 offen offset:8
	s_clause 0x38
	buffer_load_dword v94, v94, s[0:3], 0 offen offset:12
	buffer_load_dword v95, v98, s[0:3], 0 offen
	buffer_load_dword v96, v98, s[0:3], 0 offen offset:4
	buffer_load_dword v97, v98, s[0:3], 0 offen offset:8
	buffer_load_dword v98, v98, s[0:3], 0 offen offset:12
	buffer_load_dword v99, v102, s[0:3], 0 offen
	buffer_load_dword v100, v102, s[0:3], 0 offen offset:4
	buffer_load_dword v101, v102, s[0:3], 0 offen offset:8
	;; [unrolled: 4-line block ×14, first 2 shown]
	buffer_load_dword v153, v153, s[0:3], 0 offen offset:12
	v_mov_b32_e32 v11, 27
	s_waitcnt vmcnt(62)
	ds_write2_b64 v12, v[15:16], v[17:18] offset0:56 offset1:57
	ds_write2_b64 v12, v[19:20], v[21:22] offset0:58 offset1:59
	;; [unrolled: 1-line block ×18, first 2 shown]
	s_waitcnt vmcnt(60)
	ds_write2_b64 v12, v[87:88], v[89:90] offset0:92 offset1:93
	s_waitcnt vmcnt(56)
	ds_write2_b64 v12, v[91:92], v[93:94] offset0:94 offset1:95
	;; [unrolled: 2-line block ×16, first 2 shown]
.LBB122_690:
	s_or_b32 exec_lo, exec_lo, s4
	s_mov_b32 s4, exec_lo
	s_waitcnt lgkmcnt(0)
	s_waitcnt_vscnt null, 0x0
	s_barrier
	buffer_gl0_inv
	v_cmpx_lt_i32_e32 27, v11
	s_cbranch_execz .LBB122_693
; %bb.691:
	s_clause 0x3
	buffer_load_dword v15, off, s[0:3], 0 offset:440
	buffer_load_dword v16, off, s[0:3], 0 offset:444
	buffer_load_dword v17, off, s[0:3], 0 offset:432
	buffer_load_dword v18, off, s[0:3], 0 offset:436
	s_movk_i32 s16, 0x1c0
	s_waitcnt vmcnt(2)
	v_mul_f64 v[19:20], v[2:3], v[15:16]
	v_mul_f64 v[15:16], v[0:1], v[15:16]
	s_waitcnt vmcnt(0)
	v_fma_f64 v[0:1], v[0:1], v[17:18], -v[19:20]
	v_fma_f64 v[2:3], v[2:3], v[17:18], v[15:16]
	buffer_store_dword v0, off, s[0:3], 0 offset:432
	buffer_store_dword v1, off, s[0:3], 0 offset:436
	;; [unrolled: 1-line block ×4, first 2 shown]
.LBB122_692:                            ; =>This Inner Loop Header: Depth=1
	s_clause 0x3
	buffer_load_dword v19, off, s[0:3], 0 offset:440
	buffer_load_dword v20, off, s[0:3], 0 offset:444
	;; [unrolled: 1-line block ×4, first 2 shown]
	v_mov_b32_e32 v4, s16
	v_add_nc_u32_e32 v10, s16, v12
	s_add_i32 s16, s16, 32
	s_clause 0x3
	buffer_load_dword v23, v4, s[0:3], 0 offen
	buffer_load_dword v24, v4, s[0:3], 0 offen offset:4
	buffer_load_dword v25, v4, s[0:3], 0 offen offset:8
	;; [unrolled: 1-line block ×3, first 2 shown]
	ds_read2_b64 v[0:3], v10 offset1:1
	ds_read2_b64 v[15:18], v10 offset0:2 offset1:3
	s_cmpk_lg_i32 s16, 0x3e0
	s_waitcnt vmcnt(6) lgkmcnt(1)
	v_mul_f64 v[27:28], v[2:3], v[19:20]
	v_mul_f64 v[19:20], v[0:1], v[19:20]
	s_waitcnt vmcnt(4)
	v_fma_f64 v[0:1], v[0:1], v[21:22], -v[27:28]
	v_fma_f64 v[2:3], v[2:3], v[21:22], v[19:20]
	s_clause 0x3
	buffer_load_dword v19, v4, s[0:3], 0 offen offset:16
	buffer_load_dword v20, v4, s[0:3], 0 offen offset:20
	;; [unrolled: 1-line block ×4, first 2 shown]
	s_waitcnt vmcnt(6)
	v_add_f64 v[0:1], v[23:24], -v[0:1]
	s_waitcnt vmcnt(4)
	v_add_f64 v[2:3], v[25:26], -v[2:3]
	buffer_store_dword v1, v4, s[0:3], 0 offen offset:4
	buffer_store_dword v0, v4, s[0:3], 0 offen
	buffer_store_dword v3, v4, s[0:3], 0 offen offset:12
	buffer_store_dword v2, v4, s[0:3], 0 offen offset:8
	s_clause 0x3
	buffer_load_dword v1, off, s[0:3], 0 offset:444
	buffer_load_dword v0, off, s[0:3], 0 offset:440
	;; [unrolled: 1-line block ×4, first 2 shown]
	s_waitcnt vmcnt(2) lgkmcnt(0)
	v_mul_f64 v[23:24], v[17:18], v[0:1]
	v_mul_f64 v[0:1], v[15:16], v[0:1]
	s_waitcnt vmcnt(0)
	v_fma_f64 v[15:16], v[15:16], v[2:3], -v[23:24]
	v_fma_f64 v[0:1], v[17:18], v[2:3], v[0:1]
	v_add_f64 v[2:3], v[19:20], -v[15:16]
	v_add_f64 v[0:1], v[21:22], -v[0:1]
	buffer_store_dword v3, v4, s[0:3], 0 offen offset:20
	buffer_store_dword v2, v4, s[0:3], 0 offen offset:16
	;; [unrolled: 1-line block ×4, first 2 shown]
	s_cbranch_scc1 .LBB122_692
.LBB122_693:
	s_or_b32 exec_lo, exec_lo, s4
	v_mov_b32_e32 v3, s52
	s_waitcnt_vscnt null, 0x0
	s_barrier
	buffer_gl0_inv
	v_lshl_add_u32 v4, v11, 4, v12
	s_clause 0x3
	buffer_load_dword v0, v3, s[0:3], 0 offen
	buffer_load_dword v1, v3, s[0:3], 0 offen offset:4
	buffer_load_dword v2, v3, s[0:3], 0 offen offset:8
	;; [unrolled: 1-line block ×3, first 2 shown]
	s_cmp_lt_i32 s57, 30
	s_waitcnt vmcnt(0)
	ds_write2_b64 v4, v[0:1], v[2:3] offset1:1
	s_waitcnt lgkmcnt(0)
	s_barrier
	buffer_gl0_inv
	ds_read2_b64 v[0:3], v12 offset0:56 offset1:57
	v_mov_b32_e32 v4, 28
	s_cbranch_scc1 .LBB122_696
; %bb.694:
	v_add3_u32 v10, v14, 0, 0x1d0
	v_mov_b32_e32 v4, 28
	s_mov_b32 s16, 29
	s_inst_prefetch 0x1
	.p2align	6
.LBB122_695:                            ; =>This Inner Loop Header: Depth=1
	s_waitcnt lgkmcnt(0)
	v_cmp_gt_f64_e32 vcc_lo, 0, v[2:3]
	v_cmp_gt_f64_e64 s4, 0, v[0:1]
	ds_read2_b64 v[15:18], v10 offset1:1
	v_xor_b32_e32 v20, 0x80000000, v1
	v_xor_b32_e32 v22, 0x80000000, v3
	v_mov_b32_e32 v19, v0
	v_mov_b32_e32 v21, v2
	v_add_nc_u32_e32 v10, 16, v10
	s_waitcnt lgkmcnt(0)
	v_xor_b32_e32 v24, 0x80000000, v18
	v_cndmask_b32_e64 v20, v1, v20, s4
	v_cndmask_b32_e32 v22, v3, v22, vcc_lo
	v_cmp_gt_f64_e32 vcc_lo, 0, v[17:18]
	v_cmp_gt_f64_e64 s4, 0, v[15:16]
	v_mov_b32_e32 v23, v17
	v_add_f64 v[19:20], v[19:20], v[21:22]
	v_xor_b32_e32 v22, 0x80000000, v16
	v_mov_b32_e32 v21, v15
	v_cndmask_b32_e32 v24, v18, v24, vcc_lo
	v_cndmask_b32_e64 v22, v16, v22, s4
	v_add_f64 v[21:22], v[21:22], v[23:24]
	v_cmp_lt_f64_e32 vcc_lo, v[19:20], v[21:22]
	v_cndmask_b32_e32 v1, v1, v16, vcc_lo
	v_cndmask_b32_e32 v0, v0, v15, vcc_lo
	;; [unrolled: 1-line block ×4, first 2 shown]
	v_cndmask_b32_e64 v4, v4, s16, vcc_lo
	s_add_i32 s16, s16, 1
	s_cmp_lg_u32 s57, s16
	s_cbranch_scc1 .LBB122_695
.LBB122_696:
	s_inst_prefetch 0x2
	s_waitcnt lgkmcnt(0)
	v_cmp_eq_f64_e32 vcc_lo, 0, v[0:1]
	v_cmp_eq_f64_e64 s4, 0, v[2:3]
	s_and_b32 s4, vcc_lo, s4
	s_and_saveexec_b32 s16, s4
	s_xor_b32 s4, exec_lo, s16
; %bb.697:
	v_cmp_ne_u32_e32 vcc_lo, 0, v13
	v_cndmask_b32_e32 v13, 29, v13, vcc_lo
; %bb.698:
	s_andn2_saveexec_b32 s4, s4
	s_cbranch_execz .LBB122_704
; %bb.699:
	v_cmp_ngt_f64_e64 s16, |v[0:1]|, |v[2:3]|
	s_and_saveexec_b32 s17, s16
	s_xor_b32 s16, exec_lo, s17
	s_cbranch_execz .LBB122_701
; %bb.700:
	v_div_scale_f64 v[15:16], null, v[2:3], v[2:3], v[0:1]
	v_div_scale_f64 v[21:22], vcc_lo, v[0:1], v[2:3], v[0:1]
	v_rcp_f64_e32 v[17:18], v[15:16]
	v_fma_f64 v[19:20], -v[15:16], v[17:18], 1.0
	v_fma_f64 v[17:18], v[17:18], v[19:20], v[17:18]
	v_fma_f64 v[19:20], -v[15:16], v[17:18], 1.0
	v_fma_f64 v[17:18], v[17:18], v[19:20], v[17:18]
	v_mul_f64 v[19:20], v[21:22], v[17:18]
	v_fma_f64 v[15:16], -v[15:16], v[19:20], v[21:22]
	v_div_fmas_f64 v[15:16], v[15:16], v[17:18], v[19:20]
	v_div_fixup_f64 v[15:16], v[15:16], v[2:3], v[0:1]
	v_fma_f64 v[0:1], v[0:1], v[15:16], v[2:3]
	v_div_scale_f64 v[2:3], null, v[0:1], v[0:1], 1.0
	v_rcp_f64_e32 v[17:18], v[2:3]
	v_fma_f64 v[19:20], -v[2:3], v[17:18], 1.0
	v_fma_f64 v[17:18], v[17:18], v[19:20], v[17:18]
	v_fma_f64 v[19:20], -v[2:3], v[17:18], 1.0
	v_fma_f64 v[17:18], v[17:18], v[19:20], v[17:18]
	v_div_scale_f64 v[19:20], vcc_lo, 1.0, v[0:1], 1.0
	v_mul_f64 v[21:22], v[19:20], v[17:18]
	v_fma_f64 v[2:3], -v[2:3], v[21:22], v[19:20]
	v_div_fmas_f64 v[2:3], v[2:3], v[17:18], v[21:22]
	v_div_fixup_f64 v[2:3], v[2:3], v[0:1], 1.0
	v_mul_f64 v[0:1], v[15:16], v[2:3]
	v_xor_b32_e32 v3, 0x80000000, v3
.LBB122_701:
	s_andn2_saveexec_b32 s16, s16
	s_cbranch_execz .LBB122_703
; %bb.702:
	v_div_scale_f64 v[15:16], null, v[0:1], v[0:1], v[2:3]
	v_div_scale_f64 v[21:22], vcc_lo, v[2:3], v[0:1], v[2:3]
	v_rcp_f64_e32 v[17:18], v[15:16]
	v_fma_f64 v[19:20], -v[15:16], v[17:18], 1.0
	v_fma_f64 v[17:18], v[17:18], v[19:20], v[17:18]
	v_fma_f64 v[19:20], -v[15:16], v[17:18], 1.0
	v_fma_f64 v[17:18], v[17:18], v[19:20], v[17:18]
	v_mul_f64 v[19:20], v[21:22], v[17:18]
	v_fma_f64 v[15:16], -v[15:16], v[19:20], v[21:22]
	v_div_fmas_f64 v[15:16], v[15:16], v[17:18], v[19:20]
	v_div_fixup_f64 v[15:16], v[15:16], v[0:1], v[2:3]
	v_fma_f64 v[0:1], v[2:3], v[15:16], v[0:1]
	v_div_scale_f64 v[2:3], null, v[0:1], v[0:1], 1.0
	v_rcp_f64_e32 v[17:18], v[2:3]
	v_fma_f64 v[19:20], -v[2:3], v[17:18], 1.0
	v_fma_f64 v[17:18], v[17:18], v[19:20], v[17:18]
	v_fma_f64 v[19:20], -v[2:3], v[17:18], 1.0
	v_fma_f64 v[17:18], v[17:18], v[19:20], v[17:18]
	v_div_scale_f64 v[19:20], vcc_lo, 1.0, v[0:1], 1.0
	v_mul_f64 v[21:22], v[19:20], v[17:18]
	v_fma_f64 v[2:3], -v[2:3], v[21:22], v[19:20]
	v_div_fmas_f64 v[2:3], v[2:3], v[17:18], v[21:22]
	v_div_fixup_f64 v[0:1], v[2:3], v[0:1], 1.0
	v_mul_f64 v[2:3], v[15:16], -v[0:1]
.LBB122_703:
	s_or_b32 exec_lo, exec_lo, s16
.LBB122_704:
	s_or_b32 exec_lo, exec_lo, s4
	s_mov_b32 s4, exec_lo
	v_cmpx_ne_u32_e64 v11, v4
	s_xor_b32 s4, exec_lo, s4
	s_cbranch_execz .LBB122_710
; %bb.705:
	s_mov_b32 s16, exec_lo
	v_cmpx_eq_u32_e32 28, v11
	s_cbranch_execz .LBB122_709
; %bb.706:
	v_cmp_ne_u32_e32 vcc_lo, 28, v4
	s_xor_b32 s17, s20, -1
	s_and_b32 s56, s17, vcc_lo
	s_and_saveexec_b32 s17, s56
	s_cbranch_execz .LBB122_708
; %bb.707:
	v_ashrrev_i32_e32 v5, 31, v4
	v_lshlrev_b64 v[10:11], 2, v[4:5]
	v_add_co_u32 v10, vcc_lo, v8, v10
	v_add_co_ci_u32_e64 v11, null, v9, v11, vcc_lo
	s_clause 0x1
	global_load_dword v5, v[10:11], off
	global_load_dword v15, v[8:9], off offset:112
	s_waitcnt vmcnt(1)
	global_store_dword v[8:9], v5, off offset:112
	s_waitcnt vmcnt(0)
	global_store_dword v[10:11], v15, off
.LBB122_708:
	s_or_b32 exec_lo, exec_lo, s17
	v_mov_b32_e32 v11, v4
	v_mov_b32_e32 v5, v4
.LBB122_709:
	s_or_b32 exec_lo, exec_lo, s16
.LBB122_710:
	s_andn2_saveexec_b32 s4, s4
	s_cbranch_execz .LBB122_712
; %bb.711:
	v_mov_b32_e32 v4, s51
	v_mov_b32_e32 v11, s49
	v_mov_b32_e32 v10, s50
	s_clause 0x7
	buffer_load_dword v15, v4, s[0:3], 0 offen
	buffer_load_dword v16, v4, s[0:3], 0 offen offset:4
	buffer_load_dword v17, v4, s[0:3], 0 offen offset:8
	buffer_load_dword v18, v4, s[0:3], 0 offen offset:12
	buffer_load_dword v19, v10, s[0:3], 0 offen
	buffer_load_dword v20, v10, s[0:3], 0 offen offset:4
	buffer_load_dword v21, v10, s[0:3], 0 offen offset:8
	buffer_load_dword v22, v10, s[0:3], 0 offen offset:12
	v_mov_b32_e32 v4, s48
	v_mov_b32_e32 v10, s47
	s_clause 0x7
	buffer_load_dword v23, v11, s[0:3], 0 offen
	buffer_load_dword v24, v11, s[0:3], 0 offen offset:4
	buffer_load_dword v25, v11, s[0:3], 0 offen offset:8
	buffer_load_dword v26, v11, s[0:3], 0 offen offset:12
	buffer_load_dword v27, v4, s[0:3], 0 offen
	buffer_load_dword v28, v4, s[0:3], 0 offen offset:4
	buffer_load_dword v29, v4, s[0:3], 0 offen offset:8
	buffer_load_dword v30, v4, s[0:3], 0 offen offset:12
	v_mov_b32_e32 v11, s45
	v_mov_b32_e32 v4, s46
	;; [unrolled: 11-line block ×15, first 2 shown]
	s_clause 0xb
	buffer_load_dword v138, v11, s[0:3], 0 offen
	buffer_load_dword v139, v11, s[0:3], 0 offen offset:4
	buffer_load_dword v140, v11, s[0:3], 0 offen offset:8
	buffer_load_dword v141, v11, s[0:3], 0 offen offset:12
	buffer_load_dword v142, v4, s[0:3], 0 offen
	buffer_load_dword v143, v4, s[0:3], 0 offen offset:4
	buffer_load_dword v144, v4, s[0:3], 0 offen offset:8
	buffer_load_dword v145, v4, s[0:3], 0 offen offset:12
	;; [unrolled: 4-line block ×3, first 2 shown]
	v_mov_b32_e32 v11, 28
	s_waitcnt vmcnt(62)
	ds_write2_b64 v12, v[15:16], v[17:18] offset0:58 offset1:59
	ds_write2_b64 v12, v[19:20], v[21:22] offset0:60 offset1:61
	ds_write2_b64 v12, v[23:24], v[25:26] offset0:62 offset1:63
	ds_write2_b64 v12, v[27:28], v[29:30] offset0:64 offset1:65
	ds_write2_b64 v12, v[31:32], v[33:34] offset0:66 offset1:67
	ds_write2_b64 v12, v[35:36], v[37:38] offset0:68 offset1:69
	ds_write2_b64 v12, v[39:40], v[41:42] offset0:70 offset1:71
	ds_write2_b64 v12, v[43:44], v[45:46] offset0:72 offset1:73
	ds_write2_b64 v12, v[47:48], v[49:50] offset0:74 offset1:75
	ds_write2_b64 v12, v[51:52], v[53:54] offset0:76 offset1:77
	ds_write2_b64 v12, v[55:56], v[57:58] offset0:78 offset1:79
	ds_write2_b64 v12, v[59:60], v[61:62] offset0:80 offset1:81
	ds_write2_b64 v12, v[63:64], v[65:66] offset0:82 offset1:83
	ds_write2_b64 v12, v[67:68], v[69:70] offset0:84 offset1:85
	ds_write2_b64 v12, v[71:72], v[73:74] offset0:86 offset1:87
	ds_write2_b64 v12, v[75:76], v[77:78] offset0:88 offset1:89
	ds_write2_b64 v12, v[79:80], v[81:82] offset0:90 offset1:91
	s_waitcnt vmcnt(60)
	ds_write2_b64 v12, v[83:84], v[85:86] offset0:92 offset1:93
	s_waitcnt vmcnt(56)
	ds_write2_b64 v12, v[87:88], v[89:90] offset0:94 offset1:95
	;; [unrolled: 2-line block ×16, first 2 shown]
.LBB122_712:
	s_or_b32 exec_lo, exec_lo, s4
	s_mov_b32 s4, exec_lo
	s_waitcnt lgkmcnt(0)
	s_waitcnt_vscnt null, 0x0
	s_barrier
	buffer_gl0_inv
	v_cmpx_lt_i32_e32 28, v11
	s_cbranch_execz .LBB122_715
; %bb.713:
	s_clause 0x3
	buffer_load_dword v15, off, s[0:3], 0 offset:456
	buffer_load_dword v16, off, s[0:3], 0 offset:460
	;; [unrolled: 1-line block ×4, first 2 shown]
	s_movk_i32 s16, 0x1d0
	s_waitcnt vmcnt(2)
	v_mul_f64 v[19:20], v[2:3], v[15:16]
	v_mul_f64 v[15:16], v[0:1], v[15:16]
	s_waitcnt vmcnt(0)
	v_fma_f64 v[0:1], v[0:1], v[17:18], -v[19:20]
	v_fma_f64 v[2:3], v[2:3], v[17:18], v[15:16]
	buffer_store_dword v0, off, s[0:3], 0 offset:448
	buffer_store_dword v1, off, s[0:3], 0 offset:452
	;; [unrolled: 1-line block ×4, first 2 shown]
.LBB122_714:                            ; =>This Inner Loop Header: Depth=1
	s_clause 0x3
	buffer_load_dword v19, off, s[0:3], 0 offset:456
	buffer_load_dword v20, off, s[0:3], 0 offset:460
	buffer_load_dword v21, off, s[0:3], 0 offset:448
	buffer_load_dword v22, off, s[0:3], 0 offset:452
	v_mov_b32_e32 v4, s16
	v_add_nc_u32_e32 v10, s16, v12
	s_add_i32 s16, s16, 48
	s_clause 0x3
	buffer_load_dword v23, v4, s[0:3], 0 offen
	buffer_load_dword v24, v4, s[0:3], 0 offen offset:4
	buffer_load_dword v25, v4, s[0:3], 0 offen offset:8
	;; [unrolled: 1-line block ×3, first 2 shown]
	ds_read2_b64 v[0:3], v10 offset1:1
	ds_read2_b64 v[15:18], v10 offset0:2 offset1:3
	s_cmpk_lg_i32 s16, 0x3e0
	s_waitcnt vmcnt(6) lgkmcnt(1)
	v_mul_f64 v[27:28], v[2:3], v[19:20]
	v_mul_f64 v[19:20], v[0:1], v[19:20]
	s_waitcnt vmcnt(4)
	v_fma_f64 v[0:1], v[0:1], v[21:22], -v[27:28]
	v_fma_f64 v[2:3], v[2:3], v[21:22], v[19:20]
	s_clause 0x3
	buffer_load_dword v19, v4, s[0:3], 0 offen offset:16
	buffer_load_dword v20, v4, s[0:3], 0 offen offset:20
	;; [unrolled: 1-line block ×4, first 2 shown]
	s_waitcnt vmcnt(6)
	v_add_f64 v[0:1], v[23:24], -v[0:1]
	s_waitcnt vmcnt(4)
	v_add_f64 v[2:3], v[25:26], -v[2:3]
	buffer_store_dword v1, v4, s[0:3], 0 offen offset:4
	buffer_store_dword v0, v4, s[0:3], 0 offen
	buffer_store_dword v3, v4, s[0:3], 0 offen offset:12
	buffer_store_dword v2, v4, s[0:3], 0 offen offset:8
	s_clause 0x3
	buffer_load_dword v1, off, s[0:3], 0 offset:460
	buffer_load_dword v0, off, s[0:3], 0 offset:456
	;; [unrolled: 1-line block ×4, first 2 shown]
	s_waitcnt vmcnt(2) lgkmcnt(0)
	v_mul_f64 v[23:24], v[17:18], v[0:1]
	v_mul_f64 v[0:1], v[15:16], v[0:1]
	s_waitcnt vmcnt(0)
	v_fma_f64 v[15:16], v[15:16], v[2:3], -v[23:24]
	v_fma_f64 v[0:1], v[17:18], v[2:3], v[0:1]
	v_add_f64 v[2:3], v[19:20], -v[15:16]
	v_add_f64 v[0:1], v[21:22], -v[0:1]
	s_clause 0x3
	buffer_load_dword v15, v4, s[0:3], 0 offen offset:32
	buffer_load_dword v16, v4, s[0:3], 0 offen offset:36
	;; [unrolled: 1-line block ×4, first 2 shown]
	buffer_store_dword v3, v4, s[0:3], 0 offen offset:20
	buffer_store_dword v2, v4, s[0:3], 0 offen offset:16
	;; [unrolled: 1-line block ×4, first 2 shown]
	s_clause 0x3
	buffer_load_dword v19, off, s[0:3], 0 offset:456
	buffer_load_dword v20, off, s[0:3], 0 offset:460
	;; [unrolled: 1-line block ×4, first 2 shown]
	ds_read2_b64 v[0:3], v10 offset0:4 offset1:5
	s_waitcnt vmcnt(2) lgkmcnt(0)
	v_mul_f64 v[23:24], v[2:3], v[19:20]
	v_mul_f64 v[19:20], v[0:1], v[19:20]
	s_waitcnt vmcnt(0)
	v_fma_f64 v[0:1], v[0:1], v[21:22], -v[23:24]
	v_fma_f64 v[2:3], v[2:3], v[21:22], v[19:20]
	v_add_f64 v[0:1], v[15:16], -v[0:1]
	v_add_f64 v[2:3], v[17:18], -v[2:3]
	buffer_store_dword v1, v4, s[0:3], 0 offen offset:36
	buffer_store_dword v0, v4, s[0:3], 0 offen offset:32
	;; [unrolled: 1-line block ×4, first 2 shown]
	s_cbranch_scc1 .LBB122_714
.LBB122_715:
	s_or_b32 exec_lo, exec_lo, s4
	v_mov_b32_e32 v3, s51
	s_waitcnt_vscnt null, 0x0
	s_barrier
	buffer_gl0_inv
	v_lshl_add_u32 v4, v11, 4, v12
	s_clause 0x3
	buffer_load_dword v0, v3, s[0:3], 0 offen
	buffer_load_dword v1, v3, s[0:3], 0 offen offset:4
	buffer_load_dword v2, v3, s[0:3], 0 offen offset:8
	;; [unrolled: 1-line block ×3, first 2 shown]
	s_cmp_lt_i32 s57, 31
	s_waitcnt vmcnt(0)
	ds_write2_b64 v4, v[0:1], v[2:3] offset1:1
	s_waitcnt lgkmcnt(0)
	s_barrier
	buffer_gl0_inv
	ds_read2_b64 v[0:3], v12 offset0:58 offset1:59
	v_mov_b32_e32 v4, 29
	s_cbranch_scc1 .LBB122_718
; %bb.716:
	v_add3_u32 v10, v14, 0, 0x1e0
	v_mov_b32_e32 v4, 29
	s_mov_b32 s16, 30
	s_inst_prefetch 0x1
	.p2align	6
.LBB122_717:                            ; =>This Inner Loop Header: Depth=1
	s_waitcnt lgkmcnt(0)
	v_cmp_gt_f64_e32 vcc_lo, 0, v[2:3]
	v_cmp_gt_f64_e64 s4, 0, v[0:1]
	ds_read2_b64 v[15:18], v10 offset1:1
	v_xor_b32_e32 v20, 0x80000000, v1
	v_xor_b32_e32 v22, 0x80000000, v3
	v_mov_b32_e32 v19, v0
	v_mov_b32_e32 v21, v2
	v_add_nc_u32_e32 v10, 16, v10
	s_waitcnt lgkmcnt(0)
	v_xor_b32_e32 v24, 0x80000000, v18
	v_cndmask_b32_e64 v20, v1, v20, s4
	v_cndmask_b32_e32 v22, v3, v22, vcc_lo
	v_cmp_gt_f64_e32 vcc_lo, 0, v[17:18]
	v_cmp_gt_f64_e64 s4, 0, v[15:16]
	v_mov_b32_e32 v23, v17
	v_add_f64 v[19:20], v[19:20], v[21:22]
	v_xor_b32_e32 v22, 0x80000000, v16
	v_mov_b32_e32 v21, v15
	v_cndmask_b32_e32 v24, v18, v24, vcc_lo
	v_cndmask_b32_e64 v22, v16, v22, s4
	v_add_f64 v[21:22], v[21:22], v[23:24]
	v_cmp_lt_f64_e32 vcc_lo, v[19:20], v[21:22]
	v_cndmask_b32_e32 v1, v1, v16, vcc_lo
	v_cndmask_b32_e32 v0, v0, v15, vcc_lo
	;; [unrolled: 1-line block ×4, first 2 shown]
	v_cndmask_b32_e64 v4, v4, s16, vcc_lo
	s_add_i32 s16, s16, 1
	s_cmp_lg_u32 s57, s16
	s_cbranch_scc1 .LBB122_717
.LBB122_718:
	s_inst_prefetch 0x2
	s_waitcnt lgkmcnt(0)
	v_cmp_eq_f64_e32 vcc_lo, 0, v[0:1]
	v_cmp_eq_f64_e64 s4, 0, v[2:3]
	s_and_b32 s4, vcc_lo, s4
	s_and_saveexec_b32 s16, s4
	s_xor_b32 s4, exec_lo, s16
; %bb.719:
	v_cmp_ne_u32_e32 vcc_lo, 0, v13
	v_cndmask_b32_e32 v13, 30, v13, vcc_lo
; %bb.720:
	s_andn2_saveexec_b32 s4, s4
	s_cbranch_execz .LBB122_726
; %bb.721:
	v_cmp_ngt_f64_e64 s16, |v[0:1]|, |v[2:3]|
	s_and_saveexec_b32 s17, s16
	s_xor_b32 s16, exec_lo, s17
	s_cbranch_execz .LBB122_723
; %bb.722:
	v_div_scale_f64 v[15:16], null, v[2:3], v[2:3], v[0:1]
	v_div_scale_f64 v[21:22], vcc_lo, v[0:1], v[2:3], v[0:1]
	v_rcp_f64_e32 v[17:18], v[15:16]
	v_fma_f64 v[19:20], -v[15:16], v[17:18], 1.0
	v_fma_f64 v[17:18], v[17:18], v[19:20], v[17:18]
	v_fma_f64 v[19:20], -v[15:16], v[17:18], 1.0
	v_fma_f64 v[17:18], v[17:18], v[19:20], v[17:18]
	v_mul_f64 v[19:20], v[21:22], v[17:18]
	v_fma_f64 v[15:16], -v[15:16], v[19:20], v[21:22]
	v_div_fmas_f64 v[15:16], v[15:16], v[17:18], v[19:20]
	v_div_fixup_f64 v[15:16], v[15:16], v[2:3], v[0:1]
	v_fma_f64 v[0:1], v[0:1], v[15:16], v[2:3]
	v_div_scale_f64 v[2:3], null, v[0:1], v[0:1], 1.0
	v_rcp_f64_e32 v[17:18], v[2:3]
	v_fma_f64 v[19:20], -v[2:3], v[17:18], 1.0
	v_fma_f64 v[17:18], v[17:18], v[19:20], v[17:18]
	v_fma_f64 v[19:20], -v[2:3], v[17:18], 1.0
	v_fma_f64 v[17:18], v[17:18], v[19:20], v[17:18]
	v_div_scale_f64 v[19:20], vcc_lo, 1.0, v[0:1], 1.0
	v_mul_f64 v[21:22], v[19:20], v[17:18]
	v_fma_f64 v[2:3], -v[2:3], v[21:22], v[19:20]
	v_div_fmas_f64 v[2:3], v[2:3], v[17:18], v[21:22]
	v_div_fixup_f64 v[2:3], v[2:3], v[0:1], 1.0
	v_mul_f64 v[0:1], v[15:16], v[2:3]
	v_xor_b32_e32 v3, 0x80000000, v3
.LBB122_723:
	s_andn2_saveexec_b32 s16, s16
	s_cbranch_execz .LBB122_725
; %bb.724:
	v_div_scale_f64 v[15:16], null, v[0:1], v[0:1], v[2:3]
	v_div_scale_f64 v[21:22], vcc_lo, v[2:3], v[0:1], v[2:3]
	v_rcp_f64_e32 v[17:18], v[15:16]
	v_fma_f64 v[19:20], -v[15:16], v[17:18], 1.0
	v_fma_f64 v[17:18], v[17:18], v[19:20], v[17:18]
	v_fma_f64 v[19:20], -v[15:16], v[17:18], 1.0
	v_fma_f64 v[17:18], v[17:18], v[19:20], v[17:18]
	v_mul_f64 v[19:20], v[21:22], v[17:18]
	v_fma_f64 v[15:16], -v[15:16], v[19:20], v[21:22]
	v_div_fmas_f64 v[15:16], v[15:16], v[17:18], v[19:20]
	v_div_fixup_f64 v[15:16], v[15:16], v[0:1], v[2:3]
	v_fma_f64 v[0:1], v[2:3], v[15:16], v[0:1]
	v_div_scale_f64 v[2:3], null, v[0:1], v[0:1], 1.0
	v_rcp_f64_e32 v[17:18], v[2:3]
	v_fma_f64 v[19:20], -v[2:3], v[17:18], 1.0
	v_fma_f64 v[17:18], v[17:18], v[19:20], v[17:18]
	v_fma_f64 v[19:20], -v[2:3], v[17:18], 1.0
	v_fma_f64 v[17:18], v[17:18], v[19:20], v[17:18]
	v_div_scale_f64 v[19:20], vcc_lo, 1.0, v[0:1], 1.0
	v_mul_f64 v[21:22], v[19:20], v[17:18]
	v_fma_f64 v[2:3], -v[2:3], v[21:22], v[19:20]
	v_div_fmas_f64 v[2:3], v[2:3], v[17:18], v[21:22]
	v_div_fixup_f64 v[0:1], v[2:3], v[0:1], 1.0
	v_mul_f64 v[2:3], v[15:16], -v[0:1]
.LBB122_725:
	s_or_b32 exec_lo, exec_lo, s16
.LBB122_726:
	s_or_b32 exec_lo, exec_lo, s4
	s_mov_b32 s4, exec_lo
	v_cmpx_ne_u32_e64 v11, v4
	s_xor_b32 s4, exec_lo, s4
	s_cbranch_execz .LBB122_732
; %bb.727:
	s_mov_b32 s16, exec_lo
	v_cmpx_eq_u32_e32 29, v11
	s_cbranch_execz .LBB122_731
; %bb.728:
	v_cmp_ne_u32_e32 vcc_lo, 29, v4
	s_xor_b32 s17, s20, -1
	s_and_b32 s56, s17, vcc_lo
	s_and_saveexec_b32 s17, s56
	s_cbranch_execz .LBB122_730
; %bb.729:
	v_ashrrev_i32_e32 v5, 31, v4
	v_lshlrev_b64 v[10:11], 2, v[4:5]
	v_add_co_u32 v10, vcc_lo, v8, v10
	v_add_co_ci_u32_e64 v11, null, v9, v11, vcc_lo
	s_clause 0x1
	global_load_dword v5, v[10:11], off
	global_load_dword v15, v[8:9], off offset:116
	s_waitcnt vmcnt(1)
	global_store_dword v[8:9], v5, off offset:116
	s_waitcnt vmcnt(0)
	global_store_dword v[10:11], v15, off
.LBB122_730:
	s_or_b32 exec_lo, exec_lo, s17
	v_mov_b32_e32 v11, v4
	v_mov_b32_e32 v5, v4
.LBB122_731:
	s_or_b32 exec_lo, exec_lo, s16
.LBB122_732:
	s_andn2_saveexec_b32 s4, s4
	s_cbranch_execz .LBB122_734
; %bb.733:
	v_mov_b32_e32 v4, s50
	v_mov_b32_e32 v11, s48
	;; [unrolled: 1-line block ×3, first 2 shown]
	s_clause 0x7
	buffer_load_dword v15, v4, s[0:3], 0 offen
	buffer_load_dword v16, v4, s[0:3], 0 offen offset:4
	buffer_load_dword v17, v4, s[0:3], 0 offen offset:8
	buffer_load_dword v18, v4, s[0:3], 0 offen offset:12
	buffer_load_dword v19, v10, s[0:3], 0 offen
	buffer_load_dword v20, v10, s[0:3], 0 offen offset:4
	buffer_load_dword v21, v10, s[0:3], 0 offen offset:8
	buffer_load_dword v22, v10, s[0:3], 0 offen offset:12
	v_mov_b32_e32 v4, s47
	v_mov_b32_e32 v10, s46
	s_clause 0x7
	buffer_load_dword v23, v11, s[0:3], 0 offen
	buffer_load_dword v24, v11, s[0:3], 0 offen offset:4
	buffer_load_dword v25, v11, s[0:3], 0 offen offset:8
	buffer_load_dword v26, v11, s[0:3], 0 offen offset:12
	buffer_load_dword v27, v4, s[0:3], 0 offen
	buffer_load_dword v28, v4, s[0:3], 0 offen offset:4
	buffer_load_dword v29, v4, s[0:3], 0 offen offset:8
	buffer_load_dword v30, v4, s[0:3], 0 offen offset:12
	v_mov_b32_e32 v11, s44
	v_mov_b32_e32 v4, s45
	;; [unrolled: 11-line block ×14, first 2 shown]
	s_clause 0x7
	buffer_load_dword v130, v10, s[0:3], 0 offen
	buffer_load_dword v131, v10, s[0:3], 0 offen offset:4
	buffer_load_dword v132, v10, s[0:3], 0 offen offset:8
	;; [unrolled: 1-line block ×3, first 2 shown]
	buffer_load_dword v134, v4, s[0:3], 0 offen
	buffer_load_dword v135, v4, s[0:3], 0 offen offset:4
	buffer_load_dword v136, v4, s[0:3], 0 offen offset:8
	;; [unrolled: 1-line block ×3, first 2 shown]
	v_mov_b32_e32 v4, s5
	s_clause 0x7
	buffer_load_dword v138, v11, s[0:3], 0 offen
	buffer_load_dword v139, v11, s[0:3], 0 offen offset:4
	buffer_load_dword v140, v11, s[0:3], 0 offen offset:8
	;; [unrolled: 1-line block ×3, first 2 shown]
	buffer_load_dword v142, v4, s[0:3], 0 offen
	buffer_load_dword v143, v4, s[0:3], 0 offen offset:4
	buffer_load_dword v144, v4, s[0:3], 0 offen offset:8
	;; [unrolled: 1-line block ×3, first 2 shown]
	v_mov_b32_e32 v11, 29
	s_waitcnt vmcnt(62)
	ds_write2_b64 v12, v[15:16], v[17:18] offset0:60 offset1:61
	ds_write2_b64 v12, v[19:20], v[21:22] offset0:62 offset1:63
	;; [unrolled: 1-line block ×16, first 2 shown]
	s_waitcnt vmcnt(60)
	ds_write2_b64 v12, v[79:80], v[81:82] offset0:92 offset1:93
	s_waitcnt vmcnt(56)
	ds_write2_b64 v12, v[83:84], v[85:86] offset0:94 offset1:95
	;; [unrolled: 2-line block ×16, first 2 shown]
.LBB122_734:
	s_or_b32 exec_lo, exec_lo, s4
	s_mov_b32 s4, exec_lo
	s_waitcnt lgkmcnt(0)
	s_waitcnt_vscnt null, 0x0
	s_barrier
	buffer_gl0_inv
	v_cmpx_lt_i32_e32 29, v11
	s_cbranch_execz .LBB122_737
; %bb.735:
	s_clause 0x3
	buffer_load_dword v15, off, s[0:3], 0 offset:472
	buffer_load_dword v16, off, s[0:3], 0 offset:476
	;; [unrolled: 1-line block ×4, first 2 shown]
	v_add3_u32 v4, v14, 0, 0x1e0
	s_mov_b32 s16, 0
	s_waitcnt vmcnt(2)
	v_mul_f64 v[19:20], v[2:3], v[15:16]
	v_mul_f64 v[15:16], v[0:1], v[15:16]
	s_waitcnt vmcnt(0)
	v_fma_f64 v[0:1], v[0:1], v[17:18], -v[19:20]
	v_fma_f64 v[2:3], v[2:3], v[17:18], v[15:16]
	buffer_store_dword v0, off, s[0:3], 0 offset:464
	buffer_store_dword v1, off, s[0:3], 0 offset:468
	;; [unrolled: 1-line block ×4, first 2 shown]
.LBB122_736:                            ; =>This Inner Loop Header: Depth=1
	v_mov_b32_e32 v10, s16
	v_add_nc_u32_e32 v27, s16, v4
	s_add_i32 s16, s16, 64
	s_clause 0xf
	buffer_load_dword v31, v10, s[0:3], 0 offen offset:480
	buffer_load_dword v32, v10, s[0:3], 0 offen offset:484
	;; [unrolled: 1-line block ×16, first 2 shown]
	ds_read2_b64 v[15:18], v27 offset1:1
	ds_read2_b64 v[19:22], v27 offset0:2 offset1:3
	ds_read2_b64 v[23:26], v27 offset0:4 offset1:5
	;; [unrolled: 1-line block ×3, first 2 shown]
	s_cmpk_lg_i32 s16, 0x200
	s_waitcnt lgkmcnt(3)
	v_mul_f64 v[47:48], v[17:18], v[2:3]
	v_mul_f64 v[49:50], v[15:16], v[2:3]
	s_waitcnt lgkmcnt(2)
	v_mul_f64 v[51:52], v[21:22], v[2:3]
	v_mul_f64 v[53:54], v[19:20], v[2:3]
	;; [unrolled: 3-line block ×4, first 2 shown]
	v_fma_f64 v[15:16], v[15:16], v[0:1], -v[47:48]
	v_fma_f64 v[17:18], v[17:18], v[0:1], v[49:50]
	v_fma_f64 v[19:20], v[19:20], v[0:1], -v[51:52]
	v_fma_f64 v[21:22], v[21:22], v[0:1], v[53:54]
	;; [unrolled: 2-line block ×4, first 2 shown]
	s_waitcnt vmcnt(14)
	v_add_f64 v[15:16], v[31:32], -v[15:16]
	s_waitcnt vmcnt(12)
	v_add_f64 v[17:18], v[33:34], -v[17:18]
	;; [unrolled: 2-line block ×8, first 2 shown]
	buffer_store_dword v15, v10, s[0:3], 0 offen offset:480
	buffer_store_dword v16, v10, s[0:3], 0 offen offset:484
	;; [unrolled: 1-line block ×16, first 2 shown]
	s_cbranch_scc1 .LBB122_736
.LBB122_737:
	s_or_b32 exec_lo, exec_lo, s4
	v_mov_b32_e32 v3, s50
	s_waitcnt_vscnt null, 0x0
	s_barrier
	buffer_gl0_inv
	v_lshl_add_u32 v4, v11, 4, v12
	s_clause 0x3
	buffer_load_dword v0, v3, s[0:3], 0 offen
	buffer_load_dword v1, v3, s[0:3], 0 offen offset:4
	buffer_load_dword v2, v3, s[0:3], 0 offen offset:8
	;; [unrolled: 1-line block ×3, first 2 shown]
	s_cmp_lt_i32 s57, 32
	s_waitcnt vmcnt(0)
	ds_write2_b64 v4, v[0:1], v[2:3] offset1:1
	s_waitcnt lgkmcnt(0)
	s_barrier
	buffer_gl0_inv
	ds_read2_b64 v[0:3], v12 offset0:60 offset1:61
	v_mov_b32_e32 v4, 30
	s_cbranch_scc1 .LBB122_740
; %bb.738:
	v_add3_u32 v10, v14, 0, 0x1f0
	v_mov_b32_e32 v4, 30
	s_mov_b32 s16, 31
	s_inst_prefetch 0x1
	.p2align	6
.LBB122_739:                            ; =>This Inner Loop Header: Depth=1
	s_waitcnt lgkmcnt(0)
	v_cmp_gt_f64_e32 vcc_lo, 0, v[2:3]
	v_cmp_gt_f64_e64 s4, 0, v[0:1]
	ds_read2_b64 v[15:18], v10 offset1:1
	v_xor_b32_e32 v20, 0x80000000, v1
	v_xor_b32_e32 v22, 0x80000000, v3
	v_mov_b32_e32 v19, v0
	v_mov_b32_e32 v21, v2
	v_add_nc_u32_e32 v10, 16, v10
	s_waitcnt lgkmcnt(0)
	v_xor_b32_e32 v24, 0x80000000, v18
	v_cndmask_b32_e64 v20, v1, v20, s4
	v_cndmask_b32_e32 v22, v3, v22, vcc_lo
	v_cmp_gt_f64_e32 vcc_lo, 0, v[17:18]
	v_cmp_gt_f64_e64 s4, 0, v[15:16]
	v_mov_b32_e32 v23, v17
	v_add_f64 v[19:20], v[19:20], v[21:22]
	v_xor_b32_e32 v22, 0x80000000, v16
	v_mov_b32_e32 v21, v15
	v_cndmask_b32_e32 v24, v18, v24, vcc_lo
	v_cndmask_b32_e64 v22, v16, v22, s4
	v_add_f64 v[21:22], v[21:22], v[23:24]
	v_cmp_lt_f64_e32 vcc_lo, v[19:20], v[21:22]
	v_cndmask_b32_e32 v1, v1, v16, vcc_lo
	v_cndmask_b32_e32 v0, v0, v15, vcc_lo
	;; [unrolled: 1-line block ×4, first 2 shown]
	v_cndmask_b32_e64 v4, v4, s16, vcc_lo
	s_add_i32 s16, s16, 1
	s_cmp_lg_u32 s57, s16
	s_cbranch_scc1 .LBB122_739
.LBB122_740:
	s_inst_prefetch 0x2
	s_waitcnt lgkmcnt(0)
	v_cmp_eq_f64_e32 vcc_lo, 0, v[0:1]
	v_cmp_eq_f64_e64 s4, 0, v[2:3]
	s_and_b32 s4, vcc_lo, s4
	s_and_saveexec_b32 s16, s4
	s_xor_b32 s4, exec_lo, s16
; %bb.741:
	v_cmp_ne_u32_e32 vcc_lo, 0, v13
	v_cndmask_b32_e32 v13, 31, v13, vcc_lo
; %bb.742:
	s_andn2_saveexec_b32 s4, s4
	s_cbranch_execz .LBB122_748
; %bb.743:
	v_cmp_ngt_f64_e64 s16, |v[0:1]|, |v[2:3]|
	s_and_saveexec_b32 s17, s16
	s_xor_b32 s16, exec_lo, s17
	s_cbranch_execz .LBB122_745
; %bb.744:
	v_div_scale_f64 v[15:16], null, v[2:3], v[2:3], v[0:1]
	v_div_scale_f64 v[21:22], vcc_lo, v[0:1], v[2:3], v[0:1]
	v_rcp_f64_e32 v[17:18], v[15:16]
	v_fma_f64 v[19:20], -v[15:16], v[17:18], 1.0
	v_fma_f64 v[17:18], v[17:18], v[19:20], v[17:18]
	v_fma_f64 v[19:20], -v[15:16], v[17:18], 1.0
	v_fma_f64 v[17:18], v[17:18], v[19:20], v[17:18]
	v_mul_f64 v[19:20], v[21:22], v[17:18]
	v_fma_f64 v[15:16], -v[15:16], v[19:20], v[21:22]
	v_div_fmas_f64 v[15:16], v[15:16], v[17:18], v[19:20]
	v_div_fixup_f64 v[15:16], v[15:16], v[2:3], v[0:1]
	v_fma_f64 v[0:1], v[0:1], v[15:16], v[2:3]
	v_div_scale_f64 v[2:3], null, v[0:1], v[0:1], 1.0
	v_rcp_f64_e32 v[17:18], v[2:3]
	v_fma_f64 v[19:20], -v[2:3], v[17:18], 1.0
	v_fma_f64 v[17:18], v[17:18], v[19:20], v[17:18]
	v_fma_f64 v[19:20], -v[2:3], v[17:18], 1.0
	v_fma_f64 v[17:18], v[17:18], v[19:20], v[17:18]
	v_div_scale_f64 v[19:20], vcc_lo, 1.0, v[0:1], 1.0
	v_mul_f64 v[21:22], v[19:20], v[17:18]
	v_fma_f64 v[2:3], -v[2:3], v[21:22], v[19:20]
	v_div_fmas_f64 v[2:3], v[2:3], v[17:18], v[21:22]
	v_div_fixup_f64 v[2:3], v[2:3], v[0:1], 1.0
	v_mul_f64 v[0:1], v[15:16], v[2:3]
	v_xor_b32_e32 v3, 0x80000000, v3
.LBB122_745:
	s_andn2_saveexec_b32 s16, s16
	s_cbranch_execz .LBB122_747
; %bb.746:
	v_div_scale_f64 v[15:16], null, v[0:1], v[0:1], v[2:3]
	v_div_scale_f64 v[21:22], vcc_lo, v[2:3], v[0:1], v[2:3]
	v_rcp_f64_e32 v[17:18], v[15:16]
	v_fma_f64 v[19:20], -v[15:16], v[17:18], 1.0
	v_fma_f64 v[17:18], v[17:18], v[19:20], v[17:18]
	v_fma_f64 v[19:20], -v[15:16], v[17:18], 1.0
	v_fma_f64 v[17:18], v[17:18], v[19:20], v[17:18]
	v_mul_f64 v[19:20], v[21:22], v[17:18]
	v_fma_f64 v[15:16], -v[15:16], v[19:20], v[21:22]
	v_div_fmas_f64 v[15:16], v[15:16], v[17:18], v[19:20]
	v_div_fixup_f64 v[15:16], v[15:16], v[0:1], v[2:3]
	v_fma_f64 v[0:1], v[2:3], v[15:16], v[0:1]
	v_div_scale_f64 v[2:3], null, v[0:1], v[0:1], 1.0
	v_rcp_f64_e32 v[17:18], v[2:3]
	v_fma_f64 v[19:20], -v[2:3], v[17:18], 1.0
	v_fma_f64 v[17:18], v[17:18], v[19:20], v[17:18]
	v_fma_f64 v[19:20], -v[2:3], v[17:18], 1.0
	v_fma_f64 v[17:18], v[17:18], v[19:20], v[17:18]
	v_div_scale_f64 v[19:20], vcc_lo, 1.0, v[0:1], 1.0
	v_mul_f64 v[21:22], v[19:20], v[17:18]
	v_fma_f64 v[2:3], -v[2:3], v[21:22], v[19:20]
	v_div_fmas_f64 v[2:3], v[2:3], v[17:18], v[21:22]
	v_div_fixup_f64 v[0:1], v[2:3], v[0:1], 1.0
	v_mul_f64 v[2:3], v[15:16], -v[0:1]
.LBB122_747:
	s_or_b32 exec_lo, exec_lo, s16
.LBB122_748:
	s_or_b32 exec_lo, exec_lo, s4
	s_mov_b32 s4, exec_lo
	v_cmpx_ne_u32_e64 v11, v4
	s_xor_b32 s4, exec_lo, s4
	s_cbranch_execz .LBB122_754
; %bb.749:
	s_mov_b32 s16, exec_lo
	v_cmpx_eq_u32_e32 30, v11
	s_cbranch_execz .LBB122_753
; %bb.750:
	v_cmp_ne_u32_e32 vcc_lo, 30, v4
	s_xor_b32 s17, s20, -1
	s_and_b32 s56, s17, vcc_lo
	s_and_saveexec_b32 s17, s56
	s_cbranch_execz .LBB122_752
; %bb.751:
	v_ashrrev_i32_e32 v5, 31, v4
	v_lshlrev_b64 v[10:11], 2, v[4:5]
	v_add_co_u32 v10, vcc_lo, v8, v10
	v_add_co_ci_u32_e64 v11, null, v9, v11, vcc_lo
	s_clause 0x1
	global_load_dword v5, v[10:11], off
	global_load_dword v15, v[8:9], off offset:120
	s_waitcnt vmcnt(1)
	global_store_dword v[8:9], v5, off offset:120
	s_waitcnt vmcnt(0)
	global_store_dword v[10:11], v15, off
.LBB122_752:
	s_or_b32 exec_lo, exec_lo, s17
	v_mov_b32_e32 v11, v4
	v_mov_b32_e32 v5, v4
.LBB122_753:
	s_or_b32 exec_lo, exec_lo, s16
.LBB122_754:
	s_andn2_saveexec_b32 s4, s4
	s_cbranch_execz .LBB122_756
; %bb.755:
	v_mov_b32_e32 v4, s49
	v_mov_b32_e32 v10, s48
	;; [unrolled: 1-line block ×3, first 2 shown]
	s_clause 0x7
	buffer_load_dword v15, v4, s[0:3], 0 offen
	buffer_load_dword v16, v4, s[0:3], 0 offen offset:4
	buffer_load_dword v17, v4, s[0:3], 0 offen offset:8
	buffer_load_dword v18, v4, s[0:3], 0 offen offset:12
	buffer_load_dword v19, v10, s[0:3], 0 offen
	buffer_load_dword v20, v10, s[0:3], 0 offen offset:4
	buffer_load_dword v21, v10, s[0:3], 0 offen offset:8
	buffer_load_dword v22, v10, s[0:3], 0 offen offset:12
	v_mov_b32_e32 v10, s45
	v_mov_b32_e32 v4, s46
	s_clause 0x7
	buffer_load_dword v23, v11, s[0:3], 0 offen
	buffer_load_dword v24, v11, s[0:3], 0 offen offset:4
	buffer_load_dword v25, v11, s[0:3], 0 offen offset:8
	buffer_load_dword v26, v11, s[0:3], 0 offen offset:12
	buffer_load_dword v27, v4, s[0:3], 0 offen
	buffer_load_dword v28, v4, s[0:3], 0 offen offset:4
	buffer_load_dword v29, v4, s[0:3], 0 offen offset:8
	buffer_load_dword v30, v4, s[0:3], 0 offen offset:12
	v_mov_b32_e32 v4, s44
	v_mov_b32_e32 v11, s43
	;; [unrolled: 11-line block ×14, first 2 shown]
	s_clause 0xb
	buffer_load_dword v130, v10, s[0:3], 0 offen
	buffer_load_dword v131, v10, s[0:3], 0 offen offset:4
	buffer_load_dword v132, v10, s[0:3], 0 offen offset:8
	buffer_load_dword v133, v10, s[0:3], 0 offen offset:12
	buffer_load_dword v134, v4, s[0:3], 0 offen
	buffer_load_dword v135, v4, s[0:3], 0 offen offset:4
	buffer_load_dword v136, v4, s[0:3], 0 offen offset:8
	buffer_load_dword v137, v4, s[0:3], 0 offen offset:12
	buffer_load_dword v138, v11, s[0:3], 0 offen
	buffer_load_dword v139, v11, s[0:3], 0 offen offset:4
	buffer_load_dword v140, v11, s[0:3], 0 offen offset:8
	buffer_load_dword v141, v11, s[0:3], 0 offen offset:12
	v_mov_b32_e32 v11, 30
	s_waitcnt vmcnt(62)
	ds_write2_b64 v12, v[15:16], v[17:18] offset0:62 offset1:63
	ds_write2_b64 v12, v[19:20], v[21:22] offset0:64 offset1:65
	;; [unrolled: 1-line block ×15, first 2 shown]
	s_waitcnt vmcnt(60)
	ds_write2_b64 v12, v[75:76], v[77:78] offset0:92 offset1:93
	s_waitcnt vmcnt(56)
	ds_write2_b64 v12, v[79:80], v[81:82] offset0:94 offset1:95
	;; [unrolled: 2-line block ×16, first 2 shown]
.LBB122_756:
	s_or_b32 exec_lo, exec_lo, s4
	s_mov_b32 s4, exec_lo
	s_waitcnt lgkmcnt(0)
	s_waitcnt_vscnt null, 0x0
	s_barrier
	buffer_gl0_inv
	v_cmpx_lt_i32_e32 30, v11
	s_cbranch_execz .LBB122_761
; %bb.757:
	s_clause 0x3
	buffer_load_dword v15, off, s[0:3], 0 offset:488
	buffer_load_dword v16, off, s[0:3], 0 offset:492
	;; [unrolled: 1-line block ×4, first 2 shown]
	v_add3_u32 v4, v14, 0, 0x1f0
	s_mov_b32 s16, 0
	s_waitcnt vmcnt(2)
	v_mul_f64 v[19:20], v[2:3], v[15:16]
	v_mul_f64 v[15:16], v[0:1], v[15:16]
	s_waitcnt vmcnt(0)
	v_fma_f64 v[0:1], v[0:1], v[17:18], -v[19:20]
	v_fma_f64 v[2:3], v[2:3], v[17:18], v[15:16]
	buffer_store_dword v0, off, s[0:3], 0 offset:480
	buffer_store_dword v1, off, s[0:3], 0 offset:484
	;; [unrolled: 1-line block ×4, first 2 shown]
	s_branch .LBB122_759
.LBB122_758:                            ;   in Loop: Header=BB122_759 Depth=1
	s_andn2_b32 vcc_lo, exec_lo, s56
	s_cbranch_vccz .LBB122_761
.LBB122_759:                            ; =>This Inner Loop Header: Depth=1
	v_mov_b32_e32 v51, s16
	v_add_nc_u32_e32 v10, s16, v4
	s_mov_b32 s17, s16
	s_mov_b32 s56, -1
	s_cmpk_eq_i32 s16, 0x1c0
	s_clause 0xb
	buffer_load_dword v27, v51, s[0:3], 0 offen offset:496
	buffer_load_dword v28, v51, s[0:3], 0 offen offset:500
	;; [unrolled: 1-line block ×12, first 2 shown]
	ds_read2_b64 v[15:18], v10 offset1:1
	ds_read2_b64 v[19:22], v10 offset0:2 offset1:3
	ds_read2_b64 v[23:26], v10 offset0:4 offset1:5
	s_waitcnt lgkmcnt(2)
	v_mul_f64 v[39:40], v[17:18], v[2:3]
	v_mul_f64 v[41:42], v[15:16], v[2:3]
	s_waitcnt lgkmcnt(1)
	v_mul_f64 v[43:44], v[21:22], v[2:3]
	v_mul_f64 v[45:46], v[19:20], v[2:3]
	;; [unrolled: 3-line block ×3, first 2 shown]
	v_fma_f64 v[15:16], v[15:16], v[0:1], -v[39:40]
	v_fma_f64 v[17:18], v[17:18], v[0:1], v[41:42]
	v_fma_f64 v[19:20], v[19:20], v[0:1], -v[43:44]
	v_fma_f64 v[21:22], v[21:22], v[0:1], v[45:46]
	;; [unrolled: 2-line block ×3, first 2 shown]
	s_waitcnt vmcnt(10)
	v_add_f64 v[15:16], v[27:28], -v[15:16]
	s_waitcnt vmcnt(8)
	v_add_f64 v[17:18], v[29:30], -v[17:18]
	;; [unrolled: 2-line block ×6, first 2 shown]
	buffer_store_dword v15, v51, s[0:3], 0 offen offset:496
	buffer_store_dword v16, v51, s[0:3], 0 offen offset:500
	;; [unrolled: 1-line block ×12, first 2 shown]
	s_cbranch_scc1 .LBB122_758
; %bb.760:                              ;   in Loop: Header=BB122_759 Depth=1
	v_mov_b32_e32 v27, s17
	s_add_i32 s16, s16, 64
	s_mov_b32 s56, 0
	s_clause 0x3
	buffer_load_dword v19, v27, s[0:3], 0 offen offset:544
	buffer_load_dword v20, v27, s[0:3], 0 offen offset:548
	;; [unrolled: 1-line block ×4, first 2 shown]
	ds_read2_b64 v[15:18], v10 offset0:6 offset1:7
	s_waitcnt lgkmcnt(0)
	v_mul_f64 v[23:24], v[17:18], v[2:3]
	v_mul_f64 v[25:26], v[15:16], v[2:3]
	v_fma_f64 v[15:16], v[15:16], v[0:1], -v[23:24]
	v_fma_f64 v[17:18], v[17:18], v[0:1], v[25:26]
	s_waitcnt vmcnt(2)
	v_add_f64 v[15:16], v[19:20], -v[15:16]
	s_waitcnt vmcnt(0)
	v_add_f64 v[17:18], v[21:22], -v[17:18]
	buffer_store_dword v15, v27, s[0:3], 0 offen offset:544
	buffer_store_dword v16, v27, s[0:3], 0 offen offset:548
	;; [unrolled: 1-line block ×4, first 2 shown]
	s_branch .LBB122_758
.LBB122_761:
	s_or_b32 exec_lo, exec_lo, s4
	v_mov_b32_e32 v3, s49
	s_waitcnt_vscnt null, 0x0
	s_barrier
	buffer_gl0_inv
	v_lshl_add_u32 v4, v11, 4, v12
	s_clause 0x3
	buffer_load_dword v0, v3, s[0:3], 0 offen
	buffer_load_dword v1, v3, s[0:3], 0 offen offset:4
	buffer_load_dword v2, v3, s[0:3], 0 offen offset:8
	buffer_load_dword v3, v3, s[0:3], 0 offen offset:12
	s_cmp_lt_i32 s57, 33
	s_waitcnt vmcnt(0)
	ds_write2_b64 v4, v[0:1], v[2:3] offset1:1
	s_waitcnt lgkmcnt(0)
	s_barrier
	buffer_gl0_inv
	ds_read2_b64 v[0:3], v12 offset0:62 offset1:63
	v_mov_b32_e32 v4, 31
	s_cbranch_scc1 .LBB122_764
; %bb.762:
	v_add3_u32 v10, v14, 0, 0x200
	v_mov_b32_e32 v4, 31
	s_mov_b32 s16, 32
	s_inst_prefetch 0x1
	.p2align	6
.LBB122_763:                            ; =>This Inner Loop Header: Depth=1
	s_waitcnt lgkmcnt(0)
	v_cmp_gt_f64_e32 vcc_lo, 0, v[2:3]
	v_cmp_gt_f64_e64 s4, 0, v[0:1]
	ds_read2_b64 v[15:18], v10 offset1:1
	v_xor_b32_e32 v20, 0x80000000, v1
	v_xor_b32_e32 v22, 0x80000000, v3
	v_mov_b32_e32 v19, v0
	v_mov_b32_e32 v21, v2
	v_add_nc_u32_e32 v10, 16, v10
	s_waitcnt lgkmcnt(0)
	v_xor_b32_e32 v24, 0x80000000, v18
	v_cndmask_b32_e64 v20, v1, v20, s4
	v_cndmask_b32_e32 v22, v3, v22, vcc_lo
	v_cmp_gt_f64_e32 vcc_lo, 0, v[17:18]
	v_cmp_gt_f64_e64 s4, 0, v[15:16]
	v_mov_b32_e32 v23, v17
	v_add_f64 v[19:20], v[19:20], v[21:22]
	v_xor_b32_e32 v22, 0x80000000, v16
	v_mov_b32_e32 v21, v15
	v_cndmask_b32_e32 v24, v18, v24, vcc_lo
	v_cndmask_b32_e64 v22, v16, v22, s4
	v_add_f64 v[21:22], v[21:22], v[23:24]
	v_cmp_lt_f64_e32 vcc_lo, v[19:20], v[21:22]
	v_cndmask_b32_e32 v1, v1, v16, vcc_lo
	v_cndmask_b32_e32 v0, v0, v15, vcc_lo
	;; [unrolled: 1-line block ×4, first 2 shown]
	v_cndmask_b32_e64 v4, v4, s16, vcc_lo
	s_add_i32 s16, s16, 1
	s_cmp_lg_u32 s57, s16
	s_cbranch_scc1 .LBB122_763
.LBB122_764:
	s_inst_prefetch 0x2
	s_waitcnt lgkmcnt(0)
	v_cmp_eq_f64_e32 vcc_lo, 0, v[0:1]
	v_cmp_eq_f64_e64 s4, 0, v[2:3]
	s_and_b32 s4, vcc_lo, s4
	s_and_saveexec_b32 s16, s4
	s_xor_b32 s4, exec_lo, s16
; %bb.765:
	v_cmp_ne_u32_e32 vcc_lo, 0, v13
	v_cndmask_b32_e32 v13, 32, v13, vcc_lo
; %bb.766:
	s_andn2_saveexec_b32 s4, s4
	s_cbranch_execz .LBB122_772
; %bb.767:
	v_cmp_ngt_f64_e64 s16, |v[0:1]|, |v[2:3]|
	s_and_saveexec_b32 s17, s16
	s_xor_b32 s16, exec_lo, s17
	s_cbranch_execz .LBB122_769
; %bb.768:
	v_div_scale_f64 v[15:16], null, v[2:3], v[2:3], v[0:1]
	v_div_scale_f64 v[21:22], vcc_lo, v[0:1], v[2:3], v[0:1]
	v_rcp_f64_e32 v[17:18], v[15:16]
	v_fma_f64 v[19:20], -v[15:16], v[17:18], 1.0
	v_fma_f64 v[17:18], v[17:18], v[19:20], v[17:18]
	v_fma_f64 v[19:20], -v[15:16], v[17:18], 1.0
	v_fma_f64 v[17:18], v[17:18], v[19:20], v[17:18]
	v_mul_f64 v[19:20], v[21:22], v[17:18]
	v_fma_f64 v[15:16], -v[15:16], v[19:20], v[21:22]
	v_div_fmas_f64 v[15:16], v[15:16], v[17:18], v[19:20]
	v_div_fixup_f64 v[15:16], v[15:16], v[2:3], v[0:1]
	v_fma_f64 v[0:1], v[0:1], v[15:16], v[2:3]
	v_div_scale_f64 v[2:3], null, v[0:1], v[0:1], 1.0
	v_rcp_f64_e32 v[17:18], v[2:3]
	v_fma_f64 v[19:20], -v[2:3], v[17:18], 1.0
	v_fma_f64 v[17:18], v[17:18], v[19:20], v[17:18]
	v_fma_f64 v[19:20], -v[2:3], v[17:18], 1.0
	v_fma_f64 v[17:18], v[17:18], v[19:20], v[17:18]
	v_div_scale_f64 v[19:20], vcc_lo, 1.0, v[0:1], 1.0
	v_mul_f64 v[21:22], v[19:20], v[17:18]
	v_fma_f64 v[2:3], -v[2:3], v[21:22], v[19:20]
	v_div_fmas_f64 v[2:3], v[2:3], v[17:18], v[21:22]
	v_div_fixup_f64 v[2:3], v[2:3], v[0:1], 1.0
	v_mul_f64 v[0:1], v[15:16], v[2:3]
	v_xor_b32_e32 v3, 0x80000000, v3
.LBB122_769:
	s_andn2_saveexec_b32 s16, s16
	s_cbranch_execz .LBB122_771
; %bb.770:
	v_div_scale_f64 v[15:16], null, v[0:1], v[0:1], v[2:3]
	v_div_scale_f64 v[21:22], vcc_lo, v[2:3], v[0:1], v[2:3]
	v_rcp_f64_e32 v[17:18], v[15:16]
	v_fma_f64 v[19:20], -v[15:16], v[17:18], 1.0
	v_fma_f64 v[17:18], v[17:18], v[19:20], v[17:18]
	v_fma_f64 v[19:20], -v[15:16], v[17:18], 1.0
	v_fma_f64 v[17:18], v[17:18], v[19:20], v[17:18]
	v_mul_f64 v[19:20], v[21:22], v[17:18]
	v_fma_f64 v[15:16], -v[15:16], v[19:20], v[21:22]
	v_div_fmas_f64 v[15:16], v[15:16], v[17:18], v[19:20]
	v_div_fixup_f64 v[15:16], v[15:16], v[0:1], v[2:3]
	v_fma_f64 v[0:1], v[2:3], v[15:16], v[0:1]
	v_div_scale_f64 v[2:3], null, v[0:1], v[0:1], 1.0
	v_rcp_f64_e32 v[17:18], v[2:3]
	v_fma_f64 v[19:20], -v[2:3], v[17:18], 1.0
	v_fma_f64 v[17:18], v[17:18], v[19:20], v[17:18]
	v_fma_f64 v[19:20], -v[2:3], v[17:18], 1.0
	v_fma_f64 v[17:18], v[17:18], v[19:20], v[17:18]
	v_div_scale_f64 v[19:20], vcc_lo, 1.0, v[0:1], 1.0
	v_mul_f64 v[21:22], v[19:20], v[17:18]
	v_fma_f64 v[2:3], -v[2:3], v[21:22], v[19:20]
	v_div_fmas_f64 v[2:3], v[2:3], v[17:18], v[21:22]
	v_div_fixup_f64 v[0:1], v[2:3], v[0:1], 1.0
	v_mul_f64 v[2:3], v[15:16], -v[0:1]
.LBB122_771:
	s_or_b32 exec_lo, exec_lo, s16
.LBB122_772:
	s_or_b32 exec_lo, exec_lo, s4
	s_mov_b32 s4, exec_lo
	v_cmpx_ne_u32_e64 v11, v4
	s_xor_b32 s4, exec_lo, s4
	s_cbranch_execz .LBB122_778
; %bb.773:
	s_mov_b32 s16, exec_lo
	v_cmpx_eq_u32_e32 31, v11
	s_cbranch_execz .LBB122_777
; %bb.774:
	v_cmp_ne_u32_e32 vcc_lo, 31, v4
	s_xor_b32 s17, s20, -1
	s_and_b32 s56, s17, vcc_lo
	s_and_saveexec_b32 s17, s56
	s_cbranch_execz .LBB122_776
; %bb.775:
	v_ashrrev_i32_e32 v5, 31, v4
	v_lshlrev_b64 v[10:11], 2, v[4:5]
	v_add_co_u32 v10, vcc_lo, v8, v10
	v_add_co_ci_u32_e64 v11, null, v9, v11, vcc_lo
	s_clause 0x1
	global_load_dword v5, v[10:11], off
	global_load_dword v15, v[8:9], off offset:124
	s_waitcnt vmcnt(1)
	global_store_dword v[8:9], v5, off offset:124
	s_waitcnt vmcnt(0)
	global_store_dword v[10:11], v15, off
.LBB122_776:
	s_or_b32 exec_lo, exec_lo, s17
	v_mov_b32_e32 v11, v4
	v_mov_b32_e32 v5, v4
.LBB122_777:
	s_or_b32 exec_lo, exec_lo, s16
.LBB122_778:
	s_andn2_saveexec_b32 s4, s4
	s_cbranch_execz .LBB122_780
; %bb.779:
	v_mov_b32_e32 v4, s48
	v_mov_b32_e32 v10, s47
	;; [unrolled: 1-line block ×3, first 2 shown]
	s_clause 0x7
	buffer_load_dword v15, v4, s[0:3], 0 offen
	buffer_load_dword v16, v4, s[0:3], 0 offen offset:4
	buffer_load_dword v17, v4, s[0:3], 0 offen offset:8
	buffer_load_dword v18, v4, s[0:3], 0 offen offset:12
	buffer_load_dword v19, v10, s[0:3], 0 offen
	buffer_load_dword v20, v10, s[0:3], 0 offen offset:4
	buffer_load_dword v21, v10, s[0:3], 0 offen offset:8
	buffer_load_dword v22, v10, s[0:3], 0 offen offset:12
	v_mov_b32_e32 v10, s44
	v_mov_b32_e32 v4, s45
	s_clause 0x7
	buffer_load_dword v23, v11, s[0:3], 0 offen
	buffer_load_dword v24, v11, s[0:3], 0 offen offset:4
	buffer_load_dword v25, v11, s[0:3], 0 offen offset:8
	buffer_load_dword v26, v11, s[0:3], 0 offen offset:12
	buffer_load_dword v27, v4, s[0:3], 0 offen
	buffer_load_dword v28, v4, s[0:3], 0 offen offset:4
	buffer_load_dword v29, v4, s[0:3], 0 offen offset:8
	buffer_load_dword v30, v4, s[0:3], 0 offen offset:12
	v_mov_b32_e32 v4, s43
	v_mov_b32_e32 v11, s42
	;; [unrolled: 11-line block ×13, first 2 shown]
	s_clause 0x7
	buffer_load_dword v119, v11, s[0:3], 0 offen
	buffer_load_dword v120, v11, s[0:3], 0 offen offset:4
	buffer_load_dword v121, v11, s[0:3], 0 offen offset:8
	;; [unrolled: 1-line block ×3, first 2 shown]
	buffer_load_dword v123, v4, s[0:3], 0 offen
	buffer_load_dword v124, v4, s[0:3], 0 offen offset:4
	buffer_load_dword v125, v4, s[0:3], 0 offen offset:8
	;; [unrolled: 1-line block ×3, first 2 shown]
	v_mov_b32_e32 v4, s5
	s_clause 0x7
	buffer_load_dword v130, v10, s[0:3], 0 offen
	buffer_load_dword v131, v10, s[0:3], 0 offen offset:4
	buffer_load_dword v132, v10, s[0:3], 0 offen offset:8
	;; [unrolled: 1-line block ×3, first 2 shown]
	buffer_load_dword v134, v4, s[0:3], 0 offen
	buffer_load_dword v135, v4, s[0:3], 0 offen offset:4
	buffer_load_dword v136, v4, s[0:3], 0 offen offset:8
	buffer_load_dword v137, v4, s[0:3], 0 offen offset:12
	v_mov_b32_e32 v11, 31
	s_waitcnt vmcnt(62)
	ds_write2_b64 v12, v[15:16], v[17:18] offset0:64 offset1:65
	ds_write2_b64 v12, v[19:20], v[21:22] offset0:66 offset1:67
	;; [unrolled: 1-line block ×14, first 2 shown]
	s_waitcnt vmcnt(60)
	ds_write2_b64 v12, v[71:72], v[73:74] offset0:92 offset1:93
	s_waitcnt vmcnt(56)
	ds_write2_b64 v12, v[75:76], v[77:78] offset0:94 offset1:95
	;; [unrolled: 2-line block ×16, first 2 shown]
.LBB122_780:
	s_or_b32 exec_lo, exec_lo, s4
	s_mov_b32 s4, exec_lo
	s_waitcnt lgkmcnt(0)
	s_waitcnt_vscnt null, 0x0
	s_barrier
	buffer_gl0_inv
	v_cmpx_lt_i32_e32 31, v11
	s_cbranch_execz .LBB122_783
; %bb.781:
	s_clause 0x3
	buffer_load_dword v15, off, s[0:3], 0 offset:504
	buffer_load_dword v16, off, s[0:3], 0 offset:508
	;; [unrolled: 1-line block ×4, first 2 shown]
	v_add3_u32 v4, v14, 0, 0x200
	s_mov_b32 s81, 0
	s_waitcnt vmcnt(2)
	v_mul_f64 v[19:20], v[2:3], v[15:16]
	v_mul_f64 v[15:16], v[0:1], v[15:16]
	s_waitcnt vmcnt(0)
	v_fma_f64 v[0:1], v[0:1], v[17:18], -v[19:20]
	v_fma_f64 v[2:3], v[2:3], v[17:18], v[15:16]
	buffer_store_dword v0, off, s[0:3], 0 offset:496
	buffer_store_dword v1, off, s[0:3], 0 offset:500
	;; [unrolled: 1-line block ×4, first 2 shown]
.LBB122_782:                            ; =>This Inner Loop Header: Depth=1
	v_mov_b32_e32 v10, s81
	v_add_nc_u32_e32 v35, s81, v4
	s_addk_i32 s81, 0x60
	s_clause 0x17
	buffer_load_dword v39, v10, s[0:3], 0 offen offset:512
	buffer_load_dword v40, v10, s[0:3], 0 offen offset:516
	;; [unrolled: 1-line block ×24, first 2 shown]
	ds_read2_b64 v[15:18], v35 offset1:1
	ds_read2_b64 v[19:22], v35 offset0:2 offset1:3
	ds_read2_b64 v[23:26], v35 offset0:4 offset1:5
	;; [unrolled: 1-line block ×5, first 2 shown]
	s_cmpk_lg_i32 s81, 0x1e0
	s_waitcnt lgkmcnt(5)
	v_mul_f64 v[63:64], v[17:18], v[2:3]
	v_mul_f64 v[65:66], v[15:16], v[2:3]
	s_waitcnt lgkmcnt(4)
	v_mul_f64 v[67:68], v[21:22], v[2:3]
	v_mul_f64 v[69:70], v[19:20], v[2:3]
	;; [unrolled: 3-line block ×6, first 2 shown]
	v_fma_f64 v[15:16], v[15:16], v[0:1], -v[63:64]
	v_fma_f64 v[17:18], v[17:18], v[0:1], v[65:66]
	v_fma_f64 v[19:20], v[19:20], v[0:1], -v[67:68]
	v_fma_f64 v[21:22], v[21:22], v[0:1], v[69:70]
	;; [unrolled: 2-line block ×6, first 2 shown]
	s_waitcnt vmcnt(22)
	v_add_f64 v[15:16], v[39:40], -v[15:16]
	s_waitcnt vmcnt(20)
	v_add_f64 v[17:18], v[41:42], -v[17:18]
	;; [unrolled: 2-line block ×12, first 2 shown]
	buffer_store_dword v15, v10, s[0:3], 0 offen offset:512
	buffer_store_dword v16, v10, s[0:3], 0 offen offset:516
	;; [unrolled: 1-line block ×24, first 2 shown]
	s_cbranch_scc1 .LBB122_782
.LBB122_783:
	s_or_b32 exec_lo, exec_lo, s4
	v_mov_b32_e32 v3, s48
	s_waitcnt_vscnt null, 0x0
	s_barrier
	buffer_gl0_inv
	v_lshl_add_u32 v4, v11, 4, v12
	s_clause 0x3
	buffer_load_dword v0, v3, s[0:3], 0 offen
	buffer_load_dword v1, v3, s[0:3], 0 offen offset:4
	buffer_load_dword v2, v3, s[0:3], 0 offen offset:8
	;; [unrolled: 1-line block ×3, first 2 shown]
	s_cmp_lt_i32 s57, 34
	s_waitcnt vmcnt(0)
	ds_write2_b64 v4, v[0:1], v[2:3] offset1:1
	s_waitcnt lgkmcnt(0)
	s_barrier
	buffer_gl0_inv
	ds_read2_b64 v[0:3], v12 offset0:64 offset1:65
	v_mov_b32_e32 v4, 32
	s_cbranch_scc1 .LBB122_786
; %bb.784:
	v_add3_u32 v10, v14, 0, 0x210
	v_mov_b32_e32 v4, 32
	s_mov_b32 s16, 33
	s_inst_prefetch 0x1
	.p2align	6
.LBB122_785:                            ; =>This Inner Loop Header: Depth=1
	s_waitcnt lgkmcnt(0)
	v_cmp_gt_f64_e32 vcc_lo, 0, v[2:3]
	v_cmp_gt_f64_e64 s4, 0, v[0:1]
	ds_read2_b64 v[15:18], v10 offset1:1
	v_xor_b32_e32 v20, 0x80000000, v1
	v_xor_b32_e32 v22, 0x80000000, v3
	v_mov_b32_e32 v19, v0
	v_mov_b32_e32 v21, v2
	v_add_nc_u32_e32 v10, 16, v10
	s_waitcnt lgkmcnt(0)
	v_xor_b32_e32 v24, 0x80000000, v18
	v_cndmask_b32_e64 v20, v1, v20, s4
	v_cndmask_b32_e32 v22, v3, v22, vcc_lo
	v_cmp_gt_f64_e32 vcc_lo, 0, v[17:18]
	v_cmp_gt_f64_e64 s4, 0, v[15:16]
	v_mov_b32_e32 v23, v17
	v_add_f64 v[19:20], v[19:20], v[21:22]
	v_xor_b32_e32 v22, 0x80000000, v16
	v_mov_b32_e32 v21, v15
	v_cndmask_b32_e32 v24, v18, v24, vcc_lo
	v_cndmask_b32_e64 v22, v16, v22, s4
	v_add_f64 v[21:22], v[21:22], v[23:24]
	v_cmp_lt_f64_e32 vcc_lo, v[19:20], v[21:22]
	v_cndmask_b32_e32 v1, v1, v16, vcc_lo
	v_cndmask_b32_e32 v0, v0, v15, vcc_lo
	;; [unrolled: 1-line block ×4, first 2 shown]
	v_cndmask_b32_e64 v4, v4, s16, vcc_lo
	s_add_i32 s16, s16, 1
	s_cmp_lg_u32 s57, s16
	s_cbranch_scc1 .LBB122_785
.LBB122_786:
	s_inst_prefetch 0x2
	s_waitcnt lgkmcnt(0)
	v_cmp_eq_f64_e32 vcc_lo, 0, v[0:1]
	v_cmp_eq_f64_e64 s4, 0, v[2:3]
	s_and_b32 s4, vcc_lo, s4
	s_and_saveexec_b32 s16, s4
	s_xor_b32 s4, exec_lo, s16
; %bb.787:
	v_cmp_ne_u32_e32 vcc_lo, 0, v13
	v_cndmask_b32_e32 v13, 33, v13, vcc_lo
; %bb.788:
	s_andn2_saveexec_b32 s4, s4
	s_cbranch_execz .LBB122_794
; %bb.789:
	v_cmp_ngt_f64_e64 s16, |v[0:1]|, |v[2:3]|
	s_and_saveexec_b32 s17, s16
	s_xor_b32 s16, exec_lo, s17
	s_cbranch_execz .LBB122_791
; %bb.790:
	v_div_scale_f64 v[15:16], null, v[2:3], v[2:3], v[0:1]
	v_div_scale_f64 v[21:22], vcc_lo, v[0:1], v[2:3], v[0:1]
	v_rcp_f64_e32 v[17:18], v[15:16]
	v_fma_f64 v[19:20], -v[15:16], v[17:18], 1.0
	v_fma_f64 v[17:18], v[17:18], v[19:20], v[17:18]
	v_fma_f64 v[19:20], -v[15:16], v[17:18], 1.0
	v_fma_f64 v[17:18], v[17:18], v[19:20], v[17:18]
	v_mul_f64 v[19:20], v[21:22], v[17:18]
	v_fma_f64 v[15:16], -v[15:16], v[19:20], v[21:22]
	v_div_fmas_f64 v[15:16], v[15:16], v[17:18], v[19:20]
	v_div_fixup_f64 v[15:16], v[15:16], v[2:3], v[0:1]
	v_fma_f64 v[0:1], v[0:1], v[15:16], v[2:3]
	v_div_scale_f64 v[2:3], null, v[0:1], v[0:1], 1.0
	v_rcp_f64_e32 v[17:18], v[2:3]
	v_fma_f64 v[19:20], -v[2:3], v[17:18], 1.0
	v_fma_f64 v[17:18], v[17:18], v[19:20], v[17:18]
	v_fma_f64 v[19:20], -v[2:3], v[17:18], 1.0
	v_fma_f64 v[17:18], v[17:18], v[19:20], v[17:18]
	v_div_scale_f64 v[19:20], vcc_lo, 1.0, v[0:1], 1.0
	v_mul_f64 v[21:22], v[19:20], v[17:18]
	v_fma_f64 v[2:3], -v[2:3], v[21:22], v[19:20]
	v_div_fmas_f64 v[2:3], v[2:3], v[17:18], v[21:22]
	v_div_fixup_f64 v[2:3], v[2:3], v[0:1], 1.0
	v_mul_f64 v[0:1], v[15:16], v[2:3]
	v_xor_b32_e32 v3, 0x80000000, v3
.LBB122_791:
	s_andn2_saveexec_b32 s16, s16
	s_cbranch_execz .LBB122_793
; %bb.792:
	v_div_scale_f64 v[15:16], null, v[0:1], v[0:1], v[2:3]
	v_div_scale_f64 v[21:22], vcc_lo, v[2:3], v[0:1], v[2:3]
	v_rcp_f64_e32 v[17:18], v[15:16]
	v_fma_f64 v[19:20], -v[15:16], v[17:18], 1.0
	v_fma_f64 v[17:18], v[17:18], v[19:20], v[17:18]
	v_fma_f64 v[19:20], -v[15:16], v[17:18], 1.0
	v_fma_f64 v[17:18], v[17:18], v[19:20], v[17:18]
	v_mul_f64 v[19:20], v[21:22], v[17:18]
	v_fma_f64 v[15:16], -v[15:16], v[19:20], v[21:22]
	v_div_fmas_f64 v[15:16], v[15:16], v[17:18], v[19:20]
	v_div_fixup_f64 v[15:16], v[15:16], v[0:1], v[2:3]
	v_fma_f64 v[0:1], v[2:3], v[15:16], v[0:1]
	v_div_scale_f64 v[2:3], null, v[0:1], v[0:1], 1.0
	v_rcp_f64_e32 v[17:18], v[2:3]
	v_fma_f64 v[19:20], -v[2:3], v[17:18], 1.0
	v_fma_f64 v[17:18], v[17:18], v[19:20], v[17:18]
	v_fma_f64 v[19:20], -v[2:3], v[17:18], 1.0
	v_fma_f64 v[17:18], v[17:18], v[19:20], v[17:18]
	v_div_scale_f64 v[19:20], vcc_lo, 1.0, v[0:1], 1.0
	v_mul_f64 v[21:22], v[19:20], v[17:18]
	v_fma_f64 v[2:3], -v[2:3], v[21:22], v[19:20]
	v_div_fmas_f64 v[2:3], v[2:3], v[17:18], v[21:22]
	v_div_fixup_f64 v[0:1], v[2:3], v[0:1], 1.0
	v_mul_f64 v[2:3], v[15:16], -v[0:1]
.LBB122_793:
	s_or_b32 exec_lo, exec_lo, s16
.LBB122_794:
	s_or_b32 exec_lo, exec_lo, s4
	s_mov_b32 s4, exec_lo
	v_cmpx_ne_u32_e64 v11, v4
	s_xor_b32 s4, exec_lo, s4
	s_cbranch_execz .LBB122_800
; %bb.795:
	s_mov_b32 s16, exec_lo
	v_cmpx_eq_u32_e32 32, v11
	s_cbranch_execz .LBB122_799
; %bb.796:
	v_cmp_ne_u32_e32 vcc_lo, 32, v4
	s_xor_b32 s17, s20, -1
	s_and_b32 s56, s17, vcc_lo
	s_and_saveexec_b32 s17, s56
	s_cbranch_execz .LBB122_798
; %bb.797:
	v_ashrrev_i32_e32 v5, 31, v4
	v_lshlrev_b64 v[10:11], 2, v[4:5]
	v_add_co_u32 v10, vcc_lo, v8, v10
	v_add_co_ci_u32_e64 v11, null, v9, v11, vcc_lo
	s_clause 0x1
	global_load_dword v5, v[10:11], off
	global_load_dword v15, v[8:9], off offset:128
	s_waitcnt vmcnt(1)
	global_store_dword v[8:9], v5, off offset:128
	s_waitcnt vmcnt(0)
	global_store_dword v[10:11], v15, off
.LBB122_798:
	s_or_b32 exec_lo, exec_lo, s17
	v_mov_b32_e32 v11, v4
	v_mov_b32_e32 v5, v4
.LBB122_799:
	s_or_b32 exec_lo, exec_lo, s16
.LBB122_800:
	s_andn2_saveexec_b32 s4, s4
	s_cbranch_execz .LBB122_802
; %bb.801:
	v_mov_b32_e32 v4, s47
	v_mov_b32_e32 v11, s45
	;; [unrolled: 1-line block ×3, first 2 shown]
	s_clause 0x7
	buffer_load_dword v15, v4, s[0:3], 0 offen
	buffer_load_dword v16, v4, s[0:3], 0 offen offset:4
	buffer_load_dword v17, v4, s[0:3], 0 offen offset:8
	buffer_load_dword v18, v4, s[0:3], 0 offen offset:12
	buffer_load_dword v19, v10, s[0:3], 0 offen
	buffer_load_dword v20, v10, s[0:3], 0 offen offset:4
	buffer_load_dword v21, v10, s[0:3], 0 offen offset:8
	buffer_load_dword v22, v10, s[0:3], 0 offen offset:12
	v_mov_b32_e32 v4, s44
	v_mov_b32_e32 v10, s43
	s_clause 0x7
	buffer_load_dword v23, v11, s[0:3], 0 offen
	buffer_load_dword v24, v11, s[0:3], 0 offen offset:4
	buffer_load_dword v25, v11, s[0:3], 0 offen offset:8
	buffer_load_dword v26, v11, s[0:3], 0 offen offset:12
	buffer_load_dword v27, v4, s[0:3], 0 offen
	buffer_load_dword v28, v4, s[0:3], 0 offen offset:4
	buffer_load_dword v29, v4, s[0:3], 0 offen offset:8
	buffer_load_dword v30, v4, s[0:3], 0 offen offset:12
	v_mov_b32_e32 v11, s41
	v_mov_b32_e32 v4, s42
	;; [unrolled: 11-line block ×13, first 2 shown]
	s_clause 0xb
	buffer_load_dword v119, v11, s[0:3], 0 offen
	buffer_load_dword v120, v11, s[0:3], 0 offen offset:4
	buffer_load_dword v121, v11, s[0:3], 0 offen offset:8
	buffer_load_dword v122, v11, s[0:3], 0 offen offset:12
	buffer_load_dword v123, v4, s[0:3], 0 offen
	buffer_load_dword v124, v4, s[0:3], 0 offen offset:4
	buffer_load_dword v125, v4, s[0:3], 0 offen offset:8
	buffer_load_dword v126, v4, s[0:3], 0 offen offset:12
	;; [unrolled: 4-line block ×3, first 2 shown]
	v_mov_b32_e32 v11, 32
	s_waitcnt vmcnt(62)
	ds_write2_b64 v12, v[15:16], v[17:18] offset0:66 offset1:67
	ds_write2_b64 v12, v[19:20], v[21:22] offset0:68 offset1:69
	;; [unrolled: 1-line block ×13, first 2 shown]
	s_waitcnt vmcnt(60)
	ds_write2_b64 v12, v[67:68], v[69:70] offset0:92 offset1:93
	s_waitcnt vmcnt(56)
	ds_write2_b64 v12, v[71:72], v[73:74] offset0:94 offset1:95
	;; [unrolled: 2-line block ×16, first 2 shown]
.LBB122_802:
	s_or_b32 exec_lo, exec_lo, s4
	s_mov_b32 s4, exec_lo
	s_waitcnt lgkmcnt(0)
	s_waitcnt_vscnt null, 0x0
	s_barrier
	buffer_gl0_inv
	v_cmpx_lt_i32_e32 32, v11
	s_cbranch_execz .LBB122_807
; %bb.803:
	s_clause 0x3
	buffer_load_dword v15, off, s[0:3], 0 offset:520
	buffer_load_dword v16, off, s[0:3], 0 offset:524
	;; [unrolled: 1-line block ×4, first 2 shown]
	v_add3_u32 v4, v14, 0, 0x210
	s_mov_b32 s16, 0
	s_waitcnt vmcnt(2)
	v_mul_f64 v[19:20], v[2:3], v[15:16]
	v_mul_f64 v[15:16], v[0:1], v[15:16]
	s_waitcnt vmcnt(0)
	v_fma_f64 v[0:1], v[0:1], v[17:18], -v[19:20]
	v_fma_f64 v[2:3], v[2:3], v[17:18], v[15:16]
	buffer_store_dword v0, off, s[0:3], 0 offset:512
	buffer_store_dword v1, off, s[0:3], 0 offset:516
	;; [unrolled: 1-line block ×4, first 2 shown]
	s_branch .LBB122_805
.LBB122_804:                            ;   in Loop: Header=BB122_805 Depth=1
	s_andn2_b32 vcc_lo, exec_lo, s56
	s_cbranch_vccz .LBB122_807
.LBB122_805:                            ; =>This Inner Loop Header: Depth=1
	v_mov_b32_e32 v27, s16
	v_add_nc_u32_e32 v10, s16, v4
	s_mov_b32 s17, s16
	s_mov_b32 s56, -1
	s_cmpk_eq_i32 s16, 0x1c0
	s_clause 0x3
	buffer_load_dword v19, v27, s[0:3], 0 offen offset:528
	buffer_load_dword v20, v27, s[0:3], 0 offen offset:532
	;; [unrolled: 1-line block ×4, first 2 shown]
	ds_read2_b64 v[15:18], v10 offset1:1
	s_waitcnt lgkmcnt(0)
	v_mul_f64 v[23:24], v[17:18], v[2:3]
	v_mul_f64 v[25:26], v[15:16], v[2:3]
	v_fma_f64 v[15:16], v[15:16], v[0:1], -v[23:24]
	v_fma_f64 v[17:18], v[17:18], v[0:1], v[25:26]
	s_waitcnt vmcnt(2)
	v_add_f64 v[15:16], v[19:20], -v[15:16]
	s_waitcnt vmcnt(0)
	v_add_f64 v[17:18], v[21:22], -v[17:18]
	buffer_store_dword v15, v27, s[0:3], 0 offen offset:528
	buffer_store_dword v16, v27, s[0:3], 0 offen offset:532
	;; [unrolled: 1-line block ×4, first 2 shown]
	s_cbranch_scc1 .LBB122_804
; %bb.806:                              ;   in Loop: Header=BB122_805 Depth=1
	v_mov_b32_e32 v51, s17
	s_add_i32 s16, s16, 64
	s_mov_b32 s56, 0
	s_clause 0xb
	buffer_load_dword v27, v51, s[0:3], 0 offen offset:544
	buffer_load_dword v28, v51, s[0:3], 0 offen offset:548
	;; [unrolled: 1-line block ×12, first 2 shown]
	ds_read2_b64 v[15:18], v10 offset0:2 offset1:3
	ds_read2_b64 v[19:22], v10 offset0:4 offset1:5
	;; [unrolled: 1-line block ×3, first 2 shown]
	s_waitcnt lgkmcnt(2)
	v_mul_f64 v[39:40], v[17:18], v[2:3]
	v_mul_f64 v[41:42], v[15:16], v[2:3]
	s_waitcnt lgkmcnt(1)
	v_mul_f64 v[43:44], v[21:22], v[2:3]
	v_mul_f64 v[45:46], v[19:20], v[2:3]
	;; [unrolled: 3-line block ×3, first 2 shown]
	v_fma_f64 v[15:16], v[15:16], v[0:1], -v[39:40]
	v_fma_f64 v[17:18], v[17:18], v[0:1], v[41:42]
	v_fma_f64 v[19:20], v[19:20], v[0:1], -v[43:44]
	v_fma_f64 v[21:22], v[21:22], v[0:1], v[45:46]
	v_fma_f64 v[23:24], v[23:24], v[0:1], -v[47:48]
	v_fma_f64 v[25:26], v[25:26], v[0:1], v[49:50]
	s_waitcnt vmcnt(10)
	v_add_f64 v[15:16], v[27:28], -v[15:16]
	s_waitcnt vmcnt(8)
	v_add_f64 v[17:18], v[29:30], -v[17:18]
	;; [unrolled: 2-line block ×6, first 2 shown]
	buffer_store_dword v15, v51, s[0:3], 0 offen offset:544
	buffer_store_dword v16, v51, s[0:3], 0 offen offset:548
	;; [unrolled: 1-line block ×12, first 2 shown]
	s_branch .LBB122_804
.LBB122_807:
	s_or_b32 exec_lo, exec_lo, s4
	v_mov_b32_e32 v3, s47
	s_waitcnt_vscnt null, 0x0
	s_barrier
	buffer_gl0_inv
	v_lshl_add_u32 v4, v11, 4, v12
	s_clause 0x3
	buffer_load_dword v0, v3, s[0:3], 0 offen
	buffer_load_dword v1, v3, s[0:3], 0 offen offset:4
	buffer_load_dword v2, v3, s[0:3], 0 offen offset:8
	;; [unrolled: 1-line block ×3, first 2 shown]
	s_cmp_lt_i32 s57, 35
	s_waitcnt vmcnt(0)
	ds_write2_b64 v4, v[0:1], v[2:3] offset1:1
	s_waitcnt lgkmcnt(0)
	s_barrier
	buffer_gl0_inv
	ds_read2_b64 v[0:3], v12 offset0:66 offset1:67
	v_mov_b32_e32 v4, 33
	s_cbranch_scc1 .LBB122_810
; %bb.808:
	v_add3_u32 v10, v14, 0, 0x220
	v_mov_b32_e32 v4, 33
	s_mov_b32 s16, 34
	s_inst_prefetch 0x1
	.p2align	6
.LBB122_809:                            ; =>This Inner Loop Header: Depth=1
	s_waitcnt lgkmcnt(0)
	v_cmp_gt_f64_e32 vcc_lo, 0, v[2:3]
	v_cmp_gt_f64_e64 s4, 0, v[0:1]
	ds_read2_b64 v[15:18], v10 offset1:1
	v_xor_b32_e32 v20, 0x80000000, v1
	v_xor_b32_e32 v22, 0x80000000, v3
	v_mov_b32_e32 v19, v0
	v_mov_b32_e32 v21, v2
	v_add_nc_u32_e32 v10, 16, v10
	s_waitcnt lgkmcnt(0)
	v_xor_b32_e32 v24, 0x80000000, v18
	v_cndmask_b32_e64 v20, v1, v20, s4
	v_cndmask_b32_e32 v22, v3, v22, vcc_lo
	v_cmp_gt_f64_e32 vcc_lo, 0, v[17:18]
	v_cmp_gt_f64_e64 s4, 0, v[15:16]
	v_mov_b32_e32 v23, v17
	v_add_f64 v[19:20], v[19:20], v[21:22]
	v_xor_b32_e32 v22, 0x80000000, v16
	v_mov_b32_e32 v21, v15
	v_cndmask_b32_e32 v24, v18, v24, vcc_lo
	v_cndmask_b32_e64 v22, v16, v22, s4
	v_add_f64 v[21:22], v[21:22], v[23:24]
	v_cmp_lt_f64_e32 vcc_lo, v[19:20], v[21:22]
	v_cndmask_b32_e32 v1, v1, v16, vcc_lo
	v_cndmask_b32_e32 v0, v0, v15, vcc_lo
	;; [unrolled: 1-line block ×4, first 2 shown]
	v_cndmask_b32_e64 v4, v4, s16, vcc_lo
	s_add_i32 s16, s16, 1
	s_cmp_lg_u32 s57, s16
	s_cbranch_scc1 .LBB122_809
.LBB122_810:
	s_inst_prefetch 0x2
	s_waitcnt lgkmcnt(0)
	v_cmp_eq_f64_e32 vcc_lo, 0, v[0:1]
	v_cmp_eq_f64_e64 s4, 0, v[2:3]
	s_and_b32 s4, vcc_lo, s4
	s_and_saveexec_b32 s16, s4
	s_xor_b32 s4, exec_lo, s16
; %bb.811:
	v_cmp_ne_u32_e32 vcc_lo, 0, v13
	v_cndmask_b32_e32 v13, 34, v13, vcc_lo
; %bb.812:
	s_andn2_saveexec_b32 s4, s4
	s_cbranch_execz .LBB122_818
; %bb.813:
	v_cmp_ngt_f64_e64 s16, |v[0:1]|, |v[2:3]|
	s_and_saveexec_b32 s17, s16
	s_xor_b32 s16, exec_lo, s17
	s_cbranch_execz .LBB122_815
; %bb.814:
	v_div_scale_f64 v[15:16], null, v[2:3], v[2:3], v[0:1]
	v_div_scale_f64 v[21:22], vcc_lo, v[0:1], v[2:3], v[0:1]
	v_rcp_f64_e32 v[17:18], v[15:16]
	v_fma_f64 v[19:20], -v[15:16], v[17:18], 1.0
	v_fma_f64 v[17:18], v[17:18], v[19:20], v[17:18]
	v_fma_f64 v[19:20], -v[15:16], v[17:18], 1.0
	v_fma_f64 v[17:18], v[17:18], v[19:20], v[17:18]
	v_mul_f64 v[19:20], v[21:22], v[17:18]
	v_fma_f64 v[15:16], -v[15:16], v[19:20], v[21:22]
	v_div_fmas_f64 v[15:16], v[15:16], v[17:18], v[19:20]
	v_div_fixup_f64 v[15:16], v[15:16], v[2:3], v[0:1]
	v_fma_f64 v[0:1], v[0:1], v[15:16], v[2:3]
	v_div_scale_f64 v[2:3], null, v[0:1], v[0:1], 1.0
	v_rcp_f64_e32 v[17:18], v[2:3]
	v_fma_f64 v[19:20], -v[2:3], v[17:18], 1.0
	v_fma_f64 v[17:18], v[17:18], v[19:20], v[17:18]
	v_fma_f64 v[19:20], -v[2:3], v[17:18], 1.0
	v_fma_f64 v[17:18], v[17:18], v[19:20], v[17:18]
	v_div_scale_f64 v[19:20], vcc_lo, 1.0, v[0:1], 1.0
	v_mul_f64 v[21:22], v[19:20], v[17:18]
	v_fma_f64 v[2:3], -v[2:3], v[21:22], v[19:20]
	v_div_fmas_f64 v[2:3], v[2:3], v[17:18], v[21:22]
	v_div_fixup_f64 v[2:3], v[2:3], v[0:1], 1.0
	v_mul_f64 v[0:1], v[15:16], v[2:3]
	v_xor_b32_e32 v3, 0x80000000, v3
.LBB122_815:
	s_andn2_saveexec_b32 s16, s16
	s_cbranch_execz .LBB122_817
; %bb.816:
	v_div_scale_f64 v[15:16], null, v[0:1], v[0:1], v[2:3]
	v_div_scale_f64 v[21:22], vcc_lo, v[2:3], v[0:1], v[2:3]
	v_rcp_f64_e32 v[17:18], v[15:16]
	v_fma_f64 v[19:20], -v[15:16], v[17:18], 1.0
	v_fma_f64 v[17:18], v[17:18], v[19:20], v[17:18]
	v_fma_f64 v[19:20], -v[15:16], v[17:18], 1.0
	v_fma_f64 v[17:18], v[17:18], v[19:20], v[17:18]
	v_mul_f64 v[19:20], v[21:22], v[17:18]
	v_fma_f64 v[15:16], -v[15:16], v[19:20], v[21:22]
	v_div_fmas_f64 v[15:16], v[15:16], v[17:18], v[19:20]
	v_div_fixup_f64 v[15:16], v[15:16], v[0:1], v[2:3]
	v_fma_f64 v[0:1], v[2:3], v[15:16], v[0:1]
	v_div_scale_f64 v[2:3], null, v[0:1], v[0:1], 1.0
	v_rcp_f64_e32 v[17:18], v[2:3]
	v_fma_f64 v[19:20], -v[2:3], v[17:18], 1.0
	v_fma_f64 v[17:18], v[17:18], v[19:20], v[17:18]
	v_fma_f64 v[19:20], -v[2:3], v[17:18], 1.0
	v_fma_f64 v[17:18], v[17:18], v[19:20], v[17:18]
	v_div_scale_f64 v[19:20], vcc_lo, 1.0, v[0:1], 1.0
	v_mul_f64 v[21:22], v[19:20], v[17:18]
	v_fma_f64 v[2:3], -v[2:3], v[21:22], v[19:20]
	v_div_fmas_f64 v[2:3], v[2:3], v[17:18], v[21:22]
	v_div_fixup_f64 v[0:1], v[2:3], v[0:1], 1.0
	v_mul_f64 v[2:3], v[15:16], -v[0:1]
.LBB122_817:
	s_or_b32 exec_lo, exec_lo, s16
.LBB122_818:
	s_or_b32 exec_lo, exec_lo, s4
	s_mov_b32 s4, exec_lo
	v_cmpx_ne_u32_e64 v11, v4
	s_xor_b32 s4, exec_lo, s4
	s_cbranch_execz .LBB122_824
; %bb.819:
	s_mov_b32 s16, exec_lo
	v_cmpx_eq_u32_e32 33, v11
	s_cbranch_execz .LBB122_823
; %bb.820:
	v_cmp_ne_u32_e32 vcc_lo, 33, v4
	s_xor_b32 s17, s20, -1
	s_and_b32 s56, s17, vcc_lo
	s_and_saveexec_b32 s17, s56
	s_cbranch_execz .LBB122_822
; %bb.821:
	v_ashrrev_i32_e32 v5, 31, v4
	v_lshlrev_b64 v[10:11], 2, v[4:5]
	v_add_co_u32 v10, vcc_lo, v8, v10
	v_add_co_ci_u32_e64 v11, null, v9, v11, vcc_lo
	s_clause 0x1
	global_load_dword v5, v[10:11], off
	global_load_dword v15, v[8:9], off offset:132
	s_waitcnt vmcnt(1)
	global_store_dword v[8:9], v5, off offset:132
	s_waitcnt vmcnt(0)
	global_store_dword v[10:11], v15, off
.LBB122_822:
	s_or_b32 exec_lo, exec_lo, s17
	v_mov_b32_e32 v11, v4
	v_mov_b32_e32 v5, v4
.LBB122_823:
	s_or_b32 exec_lo, exec_lo, s16
.LBB122_824:
	s_andn2_saveexec_b32 s4, s4
	s_cbranch_execz .LBB122_826
; %bb.825:
	v_mov_b32_e32 v4, s46
	v_mov_b32_e32 v11, s44
	;; [unrolled: 1-line block ×3, first 2 shown]
	s_clause 0x7
	buffer_load_dword v15, v4, s[0:3], 0 offen
	buffer_load_dword v16, v4, s[0:3], 0 offen offset:4
	buffer_load_dword v17, v4, s[0:3], 0 offen offset:8
	buffer_load_dword v18, v4, s[0:3], 0 offen offset:12
	buffer_load_dword v19, v10, s[0:3], 0 offen
	buffer_load_dword v20, v10, s[0:3], 0 offen offset:4
	buffer_load_dword v21, v10, s[0:3], 0 offen offset:8
	buffer_load_dword v22, v10, s[0:3], 0 offen offset:12
	v_mov_b32_e32 v4, s43
	v_mov_b32_e32 v10, s42
	s_clause 0x7
	buffer_load_dword v23, v11, s[0:3], 0 offen
	buffer_load_dword v24, v11, s[0:3], 0 offen offset:4
	buffer_load_dword v25, v11, s[0:3], 0 offen offset:8
	buffer_load_dword v26, v11, s[0:3], 0 offen offset:12
	buffer_load_dword v27, v4, s[0:3], 0 offen
	buffer_load_dword v28, v4, s[0:3], 0 offen offset:4
	buffer_load_dword v29, v4, s[0:3], 0 offen offset:8
	buffer_load_dword v30, v4, s[0:3], 0 offen offset:12
	v_mov_b32_e32 v11, s40
	v_mov_b32_e32 v4, s41
	;; [unrolled: 11-line block ×12, first 2 shown]
	s_clause 0x7
	buffer_load_dword v111, v10, s[0:3], 0 offen
	buffer_load_dword v112, v10, s[0:3], 0 offen offset:4
	buffer_load_dword v113, v10, s[0:3], 0 offen offset:8
	;; [unrolled: 1-line block ×3, first 2 shown]
	buffer_load_dword v115, v4, s[0:3], 0 offen
	buffer_load_dword v116, v4, s[0:3], 0 offen offset:4
	buffer_load_dword v117, v4, s[0:3], 0 offen offset:8
	;; [unrolled: 1-line block ×3, first 2 shown]
	v_mov_b32_e32 v4, s5
	s_clause 0x7
	buffer_load_dword v119, v11, s[0:3], 0 offen
	buffer_load_dword v120, v11, s[0:3], 0 offen offset:4
	buffer_load_dword v121, v11, s[0:3], 0 offen offset:8
	;; [unrolled: 1-line block ×3, first 2 shown]
	buffer_load_dword v123, v4, s[0:3], 0 offen
	buffer_load_dword v124, v4, s[0:3], 0 offen offset:4
	buffer_load_dword v125, v4, s[0:3], 0 offen offset:8
	;; [unrolled: 1-line block ×3, first 2 shown]
	v_mov_b32_e32 v11, 33
	s_waitcnt vmcnt(62)
	ds_write2_b64 v12, v[15:16], v[17:18] offset0:68 offset1:69
	ds_write2_b64 v12, v[19:20], v[21:22] offset0:70 offset1:71
	;; [unrolled: 1-line block ×12, first 2 shown]
	s_waitcnt vmcnt(60)
	ds_write2_b64 v12, v[63:64], v[65:66] offset0:92 offset1:93
	s_waitcnt vmcnt(56)
	ds_write2_b64 v12, v[67:68], v[69:70] offset0:94 offset1:95
	;; [unrolled: 2-line block ×16, first 2 shown]
.LBB122_826:
	s_or_b32 exec_lo, exec_lo, s4
	s_mov_b32 s4, exec_lo
	s_waitcnt lgkmcnt(0)
	s_waitcnt_vscnt null, 0x0
	s_barrier
	buffer_gl0_inv
	v_cmpx_lt_i32_e32 33, v11
	s_cbranch_execz .LBB122_829
; %bb.827:
	s_clause 0x3
	buffer_load_dword v15, off, s[0:3], 0 offset:536
	buffer_load_dword v16, off, s[0:3], 0 offset:540
	;; [unrolled: 1-line block ×4, first 2 shown]
	v_add3_u32 v4, v14, 0, 0x220
	s_mov_b32 s81, 0
	s_waitcnt vmcnt(2)
	v_mul_f64 v[19:20], v[2:3], v[15:16]
	v_mul_f64 v[15:16], v[0:1], v[15:16]
	s_waitcnt vmcnt(0)
	v_fma_f64 v[0:1], v[0:1], v[17:18], -v[19:20]
	v_fma_f64 v[2:3], v[2:3], v[17:18], v[15:16]
	buffer_store_dword v0, off, s[0:3], 0 offset:528
	buffer_store_dword v1, off, s[0:3], 0 offset:532
	;; [unrolled: 1-line block ×4, first 2 shown]
.LBB122_828:                            ; =>This Inner Loop Header: Depth=1
	v_add_nc_u32_e32 v10, s81, v4
	v_mov_b32_e32 v75, s81
	s_addk_i32 s81, 0x70
	ds_read2_b64 v[15:18], v10 offset1:1
	ds_read2_b64 v[19:22], v10 offset0:2 offset1:3
	ds_read2_b64 v[23:26], v10 offset0:4 offset1:5
	;; [unrolled: 1-line block ×5, first 2 shown]
	s_cmpk_lg_i32 s81, 0x1c0
	s_waitcnt lgkmcnt(5)
	v_mul_f64 v[39:40], v[17:18], v[2:3]
	v_mul_f64 v[41:42], v[15:16], v[2:3]
	s_waitcnt lgkmcnt(4)
	v_mul_f64 v[43:44], v[21:22], v[2:3]
	v_mul_f64 v[45:46], v[19:20], v[2:3]
	;; [unrolled: 3-line block ×6, first 2 shown]
	s_clause 0x5
	buffer_load_dword v63, v75, s[0:3], 0 offen offset:544
	buffer_load_dword v64, v75, s[0:3], 0 offen offset:548
	;; [unrolled: 1-line block ×4, first 2 shown]
	buffer_load_dword v2, off, s[0:3], 0 offset:536
	buffer_load_dword v3, off, s[0:3], 0 offset:540
	v_fma_f64 v[39:40], v[15:16], v[0:1], -v[39:40]
	v_fma_f64 v[41:42], v[17:18], v[0:1], v[41:42]
	v_fma_f64 v[19:20], v[19:20], v[0:1], -v[43:44]
	v_fma_f64 v[21:22], v[21:22], v[0:1], v[45:46]
	;; [unrolled: 2-line block ×6, first 2 shown]
	s_clause 0x19
	buffer_load_dword v0, off, s[0:3], 0 offset:528
	buffer_load_dword v1, off, s[0:3], 0 offset:532
	buffer_load_dword v43, v75, s[0:3], 0 offen offset:560
	buffer_load_dword v44, v75, s[0:3], 0 offen offset:564
	buffer_load_dword v45, v75, s[0:3], 0 offen offset:568
	buffer_load_dword v46, v75, s[0:3], 0 offen offset:572
	buffer_load_dword v47, v75, s[0:3], 0 offen offset:576
	buffer_load_dword v48, v75, s[0:3], 0 offen offset:580
	buffer_load_dword v49, v75, s[0:3], 0 offen offset:584
	buffer_load_dword v50, v75, s[0:3], 0 offen offset:588
	buffer_load_dword v51, v75, s[0:3], 0 offen offset:592
	buffer_load_dword v52, v75, s[0:3], 0 offen offset:596
	buffer_load_dword v53, v75, s[0:3], 0 offen offset:600
	buffer_load_dword v54, v75, s[0:3], 0 offen offset:604
	buffer_load_dword v55, v75, s[0:3], 0 offen offset:608
	buffer_load_dword v56, v75, s[0:3], 0 offen offset:612
	buffer_load_dword v57, v75, s[0:3], 0 offen offset:616
	buffer_load_dword v58, v75, s[0:3], 0 offen offset:620
	buffer_load_dword v59, v75, s[0:3], 0 offen offset:624
	buffer_load_dword v60, v75, s[0:3], 0 offen offset:628
	buffer_load_dword v61, v75, s[0:3], 0 offen offset:632
	buffer_load_dword v62, v75, s[0:3], 0 offen offset:636
	buffer_load_dword v67, v75, s[0:3], 0 offen offset:640
	buffer_load_dword v68, v75, s[0:3], 0 offen offset:644
	buffer_load_dword v69, v75, s[0:3], 0 offen offset:648
	buffer_load_dword v70, v75, s[0:3], 0 offen offset:652
	ds_read2_b64 v[15:18], v10 offset0:12 offset1:13
	s_waitcnt vmcnt(30)
	v_add_f64 v[39:40], v[63:64], -v[39:40]
	s_waitcnt vmcnt(28)
	v_add_f64 v[41:42], v[65:66], -v[41:42]
	s_waitcnt vmcnt(26) lgkmcnt(0)
	v_mul_f64 v[71:72], v[17:18], v[2:3]
	v_mul_f64 v[73:74], v[15:16], v[2:3]
	s_waitcnt vmcnt(20)
	v_add_f64 v[21:22], v[45:46], -v[21:22]
	v_add_f64 v[19:20], v[43:44], -v[19:20]
	s_waitcnt vmcnt(18)
	v_add_f64 v[23:24], v[47:48], -v[23:24]
	buffer_store_dword v39, v75, s[0:3], 0 offen offset:544
	buffer_store_dword v40, v75, s[0:3], 0 offen offset:548
	;; [unrolled: 1-line block ×6, first 2 shown]
	v_fma_f64 v[15:16], v[15:16], v[0:1], -v[71:72]
	v_fma_f64 v[17:18], v[17:18], v[0:1], v[73:74]
	s_waitcnt vmcnt(16)
	v_add_f64 v[25:26], v[49:50], -v[25:26]
	s_waitcnt vmcnt(14)
	v_add_f64 v[27:28], v[51:52], -v[27:28]
	;; [unrolled: 2-line block ×9, first 2 shown]
	buffer_store_dword v21, v75, s[0:3], 0 offen offset:568
	buffer_store_dword v22, v75, s[0:3], 0 offen offset:572
	;; [unrolled: 1-line block ×22, first 2 shown]
	s_cbranch_scc1 .LBB122_828
.LBB122_829:
	s_or_b32 exec_lo, exec_lo, s4
	v_mov_b32_e32 v3, s46
	s_waitcnt_vscnt null, 0x0
	s_barrier
	buffer_gl0_inv
	v_lshl_add_u32 v4, v11, 4, v12
	s_clause 0x3
	buffer_load_dword v0, v3, s[0:3], 0 offen
	buffer_load_dword v1, v3, s[0:3], 0 offen offset:4
	buffer_load_dword v2, v3, s[0:3], 0 offen offset:8
	buffer_load_dword v3, v3, s[0:3], 0 offen offset:12
	s_cmp_lt_i32 s57, 36
	s_waitcnt vmcnt(0)
	ds_write2_b64 v4, v[0:1], v[2:3] offset1:1
	s_waitcnt lgkmcnt(0)
	s_barrier
	buffer_gl0_inv
	ds_read2_b64 v[0:3], v12 offset0:68 offset1:69
	v_mov_b32_e32 v4, 34
	s_cbranch_scc1 .LBB122_832
; %bb.830:
	v_add3_u32 v10, v14, 0, 0x230
	v_mov_b32_e32 v4, 34
	s_mov_b32 s16, 35
	s_inst_prefetch 0x1
	.p2align	6
.LBB122_831:                            ; =>This Inner Loop Header: Depth=1
	s_waitcnt lgkmcnt(0)
	v_cmp_gt_f64_e32 vcc_lo, 0, v[2:3]
	v_cmp_gt_f64_e64 s4, 0, v[0:1]
	ds_read2_b64 v[15:18], v10 offset1:1
	v_xor_b32_e32 v20, 0x80000000, v1
	v_xor_b32_e32 v22, 0x80000000, v3
	v_mov_b32_e32 v19, v0
	v_mov_b32_e32 v21, v2
	v_add_nc_u32_e32 v10, 16, v10
	s_waitcnt lgkmcnt(0)
	v_xor_b32_e32 v24, 0x80000000, v18
	v_cndmask_b32_e64 v20, v1, v20, s4
	v_cndmask_b32_e32 v22, v3, v22, vcc_lo
	v_cmp_gt_f64_e32 vcc_lo, 0, v[17:18]
	v_cmp_gt_f64_e64 s4, 0, v[15:16]
	v_mov_b32_e32 v23, v17
	v_add_f64 v[19:20], v[19:20], v[21:22]
	v_xor_b32_e32 v22, 0x80000000, v16
	v_mov_b32_e32 v21, v15
	v_cndmask_b32_e32 v24, v18, v24, vcc_lo
	v_cndmask_b32_e64 v22, v16, v22, s4
	v_add_f64 v[21:22], v[21:22], v[23:24]
	v_cmp_lt_f64_e32 vcc_lo, v[19:20], v[21:22]
	v_cndmask_b32_e32 v1, v1, v16, vcc_lo
	v_cndmask_b32_e32 v0, v0, v15, vcc_lo
	;; [unrolled: 1-line block ×4, first 2 shown]
	v_cndmask_b32_e64 v4, v4, s16, vcc_lo
	s_add_i32 s16, s16, 1
	s_cmp_lg_u32 s57, s16
	s_cbranch_scc1 .LBB122_831
.LBB122_832:
	s_inst_prefetch 0x2
	s_waitcnt lgkmcnt(0)
	v_cmp_eq_f64_e32 vcc_lo, 0, v[0:1]
	v_cmp_eq_f64_e64 s4, 0, v[2:3]
	s_and_b32 s4, vcc_lo, s4
	s_and_saveexec_b32 s16, s4
	s_xor_b32 s4, exec_lo, s16
; %bb.833:
	v_cmp_ne_u32_e32 vcc_lo, 0, v13
	v_cndmask_b32_e32 v13, 35, v13, vcc_lo
; %bb.834:
	s_andn2_saveexec_b32 s4, s4
	s_cbranch_execz .LBB122_840
; %bb.835:
	v_cmp_ngt_f64_e64 s16, |v[0:1]|, |v[2:3]|
	s_and_saveexec_b32 s17, s16
	s_xor_b32 s16, exec_lo, s17
	s_cbranch_execz .LBB122_837
; %bb.836:
	v_div_scale_f64 v[15:16], null, v[2:3], v[2:3], v[0:1]
	v_div_scale_f64 v[21:22], vcc_lo, v[0:1], v[2:3], v[0:1]
	v_rcp_f64_e32 v[17:18], v[15:16]
	v_fma_f64 v[19:20], -v[15:16], v[17:18], 1.0
	v_fma_f64 v[17:18], v[17:18], v[19:20], v[17:18]
	v_fma_f64 v[19:20], -v[15:16], v[17:18], 1.0
	v_fma_f64 v[17:18], v[17:18], v[19:20], v[17:18]
	v_mul_f64 v[19:20], v[21:22], v[17:18]
	v_fma_f64 v[15:16], -v[15:16], v[19:20], v[21:22]
	v_div_fmas_f64 v[15:16], v[15:16], v[17:18], v[19:20]
	v_div_fixup_f64 v[15:16], v[15:16], v[2:3], v[0:1]
	v_fma_f64 v[0:1], v[0:1], v[15:16], v[2:3]
	v_div_scale_f64 v[2:3], null, v[0:1], v[0:1], 1.0
	v_rcp_f64_e32 v[17:18], v[2:3]
	v_fma_f64 v[19:20], -v[2:3], v[17:18], 1.0
	v_fma_f64 v[17:18], v[17:18], v[19:20], v[17:18]
	v_fma_f64 v[19:20], -v[2:3], v[17:18], 1.0
	v_fma_f64 v[17:18], v[17:18], v[19:20], v[17:18]
	v_div_scale_f64 v[19:20], vcc_lo, 1.0, v[0:1], 1.0
	v_mul_f64 v[21:22], v[19:20], v[17:18]
	v_fma_f64 v[2:3], -v[2:3], v[21:22], v[19:20]
	v_div_fmas_f64 v[2:3], v[2:3], v[17:18], v[21:22]
	v_div_fixup_f64 v[2:3], v[2:3], v[0:1], 1.0
	v_mul_f64 v[0:1], v[15:16], v[2:3]
	v_xor_b32_e32 v3, 0x80000000, v3
.LBB122_837:
	s_andn2_saveexec_b32 s16, s16
	s_cbranch_execz .LBB122_839
; %bb.838:
	v_div_scale_f64 v[15:16], null, v[0:1], v[0:1], v[2:3]
	v_div_scale_f64 v[21:22], vcc_lo, v[2:3], v[0:1], v[2:3]
	v_rcp_f64_e32 v[17:18], v[15:16]
	v_fma_f64 v[19:20], -v[15:16], v[17:18], 1.0
	v_fma_f64 v[17:18], v[17:18], v[19:20], v[17:18]
	v_fma_f64 v[19:20], -v[15:16], v[17:18], 1.0
	v_fma_f64 v[17:18], v[17:18], v[19:20], v[17:18]
	v_mul_f64 v[19:20], v[21:22], v[17:18]
	v_fma_f64 v[15:16], -v[15:16], v[19:20], v[21:22]
	v_div_fmas_f64 v[15:16], v[15:16], v[17:18], v[19:20]
	v_div_fixup_f64 v[15:16], v[15:16], v[0:1], v[2:3]
	v_fma_f64 v[0:1], v[2:3], v[15:16], v[0:1]
	v_div_scale_f64 v[2:3], null, v[0:1], v[0:1], 1.0
	v_rcp_f64_e32 v[17:18], v[2:3]
	v_fma_f64 v[19:20], -v[2:3], v[17:18], 1.0
	v_fma_f64 v[17:18], v[17:18], v[19:20], v[17:18]
	v_fma_f64 v[19:20], -v[2:3], v[17:18], 1.0
	v_fma_f64 v[17:18], v[17:18], v[19:20], v[17:18]
	v_div_scale_f64 v[19:20], vcc_lo, 1.0, v[0:1], 1.0
	v_mul_f64 v[21:22], v[19:20], v[17:18]
	v_fma_f64 v[2:3], -v[2:3], v[21:22], v[19:20]
	v_div_fmas_f64 v[2:3], v[2:3], v[17:18], v[21:22]
	v_div_fixup_f64 v[0:1], v[2:3], v[0:1], 1.0
	v_mul_f64 v[2:3], v[15:16], -v[0:1]
.LBB122_839:
	s_or_b32 exec_lo, exec_lo, s16
.LBB122_840:
	s_or_b32 exec_lo, exec_lo, s4
	s_mov_b32 s4, exec_lo
	v_cmpx_ne_u32_e64 v11, v4
	s_xor_b32 s4, exec_lo, s4
	s_cbranch_execz .LBB122_846
; %bb.841:
	s_mov_b32 s16, exec_lo
	v_cmpx_eq_u32_e32 34, v11
	s_cbranch_execz .LBB122_845
; %bb.842:
	v_cmp_ne_u32_e32 vcc_lo, 34, v4
	s_xor_b32 s17, s20, -1
	s_and_b32 s56, s17, vcc_lo
	s_and_saveexec_b32 s17, s56
	s_cbranch_execz .LBB122_844
; %bb.843:
	v_ashrrev_i32_e32 v5, 31, v4
	v_lshlrev_b64 v[10:11], 2, v[4:5]
	v_add_co_u32 v10, vcc_lo, v8, v10
	v_add_co_ci_u32_e64 v11, null, v9, v11, vcc_lo
	s_clause 0x1
	global_load_dword v5, v[10:11], off
	global_load_dword v15, v[8:9], off offset:136
	s_waitcnt vmcnt(1)
	global_store_dword v[8:9], v5, off offset:136
	s_waitcnt vmcnt(0)
	global_store_dword v[10:11], v15, off
.LBB122_844:
	s_or_b32 exec_lo, exec_lo, s17
	v_mov_b32_e32 v11, v4
	v_mov_b32_e32 v5, v4
.LBB122_845:
	s_or_b32 exec_lo, exec_lo, s16
.LBB122_846:
	s_andn2_saveexec_b32 s4, s4
	s_cbranch_execz .LBB122_848
; %bb.847:
	v_mov_b32_e32 v4, s45
	v_mov_b32_e32 v10, s44
	;; [unrolled: 1-line block ×3, first 2 shown]
	s_clause 0x7
	buffer_load_dword v15, v4, s[0:3], 0 offen
	buffer_load_dword v16, v4, s[0:3], 0 offen offset:4
	buffer_load_dword v17, v4, s[0:3], 0 offen offset:8
	buffer_load_dword v18, v4, s[0:3], 0 offen offset:12
	buffer_load_dword v19, v10, s[0:3], 0 offen
	buffer_load_dword v20, v10, s[0:3], 0 offen offset:4
	buffer_load_dword v21, v10, s[0:3], 0 offen offset:8
	buffer_load_dword v22, v10, s[0:3], 0 offen offset:12
	v_mov_b32_e32 v10, s41
	v_mov_b32_e32 v4, s42
	s_clause 0x7
	buffer_load_dword v23, v11, s[0:3], 0 offen
	buffer_load_dword v24, v11, s[0:3], 0 offen offset:4
	buffer_load_dword v25, v11, s[0:3], 0 offen offset:8
	buffer_load_dword v26, v11, s[0:3], 0 offen offset:12
	buffer_load_dword v27, v4, s[0:3], 0 offen
	buffer_load_dword v28, v4, s[0:3], 0 offen offset:4
	buffer_load_dword v29, v4, s[0:3], 0 offen offset:8
	buffer_load_dword v30, v4, s[0:3], 0 offen offset:12
	v_mov_b32_e32 v4, s40
	v_mov_b32_e32 v11, s39
	;; [unrolled: 11-line block ×12, first 2 shown]
	s_clause 0xb
	buffer_load_dword v111, v10, s[0:3], 0 offen
	buffer_load_dword v112, v10, s[0:3], 0 offen offset:4
	buffer_load_dword v113, v10, s[0:3], 0 offen offset:8
	buffer_load_dword v114, v10, s[0:3], 0 offen offset:12
	buffer_load_dword v115, v4, s[0:3], 0 offen
	buffer_load_dword v116, v4, s[0:3], 0 offen offset:4
	buffer_load_dword v117, v4, s[0:3], 0 offen offset:8
	buffer_load_dword v118, v4, s[0:3], 0 offen offset:12
	;; [unrolled: 4-line block ×3, first 2 shown]
	v_mov_b32_e32 v11, 34
	s_waitcnt vmcnt(62)
	ds_write2_b64 v12, v[15:16], v[17:18] offset0:70 offset1:71
	ds_write2_b64 v12, v[19:20], v[21:22] offset0:72 offset1:73
	ds_write2_b64 v12, v[23:24], v[25:26] offset0:74 offset1:75
	ds_write2_b64 v12, v[27:28], v[29:30] offset0:76 offset1:77
	ds_write2_b64 v12, v[31:32], v[33:34] offset0:78 offset1:79
	ds_write2_b64 v12, v[35:36], v[37:38] offset0:80 offset1:81
	ds_write2_b64 v12, v[39:40], v[41:42] offset0:82 offset1:83
	ds_write2_b64 v12, v[43:44], v[45:46] offset0:84 offset1:85
	ds_write2_b64 v12, v[47:48], v[49:50] offset0:86 offset1:87
	ds_write2_b64 v12, v[51:52], v[53:54] offset0:88 offset1:89
	ds_write2_b64 v12, v[55:56], v[57:58] offset0:90 offset1:91
	s_waitcnt vmcnt(60)
	ds_write2_b64 v12, v[59:60], v[61:62] offset0:92 offset1:93
	s_waitcnt vmcnt(56)
	ds_write2_b64 v12, v[63:64], v[65:66] offset0:94 offset1:95
	;; [unrolled: 2-line block ×16, first 2 shown]
.LBB122_848:
	s_or_b32 exec_lo, exec_lo, s4
	s_mov_b32 s4, exec_lo
	s_waitcnt lgkmcnt(0)
	s_waitcnt_vscnt null, 0x0
	s_barrier
	buffer_gl0_inv
	v_cmpx_lt_i32_e32 34, v11
	s_cbranch_execz .LBB122_851
; %bb.849:
	s_clause 0x3
	buffer_load_dword v15, off, s[0:3], 0 offset:552
	buffer_load_dword v16, off, s[0:3], 0 offset:556
	;; [unrolled: 1-line block ×4, first 2 shown]
	v_add3_u32 v4, v14, 0, 0x230
	s_mov_b32 s16, 0
	s_waitcnt vmcnt(2)
	v_mul_f64 v[19:20], v[2:3], v[15:16]
	v_mul_f64 v[15:16], v[0:1], v[15:16]
	s_waitcnt vmcnt(0)
	v_fma_f64 v[0:1], v[0:1], v[17:18], -v[19:20]
	v_fma_f64 v[2:3], v[2:3], v[17:18], v[15:16]
	buffer_store_dword v0, off, s[0:3], 0 offset:544
	buffer_store_dword v1, off, s[0:3], 0 offset:548
	;; [unrolled: 1-line block ×4, first 2 shown]
.LBB122_850:                            ; =>This Inner Loop Header: Depth=1
	v_mov_b32_e32 v10, s16
	v_add_nc_u32_e32 v23, s16, v4
	s_add_i32 s16, s16, 48
	s_clause 0xb
	buffer_load_dword v27, v10, s[0:3], 0 offen offset:560
	buffer_load_dword v28, v10, s[0:3], 0 offen offset:564
	;; [unrolled: 1-line block ×12, first 2 shown]
	ds_read2_b64 v[15:18], v23 offset1:1
	ds_read2_b64 v[19:22], v23 offset0:2 offset1:3
	ds_read2_b64 v[23:26], v23 offset0:4 offset1:5
	s_cmpk_lg_i32 s16, 0x1b0
	s_waitcnt lgkmcnt(2)
	v_mul_f64 v[39:40], v[17:18], v[2:3]
	v_mul_f64 v[41:42], v[15:16], v[2:3]
	s_waitcnt lgkmcnt(1)
	v_mul_f64 v[43:44], v[21:22], v[2:3]
	v_mul_f64 v[45:46], v[19:20], v[2:3]
	;; [unrolled: 3-line block ×3, first 2 shown]
	v_fma_f64 v[15:16], v[15:16], v[0:1], -v[39:40]
	v_fma_f64 v[17:18], v[17:18], v[0:1], v[41:42]
	v_fma_f64 v[19:20], v[19:20], v[0:1], -v[43:44]
	v_fma_f64 v[21:22], v[21:22], v[0:1], v[45:46]
	;; [unrolled: 2-line block ×3, first 2 shown]
	s_waitcnt vmcnt(10)
	v_add_f64 v[15:16], v[27:28], -v[15:16]
	s_waitcnt vmcnt(8)
	v_add_f64 v[17:18], v[29:30], -v[17:18]
	;; [unrolled: 2-line block ×6, first 2 shown]
	buffer_store_dword v15, v10, s[0:3], 0 offen offset:560
	buffer_store_dword v16, v10, s[0:3], 0 offen offset:564
	;; [unrolled: 1-line block ×12, first 2 shown]
	s_cbranch_scc1 .LBB122_850
.LBB122_851:
	s_or_b32 exec_lo, exec_lo, s4
	v_mov_b32_e32 v3, s45
	s_waitcnt_vscnt null, 0x0
	s_barrier
	buffer_gl0_inv
	v_lshl_add_u32 v4, v11, 4, v12
	s_clause 0x3
	buffer_load_dword v0, v3, s[0:3], 0 offen
	buffer_load_dword v1, v3, s[0:3], 0 offen offset:4
	buffer_load_dword v2, v3, s[0:3], 0 offen offset:8
	;; [unrolled: 1-line block ×3, first 2 shown]
	s_cmp_lt_i32 s57, 37
	s_waitcnt vmcnt(0)
	ds_write2_b64 v4, v[0:1], v[2:3] offset1:1
	s_waitcnt lgkmcnt(0)
	s_barrier
	buffer_gl0_inv
	ds_read2_b64 v[0:3], v12 offset0:70 offset1:71
	v_mov_b32_e32 v4, 35
	s_cbranch_scc1 .LBB122_854
; %bb.852:
	v_add3_u32 v10, v14, 0, 0x240
	v_mov_b32_e32 v4, 35
	s_mov_b32 s16, 36
	s_inst_prefetch 0x1
	.p2align	6
.LBB122_853:                            ; =>This Inner Loop Header: Depth=1
	s_waitcnt lgkmcnt(0)
	v_cmp_gt_f64_e32 vcc_lo, 0, v[2:3]
	v_cmp_gt_f64_e64 s4, 0, v[0:1]
	ds_read2_b64 v[15:18], v10 offset1:1
	v_xor_b32_e32 v20, 0x80000000, v1
	v_xor_b32_e32 v22, 0x80000000, v3
	v_mov_b32_e32 v19, v0
	v_mov_b32_e32 v21, v2
	v_add_nc_u32_e32 v10, 16, v10
	s_waitcnt lgkmcnt(0)
	v_xor_b32_e32 v24, 0x80000000, v18
	v_cndmask_b32_e64 v20, v1, v20, s4
	v_cndmask_b32_e32 v22, v3, v22, vcc_lo
	v_cmp_gt_f64_e32 vcc_lo, 0, v[17:18]
	v_cmp_gt_f64_e64 s4, 0, v[15:16]
	v_mov_b32_e32 v23, v17
	v_add_f64 v[19:20], v[19:20], v[21:22]
	v_xor_b32_e32 v22, 0x80000000, v16
	v_mov_b32_e32 v21, v15
	v_cndmask_b32_e32 v24, v18, v24, vcc_lo
	v_cndmask_b32_e64 v22, v16, v22, s4
	v_add_f64 v[21:22], v[21:22], v[23:24]
	v_cmp_lt_f64_e32 vcc_lo, v[19:20], v[21:22]
	v_cndmask_b32_e32 v1, v1, v16, vcc_lo
	v_cndmask_b32_e32 v0, v0, v15, vcc_lo
	;; [unrolled: 1-line block ×4, first 2 shown]
	v_cndmask_b32_e64 v4, v4, s16, vcc_lo
	s_add_i32 s16, s16, 1
	s_cmp_lg_u32 s57, s16
	s_cbranch_scc1 .LBB122_853
.LBB122_854:
	s_inst_prefetch 0x2
	s_waitcnt lgkmcnt(0)
	v_cmp_eq_f64_e32 vcc_lo, 0, v[0:1]
	v_cmp_eq_f64_e64 s4, 0, v[2:3]
	s_and_b32 s4, vcc_lo, s4
	s_and_saveexec_b32 s16, s4
	s_xor_b32 s4, exec_lo, s16
; %bb.855:
	v_cmp_ne_u32_e32 vcc_lo, 0, v13
	v_cndmask_b32_e32 v13, 36, v13, vcc_lo
; %bb.856:
	s_andn2_saveexec_b32 s4, s4
	s_cbranch_execz .LBB122_862
; %bb.857:
	v_cmp_ngt_f64_e64 s16, |v[0:1]|, |v[2:3]|
	s_and_saveexec_b32 s17, s16
	s_xor_b32 s16, exec_lo, s17
	s_cbranch_execz .LBB122_859
; %bb.858:
	v_div_scale_f64 v[15:16], null, v[2:3], v[2:3], v[0:1]
	v_div_scale_f64 v[21:22], vcc_lo, v[0:1], v[2:3], v[0:1]
	v_rcp_f64_e32 v[17:18], v[15:16]
	v_fma_f64 v[19:20], -v[15:16], v[17:18], 1.0
	v_fma_f64 v[17:18], v[17:18], v[19:20], v[17:18]
	v_fma_f64 v[19:20], -v[15:16], v[17:18], 1.0
	v_fma_f64 v[17:18], v[17:18], v[19:20], v[17:18]
	v_mul_f64 v[19:20], v[21:22], v[17:18]
	v_fma_f64 v[15:16], -v[15:16], v[19:20], v[21:22]
	v_div_fmas_f64 v[15:16], v[15:16], v[17:18], v[19:20]
	v_div_fixup_f64 v[15:16], v[15:16], v[2:3], v[0:1]
	v_fma_f64 v[0:1], v[0:1], v[15:16], v[2:3]
	v_div_scale_f64 v[2:3], null, v[0:1], v[0:1], 1.0
	v_rcp_f64_e32 v[17:18], v[2:3]
	v_fma_f64 v[19:20], -v[2:3], v[17:18], 1.0
	v_fma_f64 v[17:18], v[17:18], v[19:20], v[17:18]
	v_fma_f64 v[19:20], -v[2:3], v[17:18], 1.0
	v_fma_f64 v[17:18], v[17:18], v[19:20], v[17:18]
	v_div_scale_f64 v[19:20], vcc_lo, 1.0, v[0:1], 1.0
	v_mul_f64 v[21:22], v[19:20], v[17:18]
	v_fma_f64 v[2:3], -v[2:3], v[21:22], v[19:20]
	v_div_fmas_f64 v[2:3], v[2:3], v[17:18], v[21:22]
	v_div_fixup_f64 v[2:3], v[2:3], v[0:1], 1.0
	v_mul_f64 v[0:1], v[15:16], v[2:3]
	v_xor_b32_e32 v3, 0x80000000, v3
.LBB122_859:
	s_andn2_saveexec_b32 s16, s16
	s_cbranch_execz .LBB122_861
; %bb.860:
	v_div_scale_f64 v[15:16], null, v[0:1], v[0:1], v[2:3]
	v_div_scale_f64 v[21:22], vcc_lo, v[2:3], v[0:1], v[2:3]
	v_rcp_f64_e32 v[17:18], v[15:16]
	v_fma_f64 v[19:20], -v[15:16], v[17:18], 1.0
	v_fma_f64 v[17:18], v[17:18], v[19:20], v[17:18]
	v_fma_f64 v[19:20], -v[15:16], v[17:18], 1.0
	v_fma_f64 v[17:18], v[17:18], v[19:20], v[17:18]
	v_mul_f64 v[19:20], v[21:22], v[17:18]
	v_fma_f64 v[15:16], -v[15:16], v[19:20], v[21:22]
	v_div_fmas_f64 v[15:16], v[15:16], v[17:18], v[19:20]
	v_div_fixup_f64 v[15:16], v[15:16], v[0:1], v[2:3]
	v_fma_f64 v[0:1], v[2:3], v[15:16], v[0:1]
	v_div_scale_f64 v[2:3], null, v[0:1], v[0:1], 1.0
	v_rcp_f64_e32 v[17:18], v[2:3]
	v_fma_f64 v[19:20], -v[2:3], v[17:18], 1.0
	v_fma_f64 v[17:18], v[17:18], v[19:20], v[17:18]
	v_fma_f64 v[19:20], -v[2:3], v[17:18], 1.0
	v_fma_f64 v[17:18], v[17:18], v[19:20], v[17:18]
	v_div_scale_f64 v[19:20], vcc_lo, 1.0, v[0:1], 1.0
	v_mul_f64 v[21:22], v[19:20], v[17:18]
	v_fma_f64 v[2:3], -v[2:3], v[21:22], v[19:20]
	v_div_fmas_f64 v[2:3], v[2:3], v[17:18], v[21:22]
	v_div_fixup_f64 v[0:1], v[2:3], v[0:1], 1.0
	v_mul_f64 v[2:3], v[15:16], -v[0:1]
.LBB122_861:
	s_or_b32 exec_lo, exec_lo, s16
.LBB122_862:
	s_or_b32 exec_lo, exec_lo, s4
	s_mov_b32 s4, exec_lo
	v_cmpx_ne_u32_e64 v11, v4
	s_xor_b32 s4, exec_lo, s4
	s_cbranch_execz .LBB122_868
; %bb.863:
	s_mov_b32 s16, exec_lo
	v_cmpx_eq_u32_e32 35, v11
	s_cbranch_execz .LBB122_867
; %bb.864:
	v_cmp_ne_u32_e32 vcc_lo, 35, v4
	s_xor_b32 s17, s20, -1
	s_and_b32 s56, s17, vcc_lo
	s_and_saveexec_b32 s17, s56
	s_cbranch_execz .LBB122_866
; %bb.865:
	v_ashrrev_i32_e32 v5, 31, v4
	v_lshlrev_b64 v[10:11], 2, v[4:5]
	v_add_co_u32 v10, vcc_lo, v8, v10
	v_add_co_ci_u32_e64 v11, null, v9, v11, vcc_lo
	s_clause 0x1
	global_load_dword v5, v[10:11], off
	global_load_dword v15, v[8:9], off offset:140
	s_waitcnt vmcnt(1)
	global_store_dword v[8:9], v5, off offset:140
	s_waitcnt vmcnt(0)
	global_store_dword v[10:11], v15, off
.LBB122_866:
	s_or_b32 exec_lo, exec_lo, s17
	v_mov_b32_e32 v11, v4
	v_mov_b32_e32 v5, v4
.LBB122_867:
	s_or_b32 exec_lo, exec_lo, s16
.LBB122_868:
	s_andn2_saveexec_b32 s4, s4
	s_cbranch_execz .LBB122_870
; %bb.869:
	v_mov_b32_e32 v4, s44
	v_mov_b32_e32 v10, s43
	;; [unrolled: 1-line block ×3, first 2 shown]
	s_clause 0x7
	buffer_load_dword v15, v4, s[0:3], 0 offen
	buffer_load_dword v16, v4, s[0:3], 0 offen offset:4
	buffer_load_dword v17, v4, s[0:3], 0 offen offset:8
	buffer_load_dword v18, v4, s[0:3], 0 offen offset:12
	buffer_load_dword v19, v10, s[0:3], 0 offen
	buffer_load_dword v20, v10, s[0:3], 0 offen offset:4
	buffer_load_dword v21, v10, s[0:3], 0 offen offset:8
	buffer_load_dword v22, v10, s[0:3], 0 offen offset:12
	v_mov_b32_e32 v10, s40
	v_mov_b32_e32 v4, s41
	s_clause 0x7
	buffer_load_dword v23, v11, s[0:3], 0 offen
	buffer_load_dword v24, v11, s[0:3], 0 offen offset:4
	buffer_load_dword v25, v11, s[0:3], 0 offen offset:8
	buffer_load_dword v26, v11, s[0:3], 0 offen offset:12
	buffer_load_dword v27, v4, s[0:3], 0 offen
	buffer_load_dword v28, v4, s[0:3], 0 offen offset:4
	buffer_load_dword v29, v4, s[0:3], 0 offen offset:8
	buffer_load_dword v30, v4, s[0:3], 0 offen offset:12
	v_mov_b32_e32 v4, s39
	v_mov_b32_e32 v11, s38
	s_clause 0x7
	buffer_load_dword v31, v10, s[0:3], 0 offen
	buffer_load_dword v32, v10, s[0:3], 0 offen offset:4
	buffer_load_dword v33, v10, s[0:3], 0 offen offset:8
	buffer_load_dword v34, v10, s[0:3], 0 offen offset:12
	buffer_load_dword v35, v4, s[0:3], 0 offen
	buffer_load_dword v36, v4, s[0:3], 0 offen offset:4
	buffer_load_dword v37, v4, s[0:3], 0 offen offset:8
	buffer_load_dword v38, v4, s[0:3], 0 offen offset:12
	v_mov_b32_e32 v10, s36
	v_mov_b32_e32 v4, s37
	s_clause 0x7
	buffer_load_dword v39, v11, s[0:3], 0 offen
	buffer_load_dword v40, v11, s[0:3], 0 offen offset:4
	buffer_load_dword v41, v11, s[0:3], 0 offen offset:8
	buffer_load_dword v42, v11, s[0:3], 0 offen offset:12
	buffer_load_dword v43, v4, s[0:3], 0 offen
	buffer_load_dword v44, v4, s[0:3], 0 offen offset:4
	buffer_load_dword v45, v4, s[0:3], 0 offen offset:8
	buffer_load_dword v46, v4, s[0:3], 0 offen offset:12
	v_mov_b32_e32 v4, s35
	v_mov_b32_e32 v11, s34
	s_clause 0x7
	buffer_load_dword v47, v10, s[0:3], 0 offen
	buffer_load_dword v48, v10, s[0:3], 0 offen offset:4
	buffer_load_dword v49, v10, s[0:3], 0 offen offset:8
	buffer_load_dword v50, v10, s[0:3], 0 offen offset:12
	buffer_load_dword v51, v4, s[0:3], 0 offen
	buffer_load_dword v52, v4, s[0:3], 0 offen offset:4
	buffer_load_dword v53, v4, s[0:3], 0 offen offset:8
	buffer_load_dword v54, v4, s[0:3], 0 offen offset:12
	v_mov_b32_e32 v10, s31
	v_mov_b32_e32 v4, s33
	s_clause 0x7
	buffer_load_dword v55, v11, s[0:3], 0 offen
	buffer_load_dword v56, v11, s[0:3], 0 offen offset:4
	buffer_load_dword v57, v11, s[0:3], 0 offen offset:8
	buffer_load_dword v58, v11, s[0:3], 0 offen offset:12
	buffer_load_dword v59, v4, s[0:3], 0 offen
	buffer_load_dword v60, v4, s[0:3], 0 offen offset:4
	buffer_load_dword v61, v4, s[0:3], 0 offen offset:8
	buffer_load_dword v62, v4, s[0:3], 0 offen offset:12
	v_mov_b32_e32 v4, s30
	v_mov_b32_e32 v11, s29
	s_clause 0x7
	buffer_load_dword v63, v10, s[0:3], 0 offen
	buffer_load_dword v64, v10, s[0:3], 0 offen offset:4
	buffer_load_dword v65, v10, s[0:3], 0 offen offset:8
	buffer_load_dword v66, v10, s[0:3], 0 offen offset:12
	buffer_load_dword v67, v4, s[0:3], 0 offen
	buffer_load_dword v68, v4, s[0:3], 0 offen offset:4
	buffer_load_dword v69, v4, s[0:3], 0 offen offset:8
	buffer_load_dword v70, v4, s[0:3], 0 offen offset:12
	v_mov_b32_e32 v10, s27
	v_mov_b32_e32 v4, s28
	s_clause 0x7
	buffer_load_dword v71, v11, s[0:3], 0 offen
	buffer_load_dword v72, v11, s[0:3], 0 offen offset:4
	buffer_load_dword v73, v11, s[0:3], 0 offen offset:8
	buffer_load_dword v74, v11, s[0:3], 0 offen offset:12
	buffer_load_dword v75, v4, s[0:3], 0 offen
	buffer_load_dword v76, v4, s[0:3], 0 offen offset:4
	buffer_load_dword v77, v4, s[0:3], 0 offen offset:8
	buffer_load_dword v78, v4, s[0:3], 0 offen offset:12
	v_mov_b32_e32 v4, s26
	v_mov_b32_e32 v11, s25
	s_clause 0x7
	buffer_load_dword v79, v10, s[0:3], 0 offen
	buffer_load_dword v80, v10, s[0:3], 0 offen offset:4
	buffer_load_dword v81, v10, s[0:3], 0 offen offset:8
	buffer_load_dword v82, v10, s[0:3], 0 offen offset:12
	buffer_load_dword v83, v4, s[0:3], 0 offen
	buffer_load_dword v84, v4, s[0:3], 0 offen offset:4
	buffer_load_dword v85, v4, s[0:3], 0 offen offset:8
	buffer_load_dword v86, v4, s[0:3], 0 offen offset:12
	v_mov_b32_e32 v10, s23
	v_mov_b32_e32 v4, s24
	s_clause 0x7
	buffer_load_dword v87, v11, s[0:3], 0 offen
	buffer_load_dword v88, v11, s[0:3], 0 offen offset:4
	buffer_load_dword v89, v11, s[0:3], 0 offen offset:8
	buffer_load_dword v90, v11, s[0:3], 0 offen offset:12
	buffer_load_dword v91, v4, s[0:3], 0 offen
	buffer_load_dword v92, v4, s[0:3], 0 offen offset:4
	buffer_load_dword v93, v4, s[0:3], 0 offen offset:8
	buffer_load_dword v94, v4, s[0:3], 0 offen offset:12
	v_mov_b32_e32 v4, s22
	v_mov_b32_e32 v11, s19
	s_clause 0x7
	buffer_load_dword v95, v10, s[0:3], 0 offen
	buffer_load_dword v96, v10, s[0:3], 0 offen offset:4
	buffer_load_dword v97, v10, s[0:3], 0 offen offset:8
	buffer_load_dword v98, v10, s[0:3], 0 offen offset:12
	buffer_load_dword v99, v4, s[0:3], 0 offen
	buffer_load_dword v100, v4, s[0:3], 0 offen offset:4
	buffer_load_dword v101, v4, s[0:3], 0 offen offset:8
	buffer_load_dword v102, v4, s[0:3], 0 offen offset:12
	v_mov_b32_e32 v10, s7
	v_mov_b32_e32 v4, s18
	s_clause 0x7
	buffer_load_dword v103, v11, s[0:3], 0 offen
	buffer_load_dword v104, v11, s[0:3], 0 offen offset:4
	buffer_load_dword v105, v11, s[0:3], 0 offen offset:8
	;; [unrolled: 1-line block ×3, first 2 shown]
	buffer_load_dword v107, v4, s[0:3], 0 offen
	buffer_load_dword v108, v4, s[0:3], 0 offen offset:4
	buffer_load_dword v109, v4, s[0:3], 0 offen offset:8
	buffer_load_dword v110, v4, s[0:3], 0 offen offset:12
	v_mov_b32_e32 v4, s5
	s_clause 0x7
	buffer_load_dword v111, v10, s[0:3], 0 offen
	buffer_load_dword v112, v10, s[0:3], 0 offen offset:4
	buffer_load_dword v113, v10, s[0:3], 0 offen offset:8
	buffer_load_dword v114, v10, s[0:3], 0 offen offset:12
	buffer_load_dword v115, v4, s[0:3], 0 offen
	buffer_load_dword v116, v4, s[0:3], 0 offen offset:4
	buffer_load_dword v117, v4, s[0:3], 0 offen offset:8
	;; [unrolled: 1-line block ×3, first 2 shown]
	v_mov_b32_e32 v11, 35
	s_waitcnt vmcnt(62)
	ds_write2_b64 v12, v[15:16], v[17:18] offset0:72 offset1:73
	ds_write2_b64 v12, v[19:20], v[21:22] offset0:74 offset1:75
	;; [unrolled: 1-line block ×10, first 2 shown]
	s_waitcnt vmcnt(60)
	ds_write2_b64 v12, v[55:56], v[57:58] offset0:92 offset1:93
	s_waitcnt vmcnt(56)
	ds_write2_b64 v12, v[59:60], v[61:62] offset0:94 offset1:95
	;; [unrolled: 2-line block ×16, first 2 shown]
.LBB122_870:
	s_or_b32 exec_lo, exec_lo, s4
	s_mov_b32 s4, exec_lo
	s_waitcnt lgkmcnt(0)
	s_waitcnt_vscnt null, 0x0
	s_barrier
	buffer_gl0_inv
	v_cmpx_lt_i32_e32 35, v11
	s_cbranch_execz .LBB122_873
; %bb.871:
	s_clause 0x3
	buffer_load_dword v15, off, s[0:3], 0 offset:568
	buffer_load_dword v16, off, s[0:3], 0 offset:572
	;; [unrolled: 1-line block ×4, first 2 shown]
	v_add3_u32 v4, v14, 0, 0x240
	s_mov_b32 s16, 0
	s_waitcnt vmcnt(2)
	v_mul_f64 v[19:20], v[2:3], v[15:16]
	v_mul_f64 v[15:16], v[0:1], v[15:16]
	s_waitcnt vmcnt(0)
	v_fma_f64 v[0:1], v[0:1], v[17:18], -v[19:20]
	v_fma_f64 v[2:3], v[2:3], v[17:18], v[15:16]
	buffer_store_dword v0, off, s[0:3], 0 offset:560
	buffer_store_dword v1, off, s[0:3], 0 offset:564
	buffer_store_dword v2, off, s[0:3], 0 offset:568
	buffer_store_dword v3, off, s[0:3], 0 offset:572
.LBB122_872:                            ; =>This Inner Loop Header: Depth=1
	v_mov_b32_e32 v10, s16
	v_add_nc_u32_e32 v19, s16, v4
	s_add_i32 s16, s16, 32
	s_clause 0x7
	buffer_load_dword v23, v10, s[0:3], 0 offen offset:576
	buffer_load_dword v24, v10, s[0:3], 0 offen offset:580
	;; [unrolled: 1-line block ×8, first 2 shown]
	ds_read2_b64 v[15:18], v19 offset1:1
	ds_read2_b64 v[19:22], v19 offset0:2 offset1:3
	s_cmpk_lg_i32 s16, 0x1a0
	s_waitcnt lgkmcnt(1)
	v_mul_f64 v[31:32], v[17:18], v[2:3]
	v_mul_f64 v[33:34], v[15:16], v[2:3]
	s_waitcnt lgkmcnt(0)
	v_mul_f64 v[35:36], v[21:22], v[2:3]
	v_mul_f64 v[37:38], v[19:20], v[2:3]
	v_fma_f64 v[15:16], v[15:16], v[0:1], -v[31:32]
	v_fma_f64 v[17:18], v[17:18], v[0:1], v[33:34]
	v_fma_f64 v[19:20], v[19:20], v[0:1], -v[35:36]
	v_fma_f64 v[21:22], v[21:22], v[0:1], v[37:38]
	s_waitcnt vmcnt(6)
	v_add_f64 v[15:16], v[23:24], -v[15:16]
	s_waitcnt vmcnt(4)
	v_add_f64 v[17:18], v[25:26], -v[17:18]
	;; [unrolled: 2-line block ×4, first 2 shown]
	buffer_store_dword v15, v10, s[0:3], 0 offen offset:576
	buffer_store_dword v16, v10, s[0:3], 0 offen offset:580
	;; [unrolled: 1-line block ×8, first 2 shown]
	s_cbranch_scc1 .LBB122_872
.LBB122_873:
	s_or_b32 exec_lo, exec_lo, s4
	v_mov_b32_e32 v3, s44
	s_waitcnt_vscnt null, 0x0
	s_barrier
	buffer_gl0_inv
	v_lshl_add_u32 v4, v11, 4, v12
	s_clause 0x3
	buffer_load_dword v0, v3, s[0:3], 0 offen
	buffer_load_dword v1, v3, s[0:3], 0 offen offset:4
	buffer_load_dword v2, v3, s[0:3], 0 offen offset:8
	;; [unrolled: 1-line block ×3, first 2 shown]
	s_cmp_lt_i32 s57, 38
	s_waitcnt vmcnt(0)
	ds_write2_b64 v4, v[0:1], v[2:3] offset1:1
	s_waitcnt lgkmcnt(0)
	s_barrier
	buffer_gl0_inv
	ds_read2_b64 v[0:3], v12 offset0:72 offset1:73
	v_mov_b32_e32 v4, 36
	s_cbranch_scc1 .LBB122_876
; %bb.874:
	v_add3_u32 v10, v14, 0, 0x250
	v_mov_b32_e32 v4, 36
	s_mov_b32 s16, 37
	s_inst_prefetch 0x1
	.p2align	6
.LBB122_875:                            ; =>This Inner Loop Header: Depth=1
	s_waitcnt lgkmcnt(0)
	v_cmp_gt_f64_e32 vcc_lo, 0, v[2:3]
	v_cmp_gt_f64_e64 s4, 0, v[0:1]
	ds_read2_b64 v[15:18], v10 offset1:1
	v_xor_b32_e32 v20, 0x80000000, v1
	v_xor_b32_e32 v22, 0x80000000, v3
	v_mov_b32_e32 v19, v0
	v_mov_b32_e32 v21, v2
	v_add_nc_u32_e32 v10, 16, v10
	s_waitcnt lgkmcnt(0)
	v_xor_b32_e32 v24, 0x80000000, v18
	v_cndmask_b32_e64 v20, v1, v20, s4
	v_cndmask_b32_e32 v22, v3, v22, vcc_lo
	v_cmp_gt_f64_e32 vcc_lo, 0, v[17:18]
	v_cmp_gt_f64_e64 s4, 0, v[15:16]
	v_mov_b32_e32 v23, v17
	v_add_f64 v[19:20], v[19:20], v[21:22]
	v_xor_b32_e32 v22, 0x80000000, v16
	v_mov_b32_e32 v21, v15
	v_cndmask_b32_e32 v24, v18, v24, vcc_lo
	v_cndmask_b32_e64 v22, v16, v22, s4
	v_add_f64 v[21:22], v[21:22], v[23:24]
	v_cmp_lt_f64_e32 vcc_lo, v[19:20], v[21:22]
	v_cndmask_b32_e32 v1, v1, v16, vcc_lo
	v_cndmask_b32_e32 v0, v0, v15, vcc_lo
	;; [unrolled: 1-line block ×4, first 2 shown]
	v_cndmask_b32_e64 v4, v4, s16, vcc_lo
	s_add_i32 s16, s16, 1
	s_cmp_lg_u32 s57, s16
	s_cbranch_scc1 .LBB122_875
.LBB122_876:
	s_inst_prefetch 0x2
	s_waitcnt lgkmcnt(0)
	v_cmp_eq_f64_e32 vcc_lo, 0, v[0:1]
	v_cmp_eq_f64_e64 s4, 0, v[2:3]
	s_and_b32 s4, vcc_lo, s4
	s_and_saveexec_b32 s16, s4
	s_xor_b32 s4, exec_lo, s16
; %bb.877:
	v_cmp_ne_u32_e32 vcc_lo, 0, v13
	v_cndmask_b32_e32 v13, 37, v13, vcc_lo
; %bb.878:
	s_andn2_saveexec_b32 s4, s4
	s_cbranch_execz .LBB122_884
; %bb.879:
	v_cmp_ngt_f64_e64 s16, |v[0:1]|, |v[2:3]|
	s_and_saveexec_b32 s17, s16
	s_xor_b32 s16, exec_lo, s17
	s_cbranch_execz .LBB122_881
; %bb.880:
	v_div_scale_f64 v[15:16], null, v[2:3], v[2:3], v[0:1]
	v_div_scale_f64 v[21:22], vcc_lo, v[0:1], v[2:3], v[0:1]
	v_rcp_f64_e32 v[17:18], v[15:16]
	v_fma_f64 v[19:20], -v[15:16], v[17:18], 1.0
	v_fma_f64 v[17:18], v[17:18], v[19:20], v[17:18]
	v_fma_f64 v[19:20], -v[15:16], v[17:18], 1.0
	v_fma_f64 v[17:18], v[17:18], v[19:20], v[17:18]
	v_mul_f64 v[19:20], v[21:22], v[17:18]
	v_fma_f64 v[15:16], -v[15:16], v[19:20], v[21:22]
	v_div_fmas_f64 v[15:16], v[15:16], v[17:18], v[19:20]
	v_div_fixup_f64 v[15:16], v[15:16], v[2:3], v[0:1]
	v_fma_f64 v[0:1], v[0:1], v[15:16], v[2:3]
	v_div_scale_f64 v[2:3], null, v[0:1], v[0:1], 1.0
	v_rcp_f64_e32 v[17:18], v[2:3]
	v_fma_f64 v[19:20], -v[2:3], v[17:18], 1.0
	v_fma_f64 v[17:18], v[17:18], v[19:20], v[17:18]
	v_fma_f64 v[19:20], -v[2:3], v[17:18], 1.0
	v_fma_f64 v[17:18], v[17:18], v[19:20], v[17:18]
	v_div_scale_f64 v[19:20], vcc_lo, 1.0, v[0:1], 1.0
	v_mul_f64 v[21:22], v[19:20], v[17:18]
	v_fma_f64 v[2:3], -v[2:3], v[21:22], v[19:20]
	v_div_fmas_f64 v[2:3], v[2:3], v[17:18], v[21:22]
	v_div_fixup_f64 v[2:3], v[2:3], v[0:1], 1.0
	v_mul_f64 v[0:1], v[15:16], v[2:3]
	v_xor_b32_e32 v3, 0x80000000, v3
.LBB122_881:
	s_andn2_saveexec_b32 s16, s16
	s_cbranch_execz .LBB122_883
; %bb.882:
	v_div_scale_f64 v[15:16], null, v[0:1], v[0:1], v[2:3]
	v_div_scale_f64 v[21:22], vcc_lo, v[2:3], v[0:1], v[2:3]
	v_rcp_f64_e32 v[17:18], v[15:16]
	v_fma_f64 v[19:20], -v[15:16], v[17:18], 1.0
	v_fma_f64 v[17:18], v[17:18], v[19:20], v[17:18]
	v_fma_f64 v[19:20], -v[15:16], v[17:18], 1.0
	v_fma_f64 v[17:18], v[17:18], v[19:20], v[17:18]
	v_mul_f64 v[19:20], v[21:22], v[17:18]
	v_fma_f64 v[15:16], -v[15:16], v[19:20], v[21:22]
	v_div_fmas_f64 v[15:16], v[15:16], v[17:18], v[19:20]
	v_div_fixup_f64 v[15:16], v[15:16], v[0:1], v[2:3]
	v_fma_f64 v[0:1], v[2:3], v[15:16], v[0:1]
	v_div_scale_f64 v[2:3], null, v[0:1], v[0:1], 1.0
	v_rcp_f64_e32 v[17:18], v[2:3]
	v_fma_f64 v[19:20], -v[2:3], v[17:18], 1.0
	v_fma_f64 v[17:18], v[17:18], v[19:20], v[17:18]
	v_fma_f64 v[19:20], -v[2:3], v[17:18], 1.0
	v_fma_f64 v[17:18], v[17:18], v[19:20], v[17:18]
	v_div_scale_f64 v[19:20], vcc_lo, 1.0, v[0:1], 1.0
	v_mul_f64 v[21:22], v[19:20], v[17:18]
	v_fma_f64 v[2:3], -v[2:3], v[21:22], v[19:20]
	v_div_fmas_f64 v[2:3], v[2:3], v[17:18], v[21:22]
	v_div_fixup_f64 v[0:1], v[2:3], v[0:1], 1.0
	v_mul_f64 v[2:3], v[15:16], -v[0:1]
.LBB122_883:
	s_or_b32 exec_lo, exec_lo, s16
.LBB122_884:
	s_or_b32 exec_lo, exec_lo, s4
	s_mov_b32 s4, exec_lo
	v_cmpx_ne_u32_e64 v11, v4
	s_xor_b32 s4, exec_lo, s4
	s_cbranch_execz .LBB122_890
; %bb.885:
	s_mov_b32 s16, exec_lo
	v_cmpx_eq_u32_e32 36, v11
	s_cbranch_execz .LBB122_889
; %bb.886:
	v_cmp_ne_u32_e32 vcc_lo, 36, v4
	s_xor_b32 s17, s20, -1
	s_and_b32 s56, s17, vcc_lo
	s_and_saveexec_b32 s17, s56
	s_cbranch_execz .LBB122_888
; %bb.887:
	v_ashrrev_i32_e32 v5, 31, v4
	v_lshlrev_b64 v[10:11], 2, v[4:5]
	v_add_co_u32 v10, vcc_lo, v8, v10
	v_add_co_ci_u32_e64 v11, null, v9, v11, vcc_lo
	s_clause 0x1
	global_load_dword v5, v[10:11], off
	global_load_dword v15, v[8:9], off offset:144
	s_waitcnt vmcnt(1)
	global_store_dword v[8:9], v5, off offset:144
	s_waitcnt vmcnt(0)
	global_store_dword v[10:11], v15, off
.LBB122_888:
	s_or_b32 exec_lo, exec_lo, s17
	v_mov_b32_e32 v11, v4
	v_mov_b32_e32 v5, v4
.LBB122_889:
	s_or_b32 exec_lo, exec_lo, s16
.LBB122_890:
	s_andn2_saveexec_b32 s4, s4
	s_cbranch_execz .LBB122_892
; %bb.891:
	v_mov_b32_e32 v4, s43
	v_mov_b32_e32 v11, s41
	;; [unrolled: 1-line block ×3, first 2 shown]
	s_clause 0x7
	buffer_load_dword v15, v4, s[0:3], 0 offen
	buffer_load_dword v16, v4, s[0:3], 0 offen offset:4
	buffer_load_dword v17, v4, s[0:3], 0 offen offset:8
	buffer_load_dword v18, v4, s[0:3], 0 offen offset:12
	buffer_load_dword v19, v10, s[0:3], 0 offen
	buffer_load_dword v20, v10, s[0:3], 0 offen offset:4
	buffer_load_dword v21, v10, s[0:3], 0 offen offset:8
	buffer_load_dword v22, v10, s[0:3], 0 offen offset:12
	v_mov_b32_e32 v4, s40
	v_mov_b32_e32 v10, s39
	s_clause 0x7
	buffer_load_dword v23, v11, s[0:3], 0 offen
	buffer_load_dword v24, v11, s[0:3], 0 offen offset:4
	buffer_load_dword v25, v11, s[0:3], 0 offen offset:8
	buffer_load_dword v26, v11, s[0:3], 0 offen offset:12
	buffer_load_dword v27, v4, s[0:3], 0 offen
	buffer_load_dword v28, v4, s[0:3], 0 offen offset:4
	buffer_load_dword v29, v4, s[0:3], 0 offen offset:8
	buffer_load_dword v30, v4, s[0:3], 0 offen offset:12
	v_mov_b32_e32 v11, s37
	v_mov_b32_e32 v4, s38
	;; [unrolled: 11-line block ×11, first 2 shown]
	s_clause 0xb
	buffer_load_dword v103, v11, s[0:3], 0 offen
	buffer_load_dword v104, v11, s[0:3], 0 offen offset:4
	buffer_load_dword v105, v11, s[0:3], 0 offen offset:8
	buffer_load_dword v106, v11, s[0:3], 0 offen offset:12
	buffer_load_dword v107, v4, s[0:3], 0 offen
	buffer_load_dword v108, v4, s[0:3], 0 offen offset:4
	buffer_load_dword v109, v4, s[0:3], 0 offen offset:8
	buffer_load_dword v110, v4, s[0:3], 0 offen offset:12
	;; [unrolled: 4-line block ×3, first 2 shown]
	v_mov_b32_e32 v11, 36
	s_waitcnt vmcnt(62)
	ds_write2_b64 v12, v[15:16], v[17:18] offset0:74 offset1:75
	ds_write2_b64 v12, v[19:20], v[21:22] offset0:76 offset1:77
	;; [unrolled: 1-line block ×9, first 2 shown]
	s_waitcnt vmcnt(60)
	ds_write2_b64 v12, v[51:52], v[53:54] offset0:92 offset1:93
	s_waitcnt vmcnt(56)
	ds_write2_b64 v12, v[55:56], v[57:58] offset0:94 offset1:95
	;; [unrolled: 2-line block ×16, first 2 shown]
.LBB122_892:
	s_or_b32 exec_lo, exec_lo, s4
	s_mov_b32 s4, exec_lo
	s_waitcnt lgkmcnt(0)
	s_waitcnt_vscnt null, 0x0
	s_barrier
	buffer_gl0_inv
	v_cmpx_lt_i32_e32 36, v11
	s_cbranch_execz .LBB122_895
; %bb.893:
	s_clause 0x3
	buffer_load_dword v15, off, s[0:3], 0 offset:584
	buffer_load_dword v16, off, s[0:3], 0 offset:588
	;; [unrolled: 1-line block ×4, first 2 shown]
	v_add3_u32 v4, v14, 0, 0x250
	s_mov_b32 s81, 0
	s_waitcnt vmcnt(2)
	v_mul_f64 v[19:20], v[2:3], v[15:16]
	v_mul_f64 v[15:16], v[0:1], v[15:16]
	s_waitcnt vmcnt(0)
	v_fma_f64 v[0:1], v[0:1], v[17:18], -v[19:20]
	v_fma_f64 v[2:3], v[2:3], v[17:18], v[15:16]
	buffer_store_dword v0, off, s[0:3], 0 offset:576
	buffer_store_dword v1, off, s[0:3], 0 offset:580
	;; [unrolled: 1-line block ×4, first 2 shown]
.LBB122_894:                            ; =>This Inner Loop Header: Depth=1
	v_mov_b32_e32 v10, s81
	v_add_nc_u32_e32 v31, s81, v4
	s_addk_i32 s81, 0x50
	s_clause 0x13
	buffer_load_dword v35, v10, s[0:3], 0 offen offset:592
	buffer_load_dword v36, v10, s[0:3], 0 offen offset:596
	;; [unrolled: 1-line block ×20, first 2 shown]
	ds_read2_b64 v[15:18], v31 offset1:1
	ds_read2_b64 v[19:22], v31 offset0:2 offset1:3
	ds_read2_b64 v[23:26], v31 offset0:4 offset1:5
	ds_read2_b64 v[27:30], v31 offset0:6 offset1:7
	ds_read2_b64 v[31:34], v31 offset0:8 offset1:9
	s_cmpk_lg_i32 s81, 0x190
	s_waitcnt lgkmcnt(4)
	v_mul_f64 v[55:56], v[17:18], v[2:3]
	v_mul_f64 v[57:58], v[15:16], v[2:3]
	s_waitcnt lgkmcnt(3)
	v_mul_f64 v[59:60], v[21:22], v[2:3]
	v_mul_f64 v[61:62], v[19:20], v[2:3]
	;; [unrolled: 3-line block ×5, first 2 shown]
	v_fma_f64 v[15:16], v[15:16], v[0:1], -v[55:56]
	v_fma_f64 v[17:18], v[17:18], v[0:1], v[57:58]
	v_fma_f64 v[19:20], v[19:20], v[0:1], -v[59:60]
	v_fma_f64 v[21:22], v[21:22], v[0:1], v[61:62]
	;; [unrolled: 2-line block ×5, first 2 shown]
	s_waitcnt vmcnt(18)
	v_add_f64 v[15:16], v[35:36], -v[15:16]
	s_waitcnt vmcnt(16)
	v_add_f64 v[17:18], v[37:38], -v[17:18]
	;; [unrolled: 2-line block ×10, first 2 shown]
	buffer_store_dword v15, v10, s[0:3], 0 offen offset:592
	buffer_store_dword v16, v10, s[0:3], 0 offen offset:596
	;; [unrolled: 1-line block ×20, first 2 shown]
	s_cbranch_scc1 .LBB122_894
.LBB122_895:
	s_or_b32 exec_lo, exec_lo, s4
	v_mov_b32_e32 v3, s43
	s_waitcnt_vscnt null, 0x0
	s_barrier
	buffer_gl0_inv
	v_lshl_add_u32 v4, v11, 4, v12
	s_clause 0x3
	buffer_load_dword v0, v3, s[0:3], 0 offen
	buffer_load_dword v1, v3, s[0:3], 0 offen offset:4
	buffer_load_dword v2, v3, s[0:3], 0 offen offset:8
	;; [unrolled: 1-line block ×3, first 2 shown]
	s_cmp_lt_i32 s57, 39
	s_waitcnt vmcnt(0)
	ds_write2_b64 v4, v[0:1], v[2:3] offset1:1
	s_waitcnt lgkmcnt(0)
	s_barrier
	buffer_gl0_inv
	ds_read2_b64 v[0:3], v12 offset0:74 offset1:75
	v_mov_b32_e32 v4, 37
	s_cbranch_scc1 .LBB122_898
; %bb.896:
	v_add3_u32 v10, v14, 0, 0x260
	v_mov_b32_e32 v4, 37
	s_mov_b32 s16, 38
	s_inst_prefetch 0x1
	.p2align	6
.LBB122_897:                            ; =>This Inner Loop Header: Depth=1
	s_waitcnt lgkmcnt(0)
	v_cmp_gt_f64_e32 vcc_lo, 0, v[2:3]
	v_cmp_gt_f64_e64 s4, 0, v[0:1]
	ds_read2_b64 v[15:18], v10 offset1:1
	v_xor_b32_e32 v20, 0x80000000, v1
	v_xor_b32_e32 v22, 0x80000000, v3
	v_mov_b32_e32 v19, v0
	v_mov_b32_e32 v21, v2
	v_add_nc_u32_e32 v10, 16, v10
	s_waitcnt lgkmcnt(0)
	v_xor_b32_e32 v24, 0x80000000, v18
	v_cndmask_b32_e64 v20, v1, v20, s4
	v_cndmask_b32_e32 v22, v3, v22, vcc_lo
	v_cmp_gt_f64_e32 vcc_lo, 0, v[17:18]
	v_cmp_gt_f64_e64 s4, 0, v[15:16]
	v_mov_b32_e32 v23, v17
	v_add_f64 v[19:20], v[19:20], v[21:22]
	v_xor_b32_e32 v22, 0x80000000, v16
	v_mov_b32_e32 v21, v15
	v_cndmask_b32_e32 v24, v18, v24, vcc_lo
	v_cndmask_b32_e64 v22, v16, v22, s4
	v_add_f64 v[21:22], v[21:22], v[23:24]
	v_cmp_lt_f64_e32 vcc_lo, v[19:20], v[21:22]
	v_cndmask_b32_e32 v1, v1, v16, vcc_lo
	v_cndmask_b32_e32 v0, v0, v15, vcc_lo
	;; [unrolled: 1-line block ×4, first 2 shown]
	v_cndmask_b32_e64 v4, v4, s16, vcc_lo
	s_add_i32 s16, s16, 1
	s_cmp_lg_u32 s57, s16
	s_cbranch_scc1 .LBB122_897
.LBB122_898:
	s_inst_prefetch 0x2
	s_waitcnt lgkmcnt(0)
	v_cmp_eq_f64_e32 vcc_lo, 0, v[0:1]
	v_cmp_eq_f64_e64 s4, 0, v[2:3]
	s_and_b32 s4, vcc_lo, s4
	s_and_saveexec_b32 s16, s4
	s_xor_b32 s4, exec_lo, s16
; %bb.899:
	v_cmp_ne_u32_e32 vcc_lo, 0, v13
	v_cndmask_b32_e32 v13, 38, v13, vcc_lo
; %bb.900:
	s_andn2_saveexec_b32 s4, s4
	s_cbranch_execz .LBB122_906
; %bb.901:
	v_cmp_ngt_f64_e64 s16, |v[0:1]|, |v[2:3]|
	s_and_saveexec_b32 s17, s16
	s_xor_b32 s16, exec_lo, s17
	s_cbranch_execz .LBB122_903
; %bb.902:
	v_div_scale_f64 v[15:16], null, v[2:3], v[2:3], v[0:1]
	v_div_scale_f64 v[21:22], vcc_lo, v[0:1], v[2:3], v[0:1]
	v_rcp_f64_e32 v[17:18], v[15:16]
	v_fma_f64 v[19:20], -v[15:16], v[17:18], 1.0
	v_fma_f64 v[17:18], v[17:18], v[19:20], v[17:18]
	v_fma_f64 v[19:20], -v[15:16], v[17:18], 1.0
	v_fma_f64 v[17:18], v[17:18], v[19:20], v[17:18]
	v_mul_f64 v[19:20], v[21:22], v[17:18]
	v_fma_f64 v[15:16], -v[15:16], v[19:20], v[21:22]
	v_div_fmas_f64 v[15:16], v[15:16], v[17:18], v[19:20]
	v_div_fixup_f64 v[15:16], v[15:16], v[2:3], v[0:1]
	v_fma_f64 v[0:1], v[0:1], v[15:16], v[2:3]
	v_div_scale_f64 v[2:3], null, v[0:1], v[0:1], 1.0
	v_rcp_f64_e32 v[17:18], v[2:3]
	v_fma_f64 v[19:20], -v[2:3], v[17:18], 1.0
	v_fma_f64 v[17:18], v[17:18], v[19:20], v[17:18]
	v_fma_f64 v[19:20], -v[2:3], v[17:18], 1.0
	v_fma_f64 v[17:18], v[17:18], v[19:20], v[17:18]
	v_div_scale_f64 v[19:20], vcc_lo, 1.0, v[0:1], 1.0
	v_mul_f64 v[21:22], v[19:20], v[17:18]
	v_fma_f64 v[2:3], -v[2:3], v[21:22], v[19:20]
	v_div_fmas_f64 v[2:3], v[2:3], v[17:18], v[21:22]
	v_div_fixup_f64 v[2:3], v[2:3], v[0:1], 1.0
	v_mul_f64 v[0:1], v[15:16], v[2:3]
	v_xor_b32_e32 v3, 0x80000000, v3
.LBB122_903:
	s_andn2_saveexec_b32 s16, s16
	s_cbranch_execz .LBB122_905
; %bb.904:
	v_div_scale_f64 v[15:16], null, v[0:1], v[0:1], v[2:3]
	v_div_scale_f64 v[21:22], vcc_lo, v[2:3], v[0:1], v[2:3]
	v_rcp_f64_e32 v[17:18], v[15:16]
	v_fma_f64 v[19:20], -v[15:16], v[17:18], 1.0
	v_fma_f64 v[17:18], v[17:18], v[19:20], v[17:18]
	v_fma_f64 v[19:20], -v[15:16], v[17:18], 1.0
	v_fma_f64 v[17:18], v[17:18], v[19:20], v[17:18]
	v_mul_f64 v[19:20], v[21:22], v[17:18]
	v_fma_f64 v[15:16], -v[15:16], v[19:20], v[21:22]
	v_div_fmas_f64 v[15:16], v[15:16], v[17:18], v[19:20]
	v_div_fixup_f64 v[15:16], v[15:16], v[0:1], v[2:3]
	v_fma_f64 v[0:1], v[2:3], v[15:16], v[0:1]
	v_div_scale_f64 v[2:3], null, v[0:1], v[0:1], 1.0
	v_rcp_f64_e32 v[17:18], v[2:3]
	v_fma_f64 v[19:20], -v[2:3], v[17:18], 1.0
	v_fma_f64 v[17:18], v[17:18], v[19:20], v[17:18]
	v_fma_f64 v[19:20], -v[2:3], v[17:18], 1.0
	v_fma_f64 v[17:18], v[17:18], v[19:20], v[17:18]
	v_div_scale_f64 v[19:20], vcc_lo, 1.0, v[0:1], 1.0
	v_mul_f64 v[21:22], v[19:20], v[17:18]
	v_fma_f64 v[2:3], -v[2:3], v[21:22], v[19:20]
	v_div_fmas_f64 v[2:3], v[2:3], v[17:18], v[21:22]
	v_div_fixup_f64 v[0:1], v[2:3], v[0:1], 1.0
	v_mul_f64 v[2:3], v[15:16], -v[0:1]
.LBB122_905:
	s_or_b32 exec_lo, exec_lo, s16
.LBB122_906:
	s_or_b32 exec_lo, exec_lo, s4
	s_mov_b32 s4, exec_lo
	v_cmpx_ne_u32_e64 v11, v4
	s_xor_b32 s4, exec_lo, s4
	s_cbranch_execz .LBB122_912
; %bb.907:
	s_mov_b32 s16, exec_lo
	v_cmpx_eq_u32_e32 37, v11
	s_cbranch_execz .LBB122_911
; %bb.908:
	v_cmp_ne_u32_e32 vcc_lo, 37, v4
	s_xor_b32 s17, s20, -1
	s_and_b32 s56, s17, vcc_lo
	s_and_saveexec_b32 s17, s56
	s_cbranch_execz .LBB122_910
; %bb.909:
	v_ashrrev_i32_e32 v5, 31, v4
	v_lshlrev_b64 v[10:11], 2, v[4:5]
	v_add_co_u32 v10, vcc_lo, v8, v10
	v_add_co_ci_u32_e64 v11, null, v9, v11, vcc_lo
	s_clause 0x1
	global_load_dword v5, v[10:11], off
	global_load_dword v15, v[8:9], off offset:148
	s_waitcnt vmcnt(1)
	global_store_dword v[8:9], v5, off offset:148
	s_waitcnt vmcnt(0)
	global_store_dword v[10:11], v15, off
.LBB122_910:
	s_or_b32 exec_lo, exec_lo, s17
	v_mov_b32_e32 v11, v4
	v_mov_b32_e32 v5, v4
.LBB122_911:
	s_or_b32 exec_lo, exec_lo, s16
.LBB122_912:
	s_andn2_saveexec_b32 s4, s4
	s_cbranch_execz .LBB122_914
; %bb.913:
	v_mov_b32_e32 v4, s42
	v_mov_b32_e32 v11, s40
	;; [unrolled: 1-line block ×3, first 2 shown]
	s_clause 0x7
	buffer_load_dword v15, v4, s[0:3], 0 offen
	buffer_load_dword v16, v4, s[0:3], 0 offen offset:4
	buffer_load_dword v17, v4, s[0:3], 0 offen offset:8
	buffer_load_dword v18, v4, s[0:3], 0 offen offset:12
	buffer_load_dword v19, v10, s[0:3], 0 offen
	buffer_load_dword v20, v10, s[0:3], 0 offen offset:4
	buffer_load_dword v21, v10, s[0:3], 0 offen offset:8
	buffer_load_dword v22, v10, s[0:3], 0 offen offset:12
	v_mov_b32_e32 v4, s39
	v_mov_b32_e32 v10, s38
	s_clause 0x7
	buffer_load_dword v23, v11, s[0:3], 0 offen
	buffer_load_dword v24, v11, s[0:3], 0 offen offset:4
	buffer_load_dword v25, v11, s[0:3], 0 offen offset:8
	buffer_load_dword v26, v11, s[0:3], 0 offen offset:12
	buffer_load_dword v27, v4, s[0:3], 0 offen
	buffer_load_dword v28, v4, s[0:3], 0 offen offset:4
	buffer_load_dword v29, v4, s[0:3], 0 offen offset:8
	buffer_load_dword v30, v4, s[0:3], 0 offen offset:12
	v_mov_b32_e32 v11, s36
	v_mov_b32_e32 v4, s37
	;; [unrolled: 11-line block ×10, first 2 shown]
	s_clause 0x7
	buffer_load_dword v95, v10, s[0:3], 0 offen
	buffer_load_dword v96, v10, s[0:3], 0 offen offset:4
	buffer_load_dword v97, v10, s[0:3], 0 offen offset:8
	;; [unrolled: 1-line block ×3, first 2 shown]
	buffer_load_dword v99, v4, s[0:3], 0 offen
	buffer_load_dword v100, v4, s[0:3], 0 offen offset:4
	buffer_load_dword v101, v4, s[0:3], 0 offen offset:8
	;; [unrolled: 1-line block ×3, first 2 shown]
	v_mov_b32_e32 v4, s5
	s_clause 0x7
	buffer_load_dword v103, v11, s[0:3], 0 offen
	buffer_load_dword v104, v11, s[0:3], 0 offen offset:4
	buffer_load_dword v105, v11, s[0:3], 0 offen offset:8
	;; [unrolled: 1-line block ×3, first 2 shown]
	buffer_load_dword v107, v4, s[0:3], 0 offen
	buffer_load_dword v108, v4, s[0:3], 0 offen offset:4
	buffer_load_dword v109, v4, s[0:3], 0 offen offset:8
	;; [unrolled: 1-line block ×3, first 2 shown]
	v_mov_b32_e32 v11, 37
	s_waitcnt vmcnt(62)
	ds_write2_b64 v12, v[15:16], v[17:18] offset0:76 offset1:77
	ds_write2_b64 v12, v[19:20], v[21:22] offset0:78 offset1:79
	;; [unrolled: 1-line block ×8, first 2 shown]
	s_waitcnt vmcnt(60)
	ds_write2_b64 v12, v[47:48], v[49:50] offset0:92 offset1:93
	s_waitcnt vmcnt(56)
	ds_write2_b64 v12, v[51:52], v[53:54] offset0:94 offset1:95
	;; [unrolled: 2-line block ×16, first 2 shown]
.LBB122_914:
	s_or_b32 exec_lo, exec_lo, s4
	s_mov_b32 s4, exec_lo
	s_waitcnt lgkmcnt(0)
	s_waitcnt_vscnt null, 0x0
	s_barrier
	buffer_gl0_inv
	v_cmpx_lt_i32_e32 37, v11
	s_cbranch_execz .LBB122_917
; %bb.915:
	s_clause 0x3
	buffer_load_dword v15, off, s[0:3], 0 offset:600
	buffer_load_dword v16, off, s[0:3], 0 offset:604
	;; [unrolled: 1-line block ×4, first 2 shown]
	v_add3_u32 v4, v14, 0, 0x260
	s_mov_b32 s81, 0
	s_waitcnt vmcnt(2)
	v_mul_f64 v[19:20], v[2:3], v[15:16]
	v_mul_f64 v[15:16], v[0:1], v[15:16]
	s_waitcnt vmcnt(0)
	v_fma_f64 v[0:1], v[0:1], v[17:18], -v[19:20]
	v_fma_f64 v[2:3], v[2:3], v[17:18], v[15:16]
	buffer_store_dword v0, off, s[0:3], 0 offset:592
	buffer_store_dword v1, off, s[0:3], 0 offset:596
	;; [unrolled: 1-line block ×4, first 2 shown]
.LBB122_916:                            ; =>This Inner Loop Header: Depth=1
	v_mov_b32_e32 v10, s81
	v_add_nc_u32_e32 v35, s81, v4
	s_addk_i32 s81, 0x60
	s_clause 0x17
	buffer_load_dword v39, v10, s[0:3], 0 offen offset:608
	buffer_load_dword v40, v10, s[0:3], 0 offen offset:612
	;; [unrolled: 1-line block ×24, first 2 shown]
	ds_read2_b64 v[15:18], v35 offset1:1
	ds_read2_b64 v[19:22], v35 offset0:2 offset1:3
	ds_read2_b64 v[23:26], v35 offset0:4 offset1:5
	;; [unrolled: 1-line block ×5, first 2 shown]
	s_cmpk_lg_i32 s81, 0x180
	s_waitcnt lgkmcnt(5)
	v_mul_f64 v[63:64], v[17:18], v[2:3]
	v_mul_f64 v[65:66], v[15:16], v[2:3]
	s_waitcnt lgkmcnt(4)
	v_mul_f64 v[67:68], v[21:22], v[2:3]
	v_mul_f64 v[69:70], v[19:20], v[2:3]
	;; [unrolled: 3-line block ×6, first 2 shown]
	v_fma_f64 v[15:16], v[15:16], v[0:1], -v[63:64]
	v_fma_f64 v[17:18], v[17:18], v[0:1], v[65:66]
	v_fma_f64 v[19:20], v[19:20], v[0:1], -v[67:68]
	v_fma_f64 v[21:22], v[21:22], v[0:1], v[69:70]
	;; [unrolled: 2-line block ×6, first 2 shown]
	s_waitcnt vmcnt(22)
	v_add_f64 v[15:16], v[39:40], -v[15:16]
	s_waitcnt vmcnt(20)
	v_add_f64 v[17:18], v[41:42], -v[17:18]
	;; [unrolled: 2-line block ×12, first 2 shown]
	buffer_store_dword v15, v10, s[0:3], 0 offen offset:608
	buffer_store_dword v16, v10, s[0:3], 0 offen offset:612
	;; [unrolled: 1-line block ×24, first 2 shown]
	s_cbranch_scc1 .LBB122_916
.LBB122_917:
	s_or_b32 exec_lo, exec_lo, s4
	v_mov_b32_e32 v3, s42
	s_waitcnt_vscnt null, 0x0
	s_barrier
	buffer_gl0_inv
	v_lshl_add_u32 v4, v11, 4, v12
	s_clause 0x3
	buffer_load_dword v0, v3, s[0:3], 0 offen
	buffer_load_dword v1, v3, s[0:3], 0 offen offset:4
	buffer_load_dword v2, v3, s[0:3], 0 offen offset:8
	;; [unrolled: 1-line block ×3, first 2 shown]
	s_cmp_lt_i32 s57, 40
	s_waitcnt vmcnt(0)
	ds_write2_b64 v4, v[0:1], v[2:3] offset1:1
	s_waitcnt lgkmcnt(0)
	s_barrier
	buffer_gl0_inv
	ds_read2_b64 v[0:3], v12 offset0:76 offset1:77
	v_mov_b32_e32 v4, 38
	s_cbranch_scc1 .LBB122_920
; %bb.918:
	v_add3_u32 v10, v14, 0, 0x270
	v_mov_b32_e32 v4, 38
	s_mov_b32 s16, 39
	s_inst_prefetch 0x1
	.p2align	6
.LBB122_919:                            ; =>This Inner Loop Header: Depth=1
	s_waitcnt lgkmcnt(0)
	v_cmp_gt_f64_e32 vcc_lo, 0, v[2:3]
	v_cmp_gt_f64_e64 s4, 0, v[0:1]
	ds_read2_b64 v[15:18], v10 offset1:1
	v_xor_b32_e32 v20, 0x80000000, v1
	v_xor_b32_e32 v22, 0x80000000, v3
	v_mov_b32_e32 v19, v0
	v_mov_b32_e32 v21, v2
	v_add_nc_u32_e32 v10, 16, v10
	s_waitcnt lgkmcnt(0)
	v_xor_b32_e32 v24, 0x80000000, v18
	v_cndmask_b32_e64 v20, v1, v20, s4
	v_cndmask_b32_e32 v22, v3, v22, vcc_lo
	v_cmp_gt_f64_e32 vcc_lo, 0, v[17:18]
	v_cmp_gt_f64_e64 s4, 0, v[15:16]
	v_mov_b32_e32 v23, v17
	v_add_f64 v[19:20], v[19:20], v[21:22]
	v_xor_b32_e32 v22, 0x80000000, v16
	v_mov_b32_e32 v21, v15
	v_cndmask_b32_e32 v24, v18, v24, vcc_lo
	v_cndmask_b32_e64 v22, v16, v22, s4
	v_add_f64 v[21:22], v[21:22], v[23:24]
	v_cmp_lt_f64_e32 vcc_lo, v[19:20], v[21:22]
	v_cndmask_b32_e32 v1, v1, v16, vcc_lo
	v_cndmask_b32_e32 v0, v0, v15, vcc_lo
	;; [unrolled: 1-line block ×4, first 2 shown]
	v_cndmask_b32_e64 v4, v4, s16, vcc_lo
	s_add_i32 s16, s16, 1
	s_cmp_lg_u32 s57, s16
	s_cbranch_scc1 .LBB122_919
.LBB122_920:
	s_inst_prefetch 0x2
	s_waitcnt lgkmcnt(0)
	v_cmp_eq_f64_e32 vcc_lo, 0, v[0:1]
	v_cmp_eq_f64_e64 s4, 0, v[2:3]
	s_and_b32 s4, vcc_lo, s4
	s_and_saveexec_b32 s16, s4
	s_xor_b32 s4, exec_lo, s16
; %bb.921:
	v_cmp_ne_u32_e32 vcc_lo, 0, v13
	v_cndmask_b32_e32 v13, 39, v13, vcc_lo
; %bb.922:
	s_andn2_saveexec_b32 s4, s4
	s_cbranch_execz .LBB122_928
; %bb.923:
	v_cmp_ngt_f64_e64 s16, |v[0:1]|, |v[2:3]|
	s_and_saveexec_b32 s17, s16
	s_xor_b32 s16, exec_lo, s17
	s_cbranch_execz .LBB122_925
; %bb.924:
	v_div_scale_f64 v[15:16], null, v[2:3], v[2:3], v[0:1]
	v_div_scale_f64 v[21:22], vcc_lo, v[0:1], v[2:3], v[0:1]
	v_rcp_f64_e32 v[17:18], v[15:16]
	v_fma_f64 v[19:20], -v[15:16], v[17:18], 1.0
	v_fma_f64 v[17:18], v[17:18], v[19:20], v[17:18]
	v_fma_f64 v[19:20], -v[15:16], v[17:18], 1.0
	v_fma_f64 v[17:18], v[17:18], v[19:20], v[17:18]
	v_mul_f64 v[19:20], v[21:22], v[17:18]
	v_fma_f64 v[15:16], -v[15:16], v[19:20], v[21:22]
	v_div_fmas_f64 v[15:16], v[15:16], v[17:18], v[19:20]
	v_div_fixup_f64 v[15:16], v[15:16], v[2:3], v[0:1]
	v_fma_f64 v[0:1], v[0:1], v[15:16], v[2:3]
	v_div_scale_f64 v[2:3], null, v[0:1], v[0:1], 1.0
	v_rcp_f64_e32 v[17:18], v[2:3]
	v_fma_f64 v[19:20], -v[2:3], v[17:18], 1.0
	v_fma_f64 v[17:18], v[17:18], v[19:20], v[17:18]
	v_fma_f64 v[19:20], -v[2:3], v[17:18], 1.0
	v_fma_f64 v[17:18], v[17:18], v[19:20], v[17:18]
	v_div_scale_f64 v[19:20], vcc_lo, 1.0, v[0:1], 1.0
	v_mul_f64 v[21:22], v[19:20], v[17:18]
	v_fma_f64 v[2:3], -v[2:3], v[21:22], v[19:20]
	v_div_fmas_f64 v[2:3], v[2:3], v[17:18], v[21:22]
	v_div_fixup_f64 v[2:3], v[2:3], v[0:1], 1.0
	v_mul_f64 v[0:1], v[15:16], v[2:3]
	v_xor_b32_e32 v3, 0x80000000, v3
.LBB122_925:
	s_andn2_saveexec_b32 s16, s16
	s_cbranch_execz .LBB122_927
; %bb.926:
	v_div_scale_f64 v[15:16], null, v[0:1], v[0:1], v[2:3]
	v_div_scale_f64 v[21:22], vcc_lo, v[2:3], v[0:1], v[2:3]
	v_rcp_f64_e32 v[17:18], v[15:16]
	v_fma_f64 v[19:20], -v[15:16], v[17:18], 1.0
	v_fma_f64 v[17:18], v[17:18], v[19:20], v[17:18]
	v_fma_f64 v[19:20], -v[15:16], v[17:18], 1.0
	v_fma_f64 v[17:18], v[17:18], v[19:20], v[17:18]
	v_mul_f64 v[19:20], v[21:22], v[17:18]
	v_fma_f64 v[15:16], -v[15:16], v[19:20], v[21:22]
	v_div_fmas_f64 v[15:16], v[15:16], v[17:18], v[19:20]
	v_div_fixup_f64 v[15:16], v[15:16], v[0:1], v[2:3]
	v_fma_f64 v[0:1], v[2:3], v[15:16], v[0:1]
	v_div_scale_f64 v[2:3], null, v[0:1], v[0:1], 1.0
	v_rcp_f64_e32 v[17:18], v[2:3]
	v_fma_f64 v[19:20], -v[2:3], v[17:18], 1.0
	v_fma_f64 v[17:18], v[17:18], v[19:20], v[17:18]
	v_fma_f64 v[19:20], -v[2:3], v[17:18], 1.0
	v_fma_f64 v[17:18], v[17:18], v[19:20], v[17:18]
	v_div_scale_f64 v[19:20], vcc_lo, 1.0, v[0:1], 1.0
	v_mul_f64 v[21:22], v[19:20], v[17:18]
	v_fma_f64 v[2:3], -v[2:3], v[21:22], v[19:20]
	v_div_fmas_f64 v[2:3], v[2:3], v[17:18], v[21:22]
	v_div_fixup_f64 v[0:1], v[2:3], v[0:1], 1.0
	v_mul_f64 v[2:3], v[15:16], -v[0:1]
.LBB122_927:
	s_or_b32 exec_lo, exec_lo, s16
.LBB122_928:
	s_or_b32 exec_lo, exec_lo, s4
	s_mov_b32 s4, exec_lo
	v_cmpx_ne_u32_e64 v11, v4
	s_xor_b32 s4, exec_lo, s4
	s_cbranch_execz .LBB122_934
; %bb.929:
	s_mov_b32 s16, exec_lo
	v_cmpx_eq_u32_e32 38, v11
	s_cbranch_execz .LBB122_933
; %bb.930:
	v_cmp_ne_u32_e32 vcc_lo, 38, v4
	s_xor_b32 s17, s20, -1
	s_and_b32 s56, s17, vcc_lo
	s_and_saveexec_b32 s17, s56
	s_cbranch_execz .LBB122_932
; %bb.931:
	v_ashrrev_i32_e32 v5, 31, v4
	v_lshlrev_b64 v[10:11], 2, v[4:5]
	v_add_co_u32 v10, vcc_lo, v8, v10
	v_add_co_ci_u32_e64 v11, null, v9, v11, vcc_lo
	s_clause 0x1
	global_load_dword v5, v[10:11], off
	global_load_dword v15, v[8:9], off offset:152
	s_waitcnt vmcnt(1)
	global_store_dword v[8:9], v5, off offset:152
	s_waitcnt vmcnt(0)
	global_store_dword v[10:11], v15, off
.LBB122_932:
	s_or_b32 exec_lo, exec_lo, s17
	v_mov_b32_e32 v11, v4
	v_mov_b32_e32 v5, v4
.LBB122_933:
	s_or_b32 exec_lo, exec_lo, s16
.LBB122_934:
	s_andn2_saveexec_b32 s4, s4
	s_cbranch_execz .LBB122_936
; %bb.935:
	v_mov_b32_e32 v4, s41
	v_mov_b32_e32 v10, s40
	;; [unrolled: 1-line block ×3, first 2 shown]
	s_clause 0x7
	buffer_load_dword v15, v4, s[0:3], 0 offen
	buffer_load_dword v16, v4, s[0:3], 0 offen offset:4
	buffer_load_dword v17, v4, s[0:3], 0 offen offset:8
	buffer_load_dword v18, v4, s[0:3], 0 offen offset:12
	buffer_load_dword v19, v10, s[0:3], 0 offen
	buffer_load_dword v20, v10, s[0:3], 0 offen offset:4
	buffer_load_dword v21, v10, s[0:3], 0 offen offset:8
	buffer_load_dword v22, v10, s[0:3], 0 offen offset:12
	v_mov_b32_e32 v10, s37
	v_mov_b32_e32 v4, s38
	s_clause 0x7
	buffer_load_dword v23, v11, s[0:3], 0 offen
	buffer_load_dword v24, v11, s[0:3], 0 offen offset:4
	buffer_load_dword v25, v11, s[0:3], 0 offen offset:8
	buffer_load_dword v26, v11, s[0:3], 0 offen offset:12
	buffer_load_dword v27, v4, s[0:3], 0 offen
	buffer_load_dword v28, v4, s[0:3], 0 offen offset:4
	buffer_load_dword v29, v4, s[0:3], 0 offen offset:8
	buffer_load_dword v30, v4, s[0:3], 0 offen offset:12
	v_mov_b32_e32 v4, s36
	v_mov_b32_e32 v11, s35
	;; [unrolled: 11-line block ×10, first 2 shown]
	s_clause 0xb
	buffer_load_dword v95, v10, s[0:3], 0 offen
	buffer_load_dword v96, v10, s[0:3], 0 offen offset:4
	buffer_load_dword v97, v10, s[0:3], 0 offen offset:8
	buffer_load_dword v98, v10, s[0:3], 0 offen offset:12
	buffer_load_dword v99, v4, s[0:3], 0 offen
	buffer_load_dword v100, v4, s[0:3], 0 offen offset:4
	buffer_load_dword v101, v4, s[0:3], 0 offen offset:8
	buffer_load_dword v102, v4, s[0:3], 0 offen offset:12
	;; [unrolled: 4-line block ×3, first 2 shown]
	v_mov_b32_e32 v11, 38
	s_waitcnt vmcnt(62)
	ds_write2_b64 v12, v[15:16], v[17:18] offset0:78 offset1:79
	ds_write2_b64 v12, v[19:20], v[21:22] offset0:80 offset1:81
	;; [unrolled: 1-line block ×7, first 2 shown]
	s_waitcnt vmcnt(60)
	ds_write2_b64 v12, v[43:44], v[45:46] offset0:92 offset1:93
	s_waitcnt vmcnt(56)
	ds_write2_b64 v12, v[47:48], v[49:50] offset0:94 offset1:95
	s_waitcnt vmcnt(52)
	ds_write2_b64 v12, v[51:52], v[53:54] offset0:96 offset1:97
	s_waitcnt vmcnt(48)
	ds_write2_b64 v12, v[55:56], v[57:58] offset0:98 offset1:99
	s_waitcnt vmcnt(44)
	ds_write2_b64 v12, v[59:60], v[61:62] offset0:100 offset1:101
	s_waitcnt vmcnt(40)
	ds_write2_b64 v12, v[63:64], v[65:66] offset0:102 offset1:103
	s_waitcnt vmcnt(36)
	ds_write2_b64 v12, v[67:68], v[69:70] offset0:104 offset1:105
	s_waitcnt vmcnt(32)
	ds_write2_b64 v12, v[71:72], v[73:74] offset0:106 offset1:107
	s_waitcnt vmcnt(28)
	ds_write2_b64 v12, v[75:76], v[77:78] offset0:108 offset1:109
	s_waitcnt vmcnt(24)
	ds_write2_b64 v12, v[79:80], v[81:82] offset0:110 offset1:111
	s_waitcnt vmcnt(20)
	ds_write2_b64 v12, v[83:84], v[85:86] offset0:112 offset1:113
	s_waitcnt vmcnt(16)
	ds_write2_b64 v12, v[87:88], v[89:90] offset0:114 offset1:115
	s_waitcnt vmcnt(12)
	ds_write2_b64 v12, v[91:92], v[93:94] offset0:116 offset1:117
	s_waitcnt vmcnt(8)
	ds_write2_b64 v12, v[95:96], v[97:98] offset0:118 offset1:119
	s_waitcnt vmcnt(4)
	ds_write2_b64 v12, v[99:100], v[101:102] offset0:120 offset1:121
	s_waitcnt vmcnt(0)
	ds_write2_b64 v12, v[103:104], v[105:106] offset0:122 offset1:123
.LBB122_936:
	s_or_b32 exec_lo, exec_lo, s4
	s_mov_b32 s4, exec_lo
	s_waitcnt lgkmcnt(0)
	s_waitcnt_vscnt null, 0x0
	s_barrier
	buffer_gl0_inv
	v_cmpx_lt_i32_e32 38, v11
	s_cbranch_execz .LBB122_941
; %bb.937:
	s_clause 0x3
	buffer_load_dword v15, off, s[0:3], 0 offset:616
	buffer_load_dword v16, off, s[0:3], 0 offset:620
	;; [unrolled: 1-line block ×4, first 2 shown]
	v_add3_u32 v4, v14, 0, 0x270
	s_mov_b32 s16, 0
	s_waitcnt vmcnt(2)
	v_mul_f64 v[19:20], v[2:3], v[15:16]
	v_mul_f64 v[15:16], v[0:1], v[15:16]
	s_waitcnt vmcnt(0)
	v_fma_f64 v[0:1], v[0:1], v[17:18], -v[19:20]
	v_fma_f64 v[2:3], v[2:3], v[17:18], v[15:16]
	buffer_store_dword v0, off, s[0:3], 0 offset:608
	buffer_store_dword v1, off, s[0:3], 0 offset:612
	;; [unrolled: 1-line block ×4, first 2 shown]
	s_branch .LBB122_939
.LBB122_938:                            ;   in Loop: Header=BB122_939 Depth=1
	s_andn2_b32 vcc_lo, exec_lo, s56
	s_cbranch_vccz .LBB122_941
.LBB122_939:                            ; =>This Inner Loop Header: Depth=1
	v_mov_b32_e32 v51, s16
	v_add_nc_u32_e32 v10, s16, v4
	s_mov_b32 s17, s16
	s_mov_b32 s56, -1
	s_cmpk_eq_i32 s16, 0x140
	s_clause 0xb
	buffer_load_dword v27, v51, s[0:3], 0 offen offset:624
	buffer_load_dword v28, v51, s[0:3], 0 offen offset:628
	;; [unrolled: 1-line block ×12, first 2 shown]
	ds_read2_b64 v[15:18], v10 offset1:1
	ds_read2_b64 v[19:22], v10 offset0:2 offset1:3
	ds_read2_b64 v[23:26], v10 offset0:4 offset1:5
	s_waitcnt lgkmcnt(2)
	v_mul_f64 v[39:40], v[17:18], v[2:3]
	v_mul_f64 v[41:42], v[15:16], v[2:3]
	s_waitcnt lgkmcnt(1)
	v_mul_f64 v[43:44], v[21:22], v[2:3]
	v_mul_f64 v[45:46], v[19:20], v[2:3]
	s_waitcnt lgkmcnt(0)
	v_mul_f64 v[47:48], v[25:26], v[2:3]
	v_mul_f64 v[49:50], v[23:24], v[2:3]
	v_fma_f64 v[15:16], v[15:16], v[0:1], -v[39:40]
	v_fma_f64 v[17:18], v[17:18], v[0:1], v[41:42]
	v_fma_f64 v[19:20], v[19:20], v[0:1], -v[43:44]
	v_fma_f64 v[21:22], v[21:22], v[0:1], v[45:46]
	;; [unrolled: 2-line block ×3, first 2 shown]
	s_waitcnt vmcnt(10)
	v_add_f64 v[15:16], v[27:28], -v[15:16]
	s_waitcnt vmcnt(8)
	v_add_f64 v[17:18], v[29:30], -v[17:18]
	;; [unrolled: 2-line block ×6, first 2 shown]
	buffer_store_dword v15, v51, s[0:3], 0 offen offset:624
	buffer_store_dword v16, v51, s[0:3], 0 offen offset:628
	;; [unrolled: 1-line block ×12, first 2 shown]
	s_cbranch_scc1 .LBB122_938
; %bb.940:                              ;   in Loop: Header=BB122_939 Depth=1
	v_mov_b32_e32 v27, s17
	s_add_i32 s16, s16, 64
	s_mov_b32 s56, 0
	s_clause 0x3
	buffer_load_dword v19, v27, s[0:3], 0 offen offset:672
	buffer_load_dword v20, v27, s[0:3], 0 offen offset:676
	buffer_load_dword v21, v27, s[0:3], 0 offen offset:680
	buffer_load_dword v22, v27, s[0:3], 0 offen offset:684
	ds_read2_b64 v[15:18], v10 offset0:6 offset1:7
	s_waitcnt lgkmcnt(0)
	v_mul_f64 v[23:24], v[17:18], v[2:3]
	v_mul_f64 v[25:26], v[15:16], v[2:3]
	v_fma_f64 v[15:16], v[15:16], v[0:1], -v[23:24]
	v_fma_f64 v[17:18], v[17:18], v[0:1], v[25:26]
	s_waitcnt vmcnt(2)
	v_add_f64 v[15:16], v[19:20], -v[15:16]
	s_waitcnt vmcnt(0)
	v_add_f64 v[17:18], v[21:22], -v[17:18]
	buffer_store_dword v15, v27, s[0:3], 0 offen offset:672
	buffer_store_dword v16, v27, s[0:3], 0 offen offset:676
	;; [unrolled: 1-line block ×4, first 2 shown]
	s_branch .LBB122_938
.LBB122_941:
	s_or_b32 exec_lo, exec_lo, s4
	v_mov_b32_e32 v3, s41
	s_waitcnt_vscnt null, 0x0
	s_barrier
	buffer_gl0_inv
	v_lshl_add_u32 v4, v11, 4, v12
	s_clause 0x3
	buffer_load_dword v0, v3, s[0:3], 0 offen
	buffer_load_dword v1, v3, s[0:3], 0 offen offset:4
	buffer_load_dword v2, v3, s[0:3], 0 offen offset:8
	;; [unrolled: 1-line block ×3, first 2 shown]
	s_cmp_lt_i32 s57, 41
	s_waitcnt vmcnt(0)
	ds_write2_b64 v4, v[0:1], v[2:3] offset1:1
	s_waitcnt lgkmcnt(0)
	s_barrier
	buffer_gl0_inv
	ds_read2_b64 v[0:3], v12 offset0:78 offset1:79
	v_mov_b32_e32 v4, 39
	s_cbranch_scc1 .LBB122_944
; %bb.942:
	v_add3_u32 v10, v14, 0, 0x280
	v_mov_b32_e32 v4, 39
	s_mov_b32 s16, 40
	s_inst_prefetch 0x1
	.p2align	6
.LBB122_943:                            ; =>This Inner Loop Header: Depth=1
	s_waitcnt lgkmcnt(0)
	v_cmp_gt_f64_e32 vcc_lo, 0, v[2:3]
	v_cmp_gt_f64_e64 s4, 0, v[0:1]
	ds_read2_b64 v[15:18], v10 offset1:1
	v_xor_b32_e32 v20, 0x80000000, v1
	v_xor_b32_e32 v22, 0x80000000, v3
	v_mov_b32_e32 v19, v0
	v_mov_b32_e32 v21, v2
	v_add_nc_u32_e32 v10, 16, v10
	s_waitcnt lgkmcnt(0)
	v_xor_b32_e32 v24, 0x80000000, v18
	v_cndmask_b32_e64 v20, v1, v20, s4
	v_cndmask_b32_e32 v22, v3, v22, vcc_lo
	v_cmp_gt_f64_e32 vcc_lo, 0, v[17:18]
	v_cmp_gt_f64_e64 s4, 0, v[15:16]
	v_mov_b32_e32 v23, v17
	v_add_f64 v[19:20], v[19:20], v[21:22]
	v_xor_b32_e32 v22, 0x80000000, v16
	v_mov_b32_e32 v21, v15
	v_cndmask_b32_e32 v24, v18, v24, vcc_lo
	v_cndmask_b32_e64 v22, v16, v22, s4
	v_add_f64 v[21:22], v[21:22], v[23:24]
	v_cmp_lt_f64_e32 vcc_lo, v[19:20], v[21:22]
	v_cndmask_b32_e32 v1, v1, v16, vcc_lo
	v_cndmask_b32_e32 v0, v0, v15, vcc_lo
	;; [unrolled: 1-line block ×4, first 2 shown]
	v_cndmask_b32_e64 v4, v4, s16, vcc_lo
	s_add_i32 s16, s16, 1
	s_cmp_lg_u32 s57, s16
	s_cbranch_scc1 .LBB122_943
.LBB122_944:
	s_inst_prefetch 0x2
	s_waitcnt lgkmcnt(0)
	v_cmp_eq_f64_e32 vcc_lo, 0, v[0:1]
	v_cmp_eq_f64_e64 s4, 0, v[2:3]
	s_and_b32 s4, vcc_lo, s4
	s_and_saveexec_b32 s16, s4
	s_xor_b32 s4, exec_lo, s16
; %bb.945:
	v_cmp_ne_u32_e32 vcc_lo, 0, v13
	v_cndmask_b32_e32 v13, 40, v13, vcc_lo
; %bb.946:
	s_andn2_saveexec_b32 s4, s4
	s_cbranch_execz .LBB122_952
; %bb.947:
	v_cmp_ngt_f64_e64 s16, |v[0:1]|, |v[2:3]|
	s_and_saveexec_b32 s17, s16
	s_xor_b32 s16, exec_lo, s17
	s_cbranch_execz .LBB122_949
; %bb.948:
	v_div_scale_f64 v[15:16], null, v[2:3], v[2:3], v[0:1]
	v_div_scale_f64 v[21:22], vcc_lo, v[0:1], v[2:3], v[0:1]
	v_rcp_f64_e32 v[17:18], v[15:16]
	v_fma_f64 v[19:20], -v[15:16], v[17:18], 1.0
	v_fma_f64 v[17:18], v[17:18], v[19:20], v[17:18]
	v_fma_f64 v[19:20], -v[15:16], v[17:18], 1.0
	v_fma_f64 v[17:18], v[17:18], v[19:20], v[17:18]
	v_mul_f64 v[19:20], v[21:22], v[17:18]
	v_fma_f64 v[15:16], -v[15:16], v[19:20], v[21:22]
	v_div_fmas_f64 v[15:16], v[15:16], v[17:18], v[19:20]
	v_div_fixup_f64 v[15:16], v[15:16], v[2:3], v[0:1]
	v_fma_f64 v[0:1], v[0:1], v[15:16], v[2:3]
	v_div_scale_f64 v[2:3], null, v[0:1], v[0:1], 1.0
	v_rcp_f64_e32 v[17:18], v[2:3]
	v_fma_f64 v[19:20], -v[2:3], v[17:18], 1.0
	v_fma_f64 v[17:18], v[17:18], v[19:20], v[17:18]
	v_fma_f64 v[19:20], -v[2:3], v[17:18], 1.0
	v_fma_f64 v[17:18], v[17:18], v[19:20], v[17:18]
	v_div_scale_f64 v[19:20], vcc_lo, 1.0, v[0:1], 1.0
	v_mul_f64 v[21:22], v[19:20], v[17:18]
	v_fma_f64 v[2:3], -v[2:3], v[21:22], v[19:20]
	v_div_fmas_f64 v[2:3], v[2:3], v[17:18], v[21:22]
	v_div_fixup_f64 v[2:3], v[2:3], v[0:1], 1.0
	v_mul_f64 v[0:1], v[15:16], v[2:3]
	v_xor_b32_e32 v3, 0x80000000, v3
.LBB122_949:
	s_andn2_saveexec_b32 s16, s16
	s_cbranch_execz .LBB122_951
; %bb.950:
	v_div_scale_f64 v[15:16], null, v[0:1], v[0:1], v[2:3]
	v_div_scale_f64 v[21:22], vcc_lo, v[2:3], v[0:1], v[2:3]
	v_rcp_f64_e32 v[17:18], v[15:16]
	v_fma_f64 v[19:20], -v[15:16], v[17:18], 1.0
	v_fma_f64 v[17:18], v[17:18], v[19:20], v[17:18]
	v_fma_f64 v[19:20], -v[15:16], v[17:18], 1.0
	v_fma_f64 v[17:18], v[17:18], v[19:20], v[17:18]
	v_mul_f64 v[19:20], v[21:22], v[17:18]
	v_fma_f64 v[15:16], -v[15:16], v[19:20], v[21:22]
	v_div_fmas_f64 v[15:16], v[15:16], v[17:18], v[19:20]
	v_div_fixup_f64 v[15:16], v[15:16], v[0:1], v[2:3]
	v_fma_f64 v[0:1], v[2:3], v[15:16], v[0:1]
	v_div_scale_f64 v[2:3], null, v[0:1], v[0:1], 1.0
	v_rcp_f64_e32 v[17:18], v[2:3]
	v_fma_f64 v[19:20], -v[2:3], v[17:18], 1.0
	v_fma_f64 v[17:18], v[17:18], v[19:20], v[17:18]
	v_fma_f64 v[19:20], -v[2:3], v[17:18], 1.0
	v_fma_f64 v[17:18], v[17:18], v[19:20], v[17:18]
	v_div_scale_f64 v[19:20], vcc_lo, 1.0, v[0:1], 1.0
	v_mul_f64 v[21:22], v[19:20], v[17:18]
	v_fma_f64 v[2:3], -v[2:3], v[21:22], v[19:20]
	v_div_fmas_f64 v[2:3], v[2:3], v[17:18], v[21:22]
	v_div_fixup_f64 v[0:1], v[2:3], v[0:1], 1.0
	v_mul_f64 v[2:3], v[15:16], -v[0:1]
.LBB122_951:
	s_or_b32 exec_lo, exec_lo, s16
.LBB122_952:
	s_or_b32 exec_lo, exec_lo, s4
	s_mov_b32 s4, exec_lo
	v_cmpx_ne_u32_e64 v11, v4
	s_xor_b32 s4, exec_lo, s4
	s_cbranch_execz .LBB122_958
; %bb.953:
	s_mov_b32 s16, exec_lo
	v_cmpx_eq_u32_e32 39, v11
	s_cbranch_execz .LBB122_957
; %bb.954:
	v_cmp_ne_u32_e32 vcc_lo, 39, v4
	s_xor_b32 s17, s20, -1
	s_and_b32 s56, s17, vcc_lo
	s_and_saveexec_b32 s17, s56
	s_cbranch_execz .LBB122_956
; %bb.955:
	v_ashrrev_i32_e32 v5, 31, v4
	v_lshlrev_b64 v[10:11], 2, v[4:5]
	v_add_co_u32 v10, vcc_lo, v8, v10
	v_add_co_ci_u32_e64 v11, null, v9, v11, vcc_lo
	s_clause 0x1
	global_load_dword v5, v[10:11], off
	global_load_dword v15, v[8:9], off offset:156
	s_waitcnt vmcnt(1)
	global_store_dword v[8:9], v5, off offset:156
	s_waitcnt vmcnt(0)
	global_store_dword v[10:11], v15, off
.LBB122_956:
	s_or_b32 exec_lo, exec_lo, s17
	v_mov_b32_e32 v11, v4
	v_mov_b32_e32 v5, v4
.LBB122_957:
	s_or_b32 exec_lo, exec_lo, s16
.LBB122_958:
	s_andn2_saveexec_b32 s4, s4
	s_cbranch_execz .LBB122_960
; %bb.959:
	v_mov_b32_e32 v4, s40
	v_mov_b32_e32 v10, s39
	;; [unrolled: 1-line block ×3, first 2 shown]
	s_clause 0x7
	buffer_load_dword v15, v4, s[0:3], 0 offen
	buffer_load_dword v16, v4, s[0:3], 0 offen offset:4
	buffer_load_dword v17, v4, s[0:3], 0 offen offset:8
	buffer_load_dword v18, v4, s[0:3], 0 offen offset:12
	buffer_load_dword v19, v10, s[0:3], 0 offen
	buffer_load_dword v20, v10, s[0:3], 0 offen offset:4
	buffer_load_dword v21, v10, s[0:3], 0 offen offset:8
	buffer_load_dword v22, v10, s[0:3], 0 offen offset:12
	v_mov_b32_e32 v10, s36
	v_mov_b32_e32 v4, s37
	s_clause 0x7
	buffer_load_dword v23, v11, s[0:3], 0 offen
	buffer_load_dword v24, v11, s[0:3], 0 offen offset:4
	buffer_load_dword v25, v11, s[0:3], 0 offen offset:8
	buffer_load_dword v26, v11, s[0:3], 0 offen offset:12
	buffer_load_dword v27, v4, s[0:3], 0 offen
	buffer_load_dword v28, v4, s[0:3], 0 offen offset:4
	buffer_load_dword v29, v4, s[0:3], 0 offen offset:8
	buffer_load_dword v30, v4, s[0:3], 0 offen offset:12
	v_mov_b32_e32 v4, s35
	v_mov_b32_e32 v11, s34
	;; [unrolled: 11-line block ×9, first 2 shown]
	s_clause 0x7
	buffer_load_dword v87, v11, s[0:3], 0 offen
	buffer_load_dword v88, v11, s[0:3], 0 offen offset:4
	buffer_load_dword v89, v11, s[0:3], 0 offen offset:8
	;; [unrolled: 1-line block ×3, first 2 shown]
	buffer_load_dword v91, v4, s[0:3], 0 offen
	buffer_load_dword v92, v4, s[0:3], 0 offen offset:4
	buffer_load_dword v93, v4, s[0:3], 0 offen offset:8
	;; [unrolled: 1-line block ×3, first 2 shown]
	v_mov_b32_e32 v4, s5
	s_clause 0x7
	buffer_load_dword v95, v10, s[0:3], 0 offen
	buffer_load_dword v96, v10, s[0:3], 0 offen offset:4
	buffer_load_dword v97, v10, s[0:3], 0 offen offset:8
	;; [unrolled: 1-line block ×3, first 2 shown]
	buffer_load_dword v99, v4, s[0:3], 0 offen
	buffer_load_dword v100, v4, s[0:3], 0 offen offset:4
	buffer_load_dword v101, v4, s[0:3], 0 offen offset:8
	buffer_load_dword v102, v4, s[0:3], 0 offen offset:12
	v_mov_b32_e32 v11, 39
	s_waitcnt vmcnt(62)
	ds_write2_b64 v12, v[15:16], v[17:18] offset0:80 offset1:81
	ds_write2_b64 v12, v[19:20], v[21:22] offset0:82 offset1:83
	;; [unrolled: 1-line block ×6, first 2 shown]
	s_waitcnt vmcnt(60)
	ds_write2_b64 v12, v[39:40], v[41:42] offset0:92 offset1:93
	s_waitcnt vmcnt(56)
	ds_write2_b64 v12, v[43:44], v[45:46] offset0:94 offset1:95
	;; [unrolled: 2-line block ×16, first 2 shown]
.LBB122_960:
	s_or_b32 exec_lo, exec_lo, s4
	s_mov_b32 s4, exec_lo
	s_waitcnt lgkmcnt(0)
	s_waitcnt_vscnt null, 0x0
	s_barrier
	buffer_gl0_inv
	v_cmpx_lt_i32_e32 39, v11
	s_cbranch_execz .LBB122_963
; %bb.961:
	s_clause 0x3
	buffer_load_dword v15, off, s[0:3], 0 offset:632
	buffer_load_dword v16, off, s[0:3], 0 offset:636
	;; [unrolled: 1-line block ×4, first 2 shown]
	v_add3_u32 v4, v14, 0, 0x280
	s_mov_b32 s16, 0
	s_waitcnt vmcnt(2)
	v_mul_f64 v[19:20], v[2:3], v[15:16]
	v_mul_f64 v[15:16], v[0:1], v[15:16]
	s_waitcnt vmcnt(0)
	v_fma_f64 v[0:1], v[0:1], v[17:18], -v[19:20]
	v_fma_f64 v[2:3], v[2:3], v[17:18], v[15:16]
	buffer_store_dword v0, off, s[0:3], 0 offset:624
	buffer_store_dword v1, off, s[0:3], 0 offset:628
	;; [unrolled: 1-line block ×4, first 2 shown]
.LBB122_962:                            ; =>This Inner Loop Header: Depth=1
	v_mov_b32_e32 v10, s16
	v_add_nc_u32_e32 v19, s16, v4
	s_add_i32 s16, s16, 32
	s_clause 0x7
	buffer_load_dword v23, v10, s[0:3], 0 offen offset:640
	buffer_load_dword v24, v10, s[0:3], 0 offen offset:644
	;; [unrolled: 1-line block ×8, first 2 shown]
	ds_read2_b64 v[15:18], v19 offset1:1
	ds_read2_b64 v[19:22], v19 offset0:2 offset1:3
	s_cmpk_lg_i32 s16, 0x160
	s_waitcnt lgkmcnt(1)
	v_mul_f64 v[31:32], v[17:18], v[2:3]
	v_mul_f64 v[33:34], v[15:16], v[2:3]
	s_waitcnt lgkmcnt(0)
	v_mul_f64 v[35:36], v[21:22], v[2:3]
	v_mul_f64 v[37:38], v[19:20], v[2:3]
	v_fma_f64 v[15:16], v[15:16], v[0:1], -v[31:32]
	v_fma_f64 v[17:18], v[17:18], v[0:1], v[33:34]
	v_fma_f64 v[19:20], v[19:20], v[0:1], -v[35:36]
	v_fma_f64 v[21:22], v[21:22], v[0:1], v[37:38]
	s_waitcnt vmcnt(6)
	v_add_f64 v[15:16], v[23:24], -v[15:16]
	s_waitcnt vmcnt(4)
	v_add_f64 v[17:18], v[25:26], -v[17:18]
	;; [unrolled: 2-line block ×4, first 2 shown]
	buffer_store_dword v15, v10, s[0:3], 0 offen offset:640
	buffer_store_dword v16, v10, s[0:3], 0 offen offset:644
	;; [unrolled: 1-line block ×8, first 2 shown]
	s_cbranch_scc1 .LBB122_962
.LBB122_963:
	s_or_b32 exec_lo, exec_lo, s4
	v_mov_b32_e32 v3, s40
	s_waitcnt_vscnt null, 0x0
	s_barrier
	buffer_gl0_inv
	v_lshl_add_u32 v4, v11, 4, v12
	s_clause 0x3
	buffer_load_dword v0, v3, s[0:3], 0 offen
	buffer_load_dword v1, v3, s[0:3], 0 offen offset:4
	buffer_load_dword v2, v3, s[0:3], 0 offen offset:8
	;; [unrolled: 1-line block ×3, first 2 shown]
	s_cmp_lt_i32 s57, 42
	s_waitcnt vmcnt(0)
	ds_write2_b64 v4, v[0:1], v[2:3] offset1:1
	s_waitcnt lgkmcnt(0)
	s_barrier
	buffer_gl0_inv
	ds_read2_b64 v[0:3], v12 offset0:80 offset1:81
	v_mov_b32_e32 v4, 40
	s_cbranch_scc1 .LBB122_966
; %bb.964:
	v_add3_u32 v10, v14, 0, 0x290
	v_mov_b32_e32 v4, 40
	s_mov_b32 s16, 41
	s_inst_prefetch 0x1
	.p2align	6
.LBB122_965:                            ; =>This Inner Loop Header: Depth=1
	s_waitcnt lgkmcnt(0)
	v_cmp_gt_f64_e32 vcc_lo, 0, v[2:3]
	v_cmp_gt_f64_e64 s4, 0, v[0:1]
	ds_read2_b64 v[15:18], v10 offset1:1
	v_xor_b32_e32 v20, 0x80000000, v1
	v_xor_b32_e32 v22, 0x80000000, v3
	v_mov_b32_e32 v19, v0
	v_mov_b32_e32 v21, v2
	v_add_nc_u32_e32 v10, 16, v10
	s_waitcnt lgkmcnt(0)
	v_xor_b32_e32 v24, 0x80000000, v18
	v_cndmask_b32_e64 v20, v1, v20, s4
	v_cndmask_b32_e32 v22, v3, v22, vcc_lo
	v_cmp_gt_f64_e32 vcc_lo, 0, v[17:18]
	v_cmp_gt_f64_e64 s4, 0, v[15:16]
	v_mov_b32_e32 v23, v17
	v_add_f64 v[19:20], v[19:20], v[21:22]
	v_xor_b32_e32 v22, 0x80000000, v16
	v_mov_b32_e32 v21, v15
	v_cndmask_b32_e32 v24, v18, v24, vcc_lo
	v_cndmask_b32_e64 v22, v16, v22, s4
	v_add_f64 v[21:22], v[21:22], v[23:24]
	v_cmp_lt_f64_e32 vcc_lo, v[19:20], v[21:22]
	v_cndmask_b32_e32 v1, v1, v16, vcc_lo
	v_cndmask_b32_e32 v0, v0, v15, vcc_lo
	;; [unrolled: 1-line block ×4, first 2 shown]
	v_cndmask_b32_e64 v4, v4, s16, vcc_lo
	s_add_i32 s16, s16, 1
	s_cmp_lg_u32 s57, s16
	s_cbranch_scc1 .LBB122_965
.LBB122_966:
	s_inst_prefetch 0x2
	s_waitcnt lgkmcnt(0)
	v_cmp_eq_f64_e32 vcc_lo, 0, v[0:1]
	v_cmp_eq_f64_e64 s4, 0, v[2:3]
	s_and_b32 s4, vcc_lo, s4
	s_and_saveexec_b32 s16, s4
	s_xor_b32 s4, exec_lo, s16
; %bb.967:
	v_cmp_ne_u32_e32 vcc_lo, 0, v13
	v_cndmask_b32_e32 v13, 41, v13, vcc_lo
; %bb.968:
	s_andn2_saveexec_b32 s4, s4
	s_cbranch_execz .LBB122_974
; %bb.969:
	v_cmp_ngt_f64_e64 s16, |v[0:1]|, |v[2:3]|
	s_and_saveexec_b32 s17, s16
	s_xor_b32 s16, exec_lo, s17
	s_cbranch_execz .LBB122_971
; %bb.970:
	v_div_scale_f64 v[15:16], null, v[2:3], v[2:3], v[0:1]
	v_div_scale_f64 v[21:22], vcc_lo, v[0:1], v[2:3], v[0:1]
	v_rcp_f64_e32 v[17:18], v[15:16]
	v_fma_f64 v[19:20], -v[15:16], v[17:18], 1.0
	v_fma_f64 v[17:18], v[17:18], v[19:20], v[17:18]
	v_fma_f64 v[19:20], -v[15:16], v[17:18], 1.0
	v_fma_f64 v[17:18], v[17:18], v[19:20], v[17:18]
	v_mul_f64 v[19:20], v[21:22], v[17:18]
	v_fma_f64 v[15:16], -v[15:16], v[19:20], v[21:22]
	v_div_fmas_f64 v[15:16], v[15:16], v[17:18], v[19:20]
	v_div_fixup_f64 v[15:16], v[15:16], v[2:3], v[0:1]
	v_fma_f64 v[0:1], v[0:1], v[15:16], v[2:3]
	v_div_scale_f64 v[2:3], null, v[0:1], v[0:1], 1.0
	v_rcp_f64_e32 v[17:18], v[2:3]
	v_fma_f64 v[19:20], -v[2:3], v[17:18], 1.0
	v_fma_f64 v[17:18], v[17:18], v[19:20], v[17:18]
	v_fma_f64 v[19:20], -v[2:3], v[17:18], 1.0
	v_fma_f64 v[17:18], v[17:18], v[19:20], v[17:18]
	v_div_scale_f64 v[19:20], vcc_lo, 1.0, v[0:1], 1.0
	v_mul_f64 v[21:22], v[19:20], v[17:18]
	v_fma_f64 v[2:3], -v[2:3], v[21:22], v[19:20]
	v_div_fmas_f64 v[2:3], v[2:3], v[17:18], v[21:22]
	v_div_fixup_f64 v[2:3], v[2:3], v[0:1], 1.0
	v_mul_f64 v[0:1], v[15:16], v[2:3]
	v_xor_b32_e32 v3, 0x80000000, v3
.LBB122_971:
	s_andn2_saveexec_b32 s16, s16
	s_cbranch_execz .LBB122_973
; %bb.972:
	v_div_scale_f64 v[15:16], null, v[0:1], v[0:1], v[2:3]
	v_div_scale_f64 v[21:22], vcc_lo, v[2:3], v[0:1], v[2:3]
	v_rcp_f64_e32 v[17:18], v[15:16]
	v_fma_f64 v[19:20], -v[15:16], v[17:18], 1.0
	v_fma_f64 v[17:18], v[17:18], v[19:20], v[17:18]
	v_fma_f64 v[19:20], -v[15:16], v[17:18], 1.0
	v_fma_f64 v[17:18], v[17:18], v[19:20], v[17:18]
	v_mul_f64 v[19:20], v[21:22], v[17:18]
	v_fma_f64 v[15:16], -v[15:16], v[19:20], v[21:22]
	v_div_fmas_f64 v[15:16], v[15:16], v[17:18], v[19:20]
	v_div_fixup_f64 v[15:16], v[15:16], v[0:1], v[2:3]
	v_fma_f64 v[0:1], v[2:3], v[15:16], v[0:1]
	v_div_scale_f64 v[2:3], null, v[0:1], v[0:1], 1.0
	v_rcp_f64_e32 v[17:18], v[2:3]
	v_fma_f64 v[19:20], -v[2:3], v[17:18], 1.0
	v_fma_f64 v[17:18], v[17:18], v[19:20], v[17:18]
	v_fma_f64 v[19:20], -v[2:3], v[17:18], 1.0
	v_fma_f64 v[17:18], v[17:18], v[19:20], v[17:18]
	v_div_scale_f64 v[19:20], vcc_lo, 1.0, v[0:1], 1.0
	v_mul_f64 v[21:22], v[19:20], v[17:18]
	v_fma_f64 v[2:3], -v[2:3], v[21:22], v[19:20]
	v_div_fmas_f64 v[2:3], v[2:3], v[17:18], v[21:22]
	v_div_fixup_f64 v[0:1], v[2:3], v[0:1], 1.0
	v_mul_f64 v[2:3], v[15:16], -v[0:1]
.LBB122_973:
	s_or_b32 exec_lo, exec_lo, s16
.LBB122_974:
	s_or_b32 exec_lo, exec_lo, s4
	s_mov_b32 s4, exec_lo
	v_cmpx_ne_u32_e64 v11, v4
	s_xor_b32 s4, exec_lo, s4
	s_cbranch_execz .LBB122_980
; %bb.975:
	s_mov_b32 s16, exec_lo
	v_cmpx_eq_u32_e32 40, v11
	s_cbranch_execz .LBB122_979
; %bb.976:
	v_cmp_ne_u32_e32 vcc_lo, 40, v4
	s_xor_b32 s17, s20, -1
	s_and_b32 s56, s17, vcc_lo
	s_and_saveexec_b32 s17, s56
	s_cbranch_execz .LBB122_978
; %bb.977:
	v_ashrrev_i32_e32 v5, 31, v4
	v_lshlrev_b64 v[10:11], 2, v[4:5]
	v_add_co_u32 v10, vcc_lo, v8, v10
	v_add_co_ci_u32_e64 v11, null, v9, v11, vcc_lo
	s_clause 0x1
	global_load_dword v5, v[10:11], off
	global_load_dword v15, v[8:9], off offset:160
	s_waitcnt vmcnt(1)
	global_store_dword v[8:9], v5, off offset:160
	s_waitcnt vmcnt(0)
	global_store_dword v[10:11], v15, off
.LBB122_978:
	s_or_b32 exec_lo, exec_lo, s17
	v_mov_b32_e32 v11, v4
	v_mov_b32_e32 v5, v4
.LBB122_979:
	s_or_b32 exec_lo, exec_lo, s16
.LBB122_980:
	s_andn2_saveexec_b32 s4, s4
	s_cbranch_execz .LBB122_982
; %bb.981:
	v_mov_b32_e32 v4, s39
	v_mov_b32_e32 v11, s37
	;; [unrolled: 1-line block ×3, first 2 shown]
	s_clause 0x7
	buffer_load_dword v15, v4, s[0:3], 0 offen
	buffer_load_dword v16, v4, s[0:3], 0 offen offset:4
	buffer_load_dword v17, v4, s[0:3], 0 offen offset:8
	buffer_load_dword v18, v4, s[0:3], 0 offen offset:12
	buffer_load_dword v19, v10, s[0:3], 0 offen
	buffer_load_dword v20, v10, s[0:3], 0 offen offset:4
	buffer_load_dword v21, v10, s[0:3], 0 offen offset:8
	buffer_load_dword v22, v10, s[0:3], 0 offen offset:12
	v_mov_b32_e32 v4, s36
	v_mov_b32_e32 v10, s35
	s_clause 0x7
	buffer_load_dword v23, v11, s[0:3], 0 offen
	buffer_load_dword v24, v11, s[0:3], 0 offen offset:4
	buffer_load_dword v25, v11, s[0:3], 0 offen offset:8
	buffer_load_dword v26, v11, s[0:3], 0 offen offset:12
	buffer_load_dword v27, v4, s[0:3], 0 offen
	buffer_load_dword v28, v4, s[0:3], 0 offen offset:4
	buffer_load_dword v29, v4, s[0:3], 0 offen offset:8
	buffer_load_dword v30, v4, s[0:3], 0 offen offset:12
	v_mov_b32_e32 v11, s33
	v_mov_b32_e32 v4, s34
	;; [unrolled: 11-line block ×9, first 2 shown]
	s_clause 0xb
	buffer_load_dword v87, v11, s[0:3], 0 offen
	buffer_load_dword v88, v11, s[0:3], 0 offen offset:4
	buffer_load_dword v89, v11, s[0:3], 0 offen offset:8
	buffer_load_dword v90, v11, s[0:3], 0 offen offset:12
	buffer_load_dword v91, v4, s[0:3], 0 offen
	buffer_load_dword v92, v4, s[0:3], 0 offen offset:4
	buffer_load_dword v93, v4, s[0:3], 0 offen offset:8
	buffer_load_dword v94, v4, s[0:3], 0 offen offset:12
	;; [unrolled: 4-line block ×3, first 2 shown]
	v_mov_b32_e32 v11, 40
	s_waitcnt vmcnt(62)
	ds_write2_b64 v12, v[15:16], v[17:18] offset0:82 offset1:83
	ds_write2_b64 v12, v[19:20], v[21:22] offset0:84 offset1:85
	;; [unrolled: 1-line block ×5, first 2 shown]
	s_waitcnt vmcnt(60)
	ds_write2_b64 v12, v[35:36], v[37:38] offset0:92 offset1:93
	s_waitcnt vmcnt(56)
	ds_write2_b64 v12, v[39:40], v[41:42] offset0:94 offset1:95
	;; [unrolled: 2-line block ×16, first 2 shown]
.LBB122_982:
	s_or_b32 exec_lo, exec_lo, s4
	s_mov_b32 s4, exec_lo
	s_waitcnt lgkmcnt(0)
	s_waitcnt_vscnt null, 0x0
	s_barrier
	buffer_gl0_inv
	v_cmpx_lt_i32_e32 40, v11
	s_cbranch_execz .LBB122_985
; %bb.983:
	s_clause 0x3
	buffer_load_dword v15, off, s[0:3], 0 offset:648
	buffer_load_dword v16, off, s[0:3], 0 offset:652
	;; [unrolled: 1-line block ×4, first 2 shown]
	v_add3_u32 v4, v14, 0, 0x290
	s_mov_b32 s81, 0
	s_waitcnt vmcnt(2)
	v_mul_f64 v[19:20], v[2:3], v[15:16]
	v_mul_f64 v[15:16], v[0:1], v[15:16]
	s_waitcnt vmcnt(0)
	v_fma_f64 v[0:1], v[0:1], v[17:18], -v[19:20]
	v_fma_f64 v[2:3], v[2:3], v[17:18], v[15:16]
	buffer_store_dword v0, off, s[0:3], 0 offset:640
	buffer_store_dword v1, off, s[0:3], 0 offset:644
	;; [unrolled: 1-line block ×4, first 2 shown]
.LBB122_984:                            ; =>This Inner Loop Header: Depth=1
	v_add_nc_u32_e32 v10, s81, v4
	v_mov_b32_e32 v75, s81
	s_addk_i32 s81, 0x70
	ds_read2_b64 v[15:18], v10 offset1:1
	ds_read2_b64 v[19:22], v10 offset0:2 offset1:3
	ds_read2_b64 v[23:26], v10 offset0:4 offset1:5
	;; [unrolled: 1-line block ×5, first 2 shown]
	s_cmpk_lg_i32 s81, 0x150
	s_waitcnt lgkmcnt(5)
	v_mul_f64 v[39:40], v[17:18], v[2:3]
	v_mul_f64 v[41:42], v[15:16], v[2:3]
	s_waitcnt lgkmcnt(4)
	v_mul_f64 v[43:44], v[21:22], v[2:3]
	v_mul_f64 v[45:46], v[19:20], v[2:3]
	;; [unrolled: 3-line block ×6, first 2 shown]
	s_clause 0x5
	buffer_load_dword v63, v75, s[0:3], 0 offen offset:656
	buffer_load_dword v64, v75, s[0:3], 0 offen offset:660
	buffer_load_dword v65, v75, s[0:3], 0 offen offset:664
	buffer_load_dword v66, v75, s[0:3], 0 offen offset:668
	buffer_load_dword v2, off, s[0:3], 0 offset:648
	buffer_load_dword v3, off, s[0:3], 0 offset:652
	v_fma_f64 v[39:40], v[15:16], v[0:1], -v[39:40]
	v_fma_f64 v[41:42], v[17:18], v[0:1], v[41:42]
	v_fma_f64 v[19:20], v[19:20], v[0:1], -v[43:44]
	v_fma_f64 v[21:22], v[21:22], v[0:1], v[45:46]
	;; [unrolled: 2-line block ×6, first 2 shown]
	s_clause 0x19
	buffer_load_dword v0, off, s[0:3], 0 offset:640
	buffer_load_dword v1, off, s[0:3], 0 offset:644
	buffer_load_dword v43, v75, s[0:3], 0 offen offset:672
	buffer_load_dword v44, v75, s[0:3], 0 offen offset:676
	buffer_load_dword v45, v75, s[0:3], 0 offen offset:680
	buffer_load_dword v46, v75, s[0:3], 0 offen offset:684
	buffer_load_dword v47, v75, s[0:3], 0 offen offset:688
	buffer_load_dword v48, v75, s[0:3], 0 offen offset:692
	buffer_load_dword v49, v75, s[0:3], 0 offen offset:696
	buffer_load_dword v50, v75, s[0:3], 0 offen offset:700
	buffer_load_dword v51, v75, s[0:3], 0 offen offset:704
	buffer_load_dword v52, v75, s[0:3], 0 offen offset:708
	buffer_load_dword v53, v75, s[0:3], 0 offen offset:712
	buffer_load_dword v54, v75, s[0:3], 0 offen offset:716
	buffer_load_dword v55, v75, s[0:3], 0 offen offset:720
	buffer_load_dword v56, v75, s[0:3], 0 offen offset:724
	buffer_load_dword v57, v75, s[0:3], 0 offen offset:728
	buffer_load_dword v58, v75, s[0:3], 0 offen offset:732
	buffer_load_dword v59, v75, s[0:3], 0 offen offset:736
	buffer_load_dword v60, v75, s[0:3], 0 offen offset:740
	buffer_load_dword v61, v75, s[0:3], 0 offen offset:744
	buffer_load_dword v62, v75, s[0:3], 0 offen offset:748
	buffer_load_dword v67, v75, s[0:3], 0 offen offset:752
	buffer_load_dword v68, v75, s[0:3], 0 offen offset:756
	buffer_load_dword v69, v75, s[0:3], 0 offen offset:760
	buffer_load_dword v70, v75, s[0:3], 0 offen offset:764
	ds_read2_b64 v[15:18], v10 offset0:12 offset1:13
	s_waitcnt vmcnt(30)
	v_add_f64 v[39:40], v[63:64], -v[39:40]
	s_waitcnt vmcnt(28)
	v_add_f64 v[41:42], v[65:66], -v[41:42]
	s_waitcnt vmcnt(26) lgkmcnt(0)
	v_mul_f64 v[71:72], v[17:18], v[2:3]
	v_mul_f64 v[73:74], v[15:16], v[2:3]
	s_waitcnt vmcnt(20)
	v_add_f64 v[21:22], v[45:46], -v[21:22]
	v_add_f64 v[19:20], v[43:44], -v[19:20]
	s_waitcnt vmcnt(18)
	v_add_f64 v[23:24], v[47:48], -v[23:24]
	buffer_store_dword v39, v75, s[0:3], 0 offen offset:656
	buffer_store_dword v40, v75, s[0:3], 0 offen offset:660
	;; [unrolled: 1-line block ×6, first 2 shown]
	v_fma_f64 v[15:16], v[15:16], v[0:1], -v[71:72]
	v_fma_f64 v[17:18], v[17:18], v[0:1], v[73:74]
	s_waitcnt vmcnt(16)
	v_add_f64 v[25:26], v[49:50], -v[25:26]
	s_waitcnt vmcnt(14)
	v_add_f64 v[27:28], v[51:52], -v[27:28]
	;; [unrolled: 2-line block ×9, first 2 shown]
	buffer_store_dword v21, v75, s[0:3], 0 offen offset:680
	buffer_store_dword v22, v75, s[0:3], 0 offen offset:684
	;; [unrolled: 1-line block ×22, first 2 shown]
	s_cbranch_scc1 .LBB122_984
.LBB122_985:
	s_or_b32 exec_lo, exec_lo, s4
	v_mov_b32_e32 v3, s39
	s_waitcnt_vscnt null, 0x0
	s_barrier
	buffer_gl0_inv
	v_lshl_add_u32 v4, v11, 4, v12
	s_clause 0x3
	buffer_load_dword v0, v3, s[0:3], 0 offen
	buffer_load_dword v1, v3, s[0:3], 0 offen offset:4
	buffer_load_dword v2, v3, s[0:3], 0 offen offset:8
	;; [unrolled: 1-line block ×3, first 2 shown]
	s_cmp_lt_i32 s57, 43
	s_waitcnt vmcnt(0)
	ds_write2_b64 v4, v[0:1], v[2:3] offset1:1
	s_waitcnt lgkmcnt(0)
	s_barrier
	buffer_gl0_inv
	ds_read2_b64 v[0:3], v12 offset0:82 offset1:83
	v_mov_b32_e32 v4, 41
	s_cbranch_scc1 .LBB122_988
; %bb.986:
	v_add3_u32 v10, v14, 0, 0x2a0
	v_mov_b32_e32 v4, 41
	s_mov_b32 s16, 42
	s_inst_prefetch 0x1
	.p2align	6
.LBB122_987:                            ; =>This Inner Loop Header: Depth=1
	s_waitcnt lgkmcnt(0)
	v_cmp_gt_f64_e32 vcc_lo, 0, v[2:3]
	v_cmp_gt_f64_e64 s4, 0, v[0:1]
	ds_read2_b64 v[15:18], v10 offset1:1
	v_xor_b32_e32 v20, 0x80000000, v1
	v_xor_b32_e32 v22, 0x80000000, v3
	v_mov_b32_e32 v19, v0
	v_mov_b32_e32 v21, v2
	v_add_nc_u32_e32 v10, 16, v10
	s_waitcnt lgkmcnt(0)
	v_xor_b32_e32 v24, 0x80000000, v18
	v_cndmask_b32_e64 v20, v1, v20, s4
	v_cndmask_b32_e32 v22, v3, v22, vcc_lo
	v_cmp_gt_f64_e32 vcc_lo, 0, v[17:18]
	v_cmp_gt_f64_e64 s4, 0, v[15:16]
	v_mov_b32_e32 v23, v17
	v_add_f64 v[19:20], v[19:20], v[21:22]
	v_xor_b32_e32 v22, 0x80000000, v16
	v_mov_b32_e32 v21, v15
	v_cndmask_b32_e32 v24, v18, v24, vcc_lo
	v_cndmask_b32_e64 v22, v16, v22, s4
	v_add_f64 v[21:22], v[21:22], v[23:24]
	v_cmp_lt_f64_e32 vcc_lo, v[19:20], v[21:22]
	v_cndmask_b32_e32 v1, v1, v16, vcc_lo
	v_cndmask_b32_e32 v0, v0, v15, vcc_lo
	;; [unrolled: 1-line block ×4, first 2 shown]
	v_cndmask_b32_e64 v4, v4, s16, vcc_lo
	s_add_i32 s16, s16, 1
	s_cmp_lg_u32 s57, s16
	s_cbranch_scc1 .LBB122_987
.LBB122_988:
	s_inst_prefetch 0x2
	s_waitcnt lgkmcnt(0)
	v_cmp_eq_f64_e32 vcc_lo, 0, v[0:1]
	v_cmp_eq_f64_e64 s4, 0, v[2:3]
	s_and_b32 s4, vcc_lo, s4
	s_and_saveexec_b32 s16, s4
	s_xor_b32 s4, exec_lo, s16
; %bb.989:
	v_cmp_ne_u32_e32 vcc_lo, 0, v13
	v_cndmask_b32_e32 v13, 42, v13, vcc_lo
; %bb.990:
	s_andn2_saveexec_b32 s4, s4
	s_cbranch_execz .LBB122_996
; %bb.991:
	v_cmp_ngt_f64_e64 s16, |v[0:1]|, |v[2:3]|
	s_and_saveexec_b32 s17, s16
	s_xor_b32 s16, exec_lo, s17
	s_cbranch_execz .LBB122_993
; %bb.992:
	v_div_scale_f64 v[15:16], null, v[2:3], v[2:3], v[0:1]
	v_div_scale_f64 v[21:22], vcc_lo, v[0:1], v[2:3], v[0:1]
	v_rcp_f64_e32 v[17:18], v[15:16]
	v_fma_f64 v[19:20], -v[15:16], v[17:18], 1.0
	v_fma_f64 v[17:18], v[17:18], v[19:20], v[17:18]
	v_fma_f64 v[19:20], -v[15:16], v[17:18], 1.0
	v_fma_f64 v[17:18], v[17:18], v[19:20], v[17:18]
	v_mul_f64 v[19:20], v[21:22], v[17:18]
	v_fma_f64 v[15:16], -v[15:16], v[19:20], v[21:22]
	v_div_fmas_f64 v[15:16], v[15:16], v[17:18], v[19:20]
	v_div_fixup_f64 v[15:16], v[15:16], v[2:3], v[0:1]
	v_fma_f64 v[0:1], v[0:1], v[15:16], v[2:3]
	v_div_scale_f64 v[2:3], null, v[0:1], v[0:1], 1.0
	v_rcp_f64_e32 v[17:18], v[2:3]
	v_fma_f64 v[19:20], -v[2:3], v[17:18], 1.0
	v_fma_f64 v[17:18], v[17:18], v[19:20], v[17:18]
	v_fma_f64 v[19:20], -v[2:3], v[17:18], 1.0
	v_fma_f64 v[17:18], v[17:18], v[19:20], v[17:18]
	v_div_scale_f64 v[19:20], vcc_lo, 1.0, v[0:1], 1.0
	v_mul_f64 v[21:22], v[19:20], v[17:18]
	v_fma_f64 v[2:3], -v[2:3], v[21:22], v[19:20]
	v_div_fmas_f64 v[2:3], v[2:3], v[17:18], v[21:22]
	v_div_fixup_f64 v[2:3], v[2:3], v[0:1], 1.0
	v_mul_f64 v[0:1], v[15:16], v[2:3]
	v_xor_b32_e32 v3, 0x80000000, v3
.LBB122_993:
	s_andn2_saveexec_b32 s16, s16
	s_cbranch_execz .LBB122_995
; %bb.994:
	v_div_scale_f64 v[15:16], null, v[0:1], v[0:1], v[2:3]
	v_div_scale_f64 v[21:22], vcc_lo, v[2:3], v[0:1], v[2:3]
	v_rcp_f64_e32 v[17:18], v[15:16]
	v_fma_f64 v[19:20], -v[15:16], v[17:18], 1.0
	v_fma_f64 v[17:18], v[17:18], v[19:20], v[17:18]
	v_fma_f64 v[19:20], -v[15:16], v[17:18], 1.0
	v_fma_f64 v[17:18], v[17:18], v[19:20], v[17:18]
	v_mul_f64 v[19:20], v[21:22], v[17:18]
	v_fma_f64 v[15:16], -v[15:16], v[19:20], v[21:22]
	v_div_fmas_f64 v[15:16], v[15:16], v[17:18], v[19:20]
	v_div_fixup_f64 v[15:16], v[15:16], v[0:1], v[2:3]
	v_fma_f64 v[0:1], v[2:3], v[15:16], v[0:1]
	v_div_scale_f64 v[2:3], null, v[0:1], v[0:1], 1.0
	v_rcp_f64_e32 v[17:18], v[2:3]
	v_fma_f64 v[19:20], -v[2:3], v[17:18], 1.0
	v_fma_f64 v[17:18], v[17:18], v[19:20], v[17:18]
	v_fma_f64 v[19:20], -v[2:3], v[17:18], 1.0
	v_fma_f64 v[17:18], v[17:18], v[19:20], v[17:18]
	v_div_scale_f64 v[19:20], vcc_lo, 1.0, v[0:1], 1.0
	v_mul_f64 v[21:22], v[19:20], v[17:18]
	v_fma_f64 v[2:3], -v[2:3], v[21:22], v[19:20]
	v_div_fmas_f64 v[2:3], v[2:3], v[17:18], v[21:22]
	v_div_fixup_f64 v[0:1], v[2:3], v[0:1], 1.0
	v_mul_f64 v[2:3], v[15:16], -v[0:1]
.LBB122_995:
	s_or_b32 exec_lo, exec_lo, s16
.LBB122_996:
	s_or_b32 exec_lo, exec_lo, s4
	s_mov_b32 s4, exec_lo
	v_cmpx_ne_u32_e64 v11, v4
	s_xor_b32 s4, exec_lo, s4
	s_cbranch_execz .LBB122_1002
; %bb.997:
	s_mov_b32 s16, exec_lo
	v_cmpx_eq_u32_e32 41, v11
	s_cbranch_execz .LBB122_1001
; %bb.998:
	v_cmp_ne_u32_e32 vcc_lo, 41, v4
	s_xor_b32 s17, s20, -1
	s_and_b32 s56, s17, vcc_lo
	s_and_saveexec_b32 s17, s56
	s_cbranch_execz .LBB122_1000
; %bb.999:
	v_ashrrev_i32_e32 v5, 31, v4
	v_lshlrev_b64 v[10:11], 2, v[4:5]
	v_add_co_u32 v10, vcc_lo, v8, v10
	v_add_co_ci_u32_e64 v11, null, v9, v11, vcc_lo
	s_clause 0x1
	global_load_dword v5, v[10:11], off
	global_load_dword v15, v[8:9], off offset:164
	s_waitcnt vmcnt(1)
	global_store_dword v[8:9], v5, off offset:164
	s_waitcnt vmcnt(0)
	global_store_dword v[10:11], v15, off
.LBB122_1000:
	s_or_b32 exec_lo, exec_lo, s17
	v_mov_b32_e32 v11, v4
	v_mov_b32_e32 v5, v4
.LBB122_1001:
	s_or_b32 exec_lo, exec_lo, s16
.LBB122_1002:
	s_andn2_saveexec_b32 s4, s4
	s_cbranch_execz .LBB122_1004
; %bb.1003:
	v_mov_b32_e32 v4, s38
	v_mov_b32_e32 v11, s36
	;; [unrolled: 1-line block ×3, first 2 shown]
	s_clause 0x7
	buffer_load_dword v15, v4, s[0:3], 0 offen
	buffer_load_dword v16, v4, s[0:3], 0 offen offset:4
	buffer_load_dword v17, v4, s[0:3], 0 offen offset:8
	buffer_load_dword v18, v4, s[0:3], 0 offen offset:12
	buffer_load_dword v19, v10, s[0:3], 0 offen
	buffer_load_dword v20, v10, s[0:3], 0 offen offset:4
	buffer_load_dword v21, v10, s[0:3], 0 offen offset:8
	buffer_load_dword v22, v10, s[0:3], 0 offen offset:12
	v_mov_b32_e32 v4, s35
	v_mov_b32_e32 v10, s34
	s_clause 0x7
	buffer_load_dword v23, v11, s[0:3], 0 offen
	buffer_load_dword v24, v11, s[0:3], 0 offen offset:4
	buffer_load_dword v25, v11, s[0:3], 0 offen offset:8
	buffer_load_dword v26, v11, s[0:3], 0 offen offset:12
	buffer_load_dword v27, v4, s[0:3], 0 offen
	buffer_load_dword v28, v4, s[0:3], 0 offen offset:4
	buffer_load_dword v29, v4, s[0:3], 0 offen offset:8
	buffer_load_dword v30, v4, s[0:3], 0 offen offset:12
	v_mov_b32_e32 v11, s31
	v_mov_b32_e32 v4, s33
	;; [unrolled: 11-line block ×8, first 2 shown]
	s_clause 0x7
	buffer_load_dword v79, v10, s[0:3], 0 offen
	buffer_load_dword v80, v10, s[0:3], 0 offen offset:4
	buffer_load_dword v81, v10, s[0:3], 0 offen offset:8
	;; [unrolled: 1-line block ×3, first 2 shown]
	buffer_load_dword v83, v4, s[0:3], 0 offen
	buffer_load_dword v84, v4, s[0:3], 0 offen offset:4
	buffer_load_dword v85, v4, s[0:3], 0 offen offset:8
	;; [unrolled: 1-line block ×3, first 2 shown]
	v_mov_b32_e32 v4, s5
	s_clause 0x7
	buffer_load_dword v87, v11, s[0:3], 0 offen
	buffer_load_dword v88, v11, s[0:3], 0 offen offset:4
	buffer_load_dword v89, v11, s[0:3], 0 offen offset:8
	;; [unrolled: 1-line block ×3, first 2 shown]
	buffer_load_dword v91, v4, s[0:3], 0 offen
	buffer_load_dword v92, v4, s[0:3], 0 offen offset:4
	buffer_load_dword v93, v4, s[0:3], 0 offen offset:8
	;; [unrolled: 1-line block ×3, first 2 shown]
	v_mov_b32_e32 v11, 41
	s_waitcnt vmcnt(62)
	ds_write2_b64 v12, v[15:16], v[17:18] offset0:84 offset1:85
	ds_write2_b64 v12, v[19:20], v[21:22] offset0:86 offset1:87
	;; [unrolled: 1-line block ×4, first 2 shown]
	s_waitcnt vmcnt(60)
	ds_write2_b64 v12, v[31:32], v[33:34] offset0:92 offset1:93
	s_waitcnt vmcnt(56)
	ds_write2_b64 v12, v[35:36], v[37:38] offset0:94 offset1:95
	;; [unrolled: 2-line block ×16, first 2 shown]
.LBB122_1004:
	s_or_b32 exec_lo, exec_lo, s4
	s_mov_b32 s4, exec_lo
	s_waitcnt lgkmcnt(0)
	s_waitcnt_vscnt null, 0x0
	s_barrier
	buffer_gl0_inv
	v_cmpx_lt_i32_e32 41, v11
	s_cbranch_execz .LBB122_1007
; %bb.1005:
	s_clause 0x3
	buffer_load_dword v15, off, s[0:3], 0 offset:664
	buffer_load_dword v16, off, s[0:3], 0 offset:668
	;; [unrolled: 1-line block ×4, first 2 shown]
	v_add3_u32 v4, v14, 0, 0x2a0
	s_mov_b32 s81, 0
	s_waitcnt vmcnt(2)
	v_mul_f64 v[19:20], v[2:3], v[15:16]
	v_mul_f64 v[15:16], v[0:1], v[15:16]
	s_waitcnt vmcnt(0)
	v_fma_f64 v[0:1], v[0:1], v[17:18], -v[19:20]
	v_fma_f64 v[2:3], v[2:3], v[17:18], v[15:16]
	buffer_store_dword v0, off, s[0:3], 0 offset:656
	buffer_store_dword v1, off, s[0:3], 0 offset:660
	;; [unrolled: 1-line block ×4, first 2 shown]
.LBB122_1006:                           ; =>This Inner Loop Header: Depth=1
	v_mov_b32_e32 v10, s81
	v_add_nc_u32_e32 v31, s81, v4
	s_addk_i32 s81, 0x50
	s_clause 0x13
	buffer_load_dword v35, v10, s[0:3], 0 offen offset:672
	buffer_load_dword v36, v10, s[0:3], 0 offen offset:676
	;; [unrolled: 1-line block ×20, first 2 shown]
	ds_read2_b64 v[15:18], v31 offset1:1
	ds_read2_b64 v[19:22], v31 offset0:2 offset1:3
	ds_read2_b64 v[23:26], v31 offset0:4 offset1:5
	;; [unrolled: 1-line block ×4, first 2 shown]
	s_cmpk_lg_i32 s81, 0x140
	s_waitcnt lgkmcnt(4)
	v_mul_f64 v[55:56], v[17:18], v[2:3]
	v_mul_f64 v[57:58], v[15:16], v[2:3]
	s_waitcnt lgkmcnt(3)
	v_mul_f64 v[59:60], v[21:22], v[2:3]
	v_mul_f64 v[61:62], v[19:20], v[2:3]
	;; [unrolled: 3-line block ×5, first 2 shown]
	v_fma_f64 v[15:16], v[15:16], v[0:1], -v[55:56]
	v_fma_f64 v[17:18], v[17:18], v[0:1], v[57:58]
	v_fma_f64 v[19:20], v[19:20], v[0:1], -v[59:60]
	v_fma_f64 v[21:22], v[21:22], v[0:1], v[61:62]
	;; [unrolled: 2-line block ×5, first 2 shown]
	s_waitcnt vmcnt(18)
	v_add_f64 v[15:16], v[35:36], -v[15:16]
	s_waitcnt vmcnt(16)
	v_add_f64 v[17:18], v[37:38], -v[17:18]
	;; [unrolled: 2-line block ×10, first 2 shown]
	buffer_store_dword v15, v10, s[0:3], 0 offen offset:672
	buffer_store_dword v16, v10, s[0:3], 0 offen offset:676
	;; [unrolled: 1-line block ×20, first 2 shown]
	s_cbranch_scc1 .LBB122_1006
.LBB122_1007:
	s_or_b32 exec_lo, exec_lo, s4
	v_mov_b32_e32 v3, s38
	s_waitcnt_vscnt null, 0x0
	s_barrier
	buffer_gl0_inv
	v_lshl_add_u32 v4, v11, 4, v12
	s_clause 0x3
	buffer_load_dword v0, v3, s[0:3], 0 offen
	buffer_load_dword v1, v3, s[0:3], 0 offen offset:4
	buffer_load_dword v2, v3, s[0:3], 0 offen offset:8
	;; [unrolled: 1-line block ×3, first 2 shown]
	s_cmp_lt_i32 s57, 44
	s_waitcnt vmcnt(0)
	ds_write2_b64 v4, v[0:1], v[2:3] offset1:1
	s_waitcnt lgkmcnt(0)
	s_barrier
	buffer_gl0_inv
	ds_read2_b64 v[0:3], v12 offset0:84 offset1:85
	v_mov_b32_e32 v4, 42
	s_cbranch_scc1 .LBB122_1010
; %bb.1008:
	v_add3_u32 v10, v14, 0, 0x2b0
	v_mov_b32_e32 v4, 42
	s_mov_b32 s16, 43
	s_inst_prefetch 0x1
	.p2align	6
.LBB122_1009:                           ; =>This Inner Loop Header: Depth=1
	s_waitcnt lgkmcnt(0)
	v_cmp_gt_f64_e32 vcc_lo, 0, v[2:3]
	v_cmp_gt_f64_e64 s4, 0, v[0:1]
	ds_read2_b64 v[15:18], v10 offset1:1
	v_xor_b32_e32 v20, 0x80000000, v1
	v_xor_b32_e32 v22, 0x80000000, v3
	v_mov_b32_e32 v19, v0
	v_mov_b32_e32 v21, v2
	v_add_nc_u32_e32 v10, 16, v10
	s_waitcnt lgkmcnt(0)
	v_xor_b32_e32 v24, 0x80000000, v18
	v_cndmask_b32_e64 v20, v1, v20, s4
	v_cndmask_b32_e32 v22, v3, v22, vcc_lo
	v_cmp_gt_f64_e32 vcc_lo, 0, v[17:18]
	v_cmp_gt_f64_e64 s4, 0, v[15:16]
	v_mov_b32_e32 v23, v17
	v_add_f64 v[19:20], v[19:20], v[21:22]
	v_xor_b32_e32 v22, 0x80000000, v16
	v_mov_b32_e32 v21, v15
	v_cndmask_b32_e32 v24, v18, v24, vcc_lo
	v_cndmask_b32_e64 v22, v16, v22, s4
	v_add_f64 v[21:22], v[21:22], v[23:24]
	v_cmp_lt_f64_e32 vcc_lo, v[19:20], v[21:22]
	v_cndmask_b32_e32 v1, v1, v16, vcc_lo
	v_cndmask_b32_e32 v0, v0, v15, vcc_lo
	;; [unrolled: 1-line block ×4, first 2 shown]
	v_cndmask_b32_e64 v4, v4, s16, vcc_lo
	s_add_i32 s16, s16, 1
	s_cmp_lg_u32 s57, s16
	s_cbranch_scc1 .LBB122_1009
.LBB122_1010:
	s_inst_prefetch 0x2
	s_waitcnt lgkmcnt(0)
	v_cmp_eq_f64_e32 vcc_lo, 0, v[0:1]
	v_cmp_eq_f64_e64 s4, 0, v[2:3]
	s_and_b32 s4, vcc_lo, s4
	s_and_saveexec_b32 s16, s4
	s_xor_b32 s4, exec_lo, s16
; %bb.1011:
	v_cmp_ne_u32_e32 vcc_lo, 0, v13
	v_cndmask_b32_e32 v13, 43, v13, vcc_lo
; %bb.1012:
	s_andn2_saveexec_b32 s4, s4
	s_cbranch_execz .LBB122_1018
; %bb.1013:
	v_cmp_ngt_f64_e64 s16, |v[0:1]|, |v[2:3]|
	s_and_saveexec_b32 s17, s16
	s_xor_b32 s16, exec_lo, s17
	s_cbranch_execz .LBB122_1015
; %bb.1014:
	v_div_scale_f64 v[15:16], null, v[2:3], v[2:3], v[0:1]
	v_div_scale_f64 v[21:22], vcc_lo, v[0:1], v[2:3], v[0:1]
	v_rcp_f64_e32 v[17:18], v[15:16]
	v_fma_f64 v[19:20], -v[15:16], v[17:18], 1.0
	v_fma_f64 v[17:18], v[17:18], v[19:20], v[17:18]
	v_fma_f64 v[19:20], -v[15:16], v[17:18], 1.0
	v_fma_f64 v[17:18], v[17:18], v[19:20], v[17:18]
	v_mul_f64 v[19:20], v[21:22], v[17:18]
	v_fma_f64 v[15:16], -v[15:16], v[19:20], v[21:22]
	v_div_fmas_f64 v[15:16], v[15:16], v[17:18], v[19:20]
	v_div_fixup_f64 v[15:16], v[15:16], v[2:3], v[0:1]
	v_fma_f64 v[0:1], v[0:1], v[15:16], v[2:3]
	v_div_scale_f64 v[2:3], null, v[0:1], v[0:1], 1.0
	v_rcp_f64_e32 v[17:18], v[2:3]
	v_fma_f64 v[19:20], -v[2:3], v[17:18], 1.0
	v_fma_f64 v[17:18], v[17:18], v[19:20], v[17:18]
	v_fma_f64 v[19:20], -v[2:3], v[17:18], 1.0
	v_fma_f64 v[17:18], v[17:18], v[19:20], v[17:18]
	v_div_scale_f64 v[19:20], vcc_lo, 1.0, v[0:1], 1.0
	v_mul_f64 v[21:22], v[19:20], v[17:18]
	v_fma_f64 v[2:3], -v[2:3], v[21:22], v[19:20]
	v_div_fmas_f64 v[2:3], v[2:3], v[17:18], v[21:22]
	v_div_fixup_f64 v[2:3], v[2:3], v[0:1], 1.0
	v_mul_f64 v[0:1], v[15:16], v[2:3]
	v_xor_b32_e32 v3, 0x80000000, v3
.LBB122_1015:
	s_andn2_saveexec_b32 s16, s16
	s_cbranch_execz .LBB122_1017
; %bb.1016:
	v_div_scale_f64 v[15:16], null, v[0:1], v[0:1], v[2:3]
	v_div_scale_f64 v[21:22], vcc_lo, v[2:3], v[0:1], v[2:3]
	v_rcp_f64_e32 v[17:18], v[15:16]
	v_fma_f64 v[19:20], -v[15:16], v[17:18], 1.0
	v_fma_f64 v[17:18], v[17:18], v[19:20], v[17:18]
	v_fma_f64 v[19:20], -v[15:16], v[17:18], 1.0
	v_fma_f64 v[17:18], v[17:18], v[19:20], v[17:18]
	v_mul_f64 v[19:20], v[21:22], v[17:18]
	v_fma_f64 v[15:16], -v[15:16], v[19:20], v[21:22]
	v_div_fmas_f64 v[15:16], v[15:16], v[17:18], v[19:20]
	v_div_fixup_f64 v[15:16], v[15:16], v[0:1], v[2:3]
	v_fma_f64 v[0:1], v[2:3], v[15:16], v[0:1]
	v_div_scale_f64 v[2:3], null, v[0:1], v[0:1], 1.0
	v_rcp_f64_e32 v[17:18], v[2:3]
	v_fma_f64 v[19:20], -v[2:3], v[17:18], 1.0
	v_fma_f64 v[17:18], v[17:18], v[19:20], v[17:18]
	v_fma_f64 v[19:20], -v[2:3], v[17:18], 1.0
	v_fma_f64 v[17:18], v[17:18], v[19:20], v[17:18]
	v_div_scale_f64 v[19:20], vcc_lo, 1.0, v[0:1], 1.0
	v_mul_f64 v[21:22], v[19:20], v[17:18]
	v_fma_f64 v[2:3], -v[2:3], v[21:22], v[19:20]
	v_div_fmas_f64 v[2:3], v[2:3], v[17:18], v[21:22]
	v_div_fixup_f64 v[0:1], v[2:3], v[0:1], 1.0
	v_mul_f64 v[2:3], v[15:16], -v[0:1]
.LBB122_1017:
	s_or_b32 exec_lo, exec_lo, s16
.LBB122_1018:
	s_or_b32 exec_lo, exec_lo, s4
	s_mov_b32 s4, exec_lo
	v_cmpx_ne_u32_e64 v11, v4
	s_xor_b32 s4, exec_lo, s4
	s_cbranch_execz .LBB122_1024
; %bb.1019:
	s_mov_b32 s16, exec_lo
	v_cmpx_eq_u32_e32 42, v11
	s_cbranch_execz .LBB122_1023
; %bb.1020:
	v_cmp_ne_u32_e32 vcc_lo, 42, v4
	s_xor_b32 s17, s20, -1
	s_and_b32 s56, s17, vcc_lo
	s_and_saveexec_b32 s17, s56
	s_cbranch_execz .LBB122_1022
; %bb.1021:
	v_ashrrev_i32_e32 v5, 31, v4
	v_lshlrev_b64 v[10:11], 2, v[4:5]
	v_add_co_u32 v10, vcc_lo, v8, v10
	v_add_co_ci_u32_e64 v11, null, v9, v11, vcc_lo
	s_clause 0x1
	global_load_dword v5, v[10:11], off
	global_load_dword v15, v[8:9], off offset:168
	s_waitcnt vmcnt(1)
	global_store_dword v[8:9], v5, off offset:168
	s_waitcnt vmcnt(0)
	global_store_dword v[10:11], v15, off
.LBB122_1022:
	s_or_b32 exec_lo, exec_lo, s17
	v_mov_b32_e32 v11, v4
	v_mov_b32_e32 v5, v4
.LBB122_1023:
	s_or_b32 exec_lo, exec_lo, s16
.LBB122_1024:
	s_andn2_saveexec_b32 s4, s4
	s_cbranch_execz .LBB122_1026
; %bb.1025:
	v_mov_b32_e32 v4, s37
	v_mov_b32_e32 v10, s36
	;; [unrolled: 1-line block ×3, first 2 shown]
	s_clause 0x7
	buffer_load_dword v15, v4, s[0:3], 0 offen
	buffer_load_dword v16, v4, s[0:3], 0 offen offset:4
	buffer_load_dword v17, v4, s[0:3], 0 offen offset:8
	buffer_load_dword v18, v4, s[0:3], 0 offen offset:12
	buffer_load_dword v19, v10, s[0:3], 0 offen
	buffer_load_dword v20, v10, s[0:3], 0 offen offset:4
	buffer_load_dword v21, v10, s[0:3], 0 offen offset:8
	buffer_load_dword v22, v10, s[0:3], 0 offen offset:12
	v_mov_b32_e32 v10, s33
	v_mov_b32_e32 v4, s34
	s_clause 0x7
	buffer_load_dword v23, v11, s[0:3], 0 offen
	buffer_load_dword v24, v11, s[0:3], 0 offen offset:4
	buffer_load_dword v25, v11, s[0:3], 0 offen offset:8
	buffer_load_dword v26, v11, s[0:3], 0 offen offset:12
	buffer_load_dword v27, v4, s[0:3], 0 offen
	buffer_load_dword v28, v4, s[0:3], 0 offen offset:4
	buffer_load_dword v29, v4, s[0:3], 0 offen offset:8
	buffer_load_dword v30, v4, s[0:3], 0 offen offset:12
	v_mov_b32_e32 v4, s31
	v_mov_b32_e32 v11, s30
	;; [unrolled: 11-line block ×8, first 2 shown]
	s_clause 0xb
	buffer_load_dword v79, v10, s[0:3], 0 offen
	buffer_load_dword v80, v10, s[0:3], 0 offen offset:4
	buffer_load_dword v81, v10, s[0:3], 0 offen offset:8
	buffer_load_dword v82, v10, s[0:3], 0 offen offset:12
	buffer_load_dword v83, v4, s[0:3], 0 offen
	buffer_load_dword v84, v4, s[0:3], 0 offen offset:4
	buffer_load_dword v85, v4, s[0:3], 0 offen offset:8
	buffer_load_dword v86, v4, s[0:3], 0 offen offset:12
	;; [unrolled: 4-line block ×3, first 2 shown]
	v_mov_b32_e32 v11, 42
	s_waitcnt vmcnt(62)
	ds_write2_b64 v12, v[15:16], v[17:18] offset0:86 offset1:87
	ds_write2_b64 v12, v[19:20], v[21:22] offset0:88 offset1:89
	ds_write2_b64 v12, v[23:24], v[25:26] offset0:90 offset1:91
	s_waitcnt vmcnt(60)
	ds_write2_b64 v12, v[27:28], v[29:30] offset0:92 offset1:93
	s_waitcnt vmcnt(56)
	ds_write2_b64 v12, v[31:32], v[33:34] offset0:94 offset1:95
	;; [unrolled: 2-line block ×16, first 2 shown]
.LBB122_1026:
	s_or_b32 exec_lo, exec_lo, s4
	s_mov_b32 s4, exec_lo
	s_waitcnt lgkmcnt(0)
	s_waitcnt_vscnt null, 0x0
	s_barrier
	buffer_gl0_inv
	v_cmpx_lt_i32_e32 42, v11
	s_cbranch_execz .LBB122_1031
; %bb.1027:
	s_clause 0x3
	buffer_load_dword v15, off, s[0:3], 0 offset:680
	buffer_load_dword v16, off, s[0:3], 0 offset:684
	;; [unrolled: 1-line block ×4, first 2 shown]
	v_add3_u32 v4, v14, 0, 0x2b0
	s_mov_b32 s16, 0
	s_waitcnt vmcnt(2)
	v_mul_f64 v[19:20], v[2:3], v[15:16]
	v_mul_f64 v[15:16], v[0:1], v[15:16]
	s_waitcnt vmcnt(0)
	v_fma_f64 v[0:1], v[0:1], v[17:18], -v[19:20]
	v_fma_f64 v[2:3], v[2:3], v[17:18], v[15:16]
	buffer_store_dword v0, off, s[0:3], 0 offset:672
	buffer_store_dword v1, off, s[0:3], 0 offset:676
	;; [unrolled: 1-line block ×4, first 2 shown]
	s_branch .LBB122_1029
.LBB122_1028:                           ;   in Loop: Header=BB122_1029 Depth=1
	s_andn2_b32 vcc_lo, exec_lo, s56
	s_cbranch_vccz .LBB122_1031
.LBB122_1029:                           ; =>This Inner Loop Header: Depth=1
	v_mov_b32_e32 v51, s16
	v_add_nc_u32_e32 v10, s16, v4
	s_mov_b32 s17, s16
	s_mov_b32 s56, -1
	s_cmpk_eq_i32 s16, 0x100
	s_clause 0xb
	buffer_load_dword v27, v51, s[0:3], 0 offen offset:688
	buffer_load_dword v28, v51, s[0:3], 0 offen offset:692
	buffer_load_dword v29, v51, s[0:3], 0 offen offset:696
	buffer_load_dword v30, v51, s[0:3], 0 offen offset:700
	buffer_load_dword v31, v51, s[0:3], 0 offen offset:704
	buffer_load_dword v32, v51, s[0:3], 0 offen offset:708
	buffer_load_dword v33, v51, s[0:3], 0 offen offset:712
	buffer_load_dword v34, v51, s[0:3], 0 offen offset:716
	buffer_load_dword v35, v51, s[0:3], 0 offen offset:720
	buffer_load_dword v36, v51, s[0:3], 0 offen offset:724
	buffer_load_dword v37, v51, s[0:3], 0 offen offset:728
	buffer_load_dword v38, v51, s[0:3], 0 offen offset:732
	ds_read2_b64 v[15:18], v10 offset1:1
	ds_read2_b64 v[19:22], v10 offset0:2 offset1:3
	ds_read2_b64 v[23:26], v10 offset0:4 offset1:5
	s_waitcnt lgkmcnt(2)
	v_mul_f64 v[39:40], v[17:18], v[2:3]
	v_mul_f64 v[41:42], v[15:16], v[2:3]
	s_waitcnt lgkmcnt(1)
	v_mul_f64 v[43:44], v[21:22], v[2:3]
	v_mul_f64 v[45:46], v[19:20], v[2:3]
	;; [unrolled: 3-line block ×3, first 2 shown]
	v_fma_f64 v[15:16], v[15:16], v[0:1], -v[39:40]
	v_fma_f64 v[17:18], v[17:18], v[0:1], v[41:42]
	v_fma_f64 v[19:20], v[19:20], v[0:1], -v[43:44]
	v_fma_f64 v[21:22], v[21:22], v[0:1], v[45:46]
	;; [unrolled: 2-line block ×3, first 2 shown]
	s_waitcnt vmcnt(10)
	v_add_f64 v[15:16], v[27:28], -v[15:16]
	s_waitcnt vmcnt(8)
	v_add_f64 v[17:18], v[29:30], -v[17:18]
	;; [unrolled: 2-line block ×6, first 2 shown]
	buffer_store_dword v15, v51, s[0:3], 0 offen offset:688
	buffer_store_dword v16, v51, s[0:3], 0 offen offset:692
	;; [unrolled: 1-line block ×12, first 2 shown]
	s_cbranch_scc1 .LBB122_1028
; %bb.1030:                             ;   in Loop: Header=BB122_1029 Depth=1
	v_mov_b32_e32 v27, s17
	s_add_i32 s16, s16, 64
	s_mov_b32 s56, 0
	s_clause 0x3
	buffer_load_dword v19, v27, s[0:3], 0 offen offset:736
	buffer_load_dword v20, v27, s[0:3], 0 offen offset:740
	;; [unrolled: 1-line block ×4, first 2 shown]
	ds_read2_b64 v[15:18], v10 offset0:6 offset1:7
	s_waitcnt lgkmcnt(0)
	v_mul_f64 v[23:24], v[17:18], v[2:3]
	v_mul_f64 v[25:26], v[15:16], v[2:3]
	v_fma_f64 v[15:16], v[15:16], v[0:1], -v[23:24]
	v_fma_f64 v[17:18], v[17:18], v[0:1], v[25:26]
	s_waitcnt vmcnt(2)
	v_add_f64 v[15:16], v[19:20], -v[15:16]
	s_waitcnt vmcnt(0)
	v_add_f64 v[17:18], v[21:22], -v[17:18]
	buffer_store_dword v15, v27, s[0:3], 0 offen offset:736
	buffer_store_dword v16, v27, s[0:3], 0 offen offset:740
	;; [unrolled: 1-line block ×4, first 2 shown]
	s_branch .LBB122_1028
.LBB122_1031:
	s_or_b32 exec_lo, exec_lo, s4
	v_mov_b32_e32 v3, s37
	s_waitcnt_vscnt null, 0x0
	s_barrier
	buffer_gl0_inv
	v_lshl_add_u32 v4, v11, 4, v12
	s_clause 0x3
	buffer_load_dword v0, v3, s[0:3], 0 offen
	buffer_load_dword v1, v3, s[0:3], 0 offen offset:4
	buffer_load_dword v2, v3, s[0:3], 0 offen offset:8
	;; [unrolled: 1-line block ×3, first 2 shown]
	s_cmp_lt_i32 s57, 45
	s_waitcnt vmcnt(0)
	ds_write2_b64 v4, v[0:1], v[2:3] offset1:1
	s_waitcnt lgkmcnt(0)
	s_barrier
	buffer_gl0_inv
	ds_read2_b64 v[0:3], v12 offset0:86 offset1:87
	v_mov_b32_e32 v4, 43
	s_cbranch_scc1 .LBB122_1034
; %bb.1032:
	v_add3_u32 v10, v14, 0, 0x2c0
	v_mov_b32_e32 v4, 43
	s_mov_b32 s16, 44
	s_inst_prefetch 0x1
	.p2align	6
.LBB122_1033:                           ; =>This Inner Loop Header: Depth=1
	s_waitcnt lgkmcnt(0)
	v_cmp_gt_f64_e32 vcc_lo, 0, v[2:3]
	v_cmp_gt_f64_e64 s4, 0, v[0:1]
	ds_read2_b64 v[15:18], v10 offset1:1
	v_xor_b32_e32 v20, 0x80000000, v1
	v_xor_b32_e32 v22, 0x80000000, v3
	v_mov_b32_e32 v19, v0
	v_mov_b32_e32 v21, v2
	v_add_nc_u32_e32 v10, 16, v10
	s_waitcnt lgkmcnt(0)
	v_xor_b32_e32 v24, 0x80000000, v18
	v_cndmask_b32_e64 v20, v1, v20, s4
	v_cndmask_b32_e32 v22, v3, v22, vcc_lo
	v_cmp_gt_f64_e32 vcc_lo, 0, v[17:18]
	v_cmp_gt_f64_e64 s4, 0, v[15:16]
	v_mov_b32_e32 v23, v17
	v_add_f64 v[19:20], v[19:20], v[21:22]
	v_xor_b32_e32 v22, 0x80000000, v16
	v_mov_b32_e32 v21, v15
	v_cndmask_b32_e32 v24, v18, v24, vcc_lo
	v_cndmask_b32_e64 v22, v16, v22, s4
	v_add_f64 v[21:22], v[21:22], v[23:24]
	v_cmp_lt_f64_e32 vcc_lo, v[19:20], v[21:22]
	v_cndmask_b32_e32 v1, v1, v16, vcc_lo
	v_cndmask_b32_e32 v0, v0, v15, vcc_lo
	v_cndmask_b32_e32 v3, v3, v18, vcc_lo
	v_cndmask_b32_e32 v2, v2, v17, vcc_lo
	v_cndmask_b32_e64 v4, v4, s16, vcc_lo
	s_add_i32 s16, s16, 1
	s_cmp_lg_u32 s57, s16
	s_cbranch_scc1 .LBB122_1033
.LBB122_1034:
	s_inst_prefetch 0x2
	s_waitcnt lgkmcnt(0)
	v_cmp_eq_f64_e32 vcc_lo, 0, v[0:1]
	v_cmp_eq_f64_e64 s4, 0, v[2:3]
	s_and_b32 s4, vcc_lo, s4
	s_and_saveexec_b32 s16, s4
	s_xor_b32 s4, exec_lo, s16
; %bb.1035:
	v_cmp_ne_u32_e32 vcc_lo, 0, v13
	v_cndmask_b32_e32 v13, 44, v13, vcc_lo
; %bb.1036:
	s_andn2_saveexec_b32 s4, s4
	s_cbranch_execz .LBB122_1042
; %bb.1037:
	v_cmp_ngt_f64_e64 s16, |v[0:1]|, |v[2:3]|
	s_and_saveexec_b32 s17, s16
	s_xor_b32 s16, exec_lo, s17
	s_cbranch_execz .LBB122_1039
; %bb.1038:
	v_div_scale_f64 v[15:16], null, v[2:3], v[2:3], v[0:1]
	v_div_scale_f64 v[21:22], vcc_lo, v[0:1], v[2:3], v[0:1]
	v_rcp_f64_e32 v[17:18], v[15:16]
	v_fma_f64 v[19:20], -v[15:16], v[17:18], 1.0
	v_fma_f64 v[17:18], v[17:18], v[19:20], v[17:18]
	v_fma_f64 v[19:20], -v[15:16], v[17:18], 1.0
	v_fma_f64 v[17:18], v[17:18], v[19:20], v[17:18]
	v_mul_f64 v[19:20], v[21:22], v[17:18]
	v_fma_f64 v[15:16], -v[15:16], v[19:20], v[21:22]
	v_div_fmas_f64 v[15:16], v[15:16], v[17:18], v[19:20]
	v_div_fixup_f64 v[15:16], v[15:16], v[2:3], v[0:1]
	v_fma_f64 v[0:1], v[0:1], v[15:16], v[2:3]
	v_div_scale_f64 v[2:3], null, v[0:1], v[0:1], 1.0
	v_rcp_f64_e32 v[17:18], v[2:3]
	v_fma_f64 v[19:20], -v[2:3], v[17:18], 1.0
	v_fma_f64 v[17:18], v[17:18], v[19:20], v[17:18]
	v_fma_f64 v[19:20], -v[2:3], v[17:18], 1.0
	v_fma_f64 v[17:18], v[17:18], v[19:20], v[17:18]
	v_div_scale_f64 v[19:20], vcc_lo, 1.0, v[0:1], 1.0
	v_mul_f64 v[21:22], v[19:20], v[17:18]
	v_fma_f64 v[2:3], -v[2:3], v[21:22], v[19:20]
	v_div_fmas_f64 v[2:3], v[2:3], v[17:18], v[21:22]
	v_div_fixup_f64 v[2:3], v[2:3], v[0:1], 1.0
	v_mul_f64 v[0:1], v[15:16], v[2:3]
	v_xor_b32_e32 v3, 0x80000000, v3
.LBB122_1039:
	s_andn2_saveexec_b32 s16, s16
	s_cbranch_execz .LBB122_1041
; %bb.1040:
	v_div_scale_f64 v[15:16], null, v[0:1], v[0:1], v[2:3]
	v_div_scale_f64 v[21:22], vcc_lo, v[2:3], v[0:1], v[2:3]
	v_rcp_f64_e32 v[17:18], v[15:16]
	v_fma_f64 v[19:20], -v[15:16], v[17:18], 1.0
	v_fma_f64 v[17:18], v[17:18], v[19:20], v[17:18]
	v_fma_f64 v[19:20], -v[15:16], v[17:18], 1.0
	v_fma_f64 v[17:18], v[17:18], v[19:20], v[17:18]
	v_mul_f64 v[19:20], v[21:22], v[17:18]
	v_fma_f64 v[15:16], -v[15:16], v[19:20], v[21:22]
	v_div_fmas_f64 v[15:16], v[15:16], v[17:18], v[19:20]
	v_div_fixup_f64 v[15:16], v[15:16], v[0:1], v[2:3]
	v_fma_f64 v[0:1], v[2:3], v[15:16], v[0:1]
	v_div_scale_f64 v[2:3], null, v[0:1], v[0:1], 1.0
	v_rcp_f64_e32 v[17:18], v[2:3]
	v_fma_f64 v[19:20], -v[2:3], v[17:18], 1.0
	v_fma_f64 v[17:18], v[17:18], v[19:20], v[17:18]
	v_fma_f64 v[19:20], -v[2:3], v[17:18], 1.0
	v_fma_f64 v[17:18], v[17:18], v[19:20], v[17:18]
	v_div_scale_f64 v[19:20], vcc_lo, 1.0, v[0:1], 1.0
	v_mul_f64 v[21:22], v[19:20], v[17:18]
	v_fma_f64 v[2:3], -v[2:3], v[21:22], v[19:20]
	v_div_fmas_f64 v[2:3], v[2:3], v[17:18], v[21:22]
	v_div_fixup_f64 v[0:1], v[2:3], v[0:1], 1.0
	v_mul_f64 v[2:3], v[15:16], -v[0:1]
.LBB122_1041:
	s_or_b32 exec_lo, exec_lo, s16
.LBB122_1042:
	s_or_b32 exec_lo, exec_lo, s4
	s_mov_b32 s4, exec_lo
	v_cmpx_ne_u32_e64 v11, v4
	s_xor_b32 s4, exec_lo, s4
	s_cbranch_execz .LBB122_1048
; %bb.1043:
	s_mov_b32 s16, exec_lo
	v_cmpx_eq_u32_e32 43, v11
	s_cbranch_execz .LBB122_1047
; %bb.1044:
	v_cmp_ne_u32_e32 vcc_lo, 43, v4
	s_xor_b32 s17, s20, -1
	s_and_b32 s56, s17, vcc_lo
	s_and_saveexec_b32 s17, s56
	s_cbranch_execz .LBB122_1046
; %bb.1045:
	v_ashrrev_i32_e32 v5, 31, v4
	v_lshlrev_b64 v[10:11], 2, v[4:5]
	v_add_co_u32 v10, vcc_lo, v8, v10
	v_add_co_ci_u32_e64 v11, null, v9, v11, vcc_lo
	s_clause 0x1
	global_load_dword v5, v[10:11], off
	global_load_dword v15, v[8:9], off offset:172
	s_waitcnt vmcnt(1)
	global_store_dword v[8:9], v5, off offset:172
	s_waitcnt vmcnt(0)
	global_store_dword v[10:11], v15, off
.LBB122_1046:
	s_or_b32 exec_lo, exec_lo, s17
	v_mov_b32_e32 v11, v4
	v_mov_b32_e32 v5, v4
.LBB122_1047:
	s_or_b32 exec_lo, exec_lo, s16
.LBB122_1048:
	s_andn2_saveexec_b32 s4, s4
	s_cbranch_execz .LBB122_1050
; %bb.1049:
	v_mov_b32_e32 v4, s36
	v_mov_b32_e32 v10, s35
	;; [unrolled: 1-line block ×3, first 2 shown]
	s_clause 0x7
	buffer_load_dword v15, v4, s[0:3], 0 offen
	buffer_load_dword v16, v4, s[0:3], 0 offen offset:4
	buffer_load_dword v17, v4, s[0:3], 0 offen offset:8
	buffer_load_dword v18, v4, s[0:3], 0 offen offset:12
	buffer_load_dword v19, v10, s[0:3], 0 offen
	buffer_load_dword v20, v10, s[0:3], 0 offen offset:4
	buffer_load_dword v21, v10, s[0:3], 0 offen offset:8
	buffer_load_dword v22, v10, s[0:3], 0 offen offset:12
	v_mov_b32_e32 v10, s31
	v_mov_b32_e32 v4, s33
	s_clause 0x7
	buffer_load_dword v23, v11, s[0:3], 0 offen
	buffer_load_dword v24, v11, s[0:3], 0 offen offset:4
	buffer_load_dword v25, v11, s[0:3], 0 offen offset:8
	buffer_load_dword v26, v11, s[0:3], 0 offen offset:12
	buffer_load_dword v27, v4, s[0:3], 0 offen
	buffer_load_dword v28, v4, s[0:3], 0 offen offset:4
	buffer_load_dword v29, v4, s[0:3], 0 offen offset:8
	buffer_load_dword v30, v4, s[0:3], 0 offen offset:12
	v_mov_b32_e32 v4, s30
	v_mov_b32_e32 v11, s29
	;; [unrolled: 11-line block ×7, first 2 shown]
	s_clause 0x7
	buffer_load_dword v71, v11, s[0:3], 0 offen
	buffer_load_dword v72, v11, s[0:3], 0 offen offset:4
	buffer_load_dword v73, v11, s[0:3], 0 offen offset:8
	;; [unrolled: 1-line block ×3, first 2 shown]
	buffer_load_dword v75, v4, s[0:3], 0 offen
	buffer_load_dword v76, v4, s[0:3], 0 offen offset:4
	buffer_load_dword v77, v4, s[0:3], 0 offen offset:8
	;; [unrolled: 1-line block ×3, first 2 shown]
	v_mov_b32_e32 v4, s5
	s_clause 0x7
	buffer_load_dword v79, v10, s[0:3], 0 offen
	buffer_load_dword v80, v10, s[0:3], 0 offen offset:4
	buffer_load_dword v81, v10, s[0:3], 0 offen offset:8
	;; [unrolled: 1-line block ×3, first 2 shown]
	buffer_load_dword v83, v4, s[0:3], 0 offen
	buffer_load_dword v84, v4, s[0:3], 0 offen offset:4
	buffer_load_dword v85, v4, s[0:3], 0 offen offset:8
	;; [unrolled: 1-line block ×3, first 2 shown]
	v_mov_b32_e32 v11, 43
	s_waitcnt vmcnt(62)
	ds_write2_b64 v12, v[15:16], v[17:18] offset0:88 offset1:89
	ds_write2_b64 v12, v[19:20], v[21:22] offset0:90 offset1:91
	s_waitcnt vmcnt(60)
	ds_write2_b64 v12, v[23:24], v[25:26] offset0:92 offset1:93
	s_waitcnt vmcnt(56)
	ds_write2_b64 v12, v[27:28], v[29:30] offset0:94 offset1:95
	s_waitcnt vmcnt(52)
	ds_write2_b64 v12, v[31:32], v[33:34] offset0:96 offset1:97
	s_waitcnt vmcnt(48)
	ds_write2_b64 v12, v[35:36], v[37:38] offset0:98 offset1:99
	s_waitcnt vmcnt(44)
	ds_write2_b64 v12, v[39:40], v[41:42] offset0:100 offset1:101
	s_waitcnt vmcnt(40)
	ds_write2_b64 v12, v[43:44], v[45:46] offset0:102 offset1:103
	s_waitcnt vmcnt(36)
	ds_write2_b64 v12, v[47:48], v[49:50] offset0:104 offset1:105
	s_waitcnt vmcnt(32)
	ds_write2_b64 v12, v[51:52], v[53:54] offset0:106 offset1:107
	s_waitcnt vmcnt(28)
	ds_write2_b64 v12, v[55:56], v[57:58] offset0:108 offset1:109
	s_waitcnt vmcnt(24)
	ds_write2_b64 v12, v[59:60], v[61:62] offset0:110 offset1:111
	s_waitcnt vmcnt(20)
	ds_write2_b64 v12, v[63:64], v[65:66] offset0:112 offset1:113
	s_waitcnt vmcnt(16)
	ds_write2_b64 v12, v[67:68], v[69:70] offset0:114 offset1:115
	s_waitcnt vmcnt(12)
	ds_write2_b64 v12, v[71:72], v[73:74] offset0:116 offset1:117
	s_waitcnt vmcnt(8)
	ds_write2_b64 v12, v[75:76], v[77:78] offset0:118 offset1:119
	s_waitcnt vmcnt(4)
	ds_write2_b64 v12, v[79:80], v[81:82] offset0:120 offset1:121
	s_waitcnt vmcnt(0)
	ds_write2_b64 v12, v[83:84], v[85:86] offset0:122 offset1:123
.LBB122_1050:
	s_or_b32 exec_lo, exec_lo, s4
	s_mov_b32 s4, exec_lo
	s_waitcnt lgkmcnt(0)
	s_waitcnt_vscnt null, 0x0
	s_barrier
	buffer_gl0_inv
	v_cmpx_lt_i32_e32 43, v11
	s_cbranch_execz .LBB122_1053
; %bb.1051:
	s_clause 0x3
	buffer_load_dword v15, off, s[0:3], 0 offset:696
	buffer_load_dword v16, off, s[0:3], 0 offset:700
	;; [unrolled: 1-line block ×4, first 2 shown]
	v_add3_u32 v4, v14, 0, 0x2c0
	s_mov_b32 s81, 0
	s_waitcnt vmcnt(2)
	v_mul_f64 v[19:20], v[2:3], v[15:16]
	v_mul_f64 v[15:16], v[0:1], v[15:16]
	s_waitcnt vmcnt(0)
	v_fma_f64 v[0:1], v[0:1], v[17:18], -v[19:20]
	v_fma_f64 v[2:3], v[2:3], v[17:18], v[15:16]
	buffer_store_dword v0, off, s[0:3], 0 offset:688
	buffer_store_dword v1, off, s[0:3], 0 offset:692
	;; [unrolled: 1-line block ×4, first 2 shown]
.LBB122_1052:                           ; =>This Inner Loop Header: Depth=1
	v_mov_b32_e32 v10, s81
	v_add_nc_u32_e32 v35, s81, v4
	s_addk_i32 s81, 0x60
	s_clause 0x17
	buffer_load_dword v39, v10, s[0:3], 0 offen offset:704
	buffer_load_dword v40, v10, s[0:3], 0 offen offset:708
	;; [unrolled: 1-line block ×24, first 2 shown]
	ds_read2_b64 v[15:18], v35 offset1:1
	ds_read2_b64 v[19:22], v35 offset0:2 offset1:3
	ds_read2_b64 v[23:26], v35 offset0:4 offset1:5
	;; [unrolled: 1-line block ×5, first 2 shown]
	s_cmpk_lg_i32 s81, 0x120
	s_waitcnt lgkmcnt(5)
	v_mul_f64 v[63:64], v[17:18], v[2:3]
	v_mul_f64 v[65:66], v[15:16], v[2:3]
	s_waitcnt lgkmcnt(4)
	v_mul_f64 v[67:68], v[21:22], v[2:3]
	v_mul_f64 v[69:70], v[19:20], v[2:3]
	;; [unrolled: 3-line block ×6, first 2 shown]
	v_fma_f64 v[15:16], v[15:16], v[0:1], -v[63:64]
	v_fma_f64 v[17:18], v[17:18], v[0:1], v[65:66]
	v_fma_f64 v[19:20], v[19:20], v[0:1], -v[67:68]
	v_fma_f64 v[21:22], v[21:22], v[0:1], v[69:70]
	;; [unrolled: 2-line block ×6, first 2 shown]
	s_waitcnt vmcnt(22)
	v_add_f64 v[15:16], v[39:40], -v[15:16]
	s_waitcnt vmcnt(20)
	v_add_f64 v[17:18], v[41:42], -v[17:18]
	;; [unrolled: 2-line block ×12, first 2 shown]
	buffer_store_dword v15, v10, s[0:3], 0 offen offset:704
	buffer_store_dword v16, v10, s[0:3], 0 offen offset:708
	;; [unrolled: 1-line block ×24, first 2 shown]
	s_cbranch_scc1 .LBB122_1052
.LBB122_1053:
	s_or_b32 exec_lo, exec_lo, s4
	v_mov_b32_e32 v3, s36
	s_waitcnt_vscnt null, 0x0
	s_barrier
	buffer_gl0_inv
	v_lshl_add_u32 v4, v11, 4, v12
	s_clause 0x3
	buffer_load_dword v0, v3, s[0:3], 0 offen
	buffer_load_dword v1, v3, s[0:3], 0 offen offset:4
	buffer_load_dword v2, v3, s[0:3], 0 offen offset:8
	;; [unrolled: 1-line block ×3, first 2 shown]
	v_readlane_b32 s16, v162, 0
	v_readlane_b32 s17, v162, 1
	s_cmp_lt_i32 s57, 46
	s_mov_b32 s21, s17
	s_waitcnt vmcnt(0)
	ds_write2_b64 v4, v[0:1], v[2:3] offset1:1
	s_waitcnt lgkmcnt(0)
	s_barrier
	buffer_gl0_inv
	ds_read2_b64 v[0:3], v12 offset0:88 offset1:89
	v_mov_b32_e32 v4, 44
	s_cbranch_scc1 .LBB122_1056
; %bb.1054:
	v_add3_u32 v10, v14, 0, 0x2d0
	v_mov_b32_e32 v4, 44
	s_mov_b32 s16, 45
	s_inst_prefetch 0x1
	.p2align	6
.LBB122_1055:                           ; =>This Inner Loop Header: Depth=1
	s_waitcnt lgkmcnt(0)
	v_cmp_gt_f64_e32 vcc_lo, 0, v[2:3]
	v_cmp_gt_f64_e64 s4, 0, v[0:1]
	ds_read2_b64 v[15:18], v10 offset1:1
	v_xor_b32_e32 v20, 0x80000000, v1
	v_xor_b32_e32 v22, 0x80000000, v3
	v_mov_b32_e32 v19, v0
	v_mov_b32_e32 v21, v2
	v_add_nc_u32_e32 v10, 16, v10
	s_waitcnt lgkmcnt(0)
	v_xor_b32_e32 v24, 0x80000000, v18
	v_cndmask_b32_e64 v20, v1, v20, s4
	v_cndmask_b32_e32 v22, v3, v22, vcc_lo
	v_cmp_gt_f64_e32 vcc_lo, 0, v[17:18]
	v_cmp_gt_f64_e64 s4, 0, v[15:16]
	v_mov_b32_e32 v23, v17
	v_add_f64 v[19:20], v[19:20], v[21:22]
	v_xor_b32_e32 v22, 0x80000000, v16
	v_mov_b32_e32 v21, v15
	v_cndmask_b32_e32 v24, v18, v24, vcc_lo
	v_cndmask_b32_e64 v22, v16, v22, s4
	v_add_f64 v[21:22], v[21:22], v[23:24]
	v_cmp_lt_f64_e32 vcc_lo, v[19:20], v[21:22]
	v_cndmask_b32_e32 v1, v1, v16, vcc_lo
	v_cndmask_b32_e32 v0, v0, v15, vcc_lo
	v_cndmask_b32_e32 v3, v3, v18, vcc_lo
	v_cndmask_b32_e32 v2, v2, v17, vcc_lo
	v_cndmask_b32_e64 v4, v4, s16, vcc_lo
	s_add_i32 s16, s16, 1
	s_cmp_lg_u32 s57, s16
	s_cbranch_scc1 .LBB122_1055
.LBB122_1056:
	s_inst_prefetch 0x2
	s_waitcnt lgkmcnt(0)
	v_cmp_eq_f64_e32 vcc_lo, 0, v[0:1]
	v_cmp_eq_f64_e64 s4, 0, v[2:3]
	s_and_b32 s4, vcc_lo, s4
	s_and_saveexec_b32 s16, s4
	s_xor_b32 s4, exec_lo, s16
; %bb.1057:
	v_cmp_ne_u32_e32 vcc_lo, 0, v13
	v_cndmask_b32_e32 v13, 45, v13, vcc_lo
; %bb.1058:
	s_andn2_saveexec_b32 s4, s4
	s_cbranch_execz .LBB122_1064
; %bb.1059:
	v_cmp_ngt_f64_e64 s16, |v[0:1]|, |v[2:3]|
	s_and_saveexec_b32 s17, s16
	s_xor_b32 s16, exec_lo, s17
	s_cbranch_execz .LBB122_1061
; %bb.1060:
	v_div_scale_f64 v[15:16], null, v[2:3], v[2:3], v[0:1]
	v_div_scale_f64 v[21:22], vcc_lo, v[0:1], v[2:3], v[0:1]
	v_rcp_f64_e32 v[17:18], v[15:16]
	v_fma_f64 v[19:20], -v[15:16], v[17:18], 1.0
	v_fma_f64 v[17:18], v[17:18], v[19:20], v[17:18]
	v_fma_f64 v[19:20], -v[15:16], v[17:18], 1.0
	v_fma_f64 v[17:18], v[17:18], v[19:20], v[17:18]
	v_mul_f64 v[19:20], v[21:22], v[17:18]
	v_fma_f64 v[15:16], -v[15:16], v[19:20], v[21:22]
	v_div_fmas_f64 v[15:16], v[15:16], v[17:18], v[19:20]
	v_div_fixup_f64 v[15:16], v[15:16], v[2:3], v[0:1]
	v_fma_f64 v[0:1], v[0:1], v[15:16], v[2:3]
	v_div_scale_f64 v[2:3], null, v[0:1], v[0:1], 1.0
	v_rcp_f64_e32 v[17:18], v[2:3]
	v_fma_f64 v[19:20], -v[2:3], v[17:18], 1.0
	v_fma_f64 v[17:18], v[17:18], v[19:20], v[17:18]
	v_fma_f64 v[19:20], -v[2:3], v[17:18], 1.0
	v_fma_f64 v[17:18], v[17:18], v[19:20], v[17:18]
	v_div_scale_f64 v[19:20], vcc_lo, 1.0, v[0:1], 1.0
	v_mul_f64 v[21:22], v[19:20], v[17:18]
	v_fma_f64 v[2:3], -v[2:3], v[21:22], v[19:20]
	v_div_fmas_f64 v[2:3], v[2:3], v[17:18], v[21:22]
	v_div_fixup_f64 v[2:3], v[2:3], v[0:1], 1.0
	v_mul_f64 v[0:1], v[15:16], v[2:3]
	v_xor_b32_e32 v3, 0x80000000, v3
.LBB122_1061:
	s_andn2_saveexec_b32 s16, s16
	s_cbranch_execz .LBB122_1063
; %bb.1062:
	v_div_scale_f64 v[15:16], null, v[0:1], v[0:1], v[2:3]
	v_div_scale_f64 v[21:22], vcc_lo, v[2:3], v[0:1], v[2:3]
	v_rcp_f64_e32 v[17:18], v[15:16]
	v_fma_f64 v[19:20], -v[15:16], v[17:18], 1.0
	v_fma_f64 v[17:18], v[17:18], v[19:20], v[17:18]
	v_fma_f64 v[19:20], -v[15:16], v[17:18], 1.0
	v_fma_f64 v[17:18], v[17:18], v[19:20], v[17:18]
	v_mul_f64 v[19:20], v[21:22], v[17:18]
	v_fma_f64 v[15:16], -v[15:16], v[19:20], v[21:22]
	v_div_fmas_f64 v[15:16], v[15:16], v[17:18], v[19:20]
	v_div_fixup_f64 v[15:16], v[15:16], v[0:1], v[2:3]
	v_fma_f64 v[0:1], v[2:3], v[15:16], v[0:1]
	v_div_scale_f64 v[2:3], null, v[0:1], v[0:1], 1.0
	v_rcp_f64_e32 v[17:18], v[2:3]
	v_fma_f64 v[19:20], -v[2:3], v[17:18], 1.0
	v_fma_f64 v[17:18], v[17:18], v[19:20], v[17:18]
	v_fma_f64 v[19:20], -v[2:3], v[17:18], 1.0
	v_fma_f64 v[17:18], v[17:18], v[19:20], v[17:18]
	v_div_scale_f64 v[19:20], vcc_lo, 1.0, v[0:1], 1.0
	v_mul_f64 v[21:22], v[19:20], v[17:18]
	v_fma_f64 v[2:3], -v[2:3], v[21:22], v[19:20]
	v_div_fmas_f64 v[2:3], v[2:3], v[17:18], v[21:22]
	v_div_fixup_f64 v[0:1], v[2:3], v[0:1], 1.0
	v_mul_f64 v[2:3], v[15:16], -v[0:1]
.LBB122_1063:
	s_or_b32 exec_lo, exec_lo, s16
.LBB122_1064:
	s_or_b32 exec_lo, exec_lo, s4
	s_mov_b32 s4, exec_lo
	v_cmpx_ne_u32_e64 v11, v4
	s_xor_b32 s4, exec_lo, s4
	s_cbranch_execz .LBB122_1070
; %bb.1065:
	s_mov_b32 s16, exec_lo
	v_cmpx_eq_u32_e32 44, v11
	s_cbranch_execz .LBB122_1069
; %bb.1066:
	v_cmp_ne_u32_e32 vcc_lo, 44, v4
	s_xor_b32 s17, s20, -1
	s_and_b32 s56, s17, vcc_lo
	s_and_saveexec_b32 s17, s56
	s_cbranch_execz .LBB122_1068
; %bb.1067:
	v_ashrrev_i32_e32 v5, 31, v4
	v_lshlrev_b64 v[10:11], 2, v[4:5]
	v_add_co_u32 v10, vcc_lo, v8, v10
	v_add_co_ci_u32_e64 v11, null, v9, v11, vcc_lo
	s_clause 0x1
	global_load_dword v5, v[10:11], off
	global_load_dword v15, v[8:9], off offset:176
	s_waitcnt vmcnt(1)
	global_store_dword v[8:9], v5, off offset:176
	s_waitcnt vmcnt(0)
	global_store_dword v[10:11], v15, off
.LBB122_1068:
	s_or_b32 exec_lo, exec_lo, s17
	v_mov_b32_e32 v11, v4
	v_mov_b32_e32 v5, v4
.LBB122_1069:
	s_or_b32 exec_lo, exec_lo, s16
.LBB122_1070:
	s_andn2_saveexec_b32 s4, s4
	s_cbranch_execz .LBB122_1072
; %bb.1071:
	v_mov_b32_e32 v4, s35
	v_mov_b32_e32 v11, s33
	;; [unrolled: 1-line block ×3, first 2 shown]
	s_clause 0x7
	buffer_load_dword v15, v4, s[0:3], 0 offen
	buffer_load_dword v16, v4, s[0:3], 0 offen offset:4
	buffer_load_dword v17, v4, s[0:3], 0 offen offset:8
	buffer_load_dword v18, v4, s[0:3], 0 offen offset:12
	buffer_load_dword v19, v10, s[0:3], 0 offen
	buffer_load_dword v20, v10, s[0:3], 0 offen offset:4
	buffer_load_dword v21, v10, s[0:3], 0 offen offset:8
	buffer_load_dword v22, v10, s[0:3], 0 offen offset:12
	v_mov_b32_e32 v4, s31
	v_mov_b32_e32 v10, s30
	s_clause 0x7
	buffer_load_dword v23, v11, s[0:3], 0 offen
	buffer_load_dword v24, v11, s[0:3], 0 offen offset:4
	buffer_load_dword v25, v11, s[0:3], 0 offen offset:8
	buffer_load_dword v26, v11, s[0:3], 0 offen offset:12
	buffer_load_dword v27, v4, s[0:3], 0 offen
	buffer_load_dword v28, v4, s[0:3], 0 offen offset:4
	buffer_load_dword v29, v4, s[0:3], 0 offen offset:8
	buffer_load_dword v30, v4, s[0:3], 0 offen offset:12
	v_mov_b32_e32 v11, s28
	v_mov_b32_e32 v4, s29
	s_clause 0x7
	buffer_load_dword v31, v10, s[0:3], 0 offen
	buffer_load_dword v32, v10, s[0:3], 0 offen offset:4
	buffer_load_dword v33, v10, s[0:3], 0 offen offset:8
	buffer_load_dword v34, v10, s[0:3], 0 offen offset:12
	buffer_load_dword v35, v4, s[0:3], 0 offen
	buffer_load_dword v36, v4, s[0:3], 0 offen offset:4
	buffer_load_dword v37, v4, s[0:3], 0 offen offset:8
	buffer_load_dword v38, v4, s[0:3], 0 offen offset:12
	v_mov_b32_e32 v4, s27
	v_mov_b32_e32 v10, s26
	s_clause 0x7
	buffer_load_dword v39, v11, s[0:3], 0 offen
	buffer_load_dword v40, v11, s[0:3], 0 offen offset:4
	buffer_load_dword v41, v11, s[0:3], 0 offen offset:8
	buffer_load_dword v42, v11, s[0:3], 0 offen offset:12
	buffer_load_dword v43, v4, s[0:3], 0 offen
	buffer_load_dword v44, v4, s[0:3], 0 offen offset:4
	buffer_load_dword v45, v4, s[0:3], 0 offen offset:8
	buffer_load_dword v46, v4, s[0:3], 0 offen offset:12
	v_mov_b32_e32 v11, s24
	v_mov_b32_e32 v4, s25
	s_clause 0x7
	buffer_load_dword v47, v10, s[0:3], 0 offen
	buffer_load_dword v48, v10, s[0:3], 0 offen offset:4
	buffer_load_dword v49, v10, s[0:3], 0 offen offset:8
	buffer_load_dword v50, v10, s[0:3], 0 offen offset:12
	buffer_load_dword v51, v4, s[0:3], 0 offen
	buffer_load_dword v52, v4, s[0:3], 0 offen offset:4
	buffer_load_dword v53, v4, s[0:3], 0 offen offset:8
	buffer_load_dword v54, v4, s[0:3], 0 offen offset:12
	v_mov_b32_e32 v4, s23
	v_mov_b32_e32 v10, s22
	s_clause 0x7
	buffer_load_dword v55, v11, s[0:3], 0 offen
	buffer_load_dword v56, v11, s[0:3], 0 offen offset:4
	buffer_load_dword v57, v11, s[0:3], 0 offen offset:8
	buffer_load_dword v58, v11, s[0:3], 0 offen offset:12
	buffer_load_dword v59, v4, s[0:3], 0 offen
	buffer_load_dword v60, v4, s[0:3], 0 offen offset:4
	buffer_load_dword v61, v4, s[0:3], 0 offen offset:8
	buffer_load_dword v62, v4, s[0:3], 0 offen offset:12
	v_mov_b32_e32 v11, s18
	v_mov_b32_e32 v4, s19
	s_clause 0x7
	buffer_load_dword v63, v10, s[0:3], 0 offen
	buffer_load_dword v64, v10, s[0:3], 0 offen offset:4
	buffer_load_dword v65, v10, s[0:3], 0 offen offset:8
	buffer_load_dword v66, v10, s[0:3], 0 offen offset:12
	buffer_load_dword v67, v4, s[0:3], 0 offen
	buffer_load_dword v68, v4, s[0:3], 0 offen offset:4
	buffer_load_dword v69, v4, s[0:3], 0 offen offset:8
	buffer_load_dword v70, v4, s[0:3], 0 offen offset:12
	v_mov_b32_e32 v4, s7
	v_mov_b32_e32 v10, s5
	s_clause 0xb
	buffer_load_dword v71, v11, s[0:3], 0 offen
	buffer_load_dword v72, v11, s[0:3], 0 offen offset:4
	buffer_load_dword v73, v11, s[0:3], 0 offen offset:8
	buffer_load_dword v74, v11, s[0:3], 0 offen offset:12
	buffer_load_dword v75, v4, s[0:3], 0 offen
	buffer_load_dword v76, v4, s[0:3], 0 offen offset:4
	buffer_load_dword v77, v4, s[0:3], 0 offen offset:8
	buffer_load_dword v78, v4, s[0:3], 0 offen offset:12
	;; [unrolled: 4-line block ×3, first 2 shown]
	v_mov_b32_e32 v11, 44
	s_waitcnt vmcnt(62)
	ds_write2_b64 v12, v[15:16], v[17:18] offset0:90 offset1:91
	s_waitcnt vmcnt(60)
	ds_write2_b64 v12, v[19:20], v[21:22] offset0:92 offset1:93
	;; [unrolled: 2-line block ×17, first 2 shown]
.LBB122_1072:
	s_or_b32 exec_lo, exec_lo, s4
	s_mov_b32 s4, exec_lo
	s_waitcnt lgkmcnt(0)
	s_waitcnt_vscnt null, 0x0
	s_barrier
	buffer_gl0_inv
	v_cmpx_lt_i32_e32 44, v11
	s_cbranch_execz .LBB122_1074
; %bb.1073:
	s_clause 0x1b
	buffer_load_dword v15, off, s[0:3], 0 offset:712
	buffer_load_dword v16, off, s[0:3], 0 offset:716
	;; [unrolled: 1-line block ×28, first 2 shown]
	s_waitcnt vmcnt(26)
	v_mul_f64 v[19:20], v[0:1], v[15:16]
	v_mul_f64 v[15:16], v[2:3], v[15:16]
	s_waitcnt vmcnt(24)
	v_fma_f64 v[59:60], v[2:3], v[17:18], v[19:20]
	v_fma_f64 v[61:62], v[0:1], v[17:18], -v[15:16]
	buffer_store_dword v59, off, s[0:3], 0 offset:712
	buffer_store_dword v60, off, s[0:3], 0 offset:716
	s_clause 0x3
	buffer_load_dword v63, off, s[0:3], 0 offset:712
	buffer_load_dword v64, off, s[0:3], 0 offset:716
	;; [unrolled: 1-line block ×4, first 2 shown]
	buffer_store_dword v61, off, s[0:3], 0 offset:704
	buffer_store_dword v62, off, s[0:3], 0 offset:708
	s_clause 0x2f
	buffer_load_dword v67, off, s[0:3], 0 offset:704
	buffer_load_dword v68, off, s[0:3], 0 offset:708
	;; [unrolled: 1-line block ×48, first 2 shown]
	ds_read2_b64 v[0:3], v12 offset0:90 offset1:91
	ds_read2_b64 v[15:18], v12 offset0:92 offset1:93
	ds_read2_b64 v[19:22], v12 offset0:94 offset1:95
	ds_read2_b64 v[23:26], v12 offset0:96 offset1:97
	ds_read2_b64 v[27:30], v12 offset0:98 offset1:99
	ds_read2_b64 v[31:34], v12 offset0:100 offset1:101
	s_waitcnt lgkmcnt(5)
	v_mul_f64 v[115:116], v[2:3], v[59:60]
	v_mul_f64 v[117:118], v[0:1], v[59:60]
	s_waitcnt lgkmcnt(4)
	v_mul_f64 v[119:120], v[17:18], v[59:60]
	v_mul_f64 v[121:122], v[15:16], v[59:60]
	;; [unrolled: 3-line block ×6, first 2 shown]
	v_fma_f64 v[0:1], v[0:1], v[61:62], -v[115:116]
	v_fma_f64 v[115:116], v[2:3], v[61:62], v[117:118]
	v_fma_f64 v[117:118], v[15:16], v[61:62], -v[119:120]
	v_fma_f64 v[119:120], v[17:18], v[61:62], v[121:122]
	;; [unrolled: 2-line block ×6, first 2 shown]
	s_waitcnt vmcnt(62)
	v_add_f64 v[61:62], v[35:36], -v[0:1]
	v_add_f64 v[115:116], v[37:38], -v[115:116]
	ds_read2_b64 v[0:3], v12 offset0:102 offset1:103
	ds_read2_b64 v[15:18], v12 offset0:104 offset1:105
	v_add_f64 v[117:118], v[39:40], -v[117:118]
	v_add_f64 v[119:120], v[41:42], -v[119:120]
	;; [unrolled: 1-line block ×4, first 2 shown]
	ds_read2_b64 v[19:22], v12 offset0:106 offset1:107
	ds_read2_b64 v[23:26], v12 offset0:108 offset1:109
	v_add_f64 v[125:126], v[47:48], -v[125:126]
	s_waitcnt vmcnt(60)
	v_add_f64 v[130:131], v[49:50], -v[130:131]
	s_waitcnt vmcnt(58)
	;; [unrolled: 2-line block ×3, first 2 shown]
	v_add_f64 v[134:135], v[53:54], -v[134:135]
	ds_read2_b64 v[27:30], v12 offset0:110 offset1:111
	ds_read2_b64 v[31:34], v12 offset0:112 offset1:113
	s_waitcnt vmcnt(54)
	v_add_f64 v[55:56], v[55:56], -v[136:137]
	ds_read2_b64 v[35:38], v12 offset0:114 offset1:115
	ds_read2_b64 v[39:42], v12 offset0:116 offset1:117
	;; [unrolled: 1-line block ×5, first 2 shown]
	s_waitcnt vmcnt(52)
	v_add_f64 v[57:58], v[57:58], -v[59:60]
	buffer_store_dword v61, off, s[0:3], 0 offset:720
	buffer_store_dword v62, off, s[0:3], 0 offset:724
	;; [unrolled: 1-line block ×24, first 2 shown]
	s_waitcnt vmcnt(50) lgkmcnt(10)
	v_mul_f64 v[55:56], v[2:3], v[63:64]
	v_mul_f64 v[57:58], v[0:1], v[63:64]
	s_waitcnt lgkmcnt(9)
	v_mul_f64 v[59:60], v[17:18], v[63:64]
	v_mul_f64 v[61:62], v[15:16], v[63:64]
	s_waitcnt lgkmcnt(8)
	;; [unrolled: 3-line block ×5, first 2 shown]
	v_mul_f64 v[130:131], v[33:34], v[63:64]
	v_mul_f64 v[63:64], v[31:32], v[63:64]
	s_waitcnt vmcnt(48) lgkmcnt(4)
	v_mul_f64 v[132:133], v[37:38], v[65:66]
	v_mul_f64 v[134:135], v[35:36], v[65:66]
	s_waitcnt lgkmcnt(3)
	v_mul_f64 v[136:137], v[41:42], v[65:66]
	v_mul_f64 v[138:139], v[39:40], v[65:66]
	s_waitcnt lgkmcnt(2)
	;; [unrolled: 3-line block ×4, first 2 shown]
	v_mul_f64 v[148:149], v[53:54], v[65:66]
	v_mul_f64 v[65:66], v[51:52], v[65:66]
	s_waitcnt vmcnt(46)
	v_fma_f64 v[0:1], v[0:1], v[67:68], -v[55:56]
	v_fma_f64 v[2:3], v[2:3], v[67:68], v[57:58]
	v_fma_f64 v[15:16], v[15:16], v[67:68], -v[59:60]
	v_fma_f64 v[17:18], v[17:18], v[67:68], v[61:62]
	;; [unrolled: 2-line block ×6, first 2 shown]
	s_waitcnt vmcnt(32)
	v_fma_f64 v[35:36], v[35:36], v[81:82], -v[132:133]
	v_fma_f64 v[37:38], v[37:38], v[81:82], v[134:135]
	v_fma_f64 v[39:40], v[39:40], v[81:82], -v[136:137]
	v_fma_f64 v[41:42], v[41:42], v[81:82], v[138:139]
	;; [unrolled: 2-line block ×5, first 2 shown]
	v_add_f64 v[0:1], v[69:70], -v[0:1]
	v_add_f64 v[2:3], v[71:72], -v[2:3]
	;; [unrolled: 1-line block ×6, first 2 shown]
	s_waitcnt vmcnt(30)
	v_add_f64 v[23:24], v[83:84], -v[23:24]
	s_waitcnt vmcnt(28)
	v_add_f64 v[25:26], v[85:86], -v[25:26]
	;; [unrolled: 2-line block ×7, first 2 shown]
	v_add_f64 v[37:38], v[97:98], -v[37:38]
	s_waitcnt vmcnt(14)
	v_add_f64 v[39:40], v[99:100], -v[39:40]
	s_waitcnt vmcnt(12)
	;; [unrolled: 2-line block ×8, first 2 shown]
	v_add_f64 v[53:54], v[113:114], -v[53:54]
	buffer_store_dword v1, off, s[0:3], 0 offset:820
	buffer_store_dword v0, off, s[0:3], 0 offset:816
	;; [unrolled: 1-line block ×44, first 2 shown]
.LBB122_1074:
	s_or_b32 exec_lo, exec_lo, s4
	v_mov_b32_e32 v3, s35
	s_waitcnt_vscnt null, 0x0
	s_barrier
	buffer_gl0_inv
	v_lshl_add_u32 v4, v11, 4, v12
	s_clause 0x3
	buffer_load_dword v0, v3, s[0:3], 0 offen
	buffer_load_dword v1, v3, s[0:3], 0 offen offset:4
	buffer_load_dword v2, v3, s[0:3], 0 offen offset:8
	;; [unrolled: 1-line block ×3, first 2 shown]
	s_cmp_lt_i32 s57, 47
	s_waitcnt vmcnt(0)
	ds_write2_b64 v4, v[0:1], v[2:3] offset1:1
	s_waitcnt lgkmcnt(0)
	s_barrier
	buffer_gl0_inv
	ds_read2_b64 v[0:3], v12 offset0:90 offset1:91
	v_mov_b32_e32 v4, 45
	s_cbranch_scc1 .LBB122_1077
; %bb.1075:
	v_add3_u32 v10, v14, 0, 0x2e0
	v_mov_b32_e32 v4, 45
	s_mov_b32 s16, 46
	s_inst_prefetch 0x1
	.p2align	6
.LBB122_1076:                           ; =>This Inner Loop Header: Depth=1
	s_waitcnt lgkmcnt(0)
	v_cmp_gt_f64_e32 vcc_lo, 0, v[2:3]
	v_cmp_gt_f64_e64 s4, 0, v[0:1]
	ds_read2_b64 v[15:18], v10 offset1:1
	v_xor_b32_e32 v20, 0x80000000, v1
	v_xor_b32_e32 v22, 0x80000000, v3
	v_mov_b32_e32 v19, v0
	v_mov_b32_e32 v21, v2
	v_add_nc_u32_e32 v10, 16, v10
	s_waitcnt lgkmcnt(0)
	v_xor_b32_e32 v24, 0x80000000, v18
	v_cndmask_b32_e64 v20, v1, v20, s4
	v_cndmask_b32_e32 v22, v3, v22, vcc_lo
	v_cmp_gt_f64_e32 vcc_lo, 0, v[17:18]
	v_cmp_gt_f64_e64 s4, 0, v[15:16]
	v_mov_b32_e32 v23, v17
	v_add_f64 v[19:20], v[19:20], v[21:22]
	v_xor_b32_e32 v22, 0x80000000, v16
	v_mov_b32_e32 v21, v15
	v_cndmask_b32_e32 v24, v18, v24, vcc_lo
	v_cndmask_b32_e64 v22, v16, v22, s4
	v_add_f64 v[21:22], v[21:22], v[23:24]
	v_cmp_lt_f64_e32 vcc_lo, v[19:20], v[21:22]
	v_cndmask_b32_e32 v1, v1, v16, vcc_lo
	v_cndmask_b32_e32 v0, v0, v15, vcc_lo
	;; [unrolled: 1-line block ×4, first 2 shown]
	v_cndmask_b32_e64 v4, v4, s16, vcc_lo
	s_add_i32 s16, s16, 1
	s_cmp_lg_u32 s57, s16
	s_cbranch_scc1 .LBB122_1076
.LBB122_1077:
	s_inst_prefetch 0x2
	s_waitcnt lgkmcnt(0)
	v_cmp_eq_f64_e32 vcc_lo, 0, v[0:1]
	v_cmp_eq_f64_e64 s4, 0, v[2:3]
	s_and_b32 s4, vcc_lo, s4
	s_and_saveexec_b32 s16, s4
	s_xor_b32 s4, exec_lo, s16
; %bb.1078:
	v_cmp_ne_u32_e32 vcc_lo, 0, v13
	v_cndmask_b32_e32 v13, 46, v13, vcc_lo
; %bb.1079:
	s_andn2_saveexec_b32 s4, s4
	s_cbranch_execz .LBB122_1085
; %bb.1080:
	v_cmp_ngt_f64_e64 s16, |v[0:1]|, |v[2:3]|
	s_and_saveexec_b32 s17, s16
	s_xor_b32 s16, exec_lo, s17
	s_cbranch_execz .LBB122_1082
; %bb.1081:
	v_div_scale_f64 v[15:16], null, v[2:3], v[2:3], v[0:1]
	v_div_scale_f64 v[21:22], vcc_lo, v[0:1], v[2:3], v[0:1]
	v_rcp_f64_e32 v[17:18], v[15:16]
	v_fma_f64 v[19:20], -v[15:16], v[17:18], 1.0
	v_fma_f64 v[17:18], v[17:18], v[19:20], v[17:18]
	v_fma_f64 v[19:20], -v[15:16], v[17:18], 1.0
	v_fma_f64 v[17:18], v[17:18], v[19:20], v[17:18]
	v_mul_f64 v[19:20], v[21:22], v[17:18]
	v_fma_f64 v[15:16], -v[15:16], v[19:20], v[21:22]
	v_div_fmas_f64 v[15:16], v[15:16], v[17:18], v[19:20]
	v_div_fixup_f64 v[15:16], v[15:16], v[2:3], v[0:1]
	v_fma_f64 v[0:1], v[0:1], v[15:16], v[2:3]
	v_div_scale_f64 v[2:3], null, v[0:1], v[0:1], 1.0
	v_rcp_f64_e32 v[17:18], v[2:3]
	v_fma_f64 v[19:20], -v[2:3], v[17:18], 1.0
	v_fma_f64 v[17:18], v[17:18], v[19:20], v[17:18]
	v_fma_f64 v[19:20], -v[2:3], v[17:18], 1.0
	v_fma_f64 v[17:18], v[17:18], v[19:20], v[17:18]
	v_div_scale_f64 v[19:20], vcc_lo, 1.0, v[0:1], 1.0
	v_mul_f64 v[21:22], v[19:20], v[17:18]
	v_fma_f64 v[2:3], -v[2:3], v[21:22], v[19:20]
	v_div_fmas_f64 v[2:3], v[2:3], v[17:18], v[21:22]
	v_div_fixup_f64 v[2:3], v[2:3], v[0:1], 1.0
	v_mul_f64 v[0:1], v[15:16], v[2:3]
	v_xor_b32_e32 v3, 0x80000000, v3
.LBB122_1082:
	s_andn2_saveexec_b32 s16, s16
	s_cbranch_execz .LBB122_1084
; %bb.1083:
	v_div_scale_f64 v[15:16], null, v[0:1], v[0:1], v[2:3]
	v_div_scale_f64 v[21:22], vcc_lo, v[2:3], v[0:1], v[2:3]
	v_rcp_f64_e32 v[17:18], v[15:16]
	v_fma_f64 v[19:20], -v[15:16], v[17:18], 1.0
	v_fma_f64 v[17:18], v[17:18], v[19:20], v[17:18]
	v_fma_f64 v[19:20], -v[15:16], v[17:18], 1.0
	v_fma_f64 v[17:18], v[17:18], v[19:20], v[17:18]
	v_mul_f64 v[19:20], v[21:22], v[17:18]
	v_fma_f64 v[15:16], -v[15:16], v[19:20], v[21:22]
	v_div_fmas_f64 v[15:16], v[15:16], v[17:18], v[19:20]
	v_div_fixup_f64 v[15:16], v[15:16], v[0:1], v[2:3]
	v_fma_f64 v[0:1], v[2:3], v[15:16], v[0:1]
	v_div_scale_f64 v[2:3], null, v[0:1], v[0:1], 1.0
	v_rcp_f64_e32 v[17:18], v[2:3]
	v_fma_f64 v[19:20], -v[2:3], v[17:18], 1.0
	v_fma_f64 v[17:18], v[17:18], v[19:20], v[17:18]
	v_fma_f64 v[19:20], -v[2:3], v[17:18], 1.0
	v_fma_f64 v[17:18], v[17:18], v[19:20], v[17:18]
	v_div_scale_f64 v[19:20], vcc_lo, 1.0, v[0:1], 1.0
	v_mul_f64 v[21:22], v[19:20], v[17:18]
	v_fma_f64 v[2:3], -v[2:3], v[21:22], v[19:20]
	v_div_fmas_f64 v[2:3], v[2:3], v[17:18], v[21:22]
	v_div_fixup_f64 v[0:1], v[2:3], v[0:1], 1.0
	v_mul_f64 v[2:3], v[15:16], -v[0:1]
.LBB122_1084:
	s_or_b32 exec_lo, exec_lo, s16
.LBB122_1085:
	s_or_b32 exec_lo, exec_lo, s4
	s_mov_b32 s4, exec_lo
	v_cmpx_ne_u32_e64 v11, v4
	s_xor_b32 s4, exec_lo, s4
	s_cbranch_execz .LBB122_1091
; %bb.1086:
	s_mov_b32 s16, exec_lo
	v_cmpx_eq_u32_e32 45, v11
	s_cbranch_execz .LBB122_1090
; %bb.1087:
	v_cmp_ne_u32_e32 vcc_lo, 45, v4
	s_xor_b32 s17, s20, -1
	s_and_b32 s56, s17, vcc_lo
	s_and_saveexec_b32 s17, s56
	s_cbranch_execz .LBB122_1089
; %bb.1088:
	v_ashrrev_i32_e32 v5, 31, v4
	v_lshlrev_b64 v[10:11], 2, v[4:5]
	v_add_co_u32 v10, vcc_lo, v8, v10
	v_add_co_ci_u32_e64 v11, null, v9, v11, vcc_lo
	s_clause 0x1
	global_load_dword v5, v[10:11], off
	global_load_dword v15, v[8:9], off offset:180
	s_waitcnt vmcnt(1)
	global_store_dword v[8:9], v5, off offset:180
	s_waitcnt vmcnt(0)
	global_store_dword v[10:11], v15, off
.LBB122_1089:
	s_or_b32 exec_lo, exec_lo, s17
	v_mov_b32_e32 v11, v4
	v_mov_b32_e32 v5, v4
.LBB122_1090:
	s_or_b32 exec_lo, exec_lo, s16
.LBB122_1091:
	s_andn2_saveexec_b32 s4, s4
	s_cbranch_execz .LBB122_1093
; %bb.1092:
	v_mov_b32_e32 v4, s34
	v_mov_b32_e32 v11, s31
	;; [unrolled: 1-line block ×3, first 2 shown]
	s_clause 0x7
	buffer_load_dword v15, v4, s[0:3], 0 offen
	buffer_load_dword v16, v4, s[0:3], 0 offen offset:4
	buffer_load_dword v17, v4, s[0:3], 0 offen offset:8
	buffer_load_dword v18, v4, s[0:3], 0 offen offset:12
	buffer_load_dword v19, v10, s[0:3], 0 offen
	buffer_load_dword v20, v10, s[0:3], 0 offen offset:4
	buffer_load_dword v21, v10, s[0:3], 0 offen offset:8
	buffer_load_dword v22, v10, s[0:3], 0 offen offset:12
	v_mov_b32_e32 v4, s30
	v_mov_b32_e32 v10, s29
	s_clause 0x7
	buffer_load_dword v23, v11, s[0:3], 0 offen
	buffer_load_dword v24, v11, s[0:3], 0 offen offset:4
	buffer_load_dword v25, v11, s[0:3], 0 offen offset:8
	buffer_load_dword v26, v11, s[0:3], 0 offen offset:12
	buffer_load_dword v27, v4, s[0:3], 0 offen
	buffer_load_dword v28, v4, s[0:3], 0 offen offset:4
	buffer_load_dword v29, v4, s[0:3], 0 offen offset:8
	buffer_load_dword v30, v4, s[0:3], 0 offen offset:12
	v_mov_b32_e32 v11, s27
	v_mov_b32_e32 v4, s28
	;; [unrolled: 11-line block ×6, first 2 shown]
	s_clause 0x7
	buffer_load_dword v63, v10, s[0:3], 0 offen
	buffer_load_dword v64, v10, s[0:3], 0 offen offset:4
	buffer_load_dword v65, v10, s[0:3], 0 offen offset:8
	;; [unrolled: 1-line block ×3, first 2 shown]
	buffer_load_dword v67, v4, s[0:3], 0 offen
	buffer_load_dword v68, v4, s[0:3], 0 offen offset:4
	buffer_load_dword v69, v4, s[0:3], 0 offen offset:8
	;; [unrolled: 1-line block ×3, first 2 shown]
	v_mov_b32_e32 v4, s5
	s_clause 0x7
	buffer_load_dword v71, v11, s[0:3], 0 offen
	buffer_load_dword v72, v11, s[0:3], 0 offen offset:4
	buffer_load_dword v73, v11, s[0:3], 0 offen offset:8
	;; [unrolled: 1-line block ×3, first 2 shown]
	buffer_load_dword v75, v4, s[0:3], 0 offen
	buffer_load_dword v76, v4, s[0:3], 0 offen offset:4
	buffer_load_dword v77, v4, s[0:3], 0 offen offset:8
	;; [unrolled: 1-line block ×3, first 2 shown]
	v_mov_b32_e32 v11, 45
	s_waitcnt vmcnt(60)
	ds_write2_b64 v12, v[15:16], v[17:18] offset0:92 offset1:93
	s_waitcnt vmcnt(56)
	ds_write2_b64 v12, v[19:20], v[21:22] offset0:94 offset1:95
	;; [unrolled: 2-line block ×16, first 2 shown]
.LBB122_1093:
	s_or_b32 exec_lo, exec_lo, s4
	s_mov_b32 s4, exec_lo
	s_waitcnt lgkmcnt(0)
	s_waitcnt_vscnt null, 0x0
	s_barrier
	buffer_gl0_inv
	v_cmpx_lt_i32_e32 45, v11
	s_cbranch_execz .LBB122_1095
; %bb.1094:
	s_clause 0x1b
	buffer_load_dword v15, off, s[0:3], 0 offset:728
	buffer_load_dword v16, off, s[0:3], 0 offset:732
	;; [unrolled: 1-line block ×28, first 2 shown]
	s_waitcnt vmcnt(26)
	v_mul_f64 v[19:20], v[0:1], v[15:16]
	v_mul_f64 v[15:16], v[2:3], v[15:16]
	s_waitcnt vmcnt(24)
	v_fma_f64 v[47:48], v[2:3], v[17:18], v[19:20]
	v_fma_f64 v[61:62], v[0:1], v[17:18], -v[15:16]
	buffer_store_dword v47, off, s[0:3], 0 offset:728
	buffer_store_dword v48, off, s[0:3], 0 offset:732
	s_clause 0x3
	buffer_load_dword v63, off, s[0:3], 0 offset:728
	buffer_load_dword v64, off, s[0:3], 0 offset:732
	;; [unrolled: 1-line block ×4, first 2 shown]
	buffer_store_dword v61, off, s[0:3], 0 offset:720
	buffer_store_dword v62, off, s[0:3], 0 offset:724
	s_clause 0x2b
	buffer_load_dword v67, off, s[0:3], 0 offset:720
	buffer_load_dword v68, off, s[0:3], 0 offset:724
	buffer_load_dword v70, off, s[0:3], 0 offset:836
	buffer_load_dword v72, off, s[0:3], 0 offset:844
	buffer_load_dword v71, off, s[0:3], 0 offset:840
	buffer_load_dword v69, off, s[0:3], 0 offset:832
	buffer_load_dword v74, off, s[0:3], 0 offset:724
	buffer_load_dword v73, off, s[0:3], 0 offset:720
	buffer_load_dword v75, off, s[0:3], 0 offset:848
	buffer_load_dword v76, off, s[0:3], 0 offset:852
	buffer_load_dword v77, off, s[0:3], 0 offset:856
	buffer_load_dword v78, off, s[0:3], 0 offset:860
	buffer_load_dword v79, off, s[0:3], 0 offset:864
	buffer_load_dword v80, off, s[0:3], 0 offset:868
	buffer_load_dword v81, off, s[0:3], 0 offset:872
	buffer_load_dword v82, off, s[0:3], 0 offset:876
	buffer_load_dword v83, off, s[0:3], 0 offset:880
	buffer_load_dword v84, off, s[0:3], 0 offset:884
	buffer_load_dword v85, off, s[0:3], 0 offset:888
	buffer_load_dword v86, off, s[0:3], 0 offset:892
	buffer_load_dword v87, off, s[0:3], 0 offset:896
	buffer_load_dword v88, off, s[0:3], 0 offset:900
	buffer_load_dword v89, off, s[0:3], 0 offset:904
	buffer_load_dword v90, off, s[0:3], 0 offset:908
	buffer_load_dword v91, off, s[0:3], 0 offset:912
	buffer_load_dword v92, off, s[0:3], 0 offset:916
	buffer_load_dword v93, off, s[0:3], 0 offset:920
	buffer_load_dword v94, off, s[0:3], 0 offset:924
	buffer_load_dword v96, off, s[0:3], 0 offset:932
	buffer_load_dword v98, off, s[0:3], 0 offset:940
	buffer_load_dword v97, off, s[0:3], 0 offset:936
	buffer_load_dword v95, off, s[0:3], 0 offset:928
	buffer_load_dword v99, off, s[0:3], 0 offset:944
	buffer_load_dword v100, off, s[0:3], 0 offset:948
	buffer_load_dword v101, off, s[0:3], 0 offset:952
	buffer_load_dword v102, off, s[0:3], 0 offset:956
	buffer_load_dword v103, off, s[0:3], 0 offset:960
	buffer_load_dword v104, off, s[0:3], 0 offset:964
	buffer_load_dword v105, off, s[0:3], 0 offset:968
	buffer_load_dword v106, off, s[0:3], 0 offset:972
	buffer_load_dword v107, off, s[0:3], 0 offset:976
	buffer_load_dword v108, off, s[0:3], 0 offset:980
	buffer_load_dword v109, off, s[0:3], 0 offset:984
	buffer_load_dword v110, off, s[0:3], 0 offset:988
	ds_read2_b64 v[0:3], v12 offset0:92 offset1:93
	ds_read2_b64 v[15:18], v12 offset0:94 offset1:95
	;; [unrolled: 1-line block ×6, first 2 shown]
	s_waitcnt lgkmcnt(5)
	v_mul_f64 v[111:112], v[2:3], v[47:48]
	v_mul_f64 v[113:114], v[0:1], v[47:48]
	s_waitcnt lgkmcnt(4)
	v_mul_f64 v[115:116], v[17:18], v[47:48]
	v_mul_f64 v[117:118], v[15:16], v[47:48]
	s_waitcnt lgkmcnt(3)
	v_mul_f64 v[121:122], v[19:20], v[47:48]
	s_waitcnt lgkmcnt(2)
	;; [unrolled: 2-line block ×3, first 2 shown]
	v_mul_f64 v[132:133], v[27:28], v[47:48]
	v_mul_f64 v[119:120], v[21:22], v[47:48]
	;; [unrolled: 1-line block ×4, first 2 shown]
	s_waitcnt lgkmcnt(0)
	v_mul_f64 v[134:135], v[33:34], v[47:48]
	v_mul_f64 v[47:48], v[31:32], v[47:48]
	v_fma_f64 v[0:1], v[0:1], v[61:62], -v[111:112]
	v_fma_f64 v[2:3], v[2:3], v[61:62], v[113:114]
	v_fma_f64 v[111:112], v[15:16], v[61:62], -v[115:116]
	v_fma_f64 v[113:114], v[17:18], v[61:62], v[117:118]
	v_fma_f64 v[117:118], v[21:22], v[61:62], v[121:122]
	;; [unrolled: 1-line block ×4, first 2 shown]
	v_fma_f64 v[115:116], v[19:20], v[61:62], -v[119:120]
	v_fma_f64 v[119:120], v[23:24], v[61:62], -v[123:124]
	v_fma_f64 v[123:124], v[27:28], v[61:62], -v[130:131]
	v_fma_f64 v[130:131], v[31:32], v[61:62], -v[134:135]
	v_fma_f64 v[61:62], v[33:34], v[61:62], v[47:48]
	s_waitcnt vmcnt(62)
	v_add_f64 v[132:133], v[35:36], -v[0:1]
	v_add_f64 v[134:135], v[37:38], -v[2:3]
	ds_read2_b64 v[0:3], v12 offset0:104 offset1:105
	ds_read2_b64 v[15:18], v12 offset0:106 offset1:107
	v_add_f64 v[111:112], v[39:40], -v[111:112]
	v_add_f64 v[113:114], v[41:42], -v[113:114]
	s_waitcnt vmcnt(60)
	v_add_f64 v[117:118], v[45:46], -v[117:118]
	s_waitcnt vmcnt(52)
	v_add_f64 v[55:56], v[55:56], -v[125:126]
	v_add_f64 v[115:116], v[43:44], -v[115:116]
	ds_read2_b64 v[19:22], v12 offset0:108 offset1:109
	ds_read2_b64 v[23:26], v12 offset0:110 offset1:111
	v_add_f64 v[119:120], v[49:50], -v[119:120]
	v_add_f64 v[51:52], v[51:52], -v[121:122]
	;; [unrolled: 1-line block ×3, first 2 shown]
	ds_read2_b64 v[27:30], v12 offset0:112 offset1:113
	ds_read2_b64 v[31:34], v12 offset0:114 offset1:115
	;; [unrolled: 1-line block ×6, first 2 shown]
	s_waitcnt vmcnt(48)
	v_add_f64 v[59:60], v[59:60], -v[61:62]
	v_add_f64 v[57:58], v[57:58], -v[130:131]
	buffer_store_dword v132, off, s[0:3], 0 offset:736
	buffer_store_dword v133, off, s[0:3], 0 offset:740
	;; [unrolled: 1-line block ×24, first 2 shown]
	s_waitcnt vmcnt(46) lgkmcnt(9)
	v_mul_f64 v[51:52], v[2:3], v[63:64]
	v_mul_f64 v[53:54], v[0:1], v[63:64]
	s_waitcnt lgkmcnt(8)
	v_mul_f64 v[55:56], v[17:18], v[63:64]
	v_mul_f64 v[61:62], v[15:16], v[63:64]
	s_waitcnt lgkmcnt(7)
	;; [unrolled: 3-line block ×5, first 2 shown]
	v_mul_f64 v[123:124], v[33:34], v[63:64]
	v_mul_f64 v[63:64], v[31:32], v[63:64]
	s_waitcnt vmcnt(44) lgkmcnt(3)
	v_mul_f64 v[125:126], v[37:38], v[65:66]
	v_mul_f64 v[130:131], v[35:36], v[65:66]
	s_waitcnt lgkmcnt(2)
	v_mul_f64 v[132:133], v[41:42], v[65:66]
	v_mul_f64 v[134:135], v[39:40], v[65:66]
	s_waitcnt lgkmcnt(1)
	;; [unrolled: 3-line block ×3, first 2 shown]
	v_mul_f64 v[140:141], v[49:50], v[65:66]
	v_mul_f64 v[65:66], v[47:48], v[65:66]
	s_waitcnt vmcnt(42)
	v_fma_f64 v[0:1], v[0:1], v[67:68], -v[51:52]
	v_fma_f64 v[2:3], v[2:3], v[67:68], v[53:54]
	v_fma_f64 v[15:16], v[15:16], v[67:68], -v[55:56]
	v_fma_f64 v[17:18], v[17:18], v[67:68], v[61:62]
	;; [unrolled: 2-line block ×6, first 2 shown]
	s_waitcnt vmcnt(36)
	v_fma_f64 v[35:36], v[35:36], v[73:74], -v[125:126]
	v_fma_f64 v[37:38], v[37:38], v[73:74], v[130:131]
	v_fma_f64 v[39:40], v[39:40], v[73:74], -v[132:133]
	v_fma_f64 v[41:42], v[41:42], v[73:74], v[134:135]
	;; [unrolled: 2-line block ×4, first 2 shown]
	v_add_f64 v[0:1], v[69:70], -v[0:1]
	v_add_f64 v[2:3], v[71:72], -v[2:3]
	s_waitcnt vmcnt(34)
	v_add_f64 v[15:16], v[75:76], -v[15:16]
	s_waitcnt vmcnt(32)
	;; [unrolled: 2-line block ×11, first 2 shown]
	v_add_f64 v[35:36], v[95:96], -v[35:36]
	v_add_f64 v[37:38], v[97:98], -v[37:38]
	s_waitcnt vmcnt(10)
	v_add_f64 v[39:40], v[99:100], -v[39:40]
	s_waitcnt vmcnt(8)
	;; [unrolled: 2-line block ×6, first 2 shown]
	v_add_f64 v[49:50], v[109:110], -v[49:50]
	buffer_store_dword v1, off, s[0:3], 0 offset:836
	buffer_store_dword v0, off, s[0:3], 0 offset:832
	;; [unrolled: 1-line block ×40, first 2 shown]
.LBB122_1095:
	s_or_b32 exec_lo, exec_lo, s4
	v_mov_b32_e32 v3, s34
	s_waitcnt_vscnt null, 0x0
	s_barrier
	buffer_gl0_inv
	v_lshl_add_u32 v4, v11, 4, v12
	s_clause 0x3
	buffer_load_dword v0, v3, s[0:3], 0 offen
	buffer_load_dword v1, v3, s[0:3], 0 offen offset:4
	buffer_load_dword v2, v3, s[0:3], 0 offen offset:8
	buffer_load_dword v3, v3, s[0:3], 0 offen offset:12
	s_cmp_lt_i32 s57, 48
	s_waitcnt vmcnt(0)
	ds_write2_b64 v4, v[0:1], v[2:3] offset1:1
	s_waitcnt lgkmcnt(0)
	s_barrier
	buffer_gl0_inv
	ds_read2_b64 v[0:3], v12 offset0:92 offset1:93
	v_mov_b32_e32 v4, 46
	s_cbranch_scc1 .LBB122_1098
; %bb.1096:
	v_add3_u32 v10, v14, 0, 0x2f0
	v_mov_b32_e32 v4, 46
	s_mov_b32 s16, 47
	s_inst_prefetch 0x1
	.p2align	6
.LBB122_1097:                           ; =>This Inner Loop Header: Depth=1
	s_waitcnt lgkmcnt(0)
	v_cmp_gt_f64_e32 vcc_lo, 0, v[2:3]
	v_cmp_gt_f64_e64 s4, 0, v[0:1]
	ds_read2_b64 v[15:18], v10 offset1:1
	v_xor_b32_e32 v20, 0x80000000, v1
	v_xor_b32_e32 v22, 0x80000000, v3
	v_mov_b32_e32 v19, v0
	v_mov_b32_e32 v21, v2
	v_add_nc_u32_e32 v10, 16, v10
	s_waitcnt lgkmcnt(0)
	v_xor_b32_e32 v24, 0x80000000, v18
	v_cndmask_b32_e64 v20, v1, v20, s4
	v_cndmask_b32_e32 v22, v3, v22, vcc_lo
	v_cmp_gt_f64_e32 vcc_lo, 0, v[17:18]
	v_cmp_gt_f64_e64 s4, 0, v[15:16]
	v_mov_b32_e32 v23, v17
	v_add_f64 v[19:20], v[19:20], v[21:22]
	v_xor_b32_e32 v22, 0x80000000, v16
	v_mov_b32_e32 v21, v15
	v_cndmask_b32_e32 v24, v18, v24, vcc_lo
	v_cndmask_b32_e64 v22, v16, v22, s4
	v_add_f64 v[21:22], v[21:22], v[23:24]
	v_cmp_lt_f64_e32 vcc_lo, v[19:20], v[21:22]
	v_cndmask_b32_e32 v1, v1, v16, vcc_lo
	v_cndmask_b32_e32 v0, v0, v15, vcc_lo
	;; [unrolled: 1-line block ×4, first 2 shown]
	v_cndmask_b32_e64 v4, v4, s16, vcc_lo
	s_add_i32 s16, s16, 1
	s_cmp_lg_u32 s57, s16
	s_cbranch_scc1 .LBB122_1097
.LBB122_1098:
	s_inst_prefetch 0x2
	s_waitcnt lgkmcnt(0)
	v_cmp_eq_f64_e32 vcc_lo, 0, v[0:1]
	v_cmp_eq_f64_e64 s4, 0, v[2:3]
	s_and_b32 s4, vcc_lo, s4
	s_and_saveexec_b32 s16, s4
	s_xor_b32 s4, exec_lo, s16
; %bb.1099:
	v_cmp_ne_u32_e32 vcc_lo, 0, v13
	v_cndmask_b32_e32 v13, 47, v13, vcc_lo
; %bb.1100:
	s_andn2_saveexec_b32 s4, s4
	s_cbranch_execz .LBB122_1106
; %bb.1101:
	v_cmp_ngt_f64_e64 s16, |v[0:1]|, |v[2:3]|
	s_and_saveexec_b32 s17, s16
	s_xor_b32 s16, exec_lo, s17
	s_cbranch_execz .LBB122_1103
; %bb.1102:
	v_div_scale_f64 v[15:16], null, v[2:3], v[2:3], v[0:1]
	v_div_scale_f64 v[21:22], vcc_lo, v[0:1], v[2:3], v[0:1]
	v_rcp_f64_e32 v[17:18], v[15:16]
	v_fma_f64 v[19:20], -v[15:16], v[17:18], 1.0
	v_fma_f64 v[17:18], v[17:18], v[19:20], v[17:18]
	v_fma_f64 v[19:20], -v[15:16], v[17:18], 1.0
	v_fma_f64 v[17:18], v[17:18], v[19:20], v[17:18]
	v_mul_f64 v[19:20], v[21:22], v[17:18]
	v_fma_f64 v[15:16], -v[15:16], v[19:20], v[21:22]
	v_div_fmas_f64 v[15:16], v[15:16], v[17:18], v[19:20]
	v_div_fixup_f64 v[15:16], v[15:16], v[2:3], v[0:1]
	v_fma_f64 v[0:1], v[0:1], v[15:16], v[2:3]
	v_div_scale_f64 v[2:3], null, v[0:1], v[0:1], 1.0
	v_rcp_f64_e32 v[17:18], v[2:3]
	v_fma_f64 v[19:20], -v[2:3], v[17:18], 1.0
	v_fma_f64 v[17:18], v[17:18], v[19:20], v[17:18]
	v_fma_f64 v[19:20], -v[2:3], v[17:18], 1.0
	v_fma_f64 v[17:18], v[17:18], v[19:20], v[17:18]
	v_div_scale_f64 v[19:20], vcc_lo, 1.0, v[0:1], 1.0
	v_mul_f64 v[21:22], v[19:20], v[17:18]
	v_fma_f64 v[2:3], -v[2:3], v[21:22], v[19:20]
	v_div_fmas_f64 v[2:3], v[2:3], v[17:18], v[21:22]
	v_div_fixup_f64 v[2:3], v[2:3], v[0:1], 1.0
	v_mul_f64 v[0:1], v[15:16], v[2:3]
	v_xor_b32_e32 v3, 0x80000000, v3
.LBB122_1103:
	s_andn2_saveexec_b32 s16, s16
	s_cbranch_execz .LBB122_1105
; %bb.1104:
	v_div_scale_f64 v[15:16], null, v[0:1], v[0:1], v[2:3]
	v_div_scale_f64 v[21:22], vcc_lo, v[2:3], v[0:1], v[2:3]
	v_rcp_f64_e32 v[17:18], v[15:16]
	v_fma_f64 v[19:20], -v[15:16], v[17:18], 1.0
	v_fma_f64 v[17:18], v[17:18], v[19:20], v[17:18]
	v_fma_f64 v[19:20], -v[15:16], v[17:18], 1.0
	v_fma_f64 v[17:18], v[17:18], v[19:20], v[17:18]
	v_mul_f64 v[19:20], v[21:22], v[17:18]
	v_fma_f64 v[15:16], -v[15:16], v[19:20], v[21:22]
	v_div_fmas_f64 v[15:16], v[15:16], v[17:18], v[19:20]
	v_div_fixup_f64 v[15:16], v[15:16], v[0:1], v[2:3]
	v_fma_f64 v[0:1], v[2:3], v[15:16], v[0:1]
	v_div_scale_f64 v[2:3], null, v[0:1], v[0:1], 1.0
	v_rcp_f64_e32 v[17:18], v[2:3]
	v_fma_f64 v[19:20], -v[2:3], v[17:18], 1.0
	v_fma_f64 v[17:18], v[17:18], v[19:20], v[17:18]
	v_fma_f64 v[19:20], -v[2:3], v[17:18], 1.0
	v_fma_f64 v[17:18], v[17:18], v[19:20], v[17:18]
	v_div_scale_f64 v[19:20], vcc_lo, 1.0, v[0:1], 1.0
	v_mul_f64 v[21:22], v[19:20], v[17:18]
	v_fma_f64 v[2:3], -v[2:3], v[21:22], v[19:20]
	v_div_fmas_f64 v[2:3], v[2:3], v[17:18], v[21:22]
	v_div_fixup_f64 v[0:1], v[2:3], v[0:1], 1.0
	v_mul_f64 v[2:3], v[15:16], -v[0:1]
.LBB122_1105:
	s_or_b32 exec_lo, exec_lo, s16
.LBB122_1106:
	s_or_b32 exec_lo, exec_lo, s4
	s_mov_b32 s4, exec_lo
	v_cmpx_ne_u32_e64 v11, v4
	s_xor_b32 s4, exec_lo, s4
	s_cbranch_execz .LBB122_1112
; %bb.1107:
	s_mov_b32 s16, exec_lo
	v_cmpx_eq_u32_e32 46, v11
	s_cbranch_execz .LBB122_1111
; %bb.1108:
	v_cmp_ne_u32_e32 vcc_lo, 46, v4
	s_xor_b32 s17, s20, -1
	s_and_b32 s56, s17, vcc_lo
	s_and_saveexec_b32 s17, s56
	s_cbranch_execz .LBB122_1110
; %bb.1109:
	v_ashrrev_i32_e32 v5, 31, v4
	v_lshlrev_b64 v[10:11], 2, v[4:5]
	v_add_co_u32 v10, vcc_lo, v8, v10
	v_add_co_ci_u32_e64 v11, null, v9, v11, vcc_lo
	s_clause 0x1
	global_load_dword v5, v[10:11], off
	global_load_dword v15, v[8:9], off offset:184
	s_waitcnt vmcnt(1)
	global_store_dword v[8:9], v5, off offset:184
	s_waitcnt vmcnt(0)
	global_store_dword v[10:11], v15, off
.LBB122_1110:
	s_or_b32 exec_lo, exec_lo, s17
	v_mov_b32_e32 v11, v4
	v_mov_b32_e32 v5, v4
.LBB122_1111:
	s_or_b32 exec_lo, exec_lo, s16
.LBB122_1112:
	s_andn2_saveexec_b32 s4, s4
	s_cbranch_execz .LBB122_1114
; %bb.1113:
	v_mov_b32_e32 v4, s33
	v_mov_b32_e32 v10, s31
	;; [unrolled: 1-line block ×3, first 2 shown]
	s_clause 0x7
	buffer_load_dword v15, v4, s[0:3], 0 offen
	buffer_load_dword v16, v4, s[0:3], 0 offen offset:4
	buffer_load_dword v17, v4, s[0:3], 0 offen offset:8
	buffer_load_dword v18, v4, s[0:3], 0 offen offset:12
	buffer_load_dword v19, v10, s[0:3], 0 offen
	buffer_load_dword v20, v10, s[0:3], 0 offen offset:4
	buffer_load_dword v21, v10, s[0:3], 0 offen offset:8
	buffer_load_dword v22, v10, s[0:3], 0 offen offset:12
	v_mov_b32_e32 v10, s28
	v_mov_b32_e32 v4, s29
	s_clause 0x7
	buffer_load_dword v23, v11, s[0:3], 0 offen
	buffer_load_dword v24, v11, s[0:3], 0 offen offset:4
	buffer_load_dword v25, v11, s[0:3], 0 offen offset:8
	buffer_load_dword v26, v11, s[0:3], 0 offen offset:12
	buffer_load_dword v27, v4, s[0:3], 0 offen
	buffer_load_dword v28, v4, s[0:3], 0 offen offset:4
	buffer_load_dword v29, v4, s[0:3], 0 offen offset:8
	buffer_load_dword v30, v4, s[0:3], 0 offen offset:12
	v_mov_b32_e32 v4, s27
	v_mov_b32_e32 v11, s26
	;; [unrolled: 11-line block ×6, first 2 shown]
	s_clause 0xb
	buffer_load_dword v63, v10, s[0:3], 0 offen
	buffer_load_dword v64, v10, s[0:3], 0 offen offset:4
	buffer_load_dword v65, v10, s[0:3], 0 offen offset:8
	buffer_load_dword v66, v10, s[0:3], 0 offen offset:12
	buffer_load_dword v67, v4, s[0:3], 0 offen
	buffer_load_dword v68, v4, s[0:3], 0 offen offset:4
	buffer_load_dword v69, v4, s[0:3], 0 offen offset:8
	buffer_load_dword v70, v4, s[0:3], 0 offen offset:12
	buffer_load_dword v71, v11, s[0:3], 0 offen
	buffer_load_dword v72, v11, s[0:3], 0 offen offset:4
	buffer_load_dword v73, v11, s[0:3], 0 offen offset:8
	buffer_load_dword v74, v11, s[0:3], 0 offen offset:12
	v_mov_b32_e32 v11, 46
	s_waitcnt vmcnt(56)
	ds_write2_b64 v12, v[15:16], v[17:18] offset0:94 offset1:95
	s_waitcnt vmcnt(52)
	ds_write2_b64 v12, v[19:20], v[21:22] offset0:96 offset1:97
	;; [unrolled: 2-line block ×15, first 2 shown]
.LBB122_1114:
	s_or_b32 exec_lo, exec_lo, s4
	s_mov_b32 s4, exec_lo
	s_waitcnt lgkmcnt(0)
	s_waitcnt_vscnt null, 0x0
	s_barrier
	buffer_gl0_inv
	v_cmpx_lt_i32_e32 46, v11
	s_cbranch_execz .LBB122_1116
; %bb.1115:
	s_clause 0x1b
	buffer_load_dword v15, off, s[0:3], 0 offset:744
	buffer_load_dword v16, off, s[0:3], 0 offset:748
	buffer_load_dword v17, off, s[0:3], 0 offset:736
	buffer_load_dword v18, off, s[0:3], 0 offset:740
	buffer_load_dword v35, off, s[0:3], 0 offset:752
	buffer_load_dword v36, off, s[0:3], 0 offset:756
	buffer_load_dword v37, off, s[0:3], 0 offset:760
	buffer_load_dword v38, off, s[0:3], 0 offset:764
	buffer_load_dword v39, off, s[0:3], 0 offset:768
	buffer_load_dword v40, off, s[0:3], 0 offset:772
	buffer_load_dword v41, off, s[0:3], 0 offset:776
	buffer_load_dword v42, off, s[0:3], 0 offset:780
	buffer_load_dword v43, off, s[0:3], 0 offset:784
	buffer_load_dword v44, off, s[0:3], 0 offset:788
	buffer_load_dword v45, off, s[0:3], 0 offset:792
	buffer_load_dword v46, off, s[0:3], 0 offset:796
	buffer_load_dword v49, off, s[0:3], 0 offset:800
	buffer_load_dword v50, off, s[0:3], 0 offset:804
	buffer_load_dword v51, off, s[0:3], 0 offset:808
	buffer_load_dword v52, off, s[0:3], 0 offset:812
	buffer_load_dword v53, off, s[0:3], 0 offset:816
	buffer_load_dword v54, off, s[0:3], 0 offset:820
	buffer_load_dword v55, off, s[0:3], 0 offset:824
	buffer_load_dword v56, off, s[0:3], 0 offset:828
	buffer_load_dword v57, off, s[0:3], 0 offset:832
	buffer_load_dword v58, off, s[0:3], 0 offset:836
	buffer_load_dword v59, off, s[0:3], 0 offset:840
	buffer_load_dword v60, off, s[0:3], 0 offset:844
	s_waitcnt vmcnt(26)
	v_mul_f64 v[19:20], v[0:1], v[15:16]
	v_mul_f64 v[15:16], v[2:3], v[15:16]
	s_waitcnt vmcnt(24)
	v_fma_f64 v[47:48], v[2:3], v[17:18], v[19:20]
	v_fma_f64 v[61:62], v[0:1], v[17:18], -v[15:16]
	buffer_store_dword v47, off, s[0:3], 0 offset:744
	buffer_store_dword v48, off, s[0:3], 0 offset:748
	s_clause 0x3
	buffer_load_dword v63, off, s[0:3], 0 offset:744
	buffer_load_dword v64, off, s[0:3], 0 offset:748
	;; [unrolled: 1-line block ×4, first 2 shown]
	buffer_store_dword v61, off, s[0:3], 0 offset:736
	buffer_store_dword v62, off, s[0:3], 0 offset:740
	s_clause 0x27
	buffer_load_dword v67, off, s[0:3], 0 offset:736
	buffer_load_dword v68, off, s[0:3], 0 offset:740
	;; [unrolled: 1-line block ×40, first 2 shown]
	ds_read2_b64 v[0:3], v12 offset0:94 offset1:95
	ds_read2_b64 v[15:18], v12 offset0:96 offset1:97
	;; [unrolled: 1-line block ×6, first 2 shown]
	s_waitcnt lgkmcnt(5)
	v_mul_f64 v[107:108], v[2:3], v[47:48]
	v_mul_f64 v[109:110], v[0:1], v[47:48]
	s_waitcnt lgkmcnt(4)
	v_mul_f64 v[111:112], v[17:18], v[47:48]
	s_waitcnt lgkmcnt(2)
	v_mul_f64 v[119:120], v[25:26], v[47:48]
	v_mul_f64 v[113:114], v[15:16], v[47:48]
	;; [unrolled: 1-line block ×5, first 2 shown]
	s_waitcnt lgkmcnt(1)
	v_mul_f64 v[123:124], v[29:30], v[47:48]
	v_mul_f64 v[125:126], v[27:28], v[47:48]
	s_waitcnt lgkmcnt(0)
	v_mul_f64 v[130:131], v[33:34], v[47:48]
	v_mul_f64 v[47:48], v[31:32], v[47:48]
	v_fma_f64 v[0:1], v[0:1], v[61:62], -v[107:108]
	v_fma_f64 v[2:3], v[2:3], v[61:62], v[109:110]
	v_fma_f64 v[15:16], v[15:16], v[61:62], -v[111:112]
	v_fma_f64 v[111:112], v[23:24], v[61:62], -v[119:120]
	v_fma_f64 v[107:108], v[17:18], v[61:62], v[113:114]
	v_fma_f64 v[113:114], v[25:26], v[61:62], v[121:122]
	v_fma_f64 v[19:20], v[19:20], v[61:62], -v[115:116]
	v_fma_f64 v[109:110], v[21:22], v[61:62], v[117:118]
	v_fma_f64 v[115:116], v[27:28], v[61:62], -v[123:124]
	;; [unrolled: 2-line block ×3, first 2 shown]
	v_fma_f64 v[47:48], v[33:34], v[61:62], v[47:48]
	s_waitcnt vmcnt(62)
	v_add_f64 v[61:62], v[35:36], -v[0:1]
	v_add_f64 v[121:122], v[37:38], -v[2:3]
	v_add_f64 v[123:124], v[39:40], -v[15:16]
	ds_read2_b64 v[0:3], v12 offset0:106 offset1:107
	ds_read2_b64 v[15:18], v12 offset0:108 offset1:109
	s_waitcnt vmcnt(54)
	v_add_f64 v[49:50], v[49:50], -v[111:112]
	v_add_f64 v[107:108], v[41:42], -v[107:108]
	s_waitcnt vmcnt(52)
	v_add_f64 v[51:52], v[51:52], -v[113:114]
	v_add_f64 v[125:126], v[43:44], -v[19:20]
	ds_read2_b64 v[19:22], v12 offset0:110 offset1:111
	ds_read2_b64 v[23:26], v12 offset0:112 offset1:113
	v_add_f64 v[109:110], v[45:46], -v[109:110]
	ds_read2_b64 v[27:30], v12 offset0:114 offset1:115
	ds_read2_b64 v[31:34], v12 offset0:116 offset1:117
	s_waitcnt vmcnt(44)
	v_add_f64 v[47:48], v[59:60], -v[47:48]
	ds_read2_b64 v[35:38], v12 offset0:118 offset1:119
	ds_read2_b64 v[39:42], v12 offset0:120 offset1:121
	;; [unrolled: 1-line block ×3, first 2 shown]
	v_add_f64 v[53:54], v[53:54], -v[115:116]
	v_add_f64 v[55:56], v[55:56], -v[117:118]
	;; [unrolled: 1-line block ×3, first 2 shown]
	buffer_store_dword v61, off, s[0:3], 0 offset:752
	buffer_store_dword v62, off, s[0:3], 0 offset:756
	;; [unrolled: 1-line block ×24, first 2 shown]
	s_waitcnt vmcnt(42) lgkmcnt(8)
	v_mul_f64 v[59:60], v[2:3], v[63:64]
	v_mul_f64 v[61:62], v[0:1], v[63:64]
	s_waitcnt lgkmcnt(7)
	v_mul_f64 v[49:50], v[17:18], v[63:64]
	v_mul_f64 v[107:108], v[15:16], v[63:64]
	s_waitcnt lgkmcnt(6)
	;; [unrolled: 3-line block ×5, first 2 shown]
	v_mul_f64 v[119:120], v[33:34], v[63:64]
	v_mul_f64 v[63:64], v[31:32], v[63:64]
	s_waitcnt vmcnt(40) lgkmcnt(2)
	v_mul_f64 v[121:122], v[37:38], v[65:66]
	v_mul_f64 v[123:124], v[35:36], v[65:66]
	s_waitcnt lgkmcnt(1)
	v_mul_f64 v[125:126], v[41:42], v[65:66]
	v_mul_f64 v[130:131], v[39:40], v[65:66]
	s_waitcnt lgkmcnt(0)
	v_mul_f64 v[132:133], v[45:46], v[65:66]
	v_mul_f64 v[65:66], v[43:44], v[65:66]
	s_waitcnt vmcnt(38)
	v_fma_f64 v[0:1], v[0:1], v[67:68], -v[59:60]
	v_fma_f64 v[2:3], v[2:3], v[67:68], v[61:62]
	v_fma_f64 v[15:16], v[15:16], v[67:68], -v[49:50]
	v_fma_f64 v[17:18], v[17:18], v[67:68], v[107:108]
	;; [unrolled: 2-line block ×6, first 2 shown]
	s_waitcnt vmcnt(32)
	v_fma_f64 v[35:36], v[35:36], v[73:74], -v[121:122]
	v_fma_f64 v[37:38], v[37:38], v[73:74], v[123:124]
	v_fma_f64 v[39:40], v[39:40], v[73:74], -v[125:126]
	v_fma_f64 v[41:42], v[41:42], v[73:74], v[130:131]
	;; [unrolled: 2-line block ×3, first 2 shown]
	v_add_f64 v[0:1], v[69:70], -v[0:1]
	v_add_f64 v[2:3], v[71:72], -v[2:3]
	s_waitcnt vmcnt(30)
	v_add_f64 v[15:16], v[75:76], -v[15:16]
	s_waitcnt vmcnt(28)
	;; [unrolled: 2-line block ×11, first 2 shown]
	v_add_f64 v[35:36], v[95:96], -v[35:36]
	v_add_f64 v[37:38], v[97:98], -v[37:38]
	s_waitcnt vmcnt(6)
	v_add_f64 v[39:40], v[99:100], -v[39:40]
	s_waitcnt vmcnt(4)
	;; [unrolled: 2-line block ×4, first 2 shown]
	v_add_f64 v[45:46], v[105:106], -v[45:46]
	buffer_store_dword v1, off, s[0:3], 0 offset:852
	buffer_store_dword v0, off, s[0:3], 0 offset:848
	;; [unrolled: 1-line block ×36, first 2 shown]
.LBB122_1116:
	s_or_b32 exec_lo, exec_lo, s4
	v_mov_b32_e32 v3, s33
	s_waitcnt_vscnt null, 0x0
	s_barrier
	buffer_gl0_inv
	v_lshl_add_u32 v4, v11, 4, v12
	s_clause 0x3
	buffer_load_dword v0, v3, s[0:3], 0 offen
	buffer_load_dword v1, v3, s[0:3], 0 offen offset:4
	buffer_load_dword v2, v3, s[0:3], 0 offen offset:8
	;; [unrolled: 1-line block ×3, first 2 shown]
	s_cmp_lt_i32 s57, 49
	s_waitcnt vmcnt(0)
	ds_write2_b64 v4, v[0:1], v[2:3] offset1:1
	s_waitcnt lgkmcnt(0)
	s_barrier
	buffer_gl0_inv
	ds_read2_b64 v[0:3], v12 offset0:94 offset1:95
	v_mov_b32_e32 v4, 47
	s_cbranch_scc1 .LBB122_1119
; %bb.1117:
	v_add3_u32 v10, v14, 0, 0x300
	v_mov_b32_e32 v4, 47
	s_mov_b32 s16, 48
	s_inst_prefetch 0x1
	.p2align	6
.LBB122_1118:                           ; =>This Inner Loop Header: Depth=1
	s_waitcnt lgkmcnt(0)
	v_cmp_gt_f64_e32 vcc_lo, 0, v[2:3]
	v_cmp_gt_f64_e64 s4, 0, v[0:1]
	ds_read2_b64 v[15:18], v10 offset1:1
	v_xor_b32_e32 v20, 0x80000000, v1
	v_xor_b32_e32 v22, 0x80000000, v3
	v_mov_b32_e32 v19, v0
	v_mov_b32_e32 v21, v2
	v_add_nc_u32_e32 v10, 16, v10
	s_waitcnt lgkmcnt(0)
	v_xor_b32_e32 v24, 0x80000000, v18
	v_cndmask_b32_e64 v20, v1, v20, s4
	v_cndmask_b32_e32 v22, v3, v22, vcc_lo
	v_cmp_gt_f64_e32 vcc_lo, 0, v[17:18]
	v_cmp_gt_f64_e64 s4, 0, v[15:16]
	v_mov_b32_e32 v23, v17
	v_add_f64 v[19:20], v[19:20], v[21:22]
	v_xor_b32_e32 v22, 0x80000000, v16
	v_mov_b32_e32 v21, v15
	v_cndmask_b32_e32 v24, v18, v24, vcc_lo
	v_cndmask_b32_e64 v22, v16, v22, s4
	v_add_f64 v[21:22], v[21:22], v[23:24]
	v_cmp_lt_f64_e32 vcc_lo, v[19:20], v[21:22]
	v_cndmask_b32_e32 v1, v1, v16, vcc_lo
	v_cndmask_b32_e32 v0, v0, v15, vcc_lo
	;; [unrolled: 1-line block ×4, first 2 shown]
	v_cndmask_b32_e64 v4, v4, s16, vcc_lo
	s_add_i32 s16, s16, 1
	s_cmp_lg_u32 s57, s16
	s_cbranch_scc1 .LBB122_1118
.LBB122_1119:
	s_inst_prefetch 0x2
	s_waitcnt lgkmcnt(0)
	v_cmp_eq_f64_e32 vcc_lo, 0, v[0:1]
	v_cmp_eq_f64_e64 s4, 0, v[2:3]
	s_and_b32 s4, vcc_lo, s4
	s_and_saveexec_b32 s16, s4
	s_xor_b32 s4, exec_lo, s16
; %bb.1120:
	v_cmp_ne_u32_e32 vcc_lo, 0, v13
	v_cndmask_b32_e32 v13, 48, v13, vcc_lo
; %bb.1121:
	s_andn2_saveexec_b32 s4, s4
	s_cbranch_execz .LBB122_1127
; %bb.1122:
	v_cmp_ngt_f64_e64 s16, |v[0:1]|, |v[2:3]|
	s_and_saveexec_b32 s17, s16
	s_xor_b32 s16, exec_lo, s17
	s_cbranch_execz .LBB122_1124
; %bb.1123:
	v_div_scale_f64 v[15:16], null, v[2:3], v[2:3], v[0:1]
	v_div_scale_f64 v[21:22], vcc_lo, v[0:1], v[2:3], v[0:1]
	v_rcp_f64_e32 v[17:18], v[15:16]
	v_fma_f64 v[19:20], -v[15:16], v[17:18], 1.0
	v_fma_f64 v[17:18], v[17:18], v[19:20], v[17:18]
	v_fma_f64 v[19:20], -v[15:16], v[17:18], 1.0
	v_fma_f64 v[17:18], v[17:18], v[19:20], v[17:18]
	v_mul_f64 v[19:20], v[21:22], v[17:18]
	v_fma_f64 v[15:16], -v[15:16], v[19:20], v[21:22]
	v_div_fmas_f64 v[15:16], v[15:16], v[17:18], v[19:20]
	v_div_fixup_f64 v[15:16], v[15:16], v[2:3], v[0:1]
	v_fma_f64 v[0:1], v[0:1], v[15:16], v[2:3]
	v_div_scale_f64 v[2:3], null, v[0:1], v[0:1], 1.0
	v_rcp_f64_e32 v[17:18], v[2:3]
	v_fma_f64 v[19:20], -v[2:3], v[17:18], 1.0
	v_fma_f64 v[17:18], v[17:18], v[19:20], v[17:18]
	v_fma_f64 v[19:20], -v[2:3], v[17:18], 1.0
	v_fma_f64 v[17:18], v[17:18], v[19:20], v[17:18]
	v_div_scale_f64 v[19:20], vcc_lo, 1.0, v[0:1], 1.0
	v_mul_f64 v[21:22], v[19:20], v[17:18]
	v_fma_f64 v[2:3], -v[2:3], v[21:22], v[19:20]
	v_div_fmas_f64 v[2:3], v[2:3], v[17:18], v[21:22]
	v_div_fixup_f64 v[2:3], v[2:3], v[0:1], 1.0
	v_mul_f64 v[0:1], v[15:16], v[2:3]
	v_xor_b32_e32 v3, 0x80000000, v3
.LBB122_1124:
	s_andn2_saveexec_b32 s16, s16
	s_cbranch_execz .LBB122_1126
; %bb.1125:
	v_div_scale_f64 v[15:16], null, v[0:1], v[0:1], v[2:3]
	v_div_scale_f64 v[21:22], vcc_lo, v[2:3], v[0:1], v[2:3]
	v_rcp_f64_e32 v[17:18], v[15:16]
	v_fma_f64 v[19:20], -v[15:16], v[17:18], 1.0
	v_fma_f64 v[17:18], v[17:18], v[19:20], v[17:18]
	v_fma_f64 v[19:20], -v[15:16], v[17:18], 1.0
	v_fma_f64 v[17:18], v[17:18], v[19:20], v[17:18]
	v_mul_f64 v[19:20], v[21:22], v[17:18]
	v_fma_f64 v[15:16], -v[15:16], v[19:20], v[21:22]
	v_div_fmas_f64 v[15:16], v[15:16], v[17:18], v[19:20]
	v_div_fixup_f64 v[15:16], v[15:16], v[0:1], v[2:3]
	v_fma_f64 v[0:1], v[2:3], v[15:16], v[0:1]
	v_div_scale_f64 v[2:3], null, v[0:1], v[0:1], 1.0
	v_rcp_f64_e32 v[17:18], v[2:3]
	v_fma_f64 v[19:20], -v[2:3], v[17:18], 1.0
	v_fma_f64 v[17:18], v[17:18], v[19:20], v[17:18]
	v_fma_f64 v[19:20], -v[2:3], v[17:18], 1.0
	v_fma_f64 v[17:18], v[17:18], v[19:20], v[17:18]
	v_div_scale_f64 v[19:20], vcc_lo, 1.0, v[0:1], 1.0
	v_mul_f64 v[21:22], v[19:20], v[17:18]
	v_fma_f64 v[2:3], -v[2:3], v[21:22], v[19:20]
	v_div_fmas_f64 v[2:3], v[2:3], v[17:18], v[21:22]
	v_div_fixup_f64 v[0:1], v[2:3], v[0:1], 1.0
	v_mul_f64 v[2:3], v[15:16], -v[0:1]
.LBB122_1126:
	s_or_b32 exec_lo, exec_lo, s16
.LBB122_1127:
	s_or_b32 exec_lo, exec_lo, s4
	s_mov_b32 s4, exec_lo
	v_cmpx_ne_u32_e64 v11, v4
	s_xor_b32 s4, exec_lo, s4
	s_cbranch_execz .LBB122_1133
; %bb.1128:
	s_mov_b32 s16, exec_lo
	v_cmpx_eq_u32_e32 47, v11
	s_cbranch_execz .LBB122_1132
; %bb.1129:
	v_cmp_ne_u32_e32 vcc_lo, 47, v4
	s_xor_b32 s17, s20, -1
	s_and_b32 s56, s17, vcc_lo
	s_and_saveexec_b32 s17, s56
	s_cbranch_execz .LBB122_1131
; %bb.1130:
	v_ashrrev_i32_e32 v5, 31, v4
	v_lshlrev_b64 v[10:11], 2, v[4:5]
	v_add_co_u32 v10, vcc_lo, v8, v10
	v_add_co_ci_u32_e64 v11, null, v9, v11, vcc_lo
	s_clause 0x1
	global_load_dword v5, v[10:11], off
	global_load_dword v15, v[8:9], off offset:188
	s_waitcnt vmcnt(1)
	global_store_dword v[8:9], v5, off offset:188
	s_waitcnt vmcnt(0)
	global_store_dword v[10:11], v15, off
.LBB122_1131:
	s_or_b32 exec_lo, exec_lo, s17
	v_mov_b32_e32 v11, v4
	v_mov_b32_e32 v5, v4
.LBB122_1132:
	s_or_b32 exec_lo, exec_lo, s16
.LBB122_1133:
	s_andn2_saveexec_b32 s4, s4
	s_cbranch_execz .LBB122_1135
; %bb.1134:
	v_mov_b32_e32 v4, s31
	v_mov_b32_e32 v10, s30
	;; [unrolled: 1-line block ×3, first 2 shown]
	s_clause 0x7
	buffer_load_dword v15, v4, s[0:3], 0 offen
	buffer_load_dword v16, v4, s[0:3], 0 offen offset:4
	buffer_load_dword v17, v4, s[0:3], 0 offen offset:8
	buffer_load_dword v18, v4, s[0:3], 0 offen offset:12
	buffer_load_dword v19, v10, s[0:3], 0 offen
	buffer_load_dword v20, v10, s[0:3], 0 offen offset:4
	buffer_load_dword v21, v10, s[0:3], 0 offen offset:8
	buffer_load_dword v22, v10, s[0:3], 0 offen offset:12
	v_mov_b32_e32 v10, s27
	v_mov_b32_e32 v4, s28
	s_clause 0x7
	buffer_load_dword v23, v11, s[0:3], 0 offen
	buffer_load_dword v24, v11, s[0:3], 0 offen offset:4
	buffer_load_dword v25, v11, s[0:3], 0 offen offset:8
	buffer_load_dword v26, v11, s[0:3], 0 offen offset:12
	buffer_load_dword v27, v4, s[0:3], 0 offen
	buffer_load_dword v28, v4, s[0:3], 0 offen offset:4
	buffer_load_dword v29, v4, s[0:3], 0 offen offset:8
	buffer_load_dword v30, v4, s[0:3], 0 offen offset:12
	v_mov_b32_e32 v4, s26
	v_mov_b32_e32 v11, s25
	;; [unrolled: 11-line block ×5, first 2 shown]
	s_clause 0x7
	buffer_load_dword v55, v11, s[0:3], 0 offen
	buffer_load_dword v56, v11, s[0:3], 0 offen offset:4
	buffer_load_dword v57, v11, s[0:3], 0 offen offset:8
	;; [unrolled: 1-line block ×3, first 2 shown]
	buffer_load_dword v59, v4, s[0:3], 0 offen
	buffer_load_dword v60, v4, s[0:3], 0 offen offset:4
	buffer_load_dword v61, v4, s[0:3], 0 offen offset:8
	;; [unrolled: 1-line block ×3, first 2 shown]
	v_mov_b32_e32 v4, s5
	s_clause 0x7
	buffer_load_dword v63, v10, s[0:3], 0 offen
	buffer_load_dword v64, v10, s[0:3], 0 offen offset:4
	buffer_load_dword v65, v10, s[0:3], 0 offen offset:8
	;; [unrolled: 1-line block ×3, first 2 shown]
	buffer_load_dword v67, v4, s[0:3], 0 offen
	buffer_load_dword v68, v4, s[0:3], 0 offen offset:4
	buffer_load_dword v69, v4, s[0:3], 0 offen offset:8
	buffer_load_dword v70, v4, s[0:3], 0 offen offset:12
	v_mov_b32_e32 v11, 47
	s_waitcnt vmcnt(52)
	ds_write2_b64 v12, v[15:16], v[17:18] offset0:96 offset1:97
	s_waitcnt vmcnt(48)
	ds_write2_b64 v12, v[19:20], v[21:22] offset0:98 offset1:99
	s_waitcnt vmcnt(44)
	ds_write2_b64 v12, v[23:24], v[25:26] offset0:100 offset1:101
	s_waitcnt vmcnt(40)
	ds_write2_b64 v12, v[27:28], v[29:30] offset0:102 offset1:103
	s_waitcnt vmcnt(36)
	ds_write2_b64 v12, v[31:32], v[33:34] offset0:104 offset1:105
	s_waitcnt vmcnt(32)
	ds_write2_b64 v12, v[35:36], v[37:38] offset0:106 offset1:107
	s_waitcnt vmcnt(28)
	ds_write2_b64 v12, v[39:40], v[41:42] offset0:108 offset1:109
	s_waitcnt vmcnt(24)
	ds_write2_b64 v12, v[43:44], v[45:46] offset0:110 offset1:111
	s_waitcnt vmcnt(20)
	ds_write2_b64 v12, v[47:48], v[49:50] offset0:112 offset1:113
	s_waitcnt vmcnt(16)
	ds_write2_b64 v12, v[51:52], v[53:54] offset0:114 offset1:115
	s_waitcnt vmcnt(12)
	ds_write2_b64 v12, v[55:56], v[57:58] offset0:116 offset1:117
	s_waitcnt vmcnt(8)
	ds_write2_b64 v12, v[59:60], v[61:62] offset0:118 offset1:119
	s_waitcnt vmcnt(4)
	ds_write2_b64 v12, v[63:64], v[65:66] offset0:120 offset1:121
	s_waitcnt vmcnt(0)
	ds_write2_b64 v12, v[67:68], v[69:70] offset0:122 offset1:123
.LBB122_1135:
	s_or_b32 exec_lo, exec_lo, s4
	s_mov_b32 s4, exec_lo
	s_waitcnt lgkmcnt(0)
	s_waitcnt_vscnt null, 0x0
	s_barrier
	buffer_gl0_inv
	v_cmpx_lt_i32_e32 47, v11
	s_cbranch_execz .LBB122_1137
; %bb.1136:
	s_clause 0x1b
	buffer_load_dword v15, off, s[0:3], 0 offset:760
	buffer_load_dword v16, off, s[0:3], 0 offset:764
	;; [unrolled: 1-line block ×28, first 2 shown]
	s_waitcnt vmcnt(26)
	v_mul_f64 v[19:20], v[0:1], v[15:16]
	v_mul_f64 v[15:16], v[2:3], v[15:16]
	s_waitcnt vmcnt(24)
	v_fma_f64 v[39:40], v[2:3], v[17:18], v[19:20]
	v_fma_f64 v[61:62], v[0:1], v[17:18], -v[15:16]
	buffer_store_dword v39, off, s[0:3], 0 offset:760
	buffer_store_dword v40, off, s[0:3], 0 offset:764
	s_clause 0x3
	buffer_load_dword v63, off, s[0:3], 0 offset:760
	buffer_load_dword v64, off, s[0:3], 0 offset:764
	;; [unrolled: 1-line block ×4, first 2 shown]
	buffer_store_dword v61, off, s[0:3], 0 offset:752
	buffer_store_dword v62, off, s[0:3], 0 offset:756
	s_clause 0x23
	buffer_load_dword v67, off, s[0:3], 0 offset:752
	buffer_load_dword v68, off, s[0:3], 0 offset:756
	;; [unrolled: 1-line block ×36, first 2 shown]
	ds_read2_b64 v[0:3], v12 offset0:96 offset1:97
	ds_read2_b64 v[15:18], v12 offset0:98 offset1:99
	;; [unrolled: 1-line block ×6, first 2 shown]
	s_waitcnt lgkmcnt(5)
	v_mul_f64 v[103:104], v[2:3], v[39:40]
	v_mul_f64 v[105:106], v[0:1], v[39:40]
	s_waitcnt lgkmcnt(4)
	v_mul_f64 v[107:108], v[17:18], v[39:40]
	v_mul_f64 v[109:110], v[15:16], v[39:40]
	;; [unrolled: 3-line block ×6, first 2 shown]
	v_fma_f64 v[0:1], v[0:1], v[61:62], -v[103:104]
	v_fma_f64 v[2:3], v[2:3], v[61:62], v[105:106]
	v_fma_f64 v[15:16], v[15:16], v[61:62], -v[107:108]
	v_fma_f64 v[103:104], v[17:18], v[61:62], v[109:110]
	;; [unrolled: 2-line block ×6, first 2 shown]
	s_waitcnt vmcnt(62)
	v_add_f64 v[119:120], v[35:36], -v[0:1]
	s_waitcnt vmcnt(60)
	v_add_f64 v[121:122], v[37:38], -v[2:3]
	;; [unrolled: 2-line block ×3, first 2 shown]
	ds_read2_b64 v[0:3], v12 offset0:108 offset1:109
	ds_read2_b64 v[15:18], v12 offset0:110 offset1:111
	s_waitcnt vmcnt(56)
	v_add_f64 v[43:44], v[43:44], -v[103:104]
	s_waitcnt vmcnt(54)
	v_add_f64 v[45:46], v[45:46], -v[105:106]
	ds_read2_b64 v[19:22], v12 offset0:112 offset1:113
	ds_read2_b64 v[23:26], v12 offset0:114 offset1:115
	s_waitcnt vmcnt(52)
	v_add_f64 v[47:48], v[47:48], -v[107:108]
	ds_read2_b64 v[27:30], v12 offset0:116 offset1:117
	ds_read2_b64 v[31:34], v12 offset0:118 offset1:119
	ds_read2_b64 v[35:38], v12 offset0:120 offset1:121
	ds_read2_b64 v[39:42], v12 offset0:122 offset1:123
	s_waitcnt vmcnt(50)
	v_add_f64 v[49:50], v[49:50], -v[109:110]
	s_waitcnt vmcnt(48)
	v_add_f64 v[51:52], v[51:52], -v[111:112]
	;; [unrolled: 2-line block ×3, first 2 shown]
	v_add_f64 v[53:54], v[53:54], -v[113:114]
	v_add_f64 v[55:56], v[55:56], -v[115:116]
	;; [unrolled: 1-line block ×3, first 2 shown]
	buffer_store_dword v119, off, s[0:3], 0 offset:768
	buffer_store_dword v120, off, s[0:3], 0 offset:772
	;; [unrolled: 1-line block ×24, first 2 shown]
	s_waitcnt vmcnt(38) lgkmcnt(7)
	v_mul_f64 v[61:62], v[2:3], v[63:64]
	v_mul_f64 v[103:104], v[0:1], v[63:64]
	s_waitcnt lgkmcnt(6)
	v_mul_f64 v[43:44], v[17:18], v[63:64]
	v_mul_f64 v[105:106], v[15:16], v[63:64]
	s_waitcnt lgkmcnt(5)
	;; [unrolled: 3-line block ×5, first 2 shown]
	v_mul_f64 v[115:116], v[33:34], v[63:64]
	v_mul_f64 v[63:64], v[31:32], v[63:64]
	s_waitcnt vmcnt(36) lgkmcnt(1)
	v_mul_f64 v[117:118], v[37:38], v[65:66]
	v_mul_f64 v[119:120], v[35:36], v[65:66]
	s_waitcnt lgkmcnt(0)
	v_mul_f64 v[121:122], v[41:42], v[65:66]
	v_mul_f64 v[65:66], v[39:40], v[65:66]
	s_waitcnt vmcnt(34)
	v_fma_f64 v[0:1], v[0:1], v[67:68], -v[61:62]
	v_fma_f64 v[2:3], v[2:3], v[67:68], v[103:104]
	v_fma_f64 v[15:16], v[15:16], v[67:68], -v[43:44]
	v_fma_f64 v[17:18], v[17:18], v[67:68], v[105:106]
	;; [unrolled: 2-line block ×6, first 2 shown]
	s_waitcnt vmcnt(28)
	v_fma_f64 v[35:36], v[35:36], v[73:74], -v[117:118]
	v_fma_f64 v[37:38], v[37:38], v[73:74], v[119:120]
	v_fma_f64 v[39:40], v[39:40], v[73:74], -v[121:122]
	v_fma_f64 v[41:42], v[41:42], v[73:74], v[65:66]
	v_add_f64 v[0:1], v[69:70], -v[0:1]
	v_add_f64 v[2:3], v[71:72], -v[2:3]
	s_waitcnt vmcnt(26)
	v_add_f64 v[15:16], v[75:76], -v[15:16]
	s_waitcnt vmcnt(24)
	;; [unrolled: 2-line block ×11, first 2 shown]
	v_add_f64 v[35:36], v[95:96], -v[35:36]
	v_add_f64 v[37:38], v[97:98], -v[37:38]
	s_waitcnt vmcnt(2)
	v_add_f64 v[39:40], v[99:100], -v[39:40]
	s_waitcnt vmcnt(0)
	v_add_f64 v[41:42], v[101:102], -v[41:42]
	buffer_store_dword v1, off, s[0:3], 0 offset:868
	buffer_store_dword v0, off, s[0:3], 0 offset:864
	;; [unrolled: 1-line block ×32, first 2 shown]
.LBB122_1137:
	s_or_b32 exec_lo, exec_lo, s4
	v_mov_b32_e32 v3, s31
	s_waitcnt_vscnt null, 0x0
	s_barrier
	buffer_gl0_inv
	v_lshl_add_u32 v4, v11, 4, v12
	s_clause 0x3
	buffer_load_dword v0, v3, s[0:3], 0 offen
	buffer_load_dword v1, v3, s[0:3], 0 offen offset:4
	buffer_load_dword v2, v3, s[0:3], 0 offen offset:8
	buffer_load_dword v3, v3, s[0:3], 0 offen offset:12
	s_cmp_lt_i32 s57, 50
	s_waitcnt vmcnt(0)
	ds_write2_b64 v4, v[0:1], v[2:3] offset1:1
	s_waitcnt lgkmcnt(0)
	s_barrier
	buffer_gl0_inv
	ds_read2_b64 v[0:3], v12 offset0:96 offset1:97
	v_mov_b32_e32 v4, 48
	s_cbranch_scc1 .LBB122_1140
; %bb.1138:
	v_add3_u32 v10, v14, 0, 0x310
	v_mov_b32_e32 v4, 48
	s_mov_b32 s16, 49
	s_inst_prefetch 0x1
	.p2align	6
.LBB122_1139:                           ; =>This Inner Loop Header: Depth=1
	s_waitcnt lgkmcnt(0)
	v_cmp_gt_f64_e32 vcc_lo, 0, v[2:3]
	v_cmp_gt_f64_e64 s4, 0, v[0:1]
	ds_read2_b64 v[15:18], v10 offset1:1
	v_xor_b32_e32 v20, 0x80000000, v1
	v_xor_b32_e32 v22, 0x80000000, v3
	v_mov_b32_e32 v19, v0
	v_mov_b32_e32 v21, v2
	v_add_nc_u32_e32 v10, 16, v10
	s_waitcnt lgkmcnt(0)
	v_xor_b32_e32 v24, 0x80000000, v18
	v_cndmask_b32_e64 v20, v1, v20, s4
	v_cndmask_b32_e32 v22, v3, v22, vcc_lo
	v_cmp_gt_f64_e32 vcc_lo, 0, v[17:18]
	v_cmp_gt_f64_e64 s4, 0, v[15:16]
	v_mov_b32_e32 v23, v17
	v_add_f64 v[19:20], v[19:20], v[21:22]
	v_xor_b32_e32 v22, 0x80000000, v16
	v_mov_b32_e32 v21, v15
	v_cndmask_b32_e32 v24, v18, v24, vcc_lo
	v_cndmask_b32_e64 v22, v16, v22, s4
	v_add_f64 v[21:22], v[21:22], v[23:24]
	v_cmp_lt_f64_e32 vcc_lo, v[19:20], v[21:22]
	v_cndmask_b32_e32 v1, v1, v16, vcc_lo
	v_cndmask_b32_e32 v0, v0, v15, vcc_lo
	;; [unrolled: 1-line block ×4, first 2 shown]
	v_cndmask_b32_e64 v4, v4, s16, vcc_lo
	s_add_i32 s16, s16, 1
	s_cmp_lg_u32 s57, s16
	s_cbranch_scc1 .LBB122_1139
.LBB122_1140:
	s_inst_prefetch 0x2
	s_waitcnt lgkmcnt(0)
	v_cmp_eq_f64_e32 vcc_lo, 0, v[0:1]
	v_cmp_eq_f64_e64 s4, 0, v[2:3]
	s_and_b32 s4, vcc_lo, s4
	s_and_saveexec_b32 s16, s4
	s_xor_b32 s4, exec_lo, s16
; %bb.1141:
	v_cmp_ne_u32_e32 vcc_lo, 0, v13
	v_cndmask_b32_e32 v13, 49, v13, vcc_lo
; %bb.1142:
	s_andn2_saveexec_b32 s4, s4
	s_cbranch_execz .LBB122_1148
; %bb.1143:
	v_cmp_ngt_f64_e64 s16, |v[0:1]|, |v[2:3]|
	s_and_saveexec_b32 s17, s16
	s_xor_b32 s16, exec_lo, s17
	s_cbranch_execz .LBB122_1145
; %bb.1144:
	v_div_scale_f64 v[15:16], null, v[2:3], v[2:3], v[0:1]
	v_div_scale_f64 v[21:22], vcc_lo, v[0:1], v[2:3], v[0:1]
	v_rcp_f64_e32 v[17:18], v[15:16]
	v_fma_f64 v[19:20], -v[15:16], v[17:18], 1.0
	v_fma_f64 v[17:18], v[17:18], v[19:20], v[17:18]
	v_fma_f64 v[19:20], -v[15:16], v[17:18], 1.0
	v_fma_f64 v[17:18], v[17:18], v[19:20], v[17:18]
	v_mul_f64 v[19:20], v[21:22], v[17:18]
	v_fma_f64 v[15:16], -v[15:16], v[19:20], v[21:22]
	v_div_fmas_f64 v[15:16], v[15:16], v[17:18], v[19:20]
	v_div_fixup_f64 v[15:16], v[15:16], v[2:3], v[0:1]
	v_fma_f64 v[0:1], v[0:1], v[15:16], v[2:3]
	v_div_scale_f64 v[2:3], null, v[0:1], v[0:1], 1.0
	v_rcp_f64_e32 v[17:18], v[2:3]
	v_fma_f64 v[19:20], -v[2:3], v[17:18], 1.0
	v_fma_f64 v[17:18], v[17:18], v[19:20], v[17:18]
	v_fma_f64 v[19:20], -v[2:3], v[17:18], 1.0
	v_fma_f64 v[17:18], v[17:18], v[19:20], v[17:18]
	v_div_scale_f64 v[19:20], vcc_lo, 1.0, v[0:1], 1.0
	v_mul_f64 v[21:22], v[19:20], v[17:18]
	v_fma_f64 v[2:3], -v[2:3], v[21:22], v[19:20]
	v_div_fmas_f64 v[2:3], v[2:3], v[17:18], v[21:22]
	v_div_fixup_f64 v[2:3], v[2:3], v[0:1], 1.0
	v_mul_f64 v[0:1], v[15:16], v[2:3]
	v_xor_b32_e32 v3, 0x80000000, v3
.LBB122_1145:
	s_andn2_saveexec_b32 s16, s16
	s_cbranch_execz .LBB122_1147
; %bb.1146:
	v_div_scale_f64 v[15:16], null, v[0:1], v[0:1], v[2:3]
	v_div_scale_f64 v[21:22], vcc_lo, v[2:3], v[0:1], v[2:3]
	v_rcp_f64_e32 v[17:18], v[15:16]
	v_fma_f64 v[19:20], -v[15:16], v[17:18], 1.0
	v_fma_f64 v[17:18], v[17:18], v[19:20], v[17:18]
	v_fma_f64 v[19:20], -v[15:16], v[17:18], 1.0
	v_fma_f64 v[17:18], v[17:18], v[19:20], v[17:18]
	v_mul_f64 v[19:20], v[21:22], v[17:18]
	v_fma_f64 v[15:16], -v[15:16], v[19:20], v[21:22]
	v_div_fmas_f64 v[15:16], v[15:16], v[17:18], v[19:20]
	v_div_fixup_f64 v[15:16], v[15:16], v[0:1], v[2:3]
	v_fma_f64 v[0:1], v[2:3], v[15:16], v[0:1]
	v_div_scale_f64 v[2:3], null, v[0:1], v[0:1], 1.0
	v_rcp_f64_e32 v[17:18], v[2:3]
	v_fma_f64 v[19:20], -v[2:3], v[17:18], 1.0
	v_fma_f64 v[17:18], v[17:18], v[19:20], v[17:18]
	v_fma_f64 v[19:20], -v[2:3], v[17:18], 1.0
	v_fma_f64 v[17:18], v[17:18], v[19:20], v[17:18]
	v_div_scale_f64 v[19:20], vcc_lo, 1.0, v[0:1], 1.0
	v_mul_f64 v[21:22], v[19:20], v[17:18]
	v_fma_f64 v[2:3], -v[2:3], v[21:22], v[19:20]
	v_div_fmas_f64 v[2:3], v[2:3], v[17:18], v[21:22]
	v_div_fixup_f64 v[0:1], v[2:3], v[0:1], 1.0
	v_mul_f64 v[2:3], v[15:16], -v[0:1]
.LBB122_1147:
	s_or_b32 exec_lo, exec_lo, s16
.LBB122_1148:
	s_or_b32 exec_lo, exec_lo, s4
	s_mov_b32 s4, exec_lo
	v_cmpx_ne_u32_e64 v11, v4
	s_xor_b32 s4, exec_lo, s4
	s_cbranch_execz .LBB122_1154
; %bb.1149:
	s_mov_b32 s16, exec_lo
	v_cmpx_eq_u32_e32 48, v11
	s_cbranch_execz .LBB122_1153
; %bb.1150:
	v_cmp_ne_u32_e32 vcc_lo, 48, v4
	s_xor_b32 s17, s20, -1
	s_and_b32 s56, s17, vcc_lo
	s_and_saveexec_b32 s17, s56
	s_cbranch_execz .LBB122_1152
; %bb.1151:
	v_ashrrev_i32_e32 v5, 31, v4
	v_lshlrev_b64 v[10:11], 2, v[4:5]
	v_add_co_u32 v10, vcc_lo, v8, v10
	v_add_co_ci_u32_e64 v11, null, v9, v11, vcc_lo
	s_clause 0x1
	global_load_dword v5, v[10:11], off
	global_load_dword v15, v[8:9], off offset:192
	s_waitcnt vmcnt(1)
	global_store_dword v[8:9], v5, off offset:192
	s_waitcnt vmcnt(0)
	global_store_dword v[10:11], v15, off
.LBB122_1152:
	s_or_b32 exec_lo, exec_lo, s17
	v_mov_b32_e32 v11, v4
	v_mov_b32_e32 v5, v4
.LBB122_1153:
	s_or_b32 exec_lo, exec_lo, s16
.LBB122_1154:
	s_andn2_saveexec_b32 s4, s4
	s_cbranch_execz .LBB122_1156
; %bb.1155:
	v_mov_b32_e32 v4, s30
	v_mov_b32_e32 v11, s28
	;; [unrolled: 1-line block ×3, first 2 shown]
	s_clause 0x7
	buffer_load_dword v15, v4, s[0:3], 0 offen
	buffer_load_dword v16, v4, s[0:3], 0 offen offset:4
	buffer_load_dword v17, v4, s[0:3], 0 offen offset:8
	buffer_load_dword v18, v4, s[0:3], 0 offen offset:12
	buffer_load_dword v19, v10, s[0:3], 0 offen
	buffer_load_dword v20, v10, s[0:3], 0 offen offset:4
	buffer_load_dword v21, v10, s[0:3], 0 offen offset:8
	buffer_load_dword v22, v10, s[0:3], 0 offen offset:12
	v_mov_b32_e32 v4, s27
	v_mov_b32_e32 v10, s26
	s_clause 0x7
	buffer_load_dword v23, v11, s[0:3], 0 offen
	buffer_load_dword v24, v11, s[0:3], 0 offen offset:4
	buffer_load_dword v25, v11, s[0:3], 0 offen offset:8
	buffer_load_dword v26, v11, s[0:3], 0 offen offset:12
	buffer_load_dword v27, v4, s[0:3], 0 offen
	buffer_load_dword v28, v4, s[0:3], 0 offen offset:4
	buffer_load_dword v29, v4, s[0:3], 0 offen offset:8
	buffer_load_dword v30, v4, s[0:3], 0 offen offset:12
	v_mov_b32_e32 v11, s24
	v_mov_b32_e32 v4, s25
	;; [unrolled: 11-line block ×5, first 2 shown]
	s_clause 0xb
	buffer_load_dword v55, v11, s[0:3], 0 offen
	buffer_load_dword v56, v11, s[0:3], 0 offen offset:4
	buffer_load_dword v57, v11, s[0:3], 0 offen offset:8
	buffer_load_dword v58, v11, s[0:3], 0 offen offset:12
	buffer_load_dword v59, v4, s[0:3], 0 offen
	buffer_load_dword v60, v4, s[0:3], 0 offen offset:4
	buffer_load_dword v61, v4, s[0:3], 0 offen offset:8
	buffer_load_dword v62, v4, s[0:3], 0 offen offset:12
	;; [unrolled: 4-line block ×3, first 2 shown]
	v_mov_b32_e32 v11, 48
	s_waitcnt vmcnt(48)
	ds_write2_b64 v12, v[15:16], v[17:18] offset0:98 offset1:99
	s_waitcnt vmcnt(44)
	ds_write2_b64 v12, v[19:20], v[21:22] offset0:100 offset1:101
	;; [unrolled: 2-line block ×13, first 2 shown]
.LBB122_1156:
	s_or_b32 exec_lo, exec_lo, s4
	s_mov_b32 s4, exec_lo
	s_waitcnt lgkmcnt(0)
	s_waitcnt_vscnt null, 0x0
	s_barrier
	buffer_gl0_inv
	v_cmpx_lt_i32_e32 48, v11
	s_cbranch_execz .LBB122_1158
; %bb.1157:
	s_clause 0x1b
	buffer_load_dword v15, off, s[0:3], 0 offset:776
	buffer_load_dword v16, off, s[0:3], 0 offset:780
	buffer_load_dword v17, off, s[0:3], 0 offset:768
	buffer_load_dword v18, off, s[0:3], 0 offset:772
	buffer_load_dword v35, off, s[0:3], 0 offset:784
	buffer_load_dword v36, off, s[0:3], 0 offset:788
	buffer_load_dword v37, off, s[0:3], 0 offset:792
	buffer_load_dword v38, off, s[0:3], 0 offset:796
	buffer_load_dword v41, off, s[0:3], 0 offset:800
	buffer_load_dword v42, off, s[0:3], 0 offset:804
	buffer_load_dword v43, off, s[0:3], 0 offset:808
	buffer_load_dword v44, off, s[0:3], 0 offset:812
	buffer_load_dword v45, off, s[0:3], 0 offset:816
	buffer_load_dword v46, off, s[0:3], 0 offset:820
	buffer_load_dword v47, off, s[0:3], 0 offset:824
	buffer_load_dword v48, off, s[0:3], 0 offset:828
	buffer_load_dword v49, off, s[0:3], 0 offset:832
	buffer_load_dword v50, off, s[0:3], 0 offset:836
	buffer_load_dword v51, off, s[0:3], 0 offset:840
	buffer_load_dword v52, off, s[0:3], 0 offset:844
	buffer_load_dword v53, off, s[0:3], 0 offset:848
	buffer_load_dword v54, off, s[0:3], 0 offset:852
	buffer_load_dword v55, off, s[0:3], 0 offset:856
	buffer_load_dword v56, off, s[0:3], 0 offset:860
	buffer_load_dword v59, off, s[0:3], 0 offset:864
	buffer_load_dword v60, off, s[0:3], 0 offset:868
	buffer_load_dword v61, off, s[0:3], 0 offset:872
	buffer_load_dword v62, off, s[0:3], 0 offset:876
	s_waitcnt vmcnt(26)
	v_mul_f64 v[19:20], v[0:1], v[15:16]
	v_mul_f64 v[15:16], v[2:3], v[15:16]
	s_waitcnt vmcnt(24)
	v_fma_f64 v[39:40], v[2:3], v[17:18], v[19:20]
	v_fma_f64 v[57:58], v[0:1], v[17:18], -v[15:16]
	buffer_store_dword v39, off, s[0:3], 0 offset:776
	buffer_store_dword v40, off, s[0:3], 0 offset:780
	s_clause 0x1
	buffer_load_dword v63, off, s[0:3], 0 offset:776
	buffer_load_dword v64, off, s[0:3], 0 offset:780
	buffer_store_dword v57, off, s[0:3], 0 offset:768
	buffer_store_dword v58, off, s[0:3], 0 offset:772
	s_clause 0x21
	buffer_load_dword v66, off, s[0:3], 0 offset:780
	buffer_load_dword v65, off, s[0:3], 0 offset:776
	;; [unrolled: 1-line block ×34, first 2 shown]
	ds_read2_b64 v[0:3], v12 offset0:98 offset1:99
	ds_read2_b64 v[15:18], v12 offset0:100 offset1:101
	;; [unrolled: 1-line block ×6, first 2 shown]
	s_waitcnt lgkmcnt(5)
	v_mul_f64 v[99:100], v[2:3], v[39:40]
	v_mul_f64 v[101:102], v[0:1], v[39:40]
	s_waitcnt lgkmcnt(4)
	v_mul_f64 v[103:104], v[17:18], v[39:40]
	v_mul_f64 v[105:106], v[15:16], v[39:40]
	;; [unrolled: 3-line block ×6, first 2 shown]
	v_fma_f64 v[0:1], v[0:1], v[57:58], -v[99:100]
	v_fma_f64 v[99:100], v[2:3], v[57:58], v[101:102]
	v_fma_f64 v[101:102], v[15:16], v[57:58], -v[103:104]
	v_fma_f64 v[103:104], v[17:18], v[57:58], v[105:106]
	;; [unrolled: 2-line block ×6, first 2 shown]
	s_waitcnt vmcnt(58)
	v_add_f64 v[57:58], v[35:36], -v[0:1]
	ds_read2_b64 v[0:3], v12 offset0:110 offset1:111
	s_waitcnt vmcnt(56)
	v_add_f64 v[99:100], v[37:38], -v[99:100]
	ds_read2_b64 v[15:18], v12 offset0:112 offset1:113
	ds_read2_b64 v[19:22], v12 offset0:114 offset1:115
	;; [unrolled: 1-line block ×3, first 2 shown]
	s_waitcnt vmcnt(54)
	v_add_f64 v[41:42], v[41:42], -v[101:102]
	s_waitcnt vmcnt(52)
	v_add_f64 v[43:44], v[43:44], -v[103:104]
	ds_read2_b64 v[27:30], v12 offset0:118 offset1:119
	ds_read2_b64 v[31:34], v12 offset0:120 offset1:121
	;; [unrolled: 1-line block ×3, first 2 shown]
	s_waitcnt vmcnt(50)
	v_add_f64 v[45:46], v[45:46], -v[105:106]
	s_waitcnt vmcnt(48)
	v_add_f64 v[47:48], v[47:48], -v[107:108]
	;; [unrolled: 2-line block ×5, first 2 shown]
	v_add_f64 v[53:54], v[53:54], -v[113:114]
	v_add_f64 v[55:56], v[55:56], -v[115:116]
	;; [unrolled: 1-line block ×3, first 2 shown]
	buffer_store_dword v57, off, s[0:3], 0 offset:784
	buffer_store_dword v58, off, s[0:3], 0 offset:788
	;; [unrolled: 1-line block ×24, first 2 shown]
	s_waitcnt vmcnt(32) lgkmcnt(0)
	v_mul_f64 v[113:114], v[37:38], v[65:66]
	v_mul_f64 v[65:66], v[35:36], v[65:66]
	s_waitcnt vmcnt(24)
	v_fma_f64 v[35:36], v[35:36], v[73:74], -v[113:114]
	v_fma_f64 v[37:38], v[37:38], v[73:74], v[65:66]
	v_mul_f64 v[61:62], v[2:3], v[63:64]
	v_mul_f64 v[101:102], v[0:1], v[63:64]
	v_mul_f64 v[57:58], v[17:18], v[63:64]
	v_mul_f64 v[103:104], v[15:16], v[63:64]
	v_mul_f64 v[99:100], v[21:22], v[63:64]
	v_mul_f64 v[105:106], v[19:20], v[63:64]
	v_mul_f64 v[41:42], v[25:26], v[63:64]
	v_mul_f64 v[107:108], v[23:24], v[63:64]
	v_mul_f64 v[43:44], v[29:30], v[63:64]
	v_mul_f64 v[109:110], v[27:28], v[63:64]
	v_mul_f64 v[111:112], v[33:34], v[63:64]
	v_mul_f64 v[63:64], v[31:32], v[63:64]
	s_waitcnt vmcnt(1)
	v_add_f64 v[35:36], v[95:96], -v[35:36]
	s_waitcnt vmcnt(0)
	v_add_f64 v[37:38], v[97:98], -v[37:38]
	v_fma_f64 v[0:1], v[0:1], v[67:68], -v[61:62]
	v_fma_f64 v[2:3], v[2:3], v[67:68], v[101:102]
	v_fma_f64 v[15:16], v[15:16], v[67:68], -v[57:58]
	v_fma_f64 v[17:18], v[17:18], v[67:68], v[103:104]
	;; [unrolled: 2-line block ×6, first 2 shown]
	v_add_f64 v[0:1], v[69:70], -v[0:1]
	v_add_f64 v[2:3], v[71:72], -v[2:3]
	;; [unrolled: 1-line block ×12, first 2 shown]
	buffer_store_dword v1, off, s[0:3], 0 offset:884
	buffer_store_dword v0, off, s[0:3], 0 offset:880
	;; [unrolled: 1-line block ×28, first 2 shown]
.LBB122_1158:
	s_or_b32 exec_lo, exec_lo, s4
	v_mov_b32_e32 v3, s30
	s_waitcnt_vscnt null, 0x0
	s_barrier
	buffer_gl0_inv
	v_lshl_add_u32 v4, v11, 4, v12
	s_clause 0x3
	buffer_load_dword v0, v3, s[0:3], 0 offen
	buffer_load_dword v1, v3, s[0:3], 0 offen offset:4
	buffer_load_dword v2, v3, s[0:3], 0 offen offset:8
	;; [unrolled: 1-line block ×3, first 2 shown]
	s_cmp_lt_i32 s57, 51
	s_waitcnt vmcnt(0)
	ds_write2_b64 v4, v[0:1], v[2:3] offset1:1
	s_waitcnt lgkmcnt(0)
	s_barrier
	buffer_gl0_inv
	ds_read2_b64 v[0:3], v12 offset0:98 offset1:99
	v_mov_b32_e32 v4, 49
	s_cbranch_scc1 .LBB122_1161
; %bb.1159:
	v_add3_u32 v10, v14, 0, 0x320
	v_mov_b32_e32 v4, 49
	s_mov_b32 s16, 50
	s_inst_prefetch 0x1
	.p2align	6
.LBB122_1160:                           ; =>This Inner Loop Header: Depth=1
	s_waitcnt lgkmcnt(0)
	v_cmp_gt_f64_e32 vcc_lo, 0, v[2:3]
	v_cmp_gt_f64_e64 s4, 0, v[0:1]
	ds_read2_b64 v[15:18], v10 offset1:1
	v_xor_b32_e32 v20, 0x80000000, v1
	v_xor_b32_e32 v22, 0x80000000, v3
	v_mov_b32_e32 v19, v0
	v_mov_b32_e32 v21, v2
	v_add_nc_u32_e32 v10, 16, v10
	s_waitcnt lgkmcnt(0)
	v_xor_b32_e32 v24, 0x80000000, v18
	v_cndmask_b32_e64 v20, v1, v20, s4
	v_cndmask_b32_e32 v22, v3, v22, vcc_lo
	v_cmp_gt_f64_e32 vcc_lo, 0, v[17:18]
	v_cmp_gt_f64_e64 s4, 0, v[15:16]
	v_mov_b32_e32 v23, v17
	v_add_f64 v[19:20], v[19:20], v[21:22]
	v_xor_b32_e32 v22, 0x80000000, v16
	v_mov_b32_e32 v21, v15
	v_cndmask_b32_e32 v24, v18, v24, vcc_lo
	v_cndmask_b32_e64 v22, v16, v22, s4
	v_add_f64 v[21:22], v[21:22], v[23:24]
	v_cmp_lt_f64_e32 vcc_lo, v[19:20], v[21:22]
	v_cndmask_b32_e32 v1, v1, v16, vcc_lo
	v_cndmask_b32_e32 v0, v0, v15, vcc_lo
	;; [unrolled: 1-line block ×4, first 2 shown]
	v_cndmask_b32_e64 v4, v4, s16, vcc_lo
	s_add_i32 s16, s16, 1
	s_cmp_lg_u32 s57, s16
	s_cbranch_scc1 .LBB122_1160
.LBB122_1161:
	s_inst_prefetch 0x2
	s_waitcnt lgkmcnt(0)
	v_cmp_eq_f64_e32 vcc_lo, 0, v[0:1]
	v_cmp_eq_f64_e64 s4, 0, v[2:3]
	s_and_b32 s4, vcc_lo, s4
	s_and_saveexec_b32 s16, s4
	s_xor_b32 s4, exec_lo, s16
; %bb.1162:
	v_cmp_ne_u32_e32 vcc_lo, 0, v13
	v_cndmask_b32_e32 v13, 50, v13, vcc_lo
; %bb.1163:
	s_andn2_saveexec_b32 s4, s4
	s_cbranch_execz .LBB122_1169
; %bb.1164:
	v_cmp_ngt_f64_e64 s16, |v[0:1]|, |v[2:3]|
	s_and_saveexec_b32 s17, s16
	s_xor_b32 s16, exec_lo, s17
	s_cbranch_execz .LBB122_1166
; %bb.1165:
	v_div_scale_f64 v[15:16], null, v[2:3], v[2:3], v[0:1]
	v_div_scale_f64 v[21:22], vcc_lo, v[0:1], v[2:3], v[0:1]
	v_rcp_f64_e32 v[17:18], v[15:16]
	v_fma_f64 v[19:20], -v[15:16], v[17:18], 1.0
	v_fma_f64 v[17:18], v[17:18], v[19:20], v[17:18]
	v_fma_f64 v[19:20], -v[15:16], v[17:18], 1.0
	v_fma_f64 v[17:18], v[17:18], v[19:20], v[17:18]
	v_mul_f64 v[19:20], v[21:22], v[17:18]
	v_fma_f64 v[15:16], -v[15:16], v[19:20], v[21:22]
	v_div_fmas_f64 v[15:16], v[15:16], v[17:18], v[19:20]
	v_div_fixup_f64 v[15:16], v[15:16], v[2:3], v[0:1]
	v_fma_f64 v[0:1], v[0:1], v[15:16], v[2:3]
	v_div_scale_f64 v[2:3], null, v[0:1], v[0:1], 1.0
	v_rcp_f64_e32 v[17:18], v[2:3]
	v_fma_f64 v[19:20], -v[2:3], v[17:18], 1.0
	v_fma_f64 v[17:18], v[17:18], v[19:20], v[17:18]
	v_fma_f64 v[19:20], -v[2:3], v[17:18], 1.0
	v_fma_f64 v[17:18], v[17:18], v[19:20], v[17:18]
	v_div_scale_f64 v[19:20], vcc_lo, 1.0, v[0:1], 1.0
	v_mul_f64 v[21:22], v[19:20], v[17:18]
	v_fma_f64 v[2:3], -v[2:3], v[21:22], v[19:20]
	v_div_fmas_f64 v[2:3], v[2:3], v[17:18], v[21:22]
	v_div_fixup_f64 v[2:3], v[2:3], v[0:1], 1.0
	v_mul_f64 v[0:1], v[15:16], v[2:3]
	v_xor_b32_e32 v3, 0x80000000, v3
.LBB122_1166:
	s_andn2_saveexec_b32 s16, s16
	s_cbranch_execz .LBB122_1168
; %bb.1167:
	v_div_scale_f64 v[15:16], null, v[0:1], v[0:1], v[2:3]
	v_div_scale_f64 v[21:22], vcc_lo, v[2:3], v[0:1], v[2:3]
	v_rcp_f64_e32 v[17:18], v[15:16]
	v_fma_f64 v[19:20], -v[15:16], v[17:18], 1.0
	v_fma_f64 v[17:18], v[17:18], v[19:20], v[17:18]
	v_fma_f64 v[19:20], -v[15:16], v[17:18], 1.0
	v_fma_f64 v[17:18], v[17:18], v[19:20], v[17:18]
	v_mul_f64 v[19:20], v[21:22], v[17:18]
	v_fma_f64 v[15:16], -v[15:16], v[19:20], v[21:22]
	v_div_fmas_f64 v[15:16], v[15:16], v[17:18], v[19:20]
	v_div_fixup_f64 v[15:16], v[15:16], v[0:1], v[2:3]
	v_fma_f64 v[0:1], v[2:3], v[15:16], v[0:1]
	v_div_scale_f64 v[2:3], null, v[0:1], v[0:1], 1.0
	v_rcp_f64_e32 v[17:18], v[2:3]
	v_fma_f64 v[19:20], -v[2:3], v[17:18], 1.0
	v_fma_f64 v[17:18], v[17:18], v[19:20], v[17:18]
	v_fma_f64 v[19:20], -v[2:3], v[17:18], 1.0
	v_fma_f64 v[17:18], v[17:18], v[19:20], v[17:18]
	v_div_scale_f64 v[19:20], vcc_lo, 1.0, v[0:1], 1.0
	v_mul_f64 v[21:22], v[19:20], v[17:18]
	v_fma_f64 v[2:3], -v[2:3], v[21:22], v[19:20]
	v_div_fmas_f64 v[2:3], v[2:3], v[17:18], v[21:22]
	v_div_fixup_f64 v[0:1], v[2:3], v[0:1], 1.0
	v_mul_f64 v[2:3], v[15:16], -v[0:1]
.LBB122_1168:
	s_or_b32 exec_lo, exec_lo, s16
.LBB122_1169:
	s_or_b32 exec_lo, exec_lo, s4
	s_mov_b32 s4, exec_lo
	v_cmpx_ne_u32_e64 v11, v4
	s_xor_b32 s4, exec_lo, s4
	s_cbranch_execz .LBB122_1175
; %bb.1170:
	s_mov_b32 s16, exec_lo
	v_cmpx_eq_u32_e32 49, v11
	s_cbranch_execz .LBB122_1174
; %bb.1171:
	v_cmp_ne_u32_e32 vcc_lo, 49, v4
	s_xor_b32 s17, s20, -1
	s_and_b32 s56, s17, vcc_lo
	s_and_saveexec_b32 s17, s56
	s_cbranch_execz .LBB122_1173
; %bb.1172:
	v_ashrrev_i32_e32 v5, 31, v4
	v_lshlrev_b64 v[10:11], 2, v[4:5]
	v_add_co_u32 v10, vcc_lo, v8, v10
	v_add_co_ci_u32_e64 v11, null, v9, v11, vcc_lo
	s_clause 0x1
	global_load_dword v5, v[10:11], off
	global_load_dword v15, v[8:9], off offset:196
	s_waitcnt vmcnt(1)
	global_store_dword v[8:9], v5, off offset:196
	s_waitcnt vmcnt(0)
	global_store_dword v[10:11], v15, off
.LBB122_1173:
	s_or_b32 exec_lo, exec_lo, s17
	v_mov_b32_e32 v11, v4
	v_mov_b32_e32 v5, v4
.LBB122_1174:
	s_or_b32 exec_lo, exec_lo, s16
.LBB122_1175:
	s_andn2_saveexec_b32 s4, s4
	s_cbranch_execz .LBB122_1177
; %bb.1176:
	v_mov_b32_e32 v4, s29
	v_mov_b32_e32 v11, s27
	;; [unrolled: 1-line block ×3, first 2 shown]
	s_clause 0x7
	buffer_load_dword v15, v4, s[0:3], 0 offen
	buffer_load_dword v16, v4, s[0:3], 0 offen offset:4
	buffer_load_dword v17, v4, s[0:3], 0 offen offset:8
	buffer_load_dword v18, v4, s[0:3], 0 offen offset:12
	buffer_load_dword v19, v10, s[0:3], 0 offen
	buffer_load_dword v20, v10, s[0:3], 0 offen offset:4
	buffer_load_dword v21, v10, s[0:3], 0 offen offset:8
	buffer_load_dword v22, v10, s[0:3], 0 offen offset:12
	v_mov_b32_e32 v4, s26
	v_mov_b32_e32 v10, s25
	s_clause 0x7
	buffer_load_dword v23, v11, s[0:3], 0 offen
	buffer_load_dword v24, v11, s[0:3], 0 offen offset:4
	buffer_load_dword v25, v11, s[0:3], 0 offen offset:8
	buffer_load_dword v26, v11, s[0:3], 0 offen offset:12
	buffer_load_dword v27, v4, s[0:3], 0 offen
	buffer_load_dword v28, v4, s[0:3], 0 offen offset:4
	buffer_load_dword v29, v4, s[0:3], 0 offen offset:8
	buffer_load_dword v30, v4, s[0:3], 0 offen offset:12
	v_mov_b32_e32 v11, s23
	v_mov_b32_e32 v4, s24
	;; [unrolled: 11-line block ×4, first 2 shown]
	s_clause 0x7
	buffer_load_dword v47, v10, s[0:3], 0 offen
	buffer_load_dword v48, v10, s[0:3], 0 offen offset:4
	buffer_load_dword v49, v10, s[0:3], 0 offen offset:8
	;; [unrolled: 1-line block ×3, first 2 shown]
	buffer_load_dword v51, v4, s[0:3], 0 offen
	buffer_load_dword v52, v4, s[0:3], 0 offen offset:4
	buffer_load_dword v53, v4, s[0:3], 0 offen offset:8
	buffer_load_dword v54, v4, s[0:3], 0 offen offset:12
	v_mov_b32_e32 v4, s5
	s_clause 0x7
	buffer_load_dword v55, v11, s[0:3], 0 offen
	buffer_load_dword v56, v11, s[0:3], 0 offen offset:4
	buffer_load_dword v57, v11, s[0:3], 0 offen offset:8
	;; [unrolled: 1-line block ×3, first 2 shown]
	buffer_load_dword v59, v4, s[0:3], 0 offen
	buffer_load_dword v60, v4, s[0:3], 0 offen offset:4
	buffer_load_dword v61, v4, s[0:3], 0 offen offset:8
	;; [unrolled: 1-line block ×3, first 2 shown]
	v_mov_b32_e32 v11, 49
	s_waitcnt vmcnt(44)
	ds_write2_b64 v12, v[15:16], v[17:18] offset0:100 offset1:101
	s_waitcnt vmcnt(40)
	ds_write2_b64 v12, v[19:20], v[21:22] offset0:102 offset1:103
	;; [unrolled: 2-line block ×12, first 2 shown]
.LBB122_1177:
	s_or_b32 exec_lo, exec_lo, s4
	s_mov_b32 s4, exec_lo
	s_waitcnt lgkmcnt(0)
	s_waitcnt_vscnt null, 0x0
	s_barrier
	buffer_gl0_inv
	v_cmpx_lt_i32_e32 49, v11
	s_cbranch_execz .LBB122_1179
; %bb.1178:
	s_clause 0x7
	buffer_load_dword v15, off, s[0:3], 0 offset:792
	buffer_load_dword v16, off, s[0:3], 0 offset:796
	buffer_load_dword v17, off, s[0:3], 0 offset:784
	buffer_load_dword v18, off, s[0:3], 0 offset:788
	buffer_load_dword v35, off, s[0:3], 0 offset:800
	buffer_load_dword v37, off, s[0:3], 0 offset:808
	buffer_load_dword v39, off, s[0:3], 0 offset:816
	buffer_load_dword v41, off, s[0:3], 0 offset:824
	s_waitcnt vmcnt(6)
	v_mul_f64 v[19:20], v[0:1], v[15:16]
	v_mul_f64 v[15:16], v[2:3], v[15:16]
	s_waitcnt vmcnt(4)
	v_fma_f64 v[43:44], v[2:3], v[17:18], v[19:20]
	v_fma_f64 v[45:46], v[0:1], v[17:18], -v[15:16]
	buffer_store_dword v43, off, s[0:3], 0 offset:792
	buffer_store_dword v44, off, s[0:3], 0 offset:796
	s_clause 0x15
	buffer_load_dword v36, off, s[0:3], 0 offset:804
	buffer_load_dword v38, off, s[0:3], 0 offset:812
	;; [unrolled: 1-line block ×22, first 2 shown]
	buffer_store_dword v45, off, s[0:3], 0 offset:784
	buffer_store_dword v46, off, s[0:3], 0 offset:788
	s_clause 0x19
	buffer_load_dword v65, off, s[0:3], 0 offset:784
	buffer_load_dword v66, off, s[0:3], 0 offset:788
	;; [unrolled: 1-line block ×26, first 2 shown]
	ds_read2_b64 v[0:3], v12 offset0:100 offset1:101
	ds_read2_b64 v[15:18], v12 offset0:102 offset1:103
	ds_read2_b64 v[19:22], v12 offset0:104 offset1:105
	ds_read2_b64 v[23:26], v12 offset0:106 offset1:107
	ds_read2_b64 v[27:30], v12 offset0:108 offset1:109
	ds_read2_b64 v[31:34], v12 offset0:110 offset1:111
	s_waitcnt lgkmcnt(5)
	v_mul_f64 v[91:92], v[2:3], v[43:44]
	v_mul_f64 v[93:94], v[0:1], v[43:44]
	s_waitcnt lgkmcnt(3)
	v_mul_f64 v[99:100], v[21:22], v[43:44]
	v_mul_f64 v[101:102], v[19:20], v[43:44]
	v_mul_f64 v[95:96], v[17:18], v[43:44]
	v_mul_f64 v[97:98], v[15:16], v[43:44]
	s_waitcnt lgkmcnt(2)
	v_mul_f64 v[103:104], v[25:26], v[43:44]
	v_mul_f64 v[105:106], v[23:24], v[43:44]
	s_waitcnt lgkmcnt(1)
	v_mul_f64 v[107:108], v[29:30], v[43:44]
	v_mul_f64 v[109:110], v[27:28], v[43:44]
	;; [unrolled: 3-line block ×3, first 2 shown]
	v_fma_f64 v[91:92], v[0:1], v[45:46], -v[91:92]
	v_fma_f64 v[93:94], v[2:3], v[45:46], v[93:94]
	v_fma_f64 v[99:100], v[19:20], v[45:46], -v[99:100]
	v_fma_f64 v[101:102], v[21:22], v[45:46], v[101:102]
	ds_read2_b64 v[0:3], v12 offset0:112 offset1:113
	v_fma_f64 v[95:96], v[15:16], v[45:46], -v[95:96]
	v_fma_f64 v[97:98], v[17:18], v[45:46], v[97:98]
	ds_read2_b64 v[15:18], v12 offset0:114 offset1:115
	ds_read2_b64 v[19:22], v12 offset0:116 offset1:117
	v_fma_f64 v[103:104], v[23:24], v[45:46], -v[103:104]
	v_fma_f64 v[105:106], v[25:26], v[45:46], v[105:106]
	v_fma_f64 v[43:44], v[33:34], v[45:46], v[43:44]
	v_fma_f64 v[107:108], v[27:28], v[45:46], -v[107:108]
	v_fma_f64 v[109:110], v[29:30], v[45:46], v[109:110]
	v_fma_f64 v[111:112], v[31:32], v[45:46], -v[111:112]
	ds_read2_b64 v[23:26], v12 offset0:118 offset1:119
	ds_read2_b64 v[27:30], v12 offset0:120 offset1:121
	;; [unrolled: 1-line block ×3, first 2 shown]
	s_waitcnt vmcnt(47)
	v_add_f64 v[35:36], v[35:36], -v[91:92]
	s_waitcnt vmcnt(46)
	v_add_f64 v[37:38], v[37:38], -v[93:94]
	;; [unrolled: 2-line block ×4, first 2 shown]
	s_waitcnt vmcnt(42) lgkmcnt(5)
	v_mul_f64 v[91:92], v[0:1], v[47:48]
	s_waitcnt lgkmcnt(4)
	v_mul_f64 v[93:94], v[17:18], v[47:48]
	s_waitcnt vmcnt(40)
	v_add_f64 v[45:46], v[49:50], -v[99:100]
	v_mul_f64 v[95:96], v[15:16], v[47:48]
	s_waitcnt vmcnt(38)
	v_add_f64 v[49:50], v[51:52], -v[101:102]
	v_mul_f64 v[51:52], v[2:3], v[47:48]
	s_waitcnt lgkmcnt(3)
	v_mul_f64 v[97:98], v[21:22], v[47:48]
	v_mul_f64 v[99:100], v[19:20], v[47:48]
	s_waitcnt lgkmcnt(2)
	v_mul_f64 v[101:102], v[23:24], v[47:48]
	s_waitcnt vmcnt(36)
	v_add_f64 v[53:54], v[53:54], -v[103:104]
	s_waitcnt lgkmcnt(1)
	v_mul_f64 v[103:104], v[27:28], v[47:48]
	s_waitcnt vmcnt(34)
	v_add_f64 v[55:56], v[55:56], -v[105:106]
	s_waitcnt vmcnt(32)
	v_add_f64 v[57:58], v[57:58], -v[107:108]
	;; [unrolled: 2-line block ×5, first 2 shown]
	v_mul_f64 v[63:64], v[25:26], v[47:48]
	buffer_store_dword v35, off, s[0:3], 0 offset:800
	buffer_store_dword v36, off, s[0:3], 0 offset:804
	v_mul_f64 v[35:36], v[29:30], v[47:48]
	buffer_store_dword v37, off, s[0:3], 0 offset:808
	buffer_store_dword v38, off, s[0:3], 0 offset:812
	s_waitcnt lgkmcnt(0)
	v_mul_f64 v[37:38], v[33:34], v[47:48]
	v_mul_f64 v[47:48], v[31:32], v[47:48]
	s_waitcnt vmcnt(24)
	v_fma_f64 v[2:3], v[2:3], v[65:66], v[91:92]
	v_fma_f64 v[15:16], v[15:16], v[65:66], -v[93:94]
	v_fma_f64 v[0:1], v[0:1], v[65:66], -v[51:52]
	v_fma_f64 v[17:18], v[17:18], v[65:66], v[95:96]
	v_fma_f64 v[19:20], v[19:20], v[65:66], -v[97:98]
	v_fma_f64 v[21:22], v[21:22], v[65:66], v[99:100]
	v_fma_f64 v[25:26], v[25:26], v[65:66], v[101:102]
	v_fma_f64 v[29:30], v[29:30], v[65:66], v[103:104]
	buffer_store_dword v39, off, s[0:3], 0 offset:816
	buffer_store_dword v40, off, s[0:3], 0 offset:820
	;; [unrolled: 1-line block ×6, first 2 shown]
	v_fma_f64 v[23:24], v[23:24], v[65:66], -v[63:64]
	buffer_store_dword v49, off, s[0:3], 0 offset:840
	buffer_store_dword v50, off, s[0:3], 0 offset:844
	v_fma_f64 v[27:28], v[27:28], v[65:66], -v[35:36]
	buffer_store_dword v54, off, s[0:3], 0 offset:852
	buffer_store_dword v53, off, s[0:3], 0 offset:848
	v_fma_f64 v[31:32], v[31:32], v[65:66], -v[37:38]
	v_fma_f64 v[33:34], v[33:34], v[65:66], v[47:48]
	s_waitcnt vmcnt(16)
	v_add_f64 v[2:3], v[73:74], -v[2:3]
	v_add_f64 v[15:16], v[69:70], -v[15:16]
	;; [unrolled: 1-line block ×4, first 2 shown]
	s_waitcnt vmcnt(14)
	v_add_f64 v[19:20], v[75:76], -v[19:20]
	s_waitcnt vmcnt(12)
	v_add_f64 v[21:22], v[77:78], -v[21:22]
	;; [unrolled: 2-line block ×4, first 2 shown]
	buffer_store_dword v56, off, s[0:3], 0 offset:860
	buffer_store_dword v55, off, s[0:3], 0 offset:856
	;; [unrolled: 1-line block ×6, first 2 shown]
	v_add_f64 v[23:24], v[79:80], -v[23:24]
	buffer_store_dword v62, off, s[0:3], 0 offset:884
	buffer_store_dword v61, off, s[0:3], 0 offset:880
	v_add_f64 v[27:28], v[83:84], -v[27:28]
	buffer_store_dword v44, off, s[0:3], 0 offset:892
	buffer_store_dword v43, off, s[0:3], 0 offset:888
	s_waitcnt vmcnt(2)
	v_add_f64 v[31:32], v[87:88], -v[31:32]
	s_waitcnt vmcnt(0)
	v_add_f64 v[33:34], v[89:90], -v[33:34]
	buffer_store_dword v1, off, s[0:3], 0 offset:900
	buffer_store_dword v0, off, s[0:3], 0 offset:896
	;; [unrolled: 1-line block ×24, first 2 shown]
.LBB122_1179:
	s_or_b32 exec_lo, exec_lo, s4
	v_mov_b32_e32 v3, s29
	s_waitcnt_vscnt null, 0x0
	s_barrier
	buffer_gl0_inv
	v_lshl_add_u32 v4, v11, 4, v12
	s_clause 0x3
	buffer_load_dword v0, v3, s[0:3], 0 offen
	buffer_load_dword v1, v3, s[0:3], 0 offen offset:4
	buffer_load_dword v2, v3, s[0:3], 0 offen offset:8
	;; [unrolled: 1-line block ×3, first 2 shown]
	s_cmp_lt_i32 s57, 52
	s_waitcnt vmcnt(0)
	ds_write2_b64 v4, v[0:1], v[2:3] offset1:1
	s_waitcnt lgkmcnt(0)
	s_barrier
	buffer_gl0_inv
	ds_read2_b64 v[0:3], v12 offset0:100 offset1:101
	v_mov_b32_e32 v4, 50
	s_cbranch_scc1 .LBB122_1182
; %bb.1180:
	v_add3_u32 v10, v14, 0, 0x330
	v_mov_b32_e32 v4, 50
	s_mov_b32 s16, 51
	s_inst_prefetch 0x1
	.p2align	6
.LBB122_1181:                           ; =>This Inner Loop Header: Depth=1
	s_waitcnt lgkmcnt(0)
	v_cmp_gt_f64_e32 vcc_lo, 0, v[2:3]
	v_cmp_gt_f64_e64 s4, 0, v[0:1]
	ds_read2_b64 v[15:18], v10 offset1:1
	v_xor_b32_e32 v20, 0x80000000, v1
	v_xor_b32_e32 v22, 0x80000000, v3
	v_mov_b32_e32 v19, v0
	v_mov_b32_e32 v21, v2
	v_add_nc_u32_e32 v10, 16, v10
	s_waitcnt lgkmcnt(0)
	v_xor_b32_e32 v24, 0x80000000, v18
	v_cndmask_b32_e64 v20, v1, v20, s4
	v_cndmask_b32_e32 v22, v3, v22, vcc_lo
	v_cmp_gt_f64_e32 vcc_lo, 0, v[17:18]
	v_cmp_gt_f64_e64 s4, 0, v[15:16]
	v_mov_b32_e32 v23, v17
	v_add_f64 v[19:20], v[19:20], v[21:22]
	v_xor_b32_e32 v22, 0x80000000, v16
	v_mov_b32_e32 v21, v15
	v_cndmask_b32_e32 v24, v18, v24, vcc_lo
	v_cndmask_b32_e64 v22, v16, v22, s4
	v_add_f64 v[21:22], v[21:22], v[23:24]
	v_cmp_lt_f64_e32 vcc_lo, v[19:20], v[21:22]
	v_cndmask_b32_e32 v1, v1, v16, vcc_lo
	v_cndmask_b32_e32 v0, v0, v15, vcc_lo
	;; [unrolled: 1-line block ×4, first 2 shown]
	v_cndmask_b32_e64 v4, v4, s16, vcc_lo
	s_add_i32 s16, s16, 1
	s_cmp_lg_u32 s57, s16
	s_cbranch_scc1 .LBB122_1181
.LBB122_1182:
	s_inst_prefetch 0x2
	s_waitcnt lgkmcnt(0)
	v_cmp_eq_f64_e32 vcc_lo, 0, v[0:1]
	v_cmp_eq_f64_e64 s4, 0, v[2:3]
	s_and_b32 s4, vcc_lo, s4
	s_and_saveexec_b32 s16, s4
	s_xor_b32 s4, exec_lo, s16
; %bb.1183:
	v_cmp_ne_u32_e32 vcc_lo, 0, v13
	v_cndmask_b32_e32 v13, 51, v13, vcc_lo
; %bb.1184:
	s_andn2_saveexec_b32 s4, s4
	s_cbranch_execz .LBB122_1190
; %bb.1185:
	v_cmp_ngt_f64_e64 s16, |v[0:1]|, |v[2:3]|
	s_and_saveexec_b32 s17, s16
	s_xor_b32 s16, exec_lo, s17
	s_cbranch_execz .LBB122_1187
; %bb.1186:
	v_div_scale_f64 v[15:16], null, v[2:3], v[2:3], v[0:1]
	v_div_scale_f64 v[21:22], vcc_lo, v[0:1], v[2:3], v[0:1]
	v_rcp_f64_e32 v[17:18], v[15:16]
	v_fma_f64 v[19:20], -v[15:16], v[17:18], 1.0
	v_fma_f64 v[17:18], v[17:18], v[19:20], v[17:18]
	v_fma_f64 v[19:20], -v[15:16], v[17:18], 1.0
	v_fma_f64 v[17:18], v[17:18], v[19:20], v[17:18]
	v_mul_f64 v[19:20], v[21:22], v[17:18]
	v_fma_f64 v[15:16], -v[15:16], v[19:20], v[21:22]
	v_div_fmas_f64 v[15:16], v[15:16], v[17:18], v[19:20]
	v_div_fixup_f64 v[15:16], v[15:16], v[2:3], v[0:1]
	v_fma_f64 v[0:1], v[0:1], v[15:16], v[2:3]
	v_div_scale_f64 v[2:3], null, v[0:1], v[0:1], 1.0
	v_rcp_f64_e32 v[17:18], v[2:3]
	v_fma_f64 v[19:20], -v[2:3], v[17:18], 1.0
	v_fma_f64 v[17:18], v[17:18], v[19:20], v[17:18]
	v_fma_f64 v[19:20], -v[2:3], v[17:18], 1.0
	v_fma_f64 v[17:18], v[17:18], v[19:20], v[17:18]
	v_div_scale_f64 v[19:20], vcc_lo, 1.0, v[0:1], 1.0
	v_mul_f64 v[21:22], v[19:20], v[17:18]
	v_fma_f64 v[2:3], -v[2:3], v[21:22], v[19:20]
	v_div_fmas_f64 v[2:3], v[2:3], v[17:18], v[21:22]
	v_div_fixup_f64 v[2:3], v[2:3], v[0:1], 1.0
	v_mul_f64 v[0:1], v[15:16], v[2:3]
	v_xor_b32_e32 v3, 0x80000000, v3
.LBB122_1187:
	s_andn2_saveexec_b32 s16, s16
	s_cbranch_execz .LBB122_1189
; %bb.1188:
	v_div_scale_f64 v[15:16], null, v[0:1], v[0:1], v[2:3]
	v_div_scale_f64 v[21:22], vcc_lo, v[2:3], v[0:1], v[2:3]
	v_rcp_f64_e32 v[17:18], v[15:16]
	v_fma_f64 v[19:20], -v[15:16], v[17:18], 1.0
	v_fma_f64 v[17:18], v[17:18], v[19:20], v[17:18]
	v_fma_f64 v[19:20], -v[15:16], v[17:18], 1.0
	v_fma_f64 v[17:18], v[17:18], v[19:20], v[17:18]
	v_mul_f64 v[19:20], v[21:22], v[17:18]
	v_fma_f64 v[15:16], -v[15:16], v[19:20], v[21:22]
	v_div_fmas_f64 v[15:16], v[15:16], v[17:18], v[19:20]
	v_div_fixup_f64 v[15:16], v[15:16], v[0:1], v[2:3]
	v_fma_f64 v[0:1], v[2:3], v[15:16], v[0:1]
	v_div_scale_f64 v[2:3], null, v[0:1], v[0:1], 1.0
	v_rcp_f64_e32 v[17:18], v[2:3]
	v_fma_f64 v[19:20], -v[2:3], v[17:18], 1.0
	v_fma_f64 v[17:18], v[17:18], v[19:20], v[17:18]
	v_fma_f64 v[19:20], -v[2:3], v[17:18], 1.0
	v_fma_f64 v[17:18], v[17:18], v[19:20], v[17:18]
	v_div_scale_f64 v[19:20], vcc_lo, 1.0, v[0:1], 1.0
	v_mul_f64 v[21:22], v[19:20], v[17:18]
	v_fma_f64 v[2:3], -v[2:3], v[21:22], v[19:20]
	v_div_fmas_f64 v[2:3], v[2:3], v[17:18], v[21:22]
	v_div_fixup_f64 v[0:1], v[2:3], v[0:1], 1.0
	v_mul_f64 v[2:3], v[15:16], -v[0:1]
.LBB122_1189:
	s_or_b32 exec_lo, exec_lo, s16
.LBB122_1190:
	s_or_b32 exec_lo, exec_lo, s4
	s_mov_b32 s4, exec_lo
	v_cmpx_ne_u32_e64 v11, v4
	s_xor_b32 s4, exec_lo, s4
	s_cbranch_execz .LBB122_1196
; %bb.1191:
	s_mov_b32 s16, exec_lo
	v_cmpx_eq_u32_e32 50, v11
	s_cbranch_execz .LBB122_1195
; %bb.1192:
	v_cmp_ne_u32_e32 vcc_lo, 50, v4
	s_xor_b32 s17, s20, -1
	s_and_b32 s56, s17, vcc_lo
	s_and_saveexec_b32 s17, s56
	s_cbranch_execz .LBB122_1194
; %bb.1193:
	v_ashrrev_i32_e32 v5, 31, v4
	v_lshlrev_b64 v[10:11], 2, v[4:5]
	v_add_co_u32 v10, vcc_lo, v8, v10
	v_add_co_ci_u32_e64 v11, null, v9, v11, vcc_lo
	s_clause 0x1
	global_load_dword v5, v[10:11], off
	global_load_dword v15, v[8:9], off offset:200
	s_waitcnt vmcnt(1)
	global_store_dword v[8:9], v5, off offset:200
	s_waitcnt vmcnt(0)
	global_store_dword v[10:11], v15, off
.LBB122_1194:
	s_or_b32 exec_lo, exec_lo, s17
	v_mov_b32_e32 v11, v4
	v_mov_b32_e32 v5, v4
.LBB122_1195:
	s_or_b32 exec_lo, exec_lo, s16
.LBB122_1196:
	s_andn2_saveexec_b32 s4, s4
	s_cbranch_execz .LBB122_1198
; %bb.1197:
	v_mov_b32_e32 v4, s28
	v_mov_b32_e32 v10, s27
	;; [unrolled: 1-line block ×3, first 2 shown]
	s_clause 0x7
	buffer_load_dword v15, v4, s[0:3], 0 offen
	buffer_load_dword v16, v4, s[0:3], 0 offen offset:4
	buffer_load_dword v17, v4, s[0:3], 0 offen offset:8
	buffer_load_dword v18, v4, s[0:3], 0 offen offset:12
	buffer_load_dword v19, v10, s[0:3], 0 offen
	buffer_load_dword v20, v10, s[0:3], 0 offen offset:4
	buffer_load_dword v21, v10, s[0:3], 0 offen offset:8
	buffer_load_dword v22, v10, s[0:3], 0 offen offset:12
	v_mov_b32_e32 v10, s24
	v_mov_b32_e32 v4, s25
	s_clause 0x7
	buffer_load_dword v23, v11, s[0:3], 0 offen
	buffer_load_dword v24, v11, s[0:3], 0 offen offset:4
	buffer_load_dword v25, v11, s[0:3], 0 offen offset:8
	buffer_load_dword v26, v11, s[0:3], 0 offen offset:12
	buffer_load_dword v27, v4, s[0:3], 0 offen
	buffer_load_dword v28, v4, s[0:3], 0 offen offset:4
	buffer_load_dword v29, v4, s[0:3], 0 offen offset:8
	buffer_load_dword v30, v4, s[0:3], 0 offen offset:12
	v_mov_b32_e32 v4, s23
	v_mov_b32_e32 v11, s22
	;; [unrolled: 11-line block ×4, first 2 shown]
	s_clause 0xb
	buffer_load_dword v47, v10, s[0:3], 0 offen
	buffer_load_dword v48, v10, s[0:3], 0 offen offset:4
	buffer_load_dword v49, v10, s[0:3], 0 offen offset:8
	buffer_load_dword v50, v10, s[0:3], 0 offen offset:12
	buffer_load_dword v51, v4, s[0:3], 0 offen
	buffer_load_dword v52, v4, s[0:3], 0 offen offset:4
	buffer_load_dword v53, v4, s[0:3], 0 offen offset:8
	buffer_load_dword v54, v4, s[0:3], 0 offen offset:12
	;; [unrolled: 4-line block ×3, first 2 shown]
	v_mov_b32_e32 v11, 50
	s_waitcnt vmcnt(40)
	ds_write2_b64 v12, v[15:16], v[17:18] offset0:102 offset1:103
	s_waitcnt vmcnt(36)
	ds_write2_b64 v12, v[19:20], v[21:22] offset0:104 offset1:105
	s_waitcnt vmcnt(32)
	ds_write2_b64 v12, v[23:24], v[25:26] offset0:106 offset1:107
	s_waitcnt vmcnt(28)
	ds_write2_b64 v12, v[27:28], v[29:30] offset0:108 offset1:109
	s_waitcnt vmcnt(24)
	ds_write2_b64 v12, v[31:32], v[33:34] offset0:110 offset1:111
	s_waitcnt vmcnt(20)
	ds_write2_b64 v12, v[35:36], v[37:38] offset0:112 offset1:113
	s_waitcnt vmcnt(16)
	ds_write2_b64 v12, v[39:40], v[41:42] offset0:114 offset1:115
	s_waitcnt vmcnt(12)
	ds_write2_b64 v12, v[43:44], v[45:46] offset0:116 offset1:117
	s_waitcnt vmcnt(8)
	ds_write2_b64 v12, v[47:48], v[49:50] offset0:118 offset1:119
	s_waitcnt vmcnt(4)
	ds_write2_b64 v12, v[51:52], v[53:54] offset0:120 offset1:121
	s_waitcnt vmcnt(0)
	ds_write2_b64 v12, v[55:56], v[57:58] offset0:122 offset1:123
.LBB122_1198:
	s_or_b32 exec_lo, exec_lo, s4
	s_mov_b32 s4, exec_lo
	s_waitcnt lgkmcnt(0)
	s_waitcnt_vscnt null, 0x0
	s_barrier
	buffer_gl0_inv
	v_cmpx_lt_i32_e32 50, v11
	s_cbranch_execz .LBB122_1200
; %bb.1199:
	s_clause 0x7
	buffer_load_dword v15, off, s[0:3], 0 offset:808
	buffer_load_dword v16, off, s[0:3], 0 offset:812
	;; [unrolled: 1-line block ×8, first 2 shown]
	s_waitcnt vmcnt(6)
	v_mul_f64 v[19:20], v[0:1], v[15:16]
	v_mul_f64 v[15:16], v[2:3], v[15:16]
	s_waitcnt vmcnt(4)
	v_fma_f64 v[35:36], v[2:3], v[17:18], v[19:20]
	v_fma_f64 v[47:48], v[0:1], v[17:18], -v[15:16]
	buffer_store_dword v35, off, s[0:3], 0 offset:808
	buffer_store_dword v36, off, s[0:3], 0 offset:812
	s_clause 0xd
	buffer_load_dword v42, off, s[0:3], 0 offset:828
	buffer_load_dword v44, off, s[0:3], 0 offset:836
	;; [unrolled: 1-line block ×14, first 2 shown]
	buffer_store_dword v47, off, s[0:3], 0 offset:800
	buffer_store_dword v48, off, s[0:3], 0 offset:804
	s_clause 0x1d
	buffer_load_dword v59, off, s[0:3], 0 offset:880
	buffer_load_dword v60, off, s[0:3], 0 offset:884
	;; [unrolled: 1-line block ×30, first 2 shown]
	ds_read2_b64 v[0:3], v12 offset0:102 offset1:103
	ds_read2_b64 v[15:18], v12 offset0:104 offset1:105
	;; [unrolled: 1-line block ×6, first 2 shown]
	s_waitcnt lgkmcnt(5)
	v_mul_f64 v[37:38], v[2:3], v[35:36]
	v_mul_f64 v[89:90], v[0:1], v[35:36]
	s_waitcnt lgkmcnt(4)
	v_mul_f64 v[91:92], v[17:18], v[35:36]
	v_mul_f64 v[93:94], v[15:16], v[35:36]
	;; [unrolled: 3-line block ×6, first 2 shown]
	v_fma_f64 v[111:112], v[0:1], v[47:48], -v[37:38]
	ds_read2_b64 v[35:38], v12 offset0:114 offset1:115
	v_fma_f64 v[89:90], v[2:3], v[47:48], v[89:90]
	v_fma_f64 v[91:92], v[15:16], v[47:48], -v[91:92]
	ds_read2_b64 v[0:3], v12 offset0:116 offset1:117
	v_fma_f64 v[93:94], v[17:18], v[47:48], v[93:94]
	;; [unrolled: 3-line block ×4, first 2 shown]
	ds_read2_b64 v[23:26], v12 offset0:122 offset1:123
	v_fma_f64 v[27:28], v[27:28], v[47:48], -v[103:104]
	v_fma_f64 v[29:30], v[29:30], v[47:48], v[105:106]
	v_fma_f64 v[31:32], v[31:32], v[47:48], -v[107:108]
	v_fma_f64 v[33:34], v[33:34], v[47:48], v[109:110]
	s_waitcnt vmcnt(28)
	v_add_f64 v[27:28], v[59:60], -v[27:28]
	s_waitcnt vmcnt(26)
	v_add_f64 v[29:30], v[61:62], -v[29:30]
	;; [unrolled: 2-line block ×4, first 2 shown]
	v_add_f64 v[41:42], v[41:42], -v[89:90]
	v_add_f64 v[43:44], v[43:44], -v[91:92]
	;; [unrolled: 1-line block ×3, first 2 shown]
	s_waitcnt lgkmcnt(4)
	v_mul_f64 v[47:48], v[37:38], v[49:50]
	v_mul_f64 v[103:104], v[35:36], v[49:50]
	s_waitcnt lgkmcnt(3)
	v_mul_f64 v[89:90], v[2:3], v[49:50]
	v_mul_f64 v[91:92], v[0:1], v[49:50]
	s_waitcnt lgkmcnt(2)
	v_mul_f64 v[93:94], v[17:18], v[49:50]
	v_add_f64 v[51:52], v[51:52], -v[95:96]
	v_mul_f64 v[95:96], v[15:16], v[49:50]
	v_add_f64 v[53:54], v[53:54], -v[97:98]
	s_waitcnt lgkmcnt(1)
	v_mul_f64 v[97:98], v[21:22], v[49:50]
	v_add_f64 v[55:56], v[55:56], -v[99:100]
	v_mul_f64 v[99:100], v[19:20], v[49:50]
	v_add_f64 v[57:58], v[57:58], -v[101:102]
	s_waitcnt lgkmcnt(0)
	v_mul_f64 v[101:102], v[25:26], v[49:50]
	v_mul_f64 v[49:50], v[23:24], v[49:50]
	v_add_f64 v[39:40], v[39:40], -v[111:112]
	buffer_store_dword v41, off, s[0:3], 0 offset:824
	buffer_store_dword v42, off, s[0:3], 0 offset:828
	;; [unrolled: 1-line block ×4, first 2 shown]
	s_waitcnt vmcnt(20)
	v_fma_f64 v[35:36], v[35:36], v[67:68], -v[47:48]
	v_fma_f64 v[37:38], v[37:38], v[67:68], v[103:104]
	v_fma_f64 v[0:1], v[0:1], v[67:68], -v[89:90]
	v_fma_f64 v[2:3], v[2:3], v[67:68], v[91:92]
	v_fma_f64 v[15:16], v[15:16], v[67:68], -v[93:94]
	buffer_store_dword v45, off, s[0:3], 0 offset:840
	v_fma_f64 v[17:18], v[17:18], v[67:68], v[95:96]
	buffer_store_dword v46, off, s[0:3], 0 offset:844
	v_fma_f64 v[19:20], v[19:20], v[67:68], -v[97:98]
	buffer_store_dword v52, off, s[0:3], 0 offset:852
	v_fma_f64 v[21:22], v[21:22], v[67:68], v[99:100]
	v_fma_f64 v[23:24], v[23:24], v[67:68], -v[101:102]
	v_fma_f64 v[25:26], v[25:26], v[67:68], v[49:50]
	buffer_store_dword v39, off, s[0:3], 0 offset:816
	buffer_store_dword v40, off, s[0:3], 0 offset:820
	buffer_store_dword v51, off, s[0:3], 0 offset:848
	buffer_store_dword v53, off, s[0:3], 0 offset:856
	buffer_store_dword v54, off, s[0:3], 0 offset:860
	buffer_store_dword v56, off, s[0:3], 0 offset:868
	buffer_store_dword v55, off, s[0:3], 0 offset:864
	buffer_store_dword v58, off, s[0:3], 0 offset:876
	buffer_store_dword v57, off, s[0:3], 0 offset:872
	buffer_store_dword v28, off, s[0:3], 0 offset:884
	s_waitcnt vmcnt(13)
	v_add_f64 v[35:36], v[69:70], -v[35:36]
	s_waitcnt vmcnt(12)
	v_add_f64 v[37:38], v[75:76], -v[37:38]
	v_add_f64 v[0:1], v[71:72], -v[0:1]
	;; [unrolled: 1-line block ×3, first 2 shown]
	s_waitcnt vmcnt(10)
	v_add_f64 v[15:16], v[77:78], -v[15:16]
	buffer_store_dword v27, off, s[0:3], 0 offset:880
	s_waitcnt vmcnt(8)
	v_add_f64 v[17:18], v[79:80], -v[17:18]
	buffer_store_dword v30, off, s[0:3], 0 offset:892
	;; [unrolled: 3-line block ×4, first 2 shown]
	s_waitcnt vmcnt(2)
	v_add_f64 v[23:24], v[85:86], -v[23:24]
	s_waitcnt vmcnt(0)
	v_add_f64 v[25:26], v[87:88], -v[25:26]
	buffer_store_dword v31, off, s[0:3], 0 offset:896
	buffer_store_dword v34, off, s[0:3], 0 offset:908
	;; [unrolled: 1-line block ×23, first 2 shown]
.LBB122_1200:
	s_or_b32 exec_lo, exec_lo, s4
	v_mov_b32_e32 v3, s28
	s_waitcnt_vscnt null, 0x0
	s_barrier
	buffer_gl0_inv
	v_lshl_add_u32 v4, v11, 4, v12
	s_clause 0x3
	buffer_load_dword v0, v3, s[0:3], 0 offen
	buffer_load_dword v1, v3, s[0:3], 0 offen offset:4
	buffer_load_dword v2, v3, s[0:3], 0 offen offset:8
	;; [unrolled: 1-line block ×3, first 2 shown]
	s_cmp_lt_i32 s57, 53
	s_waitcnt vmcnt(0)
	ds_write2_b64 v4, v[0:1], v[2:3] offset1:1
	s_waitcnt lgkmcnt(0)
	s_barrier
	buffer_gl0_inv
	ds_read2_b64 v[0:3], v12 offset0:102 offset1:103
	v_mov_b32_e32 v4, 51
	s_cbranch_scc1 .LBB122_1203
; %bb.1201:
	v_add3_u32 v10, v14, 0, 0x340
	v_mov_b32_e32 v4, 51
	s_mov_b32 s16, 52
	s_inst_prefetch 0x1
	.p2align	6
.LBB122_1202:                           ; =>This Inner Loop Header: Depth=1
	s_waitcnt lgkmcnt(0)
	v_cmp_gt_f64_e32 vcc_lo, 0, v[2:3]
	v_cmp_gt_f64_e64 s4, 0, v[0:1]
	ds_read2_b64 v[15:18], v10 offset1:1
	v_xor_b32_e32 v20, 0x80000000, v1
	v_xor_b32_e32 v22, 0x80000000, v3
	v_mov_b32_e32 v19, v0
	v_mov_b32_e32 v21, v2
	v_add_nc_u32_e32 v10, 16, v10
	s_waitcnt lgkmcnt(0)
	v_xor_b32_e32 v24, 0x80000000, v18
	v_cndmask_b32_e64 v20, v1, v20, s4
	v_cndmask_b32_e32 v22, v3, v22, vcc_lo
	v_cmp_gt_f64_e32 vcc_lo, 0, v[17:18]
	v_cmp_gt_f64_e64 s4, 0, v[15:16]
	v_mov_b32_e32 v23, v17
	v_add_f64 v[19:20], v[19:20], v[21:22]
	v_xor_b32_e32 v22, 0x80000000, v16
	v_mov_b32_e32 v21, v15
	v_cndmask_b32_e32 v24, v18, v24, vcc_lo
	v_cndmask_b32_e64 v22, v16, v22, s4
	v_add_f64 v[21:22], v[21:22], v[23:24]
	v_cmp_lt_f64_e32 vcc_lo, v[19:20], v[21:22]
	v_cndmask_b32_e32 v1, v1, v16, vcc_lo
	v_cndmask_b32_e32 v0, v0, v15, vcc_lo
	;; [unrolled: 1-line block ×4, first 2 shown]
	v_cndmask_b32_e64 v4, v4, s16, vcc_lo
	s_add_i32 s16, s16, 1
	s_cmp_lg_u32 s57, s16
	s_cbranch_scc1 .LBB122_1202
.LBB122_1203:
	s_inst_prefetch 0x2
	s_waitcnt lgkmcnt(0)
	v_cmp_eq_f64_e32 vcc_lo, 0, v[0:1]
	v_cmp_eq_f64_e64 s4, 0, v[2:3]
	s_and_b32 s4, vcc_lo, s4
	s_and_saveexec_b32 s16, s4
	s_xor_b32 s4, exec_lo, s16
; %bb.1204:
	v_cmp_ne_u32_e32 vcc_lo, 0, v13
	v_cndmask_b32_e32 v13, 52, v13, vcc_lo
; %bb.1205:
	s_andn2_saveexec_b32 s4, s4
	s_cbranch_execz .LBB122_1211
; %bb.1206:
	v_cmp_ngt_f64_e64 s16, |v[0:1]|, |v[2:3]|
	s_and_saveexec_b32 s17, s16
	s_xor_b32 s16, exec_lo, s17
	s_cbranch_execz .LBB122_1208
; %bb.1207:
	v_div_scale_f64 v[15:16], null, v[2:3], v[2:3], v[0:1]
	v_div_scale_f64 v[21:22], vcc_lo, v[0:1], v[2:3], v[0:1]
	v_rcp_f64_e32 v[17:18], v[15:16]
	v_fma_f64 v[19:20], -v[15:16], v[17:18], 1.0
	v_fma_f64 v[17:18], v[17:18], v[19:20], v[17:18]
	v_fma_f64 v[19:20], -v[15:16], v[17:18], 1.0
	v_fma_f64 v[17:18], v[17:18], v[19:20], v[17:18]
	v_mul_f64 v[19:20], v[21:22], v[17:18]
	v_fma_f64 v[15:16], -v[15:16], v[19:20], v[21:22]
	v_div_fmas_f64 v[15:16], v[15:16], v[17:18], v[19:20]
	v_div_fixup_f64 v[15:16], v[15:16], v[2:3], v[0:1]
	v_fma_f64 v[0:1], v[0:1], v[15:16], v[2:3]
	v_div_scale_f64 v[2:3], null, v[0:1], v[0:1], 1.0
	v_rcp_f64_e32 v[17:18], v[2:3]
	v_fma_f64 v[19:20], -v[2:3], v[17:18], 1.0
	v_fma_f64 v[17:18], v[17:18], v[19:20], v[17:18]
	v_fma_f64 v[19:20], -v[2:3], v[17:18], 1.0
	v_fma_f64 v[17:18], v[17:18], v[19:20], v[17:18]
	v_div_scale_f64 v[19:20], vcc_lo, 1.0, v[0:1], 1.0
	v_mul_f64 v[21:22], v[19:20], v[17:18]
	v_fma_f64 v[2:3], -v[2:3], v[21:22], v[19:20]
	v_div_fmas_f64 v[2:3], v[2:3], v[17:18], v[21:22]
	v_div_fixup_f64 v[2:3], v[2:3], v[0:1], 1.0
	v_mul_f64 v[0:1], v[15:16], v[2:3]
	v_xor_b32_e32 v3, 0x80000000, v3
.LBB122_1208:
	s_andn2_saveexec_b32 s16, s16
	s_cbranch_execz .LBB122_1210
; %bb.1209:
	v_div_scale_f64 v[15:16], null, v[0:1], v[0:1], v[2:3]
	v_div_scale_f64 v[21:22], vcc_lo, v[2:3], v[0:1], v[2:3]
	v_rcp_f64_e32 v[17:18], v[15:16]
	v_fma_f64 v[19:20], -v[15:16], v[17:18], 1.0
	v_fma_f64 v[17:18], v[17:18], v[19:20], v[17:18]
	v_fma_f64 v[19:20], -v[15:16], v[17:18], 1.0
	v_fma_f64 v[17:18], v[17:18], v[19:20], v[17:18]
	v_mul_f64 v[19:20], v[21:22], v[17:18]
	v_fma_f64 v[15:16], -v[15:16], v[19:20], v[21:22]
	v_div_fmas_f64 v[15:16], v[15:16], v[17:18], v[19:20]
	v_div_fixup_f64 v[15:16], v[15:16], v[0:1], v[2:3]
	v_fma_f64 v[0:1], v[2:3], v[15:16], v[0:1]
	v_div_scale_f64 v[2:3], null, v[0:1], v[0:1], 1.0
	v_rcp_f64_e32 v[17:18], v[2:3]
	v_fma_f64 v[19:20], -v[2:3], v[17:18], 1.0
	v_fma_f64 v[17:18], v[17:18], v[19:20], v[17:18]
	v_fma_f64 v[19:20], -v[2:3], v[17:18], 1.0
	v_fma_f64 v[17:18], v[17:18], v[19:20], v[17:18]
	v_div_scale_f64 v[19:20], vcc_lo, 1.0, v[0:1], 1.0
	v_mul_f64 v[21:22], v[19:20], v[17:18]
	v_fma_f64 v[2:3], -v[2:3], v[21:22], v[19:20]
	v_div_fmas_f64 v[2:3], v[2:3], v[17:18], v[21:22]
	v_div_fixup_f64 v[0:1], v[2:3], v[0:1], 1.0
	v_mul_f64 v[2:3], v[15:16], -v[0:1]
.LBB122_1210:
	s_or_b32 exec_lo, exec_lo, s16
.LBB122_1211:
	s_or_b32 exec_lo, exec_lo, s4
	s_mov_b32 s4, exec_lo
	v_cmpx_ne_u32_e64 v11, v4
	s_xor_b32 s4, exec_lo, s4
	s_cbranch_execz .LBB122_1217
; %bb.1212:
	s_mov_b32 s16, exec_lo
	v_cmpx_eq_u32_e32 51, v11
	s_cbranch_execz .LBB122_1216
; %bb.1213:
	v_cmp_ne_u32_e32 vcc_lo, 51, v4
	s_xor_b32 s17, s20, -1
	s_and_b32 s56, s17, vcc_lo
	s_and_saveexec_b32 s17, s56
	s_cbranch_execz .LBB122_1215
; %bb.1214:
	v_ashrrev_i32_e32 v5, 31, v4
	v_lshlrev_b64 v[10:11], 2, v[4:5]
	v_add_co_u32 v10, vcc_lo, v8, v10
	v_add_co_ci_u32_e64 v11, null, v9, v11, vcc_lo
	s_clause 0x1
	global_load_dword v5, v[10:11], off
	global_load_dword v15, v[8:9], off offset:204
	s_waitcnt vmcnt(1)
	global_store_dword v[8:9], v5, off offset:204
	s_waitcnt vmcnt(0)
	global_store_dword v[10:11], v15, off
.LBB122_1215:
	s_or_b32 exec_lo, exec_lo, s17
	v_mov_b32_e32 v11, v4
	v_mov_b32_e32 v5, v4
.LBB122_1216:
	s_or_b32 exec_lo, exec_lo, s16
.LBB122_1217:
	s_andn2_saveexec_b32 s4, s4
	s_cbranch_execz .LBB122_1219
; %bb.1218:
	v_mov_b32_e32 v4, s27
	v_mov_b32_e32 v10, s26
	;; [unrolled: 1-line block ×3, first 2 shown]
	s_clause 0x7
	buffer_load_dword v15, v4, s[0:3], 0 offen
	buffer_load_dword v16, v4, s[0:3], 0 offen offset:4
	buffer_load_dword v17, v4, s[0:3], 0 offen offset:8
	buffer_load_dword v18, v4, s[0:3], 0 offen offset:12
	buffer_load_dword v19, v10, s[0:3], 0 offen
	buffer_load_dword v20, v10, s[0:3], 0 offen offset:4
	buffer_load_dword v21, v10, s[0:3], 0 offen offset:8
	buffer_load_dword v22, v10, s[0:3], 0 offen offset:12
	v_mov_b32_e32 v10, s23
	v_mov_b32_e32 v4, s24
	s_clause 0x7
	buffer_load_dword v23, v11, s[0:3], 0 offen
	buffer_load_dword v24, v11, s[0:3], 0 offen offset:4
	buffer_load_dword v25, v11, s[0:3], 0 offen offset:8
	buffer_load_dword v26, v11, s[0:3], 0 offen offset:12
	buffer_load_dword v27, v4, s[0:3], 0 offen
	buffer_load_dword v28, v4, s[0:3], 0 offen offset:4
	buffer_load_dword v29, v4, s[0:3], 0 offen offset:8
	buffer_load_dword v30, v4, s[0:3], 0 offen offset:12
	v_mov_b32_e32 v4, s22
	v_mov_b32_e32 v11, s19
	;; [unrolled: 11-line block ×3, first 2 shown]
	s_clause 0x7
	buffer_load_dword v39, v11, s[0:3], 0 offen
	buffer_load_dword v40, v11, s[0:3], 0 offen offset:4
	buffer_load_dword v41, v11, s[0:3], 0 offen offset:8
	;; [unrolled: 1-line block ×3, first 2 shown]
	buffer_load_dword v43, v4, s[0:3], 0 offen
	buffer_load_dword v44, v4, s[0:3], 0 offen offset:4
	buffer_load_dword v45, v4, s[0:3], 0 offen offset:8
	;; [unrolled: 1-line block ×3, first 2 shown]
	v_mov_b32_e32 v4, s5
	s_clause 0x7
	buffer_load_dword v47, v10, s[0:3], 0 offen
	buffer_load_dword v48, v10, s[0:3], 0 offen offset:4
	buffer_load_dword v49, v10, s[0:3], 0 offen offset:8
	;; [unrolled: 1-line block ×3, first 2 shown]
	buffer_load_dword v51, v4, s[0:3], 0 offen
	buffer_load_dword v52, v4, s[0:3], 0 offen offset:4
	buffer_load_dword v53, v4, s[0:3], 0 offen offset:8
	;; [unrolled: 1-line block ×3, first 2 shown]
	v_mov_b32_e32 v11, 51
	s_waitcnt vmcnt(36)
	ds_write2_b64 v12, v[15:16], v[17:18] offset0:104 offset1:105
	s_waitcnt vmcnt(32)
	ds_write2_b64 v12, v[19:20], v[21:22] offset0:106 offset1:107
	;; [unrolled: 2-line block ×10, first 2 shown]
.LBB122_1219:
	s_or_b32 exec_lo, exec_lo, s4
	s_mov_b32 s4, exec_lo
	s_waitcnt lgkmcnt(0)
	s_waitcnt_vscnt null, 0x0
	s_barrier
	buffer_gl0_inv
	v_cmpx_lt_i32_e32 51, v11
	s_cbranch_execz .LBB122_1221
; %bb.1220:
	s_clause 0x7
	buffer_load_dword v15, off, s[0:3], 0 offset:824
	buffer_load_dword v16, off, s[0:3], 0 offset:828
	;; [unrolled: 1-line block ×8, first 2 shown]
	s_waitcnt vmcnt(6)
	v_mul_f64 v[19:20], v[0:1], v[15:16]
	v_mul_f64 v[15:16], v[2:3], v[15:16]
	s_waitcnt vmcnt(4)
	v_fma_f64 v[43:44], v[2:3], v[17:18], v[19:20]
	v_fma_f64 v[55:56], v[0:1], v[17:18], -v[15:16]
	buffer_store_dword v43, off, s[0:3], 0 offset:824
	buffer_store_dword v44, off, s[0:3], 0 offset:828
	s_clause 0x5
	buffer_load_dword v50, off, s[0:3], 0 offset:844
	buffer_load_dword v52, off, s[0:3], 0 offset:852
	;; [unrolled: 1-line block ×6, first 2 shown]
	buffer_store_dword v55, off, s[0:3], 0 offset:816
	buffer_store_dword v56, off, s[0:3], 0 offset:820
	s_clause 0x21
	buffer_load_dword v59, off, s[0:3], 0 offset:816
	buffer_load_dword v60, off, s[0:3], 0 offset:820
	;; [unrolled: 1-line block ×34, first 2 shown]
	ds_read2_b64 v[0:3], v12 offset0:104 offset1:105
	ds_read2_b64 v[15:18], v12 offset0:106 offset1:107
	;; [unrolled: 1-line block ×8, first 2 shown]
	s_waitcnt lgkmcnt(7)
	v_mul_f64 v[45:46], v[2:3], v[43:44]
	v_mul_f64 v[93:94], v[0:1], v[43:44]
	s_waitcnt lgkmcnt(6)
	v_mul_f64 v[95:96], v[17:18], v[43:44]
	v_mul_f64 v[97:98], v[15:16], v[43:44]
	;; [unrolled: 3-line block ×6, first 2 shown]
	v_fma_f64 v[115:116], v[0:1], v[55:56], -v[45:46]
	ds_read2_b64 v[43:46], v12 offset0:120 offset1:121
	v_fma_f64 v[93:94], v[2:3], v[55:56], v[93:94]
	ds_read2_b64 v[0:3], v12 offset0:122 offset1:123
	v_fma_f64 v[15:16], v[15:16], v[55:56], -v[95:96]
	v_fma_f64 v[17:18], v[17:18], v[55:56], v[97:98]
	v_fma_f64 v[19:20], v[19:20], v[55:56], -v[99:100]
	v_fma_f64 v[21:22], v[21:22], v[55:56], v[101:102]
	;; [unrolled: 2-line block ×5, first 2 shown]
	s_waitcnt vmcnt(30)
	v_add_f64 v[19:20], v[61:62], -v[19:20]
	s_waitcnt vmcnt(28)
	v_add_f64 v[21:22], v[63:64], -v[21:22]
	;; [unrolled: 2-line block ×8, first 2 shown]
	v_add_f64 v[49:50], v[49:50], -v[93:94]
	v_add_f64 v[15:16], v[51:52], -v[15:16]
	;; [unrolled: 1-line block ×3, first 2 shown]
	s_waitcnt lgkmcnt(3)
	v_mul_f64 v[95:96], v[37:38], v[57:58]
	v_mul_f64 v[97:98], v[35:36], v[57:58]
	s_waitcnt lgkmcnt(2)
	v_mul_f64 v[99:100], v[41:42], v[57:58]
	v_mul_f64 v[101:102], v[39:40], v[57:58]
	;; [unrolled: 3-line block ×4, first 2 shown]
	v_add_f64 v[47:48], v[47:48], -v[115:116]
	buffer_store_dword v49, off, s[0:3], 0 offset:840
	v_fma_f64 v[35:36], v[35:36], v[59:60], -v[95:96]
	v_fma_f64 v[37:38], v[37:38], v[59:60], v[97:98]
	v_fma_f64 v[39:40], v[39:40], v[59:60], -v[99:100]
	v_fma_f64 v[41:42], v[41:42], v[59:60], v[101:102]
	;; [unrolled: 2-line block ×4, first 2 shown]
	buffer_store_dword v47, off, s[0:3], 0 offset:832
	buffer_store_dword v48, off, s[0:3], 0 offset:836
	;; [unrolled: 1-line block ×16, first 2 shown]
	s_waitcnt vmcnt(9)
	v_add_f64 v[15:16], v[77:78], -v[35:36]
	s_waitcnt vmcnt(8)
	v_add_f64 v[17:18], v[83:84], -v[37:38]
	v_add_f64 v[19:20], v[79:80], -v[39:40]
	;; [unrolled: 1-line block ×3, first 2 shown]
	s_waitcnt vmcnt(6)
	v_add_f64 v[23:24], v[85:86], -v[43:44]
	s_waitcnt vmcnt(4)
	v_add_f64 v[35:36], v[87:88], -v[45:46]
	;; [unrolled: 2-line block ×4, first 2 shown]
	buffer_store_dword v27, off, s[0:3], 0 offset:896
	buffer_store_dword v30, off, s[0:3], 0 offset:908
	;; [unrolled: 1-line block ×23, first 2 shown]
.LBB122_1221:
	s_or_b32 exec_lo, exec_lo, s4
	v_mov_b32_e32 v3, s27
	s_waitcnt_vscnt null, 0x0
	s_barrier
	buffer_gl0_inv
	v_lshl_add_u32 v4, v11, 4, v12
	s_clause 0x3
	buffer_load_dword v0, v3, s[0:3], 0 offen
	buffer_load_dword v1, v3, s[0:3], 0 offen offset:4
	buffer_load_dword v2, v3, s[0:3], 0 offen offset:8
	;; [unrolled: 1-line block ×3, first 2 shown]
	s_cmp_lt_i32 s57, 54
	s_waitcnt vmcnt(0)
	ds_write2_b64 v4, v[0:1], v[2:3] offset1:1
	s_waitcnt lgkmcnt(0)
	s_barrier
	buffer_gl0_inv
	ds_read2_b64 v[0:3], v12 offset0:104 offset1:105
	v_mov_b32_e32 v4, 52
	s_cbranch_scc1 .LBB122_1224
; %bb.1222:
	v_add3_u32 v10, v14, 0, 0x350
	v_mov_b32_e32 v4, 52
	s_mov_b32 s16, 53
	s_inst_prefetch 0x1
	.p2align	6
.LBB122_1223:                           ; =>This Inner Loop Header: Depth=1
	s_waitcnt lgkmcnt(0)
	v_cmp_gt_f64_e32 vcc_lo, 0, v[2:3]
	v_cmp_gt_f64_e64 s4, 0, v[0:1]
	ds_read2_b64 v[15:18], v10 offset1:1
	v_xor_b32_e32 v20, 0x80000000, v1
	v_xor_b32_e32 v22, 0x80000000, v3
	v_mov_b32_e32 v19, v0
	v_mov_b32_e32 v21, v2
	v_add_nc_u32_e32 v10, 16, v10
	s_waitcnt lgkmcnt(0)
	v_xor_b32_e32 v24, 0x80000000, v18
	v_cndmask_b32_e64 v20, v1, v20, s4
	v_cndmask_b32_e32 v22, v3, v22, vcc_lo
	v_cmp_gt_f64_e32 vcc_lo, 0, v[17:18]
	v_cmp_gt_f64_e64 s4, 0, v[15:16]
	v_mov_b32_e32 v23, v17
	v_add_f64 v[19:20], v[19:20], v[21:22]
	v_xor_b32_e32 v22, 0x80000000, v16
	v_mov_b32_e32 v21, v15
	v_cndmask_b32_e32 v24, v18, v24, vcc_lo
	v_cndmask_b32_e64 v22, v16, v22, s4
	v_add_f64 v[21:22], v[21:22], v[23:24]
	v_cmp_lt_f64_e32 vcc_lo, v[19:20], v[21:22]
	v_cndmask_b32_e32 v1, v1, v16, vcc_lo
	v_cndmask_b32_e32 v0, v0, v15, vcc_lo
	;; [unrolled: 1-line block ×4, first 2 shown]
	v_cndmask_b32_e64 v4, v4, s16, vcc_lo
	s_add_i32 s16, s16, 1
	s_cmp_lg_u32 s57, s16
	s_cbranch_scc1 .LBB122_1223
.LBB122_1224:
	s_inst_prefetch 0x2
	s_waitcnt lgkmcnt(0)
	v_cmp_eq_f64_e32 vcc_lo, 0, v[0:1]
	v_cmp_eq_f64_e64 s4, 0, v[2:3]
	s_and_b32 s4, vcc_lo, s4
	s_and_saveexec_b32 s16, s4
	s_xor_b32 s4, exec_lo, s16
; %bb.1225:
	v_cmp_ne_u32_e32 vcc_lo, 0, v13
	v_cndmask_b32_e32 v13, 53, v13, vcc_lo
; %bb.1226:
	s_andn2_saveexec_b32 s4, s4
	s_cbranch_execz .LBB122_1232
; %bb.1227:
	v_cmp_ngt_f64_e64 s16, |v[0:1]|, |v[2:3]|
	s_and_saveexec_b32 s17, s16
	s_xor_b32 s16, exec_lo, s17
	s_cbranch_execz .LBB122_1229
; %bb.1228:
	v_div_scale_f64 v[15:16], null, v[2:3], v[2:3], v[0:1]
	v_div_scale_f64 v[21:22], vcc_lo, v[0:1], v[2:3], v[0:1]
	v_rcp_f64_e32 v[17:18], v[15:16]
	v_fma_f64 v[19:20], -v[15:16], v[17:18], 1.0
	v_fma_f64 v[17:18], v[17:18], v[19:20], v[17:18]
	v_fma_f64 v[19:20], -v[15:16], v[17:18], 1.0
	v_fma_f64 v[17:18], v[17:18], v[19:20], v[17:18]
	v_mul_f64 v[19:20], v[21:22], v[17:18]
	v_fma_f64 v[15:16], -v[15:16], v[19:20], v[21:22]
	v_div_fmas_f64 v[15:16], v[15:16], v[17:18], v[19:20]
	v_div_fixup_f64 v[15:16], v[15:16], v[2:3], v[0:1]
	v_fma_f64 v[0:1], v[0:1], v[15:16], v[2:3]
	v_div_scale_f64 v[2:3], null, v[0:1], v[0:1], 1.0
	v_rcp_f64_e32 v[17:18], v[2:3]
	v_fma_f64 v[19:20], -v[2:3], v[17:18], 1.0
	v_fma_f64 v[17:18], v[17:18], v[19:20], v[17:18]
	v_fma_f64 v[19:20], -v[2:3], v[17:18], 1.0
	v_fma_f64 v[17:18], v[17:18], v[19:20], v[17:18]
	v_div_scale_f64 v[19:20], vcc_lo, 1.0, v[0:1], 1.0
	v_mul_f64 v[21:22], v[19:20], v[17:18]
	v_fma_f64 v[2:3], -v[2:3], v[21:22], v[19:20]
	v_div_fmas_f64 v[2:3], v[2:3], v[17:18], v[21:22]
	v_div_fixup_f64 v[2:3], v[2:3], v[0:1], 1.0
	v_mul_f64 v[0:1], v[15:16], v[2:3]
	v_xor_b32_e32 v3, 0x80000000, v3
.LBB122_1229:
	s_andn2_saveexec_b32 s16, s16
	s_cbranch_execz .LBB122_1231
; %bb.1230:
	v_div_scale_f64 v[15:16], null, v[0:1], v[0:1], v[2:3]
	v_div_scale_f64 v[21:22], vcc_lo, v[2:3], v[0:1], v[2:3]
	v_rcp_f64_e32 v[17:18], v[15:16]
	v_fma_f64 v[19:20], -v[15:16], v[17:18], 1.0
	v_fma_f64 v[17:18], v[17:18], v[19:20], v[17:18]
	v_fma_f64 v[19:20], -v[15:16], v[17:18], 1.0
	v_fma_f64 v[17:18], v[17:18], v[19:20], v[17:18]
	v_mul_f64 v[19:20], v[21:22], v[17:18]
	v_fma_f64 v[15:16], -v[15:16], v[19:20], v[21:22]
	v_div_fmas_f64 v[15:16], v[15:16], v[17:18], v[19:20]
	v_div_fixup_f64 v[15:16], v[15:16], v[0:1], v[2:3]
	v_fma_f64 v[0:1], v[2:3], v[15:16], v[0:1]
	v_div_scale_f64 v[2:3], null, v[0:1], v[0:1], 1.0
	v_rcp_f64_e32 v[17:18], v[2:3]
	v_fma_f64 v[19:20], -v[2:3], v[17:18], 1.0
	v_fma_f64 v[17:18], v[17:18], v[19:20], v[17:18]
	v_fma_f64 v[19:20], -v[2:3], v[17:18], 1.0
	v_fma_f64 v[17:18], v[17:18], v[19:20], v[17:18]
	v_div_scale_f64 v[19:20], vcc_lo, 1.0, v[0:1], 1.0
	v_mul_f64 v[21:22], v[19:20], v[17:18]
	v_fma_f64 v[2:3], -v[2:3], v[21:22], v[19:20]
	v_div_fmas_f64 v[2:3], v[2:3], v[17:18], v[21:22]
	v_div_fixup_f64 v[0:1], v[2:3], v[0:1], 1.0
	v_mul_f64 v[2:3], v[15:16], -v[0:1]
.LBB122_1231:
	s_or_b32 exec_lo, exec_lo, s16
.LBB122_1232:
	s_or_b32 exec_lo, exec_lo, s4
	s_mov_b32 s4, exec_lo
	v_cmpx_ne_u32_e64 v11, v4
	s_xor_b32 s4, exec_lo, s4
	s_cbranch_execz .LBB122_1238
; %bb.1233:
	s_mov_b32 s16, exec_lo
	v_cmpx_eq_u32_e32 52, v11
	s_cbranch_execz .LBB122_1237
; %bb.1234:
	v_cmp_ne_u32_e32 vcc_lo, 52, v4
	s_xor_b32 s17, s20, -1
	s_and_b32 s56, s17, vcc_lo
	s_and_saveexec_b32 s17, s56
	s_cbranch_execz .LBB122_1236
; %bb.1235:
	v_ashrrev_i32_e32 v5, 31, v4
	v_lshlrev_b64 v[10:11], 2, v[4:5]
	v_add_co_u32 v10, vcc_lo, v8, v10
	v_add_co_ci_u32_e64 v11, null, v9, v11, vcc_lo
	s_clause 0x1
	global_load_dword v5, v[10:11], off
	global_load_dword v15, v[8:9], off offset:208
	s_waitcnt vmcnt(1)
	global_store_dword v[8:9], v5, off offset:208
	s_waitcnt vmcnt(0)
	global_store_dword v[10:11], v15, off
.LBB122_1236:
	s_or_b32 exec_lo, exec_lo, s17
	v_mov_b32_e32 v11, v4
	v_mov_b32_e32 v5, v4
.LBB122_1237:
	s_or_b32 exec_lo, exec_lo, s16
.LBB122_1238:
	s_andn2_saveexec_b32 s4, s4
	s_cbranch_execz .LBB122_1240
; %bb.1239:
	v_mov_b32_e32 v4, s26
	v_mov_b32_e32 v11, s24
	;; [unrolled: 1-line block ×3, first 2 shown]
	s_clause 0x7
	buffer_load_dword v15, v4, s[0:3], 0 offen
	buffer_load_dword v16, v4, s[0:3], 0 offen offset:4
	buffer_load_dword v17, v4, s[0:3], 0 offen offset:8
	buffer_load_dword v18, v4, s[0:3], 0 offen offset:12
	buffer_load_dword v19, v10, s[0:3], 0 offen
	buffer_load_dword v20, v10, s[0:3], 0 offen offset:4
	buffer_load_dword v21, v10, s[0:3], 0 offen offset:8
	buffer_load_dword v22, v10, s[0:3], 0 offen offset:12
	v_mov_b32_e32 v4, s23
	v_mov_b32_e32 v10, s22
	s_clause 0x7
	buffer_load_dword v23, v11, s[0:3], 0 offen
	buffer_load_dword v24, v11, s[0:3], 0 offen offset:4
	buffer_load_dword v25, v11, s[0:3], 0 offen offset:8
	buffer_load_dword v26, v11, s[0:3], 0 offen offset:12
	buffer_load_dword v27, v4, s[0:3], 0 offen
	buffer_load_dword v28, v4, s[0:3], 0 offen offset:4
	buffer_load_dword v29, v4, s[0:3], 0 offen offset:8
	buffer_load_dword v30, v4, s[0:3], 0 offen offset:12
	v_mov_b32_e32 v11, s18
	v_mov_b32_e32 v4, s19
	;; [unrolled: 11-line block ×3, first 2 shown]
	s_clause 0xb
	buffer_load_dword v39, v11, s[0:3], 0 offen
	buffer_load_dword v40, v11, s[0:3], 0 offen offset:4
	buffer_load_dword v41, v11, s[0:3], 0 offen offset:8
	buffer_load_dword v42, v11, s[0:3], 0 offen offset:12
	buffer_load_dword v43, v4, s[0:3], 0 offen
	buffer_load_dword v44, v4, s[0:3], 0 offen offset:4
	buffer_load_dword v45, v4, s[0:3], 0 offen offset:8
	buffer_load_dword v46, v4, s[0:3], 0 offen offset:12
	;; [unrolled: 4-line block ×3, first 2 shown]
	v_mov_b32_e32 v11, 52
	s_waitcnt vmcnt(32)
	ds_write2_b64 v12, v[15:16], v[17:18] offset0:106 offset1:107
	s_waitcnt vmcnt(28)
	ds_write2_b64 v12, v[19:20], v[21:22] offset0:108 offset1:109
	s_waitcnt vmcnt(24)
	ds_write2_b64 v12, v[23:24], v[25:26] offset0:110 offset1:111
	s_waitcnt vmcnt(20)
	ds_write2_b64 v12, v[27:28], v[29:30] offset0:112 offset1:113
	s_waitcnt vmcnt(16)
	ds_write2_b64 v12, v[31:32], v[33:34] offset0:114 offset1:115
	s_waitcnt vmcnt(12)
	ds_write2_b64 v12, v[35:36], v[37:38] offset0:116 offset1:117
	s_waitcnt vmcnt(8)
	ds_write2_b64 v12, v[39:40], v[41:42] offset0:118 offset1:119
	s_waitcnt vmcnt(4)
	ds_write2_b64 v12, v[43:44], v[45:46] offset0:120 offset1:121
	s_waitcnt vmcnt(0)
	ds_write2_b64 v12, v[47:48], v[49:50] offset0:122 offset1:123
.LBB122_1240:
	s_or_b32 exec_lo, exec_lo, s4
	s_mov_b32 s4, exec_lo
	s_waitcnt lgkmcnt(0)
	s_waitcnt_vscnt null, 0x0
	s_barrier
	buffer_gl0_inv
	v_cmpx_lt_i32_e32 52, v11
	s_cbranch_execz .LBB122_1242
; %bb.1241:
	s_clause 0x7
	buffer_load_dword v15, off, s[0:3], 0 offset:840
	buffer_load_dword v16, off, s[0:3], 0 offset:844
	;; [unrolled: 1-line block ×8, first 2 shown]
	s_waitcnt vmcnt(6)
	v_mul_f64 v[19:20], v[0:1], v[15:16]
	v_mul_f64 v[15:16], v[2:3], v[15:16]
	s_waitcnt vmcnt(4)
	v_fma_f64 v[55:56], v[2:3], v[17:18], v[19:20]
	v_fma_f64 v[57:58], v[0:1], v[17:18], -v[15:16]
	buffer_store_dword v55, off, s[0:3], 0 offset:840
	buffer_store_dword v56, off, s[0:3], 0 offset:844
	s_clause 0x5
	buffer_load_dword v50, off, s[0:3], 0 offset:860
	buffer_load_dword v52, off, s[0:3], 0 offset:868
	;; [unrolled: 1-line block ×6, first 2 shown]
	buffer_store_dword v57, off, s[0:3], 0 offset:832
	buffer_store_dword v58, off, s[0:3], 0 offset:836
	s_clause 0x1d
	buffer_load_dword v61, off, s[0:3], 0 offset:832
	buffer_load_dword v62, off, s[0:3], 0 offset:836
	buffer_load_dword v63, off, s[0:3], 0 offset:880
	buffer_load_dword v64, off, s[0:3], 0 offset:884
	buffer_load_dword v65, off, s[0:3], 0 offset:888
	buffer_load_dword v66, off, s[0:3], 0 offset:892
	buffer_load_dword v67, off, s[0:3], 0 offset:896
	buffer_load_dword v68, off, s[0:3], 0 offset:900
	buffer_load_dword v69, off, s[0:3], 0 offset:904
	buffer_load_dword v70, off, s[0:3], 0 offset:908
	buffer_load_dword v71, off, s[0:3], 0 offset:912
	buffer_load_dword v72, off, s[0:3], 0 offset:916
	buffer_load_dword v73, off, s[0:3], 0 offset:920
	buffer_load_dword v74, off, s[0:3], 0 offset:924
	buffer_load_dword v75, off, s[0:3], 0 offset:928
	buffer_load_dword v76, off, s[0:3], 0 offset:932
	buffer_load_dword v77, off, s[0:3], 0 offset:936
	buffer_load_dword v78, off, s[0:3], 0 offset:940
	buffer_load_dword v80, off, s[0:3], 0 offset:948
	buffer_load_dword v81, off, s[0:3], 0 offset:960
	buffer_load_dword v82, off, s[0:3], 0 offset:964
	buffer_load_dword v83, off, s[0:3], 0 offset:968
	buffer_load_dword v84, off, s[0:3], 0 offset:972
	buffer_load_dword v85, off, s[0:3], 0 offset:952
	buffer_load_dword v79, off, s[0:3], 0 offset:944
	buffer_load_dword v86, off, s[0:3], 0 offset:956
	buffer_load_dword v87, off, s[0:3], 0 offset:976
	buffer_load_dword v88, off, s[0:3], 0 offset:980
	buffer_load_dword v89, off, s[0:3], 0 offset:984
	buffer_load_dword v90, off, s[0:3], 0 offset:988
	ds_read2_b64 v[0:3], v12 offset0:106 offset1:107
	ds_read2_b64 v[15:18], v12 offset0:108 offset1:109
	;; [unrolled: 1-line block ×9, first 2 shown]
	s_waitcnt lgkmcnt(8)
	v_mul_f64 v[91:92], v[2:3], v[55:56]
	v_mul_f64 v[93:94], v[0:1], v[55:56]
	s_waitcnt lgkmcnt(7)
	v_mul_f64 v[95:96], v[17:18], v[55:56]
	v_mul_f64 v[97:98], v[15:16], v[55:56]
	;; [unrolled: 3-line block ×6, first 2 shown]
	v_fma_f64 v[0:1], v[0:1], v[57:58], -v[91:92]
	v_fma_f64 v[2:3], v[2:3], v[57:58], v[93:94]
	v_fma_f64 v[15:16], v[15:16], v[57:58], -v[95:96]
	v_fma_f64 v[17:18], v[17:18], v[57:58], v[97:98]
	;; [unrolled: 2-line block ×6, first 2 shown]
	s_waitcnt vmcnt(26)
	v_add_f64 v[19:20], v[63:64], -v[19:20]
	s_waitcnt vmcnt(24)
	v_add_f64 v[21:22], v[65:66], -v[21:22]
	;; [unrolled: 2-line block ×8, first 2 shown]
	v_add_f64 v[2:3], v[49:50], -v[2:3]
	v_add_f64 v[15:16], v[51:52], -v[15:16]
	;; [unrolled: 1-line block ×3, first 2 shown]
	s_waitcnt lgkmcnt(2)
	v_mul_f64 v[91:92], v[37:38], v[59:60]
	v_mul_f64 v[93:94], v[35:36], v[59:60]
	s_waitcnt lgkmcnt(1)
	v_mul_f64 v[95:96], v[41:42], v[59:60]
	v_mul_f64 v[97:98], v[39:40], v[59:60]
	s_waitcnt lgkmcnt(0)
	v_mul_f64 v[99:100], v[45:46], v[59:60]
	v_mul_f64 v[59:60], v[43:44], v[59:60]
	v_add_f64 v[0:1], v[47:48], -v[0:1]
	buffer_store_dword v0, off, s[0:3], 0 offset:848
	buffer_store_dword v1, off, s[0:3], 0 offset:852
	;; [unrolled: 1-line block ×8, first 2 shown]
	v_fma_f64 v[35:36], v[35:36], v[61:62], -v[91:92]
	v_fma_f64 v[37:38], v[37:38], v[61:62], v[93:94]
	v_fma_f64 v[39:40], v[39:40], v[61:62], -v[95:96]
	v_fma_f64 v[41:42], v[41:42], v[61:62], v[97:98]
	v_fma_f64 v[43:44], v[43:44], v[61:62], -v[99:100]
	v_fma_f64 v[45:46], v[45:46], v[61:62], v[59:60]
	buffer_store_dword v20, off, s[0:3], 0 offset:884
	buffer_store_dword v19, off, s[0:3], 0 offset:880
	;; [unrolled: 1-line block ×5, first 2 shown]
	s_waitcnt vmcnt(5)
	v_add_f64 v[0:1], v[79:80], -v[35:36]
	s_waitcnt vmcnt(4)
	v_add_f64 v[2:3], v[85:86], -v[37:38]
	v_add_f64 v[15:16], v[81:82], -v[39:40]
	;; [unrolled: 1-line block ×3, first 2 shown]
	s_waitcnt vmcnt(2)
	v_add_f64 v[19:20], v[87:88], -v[43:44]
	s_waitcnt vmcnt(0)
	v_add_f64 v[21:22], v[89:90], -v[45:46]
	buffer_store_dword v23, off, s[0:3], 0 offset:896
	buffer_store_dword v26, off, s[0:3], 0 offset:908
	;; [unrolled: 1-line block ×23, first 2 shown]
.LBB122_1242:
	s_or_b32 exec_lo, exec_lo, s4
	v_mov_b32_e32 v3, s26
	s_waitcnt_vscnt null, 0x0
	s_barrier
	buffer_gl0_inv
	v_lshl_add_u32 v4, v11, 4, v12
	s_clause 0x3
	buffer_load_dword v0, v3, s[0:3], 0 offen
	buffer_load_dword v1, v3, s[0:3], 0 offen offset:4
	buffer_load_dword v2, v3, s[0:3], 0 offen offset:8
	;; [unrolled: 1-line block ×3, first 2 shown]
	s_cmp_lt_i32 s57, 55
	s_waitcnt vmcnt(0)
	ds_write2_b64 v4, v[0:1], v[2:3] offset1:1
	s_waitcnt lgkmcnt(0)
	s_barrier
	buffer_gl0_inv
	ds_read2_b64 v[0:3], v12 offset0:106 offset1:107
	v_mov_b32_e32 v4, 53
	s_cbranch_scc1 .LBB122_1245
; %bb.1243:
	v_add3_u32 v10, v14, 0, 0x360
	v_mov_b32_e32 v4, 53
	s_mov_b32 s16, 54
	s_inst_prefetch 0x1
	.p2align	6
.LBB122_1244:                           ; =>This Inner Loop Header: Depth=1
	s_waitcnt lgkmcnt(0)
	v_cmp_gt_f64_e32 vcc_lo, 0, v[2:3]
	v_cmp_gt_f64_e64 s4, 0, v[0:1]
	ds_read2_b64 v[15:18], v10 offset1:1
	v_xor_b32_e32 v20, 0x80000000, v1
	v_xor_b32_e32 v22, 0x80000000, v3
	v_mov_b32_e32 v19, v0
	v_mov_b32_e32 v21, v2
	v_add_nc_u32_e32 v10, 16, v10
	s_waitcnt lgkmcnt(0)
	v_xor_b32_e32 v24, 0x80000000, v18
	v_cndmask_b32_e64 v20, v1, v20, s4
	v_cndmask_b32_e32 v22, v3, v22, vcc_lo
	v_cmp_gt_f64_e32 vcc_lo, 0, v[17:18]
	v_cmp_gt_f64_e64 s4, 0, v[15:16]
	v_mov_b32_e32 v23, v17
	v_add_f64 v[19:20], v[19:20], v[21:22]
	v_xor_b32_e32 v22, 0x80000000, v16
	v_mov_b32_e32 v21, v15
	v_cndmask_b32_e32 v24, v18, v24, vcc_lo
	v_cndmask_b32_e64 v22, v16, v22, s4
	v_add_f64 v[21:22], v[21:22], v[23:24]
	v_cmp_lt_f64_e32 vcc_lo, v[19:20], v[21:22]
	v_cndmask_b32_e32 v1, v1, v16, vcc_lo
	v_cndmask_b32_e32 v0, v0, v15, vcc_lo
	;; [unrolled: 1-line block ×4, first 2 shown]
	v_cndmask_b32_e64 v4, v4, s16, vcc_lo
	s_add_i32 s16, s16, 1
	s_cmp_lg_u32 s57, s16
	s_cbranch_scc1 .LBB122_1244
.LBB122_1245:
	s_inst_prefetch 0x2
	s_waitcnt lgkmcnt(0)
	v_cmp_eq_f64_e32 vcc_lo, 0, v[0:1]
	v_cmp_eq_f64_e64 s4, 0, v[2:3]
	s_and_b32 s4, vcc_lo, s4
	s_and_saveexec_b32 s16, s4
	s_xor_b32 s4, exec_lo, s16
; %bb.1246:
	v_cmp_ne_u32_e32 vcc_lo, 0, v13
	v_cndmask_b32_e32 v13, 54, v13, vcc_lo
; %bb.1247:
	s_andn2_saveexec_b32 s4, s4
	s_cbranch_execz .LBB122_1253
; %bb.1248:
	v_cmp_ngt_f64_e64 s16, |v[0:1]|, |v[2:3]|
	s_and_saveexec_b32 s17, s16
	s_xor_b32 s16, exec_lo, s17
	s_cbranch_execz .LBB122_1250
; %bb.1249:
	v_div_scale_f64 v[15:16], null, v[2:3], v[2:3], v[0:1]
	v_div_scale_f64 v[21:22], vcc_lo, v[0:1], v[2:3], v[0:1]
	v_rcp_f64_e32 v[17:18], v[15:16]
	v_fma_f64 v[19:20], -v[15:16], v[17:18], 1.0
	v_fma_f64 v[17:18], v[17:18], v[19:20], v[17:18]
	v_fma_f64 v[19:20], -v[15:16], v[17:18], 1.0
	v_fma_f64 v[17:18], v[17:18], v[19:20], v[17:18]
	v_mul_f64 v[19:20], v[21:22], v[17:18]
	v_fma_f64 v[15:16], -v[15:16], v[19:20], v[21:22]
	v_div_fmas_f64 v[15:16], v[15:16], v[17:18], v[19:20]
	v_div_fixup_f64 v[15:16], v[15:16], v[2:3], v[0:1]
	v_fma_f64 v[0:1], v[0:1], v[15:16], v[2:3]
	v_div_scale_f64 v[2:3], null, v[0:1], v[0:1], 1.0
	v_rcp_f64_e32 v[17:18], v[2:3]
	v_fma_f64 v[19:20], -v[2:3], v[17:18], 1.0
	v_fma_f64 v[17:18], v[17:18], v[19:20], v[17:18]
	v_fma_f64 v[19:20], -v[2:3], v[17:18], 1.0
	v_fma_f64 v[17:18], v[17:18], v[19:20], v[17:18]
	v_div_scale_f64 v[19:20], vcc_lo, 1.0, v[0:1], 1.0
	v_mul_f64 v[21:22], v[19:20], v[17:18]
	v_fma_f64 v[2:3], -v[2:3], v[21:22], v[19:20]
	v_div_fmas_f64 v[2:3], v[2:3], v[17:18], v[21:22]
	v_div_fixup_f64 v[2:3], v[2:3], v[0:1], 1.0
	v_mul_f64 v[0:1], v[15:16], v[2:3]
	v_xor_b32_e32 v3, 0x80000000, v3
.LBB122_1250:
	s_andn2_saveexec_b32 s16, s16
	s_cbranch_execz .LBB122_1252
; %bb.1251:
	v_div_scale_f64 v[15:16], null, v[0:1], v[0:1], v[2:3]
	v_div_scale_f64 v[21:22], vcc_lo, v[2:3], v[0:1], v[2:3]
	v_rcp_f64_e32 v[17:18], v[15:16]
	v_fma_f64 v[19:20], -v[15:16], v[17:18], 1.0
	v_fma_f64 v[17:18], v[17:18], v[19:20], v[17:18]
	v_fma_f64 v[19:20], -v[15:16], v[17:18], 1.0
	v_fma_f64 v[17:18], v[17:18], v[19:20], v[17:18]
	v_mul_f64 v[19:20], v[21:22], v[17:18]
	v_fma_f64 v[15:16], -v[15:16], v[19:20], v[21:22]
	v_div_fmas_f64 v[15:16], v[15:16], v[17:18], v[19:20]
	v_div_fixup_f64 v[15:16], v[15:16], v[0:1], v[2:3]
	v_fma_f64 v[0:1], v[2:3], v[15:16], v[0:1]
	v_div_scale_f64 v[2:3], null, v[0:1], v[0:1], 1.0
	v_rcp_f64_e32 v[17:18], v[2:3]
	v_fma_f64 v[19:20], -v[2:3], v[17:18], 1.0
	v_fma_f64 v[17:18], v[17:18], v[19:20], v[17:18]
	v_fma_f64 v[19:20], -v[2:3], v[17:18], 1.0
	v_fma_f64 v[17:18], v[17:18], v[19:20], v[17:18]
	v_div_scale_f64 v[19:20], vcc_lo, 1.0, v[0:1], 1.0
	v_mul_f64 v[21:22], v[19:20], v[17:18]
	v_fma_f64 v[2:3], -v[2:3], v[21:22], v[19:20]
	v_div_fmas_f64 v[2:3], v[2:3], v[17:18], v[21:22]
	v_div_fixup_f64 v[0:1], v[2:3], v[0:1], 1.0
	v_mul_f64 v[2:3], v[15:16], -v[0:1]
.LBB122_1252:
	s_or_b32 exec_lo, exec_lo, s16
.LBB122_1253:
	s_or_b32 exec_lo, exec_lo, s4
	s_mov_b32 s4, exec_lo
	v_cmpx_ne_u32_e64 v11, v4
	s_xor_b32 s4, exec_lo, s4
	s_cbranch_execz .LBB122_1259
; %bb.1254:
	s_mov_b32 s16, exec_lo
	v_cmpx_eq_u32_e32 53, v11
	s_cbranch_execz .LBB122_1258
; %bb.1255:
	v_cmp_ne_u32_e32 vcc_lo, 53, v4
	s_xor_b32 s17, s20, -1
	s_and_b32 s56, s17, vcc_lo
	s_and_saveexec_b32 s17, s56
	s_cbranch_execz .LBB122_1257
; %bb.1256:
	v_ashrrev_i32_e32 v5, 31, v4
	v_lshlrev_b64 v[10:11], 2, v[4:5]
	v_add_co_u32 v10, vcc_lo, v8, v10
	v_add_co_ci_u32_e64 v11, null, v9, v11, vcc_lo
	s_clause 0x1
	global_load_dword v5, v[10:11], off
	global_load_dword v15, v[8:9], off offset:212
	s_waitcnt vmcnt(1)
	global_store_dword v[8:9], v5, off offset:212
	s_waitcnt vmcnt(0)
	global_store_dword v[10:11], v15, off
.LBB122_1257:
	s_or_b32 exec_lo, exec_lo, s17
	v_mov_b32_e32 v11, v4
	v_mov_b32_e32 v5, v4
.LBB122_1258:
	s_or_b32 exec_lo, exec_lo, s16
.LBB122_1259:
	s_andn2_saveexec_b32 s4, s4
	s_cbranch_execz .LBB122_1261
; %bb.1260:
	v_mov_b32_e32 v4, s25
	v_mov_b32_e32 v11, s23
	;; [unrolled: 1-line block ×3, first 2 shown]
	s_clause 0x7
	buffer_load_dword v15, v4, s[0:3], 0 offen
	buffer_load_dword v16, v4, s[0:3], 0 offen offset:4
	buffer_load_dword v17, v4, s[0:3], 0 offen offset:8
	;; [unrolled: 1-line block ×3, first 2 shown]
	buffer_load_dword v19, v10, s[0:3], 0 offen
	buffer_load_dword v20, v10, s[0:3], 0 offen offset:4
	buffer_load_dword v21, v10, s[0:3], 0 offen offset:8
	buffer_load_dword v22, v10, s[0:3], 0 offen offset:12
	v_mov_b32_e32 v4, s22
	v_mov_b32_e32 v10, s19
	s_clause 0x7
	buffer_load_dword v23, v11, s[0:3], 0 offen
	buffer_load_dword v24, v11, s[0:3], 0 offen offset:4
	buffer_load_dword v25, v11, s[0:3], 0 offen offset:8
	;; [unrolled: 1-line block ×3, first 2 shown]
	buffer_load_dword v27, v4, s[0:3], 0 offen
	buffer_load_dword v28, v4, s[0:3], 0 offen offset:4
	buffer_load_dword v29, v4, s[0:3], 0 offen offset:8
	;; [unrolled: 1-line block ×3, first 2 shown]
	v_mov_b32_e32 v11, s7
	v_mov_b32_e32 v4, s18
	s_clause 0x7
	buffer_load_dword v31, v10, s[0:3], 0 offen
	buffer_load_dword v32, v10, s[0:3], 0 offen offset:4
	buffer_load_dword v33, v10, s[0:3], 0 offen offset:8
	;; [unrolled: 1-line block ×3, first 2 shown]
	buffer_load_dword v35, v4, s[0:3], 0 offen
	buffer_load_dword v36, v4, s[0:3], 0 offen offset:4
	buffer_load_dword v37, v4, s[0:3], 0 offen offset:8
	;; [unrolled: 1-line block ×3, first 2 shown]
	v_mov_b32_e32 v4, s5
	s_clause 0x7
	buffer_load_dword v39, v11, s[0:3], 0 offen
	buffer_load_dword v40, v11, s[0:3], 0 offen offset:4
	buffer_load_dword v41, v11, s[0:3], 0 offen offset:8
	;; [unrolled: 1-line block ×3, first 2 shown]
	buffer_load_dword v43, v4, s[0:3], 0 offen
	buffer_load_dword v44, v4, s[0:3], 0 offen offset:4
	buffer_load_dword v45, v4, s[0:3], 0 offen offset:8
	;; [unrolled: 1-line block ×3, first 2 shown]
	v_mov_b32_e32 v11, 53
	s_waitcnt vmcnt(28)
	ds_write2_b64 v12, v[15:16], v[17:18] offset0:108 offset1:109
	s_waitcnt vmcnt(24)
	ds_write2_b64 v12, v[19:20], v[21:22] offset0:110 offset1:111
	;; [unrolled: 2-line block ×8, first 2 shown]
.LBB122_1261:
	s_or_b32 exec_lo, exec_lo, s4
	s_mov_b32 s4, exec_lo
	s_waitcnt lgkmcnt(0)
	s_waitcnt_vscnt null, 0x0
	s_barrier
	buffer_gl0_inv
	v_cmpx_lt_i32_e32 53, v11
	s_cbranch_execz .LBB122_1263
; %bb.1262:
	s_clause 0x7
	buffer_load_dword v15, off, s[0:3], 0 offset:856
	buffer_load_dword v16, off, s[0:3], 0 offset:860
	;; [unrolled: 1-line block ×8, first 2 shown]
	s_waitcnt vmcnt(6)
	v_mul_f64 v[19:20], v[0:1], v[15:16]
	v_mul_f64 v[15:16], v[2:3], v[15:16]
	s_waitcnt vmcnt(4)
	v_fma_f64 v[51:52], v[2:3], v[17:18], v[19:20]
	v_fma_f64 v[53:54], v[0:1], v[17:18], -v[15:16]
	buffer_store_dword v51, off, s[0:3], 0 offset:856
	buffer_store_dword v52, off, s[0:3], 0 offset:860
	s_clause 0x5
	buffer_load_dword v46, off, s[0:3], 0 offset:876
	buffer_load_dword v48, off, s[0:3], 0 offset:884
	;; [unrolled: 1-line block ×6, first 2 shown]
	buffer_store_dword v53, off, s[0:3], 0 offset:848
	buffer_store_dword v54, off, s[0:3], 0 offset:852
	s_clause 0x19
	buffer_load_dword v57, off, s[0:3], 0 offset:848
	buffer_load_dword v58, off, s[0:3], 0 offset:852
	;; [unrolled: 1-line block ×26, first 2 shown]
	ds_read2_b64 v[0:3], v12 offset0:108 offset1:109
	ds_read2_b64 v[15:18], v12 offset0:110 offset1:111
	;; [unrolled: 1-line block ×8, first 2 shown]
	s_waitcnt lgkmcnt(7)
	v_mul_f64 v[83:84], v[2:3], v[51:52]
	v_mul_f64 v[85:86], v[0:1], v[51:52]
	s_waitcnt lgkmcnt(6)
	v_mul_f64 v[87:88], v[17:18], v[51:52]
	v_mul_f64 v[89:90], v[15:16], v[51:52]
	;; [unrolled: 3-line block ×6, first 2 shown]
	v_fma_f64 v[0:1], v[0:1], v[53:54], -v[83:84]
	v_fma_f64 v[2:3], v[2:3], v[53:54], v[85:86]
	v_fma_f64 v[15:16], v[15:16], v[53:54], -v[87:88]
	v_fma_f64 v[17:18], v[17:18], v[53:54], v[89:90]
	;; [unrolled: 2-line block ×6, first 2 shown]
	s_waitcnt vmcnt(22)
	v_add_f64 v[19:20], v[59:60], -v[19:20]
	s_waitcnt vmcnt(20)
	v_add_f64 v[21:22], v[61:62], -v[21:22]
	;; [unrolled: 2-line block ×8, first 2 shown]
	v_add_f64 v[2:3], v[45:46], -v[2:3]
	v_add_f64 v[15:16], v[47:48], -v[15:16]
	;; [unrolled: 1-line block ×3, first 2 shown]
	s_waitcnt lgkmcnt(1)
	v_mul_f64 v[83:84], v[37:38], v[55:56]
	v_mul_f64 v[85:86], v[35:36], v[55:56]
	s_waitcnt lgkmcnt(0)
	v_mul_f64 v[87:88], v[41:42], v[55:56]
	v_mul_f64 v[55:56], v[39:40], v[55:56]
	v_add_f64 v[0:1], v[43:44], -v[0:1]
	buffer_store_dword v0, off, s[0:3], 0 offset:864
	buffer_store_dword v1, off, s[0:3], 0 offset:868
	;; [unrolled: 1-line block ×6, first 2 shown]
	v_fma_f64 v[35:36], v[35:36], v[57:58], -v[83:84]
	v_fma_f64 v[37:38], v[37:38], v[57:58], v[85:86]
	v_fma_f64 v[39:40], v[39:40], v[57:58], -v[87:88]
	v_fma_f64 v[41:42], v[41:42], v[57:58], v[55:56]
	buffer_store_dword v17, off, s[0:3], 0 offset:888
	buffer_store_dword v18, off, s[0:3], 0 offset:892
	;; [unrolled: 1-line block ×3, first 2 shown]
	s_waitcnt vmcnt(1)
	v_add_f64 v[0:1], v[75:76], -v[35:36]
	s_waitcnt vmcnt(0)
	v_add_f64 v[2:3], v[81:82], -v[37:38]
	v_add_f64 v[15:16], v[77:78], -v[39:40]
	;; [unrolled: 1-line block ×3, first 2 shown]
	buffer_store_dword v19, off, s[0:3], 0 offset:896
	buffer_store_dword v21, off, s[0:3], 0 offset:904
	;; [unrolled: 1-line block ×23, first 2 shown]
.LBB122_1263:
	s_or_b32 exec_lo, exec_lo, s4
	v_mov_b32_e32 v3, s25
	s_waitcnt_vscnt null, 0x0
	s_barrier
	buffer_gl0_inv
	v_lshl_add_u32 v4, v11, 4, v12
	s_clause 0x3
	buffer_load_dword v0, v3, s[0:3], 0 offen
	buffer_load_dword v1, v3, s[0:3], 0 offen offset:4
	buffer_load_dword v2, v3, s[0:3], 0 offen offset:8
	;; [unrolled: 1-line block ×3, first 2 shown]
	s_cmp_lt_i32 s57, 56
	s_waitcnt vmcnt(0)
	ds_write2_b64 v4, v[0:1], v[2:3] offset1:1
	s_waitcnt lgkmcnt(0)
	s_barrier
	buffer_gl0_inv
	ds_read2_b64 v[0:3], v12 offset0:108 offset1:109
	v_mov_b32_e32 v4, 54
	s_cbranch_scc1 .LBB122_1266
; %bb.1264:
	v_add3_u32 v10, v14, 0, 0x370
	v_mov_b32_e32 v4, 54
	s_mov_b32 s16, 55
	s_inst_prefetch 0x1
	.p2align	6
.LBB122_1265:                           ; =>This Inner Loop Header: Depth=1
	s_waitcnt lgkmcnt(0)
	v_cmp_gt_f64_e32 vcc_lo, 0, v[2:3]
	v_cmp_gt_f64_e64 s4, 0, v[0:1]
	ds_read2_b64 v[15:18], v10 offset1:1
	v_xor_b32_e32 v20, 0x80000000, v1
	v_xor_b32_e32 v22, 0x80000000, v3
	v_mov_b32_e32 v19, v0
	v_mov_b32_e32 v21, v2
	v_add_nc_u32_e32 v10, 16, v10
	s_waitcnt lgkmcnt(0)
	v_xor_b32_e32 v24, 0x80000000, v18
	v_cndmask_b32_e64 v20, v1, v20, s4
	v_cndmask_b32_e32 v22, v3, v22, vcc_lo
	v_cmp_gt_f64_e32 vcc_lo, 0, v[17:18]
	v_cmp_gt_f64_e64 s4, 0, v[15:16]
	v_mov_b32_e32 v23, v17
	v_add_f64 v[19:20], v[19:20], v[21:22]
	v_xor_b32_e32 v22, 0x80000000, v16
	v_mov_b32_e32 v21, v15
	v_cndmask_b32_e32 v24, v18, v24, vcc_lo
	v_cndmask_b32_e64 v22, v16, v22, s4
	v_add_f64 v[21:22], v[21:22], v[23:24]
	v_cmp_lt_f64_e32 vcc_lo, v[19:20], v[21:22]
	v_cndmask_b32_e32 v1, v1, v16, vcc_lo
	v_cndmask_b32_e32 v0, v0, v15, vcc_lo
	;; [unrolled: 1-line block ×4, first 2 shown]
	v_cndmask_b32_e64 v4, v4, s16, vcc_lo
	s_add_i32 s16, s16, 1
	s_cmp_lg_u32 s57, s16
	s_cbranch_scc1 .LBB122_1265
.LBB122_1266:
	s_inst_prefetch 0x2
	s_waitcnt lgkmcnt(0)
	v_cmp_eq_f64_e32 vcc_lo, 0, v[0:1]
	v_cmp_eq_f64_e64 s4, 0, v[2:3]
	s_and_b32 s4, vcc_lo, s4
	s_and_saveexec_b32 s16, s4
	s_xor_b32 s4, exec_lo, s16
; %bb.1267:
	v_cmp_ne_u32_e32 vcc_lo, 0, v13
	v_cndmask_b32_e32 v13, 55, v13, vcc_lo
; %bb.1268:
	s_andn2_saveexec_b32 s4, s4
	s_cbranch_execz .LBB122_1274
; %bb.1269:
	v_cmp_ngt_f64_e64 s16, |v[0:1]|, |v[2:3]|
	s_and_saveexec_b32 s17, s16
	s_xor_b32 s16, exec_lo, s17
	s_cbranch_execz .LBB122_1271
; %bb.1270:
	v_div_scale_f64 v[15:16], null, v[2:3], v[2:3], v[0:1]
	v_div_scale_f64 v[21:22], vcc_lo, v[0:1], v[2:3], v[0:1]
	v_rcp_f64_e32 v[17:18], v[15:16]
	v_fma_f64 v[19:20], -v[15:16], v[17:18], 1.0
	v_fma_f64 v[17:18], v[17:18], v[19:20], v[17:18]
	v_fma_f64 v[19:20], -v[15:16], v[17:18], 1.0
	v_fma_f64 v[17:18], v[17:18], v[19:20], v[17:18]
	v_mul_f64 v[19:20], v[21:22], v[17:18]
	v_fma_f64 v[15:16], -v[15:16], v[19:20], v[21:22]
	v_div_fmas_f64 v[15:16], v[15:16], v[17:18], v[19:20]
	v_div_fixup_f64 v[15:16], v[15:16], v[2:3], v[0:1]
	v_fma_f64 v[0:1], v[0:1], v[15:16], v[2:3]
	v_div_scale_f64 v[2:3], null, v[0:1], v[0:1], 1.0
	v_rcp_f64_e32 v[17:18], v[2:3]
	v_fma_f64 v[19:20], -v[2:3], v[17:18], 1.0
	v_fma_f64 v[17:18], v[17:18], v[19:20], v[17:18]
	v_fma_f64 v[19:20], -v[2:3], v[17:18], 1.0
	v_fma_f64 v[17:18], v[17:18], v[19:20], v[17:18]
	v_div_scale_f64 v[19:20], vcc_lo, 1.0, v[0:1], 1.0
	v_mul_f64 v[21:22], v[19:20], v[17:18]
	v_fma_f64 v[2:3], -v[2:3], v[21:22], v[19:20]
	v_div_fmas_f64 v[2:3], v[2:3], v[17:18], v[21:22]
	v_div_fixup_f64 v[2:3], v[2:3], v[0:1], 1.0
	v_mul_f64 v[0:1], v[15:16], v[2:3]
	v_xor_b32_e32 v3, 0x80000000, v3
.LBB122_1271:
	s_andn2_saveexec_b32 s16, s16
	s_cbranch_execz .LBB122_1273
; %bb.1272:
	v_div_scale_f64 v[15:16], null, v[0:1], v[0:1], v[2:3]
	v_div_scale_f64 v[21:22], vcc_lo, v[2:3], v[0:1], v[2:3]
	v_rcp_f64_e32 v[17:18], v[15:16]
	v_fma_f64 v[19:20], -v[15:16], v[17:18], 1.0
	v_fma_f64 v[17:18], v[17:18], v[19:20], v[17:18]
	v_fma_f64 v[19:20], -v[15:16], v[17:18], 1.0
	v_fma_f64 v[17:18], v[17:18], v[19:20], v[17:18]
	v_mul_f64 v[19:20], v[21:22], v[17:18]
	v_fma_f64 v[15:16], -v[15:16], v[19:20], v[21:22]
	v_div_fmas_f64 v[15:16], v[15:16], v[17:18], v[19:20]
	v_div_fixup_f64 v[15:16], v[15:16], v[0:1], v[2:3]
	v_fma_f64 v[0:1], v[2:3], v[15:16], v[0:1]
	v_div_scale_f64 v[2:3], null, v[0:1], v[0:1], 1.0
	v_rcp_f64_e32 v[17:18], v[2:3]
	v_fma_f64 v[19:20], -v[2:3], v[17:18], 1.0
	v_fma_f64 v[17:18], v[17:18], v[19:20], v[17:18]
	v_fma_f64 v[19:20], -v[2:3], v[17:18], 1.0
	v_fma_f64 v[17:18], v[17:18], v[19:20], v[17:18]
	v_div_scale_f64 v[19:20], vcc_lo, 1.0, v[0:1], 1.0
	v_mul_f64 v[21:22], v[19:20], v[17:18]
	v_fma_f64 v[2:3], -v[2:3], v[21:22], v[19:20]
	v_div_fmas_f64 v[2:3], v[2:3], v[17:18], v[21:22]
	v_div_fixup_f64 v[0:1], v[2:3], v[0:1], 1.0
	v_mul_f64 v[2:3], v[15:16], -v[0:1]
.LBB122_1273:
	s_or_b32 exec_lo, exec_lo, s16
.LBB122_1274:
	s_or_b32 exec_lo, exec_lo, s4
	s_mov_b32 s4, exec_lo
	v_cmpx_ne_u32_e64 v11, v4
	s_xor_b32 s4, exec_lo, s4
	s_cbranch_execz .LBB122_1280
; %bb.1275:
	s_mov_b32 s16, exec_lo
	v_cmpx_eq_u32_e32 54, v11
	s_cbranch_execz .LBB122_1279
; %bb.1276:
	v_cmp_ne_u32_e32 vcc_lo, 54, v4
	s_xor_b32 s17, s20, -1
	s_and_b32 s56, s17, vcc_lo
	s_and_saveexec_b32 s17, s56
	s_cbranch_execz .LBB122_1278
; %bb.1277:
	v_ashrrev_i32_e32 v5, 31, v4
	v_lshlrev_b64 v[10:11], 2, v[4:5]
	v_add_co_u32 v10, vcc_lo, v8, v10
	v_add_co_ci_u32_e64 v11, null, v9, v11, vcc_lo
	s_clause 0x1
	global_load_dword v5, v[10:11], off
	global_load_dword v15, v[8:9], off offset:216
	s_waitcnt vmcnt(1)
	global_store_dword v[8:9], v5, off offset:216
	s_waitcnt vmcnt(0)
	global_store_dword v[10:11], v15, off
.LBB122_1278:
	s_or_b32 exec_lo, exec_lo, s17
	v_mov_b32_e32 v11, v4
	v_mov_b32_e32 v5, v4
.LBB122_1279:
	s_or_b32 exec_lo, exec_lo, s16
.LBB122_1280:
	s_andn2_saveexec_b32 s4, s4
	s_cbranch_execz .LBB122_1282
; %bb.1281:
	v_mov_b32_e32 v4, s24
	v_mov_b32_e32 v10, s23
	;; [unrolled: 1-line block ×3, first 2 shown]
	s_clause 0x7
	buffer_load_dword v15, v4, s[0:3], 0 offen
	buffer_load_dword v16, v4, s[0:3], 0 offen offset:4
	buffer_load_dword v17, v4, s[0:3], 0 offen offset:8
	;; [unrolled: 1-line block ×3, first 2 shown]
	buffer_load_dword v19, v10, s[0:3], 0 offen
	buffer_load_dword v20, v10, s[0:3], 0 offen offset:4
	buffer_load_dword v21, v10, s[0:3], 0 offen offset:8
	;; [unrolled: 1-line block ×3, first 2 shown]
	v_mov_b32_e32 v10, s18
	v_mov_b32_e32 v4, s19
	s_clause 0x7
	buffer_load_dword v23, v11, s[0:3], 0 offen
	buffer_load_dword v24, v11, s[0:3], 0 offen offset:4
	buffer_load_dword v25, v11, s[0:3], 0 offen offset:8
	;; [unrolled: 1-line block ×3, first 2 shown]
	buffer_load_dword v27, v4, s[0:3], 0 offen
	buffer_load_dword v28, v4, s[0:3], 0 offen offset:4
	buffer_load_dword v29, v4, s[0:3], 0 offen offset:8
	;; [unrolled: 1-line block ×3, first 2 shown]
	v_mov_b32_e32 v4, s7
	v_mov_b32_e32 v11, s5
	s_clause 0xb
	buffer_load_dword v31, v10, s[0:3], 0 offen
	buffer_load_dword v32, v10, s[0:3], 0 offen offset:4
	buffer_load_dword v33, v10, s[0:3], 0 offen offset:8
	buffer_load_dword v34, v10, s[0:3], 0 offen offset:12
	buffer_load_dword v35, v4, s[0:3], 0 offen
	buffer_load_dword v36, v4, s[0:3], 0 offen offset:4
	buffer_load_dword v37, v4, s[0:3], 0 offen offset:8
	buffer_load_dword v38, v4, s[0:3], 0 offen offset:12
	;; [unrolled: 4-line block ×3, first 2 shown]
	v_mov_b32_e32 v11, 54
	s_waitcnt vmcnt(24)
	ds_write2_b64 v12, v[15:16], v[17:18] offset0:110 offset1:111
	s_waitcnt vmcnt(20)
	ds_write2_b64 v12, v[19:20], v[21:22] offset0:112 offset1:113
	;; [unrolled: 2-line block ×7, first 2 shown]
.LBB122_1282:
	s_or_b32 exec_lo, exec_lo, s4
	s_mov_b32 s4, exec_lo
	s_waitcnt lgkmcnt(0)
	s_waitcnt_vscnt null, 0x0
	s_barrier
	buffer_gl0_inv
	v_cmpx_lt_i32_e32 54, v11
	s_cbranch_execz .LBB122_1284
; %bb.1283:
	s_clause 0x7
	buffer_load_dword v15, off, s[0:3], 0 offset:872
	buffer_load_dword v16, off, s[0:3], 0 offset:876
	;; [unrolled: 1-line block ×8, first 2 shown]
	s_waitcnt vmcnt(6)
	v_mul_f64 v[19:20], v[0:1], v[15:16]
	v_mul_f64 v[15:16], v[2:3], v[15:16]
	s_waitcnt vmcnt(4)
	v_fma_f64 v[47:48], v[2:3], v[17:18], v[19:20]
	v_fma_f64 v[49:50], v[0:1], v[17:18], -v[15:16]
	buffer_store_dword v47, off, s[0:3], 0 offset:872
	buffer_store_dword v48, off, s[0:3], 0 offset:876
	s_clause 0x5
	buffer_load_dword v42, off, s[0:3], 0 offset:892
	buffer_load_dword v44, off, s[0:3], 0 offset:900
	;; [unrolled: 1-line block ×6, first 2 shown]
	buffer_store_dword v49, off, s[0:3], 0 offset:864
	buffer_store_dword v50, off, s[0:3], 0 offset:868
	s_clause 0x15
	buffer_load_dword v53, off, s[0:3], 0 offset:864
	buffer_load_dword v54, off, s[0:3], 0 offset:868
	;; [unrolled: 1-line block ×22, first 2 shown]
	ds_read2_b64 v[0:3], v12 offset0:110 offset1:111
	ds_read2_b64 v[15:18], v12 offset0:112 offset1:113
	;; [unrolled: 1-line block ×7, first 2 shown]
	s_waitcnt lgkmcnt(6)
	v_mul_f64 v[75:76], v[2:3], v[47:48]
	v_mul_f64 v[77:78], v[0:1], v[47:48]
	s_waitcnt lgkmcnt(5)
	v_mul_f64 v[79:80], v[17:18], v[47:48]
	v_mul_f64 v[81:82], v[15:16], v[47:48]
	;; [unrolled: 3-line block ×6, first 2 shown]
	v_fma_f64 v[0:1], v[0:1], v[49:50], -v[75:76]
	v_fma_f64 v[2:3], v[2:3], v[49:50], v[77:78]
	v_fma_f64 v[15:16], v[15:16], v[49:50], -v[79:80]
	v_fma_f64 v[17:18], v[17:18], v[49:50], v[81:82]
	v_fma_f64 v[19:20], v[19:20], v[49:50], -v[83:84]
	v_fma_f64 v[21:22], v[21:22], v[49:50], v[85:86]
	v_fma_f64 v[23:24], v[23:24], v[49:50], -v[87:88]
	v_fma_f64 v[25:26], v[25:26], v[49:50], v[89:90]
	v_fma_f64 v[27:28], v[27:28], v[49:50], -v[91:92]
	v_fma_f64 v[29:30], v[29:30], v[49:50], v[93:94]
	v_fma_f64 v[31:32], v[31:32], v[49:50], -v[95:96]
	v_fma_f64 v[33:34], v[33:34], v[49:50], v[47:48]
	s_waitcnt vmcnt(18)
	v_add_f64 v[19:20], v[55:56], -v[19:20]
	s_waitcnt vmcnt(16)
	v_add_f64 v[21:22], v[57:58], -v[21:22]
	;; [unrolled: 2-line block ×6, first 2 shown]
	v_add_f64 v[2:3], v[41:42], -v[2:3]
	v_add_f64 v[15:16], v[43:44], -v[15:16]
	;; [unrolled: 1-line block ×3, first 2 shown]
	s_waitcnt vmcnt(6)
	v_add_f64 v[31:32], v[67:68], -v[31:32]
	s_waitcnt lgkmcnt(0)
	v_mul_f64 v[75:76], v[37:38], v[51:52]
	v_mul_f64 v[51:52], v[35:36], v[51:52]
	v_add_f64 v[0:1], v[39:40], -v[0:1]
	s_waitcnt vmcnt(4)
	v_add_f64 v[33:34], v[69:70], -v[33:34]
	buffer_store_dword v0, off, s[0:3], 0 offset:880
	buffer_store_dword v1, off, s[0:3], 0 offset:884
	;; [unrolled: 1-line block ×4, first 2 shown]
	v_fma_f64 v[35:36], v[35:36], v[53:54], -v[75:76]
	v_fma_f64 v[37:38], v[37:38], v[53:54], v[51:52]
	buffer_store_dword v15, off, s[0:3], 0 offset:896
	s_waitcnt vmcnt(1)
	v_add_f64 v[0:1], v[71:72], -v[35:36]
	s_waitcnt vmcnt(0)
	v_add_f64 v[2:3], v[73:74], -v[37:38]
	buffer_store_dword v16, off, s[0:3], 0 offset:900
	buffer_store_dword v17, off, s[0:3], 0 offset:904
	;; [unrolled: 1-line block ×23, first 2 shown]
.LBB122_1284:
	s_or_b32 exec_lo, exec_lo, s4
	v_mov_b32_e32 v3, s24
	s_waitcnt_vscnt null, 0x0
	s_barrier
	buffer_gl0_inv
	v_lshl_add_u32 v4, v11, 4, v12
	s_clause 0x3
	buffer_load_dword v0, v3, s[0:3], 0 offen
	buffer_load_dword v1, v3, s[0:3], 0 offen offset:4
	buffer_load_dword v2, v3, s[0:3], 0 offen offset:8
	;; [unrolled: 1-line block ×3, first 2 shown]
	s_cmp_lt_i32 s57, 57
	s_waitcnt vmcnt(0)
	ds_write2_b64 v4, v[0:1], v[2:3] offset1:1
	s_waitcnt lgkmcnt(0)
	s_barrier
	buffer_gl0_inv
	ds_read2_b64 v[0:3], v12 offset0:110 offset1:111
	v_mov_b32_e32 v4, 55
	s_cbranch_scc1 .LBB122_1287
; %bb.1285:
	v_add3_u32 v10, v14, 0, 0x380
	v_mov_b32_e32 v4, 55
	s_mov_b32 s16, 56
	s_inst_prefetch 0x1
	.p2align	6
.LBB122_1286:                           ; =>This Inner Loop Header: Depth=1
	s_waitcnt lgkmcnt(0)
	v_cmp_gt_f64_e32 vcc_lo, 0, v[2:3]
	v_cmp_gt_f64_e64 s4, 0, v[0:1]
	ds_read2_b64 v[15:18], v10 offset1:1
	v_xor_b32_e32 v20, 0x80000000, v1
	v_xor_b32_e32 v22, 0x80000000, v3
	v_mov_b32_e32 v19, v0
	v_mov_b32_e32 v21, v2
	v_add_nc_u32_e32 v10, 16, v10
	s_waitcnt lgkmcnt(0)
	v_xor_b32_e32 v24, 0x80000000, v18
	v_cndmask_b32_e64 v20, v1, v20, s4
	v_cndmask_b32_e32 v22, v3, v22, vcc_lo
	v_cmp_gt_f64_e32 vcc_lo, 0, v[17:18]
	v_cmp_gt_f64_e64 s4, 0, v[15:16]
	v_mov_b32_e32 v23, v17
	v_add_f64 v[19:20], v[19:20], v[21:22]
	v_xor_b32_e32 v22, 0x80000000, v16
	v_mov_b32_e32 v21, v15
	v_cndmask_b32_e32 v24, v18, v24, vcc_lo
	v_cndmask_b32_e64 v22, v16, v22, s4
	v_add_f64 v[21:22], v[21:22], v[23:24]
	v_cmp_lt_f64_e32 vcc_lo, v[19:20], v[21:22]
	v_cndmask_b32_e32 v1, v1, v16, vcc_lo
	v_cndmask_b32_e32 v0, v0, v15, vcc_lo
	;; [unrolled: 1-line block ×4, first 2 shown]
	v_cndmask_b32_e64 v4, v4, s16, vcc_lo
	s_add_i32 s16, s16, 1
	s_cmp_lg_u32 s57, s16
	s_cbranch_scc1 .LBB122_1286
.LBB122_1287:
	s_inst_prefetch 0x2
	s_waitcnt lgkmcnt(0)
	v_cmp_eq_f64_e32 vcc_lo, 0, v[0:1]
	v_cmp_eq_f64_e64 s4, 0, v[2:3]
	s_and_b32 s4, vcc_lo, s4
	s_and_saveexec_b32 s16, s4
	s_xor_b32 s4, exec_lo, s16
; %bb.1288:
	v_cmp_ne_u32_e32 vcc_lo, 0, v13
	v_cndmask_b32_e32 v13, 56, v13, vcc_lo
; %bb.1289:
	s_andn2_saveexec_b32 s4, s4
	s_cbranch_execz .LBB122_1295
; %bb.1290:
	v_cmp_ngt_f64_e64 s16, |v[0:1]|, |v[2:3]|
	s_and_saveexec_b32 s17, s16
	s_xor_b32 s16, exec_lo, s17
	s_cbranch_execz .LBB122_1292
; %bb.1291:
	v_div_scale_f64 v[15:16], null, v[2:3], v[2:3], v[0:1]
	v_div_scale_f64 v[21:22], vcc_lo, v[0:1], v[2:3], v[0:1]
	v_rcp_f64_e32 v[17:18], v[15:16]
	v_fma_f64 v[19:20], -v[15:16], v[17:18], 1.0
	v_fma_f64 v[17:18], v[17:18], v[19:20], v[17:18]
	v_fma_f64 v[19:20], -v[15:16], v[17:18], 1.0
	v_fma_f64 v[17:18], v[17:18], v[19:20], v[17:18]
	v_mul_f64 v[19:20], v[21:22], v[17:18]
	v_fma_f64 v[15:16], -v[15:16], v[19:20], v[21:22]
	v_div_fmas_f64 v[15:16], v[15:16], v[17:18], v[19:20]
	v_div_fixup_f64 v[15:16], v[15:16], v[2:3], v[0:1]
	v_fma_f64 v[0:1], v[0:1], v[15:16], v[2:3]
	v_div_scale_f64 v[2:3], null, v[0:1], v[0:1], 1.0
	v_rcp_f64_e32 v[17:18], v[2:3]
	v_fma_f64 v[19:20], -v[2:3], v[17:18], 1.0
	v_fma_f64 v[17:18], v[17:18], v[19:20], v[17:18]
	v_fma_f64 v[19:20], -v[2:3], v[17:18], 1.0
	v_fma_f64 v[17:18], v[17:18], v[19:20], v[17:18]
	v_div_scale_f64 v[19:20], vcc_lo, 1.0, v[0:1], 1.0
	v_mul_f64 v[21:22], v[19:20], v[17:18]
	v_fma_f64 v[2:3], -v[2:3], v[21:22], v[19:20]
	v_div_fmas_f64 v[2:3], v[2:3], v[17:18], v[21:22]
	v_div_fixup_f64 v[2:3], v[2:3], v[0:1], 1.0
	v_mul_f64 v[0:1], v[15:16], v[2:3]
	v_xor_b32_e32 v3, 0x80000000, v3
.LBB122_1292:
	s_andn2_saveexec_b32 s16, s16
	s_cbranch_execz .LBB122_1294
; %bb.1293:
	v_div_scale_f64 v[15:16], null, v[0:1], v[0:1], v[2:3]
	v_div_scale_f64 v[21:22], vcc_lo, v[2:3], v[0:1], v[2:3]
	v_rcp_f64_e32 v[17:18], v[15:16]
	v_fma_f64 v[19:20], -v[15:16], v[17:18], 1.0
	v_fma_f64 v[17:18], v[17:18], v[19:20], v[17:18]
	v_fma_f64 v[19:20], -v[15:16], v[17:18], 1.0
	v_fma_f64 v[17:18], v[17:18], v[19:20], v[17:18]
	v_mul_f64 v[19:20], v[21:22], v[17:18]
	v_fma_f64 v[15:16], -v[15:16], v[19:20], v[21:22]
	v_div_fmas_f64 v[15:16], v[15:16], v[17:18], v[19:20]
	v_div_fixup_f64 v[15:16], v[15:16], v[0:1], v[2:3]
	v_fma_f64 v[0:1], v[2:3], v[15:16], v[0:1]
	v_div_scale_f64 v[2:3], null, v[0:1], v[0:1], 1.0
	v_rcp_f64_e32 v[17:18], v[2:3]
	v_fma_f64 v[19:20], -v[2:3], v[17:18], 1.0
	v_fma_f64 v[17:18], v[17:18], v[19:20], v[17:18]
	v_fma_f64 v[19:20], -v[2:3], v[17:18], 1.0
	v_fma_f64 v[17:18], v[17:18], v[19:20], v[17:18]
	v_div_scale_f64 v[19:20], vcc_lo, 1.0, v[0:1], 1.0
	v_mul_f64 v[21:22], v[19:20], v[17:18]
	v_fma_f64 v[2:3], -v[2:3], v[21:22], v[19:20]
	v_div_fmas_f64 v[2:3], v[2:3], v[17:18], v[21:22]
	v_div_fixup_f64 v[0:1], v[2:3], v[0:1], 1.0
	v_mul_f64 v[2:3], v[15:16], -v[0:1]
.LBB122_1294:
	s_or_b32 exec_lo, exec_lo, s16
.LBB122_1295:
	s_or_b32 exec_lo, exec_lo, s4
	s_mov_b32 s4, exec_lo
	v_cmpx_ne_u32_e64 v11, v4
	s_xor_b32 s4, exec_lo, s4
	s_cbranch_execz .LBB122_1301
; %bb.1296:
	s_mov_b32 s16, exec_lo
	v_cmpx_eq_u32_e32 55, v11
	s_cbranch_execz .LBB122_1300
; %bb.1297:
	v_cmp_ne_u32_e32 vcc_lo, 55, v4
	s_xor_b32 s17, s20, -1
	s_and_b32 s56, s17, vcc_lo
	s_and_saveexec_b32 s17, s56
	s_cbranch_execz .LBB122_1299
; %bb.1298:
	v_ashrrev_i32_e32 v5, 31, v4
	v_lshlrev_b64 v[10:11], 2, v[4:5]
	v_add_co_u32 v10, vcc_lo, v8, v10
	v_add_co_ci_u32_e64 v11, null, v9, v11, vcc_lo
	s_clause 0x1
	global_load_dword v5, v[10:11], off
	global_load_dword v15, v[8:9], off offset:220
	s_waitcnt vmcnt(1)
	global_store_dword v[8:9], v5, off offset:220
	s_waitcnt vmcnt(0)
	global_store_dword v[10:11], v15, off
.LBB122_1299:
	s_or_b32 exec_lo, exec_lo, s17
	v_mov_b32_e32 v11, v4
	v_mov_b32_e32 v5, v4
.LBB122_1300:
	s_or_b32 exec_lo, exec_lo, s16
.LBB122_1301:
	s_andn2_saveexec_b32 s4, s4
	s_cbranch_execz .LBB122_1303
; %bb.1302:
	v_mov_b32_e32 v4, s23
	v_mov_b32_e32 v10, s22
	;; [unrolled: 1-line block ×3, first 2 shown]
	s_clause 0x7
	buffer_load_dword v15, v4, s[0:3], 0 offen
	buffer_load_dword v16, v4, s[0:3], 0 offen offset:4
	buffer_load_dword v17, v4, s[0:3], 0 offen offset:8
	;; [unrolled: 1-line block ×3, first 2 shown]
	buffer_load_dword v19, v10, s[0:3], 0 offen
	buffer_load_dword v20, v10, s[0:3], 0 offen offset:4
	buffer_load_dword v21, v10, s[0:3], 0 offen offset:8
	;; [unrolled: 1-line block ×3, first 2 shown]
	v_mov_b32_e32 v10, s7
	v_mov_b32_e32 v4, s18
	s_clause 0x7
	buffer_load_dword v23, v11, s[0:3], 0 offen
	buffer_load_dword v24, v11, s[0:3], 0 offen offset:4
	buffer_load_dword v25, v11, s[0:3], 0 offen offset:8
	;; [unrolled: 1-line block ×3, first 2 shown]
	buffer_load_dword v27, v4, s[0:3], 0 offen
	buffer_load_dword v28, v4, s[0:3], 0 offen offset:4
	buffer_load_dword v29, v4, s[0:3], 0 offen offset:8
	;; [unrolled: 1-line block ×3, first 2 shown]
	v_mov_b32_e32 v4, s5
	s_clause 0x7
	buffer_load_dword v31, v10, s[0:3], 0 offen
	buffer_load_dword v32, v10, s[0:3], 0 offen offset:4
	buffer_load_dword v33, v10, s[0:3], 0 offen offset:8
	;; [unrolled: 1-line block ×3, first 2 shown]
	buffer_load_dword v35, v4, s[0:3], 0 offen
	buffer_load_dword v36, v4, s[0:3], 0 offen offset:4
	buffer_load_dword v37, v4, s[0:3], 0 offen offset:8
	;; [unrolled: 1-line block ×3, first 2 shown]
	v_mov_b32_e32 v11, 55
	s_waitcnt vmcnt(20)
	ds_write2_b64 v12, v[15:16], v[17:18] offset0:112 offset1:113
	s_waitcnt vmcnt(16)
	ds_write2_b64 v12, v[19:20], v[21:22] offset0:114 offset1:115
	;; [unrolled: 2-line block ×6, first 2 shown]
.LBB122_1303:
	s_or_b32 exec_lo, exec_lo, s4
	s_mov_b32 s4, exec_lo
	s_waitcnt lgkmcnt(0)
	s_waitcnt_vscnt null, 0x0
	s_barrier
	buffer_gl0_inv
	v_cmpx_lt_i32_e32 55, v11
	s_cbranch_execz .LBB122_1305
; %bb.1304:
	s_clause 0x1b
	buffer_load_dword v15, off, s[0:3], 0 offset:888
	buffer_load_dword v16, off, s[0:3], 0 offset:892
	;; [unrolled: 1-line block ×28, first 2 shown]
	s_waitcnt vmcnt(26)
	v_mul_f64 v[17:18], v[0:1], v[15:16]
	v_mul_f64 v[65:66], v[2:3], v[15:16]
	s_waitcnt vmcnt(24)
	v_fma_f64 v[2:3], v[2:3], v[39:40], v[17:18]
	ds_read2_b64 v[15:18], v12 offset0:112 offset1:113
	ds_read2_b64 v[19:22], v12 offset0:114 offset1:115
	ds_read2_b64 v[23:26], v12 offset0:116 offset1:117
	ds_read2_b64 v[27:30], v12 offset0:118 offset1:119
	ds_read2_b64 v[31:34], v12 offset0:120 offset1:121
	ds_read2_b64 v[35:38], v12 offset0:122 offset1:123
	v_fma_f64 v[0:1], v[0:1], v[39:40], -v[65:66]
	s_waitcnt lgkmcnt(5)
	v_mul_f64 v[39:40], v[17:18], v[2:3]
	v_mul_f64 v[65:66], v[15:16], v[2:3]
	s_waitcnt lgkmcnt(4)
	v_mul_f64 v[67:68], v[21:22], v[2:3]
	v_mul_f64 v[69:70], v[19:20], v[2:3]
	;; [unrolled: 3-line block ×6, first 2 shown]
	buffer_store_dword v0, off, s[0:3], 0 offset:880
	buffer_store_dword v1, off, s[0:3], 0 offset:884
	;; [unrolled: 1-line block ×4, first 2 shown]
	v_fma_f64 v[15:16], v[15:16], v[0:1], -v[39:40]
	v_fma_f64 v[17:18], v[17:18], v[0:1], v[65:66]
	v_fma_f64 v[19:20], v[19:20], v[0:1], -v[67:68]
	v_fma_f64 v[21:22], v[21:22], v[0:1], v[69:70]
	;; [unrolled: 2-line block ×6, first 2 shown]
	s_waitcnt vmcnt(22)
	v_add_f64 v[15:16], v[41:42], -v[15:16]
	s_waitcnt vmcnt(20)
	v_add_f64 v[17:18], v[43:44], -v[17:18]
	;; [unrolled: 2-line block ×12, first 2 shown]
	buffer_store_dword v15, off, s[0:3], 0 offset:896
	buffer_store_dword v16, off, s[0:3], 0 offset:900
	;; [unrolled: 1-line block ×24, first 2 shown]
.LBB122_1305:
	s_or_b32 exec_lo, exec_lo, s4
	v_mov_b32_e32 v3, s23
	s_waitcnt_vscnt null, 0x0
	s_barrier
	buffer_gl0_inv
	v_lshl_add_u32 v4, v11, 4, v12
	s_clause 0x3
	buffer_load_dword v0, v3, s[0:3], 0 offen
	buffer_load_dword v1, v3, s[0:3], 0 offen offset:4
	buffer_load_dword v2, v3, s[0:3], 0 offen offset:8
	;; [unrolled: 1-line block ×3, first 2 shown]
	s_cmp_lt_i32 s57, 58
	s_waitcnt vmcnt(0)
	ds_write2_b64 v4, v[0:1], v[2:3] offset1:1
	s_waitcnt lgkmcnt(0)
	s_barrier
	buffer_gl0_inv
	ds_read2_b64 v[0:3], v12 offset0:112 offset1:113
	v_mov_b32_e32 v4, 56
	s_cbranch_scc1 .LBB122_1308
; %bb.1306:
	v_add3_u32 v10, v14, 0, 0x390
	v_mov_b32_e32 v4, 56
	s_mov_b32 s16, 57
	s_inst_prefetch 0x1
	.p2align	6
.LBB122_1307:                           ; =>This Inner Loop Header: Depth=1
	s_waitcnt lgkmcnt(0)
	v_cmp_gt_f64_e32 vcc_lo, 0, v[2:3]
	v_cmp_gt_f64_e64 s4, 0, v[0:1]
	ds_read2_b64 v[15:18], v10 offset1:1
	v_xor_b32_e32 v20, 0x80000000, v1
	v_xor_b32_e32 v22, 0x80000000, v3
	v_mov_b32_e32 v19, v0
	v_mov_b32_e32 v21, v2
	v_add_nc_u32_e32 v10, 16, v10
	s_waitcnt lgkmcnt(0)
	v_xor_b32_e32 v24, 0x80000000, v18
	v_cndmask_b32_e64 v20, v1, v20, s4
	v_cndmask_b32_e32 v22, v3, v22, vcc_lo
	v_cmp_gt_f64_e32 vcc_lo, 0, v[17:18]
	v_cmp_gt_f64_e64 s4, 0, v[15:16]
	v_mov_b32_e32 v23, v17
	v_add_f64 v[19:20], v[19:20], v[21:22]
	v_xor_b32_e32 v22, 0x80000000, v16
	v_mov_b32_e32 v21, v15
	v_cndmask_b32_e32 v24, v18, v24, vcc_lo
	v_cndmask_b32_e64 v22, v16, v22, s4
	v_add_f64 v[21:22], v[21:22], v[23:24]
	v_cmp_lt_f64_e32 vcc_lo, v[19:20], v[21:22]
	v_cndmask_b32_e32 v1, v1, v16, vcc_lo
	v_cndmask_b32_e32 v0, v0, v15, vcc_lo
	;; [unrolled: 1-line block ×4, first 2 shown]
	v_cndmask_b32_e64 v4, v4, s16, vcc_lo
	s_add_i32 s16, s16, 1
	s_cmp_lg_u32 s57, s16
	s_cbranch_scc1 .LBB122_1307
.LBB122_1308:
	s_inst_prefetch 0x2
	s_waitcnt lgkmcnt(0)
	v_cmp_eq_f64_e32 vcc_lo, 0, v[0:1]
	v_cmp_eq_f64_e64 s4, 0, v[2:3]
	s_and_b32 s4, vcc_lo, s4
	s_and_saveexec_b32 s16, s4
	s_xor_b32 s4, exec_lo, s16
; %bb.1309:
	v_cmp_ne_u32_e32 vcc_lo, 0, v13
	v_cndmask_b32_e32 v13, 57, v13, vcc_lo
; %bb.1310:
	s_andn2_saveexec_b32 s4, s4
	s_cbranch_execz .LBB122_1316
; %bb.1311:
	v_cmp_ngt_f64_e64 s16, |v[0:1]|, |v[2:3]|
	s_and_saveexec_b32 s17, s16
	s_xor_b32 s16, exec_lo, s17
	s_cbranch_execz .LBB122_1313
; %bb.1312:
	v_div_scale_f64 v[15:16], null, v[2:3], v[2:3], v[0:1]
	v_div_scale_f64 v[21:22], vcc_lo, v[0:1], v[2:3], v[0:1]
	v_rcp_f64_e32 v[17:18], v[15:16]
	v_fma_f64 v[19:20], -v[15:16], v[17:18], 1.0
	v_fma_f64 v[17:18], v[17:18], v[19:20], v[17:18]
	v_fma_f64 v[19:20], -v[15:16], v[17:18], 1.0
	v_fma_f64 v[17:18], v[17:18], v[19:20], v[17:18]
	v_mul_f64 v[19:20], v[21:22], v[17:18]
	v_fma_f64 v[15:16], -v[15:16], v[19:20], v[21:22]
	v_div_fmas_f64 v[15:16], v[15:16], v[17:18], v[19:20]
	v_div_fixup_f64 v[15:16], v[15:16], v[2:3], v[0:1]
	v_fma_f64 v[0:1], v[0:1], v[15:16], v[2:3]
	v_div_scale_f64 v[2:3], null, v[0:1], v[0:1], 1.0
	v_rcp_f64_e32 v[17:18], v[2:3]
	v_fma_f64 v[19:20], -v[2:3], v[17:18], 1.0
	v_fma_f64 v[17:18], v[17:18], v[19:20], v[17:18]
	v_fma_f64 v[19:20], -v[2:3], v[17:18], 1.0
	v_fma_f64 v[17:18], v[17:18], v[19:20], v[17:18]
	v_div_scale_f64 v[19:20], vcc_lo, 1.0, v[0:1], 1.0
	v_mul_f64 v[21:22], v[19:20], v[17:18]
	v_fma_f64 v[2:3], -v[2:3], v[21:22], v[19:20]
	v_div_fmas_f64 v[2:3], v[2:3], v[17:18], v[21:22]
	v_div_fixup_f64 v[2:3], v[2:3], v[0:1], 1.0
	v_mul_f64 v[0:1], v[15:16], v[2:3]
	v_xor_b32_e32 v3, 0x80000000, v3
.LBB122_1313:
	s_andn2_saveexec_b32 s16, s16
	s_cbranch_execz .LBB122_1315
; %bb.1314:
	v_div_scale_f64 v[15:16], null, v[0:1], v[0:1], v[2:3]
	v_div_scale_f64 v[21:22], vcc_lo, v[2:3], v[0:1], v[2:3]
	v_rcp_f64_e32 v[17:18], v[15:16]
	v_fma_f64 v[19:20], -v[15:16], v[17:18], 1.0
	v_fma_f64 v[17:18], v[17:18], v[19:20], v[17:18]
	v_fma_f64 v[19:20], -v[15:16], v[17:18], 1.0
	v_fma_f64 v[17:18], v[17:18], v[19:20], v[17:18]
	v_mul_f64 v[19:20], v[21:22], v[17:18]
	v_fma_f64 v[15:16], -v[15:16], v[19:20], v[21:22]
	v_div_fmas_f64 v[15:16], v[15:16], v[17:18], v[19:20]
	v_div_fixup_f64 v[15:16], v[15:16], v[0:1], v[2:3]
	v_fma_f64 v[0:1], v[2:3], v[15:16], v[0:1]
	v_div_scale_f64 v[2:3], null, v[0:1], v[0:1], 1.0
	v_rcp_f64_e32 v[17:18], v[2:3]
	v_fma_f64 v[19:20], -v[2:3], v[17:18], 1.0
	v_fma_f64 v[17:18], v[17:18], v[19:20], v[17:18]
	v_fma_f64 v[19:20], -v[2:3], v[17:18], 1.0
	v_fma_f64 v[17:18], v[17:18], v[19:20], v[17:18]
	v_div_scale_f64 v[19:20], vcc_lo, 1.0, v[0:1], 1.0
	v_mul_f64 v[21:22], v[19:20], v[17:18]
	v_fma_f64 v[2:3], -v[2:3], v[21:22], v[19:20]
	v_div_fmas_f64 v[2:3], v[2:3], v[17:18], v[21:22]
	v_div_fixup_f64 v[0:1], v[2:3], v[0:1], 1.0
	v_mul_f64 v[2:3], v[15:16], -v[0:1]
.LBB122_1315:
	s_or_b32 exec_lo, exec_lo, s16
.LBB122_1316:
	s_or_b32 exec_lo, exec_lo, s4
	s_mov_b32 s4, exec_lo
	v_cmpx_ne_u32_e64 v11, v4
	s_xor_b32 s4, exec_lo, s4
	s_cbranch_execz .LBB122_1322
; %bb.1317:
	s_mov_b32 s16, exec_lo
	v_cmpx_eq_u32_e32 56, v11
	s_cbranch_execz .LBB122_1321
; %bb.1318:
	v_cmp_ne_u32_e32 vcc_lo, 56, v4
	s_xor_b32 s17, s20, -1
	s_and_b32 s56, s17, vcc_lo
	s_and_saveexec_b32 s17, s56
	s_cbranch_execz .LBB122_1320
; %bb.1319:
	v_ashrrev_i32_e32 v5, 31, v4
	v_lshlrev_b64 v[10:11], 2, v[4:5]
	v_add_co_u32 v10, vcc_lo, v8, v10
	v_add_co_ci_u32_e64 v11, null, v9, v11, vcc_lo
	s_clause 0x1
	global_load_dword v5, v[10:11], off
	global_load_dword v15, v[8:9], off offset:224
	s_waitcnt vmcnt(1)
	global_store_dword v[8:9], v5, off offset:224
	s_waitcnt vmcnt(0)
	global_store_dword v[10:11], v15, off
.LBB122_1320:
	s_or_b32 exec_lo, exec_lo, s17
	v_mov_b32_e32 v11, v4
	v_mov_b32_e32 v5, v4
.LBB122_1321:
	s_or_b32 exec_lo, exec_lo, s16
.LBB122_1322:
	s_andn2_saveexec_b32 s4, s4
	s_cbranch_execz .LBB122_1324
; %bb.1323:
	v_mov_b32_e32 v4, s22
	v_mov_b32_e32 v11, s18
	;; [unrolled: 1-line block ×3, first 2 shown]
	s_clause 0x7
	buffer_load_dword v15, v4, s[0:3], 0 offen
	buffer_load_dword v16, v4, s[0:3], 0 offen offset:4
	buffer_load_dword v17, v4, s[0:3], 0 offen offset:8
	;; [unrolled: 1-line block ×3, first 2 shown]
	buffer_load_dword v19, v10, s[0:3], 0 offen
	buffer_load_dword v20, v10, s[0:3], 0 offen offset:4
	buffer_load_dword v21, v10, s[0:3], 0 offen offset:8
	;; [unrolled: 1-line block ×3, first 2 shown]
	v_mov_b32_e32 v4, s7
	v_mov_b32_e32 v10, s5
	s_clause 0xb
	buffer_load_dword v23, v11, s[0:3], 0 offen
	buffer_load_dword v24, v11, s[0:3], 0 offen offset:4
	buffer_load_dword v25, v11, s[0:3], 0 offen offset:8
	buffer_load_dword v26, v11, s[0:3], 0 offen offset:12
	buffer_load_dword v27, v4, s[0:3], 0 offen
	buffer_load_dword v28, v4, s[0:3], 0 offen offset:4
	buffer_load_dword v29, v4, s[0:3], 0 offen offset:8
	buffer_load_dword v30, v4, s[0:3], 0 offen offset:12
	;; [unrolled: 4-line block ×3, first 2 shown]
	v_mov_b32_e32 v11, 56
	s_waitcnt vmcnt(16)
	ds_write2_b64 v12, v[15:16], v[17:18] offset0:114 offset1:115
	s_waitcnt vmcnt(12)
	ds_write2_b64 v12, v[19:20], v[21:22] offset0:116 offset1:117
	;; [unrolled: 2-line block ×5, first 2 shown]
.LBB122_1324:
	s_or_b32 exec_lo, exec_lo, s4
	s_mov_b32 s4, exec_lo
	s_waitcnt lgkmcnt(0)
	s_waitcnt_vscnt null, 0x0
	s_barrier
	buffer_gl0_inv
	v_cmpx_lt_i32_e32 56, v11
	s_cbranch_execz .LBB122_1326
; %bb.1325:
	s_clause 0x17
	buffer_load_dword v15, off, s[0:3], 0 offset:904
	buffer_load_dword v16, off, s[0:3], 0 offset:908
	;; [unrolled: 1-line block ×24, first 2 shown]
	s_waitcnt vmcnt(22)
	v_mul_f64 v[17:18], v[0:1], v[15:16]
	v_mul_f64 v[57:58], v[2:3], v[15:16]
	s_waitcnt vmcnt(20)
	v_fma_f64 v[2:3], v[2:3], v[35:36], v[17:18]
	ds_read2_b64 v[15:18], v12 offset0:114 offset1:115
	ds_read2_b64 v[19:22], v12 offset0:116 offset1:117
	;; [unrolled: 1-line block ×5, first 2 shown]
	v_fma_f64 v[0:1], v[0:1], v[35:36], -v[57:58]
	s_waitcnt lgkmcnt(4)
	v_mul_f64 v[35:36], v[17:18], v[2:3]
	v_mul_f64 v[57:58], v[15:16], v[2:3]
	s_waitcnt lgkmcnt(3)
	v_mul_f64 v[59:60], v[21:22], v[2:3]
	v_mul_f64 v[61:62], v[19:20], v[2:3]
	;; [unrolled: 3-line block ×5, first 2 shown]
	buffer_store_dword v0, off, s[0:3], 0 offset:896
	v_fma_f64 v[15:16], v[15:16], v[0:1], -v[35:36]
	v_fma_f64 v[17:18], v[17:18], v[0:1], v[57:58]
	v_fma_f64 v[19:20], v[19:20], v[0:1], -v[59:60]
	v_fma_f64 v[21:22], v[21:22], v[0:1], v[61:62]
	;; [unrolled: 2-line block ×5, first 2 shown]
	s_waitcnt vmcnt(18)
	v_add_f64 v[15:16], v[37:38], -v[15:16]
	s_waitcnt vmcnt(16)
	v_add_f64 v[17:18], v[39:40], -v[17:18]
	;; [unrolled: 2-line block ×10, first 2 shown]
	buffer_store_dword v1, off, s[0:3], 0 offset:900
	buffer_store_dword v2, off, s[0:3], 0 offset:904
	;; [unrolled: 1-line block ×23, first 2 shown]
.LBB122_1326:
	s_or_b32 exec_lo, exec_lo, s4
	v_mov_b32_e32 v3, s22
	s_waitcnt_vscnt null, 0x0
	s_barrier
	buffer_gl0_inv
	v_lshl_add_u32 v4, v11, 4, v12
	s_clause 0x3
	buffer_load_dword v0, v3, s[0:3], 0 offen
	buffer_load_dword v1, v3, s[0:3], 0 offen offset:4
	buffer_load_dword v2, v3, s[0:3], 0 offen offset:8
	;; [unrolled: 1-line block ×3, first 2 shown]
	s_cmp_lt_i32 s57, 59
	s_waitcnt vmcnt(0)
	ds_write2_b64 v4, v[0:1], v[2:3] offset1:1
	s_waitcnt lgkmcnt(0)
	s_barrier
	buffer_gl0_inv
	ds_read2_b64 v[0:3], v12 offset0:114 offset1:115
	v_mov_b32_e32 v4, 57
	s_cbranch_scc1 .LBB122_1329
; %bb.1327:
	v_add3_u32 v10, v14, 0, 0x3a0
	v_mov_b32_e32 v4, 57
	s_mov_b32 s16, 58
	s_inst_prefetch 0x1
	.p2align	6
.LBB122_1328:                           ; =>This Inner Loop Header: Depth=1
	s_waitcnt lgkmcnt(0)
	v_cmp_gt_f64_e32 vcc_lo, 0, v[2:3]
	v_cmp_gt_f64_e64 s4, 0, v[0:1]
	ds_read2_b64 v[15:18], v10 offset1:1
	v_xor_b32_e32 v20, 0x80000000, v1
	v_xor_b32_e32 v22, 0x80000000, v3
	v_mov_b32_e32 v19, v0
	v_mov_b32_e32 v21, v2
	v_add_nc_u32_e32 v10, 16, v10
	s_waitcnt lgkmcnt(0)
	v_xor_b32_e32 v24, 0x80000000, v18
	v_cndmask_b32_e64 v20, v1, v20, s4
	v_cndmask_b32_e32 v22, v3, v22, vcc_lo
	v_cmp_gt_f64_e32 vcc_lo, 0, v[17:18]
	v_cmp_gt_f64_e64 s4, 0, v[15:16]
	v_mov_b32_e32 v23, v17
	v_add_f64 v[19:20], v[19:20], v[21:22]
	v_xor_b32_e32 v22, 0x80000000, v16
	v_mov_b32_e32 v21, v15
	v_cndmask_b32_e32 v24, v18, v24, vcc_lo
	v_cndmask_b32_e64 v22, v16, v22, s4
	v_add_f64 v[21:22], v[21:22], v[23:24]
	v_cmp_lt_f64_e32 vcc_lo, v[19:20], v[21:22]
	v_cndmask_b32_e32 v1, v1, v16, vcc_lo
	v_cndmask_b32_e32 v0, v0, v15, vcc_lo
	;; [unrolled: 1-line block ×4, first 2 shown]
	v_cndmask_b32_e64 v4, v4, s16, vcc_lo
	s_add_i32 s16, s16, 1
	s_cmp_lg_u32 s57, s16
	s_cbranch_scc1 .LBB122_1328
.LBB122_1329:
	s_inst_prefetch 0x2
	s_waitcnt lgkmcnt(0)
	v_cmp_eq_f64_e32 vcc_lo, 0, v[0:1]
	v_cmp_eq_f64_e64 s4, 0, v[2:3]
	s_and_b32 s4, vcc_lo, s4
	s_and_saveexec_b32 s16, s4
	s_xor_b32 s4, exec_lo, s16
; %bb.1330:
	v_cmp_ne_u32_e32 vcc_lo, 0, v13
	v_cndmask_b32_e32 v13, 58, v13, vcc_lo
; %bb.1331:
	s_andn2_saveexec_b32 s4, s4
	s_cbranch_execz .LBB122_1337
; %bb.1332:
	v_cmp_ngt_f64_e64 s16, |v[0:1]|, |v[2:3]|
	s_and_saveexec_b32 s17, s16
	s_xor_b32 s16, exec_lo, s17
	s_cbranch_execz .LBB122_1334
; %bb.1333:
	v_div_scale_f64 v[15:16], null, v[2:3], v[2:3], v[0:1]
	v_div_scale_f64 v[21:22], vcc_lo, v[0:1], v[2:3], v[0:1]
	v_rcp_f64_e32 v[17:18], v[15:16]
	v_fma_f64 v[19:20], -v[15:16], v[17:18], 1.0
	v_fma_f64 v[17:18], v[17:18], v[19:20], v[17:18]
	v_fma_f64 v[19:20], -v[15:16], v[17:18], 1.0
	v_fma_f64 v[17:18], v[17:18], v[19:20], v[17:18]
	v_mul_f64 v[19:20], v[21:22], v[17:18]
	v_fma_f64 v[15:16], -v[15:16], v[19:20], v[21:22]
	v_div_fmas_f64 v[15:16], v[15:16], v[17:18], v[19:20]
	v_div_fixup_f64 v[15:16], v[15:16], v[2:3], v[0:1]
	v_fma_f64 v[0:1], v[0:1], v[15:16], v[2:3]
	v_div_scale_f64 v[2:3], null, v[0:1], v[0:1], 1.0
	v_rcp_f64_e32 v[17:18], v[2:3]
	v_fma_f64 v[19:20], -v[2:3], v[17:18], 1.0
	v_fma_f64 v[17:18], v[17:18], v[19:20], v[17:18]
	v_fma_f64 v[19:20], -v[2:3], v[17:18], 1.0
	v_fma_f64 v[17:18], v[17:18], v[19:20], v[17:18]
	v_div_scale_f64 v[19:20], vcc_lo, 1.0, v[0:1], 1.0
	v_mul_f64 v[21:22], v[19:20], v[17:18]
	v_fma_f64 v[2:3], -v[2:3], v[21:22], v[19:20]
	v_div_fmas_f64 v[2:3], v[2:3], v[17:18], v[21:22]
	v_div_fixup_f64 v[2:3], v[2:3], v[0:1], 1.0
	v_mul_f64 v[0:1], v[15:16], v[2:3]
	v_xor_b32_e32 v3, 0x80000000, v3
.LBB122_1334:
	s_andn2_saveexec_b32 s16, s16
	s_cbranch_execz .LBB122_1336
; %bb.1335:
	v_div_scale_f64 v[15:16], null, v[0:1], v[0:1], v[2:3]
	v_div_scale_f64 v[21:22], vcc_lo, v[2:3], v[0:1], v[2:3]
	v_rcp_f64_e32 v[17:18], v[15:16]
	v_fma_f64 v[19:20], -v[15:16], v[17:18], 1.0
	v_fma_f64 v[17:18], v[17:18], v[19:20], v[17:18]
	v_fma_f64 v[19:20], -v[15:16], v[17:18], 1.0
	v_fma_f64 v[17:18], v[17:18], v[19:20], v[17:18]
	v_mul_f64 v[19:20], v[21:22], v[17:18]
	v_fma_f64 v[15:16], -v[15:16], v[19:20], v[21:22]
	v_div_fmas_f64 v[15:16], v[15:16], v[17:18], v[19:20]
	v_div_fixup_f64 v[15:16], v[15:16], v[0:1], v[2:3]
	v_fma_f64 v[0:1], v[2:3], v[15:16], v[0:1]
	v_div_scale_f64 v[2:3], null, v[0:1], v[0:1], 1.0
	v_rcp_f64_e32 v[17:18], v[2:3]
	v_fma_f64 v[19:20], -v[2:3], v[17:18], 1.0
	v_fma_f64 v[17:18], v[17:18], v[19:20], v[17:18]
	v_fma_f64 v[19:20], -v[2:3], v[17:18], 1.0
	v_fma_f64 v[17:18], v[17:18], v[19:20], v[17:18]
	v_div_scale_f64 v[19:20], vcc_lo, 1.0, v[0:1], 1.0
	v_mul_f64 v[21:22], v[19:20], v[17:18]
	v_fma_f64 v[2:3], -v[2:3], v[21:22], v[19:20]
	v_div_fmas_f64 v[2:3], v[2:3], v[17:18], v[21:22]
	v_div_fixup_f64 v[0:1], v[2:3], v[0:1], 1.0
	v_mul_f64 v[2:3], v[15:16], -v[0:1]
.LBB122_1336:
	s_or_b32 exec_lo, exec_lo, s16
.LBB122_1337:
	s_or_b32 exec_lo, exec_lo, s4
	s_mov_b32 s4, exec_lo
	v_cmpx_ne_u32_e64 v11, v4
	s_xor_b32 s4, exec_lo, s4
	s_cbranch_execz .LBB122_1343
; %bb.1338:
	s_mov_b32 s16, exec_lo
	v_cmpx_eq_u32_e32 57, v11
	s_cbranch_execz .LBB122_1342
; %bb.1339:
	v_cmp_ne_u32_e32 vcc_lo, 57, v4
	s_xor_b32 s17, s20, -1
	s_and_b32 s56, s17, vcc_lo
	s_and_saveexec_b32 s17, s56
	s_cbranch_execz .LBB122_1341
; %bb.1340:
	v_ashrrev_i32_e32 v5, 31, v4
	v_lshlrev_b64 v[10:11], 2, v[4:5]
	v_add_co_u32 v10, vcc_lo, v8, v10
	v_add_co_ci_u32_e64 v11, null, v9, v11, vcc_lo
	s_clause 0x1
	global_load_dword v5, v[10:11], off
	global_load_dword v15, v[8:9], off offset:228
	s_waitcnt vmcnt(1)
	global_store_dword v[8:9], v5, off offset:228
	s_waitcnt vmcnt(0)
	global_store_dword v[10:11], v15, off
.LBB122_1341:
	s_or_b32 exec_lo, exec_lo, s17
	v_mov_b32_e32 v11, v4
	v_mov_b32_e32 v5, v4
.LBB122_1342:
	s_or_b32 exec_lo, exec_lo, s16
.LBB122_1343:
	s_andn2_saveexec_b32 s4, s4
	s_cbranch_execz .LBB122_1345
; %bb.1344:
	v_mov_b32_e32 v4, s19
	v_mov_b32_e32 v11, s7
	;; [unrolled: 1-line block ×3, first 2 shown]
	s_clause 0x7
	buffer_load_dword v15, v4, s[0:3], 0 offen
	buffer_load_dword v16, v4, s[0:3], 0 offen offset:4
	buffer_load_dword v17, v4, s[0:3], 0 offen offset:8
	;; [unrolled: 1-line block ×3, first 2 shown]
	buffer_load_dword v19, v10, s[0:3], 0 offen
	buffer_load_dword v20, v10, s[0:3], 0 offen offset:4
	buffer_load_dword v21, v10, s[0:3], 0 offen offset:8
	;; [unrolled: 1-line block ×3, first 2 shown]
	v_mov_b32_e32 v4, s5
	s_clause 0x7
	buffer_load_dword v23, v11, s[0:3], 0 offen
	buffer_load_dword v24, v11, s[0:3], 0 offen offset:4
	buffer_load_dword v25, v11, s[0:3], 0 offen offset:8
	;; [unrolled: 1-line block ×3, first 2 shown]
	buffer_load_dword v27, v4, s[0:3], 0 offen
	buffer_load_dword v28, v4, s[0:3], 0 offen offset:4
	buffer_load_dword v29, v4, s[0:3], 0 offen offset:8
	;; [unrolled: 1-line block ×3, first 2 shown]
	v_mov_b32_e32 v11, 57
	s_waitcnt vmcnt(12)
	ds_write2_b64 v12, v[15:16], v[17:18] offset0:116 offset1:117
	s_waitcnt vmcnt(8)
	ds_write2_b64 v12, v[19:20], v[21:22] offset0:118 offset1:119
	;; [unrolled: 2-line block ×4, first 2 shown]
.LBB122_1345:
	s_or_b32 exec_lo, exec_lo, s4
	s_mov_b32 s4, exec_lo
	s_waitcnt lgkmcnt(0)
	s_waitcnt_vscnt null, 0x0
	s_barrier
	buffer_gl0_inv
	v_cmpx_lt_i32_e32 57, v11
	s_cbranch_execz .LBB122_1347
; %bb.1346:
	s_clause 0x13
	buffer_load_dword v15, off, s[0:3], 0 offset:920
	buffer_load_dword v16, off, s[0:3], 0 offset:924
	;; [unrolled: 1-line block ×20, first 2 shown]
	s_waitcnt vmcnt(18)
	v_mul_f64 v[17:18], v[0:1], v[15:16]
	v_mul_f64 v[49:50], v[2:3], v[15:16]
	s_waitcnt vmcnt(16)
	v_fma_f64 v[2:3], v[2:3], v[31:32], v[17:18]
	ds_read2_b64 v[15:18], v12 offset0:116 offset1:117
	ds_read2_b64 v[19:22], v12 offset0:118 offset1:119
	;; [unrolled: 1-line block ×4, first 2 shown]
	v_fma_f64 v[0:1], v[0:1], v[31:32], -v[49:50]
	s_waitcnt lgkmcnt(3)
	v_mul_f64 v[31:32], v[17:18], v[2:3]
	v_mul_f64 v[49:50], v[15:16], v[2:3]
	s_waitcnt lgkmcnt(2)
	v_mul_f64 v[51:52], v[21:22], v[2:3]
	v_mul_f64 v[53:54], v[19:20], v[2:3]
	;; [unrolled: 3-line block ×4, first 2 shown]
	v_fma_f64 v[15:16], v[15:16], v[0:1], -v[31:32]
	v_fma_f64 v[17:18], v[17:18], v[0:1], v[49:50]
	v_fma_f64 v[19:20], v[19:20], v[0:1], -v[51:52]
	v_fma_f64 v[21:22], v[21:22], v[0:1], v[53:54]
	v_fma_f64 v[23:24], v[23:24], v[0:1], -v[55:56]
	v_fma_f64 v[25:26], v[25:26], v[0:1], v[57:58]
	v_fma_f64 v[27:28], v[27:28], v[0:1], -v[59:60]
	v_fma_f64 v[29:30], v[29:30], v[0:1], v[61:62]
	s_waitcnt vmcnt(14)
	v_add_f64 v[15:16], v[33:34], -v[15:16]
	s_waitcnt vmcnt(12)
	v_add_f64 v[17:18], v[35:36], -v[17:18]
	;; [unrolled: 2-line block ×8, first 2 shown]
	buffer_store_dword v0, off, s[0:3], 0 offset:912
	buffer_store_dword v1, off, s[0:3], 0 offset:916
	buffer_store_dword v2, off, s[0:3], 0 offset:920
	buffer_store_dword v3, off, s[0:3], 0 offset:924
	buffer_store_dword v15, off, s[0:3], 0 offset:928
	buffer_store_dword v16, off, s[0:3], 0 offset:932
	buffer_store_dword v17, off, s[0:3], 0 offset:936
	buffer_store_dword v18, off, s[0:3], 0 offset:940
	buffer_store_dword v19, off, s[0:3], 0 offset:944
	buffer_store_dword v20, off, s[0:3], 0 offset:948
	buffer_store_dword v21, off, s[0:3], 0 offset:952
	buffer_store_dword v22, off, s[0:3], 0 offset:956
	buffer_store_dword v24, off, s[0:3], 0 offset:964
	buffer_store_dword v23, off, s[0:3], 0 offset:960
	buffer_store_dword v25, off, s[0:3], 0 offset:968
	buffer_store_dword v26, off, s[0:3], 0 offset:972
	buffer_store_dword v28, off, s[0:3], 0 offset:980
	buffer_store_dword v27, off, s[0:3], 0 offset:976
	buffer_store_dword v30, off, s[0:3], 0 offset:988
	buffer_store_dword v29, off, s[0:3], 0 offset:984
.LBB122_1347:
	s_or_b32 exec_lo, exec_lo, s4
	v_mov_b32_e32 v3, s19
	s_waitcnt_vscnt null, 0x0
	s_barrier
	buffer_gl0_inv
	v_lshl_add_u32 v4, v11, 4, v12
	s_clause 0x3
	buffer_load_dword v0, v3, s[0:3], 0 offen
	buffer_load_dword v1, v3, s[0:3], 0 offen offset:4
	buffer_load_dword v2, v3, s[0:3], 0 offen offset:8
	;; [unrolled: 1-line block ×3, first 2 shown]
	s_cmp_lt_i32 s57, 60
	s_waitcnt vmcnt(0)
	ds_write2_b64 v4, v[0:1], v[2:3] offset1:1
	s_waitcnt lgkmcnt(0)
	s_barrier
	buffer_gl0_inv
	ds_read2_b64 v[0:3], v12 offset0:116 offset1:117
	v_mov_b32_e32 v4, 58
	s_cbranch_scc1 .LBB122_1350
; %bb.1348:
	v_add3_u32 v10, v14, 0, 0x3b0
	v_mov_b32_e32 v4, 58
	s_mov_b32 s16, 59
	s_inst_prefetch 0x1
	.p2align	6
.LBB122_1349:                           ; =>This Inner Loop Header: Depth=1
	s_waitcnt lgkmcnt(0)
	v_cmp_gt_f64_e32 vcc_lo, 0, v[2:3]
	v_cmp_gt_f64_e64 s4, 0, v[0:1]
	ds_read2_b64 v[15:18], v10 offset1:1
	v_xor_b32_e32 v20, 0x80000000, v1
	v_xor_b32_e32 v22, 0x80000000, v3
	v_mov_b32_e32 v19, v0
	v_mov_b32_e32 v21, v2
	v_add_nc_u32_e32 v10, 16, v10
	s_waitcnt lgkmcnt(0)
	v_xor_b32_e32 v24, 0x80000000, v18
	v_cndmask_b32_e64 v20, v1, v20, s4
	v_cndmask_b32_e32 v22, v3, v22, vcc_lo
	v_cmp_gt_f64_e32 vcc_lo, 0, v[17:18]
	v_cmp_gt_f64_e64 s4, 0, v[15:16]
	v_mov_b32_e32 v23, v17
	v_add_f64 v[19:20], v[19:20], v[21:22]
	v_xor_b32_e32 v22, 0x80000000, v16
	v_mov_b32_e32 v21, v15
	v_cndmask_b32_e32 v24, v18, v24, vcc_lo
	v_cndmask_b32_e64 v22, v16, v22, s4
	v_add_f64 v[21:22], v[21:22], v[23:24]
	v_cmp_lt_f64_e32 vcc_lo, v[19:20], v[21:22]
	v_cndmask_b32_e32 v1, v1, v16, vcc_lo
	v_cndmask_b32_e32 v0, v0, v15, vcc_lo
	;; [unrolled: 1-line block ×4, first 2 shown]
	v_cndmask_b32_e64 v4, v4, s16, vcc_lo
	s_add_i32 s16, s16, 1
	s_cmp_lg_u32 s57, s16
	s_cbranch_scc1 .LBB122_1349
.LBB122_1350:
	s_inst_prefetch 0x2
	s_waitcnt lgkmcnt(0)
	v_cmp_eq_f64_e32 vcc_lo, 0, v[0:1]
	v_cmp_eq_f64_e64 s4, 0, v[2:3]
	s_and_b32 s4, vcc_lo, s4
	s_and_saveexec_b32 s16, s4
	s_xor_b32 s4, exec_lo, s16
; %bb.1351:
	v_cmp_ne_u32_e32 vcc_lo, 0, v13
	v_cndmask_b32_e32 v13, 59, v13, vcc_lo
; %bb.1352:
	s_andn2_saveexec_b32 s4, s4
	s_cbranch_execz .LBB122_1358
; %bb.1353:
	v_cmp_ngt_f64_e64 s16, |v[0:1]|, |v[2:3]|
	s_and_saveexec_b32 s17, s16
	s_xor_b32 s16, exec_lo, s17
	s_cbranch_execz .LBB122_1355
; %bb.1354:
	v_div_scale_f64 v[15:16], null, v[2:3], v[2:3], v[0:1]
	v_div_scale_f64 v[21:22], vcc_lo, v[0:1], v[2:3], v[0:1]
	v_rcp_f64_e32 v[17:18], v[15:16]
	v_fma_f64 v[19:20], -v[15:16], v[17:18], 1.0
	v_fma_f64 v[17:18], v[17:18], v[19:20], v[17:18]
	v_fma_f64 v[19:20], -v[15:16], v[17:18], 1.0
	v_fma_f64 v[17:18], v[17:18], v[19:20], v[17:18]
	v_mul_f64 v[19:20], v[21:22], v[17:18]
	v_fma_f64 v[15:16], -v[15:16], v[19:20], v[21:22]
	v_div_fmas_f64 v[15:16], v[15:16], v[17:18], v[19:20]
	v_div_fixup_f64 v[15:16], v[15:16], v[2:3], v[0:1]
	v_fma_f64 v[0:1], v[0:1], v[15:16], v[2:3]
	v_div_scale_f64 v[2:3], null, v[0:1], v[0:1], 1.0
	v_rcp_f64_e32 v[17:18], v[2:3]
	v_fma_f64 v[19:20], -v[2:3], v[17:18], 1.0
	v_fma_f64 v[17:18], v[17:18], v[19:20], v[17:18]
	v_fma_f64 v[19:20], -v[2:3], v[17:18], 1.0
	v_fma_f64 v[17:18], v[17:18], v[19:20], v[17:18]
	v_div_scale_f64 v[19:20], vcc_lo, 1.0, v[0:1], 1.0
	v_mul_f64 v[21:22], v[19:20], v[17:18]
	v_fma_f64 v[2:3], -v[2:3], v[21:22], v[19:20]
	v_div_fmas_f64 v[2:3], v[2:3], v[17:18], v[21:22]
	v_div_fixup_f64 v[2:3], v[2:3], v[0:1], 1.0
	v_mul_f64 v[0:1], v[15:16], v[2:3]
	v_xor_b32_e32 v3, 0x80000000, v3
.LBB122_1355:
	s_andn2_saveexec_b32 s16, s16
	s_cbranch_execz .LBB122_1357
; %bb.1356:
	v_div_scale_f64 v[15:16], null, v[0:1], v[0:1], v[2:3]
	v_div_scale_f64 v[21:22], vcc_lo, v[2:3], v[0:1], v[2:3]
	v_rcp_f64_e32 v[17:18], v[15:16]
	v_fma_f64 v[19:20], -v[15:16], v[17:18], 1.0
	v_fma_f64 v[17:18], v[17:18], v[19:20], v[17:18]
	v_fma_f64 v[19:20], -v[15:16], v[17:18], 1.0
	v_fma_f64 v[17:18], v[17:18], v[19:20], v[17:18]
	v_mul_f64 v[19:20], v[21:22], v[17:18]
	v_fma_f64 v[15:16], -v[15:16], v[19:20], v[21:22]
	v_div_fmas_f64 v[15:16], v[15:16], v[17:18], v[19:20]
	v_div_fixup_f64 v[15:16], v[15:16], v[0:1], v[2:3]
	v_fma_f64 v[0:1], v[2:3], v[15:16], v[0:1]
	v_div_scale_f64 v[2:3], null, v[0:1], v[0:1], 1.0
	v_rcp_f64_e32 v[17:18], v[2:3]
	v_fma_f64 v[19:20], -v[2:3], v[17:18], 1.0
	v_fma_f64 v[17:18], v[17:18], v[19:20], v[17:18]
	v_fma_f64 v[19:20], -v[2:3], v[17:18], 1.0
	v_fma_f64 v[17:18], v[17:18], v[19:20], v[17:18]
	v_div_scale_f64 v[19:20], vcc_lo, 1.0, v[0:1], 1.0
	v_mul_f64 v[21:22], v[19:20], v[17:18]
	v_fma_f64 v[2:3], -v[2:3], v[21:22], v[19:20]
	v_div_fmas_f64 v[2:3], v[2:3], v[17:18], v[21:22]
	v_div_fixup_f64 v[0:1], v[2:3], v[0:1], 1.0
	v_mul_f64 v[2:3], v[15:16], -v[0:1]
.LBB122_1357:
	s_or_b32 exec_lo, exec_lo, s16
.LBB122_1358:
	s_or_b32 exec_lo, exec_lo, s4
	s_mov_b32 s4, exec_lo
	v_cmpx_ne_u32_e64 v11, v4
	s_xor_b32 s4, exec_lo, s4
	s_cbranch_execz .LBB122_1364
; %bb.1359:
	s_mov_b32 s16, exec_lo
	v_cmpx_eq_u32_e32 58, v11
	s_cbranch_execz .LBB122_1363
; %bb.1360:
	v_cmp_ne_u32_e32 vcc_lo, 58, v4
	s_xor_b32 s17, s20, -1
	s_and_b32 s56, s17, vcc_lo
	s_and_saveexec_b32 s17, s56
	s_cbranch_execz .LBB122_1362
; %bb.1361:
	v_ashrrev_i32_e32 v5, 31, v4
	v_lshlrev_b64 v[10:11], 2, v[4:5]
	v_add_co_u32 v10, vcc_lo, v8, v10
	v_add_co_ci_u32_e64 v11, null, v9, v11, vcc_lo
	s_clause 0x1
	global_load_dword v5, v[10:11], off
	global_load_dword v15, v[8:9], off offset:232
	s_waitcnt vmcnt(1)
	global_store_dword v[8:9], v5, off offset:232
	s_waitcnt vmcnt(0)
	global_store_dword v[10:11], v15, off
.LBB122_1362:
	s_or_b32 exec_lo, exec_lo, s17
	v_mov_b32_e32 v11, v4
	v_mov_b32_e32 v5, v4
.LBB122_1363:
	s_or_b32 exec_lo, exec_lo, s16
.LBB122_1364:
	s_andn2_saveexec_b32 s4, s4
	s_cbranch_execz .LBB122_1366
; %bb.1365:
	v_mov_b32_e32 v4, s18
	v_mov_b32_e32 v10, s7
	v_mov_b32_e32 v11, s5
	s_clause 0xb
	buffer_load_dword v15, v4, s[0:3], 0 offen
	buffer_load_dword v16, v4, s[0:3], 0 offen offset:4
	buffer_load_dword v17, v4, s[0:3], 0 offen offset:8
	buffer_load_dword v18, v4, s[0:3], 0 offen offset:12
	buffer_load_dword v19, v10, s[0:3], 0 offen
	buffer_load_dword v20, v10, s[0:3], 0 offen offset:4
	buffer_load_dword v21, v10, s[0:3], 0 offen offset:8
	buffer_load_dword v22, v10, s[0:3], 0 offen offset:12
	;; [unrolled: 4-line block ×3, first 2 shown]
	v_mov_b32_e32 v11, 58
	s_waitcnt vmcnt(8)
	ds_write2_b64 v12, v[15:16], v[17:18] offset0:118 offset1:119
	s_waitcnt vmcnt(4)
	ds_write2_b64 v12, v[19:20], v[21:22] offset0:120 offset1:121
	;; [unrolled: 2-line block ×3, first 2 shown]
.LBB122_1366:
	s_or_b32 exec_lo, exec_lo, s4
	s_mov_b32 s4, exec_lo
	s_waitcnt lgkmcnt(0)
	s_waitcnt_vscnt null, 0x0
	s_barrier
	buffer_gl0_inv
	v_cmpx_lt_i32_e32 58, v11
	s_cbranch_execz .LBB122_1368
; %bb.1367:
	s_clause 0xf
	buffer_load_dword v15, off, s[0:3], 0 offset:936
	buffer_load_dword v16, off, s[0:3], 0 offset:940
	;; [unrolled: 1-line block ×16, first 2 shown]
	s_waitcnt vmcnt(14)
	v_mul_f64 v[17:18], v[0:1], v[15:16]
	v_mul_f64 v[41:42], v[2:3], v[15:16]
	s_waitcnt vmcnt(12)
	v_fma_f64 v[2:3], v[2:3], v[27:28], v[17:18]
	ds_read2_b64 v[15:18], v12 offset0:118 offset1:119
	ds_read2_b64 v[19:22], v12 offset0:120 offset1:121
	;; [unrolled: 1-line block ×3, first 2 shown]
	v_fma_f64 v[0:1], v[0:1], v[27:28], -v[41:42]
	s_waitcnt lgkmcnt(2)
	v_mul_f64 v[27:28], v[17:18], v[2:3]
	v_mul_f64 v[41:42], v[15:16], v[2:3]
	s_waitcnt lgkmcnt(1)
	v_mul_f64 v[43:44], v[21:22], v[2:3]
	v_mul_f64 v[45:46], v[19:20], v[2:3]
	;; [unrolled: 3-line block ×3, first 2 shown]
	v_fma_f64 v[15:16], v[15:16], v[0:1], -v[27:28]
	v_fma_f64 v[17:18], v[17:18], v[0:1], v[41:42]
	v_fma_f64 v[19:20], v[19:20], v[0:1], -v[43:44]
	v_fma_f64 v[21:22], v[21:22], v[0:1], v[45:46]
	;; [unrolled: 2-line block ×3, first 2 shown]
	s_waitcnt vmcnt(10)
	v_add_f64 v[15:16], v[29:30], -v[15:16]
	s_waitcnt vmcnt(8)
	v_add_f64 v[17:18], v[31:32], -v[17:18]
	;; [unrolled: 2-line block ×6, first 2 shown]
	buffer_store_dword v0, off, s[0:3], 0 offset:928
	buffer_store_dword v1, off, s[0:3], 0 offset:932
	buffer_store_dword v2, off, s[0:3], 0 offset:936
	buffer_store_dword v3, off, s[0:3], 0 offset:940
	buffer_store_dword v15, off, s[0:3], 0 offset:944
	buffer_store_dword v16, off, s[0:3], 0 offset:948
	buffer_store_dword v17, off, s[0:3], 0 offset:952
	buffer_store_dword v18, off, s[0:3], 0 offset:956
	buffer_store_dword v19, off, s[0:3], 0 offset:960
	buffer_store_dword v20, off, s[0:3], 0 offset:964
	buffer_store_dword v21, off, s[0:3], 0 offset:968
	buffer_store_dword v22, off, s[0:3], 0 offset:972
	buffer_store_dword v24, off, s[0:3], 0 offset:980
	buffer_store_dword v23, off, s[0:3], 0 offset:976
	buffer_store_dword v25, off, s[0:3], 0 offset:984
	buffer_store_dword v26, off, s[0:3], 0 offset:988
.LBB122_1368:
	s_or_b32 exec_lo, exec_lo, s4
	v_mov_b32_e32 v3, s18
	s_waitcnt_vscnt null, 0x0
	s_barrier
	buffer_gl0_inv
	v_lshl_add_u32 v4, v11, 4, v12
	s_clause 0x3
	buffer_load_dword v0, v3, s[0:3], 0 offen
	buffer_load_dword v1, v3, s[0:3], 0 offen offset:4
	buffer_load_dword v2, v3, s[0:3], 0 offen offset:8
	;; [unrolled: 1-line block ×3, first 2 shown]
	s_cmp_lt_i32 s57, 61
	s_waitcnt vmcnt(0)
	ds_write2_b64 v4, v[0:1], v[2:3] offset1:1
	s_waitcnt lgkmcnt(0)
	s_barrier
	buffer_gl0_inv
	ds_read2_b64 v[0:3], v12 offset0:118 offset1:119
	v_mov_b32_e32 v4, 59
	s_cbranch_scc1 .LBB122_1371
; %bb.1369:
	v_add3_u32 v10, v14, 0, 0x3c0
	v_mov_b32_e32 v4, 59
	s_mov_b32 s16, 60
	s_inst_prefetch 0x1
	.p2align	6
.LBB122_1370:                           ; =>This Inner Loop Header: Depth=1
	s_waitcnt lgkmcnt(0)
	v_cmp_gt_f64_e32 vcc_lo, 0, v[2:3]
	v_cmp_gt_f64_e64 s4, 0, v[0:1]
	ds_read2_b64 v[15:18], v10 offset1:1
	v_xor_b32_e32 v20, 0x80000000, v1
	v_xor_b32_e32 v22, 0x80000000, v3
	v_mov_b32_e32 v19, v0
	v_mov_b32_e32 v21, v2
	v_add_nc_u32_e32 v10, 16, v10
	s_waitcnt lgkmcnt(0)
	v_xor_b32_e32 v24, 0x80000000, v18
	v_cndmask_b32_e64 v20, v1, v20, s4
	v_cndmask_b32_e32 v22, v3, v22, vcc_lo
	v_cmp_gt_f64_e32 vcc_lo, 0, v[17:18]
	v_cmp_gt_f64_e64 s4, 0, v[15:16]
	v_mov_b32_e32 v23, v17
	v_add_f64 v[19:20], v[19:20], v[21:22]
	v_xor_b32_e32 v22, 0x80000000, v16
	v_mov_b32_e32 v21, v15
	v_cndmask_b32_e32 v24, v18, v24, vcc_lo
	v_cndmask_b32_e64 v22, v16, v22, s4
	v_add_f64 v[21:22], v[21:22], v[23:24]
	v_cmp_lt_f64_e32 vcc_lo, v[19:20], v[21:22]
	v_cndmask_b32_e32 v1, v1, v16, vcc_lo
	v_cndmask_b32_e32 v0, v0, v15, vcc_lo
	;; [unrolled: 1-line block ×4, first 2 shown]
	v_cndmask_b32_e64 v4, v4, s16, vcc_lo
	s_add_i32 s16, s16, 1
	s_cmp_lg_u32 s57, s16
	s_cbranch_scc1 .LBB122_1370
.LBB122_1371:
	s_inst_prefetch 0x2
	s_waitcnt lgkmcnt(0)
	v_cmp_eq_f64_e32 vcc_lo, 0, v[0:1]
	v_cmp_eq_f64_e64 s4, 0, v[2:3]
	s_and_b32 s4, vcc_lo, s4
	s_and_saveexec_b32 s16, s4
	s_xor_b32 s4, exec_lo, s16
; %bb.1372:
	v_cmp_ne_u32_e32 vcc_lo, 0, v13
	v_cndmask_b32_e32 v13, 60, v13, vcc_lo
; %bb.1373:
	s_andn2_saveexec_b32 s4, s4
	s_cbranch_execz .LBB122_1379
; %bb.1374:
	v_cmp_ngt_f64_e64 s16, |v[0:1]|, |v[2:3]|
	s_and_saveexec_b32 s17, s16
	s_xor_b32 s16, exec_lo, s17
	s_cbranch_execz .LBB122_1376
; %bb.1375:
	v_div_scale_f64 v[15:16], null, v[2:3], v[2:3], v[0:1]
	v_div_scale_f64 v[21:22], vcc_lo, v[0:1], v[2:3], v[0:1]
	v_rcp_f64_e32 v[17:18], v[15:16]
	v_fma_f64 v[19:20], -v[15:16], v[17:18], 1.0
	v_fma_f64 v[17:18], v[17:18], v[19:20], v[17:18]
	v_fma_f64 v[19:20], -v[15:16], v[17:18], 1.0
	v_fma_f64 v[17:18], v[17:18], v[19:20], v[17:18]
	v_mul_f64 v[19:20], v[21:22], v[17:18]
	v_fma_f64 v[15:16], -v[15:16], v[19:20], v[21:22]
	v_div_fmas_f64 v[15:16], v[15:16], v[17:18], v[19:20]
	v_div_fixup_f64 v[15:16], v[15:16], v[2:3], v[0:1]
	v_fma_f64 v[0:1], v[0:1], v[15:16], v[2:3]
	v_div_scale_f64 v[2:3], null, v[0:1], v[0:1], 1.0
	v_rcp_f64_e32 v[17:18], v[2:3]
	v_fma_f64 v[19:20], -v[2:3], v[17:18], 1.0
	v_fma_f64 v[17:18], v[17:18], v[19:20], v[17:18]
	v_fma_f64 v[19:20], -v[2:3], v[17:18], 1.0
	v_fma_f64 v[17:18], v[17:18], v[19:20], v[17:18]
	v_div_scale_f64 v[19:20], vcc_lo, 1.0, v[0:1], 1.0
	v_mul_f64 v[21:22], v[19:20], v[17:18]
	v_fma_f64 v[2:3], -v[2:3], v[21:22], v[19:20]
	v_div_fmas_f64 v[2:3], v[2:3], v[17:18], v[21:22]
	v_div_fixup_f64 v[2:3], v[2:3], v[0:1], 1.0
	v_mul_f64 v[0:1], v[15:16], v[2:3]
	v_xor_b32_e32 v3, 0x80000000, v3
.LBB122_1376:
	s_andn2_saveexec_b32 s16, s16
	s_cbranch_execz .LBB122_1378
; %bb.1377:
	v_div_scale_f64 v[15:16], null, v[0:1], v[0:1], v[2:3]
	v_div_scale_f64 v[21:22], vcc_lo, v[2:3], v[0:1], v[2:3]
	v_rcp_f64_e32 v[17:18], v[15:16]
	v_fma_f64 v[19:20], -v[15:16], v[17:18], 1.0
	v_fma_f64 v[17:18], v[17:18], v[19:20], v[17:18]
	v_fma_f64 v[19:20], -v[15:16], v[17:18], 1.0
	v_fma_f64 v[17:18], v[17:18], v[19:20], v[17:18]
	v_mul_f64 v[19:20], v[21:22], v[17:18]
	v_fma_f64 v[15:16], -v[15:16], v[19:20], v[21:22]
	v_div_fmas_f64 v[15:16], v[15:16], v[17:18], v[19:20]
	v_div_fixup_f64 v[15:16], v[15:16], v[0:1], v[2:3]
	v_fma_f64 v[0:1], v[2:3], v[15:16], v[0:1]
	v_div_scale_f64 v[2:3], null, v[0:1], v[0:1], 1.0
	v_rcp_f64_e32 v[17:18], v[2:3]
	v_fma_f64 v[19:20], -v[2:3], v[17:18], 1.0
	v_fma_f64 v[17:18], v[17:18], v[19:20], v[17:18]
	v_fma_f64 v[19:20], -v[2:3], v[17:18], 1.0
	v_fma_f64 v[17:18], v[17:18], v[19:20], v[17:18]
	v_div_scale_f64 v[19:20], vcc_lo, 1.0, v[0:1], 1.0
	v_mul_f64 v[21:22], v[19:20], v[17:18]
	v_fma_f64 v[2:3], -v[2:3], v[21:22], v[19:20]
	v_div_fmas_f64 v[2:3], v[2:3], v[17:18], v[21:22]
	v_div_fixup_f64 v[0:1], v[2:3], v[0:1], 1.0
	v_mul_f64 v[2:3], v[15:16], -v[0:1]
.LBB122_1378:
	s_or_b32 exec_lo, exec_lo, s16
.LBB122_1379:
	s_or_b32 exec_lo, exec_lo, s4
	s_mov_b32 s4, exec_lo
	v_cmpx_ne_u32_e64 v11, v4
	s_xor_b32 s4, exec_lo, s4
	s_cbranch_execz .LBB122_1385
; %bb.1380:
	s_mov_b32 s16, exec_lo
	v_cmpx_eq_u32_e32 59, v11
	s_cbranch_execz .LBB122_1384
; %bb.1381:
	v_cmp_ne_u32_e32 vcc_lo, 59, v4
	s_xor_b32 s17, s20, -1
	s_and_b32 s56, s17, vcc_lo
	s_and_saveexec_b32 s17, s56
	s_cbranch_execz .LBB122_1383
; %bb.1382:
	v_ashrrev_i32_e32 v5, 31, v4
	v_lshlrev_b64 v[10:11], 2, v[4:5]
	v_add_co_u32 v10, vcc_lo, v8, v10
	v_add_co_ci_u32_e64 v11, null, v9, v11, vcc_lo
	s_clause 0x1
	global_load_dword v5, v[10:11], off
	global_load_dword v15, v[8:9], off offset:236
	s_waitcnt vmcnt(1)
	global_store_dword v[8:9], v5, off offset:236
	s_waitcnt vmcnt(0)
	global_store_dword v[10:11], v15, off
.LBB122_1383:
	s_or_b32 exec_lo, exec_lo, s17
	v_mov_b32_e32 v11, v4
	v_mov_b32_e32 v5, v4
.LBB122_1384:
	s_or_b32 exec_lo, exec_lo, s16
.LBB122_1385:
	s_andn2_saveexec_b32 s4, s4
	s_cbranch_execz .LBB122_1387
; %bb.1386:
	v_mov_b32_e32 v4, s7
	v_mov_b32_e32 v10, s5
	;; [unrolled: 1-line block ×3, first 2 shown]
	s_clause 0x7
	buffer_load_dword v15, v4, s[0:3], 0 offen
	buffer_load_dword v16, v4, s[0:3], 0 offen offset:4
	buffer_load_dword v17, v4, s[0:3], 0 offen offset:8
	;; [unrolled: 1-line block ×3, first 2 shown]
	buffer_load_dword v19, v10, s[0:3], 0 offen
	buffer_load_dword v20, v10, s[0:3], 0 offen offset:4
	buffer_load_dword v21, v10, s[0:3], 0 offen offset:8
	;; [unrolled: 1-line block ×3, first 2 shown]
	s_waitcnt vmcnt(4)
	ds_write2_b64 v12, v[15:16], v[17:18] offset0:120 offset1:121
	s_waitcnt vmcnt(0)
	ds_write2_b64 v12, v[19:20], v[21:22] offset0:122 offset1:123
.LBB122_1387:
	s_or_b32 exec_lo, exec_lo, s4
	s_mov_b32 s4, exec_lo
	s_waitcnt lgkmcnt(0)
	s_waitcnt_vscnt null, 0x0
	s_barrier
	buffer_gl0_inv
	v_cmpx_lt_i32_e32 59, v11
	s_cbranch_execz .LBB122_1389
; %bb.1388:
	s_clause 0xb
	buffer_load_dword v15, off, s[0:3], 0 offset:952
	buffer_load_dword v16, off, s[0:3], 0 offset:956
	;; [unrolled: 1-line block ×12, first 2 shown]
	s_waitcnt vmcnt(10)
	v_mul_f64 v[17:18], v[0:1], v[15:16]
	v_mul_f64 v[33:34], v[2:3], v[15:16]
	s_waitcnt vmcnt(8)
	v_fma_f64 v[2:3], v[2:3], v[23:24], v[17:18]
	ds_read2_b64 v[15:18], v12 offset0:120 offset1:121
	ds_read2_b64 v[19:22], v12 offset0:122 offset1:123
	v_fma_f64 v[0:1], v[0:1], v[23:24], -v[33:34]
	s_waitcnt lgkmcnt(1)
	v_mul_f64 v[23:24], v[17:18], v[2:3]
	v_mul_f64 v[33:34], v[15:16], v[2:3]
	s_waitcnt lgkmcnt(0)
	v_mul_f64 v[35:36], v[21:22], v[2:3]
	v_mul_f64 v[37:38], v[19:20], v[2:3]
	v_fma_f64 v[15:16], v[15:16], v[0:1], -v[23:24]
	v_fma_f64 v[17:18], v[17:18], v[0:1], v[33:34]
	v_fma_f64 v[19:20], v[19:20], v[0:1], -v[35:36]
	v_fma_f64 v[21:22], v[21:22], v[0:1], v[37:38]
	s_waitcnt vmcnt(6)
	v_add_f64 v[15:16], v[25:26], -v[15:16]
	s_waitcnt vmcnt(4)
	v_add_f64 v[17:18], v[27:28], -v[17:18]
	;; [unrolled: 2-line block ×4, first 2 shown]
	buffer_store_dword v0, off, s[0:3], 0 offset:944
	buffer_store_dword v1, off, s[0:3], 0 offset:948
	;; [unrolled: 1-line block ×12, first 2 shown]
.LBB122_1389:
	s_or_b32 exec_lo, exec_lo, s4
	v_mov_b32_e32 v3, s7
	s_waitcnt_vscnt null, 0x0
	s_barrier
	buffer_gl0_inv
	v_lshl_add_u32 v4, v11, 4, v12
	s_clause 0x3
	buffer_load_dword v0, v3, s[0:3], 0 offen
	buffer_load_dword v1, v3, s[0:3], 0 offen offset:4
	buffer_load_dword v2, v3, s[0:3], 0 offen offset:8
	;; [unrolled: 1-line block ×3, first 2 shown]
	s_cmp_lt_i32 s57, 62
	s_waitcnt vmcnt(0)
	ds_write2_b64 v4, v[0:1], v[2:3] offset1:1
	s_waitcnt lgkmcnt(0)
	s_barrier
	buffer_gl0_inv
	ds_read2_b64 v[0:3], v12 offset0:120 offset1:121
	v_mov_b32_e32 v4, 60
	s_cbranch_scc1 .LBB122_1392
; %bb.1390:
	v_add3_u32 v10, v14, 0, 0x3d0
	v_mov_b32_e32 v4, 60
	s_mov_b32 s16, 61
	s_inst_prefetch 0x1
	.p2align	6
.LBB122_1391:                           ; =>This Inner Loop Header: Depth=1
	s_waitcnt lgkmcnt(0)
	v_cmp_gt_f64_e32 vcc_lo, 0, v[2:3]
	v_cmp_gt_f64_e64 s4, 0, v[0:1]
	ds_read2_b64 v[15:18], v10 offset1:1
	v_xor_b32_e32 v20, 0x80000000, v1
	v_xor_b32_e32 v22, 0x80000000, v3
	v_mov_b32_e32 v19, v0
	v_mov_b32_e32 v21, v2
	v_add_nc_u32_e32 v10, 16, v10
	s_waitcnt lgkmcnt(0)
	v_xor_b32_e32 v24, 0x80000000, v18
	v_cndmask_b32_e64 v20, v1, v20, s4
	v_cndmask_b32_e32 v22, v3, v22, vcc_lo
	v_cmp_gt_f64_e32 vcc_lo, 0, v[17:18]
	v_cmp_gt_f64_e64 s4, 0, v[15:16]
	v_mov_b32_e32 v23, v17
	v_add_f64 v[19:20], v[19:20], v[21:22]
	v_xor_b32_e32 v22, 0x80000000, v16
	v_mov_b32_e32 v21, v15
	v_cndmask_b32_e32 v24, v18, v24, vcc_lo
	v_cndmask_b32_e64 v22, v16, v22, s4
	v_add_f64 v[21:22], v[21:22], v[23:24]
	v_cmp_lt_f64_e32 vcc_lo, v[19:20], v[21:22]
	v_cndmask_b32_e32 v1, v1, v16, vcc_lo
	v_cndmask_b32_e32 v0, v0, v15, vcc_lo
	;; [unrolled: 1-line block ×4, first 2 shown]
	v_cndmask_b32_e64 v4, v4, s16, vcc_lo
	s_add_i32 s16, s16, 1
	s_cmp_lg_u32 s57, s16
	s_cbranch_scc1 .LBB122_1391
.LBB122_1392:
	s_inst_prefetch 0x2
	s_waitcnt lgkmcnt(0)
	v_cmp_eq_f64_e32 vcc_lo, 0, v[0:1]
	v_cmp_eq_f64_e64 s4, 0, v[2:3]
	s_and_b32 s4, vcc_lo, s4
	s_and_saveexec_b32 s16, s4
	s_xor_b32 s4, exec_lo, s16
; %bb.1393:
	v_cmp_ne_u32_e32 vcc_lo, 0, v13
	v_cndmask_b32_e32 v13, 61, v13, vcc_lo
; %bb.1394:
	s_andn2_saveexec_b32 s4, s4
	s_cbranch_execz .LBB122_1400
; %bb.1395:
	v_cmp_ngt_f64_e64 s16, |v[0:1]|, |v[2:3]|
	s_and_saveexec_b32 s17, s16
	s_xor_b32 s16, exec_lo, s17
	s_cbranch_execz .LBB122_1397
; %bb.1396:
	v_div_scale_f64 v[15:16], null, v[2:3], v[2:3], v[0:1]
	v_div_scale_f64 v[21:22], vcc_lo, v[0:1], v[2:3], v[0:1]
	v_rcp_f64_e32 v[17:18], v[15:16]
	v_fma_f64 v[19:20], -v[15:16], v[17:18], 1.0
	v_fma_f64 v[17:18], v[17:18], v[19:20], v[17:18]
	v_fma_f64 v[19:20], -v[15:16], v[17:18], 1.0
	v_fma_f64 v[17:18], v[17:18], v[19:20], v[17:18]
	v_mul_f64 v[19:20], v[21:22], v[17:18]
	v_fma_f64 v[15:16], -v[15:16], v[19:20], v[21:22]
	v_div_fmas_f64 v[15:16], v[15:16], v[17:18], v[19:20]
	v_div_fixup_f64 v[15:16], v[15:16], v[2:3], v[0:1]
	v_fma_f64 v[0:1], v[0:1], v[15:16], v[2:3]
	v_div_scale_f64 v[2:3], null, v[0:1], v[0:1], 1.0
	v_rcp_f64_e32 v[17:18], v[2:3]
	v_fma_f64 v[19:20], -v[2:3], v[17:18], 1.0
	v_fma_f64 v[17:18], v[17:18], v[19:20], v[17:18]
	v_fma_f64 v[19:20], -v[2:3], v[17:18], 1.0
	v_fma_f64 v[17:18], v[17:18], v[19:20], v[17:18]
	v_div_scale_f64 v[19:20], vcc_lo, 1.0, v[0:1], 1.0
	v_mul_f64 v[21:22], v[19:20], v[17:18]
	v_fma_f64 v[2:3], -v[2:3], v[21:22], v[19:20]
	v_div_fmas_f64 v[2:3], v[2:3], v[17:18], v[21:22]
	v_div_fixup_f64 v[2:3], v[2:3], v[0:1], 1.0
	v_mul_f64 v[0:1], v[15:16], v[2:3]
	v_xor_b32_e32 v3, 0x80000000, v3
.LBB122_1397:
	s_andn2_saveexec_b32 s16, s16
	s_cbranch_execz .LBB122_1399
; %bb.1398:
	v_div_scale_f64 v[15:16], null, v[0:1], v[0:1], v[2:3]
	v_div_scale_f64 v[21:22], vcc_lo, v[2:3], v[0:1], v[2:3]
	v_rcp_f64_e32 v[17:18], v[15:16]
	v_fma_f64 v[19:20], -v[15:16], v[17:18], 1.0
	v_fma_f64 v[17:18], v[17:18], v[19:20], v[17:18]
	v_fma_f64 v[19:20], -v[15:16], v[17:18], 1.0
	v_fma_f64 v[17:18], v[17:18], v[19:20], v[17:18]
	v_mul_f64 v[19:20], v[21:22], v[17:18]
	v_fma_f64 v[15:16], -v[15:16], v[19:20], v[21:22]
	v_div_fmas_f64 v[15:16], v[15:16], v[17:18], v[19:20]
	v_div_fixup_f64 v[15:16], v[15:16], v[0:1], v[2:3]
	v_fma_f64 v[0:1], v[2:3], v[15:16], v[0:1]
	v_div_scale_f64 v[2:3], null, v[0:1], v[0:1], 1.0
	v_rcp_f64_e32 v[17:18], v[2:3]
	v_fma_f64 v[19:20], -v[2:3], v[17:18], 1.0
	v_fma_f64 v[17:18], v[17:18], v[19:20], v[17:18]
	v_fma_f64 v[19:20], -v[2:3], v[17:18], 1.0
	v_fma_f64 v[17:18], v[17:18], v[19:20], v[17:18]
	v_div_scale_f64 v[19:20], vcc_lo, 1.0, v[0:1], 1.0
	v_mul_f64 v[21:22], v[19:20], v[17:18]
	v_fma_f64 v[2:3], -v[2:3], v[21:22], v[19:20]
	v_div_fmas_f64 v[2:3], v[2:3], v[17:18], v[21:22]
	v_div_fixup_f64 v[0:1], v[2:3], v[0:1], 1.0
	v_mul_f64 v[2:3], v[15:16], -v[0:1]
.LBB122_1399:
	s_or_b32 exec_lo, exec_lo, s16
.LBB122_1400:
	s_or_b32 exec_lo, exec_lo, s4
	s_mov_b32 s4, exec_lo
	v_cmpx_ne_u32_e64 v11, v4
	s_xor_b32 s4, exec_lo, s4
	s_cbranch_execz .LBB122_1406
; %bb.1401:
	s_mov_b32 s16, exec_lo
	v_cmpx_eq_u32_e32 60, v11
	s_cbranch_execz .LBB122_1405
; %bb.1402:
	v_cmp_ne_u32_e32 vcc_lo, 60, v4
	s_xor_b32 s17, s20, -1
	s_and_b32 s56, s17, vcc_lo
	s_and_saveexec_b32 s17, s56
	s_cbranch_execz .LBB122_1404
; %bb.1403:
	v_ashrrev_i32_e32 v5, 31, v4
	v_lshlrev_b64 v[10:11], 2, v[4:5]
	v_add_co_u32 v10, vcc_lo, v8, v10
	v_add_co_ci_u32_e64 v11, null, v9, v11, vcc_lo
	s_clause 0x1
	global_load_dword v5, v[10:11], off
	global_load_dword v15, v[8:9], off offset:240
	s_waitcnt vmcnt(1)
	global_store_dword v[8:9], v5, off offset:240
	s_waitcnt vmcnt(0)
	global_store_dword v[10:11], v15, off
.LBB122_1404:
	s_or_b32 exec_lo, exec_lo, s17
	v_mov_b32_e32 v11, v4
	v_mov_b32_e32 v5, v4
.LBB122_1405:
	s_or_b32 exec_lo, exec_lo, s16
.LBB122_1406:
	s_andn2_saveexec_b32 s4, s4
	s_cbranch_execz .LBB122_1408
; %bb.1407:
	v_mov_b32_e32 v4, s5
	v_mov_b32_e32 v11, 60
	s_clause 0x3
	buffer_load_dword v15, v4, s[0:3], 0 offen
	buffer_load_dword v16, v4, s[0:3], 0 offen offset:4
	buffer_load_dword v17, v4, s[0:3], 0 offen offset:8
	;; [unrolled: 1-line block ×3, first 2 shown]
	s_waitcnt vmcnt(0)
	ds_write2_b64 v12, v[15:16], v[17:18] offset0:122 offset1:123
.LBB122_1408:
	s_or_b32 exec_lo, exec_lo, s4
	s_mov_b32 s4, exec_lo
	s_waitcnt lgkmcnt(0)
	s_waitcnt_vscnt null, 0x0
	s_barrier
	buffer_gl0_inv
	v_cmpx_lt_i32_e32 60, v11
	s_cbranch_execz .LBB122_1410
; %bb.1409:
	s_clause 0x7
	buffer_load_dword v15, off, s[0:3], 0 offset:968
	buffer_load_dword v16, off, s[0:3], 0 offset:972
	;; [unrolled: 1-line block ×8, first 2 shown]
	s_waitcnt vmcnt(6)
	v_mul_f64 v[17:18], v[0:1], v[15:16]
	v_mul_f64 v[25:26], v[2:3], v[15:16]
	s_waitcnt vmcnt(4)
	v_fma_f64 v[2:3], v[2:3], v[19:20], v[17:18]
	ds_read2_b64 v[15:18], v12 offset0:122 offset1:123
	v_fma_f64 v[0:1], v[0:1], v[19:20], -v[25:26]
	s_waitcnt lgkmcnt(0)
	v_mul_f64 v[19:20], v[17:18], v[2:3]
	v_mul_f64 v[25:26], v[15:16], v[2:3]
	v_fma_f64 v[15:16], v[15:16], v[0:1], -v[19:20]
	v_fma_f64 v[17:18], v[17:18], v[0:1], v[25:26]
	s_waitcnt vmcnt(2)
	v_add_f64 v[15:16], v[21:22], -v[15:16]
	s_waitcnt vmcnt(0)
	v_add_f64 v[17:18], v[23:24], -v[17:18]
	buffer_store_dword v0, off, s[0:3], 0 offset:960
	buffer_store_dword v1, off, s[0:3], 0 offset:964
	;; [unrolled: 1-line block ×8, first 2 shown]
.LBB122_1410:
	s_or_b32 exec_lo, exec_lo, s4
	v_mov_b32_e32 v3, s5
	s_waitcnt_vscnt null, 0x0
	s_barrier
	buffer_gl0_inv
	v_lshl_add_u32 v4, v11, 4, v12
	s_clause 0x3
	buffer_load_dword v0, v3, s[0:3], 0 offen
	buffer_load_dword v1, v3, s[0:3], 0 offen offset:4
	buffer_load_dword v2, v3, s[0:3], 0 offen offset:8
	;; [unrolled: 1-line block ×3, first 2 shown]
	s_cmp_lt_i32 s57, 63
	s_waitcnt vmcnt(0)
	ds_write2_b64 v4, v[0:1], v[2:3] offset1:1
	s_waitcnt lgkmcnt(0)
	s_barrier
	buffer_gl0_inv
	ds_read2_b64 v[0:3], v12 offset0:122 offset1:123
	v_mov_b32_e32 v4, 61
	s_cbranch_scc1 .LBB122_1413
; %bb.1411:
	v_add3_u32 v10, v14, 0, 0x3e0
	v_mov_b32_e32 v4, 61
	s_mov_b32 s16, 62
	s_inst_prefetch 0x1
	.p2align	6
.LBB122_1412:                           ; =>This Inner Loop Header: Depth=1
	s_waitcnt lgkmcnt(0)
	v_cmp_gt_f64_e32 vcc_lo, 0, v[2:3]
	v_cmp_gt_f64_e64 s4, 0, v[0:1]
	ds_read2_b64 v[14:17], v10 offset1:1
	v_xor_b32_e32 v12, 0x80000000, v1
	v_xor_b32_e32 v21, 0x80000000, v3
	v_mov_b32_e32 v18, v0
	v_mov_b32_e32 v20, v2
	v_add_nc_u32_e32 v10, 16, v10
	s_waitcnt lgkmcnt(0)
	v_xor_b32_e32 v23, 0x80000000, v17
	v_cndmask_b32_e64 v19, v1, v12, s4
	v_cndmask_b32_e32 v21, v3, v21, vcc_lo
	v_cmp_gt_f64_e32 vcc_lo, 0, v[16:17]
	v_cmp_gt_f64_e64 s4, 0, v[14:15]
	v_xor_b32_e32 v12, 0x80000000, v15
	v_mov_b32_e32 v22, v16
	v_add_f64 v[18:19], v[18:19], v[20:21]
	v_mov_b32_e32 v20, v14
	v_cndmask_b32_e32 v23, v17, v23, vcc_lo
	v_cndmask_b32_e64 v21, v15, v12, s4
	v_add_f64 v[20:21], v[20:21], v[22:23]
	v_cmp_lt_f64_e32 vcc_lo, v[18:19], v[20:21]
	v_cndmask_b32_e32 v1, v1, v15, vcc_lo
	v_cndmask_b32_e32 v0, v0, v14, vcc_lo
	;; [unrolled: 1-line block ×4, first 2 shown]
	v_cndmask_b32_e64 v4, v4, s16, vcc_lo
	s_add_i32 s16, s16, 1
	s_cmp_lg_u32 s57, s16
	s_cbranch_scc1 .LBB122_1412
.LBB122_1413:
	s_inst_prefetch 0x2
	s_waitcnt lgkmcnt(0)
	v_cmp_eq_f64_e32 vcc_lo, 0, v[0:1]
	v_cmp_eq_f64_e64 s4, 0, v[2:3]
	s_and_b32 s4, vcc_lo, s4
	s_and_saveexec_b32 s16, s4
	s_xor_b32 s4, exec_lo, s16
; %bb.1414:
	v_cmp_ne_u32_e32 vcc_lo, 0, v13
	v_cndmask_b32_e32 v13, 62, v13, vcc_lo
; %bb.1415:
	s_andn2_saveexec_b32 s4, s4
	s_cbranch_execz .LBB122_1421
; %bb.1416:
	v_cmp_ngt_f64_e64 s16, |v[0:1]|, |v[2:3]|
	s_and_saveexec_b32 s17, s16
	s_xor_b32 s16, exec_lo, s17
	s_cbranch_execz .LBB122_1418
; %bb.1417:
	v_div_scale_f64 v[14:15], null, v[2:3], v[2:3], v[0:1]
	v_div_scale_f64 v[20:21], vcc_lo, v[0:1], v[2:3], v[0:1]
	v_rcp_f64_e32 v[16:17], v[14:15]
	v_fma_f64 v[18:19], -v[14:15], v[16:17], 1.0
	v_fma_f64 v[16:17], v[16:17], v[18:19], v[16:17]
	v_fma_f64 v[18:19], -v[14:15], v[16:17], 1.0
	v_fma_f64 v[16:17], v[16:17], v[18:19], v[16:17]
	v_mul_f64 v[18:19], v[20:21], v[16:17]
	v_fma_f64 v[14:15], -v[14:15], v[18:19], v[20:21]
	v_div_fmas_f64 v[14:15], v[14:15], v[16:17], v[18:19]
	v_div_fixup_f64 v[14:15], v[14:15], v[2:3], v[0:1]
	v_fma_f64 v[0:1], v[0:1], v[14:15], v[2:3]
	v_div_scale_f64 v[2:3], null, v[0:1], v[0:1], 1.0
	v_rcp_f64_e32 v[16:17], v[2:3]
	v_fma_f64 v[18:19], -v[2:3], v[16:17], 1.0
	v_fma_f64 v[16:17], v[16:17], v[18:19], v[16:17]
	v_fma_f64 v[18:19], -v[2:3], v[16:17], 1.0
	v_fma_f64 v[16:17], v[16:17], v[18:19], v[16:17]
	v_div_scale_f64 v[18:19], vcc_lo, 1.0, v[0:1], 1.0
	v_mul_f64 v[20:21], v[18:19], v[16:17]
	v_fma_f64 v[2:3], -v[2:3], v[20:21], v[18:19]
	v_div_fmas_f64 v[2:3], v[2:3], v[16:17], v[20:21]
	v_div_fixup_f64 v[2:3], v[2:3], v[0:1], 1.0
	v_mul_f64 v[0:1], v[14:15], v[2:3]
	v_xor_b32_e32 v3, 0x80000000, v3
.LBB122_1418:
	s_andn2_saveexec_b32 s16, s16
	s_cbranch_execz .LBB122_1420
; %bb.1419:
	v_div_scale_f64 v[14:15], null, v[0:1], v[0:1], v[2:3]
	v_div_scale_f64 v[20:21], vcc_lo, v[2:3], v[0:1], v[2:3]
	v_rcp_f64_e32 v[16:17], v[14:15]
	v_fma_f64 v[18:19], -v[14:15], v[16:17], 1.0
	v_fma_f64 v[16:17], v[16:17], v[18:19], v[16:17]
	v_fma_f64 v[18:19], -v[14:15], v[16:17], 1.0
	v_fma_f64 v[16:17], v[16:17], v[18:19], v[16:17]
	v_mul_f64 v[18:19], v[20:21], v[16:17]
	v_fma_f64 v[14:15], -v[14:15], v[18:19], v[20:21]
	v_div_fmas_f64 v[14:15], v[14:15], v[16:17], v[18:19]
	v_div_fixup_f64 v[14:15], v[14:15], v[0:1], v[2:3]
	v_fma_f64 v[0:1], v[2:3], v[14:15], v[0:1]
	v_div_scale_f64 v[2:3], null, v[0:1], v[0:1], 1.0
	v_rcp_f64_e32 v[16:17], v[2:3]
	v_fma_f64 v[18:19], -v[2:3], v[16:17], 1.0
	v_fma_f64 v[16:17], v[16:17], v[18:19], v[16:17]
	v_fma_f64 v[18:19], -v[2:3], v[16:17], 1.0
	v_fma_f64 v[16:17], v[16:17], v[18:19], v[16:17]
	v_div_scale_f64 v[18:19], vcc_lo, 1.0, v[0:1], 1.0
	v_mul_f64 v[20:21], v[18:19], v[16:17]
	v_fma_f64 v[2:3], -v[2:3], v[20:21], v[18:19]
	v_div_fmas_f64 v[2:3], v[2:3], v[16:17], v[20:21]
	v_div_fixup_f64 v[0:1], v[2:3], v[0:1], 1.0
	v_mul_f64 v[2:3], v[14:15], -v[0:1]
.LBB122_1420:
	s_or_b32 exec_lo, exec_lo, s16
.LBB122_1421:
	s_or_b32 exec_lo, exec_lo, s4
	v_mov_b32_e32 v16, 61
	s_mov_b32 s4, exec_lo
	v_cmpx_ne_u32_e64 v11, v4
	s_cbranch_execz .LBB122_1427
; %bb.1422:
	s_mov_b32 s16, exec_lo
	v_cmpx_eq_u32_e32 61, v11
	s_cbranch_execz .LBB122_1426
; %bb.1423:
	v_cmp_ne_u32_e32 vcc_lo, 61, v4
	s_xor_b32 s17, s20, -1
	s_and_b32 s20, s17, vcc_lo
	s_and_saveexec_b32 s17, s20
	s_cbranch_execz .LBB122_1425
; %bb.1424:
	v_ashrrev_i32_e32 v5, 31, v4
	v_lshlrev_b64 v[10:11], 2, v[4:5]
	v_add_co_u32 v10, vcc_lo, v8, v10
	v_add_co_ci_u32_e64 v11, null, v9, v11, vcc_lo
	s_clause 0x1
	global_load_dword v5, v[10:11], off
	global_load_dword v12, v[8:9], off offset:244
	s_waitcnt vmcnt(1)
	global_store_dword v[8:9], v5, off offset:244
	s_waitcnt vmcnt(0)
	global_store_dword v[10:11], v12, off
.LBB122_1425:
	s_or_b32 exec_lo, exec_lo, s17
	v_mov_b32_e32 v11, v4
	v_mov_b32_e32 v5, v4
.LBB122_1426:
	s_or_b32 exec_lo, exec_lo, s16
	v_mov_b32_e32 v16, v11
.LBB122_1427:
	s_or_b32 exec_lo, exec_lo, s4
	s_mov_b32 s4, exec_lo
	s_waitcnt_vscnt null, 0x0
	s_barrier
	buffer_gl0_inv
	v_cmpx_lt_i32_e32 61, v16
	s_cbranch_execz .LBB122_1429
; %bb.1428:
	s_clause 0x3
	buffer_load_dword v8, off, s[0:3], 0 offset:984
	buffer_load_dword v9, off, s[0:3], 0 offset:988
	;; [unrolled: 1-line block ×4, first 2 shown]
	s_waitcnt vmcnt(2)
	v_mul_f64 v[14:15], v[2:3], v[8:9]
	v_mul_f64 v[8:9], v[0:1], v[8:9]
	s_waitcnt vmcnt(0)
	v_fma_f64 v[0:1], v[0:1], v[10:11], -v[14:15]
	v_fma_f64 v[2:3], v[2:3], v[10:11], v[8:9]
	buffer_store_dword v0, off, s[0:3], 0 offset:976
	buffer_store_dword v1, off, s[0:3], 0 offset:980
	;; [unrolled: 1-line block ×4, first 2 shown]
.LBB122_1429:
	s_or_b32 exec_lo, exec_lo, s4
	v_ashrrev_i32_e32 v17, 31, v16
	s_mov_b32 s4, exec_lo
	s_waitcnt_vscnt null, 0x0
	s_barrier
	buffer_gl0_inv
	v_cmpx_gt_i32_e32 62, v16
	s_cbranch_execz .LBB122_1431
; %bb.1430:
	v_mul_lo_u32 v2, s15, v6
	v_mul_lo_u32 v3, s14, v7
	v_mad_u64_u32 v[0:1], null, s14, v6, 0
	s_lshl_b64 s[12:13], s[12:13], 2
	v_add3_u32 v1, v1, v3, v2
	v_lshlrev_b64 v[0:1], 2, v[0:1]
	v_add_co_u32 v2, vcc_lo, s10, v0
	v_add_co_ci_u32_e64 v3, null, s11, v1, vcc_lo
	v_lshlrev_b64 v[0:1], 2, v[16:17]
	v_add_co_u32 v2, vcc_lo, v2, s12
	v_add_co_ci_u32_e64 v3, null, s13, v3, vcc_lo
	v_add_co_u32 v0, vcc_lo, v2, v0
	v_add_co_ci_u32_e64 v1, null, v3, v1, vcc_lo
	v_add3_u32 v2, v5, s21, 1
	global_store_dword v[0:1], v2, off
.LBB122_1431:
	s_or_b32 exec_lo, exec_lo, s4
	s_mov_b32 s10, exec_lo
	v_cmpx_eq_u32_e32 0, v16
	s_cbranch_execz .LBB122_1434
; %bb.1432:
	v_lshlrev_b64 v[0:1], 2, v[6:7]
	v_readlane_b32 s12, v162, 4
	v_readlane_b32 s13, v162, 5
	v_cmp_ne_u32_e64 s4, 0, v13
	v_add_co_u32 v0, vcc_lo, s12, v0
	v_add_co_ci_u32_e64 v1, null, s13, v1, vcc_lo
	global_load_dword v2, v[0:1], off
	s_waitcnt vmcnt(0)
	v_cmp_eq_u32_e32 vcc_lo, 0, v2
	s_and_b32 s4, vcc_lo, s4
	s_and_b32 exec_lo, exec_lo, s4
	s_cbranch_execz .LBB122_1434
; %bb.1433:
	v_add_nc_u32_e32 v2, s21, v13
	global_store_dword v[0:1], v2, off
.LBB122_1434:
	s_or_b32 exec_lo, exec_lo, s10
	s_clause 0x3
	buffer_load_dword v0, off, s[0:3], 0
	buffer_load_dword v1, off, s[0:3], 0 offset:4
	buffer_load_dword v2, off, s[0:3], 0 offset:8
	;; [unrolled: 1-line block ×3, first 2 shown]
	v_mov_b32_e32 v7, s9
	v_mov_b32_e32 v11, s80
	;; [unrolled: 1-line block ×4, first 2 shown]
	s_clause 0xf
	buffer_load_dword v4, v7, s[0:3], 0 offen
	buffer_load_dword v5, v7, s[0:3], 0 offen offset:4
	buffer_load_dword v6, v7, s[0:3], 0 offen offset:8
	buffer_load_dword v7, v7, s[0:3], 0 offen offset:12
	buffer_load_dword v8, v11, s[0:3], 0 offen
	buffer_load_dword v9, v11, s[0:3], 0 offen offset:4
	buffer_load_dword v10, v11, s[0:3], 0 offen offset:8
	buffer_load_dword v11, v11, s[0:3], 0 offen offset:12
	;; [unrolled: 4-line block ×4, first 2 shown]
	v_mov_b32_e32 v19, s77
	v_mov_b32_e32 v20, s76
	;; [unrolled: 1-line block ×11, first 2 shown]
	s_clause 0x2b
	buffer_load_dword v92, v19, s[0:3], 0 offen
	buffer_load_dword v93, v19, s[0:3], 0 offen offset:4
	buffer_load_dword v94, v19, s[0:3], 0 offen offset:8
	buffer_load_dword v95, v19, s[0:3], 0 offen offset:12
	buffer_load_dword v68, v20, s[0:3], 0 offen
	buffer_load_dword v69, v20, s[0:3], 0 offen offset:4
	buffer_load_dword v70, v20, s[0:3], 0 offen offset:8
	buffer_load_dword v71, v20, s[0:3], 0 offen offset:12
	;; [unrolled: 4-line block ×11, first 2 shown]
	v_mov_b32_e32 v18, s66
	v_mov_b32_e32 v19, s65
	s_clause 0x7
	buffer_load_dword v120, v18, s[0:3], 0 offen
	buffer_load_dword v121, v18, s[0:3], 0 offen offset:4
	buffer_load_dword v122, v18, s[0:3], 0 offen offset:8
	;; [unrolled: 1-line block ×3, first 2 shown]
	buffer_load_dword v124, v19, s[0:3], 0 offen
	buffer_load_dword v125, v19, s[0:3], 0 offen offset:4
	buffer_load_dword v126, v19, s[0:3], 0 offen offset:8
	;; [unrolled: 1-line block ×3, first 2 shown]
	v_mov_b32_e32 v18, s64
	v_mov_b32_e32 v19, s63
	;; [unrolled: 1-line block ×3, first 2 shown]
	s_clause 0xb
	buffer_load_dword v44, v18, s[0:3], 0 offen
	buffer_load_dword v45, v18, s[0:3], 0 offen offset:4
	buffer_load_dword v46, v18, s[0:3], 0 offen offset:8
	buffer_load_dword v47, v18, s[0:3], 0 offen offset:12
	buffer_load_dword v48, v19, s[0:3], 0 offen
	buffer_load_dword v49, v19, s[0:3], 0 offen offset:4
	buffer_load_dword v50, v19, s[0:3], 0 offen offset:8
	buffer_load_dword v51, v19, s[0:3], 0 offen offset:12
	buffer_load_dword v52, v20, s[0:3], 0 offen
	buffer_load_dword v53, v20, s[0:3], 0 offen offset:4
	buffer_load_dword v54, v20, s[0:3], 0 offen offset:8
	buffer_load_dword v55, v20, s[0:3], 0 offen offset:12
	v_lshlrev_b64 v[130:131], 4, v[16:17]
	v_add3_u32 v132, s6, s6, v16
	v_mov_b32_e32 v16, s61
	v_mov_b32_e32 v17, s60
	;; [unrolled: 1-line block ×11, first 2 shown]
	s_clause 0x2b
	buffer_load_dword v84, v16, s[0:3], 0 offen
	buffer_load_dword v85, v16, s[0:3], 0 offen offset:4
	buffer_load_dword v86, v16, s[0:3], 0 offen offset:8
	buffer_load_dword v87, v16, s[0:3], 0 offen offset:12
	buffer_load_dword v60, v17, s[0:3], 0 offen
	buffer_load_dword v61, v17, s[0:3], 0 offen offset:4
	buffer_load_dword v62, v17, s[0:3], 0 offen offset:8
	buffer_load_dword v63, v17, s[0:3], 0 offen offset:12
	;; [unrolled: 4-line block ×11, first 2 shown]
	v_add_nc_u32_e32 v134, s6, v132
	v_ashrrev_i32_e32 v133, 31, v132
	v_add_co_u32 v130, vcc_lo, v128, v130
	v_add_co_ci_u32_e64 v131, null, v129, v131, vcc_lo
	v_add_nc_u32_e32 v136, s6, v134
	v_ashrrev_i32_e32 v135, 31, v134
	v_lshlrev_b64 v[132:133], 4, v[132:133]
	v_readlane_b32 s8, v162, 2
	v_readlane_b32 s9, v162, 3
	v_add_nc_u32_e32 v138, s6, v136
	v_ashrrev_i32_e32 v137, 31, v136
	v_lshlrev_b64 v[134:135], 4, v[134:135]
	v_add_co_u32 v132, vcc_lo, v128, v132
	v_add_nc_u32_e32 v140, s6, v138
	v_ashrrev_i32_e32 v139, 31, v138
	v_lshlrev_b64 v[136:137], 4, v[136:137]
	v_add_co_ci_u32_e64 v133, null, v129, v133, vcc_lo
	v_add_nc_u32_e32 v142, s6, v140
	v_ashrrev_i32_e32 v141, 31, v140
	v_lshlrev_b64 v[138:139], 4, v[138:139]
	v_add_co_u32 v134, vcc_lo, v128, v134
	v_add_nc_u32_e32 v144, s6, v142
	v_lshlrev_b64 v[140:141], 4, v[140:141]
	v_add_co_ci_u32_e64 v135, null, v129, v135, vcc_lo
	v_add_co_u32 v136, vcc_lo, v128, v136
	v_add_nc_u32_e32 v146, s6, v144
	v_add_co_ci_u32_e64 v137, null, v129, v137, vcc_lo
	v_add_co_u32 v138, vcc_lo, v128, v138
	v_ashrrev_i32_e32 v143, 31, v142
	v_add_co_ci_u32_e64 v139, null, v129, v139, vcc_lo
	v_add_co_u32 v140, vcc_lo, v128, v140
	v_ashrrev_i32_e32 v145, 31, v144
	;; [unrolled: 3-line block ×3, first 2 shown]
	v_lshlrev_b64 v[142:143], 4, v[142:143]
	v_lshlrev_b64 v[144:145], 4, v[144:145]
	v_add_co_ci_u32_e64 v149, null, s9, v131, vcc_lo
	v_mov_b32_e32 v153, s48
	v_mov_b32_e32 v154, s47
	v_add_co_u32 v142, vcc_lo, v128, v142
	v_add_co_ci_u32_e64 v143, null, v129, v143, vcc_lo
	v_add_co_u32 v144, vcc_lo, v128, v144
	v_add_co_ci_u32_e64 v145, null, v129, v145, vcc_lo
	v_mov_b32_e32 v155, s46
	v_mov_b32_e32 v156, s45
	;; [unrolled: 1-line block ×3, first 2 shown]
	s_waitcnt vmcnt(62)
	global_store_dwordx4 v[130:131], v[0:3], off
	v_add_nc_u32_e32 v130, s6, v146
	v_lshlrev_b64 v[0:1], 4, v[146:147]
	v_add_nc_u32_e32 v146, s6, v130
	v_ashrrev_i32_e32 v131, 31, v130
	v_add_co_u32 v150, vcc_lo, v128, v0
	global_store_dwordx4 v[148:149], v[4:7], off
	v_add_nc_u32_e32 v152, s6, v146
	v_ashrrev_i32_e32 v147, 31, v146
	v_add_co_ci_u32_e64 v151, null, v129, v1, vcc_lo
	s_clause 0x7
	buffer_load_dword v0, v153, s[0:3], 0 offen
	buffer_load_dword v1, v153, s[0:3], 0 offen offset:4
	buffer_load_dword v2, v153, s[0:3], 0 offen offset:8
	;; [unrolled: 1-line block ×3, first 2 shown]
	buffer_load_dword v4, v154, s[0:3], 0 offen
	buffer_load_dword v5, v154, s[0:3], 0 offen offset:4
	buffer_load_dword v6, v154, s[0:3], 0 offen offset:8
	;; [unrolled: 1-line block ×3, first 2 shown]
	v_ashrrev_i32_e32 v153, 31, v152
	v_lshlrev_b64 v[130:131], 4, v[130:131]
	v_lshlrev_b64 v[146:147], 4, v[146:147]
	global_store_dwordx4 v[132:133], v[8:11], off
	v_add_nc_u32_e32 v132, s6, v152
	v_lshlrev_b64 v[8:9], 4, v[152:153]
	global_store_dwordx4 v[134:135], v[12:15], off
	v_add_co_u32 v130, vcc_lo, v128, v130
	v_add_co_ci_u32_e64 v131, null, v129, v131, vcc_lo
	v_add_co_u32 v146, vcc_lo, v128, v146
	v_add_co_ci_u32_e64 v147, null, v129, v147, vcc_lo
	;; [unrolled: 2-line block ×3, first 2 shown]
	s_clause 0x7
	buffer_load_dword v12, v155, s[0:3], 0 offen
	buffer_load_dword v13, v155, s[0:3], 0 offen offset:4
	buffer_load_dword v14, v155, s[0:3], 0 offen offset:8
	;; [unrolled: 1-line block ×3, first 2 shown]
	buffer_load_dword v8, v156, s[0:3], 0 offen
	buffer_load_dword v9, v156, s[0:3], 0 offen offset:4
	buffer_load_dword v10, v156, s[0:3], 0 offen offset:8
	;; [unrolled: 1-line block ×3, first 2 shown]
	v_add_nc_u32_e32 v148, s6, v132
	v_ashrrev_i32_e32 v133, 31, v132
	global_store_dwordx4 v[136:137], v[56:59], off
	s_clause 0x3
	buffer_load_dword v56, v157, s[0:3], 0 offen
	buffer_load_dword v57, v157, s[0:3], 0 offen offset:4
	buffer_load_dword v58, v157, s[0:3], 0 offen offset:8
	;; [unrolled: 1-line block ×3, first 2 shown]
	global_store_dwordx4 v[138:139], v[92:95], off
	v_add_nc_u32_e32 v154, s6, v148
	v_ashrrev_i32_e32 v149, 31, v148
	v_lshlrev_b64 v[132:133], 4, v[132:133]
	v_mov_b32_e32 v156, s43
	v_mov_b32_e32 v157, s42
	v_ashrrev_i32_e32 v155, 31, v154
	v_add_nc_u32_e32 v134, s6, v154
	v_lshlrev_b64 v[136:137], 4, v[148:149]
	v_add_co_u32 v132, vcc_lo, v128, v132
	v_lshlrev_b64 v[148:149], 4, v[154:155]
	v_add_nc_u32_e32 v92, s6, v134
	v_add_co_ci_u32_e64 v133, null, v129, v133, vcc_lo
	v_add_co_u32 v94, vcc_lo, v128, v136
	v_ashrrev_i32_e32 v135, 31, v134
	v_add_co_ci_u32_e64 v95, null, v129, v137, vcc_lo
	v_add_co_u32 v137, vcc_lo, v128, v148
	v_ashrrev_i32_e32 v93, 31, v92
	v_add_co_ci_u32_e64 v138, null, v129, v149, vcc_lo
	global_store_dwordx4 v[140:141], v[68:71], off
	global_store_dwordx4 v[142:143], v[76:79], off
	global_store_dwordx4 v[144:145], v[80:83], off
	global_store_dwordx4 v[150:151], v[88:91], off
	global_store_dwordx4 v[130:131], v[96:99], off
	global_store_dwordx4 v[146:147], v[100:103], off
	global_store_dwordx4 v[152:153], v[104:107], off
	global_store_dwordx4 v[132:133], v[108:111], off
	global_store_dwordx4 v[94:95], v[112:115], off
	global_store_dwordx4 v[137:138], v[116:119], off
	v_mov_b32_e32 v83, s41
	s_clause 0xb
	buffer_load_dword v68, v156, s[0:3], 0 offen
	buffer_load_dword v69, v156, s[0:3], 0 offen offset:4
	buffer_load_dword v70, v156, s[0:3], 0 offen offset:8
	buffer_load_dword v71, v156, s[0:3], 0 offen offset:12
	buffer_load_dword v76, v157, s[0:3], 0 offen
	buffer_load_dword v77, v157, s[0:3], 0 offen offset:4
	buffer_load_dword v78, v157, s[0:3], 0 offen offset:8
	buffer_load_dword v79, v157, s[0:3], 0 offen offset:12
	;; [unrolled: 4-line block ×3, first 2 shown]
	v_lshlrev_b64 v[134:135], 4, v[134:135]
	v_add_nc_u32_e32 v136, s6, v92
	v_lshlrev_b64 v[92:93], 4, v[92:93]
	v_mov_b32_e32 v91, s40
	v_mov_b32_e32 v95, s39
	;; [unrolled: 1-line block ×3, first 2 shown]
	v_add_co_u32 v134, vcc_lo, v128, v134
	v_add_co_ci_u32_e64 v135, null, v129, v135, vcc_lo
	v_add_co_u32 v92, vcc_lo, v128, v92
	v_add_co_ci_u32_e64 v93, null, v129, v93, vcc_lo
	s_waitcnt vmcnt(62)
	global_store_dwordx4 v[134:135], v[120:123], off
	v_ashrrev_i32_e32 v137, 31, v136
	v_add_nc_u32_e32 v139, s6, v136
	global_store_dwordx4 v[92:93], v[124:127], off
	s_clause 0x7
	buffer_load_dword v88, v91, s[0:3], 0 offen
	buffer_load_dword v89, v91, s[0:3], 0 offen offset:4
	buffer_load_dword v90, v91, s[0:3], 0 offen offset:8
	;; [unrolled: 1-line block ×3, first 2 shown]
	buffer_load_dword v92, v95, s[0:3], 0 offen
	buffer_load_dword v93, v95, s[0:3], 0 offen offset:4
	buffer_load_dword v94, v95, s[0:3], 0 offen offset:8
	;; [unrolled: 1-line block ×3, first 2 shown]
	v_mov_b32_e32 v103, s37
	v_lshlrev_b64 v[96:97], 4, v[136:137]
	v_mov_b32_e32 v107, s36
	v_add_nc_u32_e32 v108, s6, v139
	v_ashrrev_i32_e32 v140, 31, v139
	v_mov_b32_e32 v115, s34
	v_mov_b32_e32 v133, s26
	v_add_co_u32 v116, vcc_lo, v128, v96
	v_add_co_ci_u32_e64 v117, null, v129, v97, vcc_lo
	s_clause 0xb
	buffer_load_dword v96, v99, s[0:3], 0 offen
	buffer_load_dword v97, v99, s[0:3], 0 offen offset:4
	buffer_load_dword v98, v99, s[0:3], 0 offen offset:8
	buffer_load_dword v99, v99, s[0:3], 0 offen offset:12
	buffer_load_dword v100, v103, s[0:3], 0 offen
	buffer_load_dword v101, v103, s[0:3], 0 offen offset:4
	buffer_load_dword v102, v103, s[0:3], 0 offen offset:8
	buffer_load_dword v103, v103, s[0:3], 0 offen offset:12
	;; [unrolled: 4-line block ×3, first 2 shown]
	v_ashrrev_i32_e32 v109, 31, v108
	v_lshlrev_b64 v[110:111], 4, v[139:140]
	v_add_nc_u32_e32 v122, s6, v108
	v_mov_b32_e32 v137, s25
	v_mov_b32_e32 v142, s24
	v_lshlrev_b64 v[112:113], 4, v[108:109]
	v_mov_b32_e32 v145, s23
	v_add_co_u32 v118, vcc_lo, v128, v110
	v_add_co_ci_u32_e64 v119, null, v129, v111, vcc_lo
	v_mov_b32_e32 v111, s35
	v_add_co_u32 v120, vcc_lo, v128, v112
	v_add_co_ci_u32_e64 v121, null, v129, v113, vcc_lo
	s_clause 0x7
	buffer_load_dword v108, v111, s[0:3], 0 offen
	buffer_load_dword v109, v111, s[0:3], 0 offen offset:4
	buffer_load_dword v110, v111, s[0:3], 0 offen offset:8
	;; [unrolled: 1-line block ×3, first 2 shown]
	buffer_load_dword v112, v115, s[0:3], 0 offen
	buffer_load_dword v113, v115, s[0:3], 0 offen offset:4
	buffer_load_dword v114, v115, s[0:3], 0 offen offset:8
	;; [unrolled: 1-line block ×3, first 2 shown]
	global_store_dwordx4 v[116:117], v[44:47], off
	global_store_dwordx4 v[118:119], v[48:51], off
	;; [unrolled: 1-line block ×3, first 2 shown]
	v_mov_b32_e32 v47, s33
	v_mov_b32_e32 v51, s31
	;; [unrolled: 1-line block ×3, first 2 shown]
	v_ashrrev_i32_e32 v123, 31, v122
	s_clause 0xb
	buffer_load_dword v44, v47, s[0:3], 0 offen
	buffer_load_dword v45, v47, s[0:3], 0 offen offset:4
	buffer_load_dword v46, v47, s[0:3], 0 offen offset:8
	buffer_load_dword v47, v47, s[0:3], 0 offen offset:12
	buffer_load_dword v48, v51, s[0:3], 0 offen
	buffer_load_dword v49, v51, s[0:3], 0 offen offset:4
	buffer_load_dword v50, v51, s[0:3], 0 offen offset:8
	buffer_load_dword v51, v51, s[0:3], 0 offen offset:12
	;; [unrolled: 4-line block ×3, first 2 shown]
	v_add_nc_u32_e32 v116, s6, v122
	v_lshlrev_b64 v[118:119], 4, v[122:123]
	v_mov_b32_e32 v123, s28
	v_ashrrev_i32_e32 v117, 31, v116
	v_add_nc_u32_e32 v124, s6, v116
	v_add_co_u32 v146, vcc_lo, v128, v118
	v_add_co_ci_u32_e64 v147, null, v129, v119, vcc_lo
	v_mov_b32_e32 v119, s29
	v_lshlrev_b64 v[126:127], 4, v[116:117]
	s_clause 0x7
	buffer_load_dword v116, v119, s[0:3], 0 offen
	buffer_load_dword v117, v119, s[0:3], 0 offen offset:4
	buffer_load_dword v118, v119, s[0:3], 0 offen offset:8
	buffer_load_dword v119, v119, s[0:3], 0 offen offset:12
	buffer_load_dword v120, v123, s[0:3], 0 offen
	buffer_load_dword v121, v123, s[0:3], 0 offen offset:4
	buffer_load_dword v122, v123, s[0:3], 0 offen offset:8
	;; [unrolled: 1-line block ×3, first 2 shown]
	v_ashrrev_i32_e32 v125, 31, v124
	v_add_co_u32 v148, vcc_lo, v128, v126
	v_add_co_ci_u32_e64 v149, null, v129, v127, vcc_lo
	v_mov_b32_e32 v127, s27
	v_add_nc_u32_e32 v150, s6, v124
	v_lshlrev_b64 v[138:139], 4, v[124:125]
	s_clause 0xb
	buffer_load_dword v124, v127, s[0:3], 0 offen
	buffer_load_dword v125, v127, s[0:3], 0 offen offset:4
	buffer_load_dword v126, v127, s[0:3], 0 offen offset:8
	buffer_load_dword v127, v127, s[0:3], 0 offen offset:12
	buffer_load_dword v130, v133, s[0:3], 0 offen
	buffer_load_dword v131, v133, s[0:3], 0 offen offset:4
	buffer_load_dword v132, v133, s[0:3], 0 offen offset:8
	buffer_load_dword v133, v133, s[0:3], 0 offen offset:12
	;; [unrolled: 4-line block ×3, first 2 shown]
	v_ashrrev_i32_e32 v151, 31, v150
	v_lshlrev_b64 v[140:141], 4, v[150:151]
	v_add_co_u32 v151, vcc_lo, v128, v138
	v_add_co_ci_u32_e64 v152, null, v129, v139, vcc_lo
	v_add_nc_u32_e32 v150, s6, v150
	v_add_co_u32 v153, vcc_lo, v128, v140
	v_add_co_ci_u32_e64 v154, null, v129, v141, vcc_lo
	s_clause 0x7
	buffer_load_dword v138, v142, s[0:3], 0 offen
	buffer_load_dword v139, v142, s[0:3], 0 offen offset:4
	buffer_load_dword v140, v142, s[0:3], 0 offen offset:8
	;; [unrolled: 1-line block ×3, first 2 shown]
	buffer_load_dword v142, v145, s[0:3], 0 offen
	buffer_load_dword v143, v145, s[0:3], 0 offen offset:4
	buffer_load_dword v144, v145, s[0:3], 0 offen offset:8
	;; [unrolled: 1-line block ×3, first 2 shown]
	global_store_dwordx4 v[146:147], v[84:87], off
	v_mov_b32_e32 v84, s22
	global_store_dwordx4 v[148:149], v[60:63], off
	global_store_dwordx4 v[151:152], v[64:67], off
	s_waitcnt vmcnt(62)
	global_store_dwordx4 v[153:154], v[72:75], off
	v_mov_b32_e32 v67, s19
	v_mov_b32_e32 v87, s7
	;; [unrolled: 1-line block ×4, first 2 shown]
	s_clause 0x13
	buffer_load_dword v60, v84, s[0:3], 0 offen
	buffer_load_dword v61, v84, s[0:3], 0 offen offset:4
	buffer_load_dword v62, v84, s[0:3], 0 offen offset:8
	buffer_load_dword v63, v84, s[0:3], 0 offen offset:12
	buffer_load_dword v64, v67, s[0:3], 0 offen
	buffer_load_dword v65, v67, s[0:3], 0 offen offset:4
	buffer_load_dword v66, v67, s[0:3], 0 offen offset:8
	buffer_load_dword v67, v67, s[0:3], 0 offen offset:12
	;; [unrolled: 4-line block ×5, first 2 shown]
	v_ashrrev_i32_e32 v151, 31, v150
	v_add_nc_u32_e32 v152, s6, v150
	v_lshlrev_b64 v[150:151], 4, v[150:151]
	v_ashrrev_i32_e32 v153, 31, v152
	v_add_nc_u32_e32 v154, s6, v152
	v_add_co_u32 v150, vcc_lo, v128, v150
	v_add_co_ci_u32_e64 v151, null, v129, v151, vcc_lo
	v_lshlrev_b64 v[152:153], 4, v[152:153]
	v_ashrrev_i32_e32 v155, 31, v154
	global_store_dwordx4 v[150:151], v[40:43], off
	v_add_nc_u32_e32 v40, s6, v154
	v_add_co_u32 v42, vcc_lo, v128, v152
	v_add_co_ci_u32_e64 v43, null, v129, v153, vcc_lo
	v_add_nc_u32_e32 v150, s6, v40
	v_ashrrev_i32_e32 v41, 31, v40
	v_lshlrev_b64 v[152:153], 4, v[154:155]
	global_store_dwordx4 v[42:43], v[36:39], off
	v_ashrrev_i32_e32 v151, 31, v150
	v_lshlrev_b64 v[36:37], 4, v[40:41]
	v_add_nc_u32_e32 v42, s6, v150
	v_add_co_u32 v38, vcc_lo, v128, v152
	v_lshlrev_b64 v[40:41], 4, v[150:151]
	v_add_co_ci_u32_e64 v39, null, v129, v153, vcc_lo
	v_add_co_u32 v36, vcc_lo, v128, v36
	v_add_co_ci_u32_e64 v37, null, v129, v37, vcc_lo
	v_add_co_u32 v40, vcc_lo, v128, v40
	v_add_nc_u32_e32 v150, s6, v42
	v_add_co_ci_u32_e64 v41, null, v129, v41, vcc_lo
	v_ashrrev_i32_e32 v43, 31, v42
	global_store_dwordx4 v[38:39], v[24:27], off
	global_store_dwordx4 v[36:37], v[28:31], off
	;; [unrolled: 1-line block ×3, first 2 shown]
	v_add_nc_u32_e32 v28, s6, v150
	v_ashrrev_i32_e32 v151, 31, v150
	v_lshlrev_b64 v[24:25], 4, v[42:43]
	v_add_nc_u32_e32 v30, s6, v28
	v_lshlrev_b64 v[26:27], 4, v[150:151]
	v_ashrrev_i32_e32 v29, 31, v28
	v_add_co_u32 v24, vcc_lo, v128, v24
	v_add_nc_u32_e32 v32, s6, v30
	v_add_co_ci_u32_e64 v25, null, v129, v25, vcc_lo
	v_add_co_u32 v26, vcc_lo, v128, v26
	v_ashrrev_i32_e32 v31, 31, v30
	v_add_co_ci_u32_e64 v27, null, v129, v27, vcc_lo
	v_ashrrev_i32_e32 v33, 31, v32
	v_lshlrev_b64 v[28:29], 4, v[28:29]
	global_store_dwordx4 v[24:25], v[16:19], off
	global_store_dwordx4 v[26:27], v[20:23], off
	v_lshlrev_b64 v[16:17], 4, v[30:31]
	v_add_nc_u32_e32 v22, s6, v32
	v_lshlrev_b64 v[20:21], 4, v[32:33]
	v_add_co_u32 v18, vcc_lo, v128, v28
	v_add_co_ci_u32_e64 v19, null, v129, v29, vcc_lo
	v_add_co_u32 v16, vcc_lo, v128, v16
	v_add_co_ci_u32_e64 v17, null, v129, v17, vcc_lo
	v_add_co_u32 v20, vcc_lo, v128, v20
	v_add_nc_u32_e32 v24, s6, v22
	v_add_co_ci_u32_e64 v21, null, v129, v21, vcc_lo
	v_ashrrev_i32_e32 v23, 31, v22
	v_ashrrev_i32_e32 v25, 31, v24
	global_store_dwordx4 v[18:19], v[0:3], off
	v_lshlrev_b64 v[0:1], 4, v[22:23]
	v_lshlrev_b64 v[2:3], 4, v[24:25]
	global_store_dwordx4 v[16:17], v[4:7], off
	global_store_dwordx4 v[20:21], v[12:15], off
	v_add_nc_u32_e32 v4, s6, v24
	v_add_co_u32 v0, vcc_lo, v128, v0
	v_add_co_ci_u32_e64 v1, null, v129, v1, vcc_lo
	v_add_nc_u32_e32 v6, s6, v4
	v_ashrrev_i32_e32 v5, 31, v4
	v_add_co_u32 v2, vcc_lo, v128, v2
	v_add_co_ci_u32_e64 v3, null, v129, v3, vcc_lo
	v_add_nc_u32_e32 v12, s6, v6
	v_lshlrev_b64 v[4:5], 4, v[4:5]
	v_ashrrev_i32_e32 v7, 31, v6
	global_store_dwordx4 v[0:1], v[8:11], off
	global_store_dwordx4 v[2:3], v[56:59], off
	v_ashrrev_i32_e32 v13, 31, v12
	v_lshlrev_b64 v[0:1], 4, v[6:7]
	v_add_co_u32 v2, vcc_lo, v128, v4
	v_add_co_ci_u32_e64 v3, null, v129, v5, vcc_lo
	v_lshlrev_b64 v[4:5], 4, v[12:13]
	v_add_nc_u32_e32 v6, s6, v12
	v_add_co_u32 v0, vcc_lo, v128, v0
	v_add_co_ci_u32_e64 v1, null, v129, v1, vcc_lo
	v_add_co_u32 v4, vcc_lo, v128, v4
	v_add_nc_u32_e32 v8, s6, v6
	v_add_co_ci_u32_e64 v5, null, v129, v5, vcc_lo
	v_ashrrev_i32_e32 v7, 31, v6
	global_store_dwordx4 v[2:3], v[68:71], off
	global_store_dwordx4 v[0:1], v[76:79], off
	;; [unrolled: 1-line block ×3, first 2 shown]
	v_add_nc_u32_e32 v4, s6, v8
	v_ashrrev_i32_e32 v9, 31, v8
	v_lshlrev_b64 v[2:3], 4, v[6:7]
	v_add_nc_u32_e32 v6, s6, v4
	v_lshlrev_b64 v[0:1], 4, v[8:9]
	v_ashrrev_i32_e32 v5, 31, v4
	v_add_co_u32 v2, vcc_lo, v128, v2
	v_add_nc_u32_e32 v8, s6, v6
	v_add_co_ci_u32_e64 v3, null, v129, v3, vcc_lo
	v_add_co_u32 v0, vcc_lo, v128, v0
	v_lshlrev_b64 v[4:5], 4, v[4:5]
	v_ashrrev_i32_e32 v7, 31, v6
	v_add_co_ci_u32_e64 v1, null, v129, v1, vcc_lo
	v_ashrrev_i32_e32 v9, 31, v8
	global_store_dwordx4 v[2:3], v[88:91], off
	s_waitcnt vmcnt(62)
	global_store_dwordx4 v[0:1], v[92:95], off
	v_lshlrev_b64 v[0:1], 4, v[6:7]
	v_add_co_u32 v2, vcc_lo, v128, v4
	v_add_co_ci_u32_e64 v3, null, v129, v5, vcc_lo
	v_lshlrev_b64 v[4:5], 4, v[8:9]
	v_add_nc_u32_e32 v6, s6, v8
	v_add_co_u32 v0, vcc_lo, v128, v0
	v_add_co_ci_u32_e64 v1, null, v129, v1, vcc_lo
	v_add_co_u32 v4, vcc_lo, v128, v4
	v_add_nc_u32_e32 v8, s6, v6
	v_add_co_ci_u32_e64 v5, null, v129, v5, vcc_lo
	v_ashrrev_i32_e32 v7, 31, v6
	global_store_dwordx4 v[2:3], v[96:99], off
	global_store_dwordx4 v[0:1], v[100:103], off
	;; [unrolled: 1-line block ×3, first 2 shown]
	v_add_nc_u32_e32 v4, s6, v8
	v_ashrrev_i32_e32 v9, 31, v8
	v_lshlrev_b64 v[2:3], 4, v[6:7]
	v_add_nc_u32_e32 v6, s6, v4
	v_lshlrev_b64 v[0:1], 4, v[8:9]
	v_ashrrev_i32_e32 v5, 31, v4
	v_add_co_u32 v2, vcc_lo, v128, v2
	v_add_nc_u32_e32 v8, s6, v6
	v_add_co_ci_u32_e64 v3, null, v129, v3, vcc_lo
	v_add_co_u32 v0, vcc_lo, v128, v0
	v_lshlrev_b64 v[4:5], 4, v[4:5]
	v_ashrrev_i32_e32 v7, 31, v6
	v_add_co_ci_u32_e64 v1, null, v129, v1, vcc_lo
	v_ashrrev_i32_e32 v9, 31, v8
	global_store_dwordx4 v[2:3], v[108:111], off
	s_waitcnt vmcnt(60)
	global_store_dwordx4 v[0:1], v[112:115], off
	v_lshlrev_b64 v[0:1], 4, v[6:7]
	v_add_co_u32 v2, vcc_lo, v128, v4
	v_add_co_ci_u32_e64 v3, null, v129, v5, vcc_lo
	v_lshlrev_b64 v[4:5], 4, v[8:9]
	v_add_nc_u32_e32 v6, s6, v8
	v_add_co_u32 v0, vcc_lo, v128, v0
	v_add_co_ci_u32_e64 v1, null, v129, v1, vcc_lo
	v_add_co_u32 v4, vcc_lo, v128, v4
	v_add_nc_u32_e32 v8, s6, v6
	v_add_co_ci_u32_e64 v5, null, v129, v5, vcc_lo
	v_ashrrev_i32_e32 v7, 31, v6
	s_waitcnt vmcnt(56)
	global_store_dwordx4 v[2:3], v[44:47], off
	s_waitcnt vmcnt(52)
	global_store_dwordx4 v[0:1], v[48:51], off
	;; [unrolled: 2-line block ×3, first 2 shown]
	v_add_nc_u32_e32 v4, s6, v8
	v_ashrrev_i32_e32 v9, 31, v8
	v_lshlrev_b64 v[2:3], 4, v[6:7]
	v_add_nc_u32_e32 v6, s6, v4
	v_lshlrev_b64 v[0:1], 4, v[8:9]
	v_ashrrev_i32_e32 v5, 31, v4
	v_add_co_u32 v2, vcc_lo, v128, v2
	v_add_nc_u32_e32 v8, s6, v6
	v_add_co_ci_u32_e64 v3, null, v129, v3, vcc_lo
	v_add_co_u32 v0, vcc_lo, v128, v0
	v_lshlrev_b64 v[4:5], 4, v[4:5]
	v_ashrrev_i32_e32 v7, 31, v6
	v_add_co_ci_u32_e64 v1, null, v129, v1, vcc_lo
	v_ashrrev_i32_e32 v9, 31, v8
	s_waitcnt vmcnt(44)
	global_store_dwordx4 v[2:3], v[116:119], off
	s_waitcnt vmcnt(40)
	global_store_dwordx4 v[0:1], v[120:123], off
	v_lshlrev_b64 v[0:1], 4, v[6:7]
	v_add_co_u32 v2, vcc_lo, v128, v4
	v_add_co_ci_u32_e64 v3, null, v129, v5, vcc_lo
	v_lshlrev_b64 v[4:5], 4, v[8:9]
	v_add_nc_u32_e32 v6, s6, v8
	v_add_co_u32 v0, vcc_lo, v128, v0
	v_add_co_ci_u32_e64 v1, null, v129, v1, vcc_lo
	v_add_co_u32 v4, vcc_lo, v128, v4
	v_add_nc_u32_e32 v8, s6, v6
	v_add_co_ci_u32_e64 v5, null, v129, v5, vcc_lo
	v_ashrrev_i32_e32 v7, 31, v6
	s_waitcnt vmcnt(36)
	global_store_dwordx4 v[2:3], v[124:127], off
	s_waitcnt vmcnt(32)
	global_store_dwordx4 v[0:1], v[130:133], off
	;; [unrolled: 2-line block ×3, first 2 shown]
	v_add_nc_u32_e32 v4, s6, v8
	v_ashrrev_i32_e32 v9, 31, v8
	v_lshlrev_b64 v[2:3], 4, v[6:7]
	v_add_nc_u32_e32 v6, s6, v4
	v_lshlrev_b64 v[0:1], 4, v[8:9]
	v_ashrrev_i32_e32 v5, 31, v4
	v_add_co_u32 v2, vcc_lo, v128, v2
	v_add_co_ci_u32_e64 v3, null, v129, v3, vcc_lo
	v_add_nc_u32_e32 v8, s6, v6
	v_add_co_u32 v0, vcc_lo, v128, v0
	v_add_co_ci_u32_e64 v1, null, v129, v1, vcc_lo
	v_ashrrev_i32_e32 v7, 31, v6
	s_waitcnt vmcnt(24)
	global_store_dwordx4 v[2:3], v[138:141], off
	v_lshlrev_b64 v[2:3], 4, v[4:5]
	v_ashrrev_i32_e32 v9, 31, v8
	v_add_nc_u32_e32 v4, s6, v8
	s_waitcnt vmcnt(20)
	global_store_dwordx4 v[0:1], v[142:145], off
	v_lshlrev_b64 v[0:1], 4, v[6:7]
	v_lshlrev_b64 v[6:7], 4, v[8:9]
	v_add_nc_u32_e32 v8, s6, v4
	v_ashrrev_i32_e32 v5, 31, v4
	v_add_co_u32 v2, vcc_lo, v128, v2
	v_add_co_ci_u32_e64 v3, null, v129, v3, vcc_lo
	v_ashrrev_i32_e32 v9, 31, v8
	v_lshlrev_b64 v[4:5], 4, v[4:5]
	v_add_co_u32 v0, vcc_lo, v128, v0
	v_add_co_ci_u32_e64 v1, null, v129, v1, vcc_lo
	v_lshlrev_b64 v[8:9], 4, v[8:9]
	v_add_co_u32 v6, vcc_lo, v128, v6
	v_add_co_ci_u32_e64 v7, null, v129, v7, vcc_lo
	v_add_co_u32 v4, vcc_lo, v128, v4
	v_add_co_ci_u32_e64 v5, null, v129, v5, vcc_lo
	;; [unrolled: 2-line block ×3, first 2 shown]
	s_waitcnt vmcnt(16)
	global_store_dwordx4 v[2:3], v[60:63], off
	s_waitcnt vmcnt(12)
	global_store_dwordx4 v[0:1], v[64:67], off
	;; [unrolled: 2-line block ×5, first 2 shown]
.LBB122_1435:
	s_endpgm
	.section	.rodata,"a",@progbits
	.p2align	6, 0x0
	.amdhsa_kernel _ZN9rocsolver6v33100L18getf2_small_kernelILi62E19rocblas_complex_numIdEiiPS3_EEvT1_T3_lS5_lPS5_llPT2_S5_S5_S7_l
		.amdhsa_group_segment_fixed_size 0
		.amdhsa_private_segment_fixed_size 1008
		.amdhsa_kernarg_size 352
		.amdhsa_user_sgpr_count 6
		.amdhsa_user_sgpr_private_segment_buffer 1
		.amdhsa_user_sgpr_dispatch_ptr 0
		.amdhsa_user_sgpr_queue_ptr 0
		.amdhsa_user_sgpr_kernarg_segment_ptr 1
		.amdhsa_user_sgpr_dispatch_id 0
		.amdhsa_user_sgpr_flat_scratch_init 0
		.amdhsa_user_sgpr_private_segment_size 0
		.amdhsa_wavefront_size32 1
		.amdhsa_uses_dynamic_stack 0
		.amdhsa_system_sgpr_private_segment_wavefront_offset 1
		.amdhsa_system_sgpr_workgroup_id_x 1
		.amdhsa_system_sgpr_workgroup_id_y 1
		.amdhsa_system_sgpr_workgroup_id_z 0
		.amdhsa_system_sgpr_workgroup_info 0
		.amdhsa_system_vgpr_workitem_id 1
		.amdhsa_next_free_vgpr 163
		.amdhsa_next_free_sgpr 105
		.amdhsa_reserve_vcc 1
		.amdhsa_reserve_flat_scratch 0
		.amdhsa_float_round_mode_32 0
		.amdhsa_float_round_mode_16_64 0
		.amdhsa_float_denorm_mode_32 3
		.amdhsa_float_denorm_mode_16_64 3
		.amdhsa_dx10_clamp 1
		.amdhsa_ieee_mode 1
		.amdhsa_fp16_overflow 0
		.amdhsa_workgroup_processor_mode 1
		.amdhsa_memory_ordered 1
		.amdhsa_forward_progress 1
		.amdhsa_shared_vgpr_count 0
		.amdhsa_exception_fp_ieee_invalid_op 0
		.amdhsa_exception_fp_denorm_src 0
		.amdhsa_exception_fp_ieee_div_zero 0
		.amdhsa_exception_fp_ieee_overflow 0
		.amdhsa_exception_fp_ieee_underflow 0
		.amdhsa_exception_fp_ieee_inexact 0
		.amdhsa_exception_int_div_zero 0
	.end_amdhsa_kernel
	.section	.text._ZN9rocsolver6v33100L18getf2_small_kernelILi62E19rocblas_complex_numIdEiiPS3_EEvT1_T3_lS5_lPS5_llPT2_S5_S5_S7_l,"axG",@progbits,_ZN9rocsolver6v33100L18getf2_small_kernelILi62E19rocblas_complex_numIdEiiPS3_EEvT1_T3_lS5_lPS5_llPT2_S5_S5_S7_l,comdat
.Lfunc_end122:
	.size	_ZN9rocsolver6v33100L18getf2_small_kernelILi62E19rocblas_complex_numIdEiiPS3_EEvT1_T3_lS5_lPS5_llPT2_S5_S5_S7_l, .Lfunc_end122-_ZN9rocsolver6v33100L18getf2_small_kernelILi62E19rocblas_complex_numIdEiiPS3_EEvT1_T3_lS5_lPS5_llPT2_S5_S5_S7_l
                                        ; -- End function
	.set _ZN9rocsolver6v33100L18getf2_small_kernelILi62E19rocblas_complex_numIdEiiPS3_EEvT1_T3_lS5_lPS5_llPT2_S5_S5_S7_l.num_vgpr, 163
	.set _ZN9rocsolver6v33100L18getf2_small_kernelILi62E19rocblas_complex_numIdEiiPS3_EEvT1_T3_lS5_lPS5_llPT2_S5_S5_S7_l.num_agpr, 0
	.set _ZN9rocsolver6v33100L18getf2_small_kernelILi62E19rocblas_complex_numIdEiiPS3_EEvT1_T3_lS5_lPS5_llPT2_S5_S5_S7_l.numbered_sgpr, 105
	.set _ZN9rocsolver6v33100L18getf2_small_kernelILi62E19rocblas_complex_numIdEiiPS3_EEvT1_T3_lS5_lPS5_llPT2_S5_S5_S7_l.num_named_barrier, 0
	.set _ZN9rocsolver6v33100L18getf2_small_kernelILi62E19rocblas_complex_numIdEiiPS3_EEvT1_T3_lS5_lPS5_llPT2_S5_S5_S7_l.private_seg_size, 1008
	.set _ZN9rocsolver6v33100L18getf2_small_kernelILi62E19rocblas_complex_numIdEiiPS3_EEvT1_T3_lS5_lPS5_llPT2_S5_S5_S7_l.uses_vcc, 1
	.set _ZN9rocsolver6v33100L18getf2_small_kernelILi62E19rocblas_complex_numIdEiiPS3_EEvT1_T3_lS5_lPS5_llPT2_S5_S5_S7_l.uses_flat_scratch, 0
	.set _ZN9rocsolver6v33100L18getf2_small_kernelILi62E19rocblas_complex_numIdEiiPS3_EEvT1_T3_lS5_lPS5_llPT2_S5_S5_S7_l.has_dyn_sized_stack, 0
	.set _ZN9rocsolver6v33100L18getf2_small_kernelILi62E19rocblas_complex_numIdEiiPS3_EEvT1_T3_lS5_lPS5_llPT2_S5_S5_S7_l.has_recursion, 0
	.set _ZN9rocsolver6v33100L18getf2_small_kernelILi62E19rocblas_complex_numIdEiiPS3_EEvT1_T3_lS5_lPS5_llPT2_S5_S5_S7_l.has_indirect_call, 0
	.section	.AMDGPU.csdata,"",@progbits
; Kernel info:
; codeLenInByte = 176148
; TotalNumSgprs: 107
; NumVgprs: 163
; ScratchSize: 1008
; MemoryBound: 0
; FloatMode: 240
; IeeeMode: 1
; LDSByteSize: 0 bytes/workgroup (compile time only)
; SGPRBlocks: 0
; VGPRBlocks: 20
; NumSGPRsForWavesPerEU: 107
; NumVGPRsForWavesPerEU: 163
; Occupancy: 5
; WaveLimiterHint : 1
; COMPUTE_PGM_RSRC2:SCRATCH_EN: 1
; COMPUTE_PGM_RSRC2:USER_SGPR: 6
; COMPUTE_PGM_RSRC2:TRAP_HANDLER: 0
; COMPUTE_PGM_RSRC2:TGID_X_EN: 1
; COMPUTE_PGM_RSRC2:TGID_Y_EN: 1
; COMPUTE_PGM_RSRC2:TGID_Z_EN: 0
; COMPUTE_PGM_RSRC2:TIDIG_COMP_CNT: 1
	.section	.text._ZN9rocsolver6v33100L23getf2_npvt_small_kernelILi62E19rocblas_complex_numIdEiiPS3_EEvT1_T3_lS5_lPT2_S5_S5_,"axG",@progbits,_ZN9rocsolver6v33100L23getf2_npvt_small_kernelILi62E19rocblas_complex_numIdEiiPS3_EEvT1_T3_lS5_lPT2_S5_S5_,comdat
	.globl	_ZN9rocsolver6v33100L23getf2_npvt_small_kernelILi62E19rocblas_complex_numIdEiiPS3_EEvT1_T3_lS5_lPT2_S5_S5_ ; -- Begin function _ZN9rocsolver6v33100L23getf2_npvt_small_kernelILi62E19rocblas_complex_numIdEiiPS3_EEvT1_T3_lS5_lPT2_S5_S5_
	.p2align	8
	.type	_ZN9rocsolver6v33100L23getf2_npvt_small_kernelILi62E19rocblas_complex_numIdEiiPS3_EEvT1_T3_lS5_lPT2_S5_S5_,@function
_ZN9rocsolver6v33100L23getf2_npvt_small_kernelILi62E19rocblas_complex_numIdEiiPS3_EEvT1_T3_lS5_lPT2_S5_S5_: ; @_ZN9rocsolver6v33100L23getf2_npvt_small_kernelILi62E19rocblas_complex_numIdEiiPS3_EEvT1_T3_lS5_lPT2_S5_S5_
; %bb.0:
	s_clause 0x1
	s_load_dword s6, s[4:5], 0x44
	s_load_dwordx2 s[12:13], s[4:5], 0x30
	s_add_u32 s0, s0, s8
	s_addc_u32 s1, s1, 0
	s_waitcnt lgkmcnt(0)
	s_lshr_b32 s16, s6, 16
	s_mov_b32 s6, exec_lo
	v_mad_u64_u32 v[249:250], null, s7, s16, v[1:2]
	v_cmpx_gt_i32_e64 s12, v249
	s_cbranch_execnz .LBB123_1
; %bb.694:
	s_getpc_b64 s[104:105]
.Lpost_getpc25:
	s_add_u32 s104, s104, (.LBB123_693-.Lpost_getpc25)&4294967295
	s_addc_u32 s105, s105, (.LBB123_693-.Lpost_getpc25)>>32
	s_setpc_b64 s[104:105]
.LBB123_1:
	s_clause 0x2
	s_load_dwordx4 s[8:11], s[4:5], 0x20
	s_load_dword s14, s[4:5], 0x18
	s_load_dwordx4 s[4:7], s[4:5], 0x8
	v_ashrrev_i32_e32 v250, 31, v249
	v_lshlrev_b32_e32 v12, 4, v0
	v_mad_u32_u24 v245, 0x3e0, v1, 0
	s_movk_i32 s12, 0x70
	s_movk_i32 s17, 0xb0
	;; [unrolled: 1-line block ×14, first 2 shown]
	s_waitcnt lgkmcnt(0)
	v_mul_lo_u32 v5, s9, v249
	v_mul_lo_u32 v7, s8, v250
	v_mad_u64_u32 v[2:3], null, s8, v249, 0
	v_add3_u32 v4, s14, s14, v0
	s_lshl_b64 s[6:7], s[6:7], 4
	s_ashr_i32 s15, s14, 31
	s_movk_i32 s30, 0x180
	s_lshl_b64 s[8:9], s[14:15], 4
	v_add_nc_u32_e32 v6, s14, v4
	v_add3_u32 v3, v3, v7, v5
	v_ashrrev_i32_e32 v5, 31, v4
	s_movk_i32 s15, 0x90
	s_movk_i32 s31, 0x190
	v_add_nc_u32_e32 v8, s14, v6
	v_lshlrev_b64 v[2:3], 4, v[2:3]
	v_lshlrev_b64 v[4:5], 4, v[4:5]
	v_ashrrev_i32_e32 v7, 31, v6
	s_movk_i32 s33, 0x1a0
	v_ashrrev_i32_e32 v9, 31, v8
	v_add_nc_u32_e32 v10, s14, v8
	v_add_co_u32 v13, vcc_lo, s4, v2
	v_add_co_ci_u32_e64 v14, null, s5, v3, vcc_lo
	v_lshlrev_b64 v[2:3], 4, v[8:9]
	v_add_co_u32 v130, vcc_lo, v13, s6
	v_add_co_ci_u32_e64 v131, null, s7, v14, vcc_lo
	v_lshlrev_b64 v[6:7], 4, v[6:7]
	v_add_co_u32 v251, vcc_lo, v130, v12
	v_add_co_ci_u32_e64 v252, null, 0, v131, vcc_lo
	v_add_co_u32 v8, vcc_lo, v130, v4
	v_add_co_ci_u32_e64 v9, null, v131, v5, vcc_lo
	buffer_store_dword v8, off, s[0:3], 0 offset:1016 ; 4-byte Folded Spill
	buffer_store_dword v9, off, s[0:3], 0 offset:1020 ; 4-byte Folded Spill
	v_add_co_u32 v6, vcc_lo, v130, v6
	v_add_co_ci_u32_e64 v7, null, v131, v7, vcc_lo
	v_add_co_u32 v4, vcc_lo, v130, v2
	v_add_co_ci_u32_e64 v5, null, v131, v3, vcc_lo
	v_ashrrev_i32_e32 v11, 31, v10
	v_add_nc_u32_e32 v22, s14, v10
	s_mul_i32 s4, s16, 0x3e0
	v_cmp_ne_u32_e64 s5, 0, v0
	s_movk_i32 s16, 0xa0
	v_lshlrev_b64 v[10:11], 4, v[10:11]
	v_ashrrev_i32_e32 v23, 31, v22
	v_add_nc_u32_e32 v26, s14, v22
	s_movk_i32 s7, 0x360
	s_movk_i32 s34, 0x1b0
	;; [unrolled: 1-line block ×3, first 2 shown]
	v_add_co_u32 v2, vcc_lo, v130, v10
	v_add_co_ci_u32_e64 v3, null, v131, v11, vcc_lo
	v_add_co_u32 v32, vcc_lo, v251, s8
	v_add_co_ci_u32_e64 v33, null, s9, v252, vcc_lo
	v_lshlrev_b64 v[30:31], 4, v[22:23]
	v_ashrrev_i32_e32 v27, 31, v26
	v_add_nc_u32_e32 v28, s14, v26
	s_movk_i32 s8, 0x50
	s_movk_i32 s9, 0x60
	;; [unrolled: 1-line block ×3, first 2 shown]
	v_add_co_u32 v34, vcc_lo, v130, v30
	v_add_co_ci_u32_e64 v35, null, v131, v31, vcc_lo
	v_lshlrev_b64 v[26:27], 4, v[26:27]
	v_ashrrev_i32_e32 v29, 31, v28
	s_movk_i32 s37, 0x1e0
	s_movk_i32 s38, 0x1f0
	;; [unrolled: 1-line block ×4, first 2 shown]
	v_add_co_u32 v36, vcc_lo, v130, v26
	v_add_co_ci_u32_e64 v37, null, v131, v27, vcc_lo
	s_movk_i32 s41, 0x220
	s_movk_i32 s75, 0x230
	;; [unrolled: 1-line block ×27, first 2 shown]
	global_load_dwordx4 v[18:21], v[8:9], off
	buffer_store_dword v6, off, s[0:3], 0 offset:1008 ; 4-byte Folded Spill
	buffer_store_dword v7, off, s[0:3], 0 offset:1012 ; 4-byte Folded Spill
	global_load_dwordx4 v[6:9], v[6:7], off
	buffer_store_dword v4, off, s[0:3], 0 offset:1000 ; 4-byte Folded Spill
	buffer_store_dword v5, off, s[0:3], 0 offset:1004 ; 4-byte Folded Spill
	;; [unrolled: 3-line block ×3, first 2 shown]
	s_clause 0x1
	global_load_dwordx4 v[22:25], v[251:252], off
	global_load_dwordx4 v[10:13], v[2:3], off
	buffer_store_dword v32, off, s[0:3], 0 offset:1032 ; 4-byte Folded Spill
	buffer_store_dword v33, off, s[0:3], 0 offset:1036 ; 4-byte Folded Spill
	global_load_dwordx4 v[2:5], v[32:33], off
	buffer_store_dword v34, off, s[0:3], 0 offset:1024 ; 4-byte Folded Spill
	buffer_store_dword v35, off, s[0:3], 0 offset:1028 ; 4-byte Folded Spill
	v_add_nc_u32_e32 v32, s14, v28
	v_lshlrev_b64 v[28:29], 4, v[28:29]
	v_ashrrev_i32_e32 v33, 31, v32
	v_add_nc_u32_e32 v30, s14, v32
	v_add_co_u32 v42, vcc_lo, v130, v28
	v_add_co_ci_u32_e64 v43, null, v131, v29, vcc_lo
	v_lshlrev_b64 v[26:27], 4, v[32:33]
	v_ashrrev_i32_e32 v31, 31, v30
	v_add_nc_u32_e32 v32, s14, v30
	v_lshlrev_b64 v[28:29], 4, v[30:31]
	v_add_nc_u32_e32 v30, s14, v32
	v_ashrrev_i32_e32 v33, 31, v32
	v_add_co_u32 v44, vcc_lo, v130, v26
	v_add_co_ci_u32_e64 v45, null, v131, v27, vcc_lo
	v_ashrrev_i32_e32 v31, 31, v30
	v_add_nc_u32_e32 v26, s14, v30
	v_add_co_u32 v48, vcc_lo, v130, v28
	v_lshlrev_b64 v[32:33], 4, v[32:33]
	v_add_co_ci_u32_e64 v49, null, v131, v29, vcc_lo
	v_lshlrev_b64 v[28:29], 4, v[30:31]
	v_add_nc_u32_e32 v30, s14, v26
	v_ashrrev_i32_e32 v27, 31, v26
	v_add_co_u32 v50, vcc_lo, v130, v32
	v_add_co_ci_u32_e64 v51, null, v131, v33, vcc_lo
	v_ashrrev_i32_e32 v31, 31, v30
	v_add_nc_u32_e32 v32, s14, v30
	v_add_co_u32 v52, vcc_lo, v130, v28
	v_lshlrev_b64 v[26:27], 4, v[26:27]
	v_add_co_ci_u32_e64 v53, null, v131, v29, vcc_lo
	;; [unrolled: 10-line block ×3, first 2 shown]
	v_lshlrev_b64 v[28:29], 4, v[30:31]
	v_add_nc_u32_e32 v30, s14, v26
	v_ashrrev_i32_e32 v27, 31, v26
	v_add_co_u32 v58, vcc_lo, v130, v32
	v_add_co_ci_u32_e64 v59, null, v131, v33, vcc_lo
	v_add_nc_u32_e32 v32, s14, v30
	v_lshlrev_b64 v[26:27], 4, v[26:27]
	v_ashrrev_i32_e32 v31, 31, v30
	v_add_co_u32 v78, vcc_lo, v130, v28
	v_ashrrev_i32_e32 v33, 31, v32
	v_add_co_ci_u32_e64 v79, null, v131, v29, vcc_lo
	v_add_co_u32 v80, vcc_lo, v130, v26
	v_lshlrev_b64 v[28:29], 4, v[30:31]
	v_add_nc_u32_e32 v46, s14, v32
	v_add_co_ci_u32_e64 v81, null, v131, v27, vcc_lo
	v_lshlrev_b64 v[26:27], 4, v[32:33]
	v_add_co_u32 v96, vcc_lo, v130, v28
	v_add_co_ci_u32_e64 v97, null, v131, v29, vcc_lo
	v_add_co_u32 v94, vcc_lo, v130, v26
	v_add_co_ci_u32_e64 v95, null, v131, v27, vcc_lo
	v_ashrrev_i32_e32 v47, 31, v46
	v_add_nc_u32_e32 v26, s14, v46
	v_lshlrev_b64 v[28:29], 4, v[46:47]
	v_ashrrev_i32_e32 v27, 31, v26
	v_add_co_u32 v60, vcc_lo, v130, v28
	v_add_co_ci_u32_e64 v61, null, v131, v29, vcc_lo
	v_add_nc_u32_e32 v28, s14, v26
	v_lshlrev_b64 v[26:27], 4, v[26:27]
	v_ashrrev_i32_e32 v29, 31, v28
	v_add_nc_u32_e32 v46, s14, v28
	v_lshlrev_b64 v[28:29], 4, v[28:29]
	v_ashrrev_i32_e32 v47, 31, v46
	global_load_dwordx4 v[38:41], v[34:35], off
	buffer_store_dword v36, off, s[0:3], 0 offset:1040 ; 4-byte Folded Spill
	buffer_store_dword v37, off, s[0:3], 0 offset:1044 ; 4-byte Folded Spill
	global_load_dwordx4 v[30:33], v[36:37], off
	buffer_store_dword v42, off, s[0:3], 0 offset:1048 ; 4-byte Folded Spill
	buffer_store_dword v43, off, s[0:3], 0 offset:1052 ; 4-byte Folded Spill
	;; [unrolled: 3-line block ×5, first 2 shown]
	v_add_co_u32 v48, vcc_lo, v130, v26
	v_add_co_ci_u32_e64 v49, null, v131, v27, vcc_lo
	v_lshlrev_b64 v[26:27], 4, v[46:47]
	v_add_nc_u32_e32 v46, s14, v46
	v_ashrrev_i32_e32 v47, 31, v46
	global_load_dwordx4 v[70:73], v[50:51], off
	buffer_store_dword v52, off, s[0:3], 0 offset:1080 ; 4-byte Folded Spill
	buffer_store_dword v53, off, s[0:3], 0 offset:1084 ; 4-byte Folded Spill
	v_add_co_u32 v50, vcc_lo, v130, v28
	v_add_co_ci_u32_e64 v51, null, v131, v29, vcc_lo
	v_add_nc_u32_e32 v28, s14, v46
	v_ashrrev_i32_e32 v29, 31, v28
	global_load_dwordx4 v[66:69], v[52:53], off
	buffer_store_dword v54, off, s[0:3], 0 offset:1088 ; 4-byte Folded Spill
	buffer_store_dword v55, off, s[0:3], 0 offset:1092 ; 4-byte Folded Spill
	v_add_co_u32 v52, vcc_lo, v130, v26
	v_add_co_ci_u32_e64 v53, null, v131, v27, vcc_lo
	v_lshlrev_b64 v[26:27], 4, v[46:47]
	v_lshlrev_b64 v[46:47], 4, v[28:29]
	v_add_nc_u32_e32 v28, s14, v28
	v_ashrrev_i32_e32 v29, 31, v28
	global_load_dwordx4 v[62:65], v[54:55], off
	buffer_store_dword v56, off, s[0:3], 0 offset:1096 ; 4-byte Folded Spill
	buffer_store_dword v57, off, s[0:3], 0 offset:1100 ; 4-byte Folded Spill
	global_load_dwordx4 v[90:93], v[56:57], off
	buffer_store_dword v58, off, s[0:3], 0 offset:1104 ; 4-byte Folded Spill
	buffer_store_dword v59, off, s[0:3], 0 offset:1108 ; 4-byte Folded Spill
	;; [unrolled: 3-line block ×9, first 2 shown]
	v_add_co_u32 v48, vcc_lo, v130, v26
	v_add_co_ci_u32_e64 v49, null, v131, v27, vcc_lo
	v_add_nc_u32_e32 v26, s14, v28
	v_lshlrev_b64 v[28:29], 4, v[28:29]
	v_ashrrev_i32_e32 v27, 31, v26
	global_load_dwordx4 v[114:117], v[50:51], off
	buffer_store_dword v52, off, s[0:3], 0 offset:1168 ; 4-byte Folded Spill
	buffer_store_dword v53, off, s[0:3], 0 offset:1172 ; 4-byte Folded Spill
	v_add_co_u32 v50, vcc_lo, v130, v46
	v_add_co_ci_u32_e64 v51, null, v131, v47, vcc_lo
	v_add_nc_u32_e32 v46, s14, v26
	v_lshlrev_b64 v[26:27], 4, v[26:27]
	v_ashrrev_i32_e32 v47, 31, v46
	global_load_dwordx4 v[110:113], v[52:53], off
	buffer_store_dword v48, off, s[0:3], 0 offset:1176 ; 4-byte Folded Spill
	buffer_store_dword v49, off, s[0:3], 0 offset:1180 ; 4-byte Folded Spill
	global_load_dwordx4 v[132:135], v[48:49], off
	buffer_store_dword v50, off, s[0:3], 0 offset:1184 ; 4-byte Folded Spill
	buffer_store_dword v51, off, s[0:3], 0 offset:1188 ; 4-byte Folded Spill
	v_add_nc_u32_e32 v48, s14, v46
	v_ashrrev_i32_e32 v49, 31, v48
	global_load_dwordx4 v[136:139], v[50:51], off
	v_add_co_u32 v50, vcc_lo, v130, v28
	v_add_co_ci_u32_e64 v51, null, v131, v29, vcc_lo
	buffer_store_dword v50, off, s[0:3], 0 offset:1192 ; 4-byte Folded Spill
	buffer_store_dword v51, off, s[0:3], 0 offset:1196 ; 4-byte Folded Spill
	v_add_co_u32 v52, vcc_lo, v130, v26
	v_add_co_ci_u32_e64 v53, null, v131, v27, vcc_lo
	v_lshlrev_b64 v[28:29], 4, v[46:47]
	v_lshlrev_b64 v[26:27], 4, v[48:49]
	v_add_nc_u32_e32 v46, s14, v48
	v_add_co_u32 v28, vcc_lo, v130, v28
	v_add_co_ci_u32_e64 v29, null, v131, v29, vcc_lo
	v_ashrrev_i32_e32 v47, 31, v46
	v_add_nc_u32_e32 v48, s14, v46
	v_ashrrev_i32_e32 v49, 31, v48
	global_load_dwordx4 v[140:143], v[50:51], off
	buffer_store_dword v52, off, s[0:3], 0 offset:1200 ; 4-byte Folded Spill
	buffer_store_dword v53, off, s[0:3], 0 offset:1204 ; 4-byte Folded Spill
	v_add_co_u32 v50, vcc_lo, v130, v26
	v_add_co_ci_u32_e64 v51, null, v131, v27, vcc_lo
	v_lshlrev_b64 v[26:27], 4, v[46:47]
	v_add_nc_u32_e32 v46, s14, v48
	v_add_co_u32 v26, vcc_lo, v130, v26
	v_add_co_ci_u32_e64 v27, null, v131, v27, vcc_lo
	v_ashrrev_i32_e32 v47, 31, v46
	global_load_dwordx4 v[144:147], v[52:53], off
	buffer_store_dword v28, off, s[0:3], 0 offset:1208 ; 4-byte Folded Spill
	buffer_store_dword v29, off, s[0:3], 0 offset:1212 ; 4-byte Folded Spill
	global_load_dwordx4 v[148:151], v[28:29], off
	buffer_store_dword v50, off, s[0:3], 0 offset:1216 ; 4-byte Folded Spill
	buffer_store_dword v51, off, s[0:3], 0 offset:1220 ; 4-byte Folded Spill
	v_lshlrev_b64 v[28:29], 4, v[48:49]
	v_add_nc_u32_e32 v48, s14, v46
	v_lshlrev_b64 v[46:47], 4, v[46:47]
	v_add_co_u32 v28, vcc_lo, v130, v28
	v_add_co_ci_u32_e64 v29, null, v131, v29, vcc_lo
	v_add_co_u32 v46, vcc_lo, v130, v46
	v_add_co_ci_u32_e64 v47, null, v131, v47, vcc_lo
	v_ashrrev_i32_e32 v49, 31, v48
	global_load_dwordx4 v[152:155], v[50:51], off
	buffer_store_dword v26, off, s[0:3], 0 offset:1224 ; 4-byte Folded Spill
	buffer_store_dword v27, off, s[0:3], 0 offset:1228 ; 4-byte Folded Spill
	v_add_nc_u32_e32 v50, s14, v48
	v_lshlrev_b64 v[48:49], 4, v[48:49]
	v_add_nc_u32_e32 v52, s14, v50
	v_ashrrev_i32_e32 v51, 31, v50
	v_add_co_u32 v48, vcc_lo, v130, v48
	v_add_co_ci_u32_e64 v49, null, v131, v49, vcc_lo
	v_ashrrev_i32_e32 v53, 31, v52
	v_lshlrev_b64 v[54:55], 4, v[50:51]
	v_add_nc_u32_e32 v56, s14, v52
	v_lshlrev_b64 v[58:59], 4, v[52:53]
	v_add_co_u32 v54, vcc_lo, v130, v54
	v_add_co_ci_u32_e64 v55, null, v131, v55, vcc_lo
	v_ashrrev_i32_e32 v57, 31, v56
	v_add_nc_u32_e32 v60, s14, v56
	v_lshlrev_b64 v[94:95], 4, v[56:57]
	v_add_co_u32 v56, vcc_lo, v130, v58
	v_ashrrev_i32_e32 v61, 31, v60
	v_add_co_ci_u32_e64 v57, null, v131, v59, vcc_lo
	v_add_nc_u32_e32 v96, s14, v60
	v_add_co_u32 v94, vcc_lo, v130, v94
	v_lshlrev_b64 v[102:103], 4, v[60:61]
	v_add_co_ci_u32_e64 v95, null, v131, v95, vcc_lo
	v_ashrrev_i32_e32 v97, 31, v96
	v_add_nc_u32_e32 v104, s14, v96
	v_lshlrev_b64 v[122:123], 4, v[96:97]
	v_add_co_u32 v96, vcc_lo, v130, v102
	v_ashrrev_i32_e32 v105, 31, v104
	v_add_co_ci_u32_e64 v97, null, v131, v103, vcc_lo
	v_add_nc_u32_e32 v124, s14, v104
	v_add_co_u32 v166, vcc_lo, v130, v122
	v_lshlrev_b64 v[160:161], 4, v[104:105]
	v_add_co_ci_u32_e64 v167, null, v131, v123, vcc_lo
	v_ashrrev_i32_e32 v125, 31, v124
	v_add_nc_u32_e32 v162, s14, v124
	v_add_co_u32 v168, vcc_lo, v130, v160
	v_lshlrev_b64 v[122:123], 4, v[124:125]
	v_add_co_ci_u32_e64 v169, null, v131, v161, vcc_lo
	v_ashrrev_i32_e32 v163, 31, v162
	v_add_nc_u32_e32 v164, s14, v162
	v_add_co_u32 v170, vcc_lo, v130, v122
	v_add_co_ci_u32_e64 v171, null, v131, v123, vcc_lo
	v_lshlrev_b64 v[160:161], 4, v[162:163]
	v_ashrrev_i32_e32 v165, 31, v164
	v_add_nc_u32_e32 v162, s14, v164
	v_lshlrev_b64 v[164:165], 4, v[164:165]
	v_ashrrev_i32_e32 v163, 31, v162
	global_load_dwordx4 v[156:159], v[26:27], off
	buffer_store_dword v28, off, s[0:3], 0 offset:1232 ; 4-byte Folded Spill
	buffer_store_dword v29, off, s[0:3], 0 offset:1236 ; 4-byte Folded Spill
	global_load_dwordx4 v[26:29], v[28:29], off
	buffer_store_dword v46, off, s[0:3], 0 offset:1240 ; 4-byte Folded Spill
	buffer_store_dword v47, off, s[0:3], 0 offset:1244 ; 4-byte Folded Spill
	;; [unrolled: 3-line block ×7, first 2 shown]
	global_load_dwordx4 v[94:97], v[96:97], off
	s_waitcnt vmcnt(34)
	buffer_store_dword v25, off, s[0:3], 0 offset:12
	buffer_store_dword v24, off, s[0:3], 0 offset:8
	;; [unrolled: 1-line block ×3, first 2 shown]
	buffer_store_dword v22, off, s[0:3], 0
	buffer_store_dword v166, off, s[0:3], 0 offset:1288 ; 4-byte Folded Spill
	buffer_store_dword v167, off, s[0:3], 0 offset:1292 ; 4-byte Folded Spill
	global_load_dwordx4 v[122:125], v[166:167], off
	buffer_store_dword v168, off, s[0:3], 0 offset:1296 ; 4-byte Folded Spill
	buffer_store_dword v169, off, s[0:3], 0 offset:1300 ; 4-byte Folded Spill
	v_add_co_u32 v166, vcc_lo, v130, v160
	v_add_co_ci_u32_e64 v167, null, v131, v161, vcc_lo
	v_add_co_u32 v164, vcc_lo, v130, v164
	v_add_co_ci_u32_e64 v165, null, v131, v165, vcc_lo
	global_load_dwordx4 v[22:25], v[168:169], off
	buffer_store_dword v21, off, s[0:3], 0 offset:44
	buffer_store_dword v20, off, s[0:3], 0 offset:40
	;; [unrolled: 1-line block ×12, first 2 shown]
	buffer_store_dword v170, off, s[0:3], 0 offset:1304 ; 4-byte Folded Spill
	buffer_store_dword v171, off, s[0:3], 0 offset:1308 ; 4-byte Folded Spill
	v_lshlrev_b64 v[20:21], 4, v[162:163]
	v_add_nc_u32_e32 v18, s14, v162
	v_ashrrev_i32_e32 v19, 31, v18
	v_add_nc_u32_e32 v160, s14, v18
	v_lshlrev_b64 v[18:19], 4, v[18:19]
	v_ashrrev_i32_e32 v161, 31, v160
	v_add_nc_u32_e32 v162, s14, v160
	v_ashrrev_i32_e32 v163, 31, v162
	global_load_dwordx4 v[14:17], v[170:171], off
	buffer_store_dword v166, off, s[0:3], 0 offset:1312 ; 4-byte Folded Spill
	buffer_store_dword v167, off, s[0:3], 0 offset:1316 ; 4-byte Folded Spill
	global_load_dwordx4 v[6:9], v[166:167], off
	s_waitcnt vmcnt(37)
	buffer_store_dword v13, off, s[0:3], 0 offset:92
	buffer_store_dword v12, off, s[0:3], 0 offset:88
	buffer_store_dword v11, off, s[0:3], 0 offset:84
	buffer_store_dword v10, off, s[0:3], 0 offset:80
	s_waitcnt vmcnt(36)
	buffer_store_dword v5, off, s[0:3], 0 offset:28
	buffer_store_dword v4, off, s[0:3], 0 offset:24
	buffer_store_dword v3, off, s[0:3], 0 offset:20
	buffer_store_dword v2, off, s[0:3], 0 offset:16
	;; [unrolled: 5-line block ×3, first 2 shown]
	buffer_store_dword v164, off, s[0:3], 0 offset:1320 ; 4-byte Folded Spill
	buffer_store_dword v165, off, s[0:3], 0 offset:1324 ; 4-byte Folded Spill
	v_add_co_u32 v10, vcc_lo, v130, v20
	v_add_co_ci_u32_e64 v11, null, v131, v21, vcc_lo
	v_lshlrev_b64 v[20:21], 4, v[160:161]
	v_add_co_u32 v160, vcc_lo, v130, v18
	v_add_co_ci_u32_e64 v161, null, v131, v19, vcc_lo
	v_add_nc_u32_e32 v18, s14, v162
	v_lshlrev_b64 v[38:39], 4, v[162:163]
	v_ashrrev_i32_e32 v19, 31, v18
	global_load_dwordx4 v[2:5], v[164:165], off
	buffer_store_dword v10, off, s[0:3], 0 offset:1328 ; 4-byte Folded Spill
	buffer_store_dword v11, off, s[0:3], 0 offset:1332 ; 4-byte Folded Spill
	global_load_dwordx4 v[10:13], v[10:11], off
	s_waitcnt vmcnt(36)
	buffer_store_dword v33, off, s[0:3], 0 offset:124
	buffer_store_dword v32, off, s[0:3], 0 offset:120
	buffer_store_dword v31, off, s[0:3], 0 offset:116
	buffer_store_dword v30, off, s[0:3], 0 offset:112
	s_waitcnt vmcnt(35)
	buffer_store_dword v37, off, s[0:3], 0 offset:140
	buffer_store_dword v36, off, s[0:3], 0 offset:136
	buffer_store_dword v35, off, s[0:3], 0 offset:132
	buffer_store_dword v34, off, s[0:3], 0 offset:128
	;; [unrolled: 5-line block ×24, first 2 shown]
	s_waitcnt vmcnt(12)
	buffer_store_dword v29, off, s[0:3], 0 offset:508
	buffer_store_dword v160, off, s[0:3], 0 offset:1336 ; 4-byte Folded Spill
	buffer_store_dword v161, off, s[0:3], 0 offset:1340 ; 4-byte Folded Spill
	v_add_co_u32 v29, vcc_lo, v130, v20
	v_lshlrev_b64 v[19:20], 4, v[18:19]
	v_add_co_ci_u32_e64 v30, null, v131, v21, vcc_lo
	v_add_co_u32 v35, vcc_lo, v130, v38
	v_add_co_ci_u32_e64 v36, null, v131, v39, vcc_lo
	v_add_co_u32 v37, vcc_lo, v130, v19
	v_add_nc_u32_e32 v33, s14, v18
	v_add_co_ci_u32_e64 v38, null, v131, v20, vcc_lo
	v_ashrrev_i32_e32 v34, 31, v33
	v_add_nc_u32_e32 v41, s14, v33
	v_lshlrev_b64 v[43:44], 4, v[33:34]
	v_ashrrev_i32_e32 v42, 31, v41
	v_add_co_u32 v43, vcc_lo, v130, v43
	v_add_co_ci_u32_e64 v44, null, v131, v44, vcc_lo
	v_lshlrev_b64 v[62:63], 4, v[41:42]
	v_add_nc_u32_e32 v41, s14, v41
	v_add_co_u32 v62, vcc_lo, v130, v62
	v_ashrrev_i32_e32 v42, 31, v41
	v_add_co_ci_u32_e64 v63, null, v131, v63, vcc_lo
	v_add_nc_u32_e32 v66, s14, v41
	v_lshlrev_b64 v[70:71], 4, v[41:42]
	v_add_nc_u32_e32 v68, s14, v66
	v_ashrrev_i32_e32 v67, 31, v66
	v_add_co_u32 v70, vcc_lo, v130, v70
	v_add_co_ci_u32_e64 v71, null, v131, v71, vcc_lo
	v_add_nc_u32_e32 v72, s14, v68
	v_lshlrev_b64 v[66:67], 4, v[66:67]
	v_ashrrev_i32_e32 v69, 31, v68
	v_ashrrev_i32_e32 v73, 31, v72
	v_add_nc_u32_e32 v74, s14, v72
	v_lshlrev_b64 v[68:69], 4, v[68:69]
	v_add_co_u32 v76, vcc_lo, v130, v66
	v_add_co_ci_u32_e64 v77, null, v131, v67, vcc_lo
	v_lshlrev_b64 v[66:67], 4, v[72:73]
	v_add_co_u32 v78, vcc_lo, v130, v68
	v_add_co_ci_u32_e64 v79, null, v131, v69, vcc_lo
	v_ashrrev_i32_e32 v75, 31, v74
	v_add_co_u32 v80, vcc_lo, v130, v66
	v_add_co_ci_u32_e64 v81, null, v131, v67, vcc_lo
	v_add_nc_u32_e32 v82, s14, v74
	v_lshlrev_b64 v[84:85], 4, v[74:75]
	v_ashrrev_i32_e32 v83, 31, v82
	v_add_co_u32 v84, vcc_lo, v130, v84
	v_add_co_ci_u32_e64 v85, null, v131, v85, vcc_lo
	v_lshlrev_b64 v[86:87], 4, v[82:83]
	v_add_nc_u32_e32 v82, s14, v82
	v_add_co_u32 v86, vcc_lo, v130, v86
	v_ashrrev_i32_e32 v83, 31, v82
	v_add_co_ci_u32_e64 v87, null, v131, v87, vcc_lo
	v_add_nc_u32_e32 v90, s14, v82
	v_lshlrev_b64 v[98:99], 4, v[82:83]
	v_ashrrev_i32_e32 v91, 31, v90
	v_add_nc_u32_e32 v92, s14, v90
	v_add_co_u32 v106, vcc_lo, v130, v98
	v_add_co_ci_u32_e64 v107, null, v131, v99, vcc_lo
	v_lshlrev_b64 v[90:91], 4, v[90:91]
	v_ashrrev_i32_e32 v93, 31, v92
	v_add_nc_u32_e32 v100, s14, v92
	v_add_co_u32 v108, vcc_lo, v130, v90
	v_add_co_ci_u32_e64 v109, null, v131, v91, vcc_lo
	v_lshlrev_b64 v[98:99], 4, v[92:93]
	v_ashrrev_i32_e32 v101, 31, v100
	v_add_co_u32 v110, vcc_lo, v130, v98
	v_add_co_ci_u32_e64 v111, null, v131, v99, vcc_lo
	global_load_dwordx4 v[18:21], v[160:161], off
	buffer_store_dword v29, off, s[0:3], 0 offset:1344 ; 4-byte Folded Spill
	buffer_store_dword v30, off, s[0:3], 0 offset:1348 ; 4-byte Folded Spill
	global_load_dwordx4 v[29:32], v[29:30], off
	buffer_store_dword v35, off, s[0:3], 0 offset:1352 ; 4-byte Folded Spill
	buffer_store_dword v36, off, s[0:3], 0 offset:1356 ; 4-byte Folded Spill
	;; [unrolled: 3-line block ×13, first 2 shown]
	v_lshlrev_b64 v[106:107], 4, v[100:101]
	v_add_nc_u32_e32 v100, s14, v100
	v_ashrrev_i32_e32 v101, 31, v100
	v_add_nc_u32_e32 v114, s14, v100
	v_add_co_u32 v112, vcc_lo, v130, v106
	v_add_co_ci_u32_e64 v113, null, v131, v107, vcc_lo
	v_lshlrev_b64 v[116:117], 4, v[100:101]
	v_ashrrev_i32_e32 v115, 31, v114
	s_movk_i32 s14, 0x80
	v_lshlrev_b64 v[114:115], 4, v[114:115]
	v_add_co_u32 v253, vcc_lo, v130, v116
	v_add_co_ci_u32_e64 v254, null, v131, v117, vcc_lo
	v_add_co_u32 v118, vcc_lo, v130, v114
	v_add_co_ci_u32_e64 v119, null, v131, v115, vcc_lo
	global_load_dwordx4 v[98:101], v[108:109], off
	buffer_store_dword v110, off, s[0:3], 0 offset:1448 ; 4-byte Folded Spill
	buffer_store_dword v111, off, s[0:3], 0 offset:1452 ; 4-byte Folded Spill
	global_load_dwordx4 v[106:109], v[110:111], off
	buffer_store_dword v112, off, s[0:3], 0 offset:1456 ; 4-byte Folded Spill
	buffer_store_dword v113, off, s[0:3], 0 offset:1460 ; 4-byte Folded Spill
	s_clause 0x1
	global_load_dwordx4 v[114:117], v[253:254], off
	global_load_dwordx4 v[110:113], v[112:113], off
	buffer_store_dword v28, off, s[0:3], 0 offset:504
	buffer_store_dword v27, off, s[0:3], 0 offset:500
	buffer_store_dword v26, off, s[0:3], 0 offset:496
	buffer_store_dword v118, off, s[0:3], 0 offset:1464 ; 4-byte Folded Spill
	buffer_store_dword v119, off, s[0:3], 0 offset:1468 ; 4-byte Folded Spill
	global_load_dwordx4 v[118:121], v[118:119], off
	s_waitcnt vmcnt(29)
	buffer_store_dword v53, off, s[0:3], 0 offset:524
	buffer_store_dword v52, off, s[0:3], 0 offset:520
	buffer_store_dword v51, off, s[0:3], 0 offset:516
	buffer_store_dword v50, off, s[0:3], 0 offset:512
	s_waitcnt vmcnt(28)
	buffer_store_dword v49, off, s[0:3], 0 offset:540
	buffer_store_dword v48, off, s[0:3], 0 offset:536
	buffer_store_dword v47, off, s[0:3], 0 offset:532
	buffer_store_dword v46, off, s[0:3], 0 offset:528
	;; [unrolled: 5-line block ×28, first 2 shown]
	buffer_store_dword v117, off, s[0:3], 0 offset:972
	buffer_store_dword v116, off, s[0:3], 0 offset:968
	;; [unrolled: 1-line block ×4, first 2 shown]
	s_waitcnt vmcnt(0)
	buffer_store_dword v121, off, s[0:3], 0 offset:988
	buffer_store_dword v120, off, s[0:3], 0 offset:984
	;; [unrolled: 1-line block ×3, first 2 shown]
	v_lshlrev_b32_e32 v2, 4, v1
	v_add3_u32 v255, 0, s4, v2
	v_cmp_eq_u32_e64 s4, 0, v0
	buffer_store_dword v118, off, s[0:3], 0 offset:976
	s_and_saveexec_b32 s42, s4
	s_cbranch_execz .LBB123_12
; %bb.2:
	global_load_dwordx4 v[2:5], v[251:252], off
	s_mov_b32 s6, 16
	s_waitcnt vmcnt(0)
	ds_write2_b64 v255, v[2:3], v[4:5] offset1:1
	s_branch .LBB123_4
.LBB123_3:                              ;   in Loop: Header=BB123_4 Depth=1
	s_andn2_b32 vcc_lo, exec_lo, s44
	s_cbranch_vccz .LBB123_6
.LBB123_4:                              ; =>This Inner Loop Header: Depth=1
	v_mov_b32_e32 v2, s6
	s_mov_b32 s43, s6
	s_mov_b32 s44, -1
	s_cmpk_eq_i32 s6, 0x390
	s_clause 0x13
	buffer_load_dword v3, v2, s[0:3], 0 offen
	buffer_load_dword v4, v2, s[0:3], 0 offen offset:4
	buffer_load_dword v5, v2, s[0:3], 0 offen offset:8
	;; [unrolled: 1-line block ×19, first 2 shown]
	v_add_nc_u32_e32 v2, s6, v245
	s_waitcnt vmcnt(16)
	ds_write2_b64 v2, v[3:4], v[5:6] offset1:1
	s_waitcnt vmcnt(12)
	ds_write2_b64 v2, v[7:8], v[9:10] offset0:2 offset1:3
	s_waitcnt vmcnt(8)
	ds_write2_b64 v2, v[11:12], v[13:14] offset0:4 offset1:5
	;; [unrolled: 2-line block ×4, first 2 shown]
	s_cbranch_scc1 .LBB123_3
; %bb.5:                                ;   in Loop: Header=BB123_4 Depth=1
	v_mov_b32_e32 v14, s43
	s_addk_i32 s6, 0x80
	s_mov_b32 s44, 0
	s_clause 0xb
	buffer_load_dword v3, v14, s[0:3], 0 offen offset:80
	buffer_load_dword v4, v14, s[0:3], 0 offen offset:84
	;; [unrolled: 1-line block ×12, first 2 shown]
	s_waitcnt vmcnt(8)
	ds_write2_b64 v2, v[3:4], v[5:6] offset0:10 offset1:11
	s_waitcnt vmcnt(4)
	ds_write2_b64 v2, v[7:8], v[9:10] offset0:12 offset1:13
	;; [unrolled: 2-line block ×3, first 2 shown]
	s_branch .LBB123_3
.LBB123_6:
	ds_read2_b64 v[2:5], v255 offset1:1
	s_waitcnt lgkmcnt(0)
	v_cmp_neq_f64_e32 vcc_lo, 0, v[2:3]
	v_cmp_neq_f64_e64 s6, 0, v[4:5]
	s_or_b32 s6, vcc_lo, s6
	s_and_b32 exec_lo, exec_lo, s6
	s_cbranch_execz .LBB123_12
; %bb.7:
	v_cmp_ngt_f64_e64 s6, |v[2:3]|, |v[4:5]|
                                        ; implicit-def: $vgpr6_vgpr7
	s_and_saveexec_b32 s43, s6
	s_xor_b32 s6, exec_lo, s43
                                        ; implicit-def: $vgpr8_vgpr9
	s_cbranch_execz .LBB123_9
; %bb.8:
	v_div_scale_f64 v[6:7], null, v[4:5], v[4:5], v[2:3]
	v_div_scale_f64 v[12:13], vcc_lo, v[2:3], v[4:5], v[2:3]
	v_rcp_f64_e32 v[8:9], v[6:7]
	v_fma_f64 v[10:11], -v[6:7], v[8:9], 1.0
	v_fma_f64 v[8:9], v[8:9], v[10:11], v[8:9]
	v_fma_f64 v[10:11], -v[6:7], v[8:9], 1.0
	v_fma_f64 v[8:9], v[8:9], v[10:11], v[8:9]
	v_mul_f64 v[10:11], v[12:13], v[8:9]
	v_fma_f64 v[6:7], -v[6:7], v[10:11], v[12:13]
	v_div_fmas_f64 v[6:7], v[6:7], v[8:9], v[10:11]
	v_div_fixup_f64 v[6:7], v[6:7], v[4:5], v[2:3]
	v_fma_f64 v[2:3], v[2:3], v[6:7], v[4:5]
	v_div_scale_f64 v[4:5], null, v[2:3], v[2:3], 1.0
	v_rcp_f64_e32 v[8:9], v[4:5]
	v_fma_f64 v[10:11], -v[4:5], v[8:9], 1.0
	v_fma_f64 v[8:9], v[8:9], v[10:11], v[8:9]
	v_fma_f64 v[10:11], -v[4:5], v[8:9], 1.0
	v_fma_f64 v[8:9], v[8:9], v[10:11], v[8:9]
	v_div_scale_f64 v[10:11], vcc_lo, 1.0, v[2:3], 1.0
	v_mul_f64 v[12:13], v[10:11], v[8:9]
	v_fma_f64 v[4:5], -v[4:5], v[12:13], v[10:11]
	v_div_fmas_f64 v[4:5], v[4:5], v[8:9], v[12:13]
	v_div_fixup_f64 v[8:9], v[4:5], v[2:3], 1.0
                                        ; implicit-def: $vgpr2_vgpr3
	v_mul_f64 v[6:7], v[6:7], v[8:9]
	v_xor_b32_e32 v9, 0x80000000, v9
.LBB123_9:
	s_andn2_saveexec_b32 s6, s6
	s_cbranch_execz .LBB123_11
; %bb.10:
	v_div_scale_f64 v[6:7], null, v[2:3], v[2:3], v[4:5]
	v_div_scale_f64 v[12:13], vcc_lo, v[4:5], v[2:3], v[4:5]
	v_rcp_f64_e32 v[8:9], v[6:7]
	v_fma_f64 v[10:11], -v[6:7], v[8:9], 1.0
	v_fma_f64 v[8:9], v[8:9], v[10:11], v[8:9]
	v_fma_f64 v[10:11], -v[6:7], v[8:9], 1.0
	v_fma_f64 v[8:9], v[8:9], v[10:11], v[8:9]
	v_mul_f64 v[10:11], v[12:13], v[8:9]
	v_fma_f64 v[6:7], -v[6:7], v[10:11], v[12:13]
	v_div_fmas_f64 v[6:7], v[6:7], v[8:9], v[10:11]
	v_div_fixup_f64 v[8:9], v[6:7], v[2:3], v[4:5]
	v_fma_f64 v[2:3], v[4:5], v[8:9], v[2:3]
	v_div_scale_f64 v[4:5], null, v[2:3], v[2:3], 1.0
	v_rcp_f64_e32 v[6:7], v[4:5]
	v_fma_f64 v[10:11], -v[4:5], v[6:7], 1.0
	v_fma_f64 v[6:7], v[6:7], v[10:11], v[6:7]
	v_fma_f64 v[10:11], -v[4:5], v[6:7], 1.0
	v_fma_f64 v[6:7], v[6:7], v[10:11], v[6:7]
	v_div_scale_f64 v[10:11], vcc_lo, 1.0, v[2:3], 1.0
	v_mul_f64 v[12:13], v[10:11], v[6:7]
	v_fma_f64 v[4:5], -v[4:5], v[12:13], v[10:11]
	v_div_fmas_f64 v[4:5], v[4:5], v[6:7], v[12:13]
	v_div_fixup_f64 v[6:7], v[4:5], v[2:3], 1.0
	v_mul_f64 v[8:9], v[8:9], -v[6:7]
.LBB123_11:
	s_or_b32 exec_lo, exec_lo, s6
	ds_write2_b64 v255, v[6:7], v[8:9] offset1:1
.LBB123_12:
	s_or_b32 exec_lo, exec_lo, s42
	s_waitcnt lgkmcnt(0)
	s_waitcnt_vscnt null, 0x0
	s_barrier
	buffer_gl0_inv
	ds_read2_b64 v[67:70], v255 offset1:1
	v_mul_u32_u24_e32 v181, 0x3e0, v1
	s_mov_b32 s74, 16
	s_mov_b32 s73, 32
	;; [unrolled: 1-line block ×60, first 2 shown]
	s_and_saveexec_b32 s6, s5
	s_cbranch_execz .LBB123_17
; %bb.13:
	s_clause 0x3
	buffer_load_dword v1, off, s[0:3], 0 offset:8
	buffer_load_dword v2, off, s[0:3], 0 offset:12
	buffer_load_dword v3, off, s[0:3], 0
	buffer_load_dword v4, off, s[0:3], 0 offset:4
	s_mov_b32 s5, 16
	s_waitcnt vmcnt(2) lgkmcnt(0)
	v_mul_f64 v[5:6], v[69:70], v[1:2]
	v_mul_f64 v[1:2], v[67:68], v[1:2]
	s_waitcnt vmcnt(0)
	v_fma_f64 v[5:6], v[67:68], v[3:4], -v[5:6]
	v_fma_f64 v[7:8], v[69:70], v[3:4], v[1:2]
	buffer_store_dword v5, off, s[0:3], 0
	buffer_store_dword v6, off, s[0:3], 0 offset:4
	buffer_store_dword v7, off, s[0:3], 0 offset:8
	;; [unrolled: 1-line block ×3, first 2 shown]
	s_branch .LBB123_15
.LBB123_14:                             ;   in Loop: Header=BB123_15 Depth=1
	s_andn2_b32 vcc_lo, exec_lo, s8
	s_cbranch_vccz .LBB123_17
.LBB123_15:                             ; =>This Inner Loop Header: Depth=1
	v_mov_b32_e32 v4, s5
	v_add_nc_u32_e32 v1, s5, v245
	s_mov_b32 s7, s5
	s_mov_b32 s8, -1
	s_cmpk_eq_i32 s5, 0x390
	s_clause 0x13
	buffer_load_dword v2, v4, s[0:3], 0 offen
	buffer_load_dword v3, v4, s[0:3], 0 offen offset:4
	buffer_load_dword v29, v4, s[0:3], 0 offen offset:8
	;; [unrolled: 1-line block ×19, first 2 shown]
	ds_read2_b64 v[9:12], v1 offset1:1
	ds_read2_b64 v[13:16], v1 offset0:2 offset1:3
	ds_read2_b64 v[17:20], v1 offset0:4 offset1:5
	ds_read2_b64 v[21:24], v1 offset0:6 offset1:7
	ds_read2_b64 v[25:28], v1 offset0:8 offset1:9
	s_waitcnt lgkmcnt(4)
	v_mul_f64 v[47:48], v[11:12], v[7:8]
	v_mul_f64 v[49:50], v[9:10], v[7:8]
	s_waitcnt lgkmcnt(3)
	v_mul_f64 v[51:52], v[15:16], v[7:8]
	v_mul_f64 v[53:54], v[13:14], v[7:8]
	s_waitcnt lgkmcnt(2)
	v_mul_f64 v[55:56], v[19:20], v[7:8]
	v_mul_f64 v[57:58], v[17:18], v[7:8]
	s_waitcnt lgkmcnt(1)
	v_mul_f64 v[59:60], v[23:24], v[7:8]
	v_mul_f64 v[61:62], v[21:22], v[7:8]
	s_waitcnt lgkmcnt(0)
	v_mul_f64 v[63:64], v[27:28], v[7:8]
	v_mul_f64 v[65:66], v[25:26], v[7:8]
	v_fma_f64 v[9:10], v[9:10], v[5:6], -v[47:48]
	v_fma_f64 v[11:12], v[11:12], v[5:6], v[49:50]
	v_fma_f64 v[13:14], v[13:14], v[5:6], -v[51:52]
	v_fma_f64 v[15:16], v[15:16], v[5:6], v[53:54]
	;; [unrolled: 2-line block ×5, first 2 shown]
	s_waitcnt vmcnt(18)
	v_add_f64 v[2:3], v[2:3], -v[9:10]
	s_waitcnt vmcnt(16)
	v_add_f64 v[9:10], v[29:30], -v[11:12]
	;; [unrolled: 2-line block ×10, first 2 shown]
	buffer_store_dword v2, v4, s[0:3], 0 offen
	buffer_store_dword v3, v4, s[0:3], 0 offen offset:4
	buffer_store_dword v9, v4, s[0:3], 0 offen offset:8
	;; [unrolled: 1-line block ×19, first 2 shown]
	s_cbranch_scc1 .LBB123_14
; %bb.16:                               ;   in Loop: Header=BB123_15 Depth=1
	v_mov_b32_e32 v41, s7
	s_addk_i32 s5, 0x80
	s_mov_b32 s8, 0
	s_clause 0xb
	buffer_load_dword v17, v41, s[0:3], 0 offen offset:80
	buffer_load_dword v18, v41, s[0:3], 0 offen offset:84
	;; [unrolled: 1-line block ×12, first 2 shown]
	ds_read2_b64 v[9:12], v1 offset0:10 offset1:11
	ds_read2_b64 v[13:16], v1 offset0:12 offset1:13
	;; [unrolled: 1-line block ×3, first 2 shown]
	s_waitcnt lgkmcnt(2)
	v_mul_f64 v[29:30], v[11:12], v[7:8]
	v_mul_f64 v[31:32], v[9:10], v[7:8]
	s_waitcnt lgkmcnt(1)
	v_mul_f64 v[33:34], v[15:16], v[7:8]
	v_mul_f64 v[35:36], v[13:14], v[7:8]
	;; [unrolled: 3-line block ×3, first 2 shown]
	v_fma_f64 v[9:10], v[9:10], v[5:6], -v[29:30]
	v_fma_f64 v[11:12], v[11:12], v[5:6], v[31:32]
	v_fma_f64 v[13:14], v[13:14], v[5:6], -v[33:34]
	v_fma_f64 v[15:16], v[15:16], v[5:6], v[35:36]
	;; [unrolled: 2-line block ×3, first 2 shown]
	s_waitcnt vmcnt(10)
	v_add_f64 v[9:10], v[17:18], -v[9:10]
	s_waitcnt vmcnt(8)
	v_add_f64 v[11:12], v[19:20], -v[11:12]
	;; [unrolled: 2-line block ×6, first 2 shown]
	buffer_store_dword v9, v41, s[0:3], 0 offen offset:80
	buffer_store_dword v10, v41, s[0:3], 0 offen offset:84
	;; [unrolled: 1-line block ×12, first 2 shown]
	s_branch .LBB123_14
.LBB123_17:
	s_or_b32 exec_lo, exec_lo, s6
	s_mov_b32 s6, exec_lo
	s_waitcnt lgkmcnt(0)
	s_waitcnt_vscnt null, 0x0
	s_barrier
	buffer_gl0_inv
	v_cmpx_eq_u32_e32 1, v0
	s_cbranch_execz .LBB123_26
; %bb.18:
	v_mov_b32_e32 v4, s74
	s_mov_b32 s5, 32
	s_clause 0x3
	buffer_load_dword v1, v4, s[0:3], 0 offen
	buffer_load_dword v2, v4, s[0:3], 0 offen offset:4
	buffer_load_dword v3, v4, s[0:3], 0 offen offset:8
	buffer_load_dword v4, v4, s[0:3], 0 offen offset:12
	s_waitcnt vmcnt(0)
	ds_write2_b64 v255, v[1:2], v[3:4] offset1:1
.LBB123_19:                             ; =>This Inner Loop Header: Depth=1
	v_mov_b32_e32 v60, s5
	v_add_nc_u32_e32 v61, s5, v245
	s_addk_i32 s5, 0xf0
	s_clause 0x3b
	buffer_load_dword v1, v60, s[0:3], 0 offen
	buffer_load_dword v2, v60, s[0:3], 0 offen offset:4
	buffer_load_dword v3, v60, s[0:3], 0 offen offset:8
	;; [unrolled: 1-line block ×59, first 2 shown]
	s_cmpk_lg_i32 s5, 0x3e0
	s_waitcnt vmcnt(56)
	ds_write2_b64 v61, v[1:2], v[3:4] offset1:1
	s_waitcnt vmcnt(52)
	ds_write2_b64 v61, v[5:6], v[7:8] offset0:2 offset1:3
	s_waitcnt vmcnt(48)
	ds_write2_b64 v61, v[9:10], v[11:12] offset0:4 offset1:5
	;; [unrolled: 2-line block ×4, first 2 shown]
	ds_write2_b64 v61, v[21:22], v[19:20] offset0:10 offset1:11
	s_waitcnt vmcnt(28)
	ds_write2_b64 v61, v[31:32], v[25:26] offset0:12 offset1:13
	ds_write2_b64 v61, v[29:30], v[27:28] offset0:14 offset1:15
	s_waitcnt vmcnt(24)
	ds_write2_b64 v61, v[33:34], v[35:36] offset0:16 offset1:17
	s_waitcnt vmcnt(20)
	;; [unrolled: 2-line block ×7, first 2 shown]
	ds_write2_b64 v61, v[57:58], v[59:60] offset0:28 offset1:29
	s_cbranch_scc1 .LBB123_19
; %bb.20:
	ds_read2_b64 v[5:8], v255 offset1:1
	s_waitcnt lgkmcnt(0)
	v_cmp_neq_f64_e32 vcc_lo, 0, v[5:6]
	v_cmp_neq_f64_e64 s5, 0, v[7:8]
	s_or_b32 s5, vcc_lo, s5
	s_and_b32 exec_lo, exec_lo, s5
	s_cbranch_execz .LBB123_26
; %bb.21:
	v_cmp_ngt_f64_e64 s5, |v[5:6]|, |v[7:8]|
                                        ; implicit-def: $vgpr1_vgpr2
	s_and_saveexec_b32 s7, s5
	s_xor_b32 s5, exec_lo, s7
                                        ; implicit-def: $vgpr3_vgpr4
	s_cbranch_execz .LBB123_23
; %bb.22:
	v_div_scale_f64 v[1:2], null, v[7:8], v[7:8], v[5:6]
	v_div_scale_f64 v[11:12], vcc_lo, v[5:6], v[7:8], v[5:6]
	v_rcp_f64_e32 v[3:4], v[1:2]
	v_fma_f64 v[9:10], -v[1:2], v[3:4], 1.0
	v_fma_f64 v[3:4], v[3:4], v[9:10], v[3:4]
	v_fma_f64 v[9:10], -v[1:2], v[3:4], 1.0
	v_fma_f64 v[3:4], v[3:4], v[9:10], v[3:4]
	v_mul_f64 v[9:10], v[11:12], v[3:4]
	v_fma_f64 v[1:2], -v[1:2], v[9:10], v[11:12]
	v_div_fmas_f64 v[1:2], v[1:2], v[3:4], v[9:10]
	v_div_fixup_f64 v[1:2], v[1:2], v[7:8], v[5:6]
	v_fma_f64 v[3:4], v[5:6], v[1:2], v[7:8]
	v_div_scale_f64 v[5:6], null, v[3:4], v[3:4], 1.0
	v_rcp_f64_e32 v[7:8], v[5:6]
	v_fma_f64 v[9:10], -v[5:6], v[7:8], 1.0
	v_fma_f64 v[7:8], v[7:8], v[9:10], v[7:8]
	v_fma_f64 v[9:10], -v[5:6], v[7:8], 1.0
	v_fma_f64 v[7:8], v[7:8], v[9:10], v[7:8]
	v_div_scale_f64 v[9:10], vcc_lo, 1.0, v[3:4], 1.0
	v_mul_f64 v[11:12], v[9:10], v[7:8]
	v_fma_f64 v[5:6], -v[5:6], v[11:12], v[9:10]
	v_div_fmas_f64 v[5:6], v[5:6], v[7:8], v[11:12]
	v_div_fixup_f64 v[3:4], v[5:6], v[3:4], 1.0
                                        ; implicit-def: $vgpr5_vgpr6
	v_mul_f64 v[1:2], v[1:2], v[3:4]
	v_xor_b32_e32 v4, 0x80000000, v4
.LBB123_23:
	s_andn2_saveexec_b32 s5, s5
	s_cbranch_execz .LBB123_25
; %bb.24:
	v_div_scale_f64 v[1:2], null, v[5:6], v[5:6], v[7:8]
	v_div_scale_f64 v[11:12], vcc_lo, v[7:8], v[5:6], v[7:8]
	v_rcp_f64_e32 v[3:4], v[1:2]
	v_fma_f64 v[9:10], -v[1:2], v[3:4], 1.0
	v_fma_f64 v[3:4], v[3:4], v[9:10], v[3:4]
	v_fma_f64 v[9:10], -v[1:2], v[3:4], 1.0
	v_fma_f64 v[3:4], v[3:4], v[9:10], v[3:4]
	v_mul_f64 v[9:10], v[11:12], v[3:4]
	v_fma_f64 v[1:2], -v[1:2], v[9:10], v[11:12]
	v_div_fmas_f64 v[1:2], v[1:2], v[3:4], v[9:10]
	v_div_fixup_f64 v[3:4], v[1:2], v[5:6], v[7:8]
	v_fma_f64 v[1:2], v[7:8], v[3:4], v[5:6]
	v_div_scale_f64 v[5:6], null, v[1:2], v[1:2], 1.0
	v_rcp_f64_e32 v[7:8], v[5:6]
	v_fma_f64 v[9:10], -v[5:6], v[7:8], 1.0
	v_fma_f64 v[7:8], v[7:8], v[9:10], v[7:8]
	v_fma_f64 v[9:10], -v[5:6], v[7:8], 1.0
	v_fma_f64 v[7:8], v[7:8], v[9:10], v[7:8]
	v_div_scale_f64 v[9:10], vcc_lo, 1.0, v[1:2], 1.0
	v_mul_f64 v[11:12], v[9:10], v[7:8]
	v_fma_f64 v[5:6], -v[5:6], v[11:12], v[9:10]
	v_div_fmas_f64 v[5:6], v[5:6], v[7:8], v[11:12]
	v_div_fixup_f64 v[1:2], v[5:6], v[1:2], 1.0
	v_mul_f64 v[3:4], v[3:4], -v[1:2]
.LBB123_25:
	s_or_b32 exec_lo, exec_lo, s5
	ds_write2_b64 v255, v[1:2], v[3:4] offset1:1
.LBB123_26:
	s_or_b32 exec_lo, exec_lo, s6
	buffer_store_dword v67, off, s[0:3], 0 offset:1472 ; 4-byte Folded Spill
	buffer_store_dword v68, off, s[0:3], 0 offset:1476 ; 4-byte Folded Spill
	;; [unrolled: 1-line block ×4, first 2 shown]
	s_waitcnt lgkmcnt(0)
	s_waitcnt_vscnt null, 0x0
	s_barrier
	buffer_gl0_inv
	ds_read2_b64 v[121:124], v255 offset1:1
	s_mov_b32 s5, exec_lo
	v_cmpx_lt_u32_e32 1, v0
	s_cbranch_execz .LBB123_29
; %bb.27:
	s_clause 0x3
	buffer_load_dword v1, off, s[0:3], 0 offset:24
	buffer_load_dword v2, off, s[0:3], 0 offset:28
	buffer_load_dword v3, off, s[0:3], 0 offset:16
	buffer_load_dword v4, off, s[0:3], 0 offset:20
	s_mov_b32 s6, 32
	s_waitcnt vmcnt(2) lgkmcnt(0)
	v_mul_f64 v[9:10], v[123:124], v[1:2]
	v_mul_f64 v[1:2], v[121:122], v[1:2]
	s_waitcnt vmcnt(0)
	v_fma_f64 v[9:10], v[121:122], v[3:4], -v[9:10]
	v_fma_f64 v[11:12], v[123:124], v[3:4], v[1:2]
	buffer_store_dword v9, off, s[0:3], 0 offset:16
	buffer_store_dword v10, off, s[0:3], 0 offset:20
	;; [unrolled: 1-line block ×4, first 2 shown]
.LBB123_28:                             ; =>This Inner Loop Header: Depth=1
	v_mov_b32_e32 v5, s6
	v_add_nc_u32_e32 v6, s6, v245
	s_addk_i32 s6, 0x60
	s_clause 0x17
	buffer_load_dword v33, v5, s[0:3], 0 offen
	buffer_load_dword v34, v5, s[0:3], 0 offen offset:4
	buffer_load_dword v35, v5, s[0:3], 0 offen offset:8
	buffer_load_dword v36, v5, s[0:3], 0 offen offset:12
	buffer_load_dword v37, v5, s[0:3], 0 offen offset:16
	buffer_load_dword v38, v5, s[0:3], 0 offen offset:20
	buffer_load_dword v39, v5, s[0:3], 0 offen offset:24
	buffer_load_dword v40, v5, s[0:3], 0 offen offset:28
	buffer_load_dword v41, v5, s[0:3], 0 offen offset:32
	buffer_load_dword v42, v5, s[0:3], 0 offen offset:36
	buffer_load_dword v43, v5, s[0:3], 0 offen offset:40
	buffer_load_dword v44, v5, s[0:3], 0 offen offset:44
	buffer_load_dword v45, v5, s[0:3], 0 offen offset:48
	buffer_load_dword v46, v5, s[0:3], 0 offen offset:52
	buffer_load_dword v47, v5, s[0:3], 0 offen offset:56
	buffer_load_dword v48, v5, s[0:3], 0 offen offset:60
	buffer_load_dword v49, v5, s[0:3], 0 offen offset:64
	buffer_load_dword v50, v5, s[0:3], 0 offen offset:68
	buffer_load_dword v51, v5, s[0:3], 0 offen offset:72
	buffer_load_dword v52, v5, s[0:3], 0 offen offset:76
	buffer_load_dword v53, v5, s[0:3], 0 offen offset:80
	buffer_load_dword v54, v5, s[0:3], 0 offen offset:84
	buffer_load_dword v55, v5, s[0:3], 0 offen offset:88
	buffer_load_dword v56, v5, s[0:3], 0 offen offset:92
	ds_read2_b64 v[1:4], v6 offset1:1
	ds_read2_b64 v[13:16], v6 offset0:2 offset1:3
	ds_read2_b64 v[17:20], v6 offset0:4 offset1:5
	;; [unrolled: 1-line block ×5, first 2 shown]
	s_cmpk_lg_i32 s6, 0x3e0
	s_waitcnt lgkmcnt(5)
	v_mul_f64 v[57:58], v[3:4], v[11:12]
	v_mul_f64 v[59:60], v[1:2], v[11:12]
	s_waitcnt lgkmcnt(4)
	v_mul_f64 v[61:62], v[15:16], v[11:12]
	v_mul_f64 v[63:64], v[13:14], v[11:12]
	;; [unrolled: 3-line block ×6, first 2 shown]
	v_fma_f64 v[1:2], v[1:2], v[9:10], -v[57:58]
	v_fma_f64 v[3:4], v[3:4], v[9:10], v[59:60]
	v_fma_f64 v[13:14], v[13:14], v[9:10], -v[61:62]
	v_fma_f64 v[15:16], v[15:16], v[9:10], v[63:64]
	;; [unrolled: 2-line block ×6, first 2 shown]
	s_waitcnt vmcnt(22)
	v_add_f64 v[1:2], v[33:34], -v[1:2]
	s_waitcnt vmcnt(20)
	v_add_f64 v[3:4], v[35:36], -v[3:4]
	;; [unrolled: 2-line block ×12, first 2 shown]
	buffer_store_dword v1, v5, s[0:3], 0 offen
	buffer_store_dword v2, v5, s[0:3], 0 offen offset:4
	buffer_store_dword v3, v5, s[0:3], 0 offen offset:8
	;; [unrolled: 1-line block ×23, first 2 shown]
	s_cbranch_scc1 .LBB123_28
.LBB123_29:
	s_or_b32 exec_lo, exec_lo, s5
	s_mov_b32 s6, exec_lo
	s_waitcnt lgkmcnt(0)
	s_waitcnt_vscnt null, 0x0
	s_barrier
	buffer_gl0_inv
	v_cmpx_eq_u32_e32 2, v0
	s_cbranch_execz .LBB123_40
; %bb.30:
	v_mov_b32_e32 v4, s73
	s_mov_b32 s5, 48
	s_clause 0x3
	buffer_load_dword v1, v4, s[0:3], 0 offen
	buffer_load_dword v2, v4, s[0:3], 0 offen offset:4
	buffer_load_dword v3, v4, s[0:3], 0 offen offset:8
	;; [unrolled: 1-line block ×3, first 2 shown]
	s_waitcnt vmcnt(0)
	ds_write2_b64 v255, v[1:2], v[3:4] offset1:1
	s_branch .LBB123_32
.LBB123_31:                             ;   in Loop: Header=BB123_32 Depth=1
	s_andn2_b32 vcc_lo, exec_lo, s8
	s_cbranch_vccz .LBB123_34
.LBB123_32:                             ; =>This Inner Loop Header: Depth=1
	v_mov_b32_e32 v1, s5
	s_mov_b32 s7, s5
	s_mov_b32 s8, -1
	s_cmpk_eq_i32 s5, 0x3b0
	s_clause 0xb
	buffer_load_dword v2, v1, s[0:3], 0 offen
	buffer_load_dword v3, v1, s[0:3], 0 offen offset:4
	buffer_load_dword v9, v1, s[0:3], 0 offen offset:8
	;; [unrolled: 1-line block ×11, first 2 shown]
	v_add_nc_u32_e32 v1, s5, v245
	s_waitcnt vmcnt(8)
	ds_write2_b64 v1, v[2:3], v[9:10] offset1:1
	s_waitcnt vmcnt(4)
	ds_write2_b64 v1, v[11:12], v[13:14] offset0:2 offset1:3
	s_waitcnt vmcnt(0)
	ds_write2_b64 v1, v[15:16], v[17:18] offset0:4 offset1:5
	s_cbranch_scc1 .LBB123_31
; %bb.33:                               ;   in Loop: Header=BB123_32 Depth=1
	v_mov_b32_e32 v4, s7
	s_addk_i32 s5, 0x80
	s_mov_b32 s8, 0
	s_clause 0x13
	buffer_load_dword v2, v4, s[0:3], 0 offen offset:48
	buffer_load_dword v3, v4, s[0:3], 0 offen offset:52
	;; [unrolled: 1-line block ×20, first 2 shown]
	s_waitcnt vmcnt(16)
	ds_write2_b64 v1, v[2:3], v[9:10] offset0:6 offset1:7
	s_waitcnt vmcnt(12)
	ds_write2_b64 v1, v[11:12], v[13:14] offset0:8 offset1:9
	;; [unrolled: 2-line block ×5, first 2 shown]
	s_branch .LBB123_31
.LBB123_34:
	ds_read2_b64 v[9:12], v255 offset1:1
	s_waitcnt lgkmcnt(0)
	v_cmp_neq_f64_e32 vcc_lo, 0, v[9:10]
	v_cmp_neq_f64_e64 s5, 0, v[11:12]
	s_or_b32 s5, vcc_lo, s5
	s_and_b32 exec_lo, exec_lo, s5
	s_cbranch_execz .LBB123_40
; %bb.35:
	v_cmp_ngt_f64_e64 s5, |v[9:10]|, |v[11:12]|
                                        ; implicit-def: $vgpr1_vgpr2
	s_and_saveexec_b32 s7, s5
	s_xor_b32 s5, exec_lo, s7
                                        ; implicit-def: $vgpr3_vgpr4
	s_cbranch_execz .LBB123_37
; %bb.36:
	v_div_scale_f64 v[1:2], null, v[11:12], v[11:12], v[9:10]
	v_div_scale_f64 v[15:16], vcc_lo, v[9:10], v[11:12], v[9:10]
	v_rcp_f64_e32 v[3:4], v[1:2]
	v_fma_f64 v[13:14], -v[1:2], v[3:4], 1.0
	v_fma_f64 v[3:4], v[3:4], v[13:14], v[3:4]
	v_fma_f64 v[13:14], -v[1:2], v[3:4], 1.0
	v_fma_f64 v[3:4], v[3:4], v[13:14], v[3:4]
	v_mul_f64 v[13:14], v[15:16], v[3:4]
	v_fma_f64 v[1:2], -v[1:2], v[13:14], v[15:16]
	v_div_fmas_f64 v[1:2], v[1:2], v[3:4], v[13:14]
	v_div_fixup_f64 v[1:2], v[1:2], v[11:12], v[9:10]
	v_fma_f64 v[3:4], v[9:10], v[1:2], v[11:12]
	v_div_scale_f64 v[9:10], null, v[3:4], v[3:4], 1.0
	v_rcp_f64_e32 v[11:12], v[9:10]
	v_fma_f64 v[13:14], -v[9:10], v[11:12], 1.0
	v_fma_f64 v[11:12], v[11:12], v[13:14], v[11:12]
	v_fma_f64 v[13:14], -v[9:10], v[11:12], 1.0
	v_fma_f64 v[11:12], v[11:12], v[13:14], v[11:12]
	v_div_scale_f64 v[13:14], vcc_lo, 1.0, v[3:4], 1.0
	v_mul_f64 v[15:16], v[13:14], v[11:12]
	v_fma_f64 v[9:10], -v[9:10], v[15:16], v[13:14]
	v_div_fmas_f64 v[9:10], v[9:10], v[11:12], v[15:16]
	v_div_fixup_f64 v[3:4], v[9:10], v[3:4], 1.0
                                        ; implicit-def: $vgpr9_vgpr10
	v_mul_f64 v[1:2], v[1:2], v[3:4]
	v_xor_b32_e32 v4, 0x80000000, v4
.LBB123_37:
	s_andn2_saveexec_b32 s5, s5
	s_cbranch_execz .LBB123_39
; %bb.38:
	v_div_scale_f64 v[1:2], null, v[9:10], v[9:10], v[11:12]
	v_div_scale_f64 v[15:16], vcc_lo, v[11:12], v[9:10], v[11:12]
	v_rcp_f64_e32 v[3:4], v[1:2]
	v_fma_f64 v[13:14], -v[1:2], v[3:4], 1.0
	v_fma_f64 v[3:4], v[3:4], v[13:14], v[3:4]
	v_fma_f64 v[13:14], -v[1:2], v[3:4], 1.0
	v_fma_f64 v[3:4], v[3:4], v[13:14], v[3:4]
	v_mul_f64 v[13:14], v[15:16], v[3:4]
	v_fma_f64 v[1:2], -v[1:2], v[13:14], v[15:16]
	v_div_fmas_f64 v[1:2], v[1:2], v[3:4], v[13:14]
	v_div_fixup_f64 v[3:4], v[1:2], v[9:10], v[11:12]
	v_fma_f64 v[1:2], v[11:12], v[3:4], v[9:10]
	v_div_scale_f64 v[9:10], null, v[1:2], v[1:2], 1.0
	v_rcp_f64_e32 v[11:12], v[9:10]
	v_fma_f64 v[13:14], -v[9:10], v[11:12], 1.0
	v_fma_f64 v[11:12], v[11:12], v[13:14], v[11:12]
	v_fma_f64 v[13:14], -v[9:10], v[11:12], 1.0
	v_fma_f64 v[11:12], v[11:12], v[13:14], v[11:12]
	v_div_scale_f64 v[13:14], vcc_lo, 1.0, v[1:2], 1.0
	v_mul_f64 v[15:16], v[13:14], v[11:12]
	v_fma_f64 v[9:10], -v[9:10], v[15:16], v[13:14]
	v_div_fmas_f64 v[9:10], v[9:10], v[11:12], v[15:16]
	v_div_fixup_f64 v[1:2], v[9:10], v[1:2], 1.0
	v_mul_f64 v[3:4], v[3:4], -v[1:2]
.LBB123_39:
	s_or_b32 exec_lo, exec_lo, s5
	ds_write2_b64 v255, v[1:2], v[3:4] offset1:1
.LBB123_40:
	s_or_b32 exec_lo, exec_lo, s6
	s_waitcnt lgkmcnt(0)
	s_barrier
	buffer_gl0_inv
	ds_read2_b64 v[7:10], v255 offset1:1
	s_mov_b32 s5, exec_lo
	v_cmpx_lt_u32_e32 2, v0
	s_cbranch_execz .LBB123_45
; %bb.41:
	s_clause 0x3
	buffer_load_dword v1, off, s[0:3], 0 offset:40
	buffer_load_dword v2, off, s[0:3], 0 offset:44
	;; [unrolled: 1-line block ×4, first 2 shown]
	s_mov_b32 s6, 48
	s_waitcnt vmcnt(2) lgkmcnt(0)
	v_mul_f64 v[13:14], v[9:10], v[1:2]
	v_mul_f64 v[1:2], v[7:8], v[1:2]
	s_waitcnt vmcnt(0)
	v_fma_f64 v[13:14], v[7:8], v[3:4], -v[13:14]
	v_fma_f64 v[15:16], v[9:10], v[3:4], v[1:2]
	buffer_store_dword v13, off, s[0:3], 0 offset:32
	buffer_store_dword v14, off, s[0:3], 0 offset:36
	;; [unrolled: 1-line block ×4, first 2 shown]
	s_branch .LBB123_43
.LBB123_42:                             ;   in Loop: Header=BB123_43 Depth=1
	s_andn2_b32 vcc_lo, exec_lo, s8
	s_cbranch_vccz .LBB123_45
.LBB123_43:                             ; =>This Inner Loop Header: Depth=1
	v_mov_b32_e32 v5, s6
	v_add_nc_u32_e32 v1, s6, v245
	s_mov_b32 s7, s6
	s_mov_b32 s8, -1
	s_cmpk_eq_i32 s6, 0x3b0
	s_clause 0x3
	buffer_load_dword v2, v5, s[0:3], 0 offen
	buffer_load_dword v3, v5, s[0:3], 0 offen offset:4
	buffer_load_dword v25, v5, s[0:3], 0 offen offset:8
	;; [unrolled: 1-line block ×3, first 2 shown]
	ds_read2_b64 v[17:20], v1 offset1:1
	ds_read2_b64 v[21:24], v1 offset0:2 offset1:3
	s_waitcnt lgkmcnt(1)
	v_mul_f64 v[27:28], v[19:20], v[15:16]
	v_mul_f64 v[15:16], v[17:18], v[15:16]
	v_fma_f64 v[17:18], v[17:18], v[13:14], -v[27:28]
	v_fma_f64 v[13:14], v[19:20], v[13:14], v[15:16]
	s_clause 0x3
	buffer_load_dword v4, v5, s[0:3], 0 offen offset:20
	buffer_load_dword v27, v5, s[0:3], 0 offen offset:28
	;; [unrolled: 1-line block ×4, first 2 shown]
	s_waitcnt vmcnt(6)
	v_add_f64 v[2:3], v[2:3], -v[17:18]
	s_waitcnt vmcnt(4)
	v_add_f64 v[13:14], v[25:26], -v[13:14]
	buffer_store_dword v3, v5, s[0:3], 0 offen offset:4
	buffer_store_dword v2, v5, s[0:3], 0 offen
	buffer_store_dword v14, v5, s[0:3], 0 offen offset:12
	buffer_store_dword v13, v5, s[0:3], 0 offen offset:8
	s_clause 0x7
	buffer_load_dword v26, v5, s[0:3], 0 offen offset:24
	buffer_load_dword v28, v5, s[0:3], 0 offen offset:32
	;; [unrolled: 1-line block ×3, first 2 shown]
	buffer_load_dword v16, off, s[0:3], 0 offset:44
	buffer_load_dword v15, off, s[0:3], 0 offset:40
	;; [unrolled: 1-line block ×4, first 2 shown]
	buffer_load_dword v3, v5, s[0:3], 0 offen offset:16
	ds_read2_b64 v[17:20], v1 offset0:4 offset1:5
	s_waitcnt vmcnt(3) lgkmcnt(1)
	v_mul_f64 v[32:33], v[23:24], v[15:16]
	v_mul_f64 v[34:35], v[21:22], v[15:16]
	s_waitcnt lgkmcnt(0)
	v_mul_f64 v[36:37], v[19:20], v[15:16]
	v_mul_f64 v[38:39], v[17:18], v[15:16]
	s_waitcnt vmcnt(1)
	v_fma_f64 v[21:22], v[21:22], v[13:14], -v[32:33]
	v_fma_f64 v[23:24], v[23:24], v[13:14], v[34:35]
	v_fma_f64 v[17:18], v[17:18], v[13:14], -v[36:37]
	v_fma_f64 v[19:20], v[19:20], v[13:14], v[38:39]
	s_waitcnt vmcnt(0)
	v_add_f64 v[2:3], v[3:4], -v[21:22]
	v_add_f64 v[21:22], v[26:27], -v[23:24]
	;; [unrolled: 1-line block ×4, first 2 shown]
	buffer_store_dword v3, v5, s[0:3], 0 offen offset:20
	buffer_store_dword v2, v5, s[0:3], 0 offen offset:16
	buffer_store_dword v22, v5, s[0:3], 0 offen offset:28
	buffer_store_dword v21, v5, s[0:3], 0 offen offset:24
	buffer_store_dword v18, v5, s[0:3], 0 offen offset:36
	buffer_store_dword v17, v5, s[0:3], 0 offen offset:32
	buffer_store_dword v20, v5, s[0:3], 0 offen offset:44
	buffer_store_dword v19, v5, s[0:3], 0 offen offset:40
	s_cbranch_scc1 .LBB123_42
; %bb.44:                               ;   in Loop: Header=BB123_43 Depth=1
	v_mov_b32_e32 v5, s7
	s_add_i32 s6, s6, 64
	s_mov_b32 s8, 0
	s_clause 0x3
	buffer_load_dword v17, v5, s[0:3], 0 offen offset:48
	buffer_load_dword v18, v5, s[0:3], 0 offen offset:52
	;; [unrolled: 1-line block ×4, first 2 shown]
	ds_read2_b64 v[1:4], v1 offset0:6 offset1:7
	s_waitcnt lgkmcnt(0)
	v_mul_f64 v[21:22], v[3:4], v[15:16]
	v_mul_f64 v[23:24], v[1:2], v[15:16]
	v_fma_f64 v[1:2], v[1:2], v[13:14], -v[21:22]
	v_fma_f64 v[3:4], v[3:4], v[13:14], v[23:24]
	s_waitcnt vmcnt(2)
	v_add_f64 v[1:2], v[17:18], -v[1:2]
	s_waitcnt vmcnt(0)
	v_add_f64 v[3:4], v[19:20], -v[3:4]
	buffer_store_dword v1, v5, s[0:3], 0 offen offset:48
	buffer_store_dword v2, v5, s[0:3], 0 offen offset:52
	;; [unrolled: 1-line block ×4, first 2 shown]
	s_branch .LBB123_42
.LBB123_45:
	s_or_b32 exec_lo, exec_lo, s5
	s_mov_b32 s6, exec_lo
	s_waitcnt lgkmcnt(0)
	s_waitcnt_vscnt null, 0x0
	s_barrier
	buffer_gl0_inv
	v_cmpx_eq_u32_e32 3, v0
	s_cbranch_execz .LBB123_54
; %bb.46:
	v_mov_b32_e32 v4, s72
	s_mov_b32 s5, 64
	s_clause 0x3
	buffer_load_dword v1, v4, s[0:3], 0 offen
	buffer_load_dword v2, v4, s[0:3], 0 offen offset:4
	buffer_load_dword v3, v4, s[0:3], 0 offen offset:8
	;; [unrolled: 1-line block ×3, first 2 shown]
	s_waitcnt vmcnt(0)
	ds_write2_b64 v255, v[1:2], v[3:4] offset1:1
	.p2align	6
.LBB123_47:                             ; =>This Inner Loop Header: Depth=1
	v_mov_b32_e32 v5, s5
	s_clause 0x7
	buffer_load_dword v1, v5, s[0:3], 0 offen
	buffer_load_dword v2, v5, s[0:3], 0 offen offset:4
	buffer_load_dword v3, v5, s[0:3], 0 offen offset:8
	;; [unrolled: 1-line block ×7, first 2 shown]
	v_add_nc_u32_e32 v5, s5, v245
	s_add_i32 s5, s5, 32
	s_waitcnt vmcnt(4)
	ds_write2_b64 v5, v[1:2], v[3:4] offset1:1
	s_waitcnt vmcnt(0)
	ds_write2_b64 v5, v[13:14], v[15:16] offset0:2 offset1:3
	s_cmpk_lg_i32 s5, 0x3e0
	s_cbranch_scc1 .LBB123_47
; %bb.48:
	ds_read2_b64 v[13:16], v255 offset1:1
	s_waitcnt lgkmcnt(0)
	v_cmp_neq_f64_e32 vcc_lo, 0, v[13:14]
	v_cmp_neq_f64_e64 s5, 0, v[15:16]
	s_or_b32 s5, vcc_lo, s5
	s_and_b32 exec_lo, exec_lo, s5
	s_cbranch_execz .LBB123_54
; %bb.49:
	v_cmp_ngt_f64_e64 s5, |v[13:14]|, |v[15:16]|
                                        ; implicit-def: $vgpr1_vgpr2
	s_and_saveexec_b32 s7, s5
	s_xor_b32 s5, exec_lo, s7
                                        ; implicit-def: $vgpr3_vgpr4
	s_cbranch_execz .LBB123_51
; %bb.50:
	v_div_scale_f64 v[1:2], null, v[15:16], v[15:16], v[13:14]
	v_div_scale_f64 v[19:20], vcc_lo, v[13:14], v[15:16], v[13:14]
	v_rcp_f64_e32 v[3:4], v[1:2]
	v_fma_f64 v[17:18], -v[1:2], v[3:4], 1.0
	v_fma_f64 v[3:4], v[3:4], v[17:18], v[3:4]
	v_fma_f64 v[17:18], -v[1:2], v[3:4], 1.0
	v_fma_f64 v[3:4], v[3:4], v[17:18], v[3:4]
	v_mul_f64 v[17:18], v[19:20], v[3:4]
	v_fma_f64 v[1:2], -v[1:2], v[17:18], v[19:20]
	v_div_fmas_f64 v[1:2], v[1:2], v[3:4], v[17:18]
	v_div_fixup_f64 v[1:2], v[1:2], v[15:16], v[13:14]
	v_fma_f64 v[3:4], v[13:14], v[1:2], v[15:16]
	v_div_scale_f64 v[13:14], null, v[3:4], v[3:4], 1.0
	v_rcp_f64_e32 v[15:16], v[13:14]
	v_fma_f64 v[17:18], -v[13:14], v[15:16], 1.0
	v_fma_f64 v[15:16], v[15:16], v[17:18], v[15:16]
	v_fma_f64 v[17:18], -v[13:14], v[15:16], 1.0
	v_fma_f64 v[15:16], v[15:16], v[17:18], v[15:16]
	v_div_scale_f64 v[17:18], vcc_lo, 1.0, v[3:4], 1.0
	v_mul_f64 v[19:20], v[17:18], v[15:16]
	v_fma_f64 v[13:14], -v[13:14], v[19:20], v[17:18]
	v_div_fmas_f64 v[13:14], v[13:14], v[15:16], v[19:20]
	v_div_fixup_f64 v[3:4], v[13:14], v[3:4], 1.0
                                        ; implicit-def: $vgpr13_vgpr14
	v_mul_f64 v[1:2], v[1:2], v[3:4]
	v_xor_b32_e32 v4, 0x80000000, v4
.LBB123_51:
	s_andn2_saveexec_b32 s5, s5
	s_cbranch_execz .LBB123_53
; %bb.52:
	v_div_scale_f64 v[1:2], null, v[13:14], v[13:14], v[15:16]
	v_div_scale_f64 v[19:20], vcc_lo, v[15:16], v[13:14], v[15:16]
	v_rcp_f64_e32 v[3:4], v[1:2]
	v_fma_f64 v[17:18], -v[1:2], v[3:4], 1.0
	v_fma_f64 v[3:4], v[3:4], v[17:18], v[3:4]
	v_fma_f64 v[17:18], -v[1:2], v[3:4], 1.0
	v_fma_f64 v[3:4], v[3:4], v[17:18], v[3:4]
	v_mul_f64 v[17:18], v[19:20], v[3:4]
	v_fma_f64 v[1:2], -v[1:2], v[17:18], v[19:20]
	v_div_fmas_f64 v[1:2], v[1:2], v[3:4], v[17:18]
	v_div_fixup_f64 v[3:4], v[1:2], v[13:14], v[15:16]
	v_fma_f64 v[1:2], v[15:16], v[3:4], v[13:14]
	v_div_scale_f64 v[13:14], null, v[1:2], v[1:2], 1.0
	v_rcp_f64_e32 v[15:16], v[13:14]
	v_fma_f64 v[17:18], -v[13:14], v[15:16], 1.0
	v_fma_f64 v[15:16], v[15:16], v[17:18], v[15:16]
	v_fma_f64 v[17:18], -v[13:14], v[15:16], 1.0
	v_fma_f64 v[15:16], v[15:16], v[17:18], v[15:16]
	v_div_scale_f64 v[17:18], vcc_lo, 1.0, v[1:2], 1.0
	v_mul_f64 v[19:20], v[17:18], v[15:16]
	v_fma_f64 v[13:14], -v[13:14], v[19:20], v[17:18]
	v_div_fmas_f64 v[13:14], v[13:14], v[15:16], v[19:20]
	v_div_fixup_f64 v[1:2], v[13:14], v[1:2], 1.0
	v_mul_f64 v[3:4], v[3:4], -v[1:2]
.LBB123_53:
	s_or_b32 exec_lo, exec_lo, s5
	ds_write2_b64 v255, v[1:2], v[3:4] offset1:1
.LBB123_54:
	s_or_b32 exec_lo, exec_lo, s6
	s_waitcnt lgkmcnt(0)
	s_barrier
	buffer_gl0_inv
	ds_read2_b64 v[13:16], v255 offset1:1
	s_mov_b32 s5, exec_lo
	v_cmpx_lt_u32_e32 3, v0
	s_cbranch_execz .LBB123_57
; %bb.55:
	s_clause 0x3
	buffer_load_dword v1, off, s[0:3], 0 offset:56
	buffer_load_dword v2, off, s[0:3], 0 offset:60
	;; [unrolled: 1-line block ×4, first 2 shown]
	s_mov_b32 s6, 64
	s_waitcnt vmcnt(2) lgkmcnt(0)
	v_mul_f64 v[17:18], v[15:16], v[1:2]
	v_mul_f64 v[1:2], v[13:14], v[1:2]
	s_waitcnt vmcnt(0)
	v_fma_f64 v[17:18], v[13:14], v[3:4], -v[17:18]
	v_fma_f64 v[1:2], v[15:16], v[3:4], v[1:2]
	buffer_store_dword v17, off, s[0:3], 0 offset:48
	buffer_store_dword v18, off, s[0:3], 0 offset:52
	buffer_store_dword v1, off, s[0:3], 0 offset:56
	buffer_store_dword v2, off, s[0:3], 0 offset:60
.LBB123_56:                             ; =>This Inner Loop Header: Depth=1
	s_clause 0x3
	buffer_load_dword v21, off, s[0:3], 0 offset:56
	buffer_load_dword v22, off, s[0:3], 0 offset:60
	;; [unrolled: 1-line block ×4, first 2 shown]
	v_mov_b32_e32 v5, s6
	v_add_nc_u32_e32 v6, s6, v245
	s_add_i32 s6, s6, 32
	s_clause 0x3
	buffer_load_dword v25, v5, s[0:3], 0 offen
	buffer_load_dword v26, v5, s[0:3], 0 offen offset:4
	buffer_load_dword v27, v5, s[0:3], 0 offen offset:8
	;; [unrolled: 1-line block ×3, first 2 shown]
	ds_read2_b64 v[1:4], v6 offset1:1
	ds_read2_b64 v[17:20], v6 offset0:2 offset1:3
	s_cmpk_lg_i32 s6, 0x3e0
	s_waitcnt vmcnt(6) lgkmcnt(1)
	v_mul_f64 v[29:30], v[3:4], v[21:22]
	v_mul_f64 v[21:22], v[1:2], v[21:22]
	s_waitcnt vmcnt(4)
	v_fma_f64 v[1:2], v[1:2], v[23:24], -v[29:30]
	v_fma_f64 v[3:4], v[3:4], v[23:24], v[21:22]
	s_clause 0x3
	buffer_load_dword v21, v5, s[0:3], 0 offen offset:16
	buffer_load_dword v22, v5, s[0:3], 0 offen offset:20
	;; [unrolled: 1-line block ×4, first 2 shown]
	s_waitcnt vmcnt(6)
	v_add_f64 v[1:2], v[25:26], -v[1:2]
	s_waitcnt vmcnt(4)
	v_add_f64 v[3:4], v[27:28], -v[3:4]
	buffer_store_dword v2, v5, s[0:3], 0 offen offset:4
	buffer_store_dword v1, v5, s[0:3], 0 offen
	buffer_store_dword v4, v5, s[0:3], 0 offen offset:12
	buffer_store_dword v3, v5, s[0:3], 0 offen offset:8
	s_clause 0x3
	buffer_load_dword v2, off, s[0:3], 0 offset:60
	buffer_load_dword v1, off, s[0:3], 0 offset:56
	;; [unrolled: 1-line block ×4, first 2 shown]
	s_waitcnt vmcnt(2) lgkmcnt(0)
	v_mul_f64 v[25:26], v[19:20], v[1:2]
	v_mul_f64 v[1:2], v[17:18], v[1:2]
	s_waitcnt vmcnt(0)
	v_fma_f64 v[17:18], v[17:18], v[3:4], -v[25:26]
	v_fma_f64 v[1:2], v[19:20], v[3:4], v[1:2]
	v_add_f64 v[3:4], v[21:22], -v[17:18]
	v_add_f64 v[1:2], v[23:24], -v[1:2]
	buffer_store_dword v4, v5, s[0:3], 0 offen offset:20
	buffer_store_dword v3, v5, s[0:3], 0 offen offset:16
	buffer_store_dword v2, v5, s[0:3], 0 offen offset:28
	buffer_store_dword v1, v5, s[0:3], 0 offen offset:24
	s_cbranch_scc1 .LBB123_56
.LBB123_57:
	s_or_b32 exec_lo, exec_lo, s5
	s_mov_b32 s6, exec_lo
	s_waitcnt lgkmcnt(0)
	s_waitcnt_vscnt null, 0x0
	s_barrier
	buffer_gl0_inv
	v_cmpx_eq_u32_e32 4, v0
	s_cbranch_execz .LBB123_66
; %bb.58:
	v_mov_b32_e32 v4, s71
	s_movk_i32 s5, 0x50
	s_clause 0x3
	buffer_load_dword v1, v4, s[0:3], 0 offen
	buffer_load_dword v2, v4, s[0:3], 0 offen offset:4
	buffer_load_dword v3, v4, s[0:3], 0 offen offset:8
	;; [unrolled: 1-line block ×3, first 2 shown]
	s_waitcnt vmcnt(0)
	ds_write2_b64 v255, v[1:2], v[3:4] offset1:1
	s_inst_prefetch 0x1
	.p2align	6
.LBB123_59:                             ; =>This Inner Loop Header: Depth=1
	v_mov_b32_e32 v5, s5
	s_clause 0xb
	buffer_load_dword v1, v5, s[0:3], 0 offen
	buffer_load_dword v2, v5, s[0:3], 0 offen offset:4
	buffer_load_dword v3, v5, s[0:3], 0 offen offset:8
	;; [unrolled: 1-line block ×11, first 2 shown]
	v_add_nc_u32_e32 v5, s5, v245
	s_add_i32 s5, s5, 48
	s_waitcnt vmcnt(8)
	ds_write2_b64 v5, v[1:2], v[3:4] offset1:1
	s_waitcnt vmcnt(4)
	ds_write2_b64 v5, v[17:18], v[19:20] offset0:2 offset1:3
	s_waitcnt vmcnt(0)
	ds_write2_b64 v5, v[21:22], v[23:24] offset0:4 offset1:5
	s_cmpk_lg_i32 s5, 0x3e0
	s_cbranch_scc1 .LBB123_59
; %bb.60:
	s_inst_prefetch 0x2
	ds_read2_b64 v[17:20], v255 offset1:1
	s_waitcnt lgkmcnt(0)
	v_cmp_neq_f64_e32 vcc_lo, 0, v[17:18]
	v_cmp_neq_f64_e64 s5, 0, v[19:20]
	s_or_b32 s5, vcc_lo, s5
	s_and_b32 exec_lo, exec_lo, s5
	s_cbranch_execz .LBB123_66
; %bb.61:
	v_cmp_ngt_f64_e64 s5, |v[17:18]|, |v[19:20]|
                                        ; implicit-def: $vgpr1_vgpr2
	s_and_saveexec_b32 s7, s5
	s_xor_b32 s5, exec_lo, s7
                                        ; implicit-def: $vgpr3_vgpr4
	s_cbranch_execz .LBB123_63
; %bb.62:
	v_div_scale_f64 v[1:2], null, v[19:20], v[19:20], v[17:18]
	v_div_scale_f64 v[23:24], vcc_lo, v[17:18], v[19:20], v[17:18]
	v_rcp_f64_e32 v[3:4], v[1:2]
	v_fma_f64 v[21:22], -v[1:2], v[3:4], 1.0
	v_fma_f64 v[3:4], v[3:4], v[21:22], v[3:4]
	v_fma_f64 v[21:22], -v[1:2], v[3:4], 1.0
	v_fma_f64 v[3:4], v[3:4], v[21:22], v[3:4]
	v_mul_f64 v[21:22], v[23:24], v[3:4]
	v_fma_f64 v[1:2], -v[1:2], v[21:22], v[23:24]
	v_div_fmas_f64 v[1:2], v[1:2], v[3:4], v[21:22]
	v_div_fixup_f64 v[1:2], v[1:2], v[19:20], v[17:18]
	v_fma_f64 v[3:4], v[17:18], v[1:2], v[19:20]
	v_div_scale_f64 v[17:18], null, v[3:4], v[3:4], 1.0
	v_rcp_f64_e32 v[19:20], v[17:18]
	v_fma_f64 v[21:22], -v[17:18], v[19:20], 1.0
	v_fma_f64 v[19:20], v[19:20], v[21:22], v[19:20]
	v_fma_f64 v[21:22], -v[17:18], v[19:20], 1.0
	v_fma_f64 v[19:20], v[19:20], v[21:22], v[19:20]
	v_div_scale_f64 v[21:22], vcc_lo, 1.0, v[3:4], 1.0
	v_mul_f64 v[23:24], v[21:22], v[19:20]
	v_fma_f64 v[17:18], -v[17:18], v[23:24], v[21:22]
	v_div_fmas_f64 v[17:18], v[17:18], v[19:20], v[23:24]
	v_div_fixup_f64 v[3:4], v[17:18], v[3:4], 1.0
                                        ; implicit-def: $vgpr17_vgpr18
	v_mul_f64 v[1:2], v[1:2], v[3:4]
	v_xor_b32_e32 v4, 0x80000000, v4
.LBB123_63:
	s_andn2_saveexec_b32 s5, s5
	s_cbranch_execz .LBB123_65
; %bb.64:
	v_div_scale_f64 v[1:2], null, v[17:18], v[17:18], v[19:20]
	v_div_scale_f64 v[23:24], vcc_lo, v[19:20], v[17:18], v[19:20]
	v_rcp_f64_e32 v[3:4], v[1:2]
	v_fma_f64 v[21:22], -v[1:2], v[3:4], 1.0
	v_fma_f64 v[3:4], v[3:4], v[21:22], v[3:4]
	v_fma_f64 v[21:22], -v[1:2], v[3:4], 1.0
	v_fma_f64 v[3:4], v[3:4], v[21:22], v[3:4]
	v_mul_f64 v[21:22], v[23:24], v[3:4]
	v_fma_f64 v[1:2], -v[1:2], v[21:22], v[23:24]
	v_div_fmas_f64 v[1:2], v[1:2], v[3:4], v[21:22]
	v_div_fixup_f64 v[3:4], v[1:2], v[17:18], v[19:20]
	v_fma_f64 v[1:2], v[19:20], v[3:4], v[17:18]
	v_div_scale_f64 v[17:18], null, v[1:2], v[1:2], 1.0
	v_rcp_f64_e32 v[19:20], v[17:18]
	v_fma_f64 v[21:22], -v[17:18], v[19:20], 1.0
	v_fma_f64 v[19:20], v[19:20], v[21:22], v[19:20]
	v_fma_f64 v[21:22], -v[17:18], v[19:20], 1.0
	v_fma_f64 v[19:20], v[19:20], v[21:22], v[19:20]
	v_div_scale_f64 v[21:22], vcc_lo, 1.0, v[1:2], 1.0
	v_mul_f64 v[23:24], v[21:22], v[19:20]
	v_fma_f64 v[17:18], -v[17:18], v[23:24], v[21:22]
	v_div_fmas_f64 v[17:18], v[17:18], v[19:20], v[23:24]
	v_div_fixup_f64 v[1:2], v[17:18], v[1:2], 1.0
	v_mul_f64 v[3:4], v[3:4], -v[1:2]
.LBB123_65:
	s_or_b32 exec_lo, exec_lo, s5
	ds_write2_b64 v255, v[1:2], v[3:4] offset1:1
.LBB123_66:
	s_or_b32 exec_lo, exec_lo, s6
	s_waitcnt lgkmcnt(0)
	s_barrier
	buffer_gl0_inv
	ds_read2_b64 v[17:20], v255 offset1:1
	s_mov_b32 s5, exec_lo
	v_cmpx_lt_u32_e32 4, v0
	s_cbranch_execz .LBB123_69
; %bb.67:
	s_clause 0x3
	buffer_load_dword v1, off, s[0:3], 0 offset:72
	buffer_load_dword v2, off, s[0:3], 0 offset:76
	;; [unrolled: 1-line block ×4, first 2 shown]
	s_movk_i32 s6, 0x50
	s_waitcnt vmcnt(2) lgkmcnt(0)
	v_mul_f64 v[21:22], v[19:20], v[1:2]
	v_mul_f64 v[1:2], v[17:18], v[1:2]
	s_waitcnt vmcnt(0)
	v_fma_f64 v[21:22], v[17:18], v[3:4], -v[21:22]
	v_fma_f64 v[1:2], v[19:20], v[3:4], v[1:2]
	buffer_store_dword v21, off, s[0:3], 0 offset:64
	buffer_store_dword v22, off, s[0:3], 0 offset:68
	;; [unrolled: 1-line block ×4, first 2 shown]
.LBB123_68:                             ; =>This Inner Loop Header: Depth=1
	s_clause 0x3
	buffer_load_dword v25, off, s[0:3], 0 offset:72
	buffer_load_dword v26, off, s[0:3], 0 offset:76
	;; [unrolled: 1-line block ×4, first 2 shown]
	v_mov_b32_e32 v5, s6
	v_add_nc_u32_e32 v6, s6, v245
	s_add_i32 s6, s6, 48
	s_clause 0x3
	buffer_load_dword v29, v5, s[0:3], 0 offen
	buffer_load_dword v30, v5, s[0:3], 0 offen offset:4
	buffer_load_dword v31, v5, s[0:3], 0 offen offset:8
	;; [unrolled: 1-line block ×3, first 2 shown]
	ds_read2_b64 v[1:4], v6 offset1:1
	ds_read2_b64 v[21:24], v6 offset0:2 offset1:3
	s_cmpk_lg_i32 s6, 0x3e0
	s_waitcnt vmcnt(6) lgkmcnt(1)
	v_mul_f64 v[33:34], v[3:4], v[25:26]
	v_mul_f64 v[25:26], v[1:2], v[25:26]
	s_waitcnt vmcnt(4)
	v_fma_f64 v[1:2], v[1:2], v[27:28], -v[33:34]
	v_fma_f64 v[3:4], v[3:4], v[27:28], v[25:26]
	s_clause 0x3
	buffer_load_dword v25, v5, s[0:3], 0 offen offset:16
	buffer_load_dword v26, v5, s[0:3], 0 offen offset:20
	;; [unrolled: 1-line block ×4, first 2 shown]
	s_waitcnt vmcnt(6)
	v_add_f64 v[1:2], v[29:30], -v[1:2]
	s_waitcnt vmcnt(4)
	v_add_f64 v[3:4], v[31:32], -v[3:4]
	buffer_store_dword v2, v5, s[0:3], 0 offen offset:4
	buffer_store_dword v1, v5, s[0:3], 0 offen
	buffer_store_dword v4, v5, s[0:3], 0 offen offset:12
	buffer_store_dword v3, v5, s[0:3], 0 offen offset:8
	s_clause 0x3
	buffer_load_dword v2, off, s[0:3], 0 offset:76
	buffer_load_dword v1, off, s[0:3], 0 offset:72
	;; [unrolled: 1-line block ×4, first 2 shown]
	s_waitcnt vmcnt(2) lgkmcnt(0)
	v_mul_f64 v[29:30], v[23:24], v[1:2]
	v_mul_f64 v[1:2], v[21:22], v[1:2]
	s_waitcnt vmcnt(0)
	v_fma_f64 v[21:22], v[21:22], v[3:4], -v[29:30]
	v_fma_f64 v[1:2], v[23:24], v[3:4], v[1:2]
	v_add_f64 v[3:4], v[25:26], -v[21:22]
	v_add_f64 v[1:2], v[27:28], -v[1:2]
	s_clause 0x3
	buffer_load_dword v21, v5, s[0:3], 0 offen offset:32
	buffer_load_dword v22, v5, s[0:3], 0 offen offset:36
	;; [unrolled: 1-line block ×4, first 2 shown]
	buffer_store_dword v4, v5, s[0:3], 0 offen offset:20
	buffer_store_dword v3, v5, s[0:3], 0 offen offset:16
	;; [unrolled: 1-line block ×4, first 2 shown]
	s_clause 0x3
	buffer_load_dword v25, off, s[0:3], 0 offset:72
	buffer_load_dword v26, off, s[0:3], 0 offset:76
	;; [unrolled: 1-line block ×4, first 2 shown]
	ds_read2_b64 v[1:4], v6 offset0:4 offset1:5
	s_waitcnt vmcnt(2) lgkmcnt(0)
	v_mul_f64 v[29:30], v[3:4], v[25:26]
	v_mul_f64 v[25:26], v[1:2], v[25:26]
	s_waitcnt vmcnt(0)
	v_fma_f64 v[1:2], v[1:2], v[27:28], -v[29:30]
	v_fma_f64 v[3:4], v[3:4], v[27:28], v[25:26]
	v_add_f64 v[1:2], v[21:22], -v[1:2]
	v_add_f64 v[3:4], v[23:24], -v[3:4]
	buffer_store_dword v2, v5, s[0:3], 0 offen offset:36
	buffer_store_dword v1, v5, s[0:3], 0 offen offset:32
	buffer_store_dword v4, v5, s[0:3], 0 offen offset:44
	buffer_store_dword v3, v5, s[0:3], 0 offen offset:40
	s_cbranch_scc1 .LBB123_68
.LBB123_69:
	s_or_b32 exec_lo, exec_lo, s5
	s_mov_b32 s6, exec_lo
	s_waitcnt lgkmcnt(0)
	s_waitcnt_vscnt null, 0x0
	s_barrier
	buffer_gl0_inv
	v_cmpx_eq_u32_e32 5, v0
	s_cbranch_execz .LBB123_78
; %bb.70:
	v_mov_b32_e32 v4, s70
	s_movk_i32 s5, 0x60
	s_clause 0x3
	buffer_load_dword v1, v4, s[0:3], 0 offen
	buffer_load_dword v2, v4, s[0:3], 0 offen offset:4
	buffer_load_dword v3, v4, s[0:3], 0 offen offset:8
	;; [unrolled: 1-line block ×3, first 2 shown]
	s_waitcnt vmcnt(0)
	ds_write2_b64 v255, v[1:2], v[3:4] offset1:1
.LBB123_71:                             ; =>This Inner Loop Header: Depth=1
	v_mov_b32_e32 v5, s5
	s_clause 0x37
	buffer_load_dword v1, v5, s[0:3], 0 offen
	buffer_load_dword v2, v5, s[0:3], 0 offen offset:4
	buffer_load_dword v3, v5, s[0:3], 0 offen offset:8
	;; [unrolled: 1-line block ×55, first 2 shown]
	v_add_nc_u32_e32 v5, s5, v245
	s_addk_i32 s5, 0xe0
	s_waitcnt vmcnt(52)
	ds_write2_b64 v5, v[1:2], v[3:4] offset1:1
	s_waitcnt vmcnt(48)
	ds_write2_b64 v5, v[21:22], v[23:24] offset0:2 offset1:3
	s_waitcnt vmcnt(44)
	ds_write2_b64 v5, v[25:26], v[27:28] offset0:4 offset1:5
	;; [unrolled: 2-line block ×4, first 2 shown]
	ds_write2_b64 v5, v[37:38], v[35:36] offset0:10 offset1:11
	s_waitcnt vmcnt(24)
	ds_write2_b64 v5, v[47:48], v[41:42] offset0:12 offset1:13
	ds_write2_b64 v5, v[45:46], v[43:44] offset0:14 offset1:15
	s_waitcnt vmcnt(20)
	ds_write2_b64 v5, v[49:50], v[51:52] offset0:16 offset1:17
	s_waitcnt vmcnt(16)
	;; [unrolled: 2-line block ×6, first 2 shown]
	ds_write2_b64 v5, v[69:70], v[71:72] offset0:26 offset1:27
	s_cmpk_lg_i32 s5, 0x3e0
	s_cbranch_scc1 .LBB123_71
; %bb.72:
	ds_read2_b64 v[21:24], v255 offset1:1
	s_waitcnt lgkmcnt(0)
	v_cmp_neq_f64_e32 vcc_lo, 0, v[21:22]
	v_cmp_neq_f64_e64 s5, 0, v[23:24]
	s_or_b32 s5, vcc_lo, s5
	s_and_b32 exec_lo, exec_lo, s5
	s_cbranch_execz .LBB123_78
; %bb.73:
	v_cmp_ngt_f64_e64 s5, |v[21:22]|, |v[23:24]|
                                        ; implicit-def: $vgpr1_vgpr2
	s_and_saveexec_b32 s7, s5
	s_xor_b32 s5, exec_lo, s7
                                        ; implicit-def: $vgpr3_vgpr4
	s_cbranch_execz .LBB123_75
; %bb.74:
	v_div_scale_f64 v[1:2], null, v[23:24], v[23:24], v[21:22]
	v_div_scale_f64 v[27:28], vcc_lo, v[21:22], v[23:24], v[21:22]
	v_rcp_f64_e32 v[3:4], v[1:2]
	v_fma_f64 v[25:26], -v[1:2], v[3:4], 1.0
	v_fma_f64 v[3:4], v[3:4], v[25:26], v[3:4]
	v_fma_f64 v[25:26], -v[1:2], v[3:4], 1.0
	v_fma_f64 v[3:4], v[3:4], v[25:26], v[3:4]
	v_mul_f64 v[25:26], v[27:28], v[3:4]
	v_fma_f64 v[1:2], -v[1:2], v[25:26], v[27:28]
	v_div_fmas_f64 v[1:2], v[1:2], v[3:4], v[25:26]
	v_div_fixup_f64 v[1:2], v[1:2], v[23:24], v[21:22]
	v_fma_f64 v[3:4], v[21:22], v[1:2], v[23:24]
	v_div_scale_f64 v[21:22], null, v[3:4], v[3:4], 1.0
	v_rcp_f64_e32 v[23:24], v[21:22]
	v_fma_f64 v[25:26], -v[21:22], v[23:24], 1.0
	v_fma_f64 v[23:24], v[23:24], v[25:26], v[23:24]
	v_fma_f64 v[25:26], -v[21:22], v[23:24], 1.0
	v_fma_f64 v[23:24], v[23:24], v[25:26], v[23:24]
	v_div_scale_f64 v[25:26], vcc_lo, 1.0, v[3:4], 1.0
	v_mul_f64 v[27:28], v[25:26], v[23:24]
	v_fma_f64 v[21:22], -v[21:22], v[27:28], v[25:26]
	v_div_fmas_f64 v[21:22], v[21:22], v[23:24], v[27:28]
	v_div_fixup_f64 v[3:4], v[21:22], v[3:4], 1.0
                                        ; implicit-def: $vgpr21_vgpr22
	v_mul_f64 v[1:2], v[1:2], v[3:4]
	v_xor_b32_e32 v4, 0x80000000, v4
.LBB123_75:
	s_andn2_saveexec_b32 s5, s5
	s_cbranch_execz .LBB123_77
; %bb.76:
	v_div_scale_f64 v[1:2], null, v[21:22], v[21:22], v[23:24]
	v_div_scale_f64 v[27:28], vcc_lo, v[23:24], v[21:22], v[23:24]
	v_rcp_f64_e32 v[3:4], v[1:2]
	v_fma_f64 v[25:26], -v[1:2], v[3:4], 1.0
	v_fma_f64 v[3:4], v[3:4], v[25:26], v[3:4]
	v_fma_f64 v[25:26], -v[1:2], v[3:4], 1.0
	v_fma_f64 v[3:4], v[3:4], v[25:26], v[3:4]
	v_mul_f64 v[25:26], v[27:28], v[3:4]
	v_fma_f64 v[1:2], -v[1:2], v[25:26], v[27:28]
	v_div_fmas_f64 v[1:2], v[1:2], v[3:4], v[25:26]
	v_div_fixup_f64 v[3:4], v[1:2], v[21:22], v[23:24]
	v_fma_f64 v[1:2], v[23:24], v[3:4], v[21:22]
	v_div_scale_f64 v[21:22], null, v[1:2], v[1:2], 1.0
	v_rcp_f64_e32 v[23:24], v[21:22]
	v_fma_f64 v[25:26], -v[21:22], v[23:24], 1.0
	v_fma_f64 v[23:24], v[23:24], v[25:26], v[23:24]
	v_fma_f64 v[25:26], -v[21:22], v[23:24], 1.0
	v_fma_f64 v[23:24], v[23:24], v[25:26], v[23:24]
	v_div_scale_f64 v[25:26], vcc_lo, 1.0, v[1:2], 1.0
	v_mul_f64 v[27:28], v[25:26], v[23:24]
	v_fma_f64 v[21:22], -v[21:22], v[27:28], v[25:26]
	v_div_fmas_f64 v[21:22], v[21:22], v[23:24], v[27:28]
	v_div_fixup_f64 v[1:2], v[21:22], v[1:2], 1.0
	v_mul_f64 v[3:4], v[3:4], -v[1:2]
.LBB123_77:
	s_or_b32 exec_lo, exec_lo, s5
	ds_write2_b64 v255, v[1:2], v[3:4] offset1:1
.LBB123_78:
	s_or_b32 exec_lo, exec_lo, s6
	s_waitcnt lgkmcnt(0)
	s_barrier
	buffer_gl0_inv
	ds_read2_b64 v[21:24], v255 offset1:1
	s_mov_b32 s5, exec_lo
	v_cmpx_lt_u32_e32 5, v0
	s_cbranch_execz .LBB123_81
; %bb.79:
	s_clause 0x3
	buffer_load_dword v1, off, s[0:3], 0 offset:88
	buffer_load_dword v2, off, s[0:3], 0 offset:92
	;; [unrolled: 1-line block ×4, first 2 shown]
	s_movk_i32 s6, 0x60
	s_waitcnt vmcnt(2) lgkmcnt(0)
	v_mul_f64 v[25:26], v[23:24], v[1:2]
	v_mul_f64 v[1:2], v[21:22], v[1:2]
	s_waitcnt vmcnt(0)
	v_fma_f64 v[25:26], v[21:22], v[3:4], -v[25:26]
	v_fma_f64 v[27:28], v[23:24], v[3:4], v[1:2]
	buffer_store_dword v25, off, s[0:3], 0 offset:80
	buffer_store_dword v26, off, s[0:3], 0 offset:84
	;; [unrolled: 1-line block ×4, first 2 shown]
.LBB123_80:                             ; =>This Inner Loop Header: Depth=1
	v_mov_b32_e32 v5, s6
	v_add_nc_u32_e32 v6, s6, v245
	s_addk_i32 s6, 0x70
	s_clause 0x3
	buffer_load_dword v33, v5, s[0:3], 0 offen
	buffer_load_dword v34, v5, s[0:3], 0 offen offset:4
	buffer_load_dword v35, v5, s[0:3], 0 offen offset:8
	;; [unrolled: 1-line block ×3, first 2 shown]
	ds_read2_b64 v[1:4], v6 offset1:1
	ds_read2_b64 v[29:32], v6 offset0:2 offset1:3
	s_clause 0x7
	buffer_load_dword v37, v5, s[0:3], 0 offen offset:16
	buffer_load_dword v39, v5, s[0:3], 0 offen offset:24
	;; [unrolled: 1-line block ×8, first 2 shown]
	s_cmpk_lg_i32 s6, 0x3e0
	s_waitcnt lgkmcnt(1)
	v_mul_f64 v[47:48], v[3:4], v[27:28]
	v_mul_f64 v[27:28], v[1:2], v[27:28]
	v_fma_f64 v[1:2], v[1:2], v[25:26], -v[47:48]
	v_fma_f64 v[3:4], v[3:4], v[25:26], v[27:28]
	s_waitcnt vmcnt(10)
	v_add_f64 v[1:2], v[33:34], -v[1:2]
	s_waitcnt vmcnt(8)
	v_add_f64 v[3:4], v[35:36], -v[3:4]
	buffer_store_dword v2, v5, s[0:3], 0 offen offset:4
	buffer_store_dword v1, v5, s[0:3], 0 offen
	buffer_store_dword v4, v5, s[0:3], 0 offen offset:12
	buffer_store_dword v3, v5, s[0:3], 0 offen offset:8
	s_clause 0x7
	buffer_load_dword v2, off, s[0:3], 0 offset:92
	buffer_load_dword v1, off, s[0:3], 0 offset:88
	;; [unrolled: 1-line block ×4, first 2 shown]
	buffer_load_dword v41, v5, s[0:3], 0 offen offset:32
	buffer_load_dword v45, v5, s[0:3], 0 offen offset:44
	;; [unrolled: 1-line block ×4, first 2 shown]
	s_waitcnt vmcnt(6) lgkmcnt(0)
	v_mul_f64 v[25:26], v[31:32], v[1:2]
	v_mul_f64 v[1:2], v[29:30], v[1:2]
	s_waitcnt vmcnt(4)
	v_fma_f64 v[25:26], v[29:30], v[3:4], -v[25:26]
	v_fma_f64 v[1:2], v[31:32], v[3:4], v[1:2]
	v_add_f64 v[3:4], v[37:38], -v[25:26]
	v_add_f64 v[1:2], v[39:40], -v[1:2]
	buffer_store_dword v4, v5, s[0:3], 0 offen offset:20
	buffer_store_dword v3, v5, s[0:3], 0 offen offset:16
	buffer_store_dword v2, v5, s[0:3], 0 offen offset:28
	buffer_store_dword v1, v5, s[0:3], 0 offen offset:24
	s_clause 0x3
	buffer_load_dword v29, off, s[0:3], 0 offset:88
	buffer_load_dword v30, off, s[0:3], 0 offset:92
	;; [unrolled: 1-line block ×4, first 2 shown]
	ds_read2_b64 v[1:4], v6 offset0:4 offset1:5
	ds_read2_b64 v[25:28], v6 offset0:6 offset1:7
	s_waitcnt vmcnt(2) lgkmcnt(1)
	v_mul_f64 v[33:34], v[3:4], v[29:30]
	v_mul_f64 v[29:30], v[1:2], v[29:30]
	s_waitcnt vmcnt(0)
	v_fma_f64 v[1:2], v[1:2], v[31:32], -v[33:34]
	v_fma_f64 v[3:4], v[3:4], v[31:32], v[29:30]
	v_add_f64 v[1:2], v[41:42], -v[1:2]
	v_add_f64 v[3:4], v[44:45], -v[3:4]
	buffer_store_dword v2, v5, s[0:3], 0 offen offset:36
	buffer_store_dword v1, v5, s[0:3], 0 offen offset:32
	;; [unrolled: 1-line block ×4, first 2 shown]
	s_clause 0x7
	buffer_load_dword v1, off, s[0:3], 0 offset:88
	buffer_load_dword v2, off, s[0:3], 0 offset:92
	;; [unrolled: 1-line block ×4, first 2 shown]
	buffer_load_dword v42, v5, s[0:3], 0 offen offset:48
	buffer_load_dword v38, v5, s[0:3], 0 offen offset:68
	;; [unrolled: 1-line block ×4, first 2 shown]
	s_waitcnt vmcnt(6) lgkmcnt(0)
	v_mul_f64 v[29:30], v[27:28], v[1:2]
	v_mul_f64 v[1:2], v[25:26], v[1:2]
	s_waitcnt vmcnt(4)
	v_fma_f64 v[25:26], v[25:26], v[3:4], -v[29:30]
	v_fma_f64 v[1:2], v[27:28], v[3:4], v[1:2]
	s_waitcnt vmcnt(3)
	v_add_f64 v[3:4], v[42:43], -v[25:26]
	v_add_f64 v[1:2], v[46:47], -v[1:2]
	buffer_store_dword v4, v5, s[0:3], 0 offen offset:52
	buffer_store_dword v3, v5, s[0:3], 0 offen offset:48
	;; [unrolled: 1-line block ×4, first 2 shown]
	s_clause 0xb
	buffer_load_dword v27, off, s[0:3], 0 offset:88
	buffer_load_dword v28, off, s[0:3], 0 offset:92
	;; [unrolled: 1-line block ×4, first 2 shown]
	buffer_load_dword v43, v5, s[0:3], 0 offen offset:96
	buffer_load_dword v44, v5, s[0:3], 0 offen offset:100
	;; [unrolled: 1-line block ×8, first 2 shown]
	ds_read2_b64 v[1:4], v6 offset0:8 offset1:9
	ds_read2_b64 v[29:32], v6 offset0:10 offset1:11
	;; [unrolled: 1-line block ×3, first 2 shown]
	s_waitcnt vmcnt(10) lgkmcnt(2)
	v_mul_f64 v[50:51], v[3:4], v[27:28]
	v_mul_f64 v[52:53], v[1:2], v[27:28]
	s_waitcnt lgkmcnt(1)
	v_mul_f64 v[54:55], v[31:32], v[27:28]
	v_mul_f64 v[56:57], v[29:30], v[27:28]
	s_waitcnt lgkmcnt(0)
	v_mul_f64 v[58:59], v[35:36], v[27:28]
	v_mul_f64 v[60:61], v[33:34], v[27:28]
	s_waitcnt vmcnt(8)
	v_fma_f64 v[1:2], v[1:2], v[25:26], -v[50:51]
	v_fma_f64 v[3:4], v[3:4], v[25:26], v[52:53]
	v_fma_f64 v[29:30], v[29:30], v[25:26], -v[54:55]
	v_fma_f64 v[31:32], v[31:32], v[25:26], v[56:57]
	;; [unrolled: 2-line block ×3, first 2 shown]
	s_waitcnt vmcnt(3)
	v_add_f64 v[1:2], v[37:38], -v[1:2]
	s_waitcnt vmcnt(2)
	v_add_f64 v[3:4], v[48:49], -v[3:4]
	;; [unrolled: 2-line block ×4, first 2 shown]
	v_add_f64 v[33:34], v[43:44], -v[33:34]
	v_add_f64 v[35:36], v[45:46], -v[35:36]
	buffer_store_dword v2, v5, s[0:3], 0 offen offset:68
	buffer_store_dword v1, v5, s[0:3], 0 offen offset:64
	;; [unrolled: 1-line block ×12, first 2 shown]
	s_cbranch_scc1 .LBB123_80
.LBB123_81:
	s_or_b32 exec_lo, exec_lo, s5
	s_mov_b32 s6, exec_lo
	s_waitcnt lgkmcnt(0)
	s_waitcnt_vscnt null, 0x0
	s_barrier
	buffer_gl0_inv
	v_cmpx_eq_u32_e32 6, v0
	s_cbranch_execz .LBB123_90
; %bb.82:
	v_mov_b32_e32 v4, s69
	s_movk_i32 s5, 0x70
	s_clause 0x3
	buffer_load_dword v1, v4, s[0:3], 0 offen
	buffer_load_dword v2, v4, s[0:3], 0 offen offset:4
	buffer_load_dword v3, v4, s[0:3], 0 offen offset:8
	buffer_load_dword v4, v4, s[0:3], 0 offen offset:12
	s_waitcnt vmcnt(0)
	ds_write2_b64 v255, v[1:2], v[3:4] offset1:1
.LBB123_83:                             ; =>This Inner Loop Header: Depth=1
	v_mov_b32_e32 v5, s5
	s_clause 0x2b
	buffer_load_dword v1, v5, s[0:3], 0 offen
	buffer_load_dword v2, v5, s[0:3], 0 offen offset:4
	buffer_load_dword v3, v5, s[0:3], 0 offen offset:8
	buffer_load_dword v4, v5, s[0:3], 0 offen offset:12
	buffer_load_dword v25, v5, s[0:3], 0 offen offset:16
	buffer_load_dword v26, v5, s[0:3], 0 offen offset:20
	buffer_load_dword v27, v5, s[0:3], 0 offen offset:24
	buffer_load_dword v28, v5, s[0:3], 0 offen offset:28
	buffer_load_dword v29, v5, s[0:3], 0 offen offset:32
	buffer_load_dword v30, v5, s[0:3], 0 offen offset:36
	buffer_load_dword v31, v5, s[0:3], 0 offen offset:40
	buffer_load_dword v32, v5, s[0:3], 0 offen offset:44
	buffer_load_dword v33, v5, s[0:3], 0 offen offset:48
	buffer_load_dword v34, v5, s[0:3], 0 offen offset:52
	buffer_load_dword v35, v5, s[0:3], 0 offen offset:56
	buffer_load_dword v36, v5, s[0:3], 0 offen offset:60
	buffer_load_dword v38, v5, s[0:3], 0 offen offset:76
	buffer_load_dword v40, v5, s[0:3], 0 offen offset:92
	buffer_load_dword v39, v5, s[0:3], 0 offen offset:88
	buffer_load_dword v42, v5, s[0:3], 0 offen offset:84
	buffer_load_dword v41, v5, s[0:3], 0 offen offset:80
	buffer_load_dword v37, v5, s[0:3], 0 offen offset:72
	buffer_load_dword v44, v5, s[0:3], 0 offen offset:68
	buffer_load_dword v43, v5, s[0:3], 0 offen offset:64
	buffer_load_dword v46, v5, s[0:3], 0 offen offset:108
	buffer_load_dword v48, v5, s[0:3], 0 offen offset:124
	buffer_load_dword v47, v5, s[0:3], 0 offen offset:120
	buffer_load_dword v50, v5, s[0:3], 0 offen offset:116
	buffer_load_dword v49, v5, s[0:3], 0 offen offset:112
	buffer_load_dword v45, v5, s[0:3], 0 offen offset:104
	buffer_load_dword v52, v5, s[0:3], 0 offen offset:100
	buffer_load_dword v51, v5, s[0:3], 0 offen offset:96
	buffer_load_dword v53, v5, s[0:3], 0 offen offset:128
	buffer_load_dword v54, v5, s[0:3], 0 offen offset:132
	buffer_load_dword v55, v5, s[0:3], 0 offen offset:136
	buffer_load_dword v56, v5, s[0:3], 0 offen offset:140
	buffer_load_dword v57, v5, s[0:3], 0 offen offset:144
	buffer_load_dword v58, v5, s[0:3], 0 offen offset:148
	buffer_load_dword v59, v5, s[0:3], 0 offen offset:152
	buffer_load_dword v60, v5, s[0:3], 0 offen offset:156
	buffer_load_dword v61, v5, s[0:3], 0 offen offset:160
	buffer_load_dword v62, v5, s[0:3], 0 offen offset:164
	buffer_load_dword v63, v5, s[0:3], 0 offen offset:168
	buffer_load_dword v64, v5, s[0:3], 0 offen offset:172
	v_add_nc_u32_e32 v5, s5, v245
	s_addk_i32 s5, 0xb0
	s_waitcnt vmcnt(40)
	ds_write2_b64 v5, v[1:2], v[3:4] offset1:1
	s_waitcnt vmcnt(36)
	ds_write2_b64 v5, v[25:26], v[27:28] offset0:2 offset1:3
	s_waitcnt vmcnt(32)
	ds_write2_b64 v5, v[29:30], v[31:32] offset0:4 offset1:5
	;; [unrolled: 2-line block ×4, first 2 shown]
	ds_write2_b64 v5, v[41:42], v[39:40] offset0:10 offset1:11
	s_waitcnt vmcnt(12)
	ds_write2_b64 v5, v[51:52], v[45:46] offset0:12 offset1:13
	ds_write2_b64 v5, v[49:50], v[47:48] offset0:14 offset1:15
	s_waitcnt vmcnt(8)
	ds_write2_b64 v5, v[53:54], v[55:56] offset0:16 offset1:17
	s_waitcnt vmcnt(4)
	;; [unrolled: 2-line block ×3, first 2 shown]
	ds_write2_b64 v5, v[61:62], v[63:64] offset0:20 offset1:21
	s_cmpk_lg_i32 s5, 0x3e0
	s_cbranch_scc1 .LBB123_83
; %bb.84:
	ds_read2_b64 v[25:28], v255 offset1:1
	s_waitcnt lgkmcnt(0)
	v_cmp_neq_f64_e32 vcc_lo, 0, v[25:26]
	v_cmp_neq_f64_e64 s5, 0, v[27:28]
	s_or_b32 s5, vcc_lo, s5
	s_and_b32 exec_lo, exec_lo, s5
	s_cbranch_execz .LBB123_90
; %bb.85:
	v_cmp_ngt_f64_e64 s5, |v[25:26]|, |v[27:28]|
                                        ; implicit-def: $vgpr1_vgpr2
	s_and_saveexec_b32 s7, s5
	s_xor_b32 s5, exec_lo, s7
                                        ; implicit-def: $vgpr3_vgpr4
	s_cbranch_execz .LBB123_87
; %bb.86:
	v_div_scale_f64 v[1:2], null, v[27:28], v[27:28], v[25:26]
	v_div_scale_f64 v[31:32], vcc_lo, v[25:26], v[27:28], v[25:26]
	v_rcp_f64_e32 v[3:4], v[1:2]
	v_fma_f64 v[29:30], -v[1:2], v[3:4], 1.0
	v_fma_f64 v[3:4], v[3:4], v[29:30], v[3:4]
	v_fma_f64 v[29:30], -v[1:2], v[3:4], 1.0
	v_fma_f64 v[3:4], v[3:4], v[29:30], v[3:4]
	v_mul_f64 v[29:30], v[31:32], v[3:4]
	v_fma_f64 v[1:2], -v[1:2], v[29:30], v[31:32]
	v_div_fmas_f64 v[1:2], v[1:2], v[3:4], v[29:30]
	v_div_fixup_f64 v[1:2], v[1:2], v[27:28], v[25:26]
	v_fma_f64 v[3:4], v[25:26], v[1:2], v[27:28]
	v_div_scale_f64 v[25:26], null, v[3:4], v[3:4], 1.0
	v_rcp_f64_e32 v[27:28], v[25:26]
	v_fma_f64 v[29:30], -v[25:26], v[27:28], 1.0
	v_fma_f64 v[27:28], v[27:28], v[29:30], v[27:28]
	v_fma_f64 v[29:30], -v[25:26], v[27:28], 1.0
	v_fma_f64 v[27:28], v[27:28], v[29:30], v[27:28]
	v_div_scale_f64 v[29:30], vcc_lo, 1.0, v[3:4], 1.0
	v_mul_f64 v[31:32], v[29:30], v[27:28]
	v_fma_f64 v[25:26], -v[25:26], v[31:32], v[29:30]
	v_div_fmas_f64 v[25:26], v[25:26], v[27:28], v[31:32]
	v_div_fixup_f64 v[3:4], v[25:26], v[3:4], 1.0
                                        ; implicit-def: $vgpr25_vgpr26
	v_mul_f64 v[1:2], v[1:2], v[3:4]
	v_xor_b32_e32 v4, 0x80000000, v4
.LBB123_87:
	s_andn2_saveexec_b32 s5, s5
	s_cbranch_execz .LBB123_89
; %bb.88:
	v_div_scale_f64 v[1:2], null, v[25:26], v[25:26], v[27:28]
	v_div_scale_f64 v[31:32], vcc_lo, v[27:28], v[25:26], v[27:28]
	v_rcp_f64_e32 v[3:4], v[1:2]
	v_fma_f64 v[29:30], -v[1:2], v[3:4], 1.0
	v_fma_f64 v[3:4], v[3:4], v[29:30], v[3:4]
	v_fma_f64 v[29:30], -v[1:2], v[3:4], 1.0
	v_fma_f64 v[3:4], v[3:4], v[29:30], v[3:4]
	v_mul_f64 v[29:30], v[31:32], v[3:4]
	v_fma_f64 v[1:2], -v[1:2], v[29:30], v[31:32]
	v_div_fmas_f64 v[1:2], v[1:2], v[3:4], v[29:30]
	v_div_fixup_f64 v[3:4], v[1:2], v[25:26], v[27:28]
	v_fma_f64 v[1:2], v[27:28], v[3:4], v[25:26]
	v_div_scale_f64 v[25:26], null, v[1:2], v[1:2], 1.0
	v_rcp_f64_e32 v[27:28], v[25:26]
	v_fma_f64 v[29:30], -v[25:26], v[27:28], 1.0
	v_fma_f64 v[27:28], v[27:28], v[29:30], v[27:28]
	v_fma_f64 v[29:30], -v[25:26], v[27:28], 1.0
	v_fma_f64 v[27:28], v[27:28], v[29:30], v[27:28]
	v_div_scale_f64 v[29:30], vcc_lo, 1.0, v[1:2], 1.0
	v_mul_f64 v[31:32], v[29:30], v[27:28]
	v_fma_f64 v[25:26], -v[25:26], v[31:32], v[29:30]
	v_div_fmas_f64 v[25:26], v[25:26], v[27:28], v[31:32]
	v_div_fixup_f64 v[1:2], v[25:26], v[1:2], 1.0
	v_mul_f64 v[3:4], v[3:4], -v[1:2]
.LBB123_89:
	s_or_b32 exec_lo, exec_lo, s5
	ds_write2_b64 v255, v[1:2], v[3:4] offset1:1
.LBB123_90:
	s_or_b32 exec_lo, exec_lo, s6
	s_waitcnt lgkmcnt(0)
	s_barrier
	buffer_gl0_inv
	ds_read2_b64 v[25:28], v255 offset1:1
	s_mov_b32 s5, exec_lo
	v_cmpx_lt_u32_e32 6, v0
	s_cbranch_execz .LBB123_93
; %bb.91:
	s_clause 0x3
	buffer_load_dword v1, off, s[0:3], 0 offset:104
	buffer_load_dword v2, off, s[0:3], 0 offset:108
	;; [unrolled: 1-line block ×4, first 2 shown]
	s_movk_i32 s6, 0x70
	s_waitcnt vmcnt(2) lgkmcnt(0)
	v_mul_f64 v[29:30], v[27:28], v[1:2]
	v_mul_f64 v[1:2], v[25:26], v[1:2]
	s_waitcnt vmcnt(0)
	v_fma_f64 v[29:30], v[25:26], v[3:4], -v[29:30]
	v_fma_f64 v[1:2], v[27:28], v[3:4], v[1:2]
	buffer_store_dword v29, off, s[0:3], 0 offset:96
	buffer_store_dword v30, off, s[0:3], 0 offset:100
	;; [unrolled: 1-line block ×4, first 2 shown]
.LBB123_92:                             ; =>This Inner Loop Header: Depth=1
	s_clause 0x3
	buffer_load_dword v33, off, s[0:3], 0 offset:104
	buffer_load_dword v34, off, s[0:3], 0 offset:108
	;; [unrolled: 1-line block ×4, first 2 shown]
	v_mov_b32_e32 v5, s6
	v_add_nc_u32_e32 v6, s6, v245
	s_addk_i32 s6, 0x50
	s_clause 0x3
	buffer_load_dword v37, v5, s[0:3], 0 offen
	buffer_load_dword v38, v5, s[0:3], 0 offen offset:4
	buffer_load_dword v39, v5, s[0:3], 0 offen offset:8
	;; [unrolled: 1-line block ×3, first 2 shown]
	ds_read2_b64 v[1:4], v6 offset1:1
	ds_read2_b64 v[29:32], v6 offset0:2 offset1:3
	s_cmpk_lg_i32 s6, 0x3e0
	s_waitcnt vmcnt(6) lgkmcnt(1)
	v_mul_f64 v[41:42], v[3:4], v[33:34]
	v_mul_f64 v[33:34], v[1:2], v[33:34]
	s_waitcnt vmcnt(4)
	v_fma_f64 v[1:2], v[1:2], v[35:36], -v[41:42]
	v_fma_f64 v[3:4], v[3:4], v[35:36], v[33:34]
	s_clause 0x3
	buffer_load_dword v33, v5, s[0:3], 0 offen offset:16
	buffer_load_dword v34, v5, s[0:3], 0 offen offset:20
	;; [unrolled: 1-line block ×4, first 2 shown]
	s_waitcnt vmcnt(6)
	v_add_f64 v[1:2], v[37:38], -v[1:2]
	s_waitcnt vmcnt(4)
	v_add_f64 v[3:4], v[39:40], -v[3:4]
	buffer_store_dword v2, v5, s[0:3], 0 offen offset:4
	buffer_store_dword v1, v5, s[0:3], 0 offen
	buffer_store_dword v4, v5, s[0:3], 0 offen offset:12
	buffer_store_dword v3, v5, s[0:3], 0 offen offset:8
	s_clause 0x3
	buffer_load_dword v2, off, s[0:3], 0 offset:108
	buffer_load_dword v1, off, s[0:3], 0 offset:104
	;; [unrolled: 1-line block ×4, first 2 shown]
	s_waitcnt vmcnt(2) lgkmcnt(0)
	v_mul_f64 v[37:38], v[31:32], v[1:2]
	v_mul_f64 v[1:2], v[29:30], v[1:2]
	s_waitcnt vmcnt(0)
	v_fma_f64 v[29:30], v[29:30], v[3:4], -v[37:38]
	v_fma_f64 v[1:2], v[31:32], v[3:4], v[1:2]
	v_add_f64 v[3:4], v[33:34], -v[29:30]
	v_add_f64 v[1:2], v[35:36], -v[1:2]
	s_clause 0x3
	buffer_load_dword v33, v5, s[0:3], 0 offen offset:32
	buffer_load_dword v34, v5, s[0:3], 0 offen offset:36
	;; [unrolled: 1-line block ×4, first 2 shown]
	buffer_store_dword v4, v5, s[0:3], 0 offen offset:20
	buffer_store_dword v3, v5, s[0:3], 0 offen offset:16
	;; [unrolled: 1-line block ×4, first 2 shown]
	s_clause 0x3
	buffer_load_dword v37, off, s[0:3], 0 offset:104
	buffer_load_dword v38, off, s[0:3], 0 offset:108
	;; [unrolled: 1-line block ×4, first 2 shown]
	ds_read2_b64 v[1:4], v6 offset0:4 offset1:5
	ds_read2_b64 v[29:32], v6 offset0:6 offset1:7
	s_waitcnt vmcnt(2) lgkmcnt(1)
	v_mul_f64 v[41:42], v[3:4], v[37:38]
	v_mul_f64 v[37:38], v[1:2], v[37:38]
	s_waitcnt vmcnt(0)
	v_fma_f64 v[1:2], v[1:2], v[39:40], -v[41:42]
	v_fma_f64 v[3:4], v[3:4], v[39:40], v[37:38]
	v_add_f64 v[1:2], v[33:34], -v[1:2]
	v_add_f64 v[3:4], v[35:36], -v[3:4]
	buffer_store_dword v2, v5, s[0:3], 0 offen offset:36
	buffer_store_dword v1, v5, s[0:3], 0 offen offset:32
	;; [unrolled: 1-line block ×4, first 2 shown]
	s_clause 0x7
	buffer_load_dword v1, off, s[0:3], 0 offset:104
	buffer_load_dword v2, off, s[0:3], 0 offset:108
	;; [unrolled: 1-line block ×4, first 2 shown]
	buffer_load_dword v33, v5, s[0:3], 0 offen offset:48
	buffer_load_dword v34, v5, s[0:3], 0 offen offset:52
	;; [unrolled: 1-line block ×4, first 2 shown]
	s_waitcnt vmcnt(6) lgkmcnt(0)
	v_mul_f64 v[37:38], v[31:32], v[1:2]
	v_mul_f64 v[1:2], v[29:30], v[1:2]
	s_waitcnt vmcnt(4)
	v_fma_f64 v[29:30], v[29:30], v[3:4], -v[37:38]
	v_fma_f64 v[1:2], v[31:32], v[3:4], v[1:2]
	s_waitcnt vmcnt(2)
	v_add_f64 v[3:4], v[33:34], -v[29:30]
	s_waitcnt vmcnt(0)
	v_add_f64 v[1:2], v[35:36], -v[1:2]
	buffer_store_dword v4, v5, s[0:3], 0 offen offset:52
	buffer_store_dword v3, v5, s[0:3], 0 offen offset:48
	;; [unrolled: 1-line block ×4, first 2 shown]
	s_clause 0x7
	buffer_load_dword v29, off, s[0:3], 0 offset:104
	buffer_load_dword v30, off, s[0:3], 0 offset:108
	;; [unrolled: 1-line block ×4, first 2 shown]
	buffer_load_dword v33, v5, s[0:3], 0 offen offset:64
	buffer_load_dword v34, v5, s[0:3], 0 offen offset:68
	;; [unrolled: 1-line block ×4, first 2 shown]
	ds_read2_b64 v[1:4], v6 offset0:8 offset1:9
	s_waitcnt vmcnt(6) lgkmcnt(0)
	v_mul_f64 v[37:38], v[3:4], v[29:30]
	v_mul_f64 v[29:30], v[1:2], v[29:30]
	s_waitcnt vmcnt(4)
	v_fma_f64 v[1:2], v[1:2], v[31:32], -v[37:38]
	v_fma_f64 v[3:4], v[3:4], v[31:32], v[29:30]
	s_waitcnt vmcnt(2)
	v_add_f64 v[1:2], v[33:34], -v[1:2]
	s_waitcnt vmcnt(0)
	v_add_f64 v[3:4], v[35:36], -v[3:4]
	buffer_store_dword v2, v5, s[0:3], 0 offen offset:68
	buffer_store_dword v1, v5, s[0:3], 0 offen offset:64
	;; [unrolled: 1-line block ×4, first 2 shown]
	s_cbranch_scc1 .LBB123_92
.LBB123_93:
	s_or_b32 exec_lo, exec_lo, s5
	s_mov_b32 s6, exec_lo
	s_waitcnt lgkmcnt(0)
	s_waitcnt_vscnt null, 0x0
	s_barrier
	buffer_gl0_inv
	v_cmpx_eq_u32_e32 7, v0
	s_cbranch_execz .LBB123_102
; %bb.94:
	v_mov_b32_e32 v4, s68
	s_movk_i32 s5, 0x80
	s_clause 0x3
	buffer_load_dword v1, v4, s[0:3], 0 offen
	buffer_load_dword v2, v4, s[0:3], 0 offen offset:4
	buffer_load_dword v3, v4, s[0:3], 0 offen offset:8
	;; [unrolled: 1-line block ×3, first 2 shown]
	s_waitcnt vmcnt(0)
	ds_write2_b64 v255, v[1:2], v[3:4] offset1:1
.LBB123_95:                             ; =>This Inner Loop Header: Depth=1
	v_mov_b32_e32 v5, s5
	s_clause 0x3e
	buffer_load_dword v1, v5, s[0:3], 0 offen
	buffer_load_dword v2, v5, s[0:3], 0 offen offset:4
	buffer_load_dword v3, v5, s[0:3], 0 offen offset:8
	;; [unrolled: 1-line block ×62, first 2 shown]
	s_clause 0x8
	buffer_load_dword v88, v5, s[0:3], 0 offen offset:252
	buffer_load_dword v89, v5, s[0:3], 0 offen offset:256
	;; [unrolled: 1-line block ×9, first 2 shown]
	v_add_nc_u32_e32 v5, s5, v245
	s_addk_i32 s5, 0x120
	s_waitcnt vmcnt(62)
	ds_write2_b64 v5, v[1:2], v[3:4] offset1:1
	ds_write2_b64 v5, v[29:30], v[31:32] offset0:2 offset1:3
	s_waitcnt vmcnt(60)
	ds_write2_b64 v5, v[33:34], v[35:36] offset0:4 offset1:5
	s_waitcnt vmcnt(56)
	;; [unrolled: 2-line block ×3, first 2 shown]
	ds_write2_b64 v5, v[47:48], v[41:42] offset0:8 offset1:9
	ds_write2_b64 v5, v[45:46], v[43:44] offset0:10 offset1:11
	s_waitcnt vmcnt(40)
	ds_write2_b64 v5, v[55:56], v[49:50] offset0:12 offset1:13
	ds_write2_b64 v5, v[53:54], v[51:52] offset0:14 offset1:15
	s_waitcnt vmcnt(36)
	ds_write2_b64 v5, v[57:58], v[59:60] offset0:16 offset1:17
	s_waitcnt vmcnt(32)
	;; [unrolled: 2-line block ×10, first 2 shown]
	ds_write2_b64 v5, v[93:94], v[95:96] offset0:34 offset1:35
	s_cmpk_lg_i32 s5, 0x3e0
	s_cbranch_scc1 .LBB123_95
; %bb.96:
	ds_read2_b64 v[29:32], v255 offset1:1
	s_waitcnt lgkmcnt(0)
	v_cmp_neq_f64_e32 vcc_lo, 0, v[29:30]
	v_cmp_neq_f64_e64 s5, 0, v[31:32]
	s_or_b32 s5, vcc_lo, s5
	s_and_b32 exec_lo, exec_lo, s5
	s_cbranch_execz .LBB123_102
; %bb.97:
	v_cmp_ngt_f64_e64 s5, |v[29:30]|, |v[31:32]|
                                        ; implicit-def: $vgpr1_vgpr2
	s_and_saveexec_b32 s7, s5
	s_xor_b32 s5, exec_lo, s7
                                        ; implicit-def: $vgpr3_vgpr4
	s_cbranch_execz .LBB123_99
; %bb.98:
	v_div_scale_f64 v[1:2], null, v[31:32], v[31:32], v[29:30]
	v_div_scale_f64 v[35:36], vcc_lo, v[29:30], v[31:32], v[29:30]
	v_rcp_f64_e32 v[3:4], v[1:2]
	v_fma_f64 v[33:34], -v[1:2], v[3:4], 1.0
	v_fma_f64 v[3:4], v[3:4], v[33:34], v[3:4]
	v_fma_f64 v[33:34], -v[1:2], v[3:4], 1.0
	v_fma_f64 v[3:4], v[3:4], v[33:34], v[3:4]
	v_mul_f64 v[33:34], v[35:36], v[3:4]
	v_fma_f64 v[1:2], -v[1:2], v[33:34], v[35:36]
	v_div_fmas_f64 v[1:2], v[1:2], v[3:4], v[33:34]
	v_div_fixup_f64 v[1:2], v[1:2], v[31:32], v[29:30]
	v_fma_f64 v[3:4], v[29:30], v[1:2], v[31:32]
	v_div_scale_f64 v[29:30], null, v[3:4], v[3:4], 1.0
	v_rcp_f64_e32 v[31:32], v[29:30]
	v_fma_f64 v[33:34], -v[29:30], v[31:32], 1.0
	v_fma_f64 v[31:32], v[31:32], v[33:34], v[31:32]
	v_fma_f64 v[33:34], -v[29:30], v[31:32], 1.0
	v_fma_f64 v[31:32], v[31:32], v[33:34], v[31:32]
	v_div_scale_f64 v[33:34], vcc_lo, 1.0, v[3:4], 1.0
	v_mul_f64 v[35:36], v[33:34], v[31:32]
	v_fma_f64 v[29:30], -v[29:30], v[35:36], v[33:34]
	v_div_fmas_f64 v[29:30], v[29:30], v[31:32], v[35:36]
	v_div_fixup_f64 v[3:4], v[29:30], v[3:4], 1.0
                                        ; implicit-def: $vgpr29_vgpr30
	v_mul_f64 v[1:2], v[1:2], v[3:4]
	v_xor_b32_e32 v4, 0x80000000, v4
.LBB123_99:
	s_andn2_saveexec_b32 s5, s5
	s_cbranch_execz .LBB123_101
; %bb.100:
	v_div_scale_f64 v[1:2], null, v[29:30], v[29:30], v[31:32]
	v_div_scale_f64 v[35:36], vcc_lo, v[31:32], v[29:30], v[31:32]
	v_rcp_f64_e32 v[3:4], v[1:2]
	v_fma_f64 v[33:34], -v[1:2], v[3:4], 1.0
	v_fma_f64 v[3:4], v[3:4], v[33:34], v[3:4]
	v_fma_f64 v[33:34], -v[1:2], v[3:4], 1.0
	v_fma_f64 v[3:4], v[3:4], v[33:34], v[3:4]
	v_mul_f64 v[33:34], v[35:36], v[3:4]
	v_fma_f64 v[1:2], -v[1:2], v[33:34], v[35:36]
	v_div_fmas_f64 v[1:2], v[1:2], v[3:4], v[33:34]
	v_div_fixup_f64 v[3:4], v[1:2], v[29:30], v[31:32]
	v_fma_f64 v[1:2], v[31:32], v[3:4], v[29:30]
	v_div_scale_f64 v[29:30], null, v[1:2], v[1:2], 1.0
	v_rcp_f64_e32 v[31:32], v[29:30]
	v_fma_f64 v[33:34], -v[29:30], v[31:32], 1.0
	v_fma_f64 v[31:32], v[31:32], v[33:34], v[31:32]
	v_fma_f64 v[33:34], -v[29:30], v[31:32], 1.0
	v_fma_f64 v[31:32], v[31:32], v[33:34], v[31:32]
	v_div_scale_f64 v[33:34], vcc_lo, 1.0, v[1:2], 1.0
	v_mul_f64 v[35:36], v[33:34], v[31:32]
	v_fma_f64 v[29:30], -v[29:30], v[35:36], v[33:34]
	v_div_fmas_f64 v[29:30], v[29:30], v[31:32], v[35:36]
	v_div_fixup_f64 v[1:2], v[29:30], v[1:2], 1.0
	v_mul_f64 v[3:4], v[3:4], -v[1:2]
.LBB123_101:
	s_or_b32 exec_lo, exec_lo, s5
	ds_write2_b64 v255, v[1:2], v[3:4] offset1:1
.LBB123_102:
	s_or_b32 exec_lo, exec_lo, s6
	s_waitcnt lgkmcnt(0)
	s_barrier
	buffer_gl0_inv
	ds_read2_b64 v[29:32], v255 offset1:1
	s_mov_b32 s5, exec_lo
	v_cmpx_lt_u32_e32 7, v0
	s_cbranch_execz .LBB123_105
; %bb.103:
	s_clause 0x3
	buffer_load_dword v1, off, s[0:3], 0 offset:120
	buffer_load_dword v2, off, s[0:3], 0 offset:124
	;; [unrolled: 1-line block ×4, first 2 shown]
	s_movk_i32 s6, 0x80
	s_waitcnt vmcnt(2) lgkmcnt(0)
	v_mul_f64 v[33:34], v[31:32], v[1:2]
	v_mul_f64 v[1:2], v[29:30], v[1:2]
	s_waitcnt vmcnt(0)
	v_fma_f64 v[33:34], v[29:30], v[3:4], -v[33:34]
	v_fma_f64 v[1:2], v[31:32], v[3:4], v[1:2]
	buffer_store_dword v33, off, s[0:3], 0 offset:112
	buffer_store_dword v34, off, s[0:3], 0 offset:116
	;; [unrolled: 1-line block ×4, first 2 shown]
.LBB123_104:                            ; =>This Inner Loop Header: Depth=1
	s_clause 0x3
	buffer_load_dword v37, off, s[0:3], 0 offset:120
	buffer_load_dword v38, off, s[0:3], 0 offset:124
	;; [unrolled: 1-line block ×4, first 2 shown]
	v_mov_b32_e32 v5, s6
	v_add_nc_u32_e32 v6, s6, v245
	s_addk_i32 s6, 0x60
	s_clause 0x3
	buffer_load_dword v41, v5, s[0:3], 0 offen
	buffer_load_dword v42, v5, s[0:3], 0 offen offset:4
	buffer_load_dword v43, v5, s[0:3], 0 offen offset:8
	;; [unrolled: 1-line block ×3, first 2 shown]
	ds_read2_b64 v[1:4], v6 offset1:1
	s_clause 0x3
	buffer_load_dword v45, v5, s[0:3], 0 offen offset:16
	buffer_load_dword v46, v5, s[0:3], 0 offen offset:20
	;; [unrolled: 1-line block ×4, first 2 shown]
	ds_read2_b64 v[33:36], v6 offset0:2 offset1:3
	s_cmpk_lg_i32 s6, 0x3e0
	s_waitcnt vmcnt(10) lgkmcnt(1)
	v_mul_f64 v[49:50], v[3:4], v[37:38]
	v_mul_f64 v[37:38], v[1:2], v[37:38]
	s_waitcnt vmcnt(8)
	v_fma_f64 v[1:2], v[1:2], v[39:40], -v[49:50]
	v_fma_f64 v[3:4], v[3:4], v[39:40], v[37:38]
	s_waitcnt vmcnt(6)
	v_add_f64 v[1:2], v[41:42], -v[1:2]
	s_waitcnt vmcnt(4)
	v_add_f64 v[3:4], v[43:44], -v[3:4]
	buffer_store_dword v2, v5, s[0:3], 0 offen offset:4
	buffer_store_dword v1, v5, s[0:3], 0 offen
	buffer_store_dword v4, v5, s[0:3], 0 offen offset:12
	buffer_store_dword v3, v5, s[0:3], 0 offen offset:8
	s_clause 0x3
	buffer_load_dword v2, off, s[0:3], 0 offset:124
	buffer_load_dword v1, off, s[0:3], 0 offset:120
	;; [unrolled: 1-line block ×4, first 2 shown]
	s_waitcnt vmcnt(2) lgkmcnt(0)
	v_mul_f64 v[37:38], v[35:36], v[1:2]
	v_mul_f64 v[1:2], v[33:34], v[1:2]
	s_waitcnt vmcnt(0)
	v_fma_f64 v[33:34], v[33:34], v[3:4], -v[37:38]
	v_fma_f64 v[1:2], v[35:36], v[3:4], v[1:2]
	s_clause 0x3
	buffer_load_dword v37, v5, s[0:3], 0 offen offset:32
	buffer_load_dword v38, v5, s[0:3], 0 offen offset:36
	;; [unrolled: 1-line block ×4, first 2 shown]
	v_add_f64 v[3:4], v[45:46], -v[33:34]
	v_add_f64 v[1:2], v[47:48], -v[1:2]
	buffer_store_dword v4, v5, s[0:3], 0 offen offset:20
	buffer_store_dword v3, v5, s[0:3], 0 offen offset:16
	;; [unrolled: 1-line block ×4, first 2 shown]
	s_clause 0x3
	buffer_load_dword v41, off, s[0:3], 0 offset:120
	buffer_load_dword v42, off, s[0:3], 0 offset:124
	;; [unrolled: 1-line block ×4, first 2 shown]
	ds_read2_b64 v[1:4], v6 offset0:4 offset1:5
	ds_read2_b64 v[33:36], v6 offset0:6 offset1:7
	s_waitcnt vmcnt(2) lgkmcnt(1)
	v_mul_f64 v[45:46], v[3:4], v[41:42]
	v_mul_f64 v[41:42], v[1:2], v[41:42]
	s_waitcnt vmcnt(0)
	v_fma_f64 v[1:2], v[1:2], v[43:44], -v[45:46]
	v_fma_f64 v[3:4], v[3:4], v[43:44], v[41:42]
	v_add_f64 v[1:2], v[37:38], -v[1:2]
	v_add_f64 v[3:4], v[39:40], -v[3:4]
	buffer_store_dword v2, v5, s[0:3], 0 offen offset:36
	buffer_store_dword v1, v5, s[0:3], 0 offen offset:32
	;; [unrolled: 1-line block ×4, first 2 shown]
	s_clause 0x7
	buffer_load_dword v1, off, s[0:3], 0 offset:120
	buffer_load_dword v2, off, s[0:3], 0 offset:124
	;; [unrolled: 1-line block ×4, first 2 shown]
	buffer_load_dword v37, v5, s[0:3], 0 offen offset:48
	buffer_load_dword v38, v5, s[0:3], 0 offen offset:52
	;; [unrolled: 1-line block ×4, first 2 shown]
	s_waitcnt vmcnt(6) lgkmcnt(0)
	v_mul_f64 v[41:42], v[35:36], v[1:2]
	v_mul_f64 v[1:2], v[33:34], v[1:2]
	s_waitcnt vmcnt(4)
	v_fma_f64 v[33:34], v[33:34], v[3:4], -v[41:42]
	v_fma_f64 v[1:2], v[35:36], v[3:4], v[1:2]
	s_waitcnt vmcnt(2)
	v_add_f64 v[3:4], v[37:38], -v[33:34]
	s_waitcnt vmcnt(0)
	v_add_f64 v[1:2], v[39:40], -v[1:2]
	buffer_store_dword v4, v5, s[0:3], 0 offen offset:52
	buffer_store_dword v3, v5, s[0:3], 0 offen offset:48
	buffer_store_dword v2, v5, s[0:3], 0 offen offset:60
	buffer_store_dword v1, v5, s[0:3], 0 offen offset:56
	s_clause 0x7
	buffer_load_dword v37, off, s[0:3], 0 offset:120
	buffer_load_dword v38, off, s[0:3], 0 offset:124
	;; [unrolled: 1-line block ×4, first 2 shown]
	buffer_load_dword v41, v5, s[0:3], 0 offen offset:64
	buffer_load_dword v42, v5, s[0:3], 0 offen offset:68
	;; [unrolled: 1-line block ×4, first 2 shown]
	ds_read2_b64 v[1:4], v6 offset0:8 offset1:9
	ds_read2_b64 v[33:36], v6 offset0:10 offset1:11
	s_waitcnt vmcnt(6) lgkmcnt(1)
	v_mul_f64 v[45:46], v[3:4], v[37:38]
	v_mul_f64 v[37:38], v[1:2], v[37:38]
	s_waitcnt vmcnt(4)
	v_fma_f64 v[1:2], v[1:2], v[39:40], -v[45:46]
	v_fma_f64 v[3:4], v[3:4], v[39:40], v[37:38]
	s_waitcnt vmcnt(2)
	v_add_f64 v[1:2], v[41:42], -v[1:2]
	s_waitcnt vmcnt(0)
	v_add_f64 v[3:4], v[43:44], -v[3:4]
	buffer_store_dword v2, v5, s[0:3], 0 offen offset:68
	buffer_store_dword v1, v5, s[0:3], 0 offen offset:64
	buffer_store_dword v4, v5, s[0:3], 0 offen offset:76
	buffer_store_dword v3, v5, s[0:3], 0 offen offset:72
	s_clause 0x7
	buffer_load_dword v1, off, s[0:3], 0 offset:120
	buffer_load_dword v2, off, s[0:3], 0 offset:124
	;; [unrolled: 1-line block ×4, first 2 shown]
	buffer_load_dword v37, v5, s[0:3], 0 offen offset:80
	buffer_load_dword v38, v5, s[0:3], 0 offen offset:84
	buffer_load_dword v39, v5, s[0:3], 0 offen offset:88
	buffer_load_dword v40, v5, s[0:3], 0 offen offset:92
	s_waitcnt vmcnt(6) lgkmcnt(0)
	v_mul_f64 v[41:42], v[35:36], v[1:2]
	v_mul_f64 v[1:2], v[33:34], v[1:2]
	s_waitcnt vmcnt(4)
	v_fma_f64 v[33:34], v[33:34], v[3:4], -v[41:42]
	v_fma_f64 v[1:2], v[35:36], v[3:4], v[1:2]
	s_waitcnt vmcnt(2)
	v_add_f64 v[3:4], v[37:38], -v[33:34]
	s_waitcnt vmcnt(0)
	v_add_f64 v[1:2], v[39:40], -v[1:2]
	buffer_store_dword v4, v5, s[0:3], 0 offen offset:84
	buffer_store_dword v3, v5, s[0:3], 0 offen offset:80
	;; [unrolled: 1-line block ×4, first 2 shown]
	s_cbranch_scc1 .LBB123_104
.LBB123_105:
	s_or_b32 exec_lo, exec_lo, s5
	s_mov_b32 s6, exec_lo
	s_waitcnt lgkmcnt(0)
	s_waitcnt_vscnt null, 0x0
	s_barrier
	buffer_gl0_inv
	v_cmpx_eq_u32_e32 8, v0
	s_cbranch_execz .LBB123_116
; %bb.106:
	v_mov_b32_e32 v4, s67
	s_movk_i32 s5, 0x90
	s_clause 0x3
	buffer_load_dword v1, v4, s[0:3], 0 offen
	buffer_load_dword v2, v4, s[0:3], 0 offen offset:4
	buffer_load_dword v3, v4, s[0:3], 0 offen offset:8
	;; [unrolled: 1-line block ×3, first 2 shown]
	s_waitcnt vmcnt(0)
	ds_write2_b64 v255, v[1:2], v[3:4] offset1:1
	s_branch .LBB123_108
.LBB123_107:                            ;   in Loop: Header=BB123_108 Depth=1
	s_andn2_b32 vcc_lo, exec_lo, s8
	s_cbranch_vccz .LBB123_110
.LBB123_108:                            ; =>This Inner Loop Header: Depth=1
	v_mov_b32_e32 v1, s5
	s_mov_b32 s7, s5
	s_mov_b32 s8, -1
	s_cmpk_eq_i32 s5, 0x390
	s_clause 0x13
	buffer_load_dword v2, v1, s[0:3], 0 offen
	buffer_load_dword v3, v1, s[0:3], 0 offen offset:4
	buffer_load_dword v33, v1, s[0:3], 0 offen offset:8
	;; [unrolled: 1-line block ×19, first 2 shown]
	v_add_nc_u32_e32 v1, s5, v245
	s_waitcnt vmcnt(16)
	ds_write2_b64 v1, v[2:3], v[33:34] offset1:1
	s_waitcnt vmcnt(12)
	ds_write2_b64 v1, v[35:36], v[37:38] offset0:2 offset1:3
	s_waitcnt vmcnt(8)
	ds_write2_b64 v1, v[39:40], v[41:42] offset0:4 offset1:5
	s_waitcnt vmcnt(4)
	ds_write2_b64 v1, v[43:44], v[45:46] offset0:6 offset1:7
	s_waitcnt vmcnt(0)
	ds_write2_b64 v1, v[49:50], v[47:48] offset0:8 offset1:9
	s_cbranch_scc1 .LBB123_107
; %bb.109:                              ;   in Loop: Header=BB123_108 Depth=1
	v_mov_b32_e32 v4, s7
	s_addk_i32 s5, 0x80
	s_mov_b32 s8, 0
	s_clause 0xb
	buffer_load_dword v2, v4, s[0:3], 0 offen offset:80
	buffer_load_dword v3, v4, s[0:3], 0 offen offset:84
	buffer_load_dword v33, v4, s[0:3], 0 offen offset:88
	buffer_load_dword v34, v4, s[0:3], 0 offen offset:92
	buffer_load_dword v35, v4, s[0:3], 0 offen offset:96
	buffer_load_dword v36, v4, s[0:3], 0 offen offset:100
	buffer_load_dword v37, v4, s[0:3], 0 offen offset:104
	buffer_load_dword v38, v4, s[0:3], 0 offen offset:108
	buffer_load_dword v39, v4, s[0:3], 0 offen offset:112
	buffer_load_dword v40, v4, s[0:3], 0 offen offset:116
	buffer_load_dword v41, v4, s[0:3], 0 offen offset:120
	buffer_load_dword v42, v4, s[0:3], 0 offen offset:124
	s_waitcnt vmcnt(8)
	ds_write2_b64 v1, v[2:3], v[33:34] offset0:10 offset1:11
	s_waitcnt vmcnt(4)
	ds_write2_b64 v1, v[35:36], v[37:38] offset0:12 offset1:13
	;; [unrolled: 2-line block ×3, first 2 shown]
	s_branch .LBB123_107
.LBB123_110:
	ds_read2_b64 v[33:36], v255 offset1:1
	s_waitcnt lgkmcnt(0)
	v_cmp_neq_f64_e32 vcc_lo, 0, v[33:34]
	v_cmp_neq_f64_e64 s5, 0, v[35:36]
	s_or_b32 s5, vcc_lo, s5
	s_and_b32 exec_lo, exec_lo, s5
	s_cbranch_execz .LBB123_116
; %bb.111:
	v_cmp_ngt_f64_e64 s5, |v[33:34]|, |v[35:36]|
                                        ; implicit-def: $vgpr1_vgpr2
	s_and_saveexec_b32 s7, s5
	s_xor_b32 s5, exec_lo, s7
                                        ; implicit-def: $vgpr3_vgpr4
	s_cbranch_execz .LBB123_113
; %bb.112:
	v_div_scale_f64 v[1:2], null, v[35:36], v[35:36], v[33:34]
	v_div_scale_f64 v[39:40], vcc_lo, v[33:34], v[35:36], v[33:34]
	v_rcp_f64_e32 v[3:4], v[1:2]
	v_fma_f64 v[37:38], -v[1:2], v[3:4], 1.0
	v_fma_f64 v[3:4], v[3:4], v[37:38], v[3:4]
	v_fma_f64 v[37:38], -v[1:2], v[3:4], 1.0
	v_fma_f64 v[3:4], v[3:4], v[37:38], v[3:4]
	v_mul_f64 v[37:38], v[39:40], v[3:4]
	v_fma_f64 v[1:2], -v[1:2], v[37:38], v[39:40]
	v_div_fmas_f64 v[1:2], v[1:2], v[3:4], v[37:38]
	v_div_fixup_f64 v[1:2], v[1:2], v[35:36], v[33:34]
	v_fma_f64 v[3:4], v[33:34], v[1:2], v[35:36]
	v_div_scale_f64 v[33:34], null, v[3:4], v[3:4], 1.0
	v_rcp_f64_e32 v[35:36], v[33:34]
	v_fma_f64 v[37:38], -v[33:34], v[35:36], 1.0
	v_fma_f64 v[35:36], v[35:36], v[37:38], v[35:36]
	v_fma_f64 v[37:38], -v[33:34], v[35:36], 1.0
	v_fma_f64 v[35:36], v[35:36], v[37:38], v[35:36]
	v_div_scale_f64 v[37:38], vcc_lo, 1.0, v[3:4], 1.0
	v_mul_f64 v[39:40], v[37:38], v[35:36]
	v_fma_f64 v[33:34], -v[33:34], v[39:40], v[37:38]
	v_div_fmas_f64 v[33:34], v[33:34], v[35:36], v[39:40]
	v_div_fixup_f64 v[3:4], v[33:34], v[3:4], 1.0
                                        ; implicit-def: $vgpr33_vgpr34
	v_mul_f64 v[1:2], v[1:2], v[3:4]
	v_xor_b32_e32 v4, 0x80000000, v4
.LBB123_113:
	s_andn2_saveexec_b32 s5, s5
	s_cbranch_execz .LBB123_115
; %bb.114:
	v_div_scale_f64 v[1:2], null, v[33:34], v[33:34], v[35:36]
	v_div_scale_f64 v[39:40], vcc_lo, v[35:36], v[33:34], v[35:36]
	v_rcp_f64_e32 v[3:4], v[1:2]
	v_fma_f64 v[37:38], -v[1:2], v[3:4], 1.0
	v_fma_f64 v[3:4], v[3:4], v[37:38], v[3:4]
	v_fma_f64 v[37:38], -v[1:2], v[3:4], 1.0
	v_fma_f64 v[3:4], v[3:4], v[37:38], v[3:4]
	v_mul_f64 v[37:38], v[39:40], v[3:4]
	v_fma_f64 v[1:2], -v[1:2], v[37:38], v[39:40]
	v_div_fmas_f64 v[1:2], v[1:2], v[3:4], v[37:38]
	v_div_fixup_f64 v[3:4], v[1:2], v[33:34], v[35:36]
	v_fma_f64 v[1:2], v[35:36], v[3:4], v[33:34]
	v_div_scale_f64 v[33:34], null, v[1:2], v[1:2], 1.0
	v_rcp_f64_e32 v[35:36], v[33:34]
	v_fma_f64 v[37:38], -v[33:34], v[35:36], 1.0
	v_fma_f64 v[35:36], v[35:36], v[37:38], v[35:36]
	v_fma_f64 v[37:38], -v[33:34], v[35:36], 1.0
	v_fma_f64 v[35:36], v[35:36], v[37:38], v[35:36]
	v_div_scale_f64 v[37:38], vcc_lo, 1.0, v[1:2], 1.0
	v_mul_f64 v[39:40], v[37:38], v[35:36]
	v_fma_f64 v[33:34], -v[33:34], v[39:40], v[37:38]
	v_div_fmas_f64 v[33:34], v[33:34], v[35:36], v[39:40]
	v_div_fixup_f64 v[1:2], v[33:34], v[1:2], 1.0
	v_mul_f64 v[3:4], v[3:4], -v[1:2]
.LBB123_115:
	s_or_b32 exec_lo, exec_lo, s5
	ds_write2_b64 v255, v[1:2], v[3:4] offset1:1
.LBB123_116:
	s_or_b32 exec_lo, exec_lo, s6
	s_waitcnt lgkmcnt(0)
	s_barrier
	buffer_gl0_inv
	ds_read2_b64 v[33:36], v255 offset1:1
	s_mov_b32 s5, exec_lo
	v_cmpx_lt_u32_e32 8, v0
	s_cbranch_execz .LBB123_121
; %bb.117:
	s_clause 0x3
	buffer_load_dword v1, off, s[0:3], 0 offset:136
	buffer_load_dword v2, off, s[0:3], 0 offset:140
	;; [unrolled: 1-line block ×4, first 2 shown]
	s_movk_i32 s6, 0x90
	s_waitcnt vmcnt(2) lgkmcnt(0)
	v_mul_f64 v[37:38], v[35:36], v[1:2]
	v_mul_f64 v[1:2], v[33:34], v[1:2]
	s_waitcnt vmcnt(0)
	v_fma_f64 v[37:38], v[33:34], v[3:4], -v[37:38]
	v_fma_f64 v[39:40], v[35:36], v[3:4], v[1:2]
	buffer_store_dword v37, off, s[0:3], 0 offset:128
	buffer_store_dword v38, off, s[0:3], 0 offset:132
	;; [unrolled: 1-line block ×4, first 2 shown]
	s_branch .LBB123_119
.LBB123_118:                            ;   in Loop: Header=BB123_119 Depth=1
	s_andn2_b32 vcc_lo, exec_lo, s8
	s_cbranch_vccz .LBB123_121
.LBB123_119:                            ; =>This Inner Loop Header: Depth=1
	v_mov_b32_e32 v4, s6
	v_add_nc_u32_e32 v1, s6, v245
	s_mov_b32 s7, s6
	s_mov_b32 s8, -1
	s_cmpk_eq_i32 s6, 0x3d0
	s_clause 0x3
	buffer_load_dword v2, v4, s[0:3], 0 offen
	buffer_load_dword v3, v4, s[0:3], 0 offen offset:4
	buffer_load_dword v45, v4, s[0:3], 0 offen offset:8
	;; [unrolled: 1-line block ×3, first 2 shown]
	ds_read2_b64 v[41:44], v1 offset1:1
	s_waitcnt vmcnt(4) lgkmcnt(0)
	v_mul_f64 v[47:48], v[43:44], v[39:40]
	v_mul_f64 v[39:40], v[41:42], v[39:40]
	v_fma_f64 v[41:42], v[41:42], v[37:38], -v[47:48]
	v_fma_f64 v[37:38], v[43:44], v[37:38], v[39:40]
                                        ; implicit-def: $vgpr39_vgpr40
	s_waitcnt vmcnt(2)
	v_add_f64 v[2:3], v[2:3], -v[41:42]
	s_waitcnt vmcnt(0)
	v_add_f64 v[37:38], v[45:46], -v[37:38]
	buffer_store_dword v2, v4, s[0:3], 0 offen
	buffer_store_dword v3, v4, s[0:3], 0 offen offset:4
	buffer_store_dword v37, v4, s[0:3], 0 offen offset:8
	;; [unrolled: 1-line block ×3, first 2 shown]
                                        ; implicit-def: $vgpr37_vgpr38
	s_cbranch_scc1 .LBB123_118
; %bb.120:                              ;   in Loop: Header=BB123_119 Depth=1
	s_clause 0x3
	buffer_load_dword v2, off, s[0:3], 0 offset:136
	buffer_load_dword v3, off, s[0:3], 0 offset:140
	;; [unrolled: 1-line block ×4, first 2 shown]
	v_mov_b32_e32 v5, s7
	s_add_i32 s6, s6, 64
	s_mov_b32 s8, 0
	s_clause 0x3
	buffer_load_dword v47, v5, s[0:3], 0 offen offset:16
	buffer_load_dword v48, v5, s[0:3], 0 offen offset:20
	;; [unrolled: 1-line block ×4, first 2 shown]
	ds_read2_b64 v[37:40], v1 offset0:2 offset1:3
	ds_read2_b64 v[41:44], v1 offset0:4 offset1:5
	s_waitcnt vmcnt(6) lgkmcnt(1)
	v_mul_f64 v[51:52], v[39:40], v[2:3]
	v_mul_f64 v[2:3], v[37:38], v[2:3]
	s_waitcnt vmcnt(4)
	v_fma_f64 v[37:38], v[37:38], v[45:46], -v[51:52]
	v_fma_f64 v[2:3], v[39:40], v[45:46], v[2:3]
	s_waitcnt vmcnt(2)
	v_add_f64 v[37:38], v[47:48], -v[37:38]
	s_waitcnt vmcnt(0)
	v_add_f64 v[2:3], v[49:50], -v[2:3]
	buffer_store_dword v38, v5, s[0:3], 0 offen offset:20
	buffer_store_dword v37, v5, s[0:3], 0 offen offset:16
	;; [unrolled: 1-line block ×4, first 2 shown]
	s_clause 0x7
	buffer_load_dword v3, v5, s[0:3], 0 offen offset:36
	buffer_load_dword v37, v5, s[0:3], 0 offen offset:40
	;; [unrolled: 1-line block ×3, first 2 shown]
	buffer_load_dword v40, off, s[0:3], 0 offset:140
	buffer_load_dword v39, off, s[0:3], 0 offset:136
	;; [unrolled: 1-line block ×4, first 2 shown]
	buffer_load_dword v2, v5, s[0:3], 0 offen offset:32
	s_waitcnt vmcnt(3) lgkmcnt(0)
	v_mul_f64 v[47:48], v[43:44], v[39:40]
	v_mul_f64 v[39:40], v[41:42], v[39:40]
	s_waitcnt vmcnt(1)
	v_fma_f64 v[41:42], v[41:42], v[45:46], -v[47:48]
	v_fma_f64 v[39:40], v[43:44], v[45:46], v[39:40]
	s_waitcnt vmcnt(0)
	v_add_f64 v[2:3], v[2:3], -v[41:42]
	v_add_f64 v[37:38], v[37:38], -v[39:40]
	buffer_store_dword v3, v5, s[0:3], 0 offen offset:36
	buffer_store_dword v2, v5, s[0:3], 0 offen offset:32
	;; [unrolled: 1-line block ×4, first 2 shown]
	s_clause 0x7
	buffer_load_dword v38, v5, s[0:3], 0 offen offset:52
	buffer_load_dword v39, v5, s[0:3], 0 offen offset:56
	;; [unrolled: 1-line block ×3, first 2 shown]
	buffer_load_dword v41, off, s[0:3], 0 offset:136
	buffer_load_dword v42, off, s[0:3], 0 offset:140
	;; [unrolled: 1-line block ×4, first 2 shown]
	buffer_load_dword v37, v5, s[0:3], 0 offen offset:48
	ds_read2_b64 v[1:4], v1 offset0:6 offset1:7
	s_waitcnt vmcnt(3) lgkmcnt(0)
	v_mul_f64 v[45:46], v[3:4], v[41:42]
	v_mul_f64 v[41:42], v[1:2], v[41:42]
	s_waitcnt vmcnt(1)
	v_fma_f64 v[1:2], v[1:2], v[43:44], -v[45:46]
	v_fma_f64 v[3:4], v[3:4], v[43:44], v[41:42]
	s_waitcnt vmcnt(0)
	v_add_f64 v[1:2], v[37:38], -v[1:2]
	v_add_f64 v[3:4], v[39:40], -v[3:4]
	buffer_store_dword v2, v5, s[0:3], 0 offen offset:52
	buffer_store_dword v1, v5, s[0:3], 0 offen offset:48
	;; [unrolled: 1-line block ×4, first 2 shown]
	s_clause 0x3
	buffer_load_dword v37, off, s[0:3], 0 offset:128
	buffer_load_dword v38, off, s[0:3], 0 offset:132
	;; [unrolled: 1-line block ×4, first 2 shown]
	s_branch .LBB123_118
.LBB123_121:
	s_or_b32 exec_lo, exec_lo, s5
	s_mov_b32 s6, exec_lo
	s_waitcnt vmcnt(0) lgkmcnt(0)
	s_waitcnt_vscnt null, 0x0
	s_barrier
	buffer_gl0_inv
	v_cmpx_eq_u32_e32 9, v0
	s_cbranch_execz .LBB123_130
; %bb.122:
	v_mov_b32_e32 v4, s66
	s_movk_i32 s5, 0xa0
	s_clause 0x3
	buffer_load_dword v1, v4, s[0:3], 0 offen
	buffer_load_dword v2, v4, s[0:3], 0 offen offset:4
	buffer_load_dword v3, v4, s[0:3], 0 offen offset:8
	;; [unrolled: 1-line block ×3, first 2 shown]
	s_waitcnt vmcnt(0)
	ds_write2_b64 v255, v[1:2], v[3:4] offset1:1
.LBB123_123:                            ; =>This Inner Loop Header: Depth=1
	v_mov_b32_e32 v5, s5
	s_clause 0x33
	buffer_load_dword v1, v5, s[0:3], 0 offen
	buffer_load_dword v2, v5, s[0:3], 0 offen offset:4
	buffer_load_dword v3, v5, s[0:3], 0 offen offset:8
	;; [unrolled: 1-line block ×51, first 2 shown]
	v_add_nc_u32_e32 v5, s5, v245
	s_addk_i32 s5, 0xd0
	s_waitcnt vmcnt(48)
	ds_write2_b64 v5, v[1:2], v[3:4] offset1:1
	s_waitcnt vmcnt(44)
	ds_write2_b64 v5, v[37:38], v[39:40] offset0:2 offset1:3
	s_waitcnt vmcnt(40)
	ds_write2_b64 v5, v[41:42], v[43:44] offset0:4 offset1:5
	;; [unrolled: 2-line block ×4, first 2 shown]
	ds_write2_b64 v5, v[53:54], v[51:52] offset0:10 offset1:11
	s_waitcnt vmcnt(20)
	ds_write2_b64 v5, v[63:64], v[57:58] offset0:12 offset1:13
	ds_write2_b64 v5, v[61:62], v[59:60] offset0:14 offset1:15
	s_waitcnt vmcnt(16)
	ds_write2_b64 v5, v[65:66], v[67:68] offset0:16 offset1:17
	s_waitcnt vmcnt(12)
	;; [unrolled: 2-line block ×5, first 2 shown]
	ds_write2_b64 v5, v[81:82], v[83:84] offset0:24 offset1:25
	s_cmpk_lg_i32 s5, 0x3e0
	s_cbranch_scc1 .LBB123_123
; %bb.124:
	ds_read2_b64 v[37:40], v255 offset1:1
	s_waitcnt lgkmcnt(0)
	v_cmp_neq_f64_e32 vcc_lo, 0, v[37:38]
	v_cmp_neq_f64_e64 s5, 0, v[39:40]
	s_or_b32 s5, vcc_lo, s5
	s_and_b32 exec_lo, exec_lo, s5
	s_cbranch_execz .LBB123_130
; %bb.125:
	v_cmp_ngt_f64_e64 s5, |v[37:38]|, |v[39:40]|
                                        ; implicit-def: $vgpr1_vgpr2
	s_and_saveexec_b32 s7, s5
	s_xor_b32 s5, exec_lo, s7
                                        ; implicit-def: $vgpr3_vgpr4
	s_cbranch_execz .LBB123_127
; %bb.126:
	v_div_scale_f64 v[1:2], null, v[39:40], v[39:40], v[37:38]
	v_div_scale_f64 v[43:44], vcc_lo, v[37:38], v[39:40], v[37:38]
	v_rcp_f64_e32 v[3:4], v[1:2]
	v_fma_f64 v[41:42], -v[1:2], v[3:4], 1.0
	v_fma_f64 v[3:4], v[3:4], v[41:42], v[3:4]
	v_fma_f64 v[41:42], -v[1:2], v[3:4], 1.0
	v_fma_f64 v[3:4], v[3:4], v[41:42], v[3:4]
	v_mul_f64 v[41:42], v[43:44], v[3:4]
	v_fma_f64 v[1:2], -v[1:2], v[41:42], v[43:44]
	v_div_fmas_f64 v[1:2], v[1:2], v[3:4], v[41:42]
	v_div_fixup_f64 v[1:2], v[1:2], v[39:40], v[37:38]
	v_fma_f64 v[3:4], v[37:38], v[1:2], v[39:40]
	v_div_scale_f64 v[37:38], null, v[3:4], v[3:4], 1.0
	v_rcp_f64_e32 v[39:40], v[37:38]
	v_fma_f64 v[41:42], -v[37:38], v[39:40], 1.0
	v_fma_f64 v[39:40], v[39:40], v[41:42], v[39:40]
	v_fma_f64 v[41:42], -v[37:38], v[39:40], 1.0
	v_fma_f64 v[39:40], v[39:40], v[41:42], v[39:40]
	v_div_scale_f64 v[41:42], vcc_lo, 1.0, v[3:4], 1.0
	v_mul_f64 v[43:44], v[41:42], v[39:40]
	v_fma_f64 v[37:38], -v[37:38], v[43:44], v[41:42]
	v_div_fmas_f64 v[37:38], v[37:38], v[39:40], v[43:44]
	v_div_fixup_f64 v[3:4], v[37:38], v[3:4], 1.0
                                        ; implicit-def: $vgpr37_vgpr38
	v_mul_f64 v[1:2], v[1:2], v[3:4]
	v_xor_b32_e32 v4, 0x80000000, v4
.LBB123_127:
	s_andn2_saveexec_b32 s5, s5
	s_cbranch_execz .LBB123_129
; %bb.128:
	v_div_scale_f64 v[1:2], null, v[37:38], v[37:38], v[39:40]
	v_div_scale_f64 v[43:44], vcc_lo, v[39:40], v[37:38], v[39:40]
	v_rcp_f64_e32 v[3:4], v[1:2]
	v_fma_f64 v[41:42], -v[1:2], v[3:4], 1.0
	v_fma_f64 v[3:4], v[3:4], v[41:42], v[3:4]
	v_fma_f64 v[41:42], -v[1:2], v[3:4], 1.0
	v_fma_f64 v[3:4], v[3:4], v[41:42], v[3:4]
	v_mul_f64 v[41:42], v[43:44], v[3:4]
	v_fma_f64 v[1:2], -v[1:2], v[41:42], v[43:44]
	v_div_fmas_f64 v[1:2], v[1:2], v[3:4], v[41:42]
	v_div_fixup_f64 v[3:4], v[1:2], v[37:38], v[39:40]
	v_fma_f64 v[1:2], v[39:40], v[3:4], v[37:38]
	v_div_scale_f64 v[37:38], null, v[1:2], v[1:2], 1.0
	v_rcp_f64_e32 v[39:40], v[37:38]
	v_fma_f64 v[41:42], -v[37:38], v[39:40], 1.0
	v_fma_f64 v[39:40], v[39:40], v[41:42], v[39:40]
	v_fma_f64 v[41:42], -v[37:38], v[39:40], 1.0
	v_fma_f64 v[39:40], v[39:40], v[41:42], v[39:40]
	v_div_scale_f64 v[41:42], vcc_lo, 1.0, v[1:2], 1.0
	v_mul_f64 v[43:44], v[41:42], v[39:40]
	v_fma_f64 v[37:38], -v[37:38], v[43:44], v[41:42]
	v_div_fmas_f64 v[37:38], v[37:38], v[39:40], v[43:44]
	v_div_fixup_f64 v[1:2], v[37:38], v[1:2], 1.0
	v_mul_f64 v[3:4], v[3:4], -v[1:2]
.LBB123_129:
	s_or_b32 exec_lo, exec_lo, s5
	ds_write2_b64 v255, v[1:2], v[3:4] offset1:1
.LBB123_130:
	s_or_b32 exec_lo, exec_lo, s6
	s_waitcnt lgkmcnt(0)
	s_barrier
	buffer_gl0_inv
	ds_read2_b64 v[37:40], v255 offset1:1
	s_mov_b32 s5, exec_lo
	v_cmpx_lt_u32_e32 9, v0
	s_cbranch_execz .LBB123_133
; %bb.131:
	s_clause 0x3
	buffer_load_dword v1, off, s[0:3], 0 offset:152
	buffer_load_dword v2, off, s[0:3], 0 offset:156
	buffer_load_dword v3, off, s[0:3], 0 offset:144
	buffer_load_dword v4, off, s[0:3], 0 offset:148
	s_movk_i32 s6, 0xa0
	s_waitcnt vmcnt(2) lgkmcnt(0)
	v_mul_f64 v[41:42], v[39:40], v[1:2]
	v_mul_f64 v[1:2], v[37:38], v[1:2]
	s_waitcnt vmcnt(0)
	v_fma_f64 v[41:42], v[37:38], v[3:4], -v[41:42]
	v_fma_f64 v[1:2], v[39:40], v[3:4], v[1:2]
	buffer_store_dword v41, off, s[0:3], 0 offset:144
	buffer_store_dword v42, off, s[0:3], 0 offset:148
	;; [unrolled: 1-line block ×4, first 2 shown]
.LBB123_132:                            ; =>This Inner Loop Header: Depth=1
	s_clause 0x3
	buffer_load_dword v45, off, s[0:3], 0 offset:152
	buffer_load_dword v46, off, s[0:3], 0 offset:156
	;; [unrolled: 1-line block ×4, first 2 shown]
	v_mov_b32_e32 v5, s6
	v_add_nc_u32_e32 v6, s6, v245
	s_add_i32 s6, s6, 64
	s_clause 0x3
	buffer_load_dword v49, v5, s[0:3], 0 offen
	buffer_load_dword v50, v5, s[0:3], 0 offen offset:4
	buffer_load_dword v51, v5, s[0:3], 0 offen offset:8
	;; [unrolled: 1-line block ×3, first 2 shown]
	ds_read2_b64 v[1:4], v6 offset1:1
	ds_read2_b64 v[41:44], v6 offset0:2 offset1:3
	s_cmpk_lg_i32 s6, 0x3e0
	s_waitcnt vmcnt(6) lgkmcnt(1)
	v_mul_f64 v[53:54], v[3:4], v[45:46]
	v_mul_f64 v[45:46], v[1:2], v[45:46]
	s_waitcnt vmcnt(4)
	v_fma_f64 v[1:2], v[1:2], v[47:48], -v[53:54]
	v_fma_f64 v[3:4], v[3:4], v[47:48], v[45:46]
	s_clause 0x3
	buffer_load_dword v45, v5, s[0:3], 0 offen offset:16
	buffer_load_dword v46, v5, s[0:3], 0 offen offset:20
	;; [unrolled: 1-line block ×4, first 2 shown]
	s_waitcnt vmcnt(6)
	v_add_f64 v[1:2], v[49:50], -v[1:2]
	s_waitcnt vmcnt(4)
	v_add_f64 v[3:4], v[51:52], -v[3:4]
	buffer_store_dword v2, v5, s[0:3], 0 offen offset:4
	buffer_store_dword v1, v5, s[0:3], 0 offen
	buffer_store_dword v4, v5, s[0:3], 0 offen offset:12
	buffer_store_dword v3, v5, s[0:3], 0 offen offset:8
	s_clause 0x3
	buffer_load_dword v2, off, s[0:3], 0 offset:156
	buffer_load_dword v1, off, s[0:3], 0 offset:152
	;; [unrolled: 1-line block ×4, first 2 shown]
	s_waitcnt vmcnt(2) lgkmcnt(0)
	v_mul_f64 v[49:50], v[43:44], v[1:2]
	v_mul_f64 v[1:2], v[41:42], v[1:2]
	s_waitcnt vmcnt(0)
	v_fma_f64 v[41:42], v[41:42], v[3:4], -v[49:50]
	v_fma_f64 v[1:2], v[43:44], v[3:4], v[1:2]
	v_add_f64 v[3:4], v[45:46], -v[41:42]
	v_add_f64 v[1:2], v[47:48], -v[1:2]
	s_clause 0x3
	buffer_load_dword v45, v5, s[0:3], 0 offen offset:32
	buffer_load_dword v46, v5, s[0:3], 0 offen offset:36
	;; [unrolled: 1-line block ×4, first 2 shown]
	buffer_store_dword v4, v5, s[0:3], 0 offen offset:20
	buffer_store_dword v3, v5, s[0:3], 0 offen offset:16
	;; [unrolled: 1-line block ×4, first 2 shown]
	s_clause 0x3
	buffer_load_dword v49, off, s[0:3], 0 offset:152
	buffer_load_dword v50, off, s[0:3], 0 offset:156
	;; [unrolled: 1-line block ×4, first 2 shown]
	ds_read2_b64 v[1:4], v6 offset0:4 offset1:5
	ds_read2_b64 v[41:44], v6 offset0:6 offset1:7
	s_waitcnt vmcnt(2) lgkmcnt(1)
	v_mul_f64 v[53:54], v[3:4], v[49:50]
	v_mul_f64 v[49:50], v[1:2], v[49:50]
	s_waitcnt vmcnt(0)
	v_fma_f64 v[1:2], v[1:2], v[51:52], -v[53:54]
	v_fma_f64 v[3:4], v[3:4], v[51:52], v[49:50]
	v_add_f64 v[1:2], v[45:46], -v[1:2]
	v_add_f64 v[3:4], v[47:48], -v[3:4]
	buffer_store_dword v2, v5, s[0:3], 0 offen offset:36
	buffer_store_dword v1, v5, s[0:3], 0 offen offset:32
	;; [unrolled: 1-line block ×4, first 2 shown]
	s_clause 0x7
	buffer_load_dword v1, off, s[0:3], 0 offset:152
	buffer_load_dword v2, off, s[0:3], 0 offset:156
	;; [unrolled: 1-line block ×4, first 2 shown]
	buffer_load_dword v45, v5, s[0:3], 0 offen offset:48
	buffer_load_dword v46, v5, s[0:3], 0 offen offset:52
	;; [unrolled: 1-line block ×4, first 2 shown]
	s_waitcnt vmcnt(6) lgkmcnt(0)
	v_mul_f64 v[49:50], v[43:44], v[1:2]
	v_mul_f64 v[1:2], v[41:42], v[1:2]
	s_waitcnt vmcnt(4)
	v_fma_f64 v[41:42], v[41:42], v[3:4], -v[49:50]
	v_fma_f64 v[1:2], v[43:44], v[3:4], v[1:2]
	s_waitcnt vmcnt(2)
	v_add_f64 v[3:4], v[45:46], -v[41:42]
	s_waitcnt vmcnt(0)
	v_add_f64 v[1:2], v[47:48], -v[1:2]
	buffer_store_dword v4, v5, s[0:3], 0 offen offset:52
	buffer_store_dword v3, v5, s[0:3], 0 offen offset:48
	;; [unrolled: 1-line block ×4, first 2 shown]
	s_cbranch_scc1 .LBB123_132
.LBB123_133:
	s_or_b32 exec_lo, exec_lo, s5
	s_mov_b32 s6, exec_lo
	s_waitcnt lgkmcnt(0)
	s_waitcnt_vscnt null, 0x0
	s_barrier
	buffer_gl0_inv
	v_cmpx_eq_u32_e32 10, v0
	s_cbranch_execz .LBB123_142
; %bb.134:
	v_mov_b32_e32 v4, s65
	s_movk_i32 s5, 0xb0
	s_clause 0x3
	buffer_load_dword v1, v4, s[0:3], 0 offen
	buffer_load_dword v2, v4, s[0:3], 0 offen offset:4
	buffer_load_dword v3, v4, s[0:3], 0 offen offset:8
	;; [unrolled: 1-line block ×3, first 2 shown]
	s_waitcnt vmcnt(0)
	ds_write2_b64 v255, v[1:2], v[3:4] offset1:1
.LBB123_135:                            ; =>This Inner Loop Header: Depth=1
	v_mov_b32_e32 v5, s5
	s_clause 0x3e
	buffer_load_dword v1, v5, s[0:3], 0 offen
	buffer_load_dword v2, v5, s[0:3], 0 offen offset:4
	buffer_load_dword v3, v5, s[0:3], 0 offen offset:8
	;; [unrolled: 1-line block ×62, first 2 shown]
	s_clause 0x4
	buffer_load_dword v100, v5, s[0:3], 0 offen offset:252
	buffer_load_dword v101, v5, s[0:3], 0 offen offset:256
	;; [unrolled: 1-line block ×5, first 2 shown]
	v_add_nc_u32_e32 v5, s5, v245
	s_addk_i32 s5, 0x110
	s_waitcnt vmcnt(62)
	ds_write2_b64 v5, v[1:2], v[3:4] offset1:1
	s_waitcnt vmcnt(60)
	ds_write2_b64 v5, v[41:42], v[43:44] offset0:2 offset1:3
	s_waitcnt vmcnt(56)
	ds_write2_b64 v5, v[45:46], v[47:48] offset0:4 offset1:5
	;; [unrolled: 2-line block ×4, first 2 shown]
	ds_write2_b64 v5, v[57:58], v[55:56] offset0:10 offset1:11
	s_waitcnt vmcnt(36)
	ds_write2_b64 v5, v[67:68], v[61:62] offset0:12 offset1:13
	ds_write2_b64 v5, v[65:66], v[63:64] offset0:14 offset1:15
	s_waitcnt vmcnt(32)
	ds_write2_b64 v5, v[69:70], v[71:72] offset0:16 offset1:17
	s_waitcnt vmcnt(28)
	;; [unrolled: 2-line block ×9, first 2 shown]
	ds_write2_b64 v5, v[101:102], v[103:104] offset0:32 offset1:33
	s_cmpk_lg_i32 s5, 0x3e0
	s_cbranch_scc1 .LBB123_135
; %bb.136:
	ds_read2_b64 v[41:44], v255 offset1:1
	s_waitcnt lgkmcnt(0)
	v_cmp_neq_f64_e32 vcc_lo, 0, v[41:42]
	v_cmp_neq_f64_e64 s5, 0, v[43:44]
	s_or_b32 s5, vcc_lo, s5
	s_and_b32 exec_lo, exec_lo, s5
	s_cbranch_execz .LBB123_142
; %bb.137:
	v_cmp_ngt_f64_e64 s5, |v[41:42]|, |v[43:44]|
                                        ; implicit-def: $vgpr1_vgpr2
	s_and_saveexec_b32 s7, s5
	s_xor_b32 s5, exec_lo, s7
                                        ; implicit-def: $vgpr3_vgpr4
	s_cbranch_execz .LBB123_139
; %bb.138:
	v_div_scale_f64 v[1:2], null, v[43:44], v[43:44], v[41:42]
	v_div_scale_f64 v[47:48], vcc_lo, v[41:42], v[43:44], v[41:42]
	v_rcp_f64_e32 v[3:4], v[1:2]
	v_fma_f64 v[45:46], -v[1:2], v[3:4], 1.0
	v_fma_f64 v[3:4], v[3:4], v[45:46], v[3:4]
	v_fma_f64 v[45:46], -v[1:2], v[3:4], 1.0
	v_fma_f64 v[3:4], v[3:4], v[45:46], v[3:4]
	v_mul_f64 v[45:46], v[47:48], v[3:4]
	v_fma_f64 v[1:2], -v[1:2], v[45:46], v[47:48]
	v_div_fmas_f64 v[1:2], v[1:2], v[3:4], v[45:46]
	v_div_fixup_f64 v[1:2], v[1:2], v[43:44], v[41:42]
	v_fma_f64 v[3:4], v[41:42], v[1:2], v[43:44]
	v_div_scale_f64 v[41:42], null, v[3:4], v[3:4], 1.0
	v_rcp_f64_e32 v[43:44], v[41:42]
	v_fma_f64 v[45:46], -v[41:42], v[43:44], 1.0
	v_fma_f64 v[43:44], v[43:44], v[45:46], v[43:44]
	v_fma_f64 v[45:46], -v[41:42], v[43:44], 1.0
	v_fma_f64 v[43:44], v[43:44], v[45:46], v[43:44]
	v_div_scale_f64 v[45:46], vcc_lo, 1.0, v[3:4], 1.0
	v_mul_f64 v[47:48], v[45:46], v[43:44]
	v_fma_f64 v[41:42], -v[41:42], v[47:48], v[45:46]
	v_div_fmas_f64 v[41:42], v[41:42], v[43:44], v[47:48]
	v_div_fixup_f64 v[3:4], v[41:42], v[3:4], 1.0
                                        ; implicit-def: $vgpr41_vgpr42
	v_mul_f64 v[1:2], v[1:2], v[3:4]
	v_xor_b32_e32 v4, 0x80000000, v4
.LBB123_139:
	s_andn2_saveexec_b32 s5, s5
	s_cbranch_execz .LBB123_141
; %bb.140:
	v_div_scale_f64 v[1:2], null, v[41:42], v[41:42], v[43:44]
	v_div_scale_f64 v[47:48], vcc_lo, v[43:44], v[41:42], v[43:44]
	v_rcp_f64_e32 v[3:4], v[1:2]
	v_fma_f64 v[45:46], -v[1:2], v[3:4], 1.0
	v_fma_f64 v[3:4], v[3:4], v[45:46], v[3:4]
	v_fma_f64 v[45:46], -v[1:2], v[3:4], 1.0
	v_fma_f64 v[3:4], v[3:4], v[45:46], v[3:4]
	v_mul_f64 v[45:46], v[47:48], v[3:4]
	v_fma_f64 v[1:2], -v[1:2], v[45:46], v[47:48]
	v_div_fmas_f64 v[1:2], v[1:2], v[3:4], v[45:46]
	v_div_fixup_f64 v[3:4], v[1:2], v[41:42], v[43:44]
	v_fma_f64 v[1:2], v[43:44], v[3:4], v[41:42]
	v_div_scale_f64 v[41:42], null, v[1:2], v[1:2], 1.0
	v_rcp_f64_e32 v[43:44], v[41:42]
	v_fma_f64 v[45:46], -v[41:42], v[43:44], 1.0
	v_fma_f64 v[43:44], v[43:44], v[45:46], v[43:44]
	v_fma_f64 v[45:46], -v[41:42], v[43:44], 1.0
	v_fma_f64 v[43:44], v[43:44], v[45:46], v[43:44]
	v_div_scale_f64 v[45:46], vcc_lo, 1.0, v[1:2], 1.0
	v_mul_f64 v[47:48], v[45:46], v[43:44]
	v_fma_f64 v[41:42], -v[41:42], v[47:48], v[45:46]
	v_div_fmas_f64 v[41:42], v[41:42], v[43:44], v[47:48]
	v_div_fixup_f64 v[1:2], v[41:42], v[1:2], 1.0
	v_mul_f64 v[3:4], v[3:4], -v[1:2]
.LBB123_141:
	s_or_b32 exec_lo, exec_lo, s5
	ds_write2_b64 v255, v[1:2], v[3:4] offset1:1
.LBB123_142:
	s_or_b32 exec_lo, exec_lo, s6
	s_waitcnt lgkmcnt(0)
	s_barrier
	buffer_gl0_inv
	ds_read2_b64 v[41:44], v255 offset1:1
	s_mov_b32 s5, exec_lo
	v_cmpx_lt_u32_e32 10, v0
	s_cbranch_execz .LBB123_145
; %bb.143:
	s_clause 0x3
	buffer_load_dword v1, off, s[0:3], 0 offset:168
	buffer_load_dword v2, off, s[0:3], 0 offset:172
	;; [unrolled: 1-line block ×4, first 2 shown]
	s_movk_i32 s6, 0xb0
	s_waitcnt vmcnt(2) lgkmcnt(0)
	v_mul_f64 v[45:46], v[43:44], v[1:2]
	v_mul_f64 v[1:2], v[41:42], v[1:2]
	s_waitcnt vmcnt(0)
	v_fma_f64 v[45:46], v[41:42], v[3:4], -v[45:46]
	v_fma_f64 v[1:2], v[43:44], v[3:4], v[1:2]
	buffer_store_dword v45, off, s[0:3], 0 offset:160
	buffer_store_dword v46, off, s[0:3], 0 offset:164
	;; [unrolled: 1-line block ×4, first 2 shown]
.LBB123_144:                            ; =>This Inner Loop Header: Depth=1
	s_clause 0x3
	buffer_load_dword v49, off, s[0:3], 0 offset:168
	buffer_load_dword v50, off, s[0:3], 0 offset:172
	buffer_load_dword v51, off, s[0:3], 0 offset:160
	buffer_load_dword v52, off, s[0:3], 0 offset:164
	v_mov_b32_e32 v5, s6
	v_add_nc_u32_e32 v6, s6, v245
	s_add_i32 s6, s6, 48
	s_clause 0x3
	buffer_load_dword v53, v5, s[0:3], 0 offen
	buffer_load_dword v54, v5, s[0:3], 0 offen offset:4
	buffer_load_dword v55, v5, s[0:3], 0 offen offset:8
	;; [unrolled: 1-line block ×3, first 2 shown]
	ds_read2_b64 v[1:4], v6 offset1:1
	ds_read2_b64 v[45:48], v6 offset0:2 offset1:3
	s_cmpk_lg_i32 s6, 0x3e0
	s_waitcnt vmcnt(6) lgkmcnt(1)
	v_mul_f64 v[57:58], v[3:4], v[49:50]
	v_mul_f64 v[49:50], v[1:2], v[49:50]
	s_waitcnt vmcnt(4)
	v_fma_f64 v[1:2], v[1:2], v[51:52], -v[57:58]
	v_fma_f64 v[3:4], v[3:4], v[51:52], v[49:50]
	s_clause 0x3
	buffer_load_dword v49, v5, s[0:3], 0 offen offset:16
	buffer_load_dword v50, v5, s[0:3], 0 offen offset:20
	;; [unrolled: 1-line block ×4, first 2 shown]
	s_waitcnt vmcnt(6)
	v_add_f64 v[1:2], v[53:54], -v[1:2]
	s_waitcnt vmcnt(4)
	v_add_f64 v[3:4], v[55:56], -v[3:4]
	buffer_store_dword v2, v5, s[0:3], 0 offen offset:4
	buffer_store_dword v1, v5, s[0:3], 0 offen
	buffer_store_dword v4, v5, s[0:3], 0 offen offset:12
	buffer_store_dword v3, v5, s[0:3], 0 offen offset:8
	s_clause 0x3
	buffer_load_dword v2, off, s[0:3], 0 offset:172
	buffer_load_dword v1, off, s[0:3], 0 offset:168
	buffer_load_dword v4, off, s[0:3], 0 offset:164
	buffer_load_dword v3, off, s[0:3], 0 offset:160
	s_waitcnt vmcnt(2) lgkmcnt(0)
	v_mul_f64 v[53:54], v[47:48], v[1:2]
	v_mul_f64 v[1:2], v[45:46], v[1:2]
	s_waitcnt vmcnt(0)
	v_fma_f64 v[45:46], v[45:46], v[3:4], -v[53:54]
	v_fma_f64 v[1:2], v[47:48], v[3:4], v[1:2]
	v_add_f64 v[3:4], v[49:50], -v[45:46]
	v_add_f64 v[1:2], v[51:52], -v[1:2]
	s_clause 0x3
	buffer_load_dword v45, v5, s[0:3], 0 offen offset:32
	buffer_load_dword v46, v5, s[0:3], 0 offen offset:36
	;; [unrolled: 1-line block ×4, first 2 shown]
	buffer_store_dword v4, v5, s[0:3], 0 offen offset:20
	buffer_store_dword v3, v5, s[0:3], 0 offen offset:16
	;; [unrolled: 1-line block ×4, first 2 shown]
	s_clause 0x3
	buffer_load_dword v49, off, s[0:3], 0 offset:168
	buffer_load_dword v50, off, s[0:3], 0 offset:172
	;; [unrolled: 1-line block ×4, first 2 shown]
	ds_read2_b64 v[1:4], v6 offset0:4 offset1:5
	s_waitcnt vmcnt(2) lgkmcnt(0)
	v_mul_f64 v[53:54], v[3:4], v[49:50]
	v_mul_f64 v[49:50], v[1:2], v[49:50]
	s_waitcnt vmcnt(0)
	v_fma_f64 v[1:2], v[1:2], v[51:52], -v[53:54]
	v_fma_f64 v[3:4], v[3:4], v[51:52], v[49:50]
	v_add_f64 v[1:2], v[45:46], -v[1:2]
	v_add_f64 v[3:4], v[47:48], -v[3:4]
	buffer_store_dword v2, v5, s[0:3], 0 offen offset:36
	buffer_store_dword v1, v5, s[0:3], 0 offen offset:32
	;; [unrolled: 1-line block ×4, first 2 shown]
	s_cbranch_scc1 .LBB123_144
.LBB123_145:
	s_or_b32 exec_lo, exec_lo, s5
	s_mov_b32 s6, exec_lo
	s_waitcnt lgkmcnt(0)
	s_waitcnt_vscnt null, 0x0
	s_barrier
	buffer_gl0_inv
	v_cmpx_eq_u32_e32 11, v0
	s_cbranch_execz .LBB123_154
; %bb.146:
	v_mov_b32_e32 v4, s64
	s_movk_i32 s5, 0xc0
	s_clause 0x3
	buffer_load_dword v1, v4, s[0:3], 0 offen
	buffer_load_dword v2, v4, s[0:3], 0 offen offset:4
	buffer_load_dword v3, v4, s[0:3], 0 offen offset:8
	;; [unrolled: 1-line block ×3, first 2 shown]
	s_waitcnt vmcnt(0)
	ds_write2_b64 v255, v[1:2], v[3:4] offset1:1
.LBB123_147:                            ; =>This Inner Loop Header: Depth=1
	v_mov_b32_e32 v5, s5
	s_clause 0x27
	buffer_load_dword v1, v5, s[0:3], 0 offen
	buffer_load_dword v2, v5, s[0:3], 0 offen offset:4
	buffer_load_dword v3, v5, s[0:3], 0 offen offset:8
	;; [unrolled: 1-line block ×39, first 2 shown]
	v_add_nc_u32_e32 v5, s5, v245
	s_addk_i32 s5, 0xa0
	s_waitcnt vmcnt(36)
	ds_write2_b64 v5, v[1:2], v[3:4] offset1:1
	s_waitcnt vmcnt(32)
	ds_write2_b64 v5, v[45:46], v[47:48] offset0:2 offset1:3
	s_waitcnt vmcnt(28)
	ds_write2_b64 v5, v[49:50], v[51:52] offset0:4 offset1:5
	;; [unrolled: 2-line block ×4, first 2 shown]
	ds_write2_b64 v5, v[61:62], v[59:60] offset0:10 offset1:11
	s_waitcnt vmcnt(8)
	ds_write2_b64 v5, v[71:72], v[65:66] offset0:12 offset1:13
	ds_write2_b64 v5, v[69:70], v[67:68] offset0:14 offset1:15
	s_waitcnt vmcnt(4)
	ds_write2_b64 v5, v[73:74], v[75:76] offset0:16 offset1:17
	s_waitcnt vmcnt(0)
	ds_write2_b64 v5, v[77:78], v[79:80] offset0:18 offset1:19
	s_cmpk_lg_i32 s5, 0x3e0
	s_cbranch_scc1 .LBB123_147
; %bb.148:
	ds_read2_b64 v[45:48], v255 offset1:1
	s_waitcnt lgkmcnt(0)
	v_cmp_neq_f64_e32 vcc_lo, 0, v[45:46]
	v_cmp_neq_f64_e64 s5, 0, v[47:48]
	s_or_b32 s5, vcc_lo, s5
	s_and_b32 exec_lo, exec_lo, s5
	s_cbranch_execz .LBB123_154
; %bb.149:
	v_cmp_ngt_f64_e64 s5, |v[45:46]|, |v[47:48]|
                                        ; implicit-def: $vgpr1_vgpr2
	s_and_saveexec_b32 s7, s5
	s_xor_b32 s5, exec_lo, s7
                                        ; implicit-def: $vgpr3_vgpr4
	s_cbranch_execz .LBB123_151
; %bb.150:
	v_div_scale_f64 v[1:2], null, v[47:48], v[47:48], v[45:46]
	v_div_scale_f64 v[51:52], vcc_lo, v[45:46], v[47:48], v[45:46]
	v_rcp_f64_e32 v[3:4], v[1:2]
	v_fma_f64 v[49:50], -v[1:2], v[3:4], 1.0
	v_fma_f64 v[3:4], v[3:4], v[49:50], v[3:4]
	v_fma_f64 v[49:50], -v[1:2], v[3:4], 1.0
	v_fma_f64 v[3:4], v[3:4], v[49:50], v[3:4]
	v_mul_f64 v[49:50], v[51:52], v[3:4]
	v_fma_f64 v[1:2], -v[1:2], v[49:50], v[51:52]
	v_div_fmas_f64 v[1:2], v[1:2], v[3:4], v[49:50]
	v_div_fixup_f64 v[1:2], v[1:2], v[47:48], v[45:46]
	v_fma_f64 v[3:4], v[45:46], v[1:2], v[47:48]
	v_div_scale_f64 v[45:46], null, v[3:4], v[3:4], 1.0
	v_rcp_f64_e32 v[47:48], v[45:46]
	v_fma_f64 v[49:50], -v[45:46], v[47:48], 1.0
	v_fma_f64 v[47:48], v[47:48], v[49:50], v[47:48]
	v_fma_f64 v[49:50], -v[45:46], v[47:48], 1.0
	v_fma_f64 v[47:48], v[47:48], v[49:50], v[47:48]
	v_div_scale_f64 v[49:50], vcc_lo, 1.0, v[3:4], 1.0
	v_mul_f64 v[51:52], v[49:50], v[47:48]
	v_fma_f64 v[45:46], -v[45:46], v[51:52], v[49:50]
	v_div_fmas_f64 v[45:46], v[45:46], v[47:48], v[51:52]
	v_div_fixup_f64 v[3:4], v[45:46], v[3:4], 1.0
                                        ; implicit-def: $vgpr45_vgpr46
	v_mul_f64 v[1:2], v[1:2], v[3:4]
	v_xor_b32_e32 v4, 0x80000000, v4
.LBB123_151:
	s_andn2_saveexec_b32 s5, s5
	s_cbranch_execz .LBB123_153
; %bb.152:
	v_div_scale_f64 v[1:2], null, v[45:46], v[45:46], v[47:48]
	v_div_scale_f64 v[51:52], vcc_lo, v[47:48], v[45:46], v[47:48]
	v_rcp_f64_e32 v[3:4], v[1:2]
	v_fma_f64 v[49:50], -v[1:2], v[3:4], 1.0
	v_fma_f64 v[3:4], v[3:4], v[49:50], v[3:4]
	v_fma_f64 v[49:50], -v[1:2], v[3:4], 1.0
	v_fma_f64 v[3:4], v[3:4], v[49:50], v[3:4]
	v_mul_f64 v[49:50], v[51:52], v[3:4]
	v_fma_f64 v[1:2], -v[1:2], v[49:50], v[51:52]
	v_div_fmas_f64 v[1:2], v[1:2], v[3:4], v[49:50]
	v_div_fixup_f64 v[3:4], v[1:2], v[45:46], v[47:48]
	v_fma_f64 v[1:2], v[47:48], v[3:4], v[45:46]
	v_div_scale_f64 v[45:46], null, v[1:2], v[1:2], 1.0
	v_rcp_f64_e32 v[47:48], v[45:46]
	v_fma_f64 v[49:50], -v[45:46], v[47:48], 1.0
	v_fma_f64 v[47:48], v[47:48], v[49:50], v[47:48]
	v_fma_f64 v[49:50], -v[45:46], v[47:48], 1.0
	v_fma_f64 v[47:48], v[47:48], v[49:50], v[47:48]
	v_div_scale_f64 v[49:50], vcc_lo, 1.0, v[1:2], 1.0
	v_mul_f64 v[51:52], v[49:50], v[47:48]
	v_fma_f64 v[45:46], -v[45:46], v[51:52], v[49:50]
	v_div_fmas_f64 v[45:46], v[45:46], v[47:48], v[51:52]
	v_div_fixup_f64 v[1:2], v[45:46], v[1:2], 1.0
	v_mul_f64 v[3:4], v[3:4], -v[1:2]
.LBB123_153:
	s_or_b32 exec_lo, exec_lo, s5
	ds_write2_b64 v255, v[1:2], v[3:4] offset1:1
.LBB123_154:
	s_or_b32 exec_lo, exec_lo, s6
	s_waitcnt lgkmcnt(0)
	s_barrier
	buffer_gl0_inv
	ds_read2_b64 v[45:48], v255 offset1:1
	s_mov_b32 s5, exec_lo
	v_cmpx_lt_u32_e32 11, v0
	s_cbranch_execz .LBB123_157
; %bb.155:
	s_clause 0x3
	buffer_load_dword v1, off, s[0:3], 0 offset:184
	buffer_load_dword v2, off, s[0:3], 0 offset:188
	;; [unrolled: 1-line block ×4, first 2 shown]
	s_movk_i32 s6, 0xc0
	s_waitcnt vmcnt(2) lgkmcnt(0)
	v_mul_f64 v[49:50], v[47:48], v[1:2]
	v_mul_f64 v[1:2], v[45:46], v[1:2]
	s_waitcnt vmcnt(0)
	v_fma_f64 v[49:50], v[45:46], v[3:4], -v[49:50]
	v_fma_f64 v[1:2], v[47:48], v[3:4], v[1:2]
	buffer_store_dword v49, off, s[0:3], 0 offset:176
	buffer_store_dword v50, off, s[0:3], 0 offset:180
	;; [unrolled: 1-line block ×4, first 2 shown]
.LBB123_156:                            ; =>This Inner Loop Header: Depth=1
	s_clause 0x3
	buffer_load_dword v53, off, s[0:3], 0 offset:184
	buffer_load_dword v54, off, s[0:3], 0 offset:188
	;; [unrolled: 1-line block ×4, first 2 shown]
	v_mov_b32_e32 v5, s6
	v_add_nc_u32_e32 v6, s6, v245
	s_addk_i32 s6, 0x50
	s_clause 0x3
	buffer_load_dword v57, v5, s[0:3], 0 offen
	buffer_load_dword v58, v5, s[0:3], 0 offen offset:4
	buffer_load_dword v59, v5, s[0:3], 0 offen offset:8
	;; [unrolled: 1-line block ×3, first 2 shown]
	ds_read2_b64 v[1:4], v6 offset1:1
	ds_read2_b64 v[49:52], v6 offset0:2 offset1:3
	s_cmpk_lg_i32 s6, 0x3e0
	s_waitcnt vmcnt(6) lgkmcnt(1)
	v_mul_f64 v[61:62], v[3:4], v[53:54]
	v_mul_f64 v[53:54], v[1:2], v[53:54]
	s_waitcnt vmcnt(4)
	v_fma_f64 v[1:2], v[1:2], v[55:56], -v[61:62]
	v_fma_f64 v[3:4], v[3:4], v[55:56], v[53:54]
	s_clause 0x3
	buffer_load_dword v53, v5, s[0:3], 0 offen offset:16
	buffer_load_dword v54, v5, s[0:3], 0 offen offset:20
	;; [unrolled: 1-line block ×4, first 2 shown]
	s_waitcnt vmcnt(6)
	v_add_f64 v[1:2], v[57:58], -v[1:2]
	s_waitcnt vmcnt(4)
	v_add_f64 v[3:4], v[59:60], -v[3:4]
	buffer_store_dword v2, v5, s[0:3], 0 offen offset:4
	buffer_store_dword v1, v5, s[0:3], 0 offen
	buffer_store_dword v4, v5, s[0:3], 0 offen offset:12
	buffer_store_dword v3, v5, s[0:3], 0 offen offset:8
	s_clause 0x3
	buffer_load_dword v2, off, s[0:3], 0 offset:188
	buffer_load_dword v1, off, s[0:3], 0 offset:184
	buffer_load_dword v4, off, s[0:3], 0 offset:180
	buffer_load_dword v3, off, s[0:3], 0 offset:176
	s_waitcnt vmcnt(2) lgkmcnt(0)
	v_mul_f64 v[57:58], v[51:52], v[1:2]
	v_mul_f64 v[1:2], v[49:50], v[1:2]
	s_waitcnt vmcnt(0)
	v_fma_f64 v[49:50], v[49:50], v[3:4], -v[57:58]
	v_fma_f64 v[1:2], v[51:52], v[3:4], v[1:2]
	v_add_f64 v[3:4], v[53:54], -v[49:50]
	v_add_f64 v[1:2], v[55:56], -v[1:2]
	s_clause 0x3
	buffer_load_dword v53, v5, s[0:3], 0 offen offset:32
	buffer_load_dword v54, v5, s[0:3], 0 offen offset:36
	;; [unrolled: 1-line block ×4, first 2 shown]
	buffer_store_dword v4, v5, s[0:3], 0 offen offset:20
	buffer_store_dword v3, v5, s[0:3], 0 offen offset:16
	;; [unrolled: 1-line block ×4, first 2 shown]
	s_clause 0x3
	buffer_load_dword v57, off, s[0:3], 0 offset:184
	buffer_load_dword v58, off, s[0:3], 0 offset:188
	;; [unrolled: 1-line block ×4, first 2 shown]
	ds_read2_b64 v[1:4], v6 offset0:4 offset1:5
	ds_read2_b64 v[49:52], v6 offset0:6 offset1:7
	s_waitcnt vmcnt(2) lgkmcnt(1)
	v_mul_f64 v[61:62], v[3:4], v[57:58]
	v_mul_f64 v[57:58], v[1:2], v[57:58]
	s_waitcnt vmcnt(0)
	v_fma_f64 v[1:2], v[1:2], v[59:60], -v[61:62]
	v_fma_f64 v[3:4], v[3:4], v[59:60], v[57:58]
	v_add_f64 v[1:2], v[53:54], -v[1:2]
	v_add_f64 v[3:4], v[55:56], -v[3:4]
	buffer_store_dword v2, v5, s[0:3], 0 offen offset:36
	buffer_store_dword v1, v5, s[0:3], 0 offen offset:32
	;; [unrolled: 1-line block ×4, first 2 shown]
	s_clause 0x7
	buffer_load_dword v1, off, s[0:3], 0 offset:184
	buffer_load_dword v2, off, s[0:3], 0 offset:188
	;; [unrolled: 1-line block ×4, first 2 shown]
	buffer_load_dword v53, v5, s[0:3], 0 offen offset:48
	buffer_load_dword v54, v5, s[0:3], 0 offen offset:52
	;; [unrolled: 1-line block ×4, first 2 shown]
	s_waitcnt vmcnt(6) lgkmcnt(0)
	v_mul_f64 v[57:58], v[51:52], v[1:2]
	v_mul_f64 v[1:2], v[49:50], v[1:2]
	s_waitcnt vmcnt(4)
	v_fma_f64 v[49:50], v[49:50], v[3:4], -v[57:58]
	v_fma_f64 v[1:2], v[51:52], v[3:4], v[1:2]
	s_waitcnt vmcnt(2)
	v_add_f64 v[3:4], v[53:54], -v[49:50]
	s_waitcnt vmcnt(0)
	v_add_f64 v[1:2], v[55:56], -v[1:2]
	buffer_store_dword v4, v5, s[0:3], 0 offen offset:52
	buffer_store_dword v3, v5, s[0:3], 0 offen offset:48
	;; [unrolled: 1-line block ×4, first 2 shown]
	s_clause 0x7
	buffer_load_dword v49, off, s[0:3], 0 offset:184
	buffer_load_dword v50, off, s[0:3], 0 offset:188
	;; [unrolled: 1-line block ×4, first 2 shown]
	buffer_load_dword v53, v5, s[0:3], 0 offen offset:64
	buffer_load_dword v54, v5, s[0:3], 0 offen offset:68
	buffer_load_dword v55, v5, s[0:3], 0 offen offset:72
	buffer_load_dword v56, v5, s[0:3], 0 offen offset:76
	ds_read2_b64 v[1:4], v6 offset0:8 offset1:9
	s_waitcnt vmcnt(6) lgkmcnt(0)
	v_mul_f64 v[57:58], v[3:4], v[49:50]
	v_mul_f64 v[49:50], v[1:2], v[49:50]
	s_waitcnt vmcnt(4)
	v_fma_f64 v[1:2], v[1:2], v[51:52], -v[57:58]
	v_fma_f64 v[3:4], v[3:4], v[51:52], v[49:50]
	s_waitcnt vmcnt(2)
	v_add_f64 v[1:2], v[53:54], -v[1:2]
	s_waitcnt vmcnt(0)
	v_add_f64 v[3:4], v[55:56], -v[3:4]
	buffer_store_dword v2, v5, s[0:3], 0 offen offset:68
	buffer_store_dword v1, v5, s[0:3], 0 offen offset:64
	;; [unrolled: 1-line block ×4, first 2 shown]
	s_cbranch_scc1 .LBB123_156
.LBB123_157:
	s_or_b32 exec_lo, exec_lo, s5
	s_mov_b32 s6, exec_lo
	s_waitcnt lgkmcnt(0)
	s_waitcnt_vscnt null, 0x0
	s_barrier
	buffer_gl0_inv
	v_cmpx_eq_u32_e32 12, v0
	s_cbranch_execz .LBB123_166
; %bb.158:
	v_mov_b32_e32 v4, s63
	s_movk_i32 s5, 0xd0
	s_clause 0x3
	buffer_load_dword v1, v4, s[0:3], 0 offen
	buffer_load_dword v2, v4, s[0:3], 0 offen offset:4
	buffer_load_dword v3, v4, s[0:3], 0 offen offset:8
	;; [unrolled: 1-line block ×3, first 2 shown]
	s_waitcnt vmcnt(0)
	ds_write2_b64 v255, v[1:2], v[3:4] offset1:1
.LBB123_159:                            ; =>This Inner Loop Header: Depth=1
	v_mov_b32_e32 v5, s5
	s_clause 0x1b
	buffer_load_dword v1, v5, s[0:3], 0 offen
	buffer_load_dword v2, v5, s[0:3], 0 offen offset:4
	buffer_load_dword v3, v5, s[0:3], 0 offen offset:8
	;; [unrolled: 1-line block ×27, first 2 shown]
	v_add_nc_u32_e32 v5, s5, v245
	s_addk_i32 s5, 0x70
	s_waitcnt vmcnt(24)
	ds_write2_b64 v5, v[1:2], v[3:4] offset1:1
	s_waitcnt vmcnt(20)
	ds_write2_b64 v5, v[49:50], v[51:52] offset0:2 offset1:3
	s_waitcnt vmcnt(16)
	ds_write2_b64 v5, v[53:54], v[55:56] offset0:4 offset1:5
	;; [unrolled: 2-line block ×4, first 2 shown]
	ds_write2_b64 v5, v[65:66], v[63:64] offset0:10 offset1:11
	s_waitcnt vmcnt(0)
	ds_write2_b64 v5, v[71:72], v[69:70] offset0:12 offset1:13
	s_cmpk_lg_i32 s5, 0x3e0
	s_cbranch_scc1 .LBB123_159
; %bb.160:
	ds_read2_b64 v[49:52], v255 offset1:1
	s_waitcnt lgkmcnt(0)
	v_cmp_neq_f64_e32 vcc_lo, 0, v[49:50]
	v_cmp_neq_f64_e64 s5, 0, v[51:52]
	s_or_b32 s5, vcc_lo, s5
	s_and_b32 exec_lo, exec_lo, s5
	s_cbranch_execz .LBB123_166
; %bb.161:
	v_cmp_ngt_f64_e64 s5, |v[49:50]|, |v[51:52]|
                                        ; implicit-def: $vgpr1_vgpr2
	s_and_saveexec_b32 s7, s5
	s_xor_b32 s5, exec_lo, s7
                                        ; implicit-def: $vgpr3_vgpr4
	s_cbranch_execz .LBB123_163
; %bb.162:
	v_div_scale_f64 v[1:2], null, v[51:52], v[51:52], v[49:50]
	v_div_scale_f64 v[55:56], vcc_lo, v[49:50], v[51:52], v[49:50]
	v_rcp_f64_e32 v[3:4], v[1:2]
	v_fma_f64 v[53:54], -v[1:2], v[3:4], 1.0
	v_fma_f64 v[3:4], v[3:4], v[53:54], v[3:4]
	v_fma_f64 v[53:54], -v[1:2], v[3:4], 1.0
	v_fma_f64 v[3:4], v[3:4], v[53:54], v[3:4]
	v_mul_f64 v[53:54], v[55:56], v[3:4]
	v_fma_f64 v[1:2], -v[1:2], v[53:54], v[55:56]
	v_div_fmas_f64 v[1:2], v[1:2], v[3:4], v[53:54]
	v_div_fixup_f64 v[1:2], v[1:2], v[51:52], v[49:50]
	v_fma_f64 v[3:4], v[49:50], v[1:2], v[51:52]
	v_div_scale_f64 v[49:50], null, v[3:4], v[3:4], 1.0
	v_rcp_f64_e32 v[51:52], v[49:50]
	v_fma_f64 v[53:54], -v[49:50], v[51:52], 1.0
	v_fma_f64 v[51:52], v[51:52], v[53:54], v[51:52]
	v_fma_f64 v[53:54], -v[49:50], v[51:52], 1.0
	v_fma_f64 v[51:52], v[51:52], v[53:54], v[51:52]
	v_div_scale_f64 v[53:54], vcc_lo, 1.0, v[3:4], 1.0
	v_mul_f64 v[55:56], v[53:54], v[51:52]
	v_fma_f64 v[49:50], -v[49:50], v[55:56], v[53:54]
	v_div_fmas_f64 v[49:50], v[49:50], v[51:52], v[55:56]
	v_div_fixup_f64 v[3:4], v[49:50], v[3:4], 1.0
                                        ; implicit-def: $vgpr49_vgpr50
	v_mul_f64 v[1:2], v[1:2], v[3:4]
	v_xor_b32_e32 v4, 0x80000000, v4
.LBB123_163:
	s_andn2_saveexec_b32 s5, s5
	s_cbranch_execz .LBB123_165
; %bb.164:
	v_div_scale_f64 v[1:2], null, v[49:50], v[49:50], v[51:52]
	v_div_scale_f64 v[55:56], vcc_lo, v[51:52], v[49:50], v[51:52]
	v_rcp_f64_e32 v[3:4], v[1:2]
	v_fma_f64 v[53:54], -v[1:2], v[3:4], 1.0
	v_fma_f64 v[3:4], v[3:4], v[53:54], v[3:4]
	v_fma_f64 v[53:54], -v[1:2], v[3:4], 1.0
	v_fma_f64 v[3:4], v[3:4], v[53:54], v[3:4]
	v_mul_f64 v[53:54], v[55:56], v[3:4]
	v_fma_f64 v[1:2], -v[1:2], v[53:54], v[55:56]
	v_div_fmas_f64 v[1:2], v[1:2], v[3:4], v[53:54]
	v_div_fixup_f64 v[3:4], v[1:2], v[49:50], v[51:52]
	v_fma_f64 v[1:2], v[51:52], v[3:4], v[49:50]
	v_div_scale_f64 v[49:50], null, v[1:2], v[1:2], 1.0
	v_rcp_f64_e32 v[51:52], v[49:50]
	v_fma_f64 v[53:54], -v[49:50], v[51:52], 1.0
	v_fma_f64 v[51:52], v[51:52], v[53:54], v[51:52]
	v_fma_f64 v[53:54], -v[49:50], v[51:52], 1.0
	v_fma_f64 v[51:52], v[51:52], v[53:54], v[51:52]
	v_div_scale_f64 v[53:54], vcc_lo, 1.0, v[1:2], 1.0
	v_mul_f64 v[55:56], v[53:54], v[51:52]
	v_fma_f64 v[49:50], -v[49:50], v[55:56], v[53:54]
	v_div_fmas_f64 v[49:50], v[49:50], v[51:52], v[55:56]
	v_div_fixup_f64 v[1:2], v[49:50], v[1:2], 1.0
	v_mul_f64 v[3:4], v[3:4], -v[1:2]
.LBB123_165:
	s_or_b32 exec_lo, exec_lo, s5
	ds_write2_b64 v255, v[1:2], v[3:4] offset1:1
.LBB123_166:
	s_or_b32 exec_lo, exec_lo, s6
	s_waitcnt lgkmcnt(0)
	s_barrier
	buffer_gl0_inv
	ds_read2_b64 v[49:52], v255 offset1:1
	s_mov_b32 s5, exec_lo
	v_cmpx_lt_u32_e32 12, v0
	s_cbranch_execz .LBB123_169
; %bb.167:
	s_clause 0x3
	buffer_load_dword v1, off, s[0:3], 0 offset:200
	buffer_load_dword v2, off, s[0:3], 0 offset:204
	;; [unrolled: 1-line block ×4, first 2 shown]
	s_movk_i32 s6, 0xd0
	s_waitcnt vmcnt(2) lgkmcnt(0)
	v_mul_f64 v[53:54], v[51:52], v[1:2]
	v_mul_f64 v[1:2], v[49:50], v[1:2]
	s_waitcnt vmcnt(0)
	v_fma_f64 v[53:54], v[49:50], v[3:4], -v[53:54]
	v_fma_f64 v[1:2], v[51:52], v[3:4], v[1:2]
	buffer_store_dword v53, off, s[0:3], 0 offset:192
	buffer_store_dword v54, off, s[0:3], 0 offset:196
	;; [unrolled: 1-line block ×4, first 2 shown]
.LBB123_168:                            ; =>This Inner Loop Header: Depth=1
	s_clause 0x3
	buffer_load_dword v57, off, s[0:3], 0 offset:200
	buffer_load_dword v58, off, s[0:3], 0 offset:204
	;; [unrolled: 1-line block ×4, first 2 shown]
	v_mov_b32_e32 v5, s6
	v_add_nc_u32_e32 v6, s6, v245
	s_addk_i32 s6, 0x70
	s_clause 0x3
	buffer_load_dword v61, v5, s[0:3], 0 offen
	buffer_load_dword v62, v5, s[0:3], 0 offen offset:4
	buffer_load_dword v63, v5, s[0:3], 0 offen offset:8
	;; [unrolled: 1-line block ×3, first 2 shown]
	ds_read2_b64 v[1:4], v6 offset1:1
	s_clause 0x3
	buffer_load_dword v65, v5, s[0:3], 0 offen offset:16
	buffer_load_dword v66, v5, s[0:3], 0 offen offset:20
	;; [unrolled: 1-line block ×4, first 2 shown]
	ds_read2_b64 v[53:56], v6 offset0:2 offset1:3
	s_cmpk_lg_i32 s6, 0x3e0
	s_waitcnt vmcnt(10) lgkmcnt(1)
	v_mul_f64 v[69:70], v[3:4], v[57:58]
	v_mul_f64 v[57:58], v[1:2], v[57:58]
	s_waitcnt vmcnt(8)
	v_fma_f64 v[1:2], v[1:2], v[59:60], -v[69:70]
	v_fma_f64 v[3:4], v[3:4], v[59:60], v[57:58]
	s_waitcnt vmcnt(6)
	v_add_f64 v[1:2], v[61:62], -v[1:2]
	s_waitcnt vmcnt(4)
	v_add_f64 v[3:4], v[63:64], -v[3:4]
	buffer_store_dword v2, v5, s[0:3], 0 offen offset:4
	buffer_store_dword v1, v5, s[0:3], 0 offen
	buffer_store_dword v4, v5, s[0:3], 0 offen offset:12
	buffer_store_dword v3, v5, s[0:3], 0 offen offset:8
	s_clause 0x7
	buffer_load_dword v2, off, s[0:3], 0 offset:204
	buffer_load_dword v1, off, s[0:3], 0 offset:200
	;; [unrolled: 1-line block ×4, first 2 shown]
	buffer_load_dword v57, v5, s[0:3], 0 offen offset:32
	buffer_load_dword v58, v5, s[0:3], 0 offen offset:36
	;; [unrolled: 1-line block ×4, first 2 shown]
	s_waitcnt vmcnt(6) lgkmcnt(0)
	v_mul_f64 v[61:62], v[55:56], v[1:2]
	v_mul_f64 v[1:2], v[53:54], v[1:2]
	s_waitcnt vmcnt(4)
	v_fma_f64 v[53:54], v[53:54], v[3:4], -v[61:62]
	v_fma_f64 v[1:2], v[55:56], v[3:4], v[1:2]
	v_add_f64 v[3:4], v[65:66], -v[53:54]
	v_add_f64 v[1:2], v[67:68], -v[1:2]
	buffer_store_dword v4, v5, s[0:3], 0 offen offset:20
	buffer_store_dword v3, v5, s[0:3], 0 offen offset:16
	;; [unrolled: 1-line block ×4, first 2 shown]
	s_clause 0x3
	buffer_load_dword v61, off, s[0:3], 0 offset:200
	buffer_load_dword v62, off, s[0:3], 0 offset:204
	;; [unrolled: 1-line block ×4, first 2 shown]
	ds_read2_b64 v[1:4], v6 offset0:4 offset1:5
	ds_read2_b64 v[53:56], v6 offset0:6 offset1:7
	s_waitcnt vmcnt(2) lgkmcnt(1)
	v_mul_f64 v[65:66], v[3:4], v[61:62]
	v_mul_f64 v[61:62], v[1:2], v[61:62]
	s_waitcnt vmcnt(0)
	v_fma_f64 v[1:2], v[1:2], v[63:64], -v[65:66]
	v_fma_f64 v[3:4], v[3:4], v[63:64], v[61:62]
	v_add_f64 v[1:2], v[57:58], -v[1:2]
	v_add_f64 v[3:4], v[59:60], -v[3:4]
	buffer_store_dword v2, v5, s[0:3], 0 offen offset:36
	buffer_store_dword v1, v5, s[0:3], 0 offen offset:32
	;; [unrolled: 1-line block ×4, first 2 shown]
	s_clause 0x7
	buffer_load_dword v1, off, s[0:3], 0 offset:200
	buffer_load_dword v2, off, s[0:3], 0 offset:204
	;; [unrolled: 1-line block ×4, first 2 shown]
	buffer_load_dword v57, v5, s[0:3], 0 offen offset:48
	buffer_load_dword v58, v5, s[0:3], 0 offen offset:52
	;; [unrolled: 1-line block ×4, first 2 shown]
	s_waitcnt vmcnt(6) lgkmcnt(0)
	v_mul_f64 v[61:62], v[55:56], v[1:2]
	v_mul_f64 v[1:2], v[53:54], v[1:2]
	s_waitcnt vmcnt(4)
	v_fma_f64 v[53:54], v[53:54], v[3:4], -v[61:62]
	v_fma_f64 v[1:2], v[55:56], v[3:4], v[1:2]
	s_waitcnt vmcnt(2)
	v_add_f64 v[3:4], v[57:58], -v[53:54]
	s_waitcnt vmcnt(0)
	v_add_f64 v[1:2], v[59:60], -v[1:2]
	buffer_store_dword v4, v5, s[0:3], 0 offen offset:52
	buffer_store_dword v3, v5, s[0:3], 0 offen offset:48
	;; [unrolled: 1-line block ×4, first 2 shown]
	s_clause 0x7
	buffer_load_dword v57, off, s[0:3], 0 offset:200
	buffer_load_dword v58, off, s[0:3], 0 offset:204
	;; [unrolled: 1-line block ×4, first 2 shown]
	buffer_load_dword v61, v5, s[0:3], 0 offen offset:64
	buffer_load_dword v62, v5, s[0:3], 0 offen offset:68
	;; [unrolled: 1-line block ×4, first 2 shown]
	ds_read2_b64 v[1:4], v6 offset0:8 offset1:9
	ds_read2_b64 v[53:56], v6 offset0:10 offset1:11
	s_waitcnt vmcnt(6) lgkmcnt(1)
	v_mul_f64 v[65:66], v[3:4], v[57:58]
	v_mul_f64 v[57:58], v[1:2], v[57:58]
	s_waitcnt vmcnt(4)
	v_fma_f64 v[1:2], v[1:2], v[59:60], -v[65:66]
	v_fma_f64 v[3:4], v[3:4], v[59:60], v[57:58]
	s_waitcnt vmcnt(2)
	v_add_f64 v[1:2], v[61:62], -v[1:2]
	s_waitcnt vmcnt(0)
	v_add_f64 v[3:4], v[63:64], -v[3:4]
	buffer_store_dword v2, v5, s[0:3], 0 offen offset:68
	buffer_store_dword v1, v5, s[0:3], 0 offen offset:64
	;; [unrolled: 1-line block ×4, first 2 shown]
	s_clause 0x7
	buffer_load_dword v1, off, s[0:3], 0 offset:200
	buffer_load_dword v2, off, s[0:3], 0 offset:204
	;; [unrolled: 1-line block ×4, first 2 shown]
	buffer_load_dword v57, v5, s[0:3], 0 offen offset:80
	buffer_load_dword v58, v5, s[0:3], 0 offen offset:84
	;; [unrolled: 1-line block ×4, first 2 shown]
	s_waitcnt vmcnt(6) lgkmcnt(0)
	v_mul_f64 v[61:62], v[55:56], v[1:2]
	v_mul_f64 v[1:2], v[53:54], v[1:2]
	s_waitcnt vmcnt(4)
	v_fma_f64 v[53:54], v[53:54], v[3:4], -v[61:62]
	v_fma_f64 v[1:2], v[55:56], v[3:4], v[1:2]
	s_waitcnt vmcnt(2)
	v_add_f64 v[3:4], v[57:58], -v[53:54]
	s_waitcnt vmcnt(0)
	v_add_f64 v[1:2], v[59:60], -v[1:2]
	buffer_store_dword v4, v5, s[0:3], 0 offen offset:84
	buffer_store_dword v3, v5, s[0:3], 0 offen offset:80
	;; [unrolled: 1-line block ×4, first 2 shown]
	s_clause 0x7
	buffer_load_dword v53, off, s[0:3], 0 offset:200
	buffer_load_dword v54, off, s[0:3], 0 offset:204
	;; [unrolled: 1-line block ×4, first 2 shown]
	buffer_load_dword v57, v5, s[0:3], 0 offen offset:96
	buffer_load_dword v58, v5, s[0:3], 0 offen offset:100
	;; [unrolled: 1-line block ×4, first 2 shown]
	ds_read2_b64 v[1:4], v6 offset0:12 offset1:13
	s_waitcnt vmcnt(6) lgkmcnt(0)
	v_mul_f64 v[61:62], v[3:4], v[53:54]
	v_mul_f64 v[53:54], v[1:2], v[53:54]
	s_waitcnt vmcnt(4)
	v_fma_f64 v[1:2], v[1:2], v[55:56], -v[61:62]
	v_fma_f64 v[3:4], v[3:4], v[55:56], v[53:54]
	s_waitcnt vmcnt(2)
	v_add_f64 v[1:2], v[57:58], -v[1:2]
	s_waitcnt vmcnt(0)
	v_add_f64 v[3:4], v[59:60], -v[3:4]
	buffer_store_dword v2, v5, s[0:3], 0 offen offset:100
	buffer_store_dword v1, v5, s[0:3], 0 offen offset:96
	;; [unrolled: 1-line block ×4, first 2 shown]
	s_cbranch_scc1 .LBB123_168
.LBB123_169:
	s_or_b32 exec_lo, exec_lo, s5
	s_mov_b32 s6, exec_lo
	s_waitcnt lgkmcnt(0)
	s_waitcnt_vscnt null, 0x0
	s_barrier
	buffer_gl0_inv
	v_cmpx_eq_u32_e32 13, v0
	s_cbranch_execz .LBB123_178
; %bb.170:
	v_mov_b32_e32 v4, s62
	s_movk_i32 s5, 0xe0
	s_clause 0x3
	buffer_load_dword v1, v4, s[0:3], 0 offen
	buffer_load_dword v2, v4, s[0:3], 0 offen offset:4
	buffer_load_dword v3, v4, s[0:3], 0 offen offset:8
	;; [unrolled: 1-line block ×3, first 2 shown]
	s_waitcnt vmcnt(0)
	ds_write2_b64 v255, v[1:2], v[3:4] offset1:1
.LBB123_171:                            ; =>This Inner Loop Header: Depth=1
	v_mov_b32_e32 v5, s5
	s_clause 0x3e
	buffer_load_dword v1, v5, s[0:3], 0 offen
	buffer_load_dword v2, v5, s[0:3], 0 offen offset:4
	buffer_load_dword v3, v5, s[0:3], 0 offen offset:8
	;; [unrolled: 1-line block ×63, first 2 shown]
	v_add_nc_u32_e32 v5, s5, v245
	s_addk_i32 s5, 0x100
	s_waitcnt vmcnt(60)
	ds_write2_b64 v5, v[1:2], v[3:4] offset1:1
	s_waitcnt vmcnt(56)
	ds_write2_b64 v5, v[53:54], v[55:56] offset0:2 offset1:3
	s_waitcnt vmcnt(52)
	ds_write2_b64 v5, v[57:58], v[59:60] offset0:4 offset1:5
	;; [unrolled: 2-line block ×4, first 2 shown]
	ds_write2_b64 v5, v[69:70], v[67:68] offset0:10 offset1:11
	s_waitcnt vmcnt(32)
	ds_write2_b64 v5, v[79:80], v[73:74] offset0:12 offset1:13
	ds_write2_b64 v5, v[77:78], v[75:76] offset0:14 offset1:15
	s_waitcnt vmcnt(28)
	ds_write2_b64 v5, v[81:82], v[83:84] offset0:16 offset1:17
	s_waitcnt vmcnt(24)
	;; [unrolled: 2-line block ×8, first 2 shown]
	ds_write2_b64 v5, v[109:110], v[111:112] offset0:30 offset1:31
	s_cmpk_lg_i32 s5, 0x3e0
	s_cbranch_scc1 .LBB123_171
; %bb.172:
	ds_read2_b64 v[53:56], v255 offset1:1
	s_waitcnt lgkmcnt(0)
	v_cmp_neq_f64_e32 vcc_lo, 0, v[53:54]
	v_cmp_neq_f64_e64 s5, 0, v[55:56]
	s_or_b32 s5, vcc_lo, s5
	s_and_b32 exec_lo, exec_lo, s5
	s_cbranch_execz .LBB123_178
; %bb.173:
	v_cmp_ngt_f64_e64 s5, |v[53:54]|, |v[55:56]|
                                        ; implicit-def: $vgpr1_vgpr2
	s_and_saveexec_b32 s7, s5
	s_xor_b32 s5, exec_lo, s7
                                        ; implicit-def: $vgpr3_vgpr4
	s_cbranch_execz .LBB123_175
; %bb.174:
	v_div_scale_f64 v[1:2], null, v[55:56], v[55:56], v[53:54]
	v_div_scale_f64 v[59:60], vcc_lo, v[53:54], v[55:56], v[53:54]
	v_rcp_f64_e32 v[3:4], v[1:2]
	v_fma_f64 v[57:58], -v[1:2], v[3:4], 1.0
	v_fma_f64 v[3:4], v[3:4], v[57:58], v[3:4]
	v_fma_f64 v[57:58], -v[1:2], v[3:4], 1.0
	v_fma_f64 v[3:4], v[3:4], v[57:58], v[3:4]
	v_mul_f64 v[57:58], v[59:60], v[3:4]
	v_fma_f64 v[1:2], -v[1:2], v[57:58], v[59:60]
	v_div_fmas_f64 v[1:2], v[1:2], v[3:4], v[57:58]
	v_div_fixup_f64 v[1:2], v[1:2], v[55:56], v[53:54]
	v_fma_f64 v[3:4], v[53:54], v[1:2], v[55:56]
	v_div_scale_f64 v[53:54], null, v[3:4], v[3:4], 1.0
	v_rcp_f64_e32 v[55:56], v[53:54]
	v_fma_f64 v[57:58], -v[53:54], v[55:56], 1.0
	v_fma_f64 v[55:56], v[55:56], v[57:58], v[55:56]
	v_fma_f64 v[57:58], -v[53:54], v[55:56], 1.0
	v_fma_f64 v[55:56], v[55:56], v[57:58], v[55:56]
	v_div_scale_f64 v[57:58], vcc_lo, 1.0, v[3:4], 1.0
	v_mul_f64 v[59:60], v[57:58], v[55:56]
	v_fma_f64 v[53:54], -v[53:54], v[59:60], v[57:58]
	v_div_fmas_f64 v[53:54], v[53:54], v[55:56], v[59:60]
	v_div_fixup_f64 v[3:4], v[53:54], v[3:4], 1.0
                                        ; implicit-def: $vgpr53_vgpr54
	v_mul_f64 v[1:2], v[1:2], v[3:4]
	v_xor_b32_e32 v4, 0x80000000, v4
.LBB123_175:
	s_andn2_saveexec_b32 s5, s5
	s_cbranch_execz .LBB123_177
; %bb.176:
	v_div_scale_f64 v[1:2], null, v[53:54], v[53:54], v[55:56]
	v_div_scale_f64 v[59:60], vcc_lo, v[55:56], v[53:54], v[55:56]
	v_rcp_f64_e32 v[3:4], v[1:2]
	v_fma_f64 v[57:58], -v[1:2], v[3:4], 1.0
	v_fma_f64 v[3:4], v[3:4], v[57:58], v[3:4]
	v_fma_f64 v[57:58], -v[1:2], v[3:4], 1.0
	v_fma_f64 v[3:4], v[3:4], v[57:58], v[3:4]
	v_mul_f64 v[57:58], v[59:60], v[3:4]
	v_fma_f64 v[1:2], -v[1:2], v[57:58], v[59:60]
	v_div_fmas_f64 v[1:2], v[1:2], v[3:4], v[57:58]
	v_div_fixup_f64 v[3:4], v[1:2], v[53:54], v[55:56]
	v_fma_f64 v[1:2], v[55:56], v[3:4], v[53:54]
	v_div_scale_f64 v[53:54], null, v[1:2], v[1:2], 1.0
	v_rcp_f64_e32 v[55:56], v[53:54]
	v_fma_f64 v[57:58], -v[53:54], v[55:56], 1.0
	v_fma_f64 v[55:56], v[55:56], v[57:58], v[55:56]
	v_fma_f64 v[57:58], -v[53:54], v[55:56], 1.0
	v_fma_f64 v[55:56], v[55:56], v[57:58], v[55:56]
	v_div_scale_f64 v[57:58], vcc_lo, 1.0, v[1:2], 1.0
	v_mul_f64 v[59:60], v[57:58], v[55:56]
	v_fma_f64 v[53:54], -v[53:54], v[59:60], v[57:58]
	v_div_fmas_f64 v[53:54], v[53:54], v[55:56], v[59:60]
	v_div_fixup_f64 v[1:2], v[53:54], v[1:2], 1.0
	v_mul_f64 v[3:4], v[3:4], -v[1:2]
.LBB123_177:
	s_or_b32 exec_lo, exec_lo, s5
	ds_write2_b64 v255, v[1:2], v[3:4] offset1:1
.LBB123_178:
	s_or_b32 exec_lo, exec_lo, s6
	s_waitcnt lgkmcnt(0)
	s_barrier
	buffer_gl0_inv
	ds_read2_b64 v[53:56], v255 offset1:1
	s_mov_b32 s5, exec_lo
	v_cmpx_lt_u32_e32 13, v0
	s_cbranch_execz .LBB123_181
; %bb.179:
	s_clause 0x3
	buffer_load_dword v1, off, s[0:3], 0 offset:216
	buffer_load_dword v2, off, s[0:3], 0 offset:220
	;; [unrolled: 1-line block ×4, first 2 shown]
	s_movk_i32 s6, 0xe0
	s_waitcnt vmcnt(2) lgkmcnt(0)
	v_mul_f64 v[57:58], v[55:56], v[1:2]
	v_mul_f64 v[1:2], v[53:54], v[1:2]
	s_waitcnt vmcnt(0)
	v_fma_f64 v[57:58], v[53:54], v[3:4], -v[57:58]
	v_fma_f64 v[1:2], v[55:56], v[3:4], v[1:2]
	buffer_store_dword v57, off, s[0:3], 0 offset:208
	buffer_store_dword v58, off, s[0:3], 0 offset:212
	;; [unrolled: 1-line block ×4, first 2 shown]
.LBB123_180:                            ; =>This Inner Loop Header: Depth=1
	s_clause 0x3
	buffer_load_dword v61, off, s[0:3], 0 offset:216
	buffer_load_dword v62, off, s[0:3], 0 offset:220
	;; [unrolled: 1-line block ×4, first 2 shown]
	v_mov_b32_e32 v5, s6
	v_add_nc_u32_e32 v6, s6, v245
	s_addk_i32 s6, 0x60
	s_clause 0x3
	buffer_load_dword v65, v5, s[0:3], 0 offen
	buffer_load_dword v66, v5, s[0:3], 0 offen offset:4
	buffer_load_dword v67, v5, s[0:3], 0 offen offset:8
	;; [unrolled: 1-line block ×3, first 2 shown]
	ds_read2_b64 v[1:4], v6 offset1:1
	s_clause 0x3
	buffer_load_dword v69, v5, s[0:3], 0 offen offset:16
	buffer_load_dword v70, v5, s[0:3], 0 offen offset:20
	;; [unrolled: 1-line block ×4, first 2 shown]
	ds_read2_b64 v[57:60], v6 offset0:2 offset1:3
	s_cmpk_lg_i32 s6, 0x3e0
	s_waitcnt vmcnt(10) lgkmcnt(1)
	v_mul_f64 v[73:74], v[3:4], v[61:62]
	v_mul_f64 v[61:62], v[1:2], v[61:62]
	s_waitcnt vmcnt(8)
	v_fma_f64 v[1:2], v[1:2], v[63:64], -v[73:74]
	v_fma_f64 v[3:4], v[3:4], v[63:64], v[61:62]
	s_waitcnt vmcnt(6)
	v_add_f64 v[1:2], v[65:66], -v[1:2]
	s_waitcnt vmcnt(4)
	v_add_f64 v[3:4], v[67:68], -v[3:4]
	buffer_store_dword v2, v5, s[0:3], 0 offen offset:4
	buffer_store_dword v1, v5, s[0:3], 0 offen
	buffer_store_dword v4, v5, s[0:3], 0 offen offset:12
	buffer_store_dword v3, v5, s[0:3], 0 offen offset:8
	s_clause 0x3
	buffer_load_dword v2, off, s[0:3], 0 offset:220
	buffer_load_dword v1, off, s[0:3], 0 offset:216
	;; [unrolled: 1-line block ×4, first 2 shown]
	s_waitcnt vmcnt(2) lgkmcnt(0)
	v_mul_f64 v[61:62], v[59:60], v[1:2]
	v_mul_f64 v[1:2], v[57:58], v[1:2]
	s_waitcnt vmcnt(0)
	v_fma_f64 v[57:58], v[57:58], v[3:4], -v[61:62]
	v_fma_f64 v[1:2], v[59:60], v[3:4], v[1:2]
	s_clause 0x3
	buffer_load_dword v61, v5, s[0:3], 0 offen offset:32
	buffer_load_dword v62, v5, s[0:3], 0 offen offset:36
	;; [unrolled: 1-line block ×4, first 2 shown]
	v_add_f64 v[3:4], v[69:70], -v[57:58]
	v_add_f64 v[1:2], v[71:72], -v[1:2]
	buffer_store_dword v4, v5, s[0:3], 0 offen offset:20
	buffer_store_dword v3, v5, s[0:3], 0 offen offset:16
	;; [unrolled: 1-line block ×4, first 2 shown]
	s_clause 0x3
	buffer_load_dword v65, off, s[0:3], 0 offset:216
	buffer_load_dword v66, off, s[0:3], 0 offset:220
	;; [unrolled: 1-line block ×4, first 2 shown]
	ds_read2_b64 v[1:4], v6 offset0:4 offset1:5
	ds_read2_b64 v[57:60], v6 offset0:6 offset1:7
	s_waitcnt vmcnt(2) lgkmcnt(1)
	v_mul_f64 v[69:70], v[3:4], v[65:66]
	v_mul_f64 v[65:66], v[1:2], v[65:66]
	s_waitcnt vmcnt(0)
	v_fma_f64 v[1:2], v[1:2], v[67:68], -v[69:70]
	v_fma_f64 v[3:4], v[3:4], v[67:68], v[65:66]
	v_add_f64 v[1:2], v[61:62], -v[1:2]
	v_add_f64 v[3:4], v[63:64], -v[3:4]
	buffer_store_dword v2, v5, s[0:3], 0 offen offset:36
	buffer_store_dword v1, v5, s[0:3], 0 offen offset:32
	;; [unrolled: 1-line block ×4, first 2 shown]
	s_clause 0x7
	buffer_load_dword v1, off, s[0:3], 0 offset:216
	buffer_load_dword v2, off, s[0:3], 0 offset:220
	;; [unrolled: 1-line block ×4, first 2 shown]
	buffer_load_dword v61, v5, s[0:3], 0 offen offset:48
	buffer_load_dword v62, v5, s[0:3], 0 offen offset:52
	;; [unrolled: 1-line block ×4, first 2 shown]
	s_waitcnt vmcnt(6) lgkmcnt(0)
	v_mul_f64 v[65:66], v[59:60], v[1:2]
	v_mul_f64 v[1:2], v[57:58], v[1:2]
	s_waitcnt vmcnt(4)
	v_fma_f64 v[57:58], v[57:58], v[3:4], -v[65:66]
	v_fma_f64 v[1:2], v[59:60], v[3:4], v[1:2]
	s_waitcnt vmcnt(2)
	v_add_f64 v[3:4], v[61:62], -v[57:58]
	s_waitcnt vmcnt(0)
	v_add_f64 v[1:2], v[63:64], -v[1:2]
	buffer_store_dword v4, v5, s[0:3], 0 offen offset:52
	buffer_store_dword v3, v5, s[0:3], 0 offen offset:48
	;; [unrolled: 1-line block ×4, first 2 shown]
	s_clause 0x7
	buffer_load_dword v61, off, s[0:3], 0 offset:216
	buffer_load_dword v62, off, s[0:3], 0 offset:220
	;; [unrolled: 1-line block ×4, first 2 shown]
	buffer_load_dword v65, v5, s[0:3], 0 offen offset:64
	buffer_load_dword v66, v5, s[0:3], 0 offen offset:68
	;; [unrolled: 1-line block ×4, first 2 shown]
	ds_read2_b64 v[1:4], v6 offset0:8 offset1:9
	ds_read2_b64 v[57:60], v6 offset0:10 offset1:11
	s_waitcnt vmcnt(6) lgkmcnt(1)
	v_mul_f64 v[69:70], v[3:4], v[61:62]
	v_mul_f64 v[61:62], v[1:2], v[61:62]
	s_waitcnt vmcnt(4)
	v_fma_f64 v[1:2], v[1:2], v[63:64], -v[69:70]
	v_fma_f64 v[3:4], v[3:4], v[63:64], v[61:62]
	s_waitcnt vmcnt(2)
	v_add_f64 v[1:2], v[65:66], -v[1:2]
	s_waitcnt vmcnt(0)
	v_add_f64 v[3:4], v[67:68], -v[3:4]
	buffer_store_dword v2, v5, s[0:3], 0 offen offset:68
	buffer_store_dword v1, v5, s[0:3], 0 offen offset:64
	;; [unrolled: 1-line block ×4, first 2 shown]
	s_clause 0x7
	buffer_load_dword v1, off, s[0:3], 0 offset:216
	buffer_load_dword v2, off, s[0:3], 0 offset:220
	;; [unrolled: 1-line block ×4, first 2 shown]
	buffer_load_dword v61, v5, s[0:3], 0 offen offset:80
	buffer_load_dword v62, v5, s[0:3], 0 offen offset:84
	;; [unrolled: 1-line block ×4, first 2 shown]
	s_waitcnt vmcnt(6) lgkmcnt(0)
	v_mul_f64 v[65:66], v[59:60], v[1:2]
	v_mul_f64 v[1:2], v[57:58], v[1:2]
	s_waitcnt vmcnt(4)
	v_fma_f64 v[57:58], v[57:58], v[3:4], -v[65:66]
	v_fma_f64 v[1:2], v[59:60], v[3:4], v[1:2]
	s_waitcnt vmcnt(2)
	v_add_f64 v[3:4], v[61:62], -v[57:58]
	s_waitcnt vmcnt(0)
	v_add_f64 v[1:2], v[63:64], -v[1:2]
	buffer_store_dword v4, v5, s[0:3], 0 offen offset:84
	buffer_store_dword v3, v5, s[0:3], 0 offen offset:80
	;; [unrolled: 1-line block ×4, first 2 shown]
	s_cbranch_scc1 .LBB123_180
.LBB123_181:
	s_or_b32 exec_lo, exec_lo, s5
	s_mov_b32 s6, exec_lo
	s_waitcnt lgkmcnt(0)
	s_waitcnt_vscnt null, 0x0
	s_barrier
	buffer_gl0_inv
	v_cmpx_eq_u32_e32 14, v0
	s_cbranch_execz .LBB123_192
; %bb.182:
	v_mov_b32_e32 v4, s61
	s_movk_i32 s5, 0xf0
	s_clause 0x3
	buffer_load_dword v1, v4, s[0:3], 0 offen
	buffer_load_dword v2, v4, s[0:3], 0 offen offset:4
	buffer_load_dword v3, v4, s[0:3], 0 offen offset:8
	;; [unrolled: 1-line block ×3, first 2 shown]
	s_waitcnt vmcnt(0)
	ds_write2_b64 v255, v[1:2], v[3:4] offset1:1
	s_branch .LBB123_184
.LBB123_183:                            ;   in Loop: Header=BB123_184 Depth=1
	s_andn2_b32 vcc_lo, exec_lo, s8
	s_cbranch_vccz .LBB123_186
.LBB123_184:                            ; =>This Inner Loop Header: Depth=1
	v_mov_b32_e32 v1, s5
	s_mov_b32 s7, s5
	s_mov_b32 s8, -1
	s_cmpk_eq_i32 s5, 0x370
	s_clause 0x1b
	buffer_load_dword v2, v1, s[0:3], 0 offen
	buffer_load_dword v3, v1, s[0:3], 0 offen offset:4
	buffer_load_dword v57, v1, s[0:3], 0 offen offset:8
	;; [unrolled: 1-line block ×27, first 2 shown]
	v_add_nc_u32_e32 v1, s5, v245
	s_waitcnt vmcnt(24)
	ds_write2_b64 v1, v[2:3], v[57:58] offset1:1
	s_waitcnt vmcnt(20)
	ds_write2_b64 v1, v[59:60], v[61:62] offset0:2 offset1:3
	s_waitcnt vmcnt(16)
	ds_write2_b64 v1, v[63:64], v[65:66] offset0:4 offset1:5
	;; [unrolled: 2-line block ×4, first 2 shown]
	ds_write2_b64 v1, v[75:76], v[73:74] offset0:10 offset1:11
	s_waitcnt vmcnt(0)
	ds_write2_b64 v1, v[81:82], v[79:80] offset0:12 offset1:13
	s_cbranch_scc1 .LBB123_183
; %bb.185:                              ;   in Loop: Header=BB123_184 Depth=1
	v_mov_b32_e32 v4, s7
	s_addk_i32 s5, 0x80
	s_mov_b32 s8, 0
	s_clause 0x3
	buffer_load_dword v2, v4, s[0:3], 0 offen offset:112
	buffer_load_dword v3, v4, s[0:3], 0 offen offset:116
	;; [unrolled: 1-line block ×4, first 2 shown]
	s_waitcnt vmcnt(0)
	ds_write2_b64 v1, v[2:3], v[57:58] offset0:14 offset1:15
	s_branch .LBB123_183
.LBB123_186:
	ds_read2_b64 v[57:60], v255 offset1:1
	s_waitcnt lgkmcnt(0)
	v_cmp_neq_f64_e32 vcc_lo, 0, v[57:58]
	v_cmp_neq_f64_e64 s5, 0, v[59:60]
	s_or_b32 s5, vcc_lo, s5
	s_and_b32 exec_lo, exec_lo, s5
	s_cbranch_execz .LBB123_192
; %bb.187:
	v_cmp_ngt_f64_e64 s5, |v[57:58]|, |v[59:60]|
                                        ; implicit-def: $vgpr1_vgpr2
	s_and_saveexec_b32 s7, s5
	s_xor_b32 s5, exec_lo, s7
                                        ; implicit-def: $vgpr3_vgpr4
	s_cbranch_execz .LBB123_189
; %bb.188:
	v_div_scale_f64 v[1:2], null, v[59:60], v[59:60], v[57:58]
	v_div_scale_f64 v[63:64], vcc_lo, v[57:58], v[59:60], v[57:58]
	v_rcp_f64_e32 v[3:4], v[1:2]
	v_fma_f64 v[61:62], -v[1:2], v[3:4], 1.0
	v_fma_f64 v[3:4], v[3:4], v[61:62], v[3:4]
	v_fma_f64 v[61:62], -v[1:2], v[3:4], 1.0
	v_fma_f64 v[3:4], v[3:4], v[61:62], v[3:4]
	v_mul_f64 v[61:62], v[63:64], v[3:4]
	v_fma_f64 v[1:2], -v[1:2], v[61:62], v[63:64]
	v_div_fmas_f64 v[1:2], v[1:2], v[3:4], v[61:62]
	v_div_fixup_f64 v[1:2], v[1:2], v[59:60], v[57:58]
	v_fma_f64 v[3:4], v[57:58], v[1:2], v[59:60]
	v_div_scale_f64 v[57:58], null, v[3:4], v[3:4], 1.0
	v_rcp_f64_e32 v[59:60], v[57:58]
	v_fma_f64 v[61:62], -v[57:58], v[59:60], 1.0
	v_fma_f64 v[59:60], v[59:60], v[61:62], v[59:60]
	v_fma_f64 v[61:62], -v[57:58], v[59:60], 1.0
	v_fma_f64 v[59:60], v[59:60], v[61:62], v[59:60]
	v_div_scale_f64 v[61:62], vcc_lo, 1.0, v[3:4], 1.0
	v_mul_f64 v[63:64], v[61:62], v[59:60]
	v_fma_f64 v[57:58], -v[57:58], v[63:64], v[61:62]
	v_div_fmas_f64 v[57:58], v[57:58], v[59:60], v[63:64]
	v_div_fixup_f64 v[3:4], v[57:58], v[3:4], 1.0
                                        ; implicit-def: $vgpr57_vgpr58
	v_mul_f64 v[1:2], v[1:2], v[3:4]
	v_xor_b32_e32 v4, 0x80000000, v4
.LBB123_189:
	s_andn2_saveexec_b32 s5, s5
	s_cbranch_execz .LBB123_191
; %bb.190:
	v_div_scale_f64 v[1:2], null, v[57:58], v[57:58], v[59:60]
	v_div_scale_f64 v[63:64], vcc_lo, v[59:60], v[57:58], v[59:60]
	v_rcp_f64_e32 v[3:4], v[1:2]
	v_fma_f64 v[61:62], -v[1:2], v[3:4], 1.0
	v_fma_f64 v[3:4], v[3:4], v[61:62], v[3:4]
	v_fma_f64 v[61:62], -v[1:2], v[3:4], 1.0
	v_fma_f64 v[3:4], v[3:4], v[61:62], v[3:4]
	v_mul_f64 v[61:62], v[63:64], v[3:4]
	v_fma_f64 v[1:2], -v[1:2], v[61:62], v[63:64]
	v_div_fmas_f64 v[1:2], v[1:2], v[3:4], v[61:62]
	v_div_fixup_f64 v[3:4], v[1:2], v[57:58], v[59:60]
	v_fma_f64 v[1:2], v[59:60], v[3:4], v[57:58]
	v_div_scale_f64 v[57:58], null, v[1:2], v[1:2], 1.0
	v_rcp_f64_e32 v[59:60], v[57:58]
	v_fma_f64 v[61:62], -v[57:58], v[59:60], 1.0
	v_fma_f64 v[59:60], v[59:60], v[61:62], v[59:60]
	v_fma_f64 v[61:62], -v[57:58], v[59:60], 1.0
	v_fma_f64 v[59:60], v[59:60], v[61:62], v[59:60]
	v_div_scale_f64 v[61:62], vcc_lo, 1.0, v[1:2], 1.0
	v_mul_f64 v[63:64], v[61:62], v[59:60]
	v_fma_f64 v[57:58], -v[57:58], v[63:64], v[61:62]
	v_div_fmas_f64 v[57:58], v[57:58], v[59:60], v[63:64]
	v_div_fixup_f64 v[1:2], v[57:58], v[1:2], 1.0
	v_mul_f64 v[3:4], v[3:4], -v[1:2]
.LBB123_191:
	s_or_b32 exec_lo, exec_lo, s5
	ds_write2_b64 v255, v[1:2], v[3:4] offset1:1
.LBB123_192:
	s_or_b32 exec_lo, exec_lo, s6
	s_waitcnt lgkmcnt(0)
	s_barrier
	buffer_gl0_inv
	ds_read2_b64 v[57:60], v255 offset1:1
	s_mov_b32 s5, exec_lo
	v_cmpx_lt_u32_e32 14, v0
	s_cbranch_execz .LBB123_197
; %bb.193:
	s_clause 0x3
	buffer_load_dword v1, off, s[0:3], 0 offset:232
	buffer_load_dword v2, off, s[0:3], 0 offset:236
	;; [unrolled: 1-line block ×4, first 2 shown]
	s_movk_i32 s6, 0xf0
	s_waitcnt vmcnt(2) lgkmcnt(0)
	v_mul_f64 v[61:62], v[59:60], v[1:2]
	v_mul_f64 v[1:2], v[57:58], v[1:2]
	s_waitcnt vmcnt(0)
	v_fma_f64 v[61:62], v[57:58], v[3:4], -v[61:62]
	v_fma_f64 v[63:64], v[59:60], v[3:4], v[1:2]
	buffer_store_dword v61, off, s[0:3], 0 offset:224
	buffer_store_dword v62, off, s[0:3], 0 offset:228
	;; [unrolled: 1-line block ×4, first 2 shown]
	s_branch .LBB123_195
.LBB123_194:                            ;   in Loop: Header=BB123_195 Depth=1
	s_andn2_b32 vcc_lo, exec_lo, s8
	s_cbranch_vccz .LBB123_197
.LBB123_195:                            ; =>This Inner Loop Header: Depth=1
	v_mov_b32_e32 v5, s6
	v_add_nc_u32_e32 v1, s6, v245
	s_mov_b32 s7, s6
	s_mov_b32 s8, -1
	s_cmpk_eq_i32 s6, 0x3b0
	s_clause 0x3
	buffer_load_dword v2, v5, s[0:3], 0 offen
	buffer_load_dword v3, v5, s[0:3], 0 offen offset:4
	buffer_load_dword v73, v5, s[0:3], 0 offen offset:8
	;; [unrolled: 1-line block ×3, first 2 shown]
	ds_read2_b64 v[65:68], v1 offset1:1
	ds_read2_b64 v[69:72], v1 offset0:2 offset1:3
	s_waitcnt vmcnt(5) lgkmcnt(1)
	v_mul_f64 v[75:76], v[67:68], v[63:64]
	v_mul_f64 v[63:64], v[65:66], v[63:64]
	s_waitcnt vmcnt(4)
	v_fma_f64 v[65:66], v[65:66], v[61:62], -v[75:76]
	v_fma_f64 v[61:62], v[67:68], v[61:62], v[63:64]
	s_clause 0x2
	buffer_load_dword v4, v5, s[0:3], 0 offen offset:20
	buffer_load_dword v63, v5, s[0:3], 0 offen offset:28
	buffer_load_dword v67, v5, s[0:3], 0 offen offset:40
	s_waitcnt vmcnt(5)
	v_add_f64 v[2:3], v[2:3], -v[65:66]
	s_waitcnt vmcnt(3)
	v_add_f64 v[61:62], v[73:74], -v[61:62]
	buffer_store_dword v3, v5, s[0:3], 0 offen offset:4
	buffer_store_dword v2, v5, s[0:3], 0 offen
	buffer_store_dword v62, v5, s[0:3], 0 offen offset:12
	buffer_store_dword v61, v5, s[0:3], 0 offen offset:8
	s_clause 0x6
	buffer_load_dword v62, v5, s[0:3], 0 offen offset:24
	buffer_load_dword v66, v5, s[0:3], 0 offen offset:36
	buffer_load_dword v65, off, s[0:3], 0 offset:236
	buffer_load_dword v64, off, s[0:3], 0 offset:232
	;; [unrolled: 1-line block ×4, first 2 shown]
	buffer_load_dword v3, v5, s[0:3], 0 offen offset:16
	s_waitcnt vmcnt(3) lgkmcnt(0)
	v_mul_f64 v[75:76], v[71:72], v[64:65]
	v_mul_f64 v[64:65], v[69:70], v[64:65]
	s_waitcnt vmcnt(1)
	v_fma_f64 v[68:69], v[69:70], v[73:74], -v[75:76]
	v_fma_f64 v[64:65], v[71:72], v[73:74], v[64:65]
	s_waitcnt vmcnt(0)
	v_add_f64 v[2:3], v[3:4], -v[68:69]
	v_add_f64 v[61:62], v[62:63], -v[64:65]
	buffer_store_dword v3, v5, s[0:3], 0 offen offset:20
	buffer_store_dword v2, v5, s[0:3], 0 offen offset:16
	;; [unrolled: 1-line block ×4, first 2 shown]
	s_clause 0x5
	buffer_load_dword v68, v5, s[0:3], 0 offen offset:44
	buffer_load_dword v2, off, s[0:3], 0 offset:232
	buffer_load_dword v3, off, s[0:3], 0 offset:236
	buffer_load_dword v69, off, s[0:3], 0 offset:224
	buffer_load_dword v70, off, s[0:3], 0 offset:228
	buffer_load_dword v65, v5, s[0:3], 0 offen offset:32
	ds_read2_b64 v[61:64], v1 offset0:4 offset1:5
	s_waitcnt vmcnt(3) lgkmcnt(0)
	v_mul_f64 v[71:72], v[63:64], v[2:3]
	v_mul_f64 v[2:3], v[61:62], v[2:3]
	s_waitcnt vmcnt(1)
	v_fma_f64 v[61:62], v[61:62], v[69:70], -v[71:72]
	v_fma_f64 v[2:3], v[63:64], v[69:70], v[2:3]
                                        ; implicit-def: $vgpr63_vgpr64
	s_waitcnt vmcnt(0)
	v_add_f64 v[61:62], v[65:66], -v[61:62]
	v_add_f64 v[2:3], v[67:68], -v[2:3]
	buffer_store_dword v62, v5, s[0:3], 0 offen offset:36
	buffer_store_dword v61, v5, s[0:3], 0 offen offset:32
	;; [unrolled: 1-line block ×4, first 2 shown]
                                        ; implicit-def: $vgpr61_vgpr62
	s_cbranch_scc1 .LBB123_194
; %bb.196:                              ;   in Loop: Header=BB123_195 Depth=1
	s_clause 0x3
	buffer_load_dword v61, off, s[0:3], 0 offset:232
	buffer_load_dword v62, off, s[0:3], 0 offset:236
	;; [unrolled: 1-line block ×4, first 2 shown]
	v_mov_b32_e32 v5, s7
	s_add_i32 s6, s6, 64
	s_mov_b32 s8, 0
	s_clause 0x3
	buffer_load_dword v65, v5, s[0:3], 0 offen offset:48
	buffer_load_dword v66, v5, s[0:3], 0 offen offset:52
	;; [unrolled: 1-line block ×4, first 2 shown]
	ds_read2_b64 v[1:4], v1 offset0:6 offset1:7
	s_waitcnt vmcnt(6) lgkmcnt(0)
	v_mul_f64 v[69:70], v[3:4], v[61:62]
	v_mul_f64 v[61:62], v[1:2], v[61:62]
	s_waitcnt vmcnt(4)
	v_fma_f64 v[1:2], v[1:2], v[63:64], -v[69:70]
	v_fma_f64 v[3:4], v[3:4], v[63:64], v[61:62]
	s_waitcnt vmcnt(2)
	v_add_f64 v[1:2], v[65:66], -v[1:2]
	s_waitcnt vmcnt(0)
	v_add_f64 v[3:4], v[67:68], -v[3:4]
	buffer_store_dword v2, v5, s[0:3], 0 offen offset:52
	buffer_store_dword v1, v5, s[0:3], 0 offen offset:48
	;; [unrolled: 1-line block ×4, first 2 shown]
	s_clause 0x3
	buffer_load_dword v62, off, s[0:3], 0 offset:228
	buffer_load_dword v64, off, s[0:3], 0 offset:236
	;; [unrolled: 1-line block ×4, first 2 shown]
	s_branch .LBB123_194
.LBB123_197:
	s_or_b32 exec_lo, exec_lo, s5
	s_mov_b32 s6, exec_lo
	s_waitcnt vmcnt(0) lgkmcnt(0)
	s_waitcnt_vscnt null, 0x0
	s_barrier
	buffer_gl0_inv
	v_cmpx_eq_u32_e32 15, v0
	s_cbranch_execz .LBB123_206
; %bb.198:
	v_mov_b32_e32 v4, s60
	s_movk_i32 s5, 0x100
	s_clause 0x3
	buffer_load_dword v1, v4, s[0:3], 0 offen
	buffer_load_dword v2, v4, s[0:3], 0 offen offset:4
	buffer_load_dword v3, v4, s[0:3], 0 offen offset:8
	;; [unrolled: 1-line block ×3, first 2 shown]
	s_waitcnt vmcnt(0)
	ds_write2_b64 v255, v[1:2], v[3:4] offset1:1
	.p2align	6
.LBB123_199:                            ; =>This Inner Loop Header: Depth=1
	v_mov_b32_e32 v5, s5
	s_clause 0x7
	buffer_load_dword v1, v5, s[0:3], 0 offen
	buffer_load_dword v2, v5, s[0:3], 0 offen offset:4
	buffer_load_dword v3, v5, s[0:3], 0 offen offset:8
	;; [unrolled: 1-line block ×7, first 2 shown]
	v_add_nc_u32_e32 v5, s5, v245
	s_add_i32 s5, s5, 32
	s_waitcnt vmcnt(4)
	ds_write2_b64 v5, v[1:2], v[3:4] offset1:1
	s_waitcnt vmcnt(0)
	ds_write2_b64 v5, v[61:62], v[63:64] offset0:2 offset1:3
	s_cmpk_lg_i32 s5, 0x3e0
	s_cbranch_scc1 .LBB123_199
; %bb.200:
	ds_read2_b64 v[61:64], v255 offset1:1
	s_waitcnt lgkmcnt(0)
	v_cmp_neq_f64_e32 vcc_lo, 0, v[61:62]
	v_cmp_neq_f64_e64 s5, 0, v[63:64]
	s_or_b32 s5, vcc_lo, s5
	s_and_b32 exec_lo, exec_lo, s5
	s_cbranch_execz .LBB123_206
; %bb.201:
	v_cmp_ngt_f64_e64 s5, |v[61:62]|, |v[63:64]|
                                        ; implicit-def: $vgpr1_vgpr2
	s_and_saveexec_b32 s7, s5
	s_xor_b32 s5, exec_lo, s7
                                        ; implicit-def: $vgpr3_vgpr4
	s_cbranch_execz .LBB123_203
; %bb.202:
	v_div_scale_f64 v[1:2], null, v[63:64], v[63:64], v[61:62]
	v_div_scale_f64 v[67:68], vcc_lo, v[61:62], v[63:64], v[61:62]
	v_rcp_f64_e32 v[3:4], v[1:2]
	v_fma_f64 v[65:66], -v[1:2], v[3:4], 1.0
	v_fma_f64 v[3:4], v[3:4], v[65:66], v[3:4]
	v_fma_f64 v[65:66], -v[1:2], v[3:4], 1.0
	v_fma_f64 v[3:4], v[3:4], v[65:66], v[3:4]
	v_mul_f64 v[65:66], v[67:68], v[3:4]
	v_fma_f64 v[1:2], -v[1:2], v[65:66], v[67:68]
	v_div_fmas_f64 v[1:2], v[1:2], v[3:4], v[65:66]
	v_div_fixup_f64 v[1:2], v[1:2], v[63:64], v[61:62]
	v_fma_f64 v[3:4], v[61:62], v[1:2], v[63:64]
	v_div_scale_f64 v[61:62], null, v[3:4], v[3:4], 1.0
	v_rcp_f64_e32 v[63:64], v[61:62]
	v_fma_f64 v[65:66], -v[61:62], v[63:64], 1.0
	v_fma_f64 v[63:64], v[63:64], v[65:66], v[63:64]
	v_fma_f64 v[65:66], -v[61:62], v[63:64], 1.0
	v_fma_f64 v[63:64], v[63:64], v[65:66], v[63:64]
	v_div_scale_f64 v[65:66], vcc_lo, 1.0, v[3:4], 1.0
	v_mul_f64 v[67:68], v[65:66], v[63:64]
	v_fma_f64 v[61:62], -v[61:62], v[67:68], v[65:66]
	v_div_fmas_f64 v[61:62], v[61:62], v[63:64], v[67:68]
	v_div_fixup_f64 v[3:4], v[61:62], v[3:4], 1.0
                                        ; implicit-def: $vgpr61_vgpr62
	v_mul_f64 v[1:2], v[1:2], v[3:4]
	v_xor_b32_e32 v4, 0x80000000, v4
.LBB123_203:
	s_andn2_saveexec_b32 s5, s5
	s_cbranch_execz .LBB123_205
; %bb.204:
	v_div_scale_f64 v[1:2], null, v[61:62], v[61:62], v[63:64]
	v_div_scale_f64 v[67:68], vcc_lo, v[63:64], v[61:62], v[63:64]
	v_rcp_f64_e32 v[3:4], v[1:2]
	v_fma_f64 v[65:66], -v[1:2], v[3:4], 1.0
	v_fma_f64 v[3:4], v[3:4], v[65:66], v[3:4]
	v_fma_f64 v[65:66], -v[1:2], v[3:4], 1.0
	v_fma_f64 v[3:4], v[3:4], v[65:66], v[3:4]
	v_mul_f64 v[65:66], v[67:68], v[3:4]
	v_fma_f64 v[1:2], -v[1:2], v[65:66], v[67:68]
	v_div_fmas_f64 v[1:2], v[1:2], v[3:4], v[65:66]
	v_div_fixup_f64 v[3:4], v[1:2], v[61:62], v[63:64]
	v_fma_f64 v[1:2], v[63:64], v[3:4], v[61:62]
	v_div_scale_f64 v[61:62], null, v[1:2], v[1:2], 1.0
	v_rcp_f64_e32 v[63:64], v[61:62]
	v_fma_f64 v[65:66], -v[61:62], v[63:64], 1.0
	v_fma_f64 v[63:64], v[63:64], v[65:66], v[63:64]
	v_fma_f64 v[65:66], -v[61:62], v[63:64], 1.0
	v_fma_f64 v[63:64], v[63:64], v[65:66], v[63:64]
	v_div_scale_f64 v[65:66], vcc_lo, 1.0, v[1:2], 1.0
	v_mul_f64 v[67:68], v[65:66], v[63:64]
	v_fma_f64 v[61:62], -v[61:62], v[67:68], v[65:66]
	v_div_fmas_f64 v[61:62], v[61:62], v[63:64], v[67:68]
	v_div_fixup_f64 v[1:2], v[61:62], v[1:2], 1.0
	v_mul_f64 v[3:4], v[3:4], -v[1:2]
.LBB123_205:
	s_or_b32 exec_lo, exec_lo, s5
	ds_write2_b64 v255, v[1:2], v[3:4] offset1:1
.LBB123_206:
	s_or_b32 exec_lo, exec_lo, s6
	s_waitcnt lgkmcnt(0)
	s_barrier
	buffer_gl0_inv
	ds_read2_b64 v[61:64], v255 offset1:1
	s_mov_b32 s5, exec_lo
	v_cmpx_lt_u32_e32 15, v0
	s_cbranch_execz .LBB123_209
; %bb.207:
	s_clause 0x3
	buffer_load_dword v1, off, s[0:3], 0 offset:248
	buffer_load_dword v2, off, s[0:3], 0 offset:252
	;; [unrolled: 1-line block ×4, first 2 shown]
	s_movk_i32 s6, 0x100
	s_waitcnt vmcnt(2) lgkmcnt(0)
	v_mul_f64 v[65:66], v[63:64], v[1:2]
	v_mul_f64 v[1:2], v[61:62], v[1:2]
	s_waitcnt vmcnt(0)
	v_fma_f64 v[65:66], v[61:62], v[3:4], -v[65:66]
	v_fma_f64 v[1:2], v[63:64], v[3:4], v[1:2]
	buffer_store_dword v65, off, s[0:3], 0 offset:240
	buffer_store_dword v66, off, s[0:3], 0 offset:244
	;; [unrolled: 1-line block ×4, first 2 shown]
.LBB123_208:                            ; =>This Inner Loop Header: Depth=1
	s_clause 0x3
	buffer_load_dword v69, off, s[0:3], 0 offset:248
	buffer_load_dword v70, off, s[0:3], 0 offset:252
	;; [unrolled: 1-line block ×4, first 2 shown]
	v_mov_b32_e32 v5, s6
	v_add_nc_u32_e32 v6, s6, v245
	s_add_i32 s6, s6, 32
	s_clause 0x3
	buffer_load_dword v73, v5, s[0:3], 0 offen
	buffer_load_dword v74, v5, s[0:3], 0 offen offset:4
	buffer_load_dword v75, v5, s[0:3], 0 offen offset:8
	;; [unrolled: 1-line block ×3, first 2 shown]
	ds_read2_b64 v[1:4], v6 offset1:1
	ds_read2_b64 v[65:68], v6 offset0:2 offset1:3
	s_cmpk_lg_i32 s6, 0x3e0
	s_waitcnt vmcnt(6) lgkmcnt(1)
	v_mul_f64 v[77:78], v[3:4], v[69:70]
	v_mul_f64 v[69:70], v[1:2], v[69:70]
	s_waitcnt vmcnt(4)
	v_fma_f64 v[1:2], v[1:2], v[71:72], -v[77:78]
	v_fma_f64 v[3:4], v[3:4], v[71:72], v[69:70]
	s_clause 0x3
	buffer_load_dword v69, v5, s[0:3], 0 offen offset:16
	buffer_load_dword v70, v5, s[0:3], 0 offen offset:20
	;; [unrolled: 1-line block ×4, first 2 shown]
	s_waitcnt vmcnt(6)
	v_add_f64 v[1:2], v[73:74], -v[1:2]
	s_waitcnt vmcnt(4)
	v_add_f64 v[3:4], v[75:76], -v[3:4]
	buffer_store_dword v2, v5, s[0:3], 0 offen offset:4
	buffer_store_dword v1, v5, s[0:3], 0 offen
	buffer_store_dword v4, v5, s[0:3], 0 offen offset:12
	buffer_store_dword v3, v5, s[0:3], 0 offen offset:8
	s_clause 0x3
	buffer_load_dword v2, off, s[0:3], 0 offset:252
	buffer_load_dword v1, off, s[0:3], 0 offset:248
	;; [unrolled: 1-line block ×4, first 2 shown]
	s_waitcnt vmcnt(2) lgkmcnt(0)
	v_mul_f64 v[73:74], v[67:68], v[1:2]
	v_mul_f64 v[1:2], v[65:66], v[1:2]
	s_waitcnt vmcnt(0)
	v_fma_f64 v[65:66], v[65:66], v[3:4], -v[73:74]
	v_fma_f64 v[1:2], v[67:68], v[3:4], v[1:2]
	v_add_f64 v[3:4], v[69:70], -v[65:66]
	v_add_f64 v[1:2], v[71:72], -v[1:2]
	buffer_store_dword v4, v5, s[0:3], 0 offen offset:20
	buffer_store_dword v3, v5, s[0:3], 0 offen offset:16
	;; [unrolled: 1-line block ×4, first 2 shown]
	s_cbranch_scc1 .LBB123_208
.LBB123_209:
	s_or_b32 exec_lo, exec_lo, s5
	s_mov_b32 s6, exec_lo
	s_waitcnt lgkmcnt(0)
	s_waitcnt_vscnt null, 0x0
	s_barrier
	buffer_gl0_inv
	v_cmpx_eq_u32_e32 16, v0
	s_cbranch_execz .LBB123_218
; %bb.210:
	v_mov_b32_e32 v4, s59
	s_movk_i32 s5, 0x110
	s_clause 0x3
	buffer_load_dword v1, v4, s[0:3], 0 offen
	buffer_load_dword v2, v4, s[0:3], 0 offen offset:4
	buffer_load_dword v3, v4, s[0:3], 0 offen offset:8
	;; [unrolled: 1-line block ×3, first 2 shown]
	s_waitcnt vmcnt(0)
	ds_write2_b64 v255, v[1:2], v[3:4] offset1:1
.LBB123_211:                            ; =>This Inner Loop Header: Depth=1
	v_mov_b32_e32 v5, s5
	s_clause 0x3b
	buffer_load_dword v1, v5, s[0:3], 0 offen
	buffer_load_dword v2, v5, s[0:3], 0 offen offset:4
	buffer_load_dword v3, v5, s[0:3], 0 offen offset:8
	;; [unrolled: 1-line block ×59, first 2 shown]
	v_add_nc_u32_e32 v5, s5, v245
	s_addk_i32 s5, 0xf0
	s_waitcnt vmcnt(56)
	ds_write2_b64 v5, v[1:2], v[3:4] offset1:1
	s_waitcnt vmcnt(52)
	ds_write2_b64 v5, v[65:66], v[67:68] offset0:2 offset1:3
	s_waitcnt vmcnt(48)
	ds_write2_b64 v5, v[69:70], v[71:72] offset0:4 offset1:5
	;; [unrolled: 2-line block ×4, first 2 shown]
	ds_write2_b64 v5, v[81:82], v[79:80] offset0:10 offset1:11
	s_waitcnt vmcnt(28)
	ds_write2_b64 v5, v[91:92], v[85:86] offset0:12 offset1:13
	ds_write2_b64 v5, v[89:90], v[87:88] offset0:14 offset1:15
	s_waitcnt vmcnt(24)
	ds_write2_b64 v5, v[93:94], v[95:96] offset0:16 offset1:17
	s_waitcnt vmcnt(20)
	ds_write2_b64 v5, v[97:98], v[99:100] offset0:18 offset1:19
	s_waitcnt vmcnt(16)
	ds_write2_b64 v5, v[101:102], v[103:104] offset0:20 offset1:21
	s_waitcnt vmcnt(12)
	ds_write2_b64 v5, v[105:106], v[107:108] offset0:22 offset1:23
	s_waitcnt vmcnt(8)
	ds_write2_b64 v5, v[109:110], v[111:112] offset0:24 offset1:25
	s_waitcnt vmcnt(4)
	ds_write2_b64 v5, v[113:114], v[115:116] offset0:26 offset1:27
	s_waitcnt vmcnt(0)
	ds_write2_b64 v5, v[117:118], v[119:120] offset0:28 offset1:29
	s_cmpk_lg_i32 s5, 0x3e0
	s_cbranch_scc1 .LBB123_211
; %bb.212:
	ds_read2_b64 v[65:68], v255 offset1:1
	s_waitcnt lgkmcnt(0)
	v_cmp_neq_f64_e32 vcc_lo, 0, v[65:66]
	v_cmp_neq_f64_e64 s5, 0, v[67:68]
	s_or_b32 s5, vcc_lo, s5
	s_and_b32 exec_lo, exec_lo, s5
	s_cbranch_execz .LBB123_218
; %bb.213:
	v_cmp_ngt_f64_e64 s5, |v[65:66]|, |v[67:68]|
                                        ; implicit-def: $vgpr1_vgpr2
	s_and_saveexec_b32 s7, s5
	s_xor_b32 s5, exec_lo, s7
                                        ; implicit-def: $vgpr3_vgpr4
	s_cbranch_execz .LBB123_215
; %bb.214:
	v_div_scale_f64 v[1:2], null, v[67:68], v[67:68], v[65:66]
	v_div_scale_f64 v[71:72], vcc_lo, v[65:66], v[67:68], v[65:66]
	v_rcp_f64_e32 v[3:4], v[1:2]
	v_fma_f64 v[69:70], -v[1:2], v[3:4], 1.0
	v_fma_f64 v[3:4], v[3:4], v[69:70], v[3:4]
	v_fma_f64 v[69:70], -v[1:2], v[3:4], 1.0
	v_fma_f64 v[3:4], v[3:4], v[69:70], v[3:4]
	v_mul_f64 v[69:70], v[71:72], v[3:4]
	v_fma_f64 v[1:2], -v[1:2], v[69:70], v[71:72]
	v_div_fmas_f64 v[1:2], v[1:2], v[3:4], v[69:70]
	v_div_fixup_f64 v[1:2], v[1:2], v[67:68], v[65:66]
	v_fma_f64 v[3:4], v[65:66], v[1:2], v[67:68]
	v_div_scale_f64 v[65:66], null, v[3:4], v[3:4], 1.0
	v_rcp_f64_e32 v[67:68], v[65:66]
	v_fma_f64 v[69:70], -v[65:66], v[67:68], 1.0
	v_fma_f64 v[67:68], v[67:68], v[69:70], v[67:68]
	v_fma_f64 v[69:70], -v[65:66], v[67:68], 1.0
	v_fma_f64 v[67:68], v[67:68], v[69:70], v[67:68]
	v_div_scale_f64 v[69:70], vcc_lo, 1.0, v[3:4], 1.0
	v_mul_f64 v[71:72], v[69:70], v[67:68]
	v_fma_f64 v[65:66], -v[65:66], v[71:72], v[69:70]
	v_div_fmas_f64 v[65:66], v[65:66], v[67:68], v[71:72]
	v_div_fixup_f64 v[3:4], v[65:66], v[3:4], 1.0
                                        ; implicit-def: $vgpr65_vgpr66
	v_mul_f64 v[1:2], v[1:2], v[3:4]
	v_xor_b32_e32 v4, 0x80000000, v4
.LBB123_215:
	s_andn2_saveexec_b32 s5, s5
	s_cbranch_execz .LBB123_217
; %bb.216:
	v_div_scale_f64 v[1:2], null, v[65:66], v[65:66], v[67:68]
	v_div_scale_f64 v[71:72], vcc_lo, v[67:68], v[65:66], v[67:68]
	v_rcp_f64_e32 v[3:4], v[1:2]
	v_fma_f64 v[69:70], -v[1:2], v[3:4], 1.0
	v_fma_f64 v[3:4], v[3:4], v[69:70], v[3:4]
	v_fma_f64 v[69:70], -v[1:2], v[3:4], 1.0
	v_fma_f64 v[3:4], v[3:4], v[69:70], v[3:4]
	v_mul_f64 v[69:70], v[71:72], v[3:4]
	v_fma_f64 v[1:2], -v[1:2], v[69:70], v[71:72]
	v_div_fmas_f64 v[1:2], v[1:2], v[3:4], v[69:70]
	v_div_fixup_f64 v[3:4], v[1:2], v[65:66], v[67:68]
	v_fma_f64 v[1:2], v[67:68], v[3:4], v[65:66]
	v_div_scale_f64 v[65:66], null, v[1:2], v[1:2], 1.0
	v_rcp_f64_e32 v[67:68], v[65:66]
	v_fma_f64 v[69:70], -v[65:66], v[67:68], 1.0
	v_fma_f64 v[67:68], v[67:68], v[69:70], v[67:68]
	v_fma_f64 v[69:70], -v[65:66], v[67:68], 1.0
	v_fma_f64 v[67:68], v[67:68], v[69:70], v[67:68]
	v_div_scale_f64 v[69:70], vcc_lo, 1.0, v[1:2], 1.0
	v_mul_f64 v[71:72], v[69:70], v[67:68]
	v_fma_f64 v[65:66], -v[65:66], v[71:72], v[69:70]
	v_div_fmas_f64 v[65:66], v[65:66], v[67:68], v[71:72]
	v_div_fixup_f64 v[1:2], v[65:66], v[1:2], 1.0
	v_mul_f64 v[3:4], v[3:4], -v[1:2]
.LBB123_217:
	s_or_b32 exec_lo, exec_lo, s5
	ds_write2_b64 v255, v[1:2], v[3:4] offset1:1
.LBB123_218:
	s_or_b32 exec_lo, exec_lo, s6
	s_waitcnt lgkmcnt(0)
	s_barrier
	buffer_gl0_inv
	ds_read2_b64 v[65:68], v255 offset1:1
	s_mov_b32 s5, exec_lo
	v_cmpx_lt_u32_e32 16, v0
	s_cbranch_execz .LBB123_221
; %bb.219:
	s_clause 0x3
	buffer_load_dword v1, off, s[0:3], 0 offset:264
	buffer_load_dword v2, off, s[0:3], 0 offset:268
	;; [unrolled: 1-line block ×4, first 2 shown]
	s_movk_i32 s6, 0x110
	s_waitcnt vmcnt(2) lgkmcnt(0)
	v_mul_f64 v[69:70], v[67:68], v[1:2]
	v_mul_f64 v[1:2], v[65:66], v[1:2]
	s_waitcnt vmcnt(0)
	v_fma_f64 v[69:70], v[65:66], v[3:4], -v[69:70]
	v_fma_f64 v[1:2], v[67:68], v[3:4], v[1:2]
	buffer_store_dword v69, off, s[0:3], 0 offset:256
	buffer_store_dword v70, off, s[0:3], 0 offset:260
	;; [unrolled: 1-line block ×4, first 2 shown]
.LBB123_220:                            ; =>This Inner Loop Header: Depth=1
	s_clause 0x3
	buffer_load_dword v73, off, s[0:3], 0 offset:264
	buffer_load_dword v74, off, s[0:3], 0 offset:268
	;; [unrolled: 1-line block ×4, first 2 shown]
	v_mov_b32_e32 v5, s6
	v_add_nc_u32_e32 v6, s6, v245
	s_addk_i32 s6, 0x50
	s_clause 0x3
	buffer_load_dword v77, v5, s[0:3], 0 offen
	buffer_load_dword v78, v5, s[0:3], 0 offen offset:4
	buffer_load_dword v79, v5, s[0:3], 0 offen offset:8
	;; [unrolled: 1-line block ×3, first 2 shown]
	ds_read2_b64 v[1:4], v6 offset1:1
	ds_read2_b64 v[69:72], v6 offset0:2 offset1:3
	s_cmpk_lg_i32 s6, 0x3e0
	s_waitcnt vmcnt(6) lgkmcnt(1)
	v_mul_f64 v[81:82], v[3:4], v[73:74]
	v_mul_f64 v[73:74], v[1:2], v[73:74]
	s_waitcnt vmcnt(4)
	v_fma_f64 v[1:2], v[1:2], v[75:76], -v[81:82]
	v_fma_f64 v[3:4], v[3:4], v[75:76], v[73:74]
	s_clause 0x3
	buffer_load_dword v73, v5, s[0:3], 0 offen offset:16
	buffer_load_dword v74, v5, s[0:3], 0 offen offset:20
	;; [unrolled: 1-line block ×4, first 2 shown]
	s_waitcnt vmcnt(6)
	v_add_f64 v[1:2], v[77:78], -v[1:2]
	s_waitcnt vmcnt(4)
	v_add_f64 v[3:4], v[79:80], -v[3:4]
	buffer_store_dword v2, v5, s[0:3], 0 offen offset:4
	buffer_store_dword v1, v5, s[0:3], 0 offen
	buffer_store_dword v4, v5, s[0:3], 0 offen offset:12
	buffer_store_dword v3, v5, s[0:3], 0 offen offset:8
	s_clause 0x3
	buffer_load_dword v2, off, s[0:3], 0 offset:268
	buffer_load_dword v1, off, s[0:3], 0 offset:264
	;; [unrolled: 1-line block ×4, first 2 shown]
	s_waitcnt vmcnt(2) lgkmcnt(0)
	v_mul_f64 v[77:78], v[71:72], v[1:2]
	v_mul_f64 v[1:2], v[69:70], v[1:2]
	s_waitcnt vmcnt(0)
	v_fma_f64 v[69:70], v[69:70], v[3:4], -v[77:78]
	v_fma_f64 v[1:2], v[71:72], v[3:4], v[1:2]
	v_add_f64 v[3:4], v[73:74], -v[69:70]
	v_add_f64 v[1:2], v[75:76], -v[1:2]
	s_clause 0x3
	buffer_load_dword v73, v5, s[0:3], 0 offen offset:32
	buffer_load_dword v74, v5, s[0:3], 0 offen offset:36
	buffer_load_dword v75, v5, s[0:3], 0 offen offset:40
	buffer_load_dword v76, v5, s[0:3], 0 offen offset:44
	buffer_store_dword v4, v5, s[0:3], 0 offen offset:20
	buffer_store_dword v3, v5, s[0:3], 0 offen offset:16
	;; [unrolled: 1-line block ×4, first 2 shown]
	s_clause 0x3
	buffer_load_dword v77, off, s[0:3], 0 offset:264
	buffer_load_dword v78, off, s[0:3], 0 offset:268
	;; [unrolled: 1-line block ×4, first 2 shown]
	ds_read2_b64 v[1:4], v6 offset0:4 offset1:5
	ds_read2_b64 v[69:72], v6 offset0:6 offset1:7
	s_waitcnt vmcnt(2) lgkmcnt(1)
	v_mul_f64 v[81:82], v[3:4], v[77:78]
	v_mul_f64 v[77:78], v[1:2], v[77:78]
	s_waitcnt vmcnt(0)
	v_fma_f64 v[1:2], v[1:2], v[79:80], -v[81:82]
	v_fma_f64 v[3:4], v[3:4], v[79:80], v[77:78]
	v_add_f64 v[1:2], v[73:74], -v[1:2]
	v_add_f64 v[3:4], v[75:76], -v[3:4]
	buffer_store_dword v2, v5, s[0:3], 0 offen offset:36
	buffer_store_dword v1, v5, s[0:3], 0 offen offset:32
	;; [unrolled: 1-line block ×4, first 2 shown]
	s_clause 0x7
	buffer_load_dword v1, off, s[0:3], 0 offset:264
	buffer_load_dword v2, off, s[0:3], 0 offset:268
	;; [unrolled: 1-line block ×4, first 2 shown]
	buffer_load_dword v73, v5, s[0:3], 0 offen offset:48
	buffer_load_dword v74, v5, s[0:3], 0 offen offset:52
	;; [unrolled: 1-line block ×4, first 2 shown]
	s_waitcnt vmcnt(6) lgkmcnt(0)
	v_mul_f64 v[77:78], v[71:72], v[1:2]
	v_mul_f64 v[1:2], v[69:70], v[1:2]
	s_waitcnt vmcnt(4)
	v_fma_f64 v[69:70], v[69:70], v[3:4], -v[77:78]
	v_fma_f64 v[1:2], v[71:72], v[3:4], v[1:2]
	s_waitcnt vmcnt(2)
	v_add_f64 v[3:4], v[73:74], -v[69:70]
	s_waitcnt vmcnt(0)
	v_add_f64 v[1:2], v[75:76], -v[1:2]
	buffer_store_dword v4, v5, s[0:3], 0 offen offset:52
	buffer_store_dword v3, v5, s[0:3], 0 offen offset:48
	;; [unrolled: 1-line block ×4, first 2 shown]
	s_clause 0x7
	buffer_load_dword v69, off, s[0:3], 0 offset:264
	buffer_load_dword v70, off, s[0:3], 0 offset:268
	;; [unrolled: 1-line block ×4, first 2 shown]
	buffer_load_dword v73, v5, s[0:3], 0 offen offset:64
	buffer_load_dword v74, v5, s[0:3], 0 offen offset:68
	;; [unrolled: 1-line block ×4, first 2 shown]
	ds_read2_b64 v[1:4], v6 offset0:8 offset1:9
	s_waitcnt vmcnt(6) lgkmcnt(0)
	v_mul_f64 v[77:78], v[3:4], v[69:70]
	v_mul_f64 v[69:70], v[1:2], v[69:70]
	s_waitcnt vmcnt(4)
	v_fma_f64 v[1:2], v[1:2], v[71:72], -v[77:78]
	v_fma_f64 v[3:4], v[3:4], v[71:72], v[69:70]
	s_waitcnt vmcnt(2)
	v_add_f64 v[1:2], v[73:74], -v[1:2]
	s_waitcnt vmcnt(0)
	v_add_f64 v[3:4], v[75:76], -v[3:4]
	buffer_store_dword v2, v5, s[0:3], 0 offen offset:68
	buffer_store_dword v1, v5, s[0:3], 0 offen offset:64
	;; [unrolled: 1-line block ×4, first 2 shown]
	s_cbranch_scc1 .LBB123_220
.LBB123_221:
	s_or_b32 exec_lo, exec_lo, s5
	s_mov_b32 s6, exec_lo
	s_waitcnt lgkmcnt(0)
	s_waitcnt_vscnt null, 0x0
	s_barrier
	buffer_gl0_inv
	v_cmpx_eq_u32_e32 17, v0
	s_cbranch_execz .LBB123_230
; %bb.222:
	v_mov_b32_e32 v4, s58
	s_movk_i32 s5, 0x120
	s_clause 0x3
	buffer_load_dword v1, v4, s[0:3], 0 offen
	buffer_load_dword v2, v4, s[0:3], 0 offen offset:4
	buffer_load_dword v3, v4, s[0:3], 0 offen offset:8
	;; [unrolled: 1-line block ×3, first 2 shown]
	s_waitcnt vmcnt(0)
	ds_write2_b64 v255, v[1:2], v[3:4] offset1:1
.LBB123_223:                            ; =>This Inner Loop Header: Depth=1
	v_mov_b32_e32 v5, s5
	s_clause 0x2b
	buffer_load_dword v1, v5, s[0:3], 0 offen
	buffer_load_dword v2, v5, s[0:3], 0 offen offset:4
	buffer_load_dword v3, v5, s[0:3], 0 offen offset:8
	;; [unrolled: 1-line block ×43, first 2 shown]
	v_add_nc_u32_e32 v5, s5, v245
	s_addk_i32 s5, 0xb0
	s_waitcnt vmcnt(40)
	ds_write2_b64 v5, v[1:2], v[3:4] offset1:1
	s_waitcnt vmcnt(36)
	ds_write2_b64 v5, v[69:70], v[71:72] offset0:2 offset1:3
	s_waitcnt vmcnt(32)
	ds_write2_b64 v5, v[73:74], v[75:76] offset0:4 offset1:5
	;; [unrolled: 2-line block ×4, first 2 shown]
	ds_write2_b64 v5, v[85:86], v[83:84] offset0:10 offset1:11
	s_waitcnt vmcnt(12)
	ds_write2_b64 v5, v[95:96], v[89:90] offset0:12 offset1:13
	ds_write2_b64 v5, v[93:94], v[91:92] offset0:14 offset1:15
	s_waitcnt vmcnt(8)
	ds_write2_b64 v5, v[97:98], v[99:100] offset0:16 offset1:17
	s_waitcnt vmcnt(4)
	;; [unrolled: 2-line block ×3, first 2 shown]
	ds_write2_b64 v5, v[105:106], v[107:108] offset0:20 offset1:21
	s_cmpk_lg_i32 s5, 0x3e0
	s_cbranch_scc1 .LBB123_223
; %bb.224:
	ds_read2_b64 v[69:72], v255 offset1:1
	s_waitcnt lgkmcnt(0)
	v_cmp_neq_f64_e32 vcc_lo, 0, v[69:70]
	v_cmp_neq_f64_e64 s5, 0, v[71:72]
	s_or_b32 s5, vcc_lo, s5
	s_and_b32 exec_lo, exec_lo, s5
	s_cbranch_execz .LBB123_230
; %bb.225:
	v_cmp_ngt_f64_e64 s5, |v[69:70]|, |v[71:72]|
                                        ; implicit-def: $vgpr1_vgpr2
	s_and_saveexec_b32 s7, s5
	s_xor_b32 s5, exec_lo, s7
                                        ; implicit-def: $vgpr3_vgpr4
	s_cbranch_execz .LBB123_227
; %bb.226:
	v_div_scale_f64 v[1:2], null, v[71:72], v[71:72], v[69:70]
	v_div_scale_f64 v[75:76], vcc_lo, v[69:70], v[71:72], v[69:70]
	v_rcp_f64_e32 v[3:4], v[1:2]
	v_fma_f64 v[73:74], -v[1:2], v[3:4], 1.0
	v_fma_f64 v[3:4], v[3:4], v[73:74], v[3:4]
	v_fma_f64 v[73:74], -v[1:2], v[3:4], 1.0
	v_fma_f64 v[3:4], v[3:4], v[73:74], v[3:4]
	v_mul_f64 v[73:74], v[75:76], v[3:4]
	v_fma_f64 v[1:2], -v[1:2], v[73:74], v[75:76]
	v_div_fmas_f64 v[1:2], v[1:2], v[3:4], v[73:74]
	v_div_fixup_f64 v[1:2], v[1:2], v[71:72], v[69:70]
	v_fma_f64 v[3:4], v[69:70], v[1:2], v[71:72]
	v_div_scale_f64 v[69:70], null, v[3:4], v[3:4], 1.0
	v_rcp_f64_e32 v[71:72], v[69:70]
	v_fma_f64 v[73:74], -v[69:70], v[71:72], 1.0
	v_fma_f64 v[71:72], v[71:72], v[73:74], v[71:72]
	v_fma_f64 v[73:74], -v[69:70], v[71:72], 1.0
	v_fma_f64 v[71:72], v[71:72], v[73:74], v[71:72]
	v_div_scale_f64 v[73:74], vcc_lo, 1.0, v[3:4], 1.0
	v_mul_f64 v[75:76], v[73:74], v[71:72]
	v_fma_f64 v[69:70], -v[69:70], v[75:76], v[73:74]
	v_div_fmas_f64 v[69:70], v[69:70], v[71:72], v[75:76]
	v_div_fixup_f64 v[3:4], v[69:70], v[3:4], 1.0
                                        ; implicit-def: $vgpr69_vgpr70
	v_mul_f64 v[1:2], v[1:2], v[3:4]
	v_xor_b32_e32 v4, 0x80000000, v4
.LBB123_227:
	s_andn2_saveexec_b32 s5, s5
	s_cbranch_execz .LBB123_229
; %bb.228:
	v_div_scale_f64 v[1:2], null, v[69:70], v[69:70], v[71:72]
	v_div_scale_f64 v[75:76], vcc_lo, v[71:72], v[69:70], v[71:72]
	v_rcp_f64_e32 v[3:4], v[1:2]
	v_fma_f64 v[73:74], -v[1:2], v[3:4], 1.0
	v_fma_f64 v[3:4], v[3:4], v[73:74], v[3:4]
	v_fma_f64 v[73:74], -v[1:2], v[3:4], 1.0
	v_fma_f64 v[3:4], v[3:4], v[73:74], v[3:4]
	v_mul_f64 v[73:74], v[75:76], v[3:4]
	v_fma_f64 v[1:2], -v[1:2], v[73:74], v[75:76]
	v_div_fmas_f64 v[1:2], v[1:2], v[3:4], v[73:74]
	v_div_fixup_f64 v[3:4], v[1:2], v[69:70], v[71:72]
	v_fma_f64 v[1:2], v[71:72], v[3:4], v[69:70]
	v_div_scale_f64 v[69:70], null, v[1:2], v[1:2], 1.0
	v_rcp_f64_e32 v[71:72], v[69:70]
	v_fma_f64 v[73:74], -v[69:70], v[71:72], 1.0
	v_fma_f64 v[71:72], v[71:72], v[73:74], v[71:72]
	v_fma_f64 v[73:74], -v[69:70], v[71:72], 1.0
	v_fma_f64 v[71:72], v[71:72], v[73:74], v[71:72]
	v_div_scale_f64 v[73:74], vcc_lo, 1.0, v[1:2], 1.0
	v_mul_f64 v[75:76], v[73:74], v[71:72]
	v_fma_f64 v[69:70], -v[69:70], v[75:76], v[73:74]
	v_div_fmas_f64 v[69:70], v[69:70], v[71:72], v[75:76]
	v_div_fixup_f64 v[1:2], v[69:70], v[1:2], 1.0
	v_mul_f64 v[3:4], v[3:4], -v[1:2]
.LBB123_229:
	s_or_b32 exec_lo, exec_lo, s5
	ds_write2_b64 v255, v[1:2], v[3:4] offset1:1
.LBB123_230:
	s_or_b32 exec_lo, exec_lo, s6
	s_waitcnt lgkmcnt(0)
	s_barrier
	buffer_gl0_inv
	ds_read2_b64 v[69:72], v255 offset1:1
	s_mov_b32 s5, exec_lo
	v_cmpx_lt_u32_e32 17, v0
	s_cbranch_execz .LBB123_233
; %bb.231:
	s_clause 0x3
	buffer_load_dword v1, off, s[0:3], 0 offset:280
	buffer_load_dword v2, off, s[0:3], 0 offset:284
	;; [unrolled: 1-line block ×4, first 2 shown]
	s_movk_i32 s6, 0x120
	s_waitcnt vmcnt(2) lgkmcnt(0)
	v_mul_f64 v[73:74], v[71:72], v[1:2]
	v_mul_f64 v[1:2], v[69:70], v[1:2]
	s_waitcnt vmcnt(0)
	v_fma_f64 v[73:74], v[69:70], v[3:4], -v[73:74]
	v_fma_f64 v[1:2], v[71:72], v[3:4], v[1:2]
	buffer_store_dword v73, off, s[0:3], 0 offset:272
	buffer_store_dword v74, off, s[0:3], 0 offset:276
	;; [unrolled: 1-line block ×4, first 2 shown]
.LBB123_232:                            ; =>This Inner Loop Header: Depth=1
	s_clause 0x3
	buffer_load_dword v77, off, s[0:3], 0 offset:280
	buffer_load_dword v78, off, s[0:3], 0 offset:284
	;; [unrolled: 1-line block ×4, first 2 shown]
	v_mov_b32_e32 v5, s6
	v_add_nc_u32_e32 v6, s6, v245
	s_add_i32 s6, s6, 64
	s_clause 0x3
	buffer_load_dword v81, v5, s[0:3], 0 offen
	buffer_load_dword v82, v5, s[0:3], 0 offen offset:4
	buffer_load_dword v83, v5, s[0:3], 0 offen offset:8
	;; [unrolled: 1-line block ×3, first 2 shown]
	ds_read2_b64 v[1:4], v6 offset1:1
	ds_read2_b64 v[73:76], v6 offset0:2 offset1:3
	s_cmpk_lg_i32 s6, 0x3e0
	s_waitcnt vmcnt(6) lgkmcnt(1)
	v_mul_f64 v[85:86], v[3:4], v[77:78]
	v_mul_f64 v[77:78], v[1:2], v[77:78]
	s_waitcnt vmcnt(4)
	v_fma_f64 v[1:2], v[1:2], v[79:80], -v[85:86]
	v_fma_f64 v[3:4], v[3:4], v[79:80], v[77:78]
	s_clause 0x3
	buffer_load_dword v77, v5, s[0:3], 0 offen offset:16
	buffer_load_dword v78, v5, s[0:3], 0 offen offset:20
	;; [unrolled: 1-line block ×4, first 2 shown]
	s_waitcnt vmcnt(6)
	v_add_f64 v[1:2], v[81:82], -v[1:2]
	s_waitcnt vmcnt(4)
	v_add_f64 v[3:4], v[83:84], -v[3:4]
	buffer_store_dword v2, v5, s[0:3], 0 offen offset:4
	buffer_store_dword v1, v5, s[0:3], 0 offen
	buffer_store_dword v4, v5, s[0:3], 0 offen offset:12
	buffer_store_dword v3, v5, s[0:3], 0 offen offset:8
	s_clause 0x3
	buffer_load_dword v2, off, s[0:3], 0 offset:284
	buffer_load_dword v1, off, s[0:3], 0 offset:280
	;; [unrolled: 1-line block ×4, first 2 shown]
	s_waitcnt vmcnt(2) lgkmcnt(0)
	v_mul_f64 v[81:82], v[75:76], v[1:2]
	v_mul_f64 v[1:2], v[73:74], v[1:2]
	s_waitcnt vmcnt(0)
	v_fma_f64 v[73:74], v[73:74], v[3:4], -v[81:82]
	v_fma_f64 v[1:2], v[75:76], v[3:4], v[1:2]
	v_add_f64 v[3:4], v[77:78], -v[73:74]
	v_add_f64 v[1:2], v[79:80], -v[1:2]
	s_clause 0x3
	buffer_load_dword v77, v5, s[0:3], 0 offen offset:32
	buffer_load_dword v78, v5, s[0:3], 0 offen offset:36
	buffer_load_dword v79, v5, s[0:3], 0 offen offset:40
	buffer_load_dword v80, v5, s[0:3], 0 offen offset:44
	buffer_store_dword v4, v5, s[0:3], 0 offen offset:20
	buffer_store_dword v3, v5, s[0:3], 0 offen offset:16
	;; [unrolled: 1-line block ×4, first 2 shown]
	s_clause 0x3
	buffer_load_dword v81, off, s[0:3], 0 offset:280
	buffer_load_dword v82, off, s[0:3], 0 offset:284
	;; [unrolled: 1-line block ×4, first 2 shown]
	ds_read2_b64 v[1:4], v6 offset0:4 offset1:5
	ds_read2_b64 v[73:76], v6 offset0:6 offset1:7
	s_waitcnt vmcnt(2) lgkmcnt(1)
	v_mul_f64 v[85:86], v[3:4], v[81:82]
	v_mul_f64 v[81:82], v[1:2], v[81:82]
	s_waitcnt vmcnt(0)
	v_fma_f64 v[1:2], v[1:2], v[83:84], -v[85:86]
	v_fma_f64 v[3:4], v[3:4], v[83:84], v[81:82]
	v_add_f64 v[1:2], v[77:78], -v[1:2]
	v_add_f64 v[3:4], v[79:80], -v[3:4]
	buffer_store_dword v2, v5, s[0:3], 0 offen offset:36
	buffer_store_dword v1, v5, s[0:3], 0 offen offset:32
	;; [unrolled: 1-line block ×4, first 2 shown]
	s_clause 0x7
	buffer_load_dword v1, off, s[0:3], 0 offset:280
	buffer_load_dword v2, off, s[0:3], 0 offset:284
	;; [unrolled: 1-line block ×4, first 2 shown]
	buffer_load_dword v77, v5, s[0:3], 0 offen offset:48
	buffer_load_dword v78, v5, s[0:3], 0 offen offset:52
	;; [unrolled: 1-line block ×4, first 2 shown]
	s_waitcnt vmcnt(6) lgkmcnt(0)
	v_mul_f64 v[81:82], v[75:76], v[1:2]
	v_mul_f64 v[1:2], v[73:74], v[1:2]
	s_waitcnt vmcnt(4)
	v_fma_f64 v[73:74], v[73:74], v[3:4], -v[81:82]
	v_fma_f64 v[1:2], v[75:76], v[3:4], v[1:2]
	s_waitcnt vmcnt(2)
	v_add_f64 v[3:4], v[77:78], -v[73:74]
	s_waitcnt vmcnt(0)
	v_add_f64 v[1:2], v[79:80], -v[1:2]
	buffer_store_dword v4, v5, s[0:3], 0 offen offset:52
	buffer_store_dword v3, v5, s[0:3], 0 offen offset:48
	;; [unrolled: 1-line block ×4, first 2 shown]
	s_cbranch_scc1 .LBB123_232
.LBB123_233:
	s_or_b32 exec_lo, exec_lo, s5
	s_mov_b32 s6, exec_lo
	s_waitcnt lgkmcnt(0)
	s_waitcnt_vscnt null, 0x0
	s_barrier
	buffer_gl0_inv
	v_cmpx_eq_u32_e32 18, v0
	s_cbranch_execz .LBB123_244
; %bb.234:
	v_mov_b32_e32 v4, s57
	s_movk_i32 s5, 0x130
	s_clause 0x3
	buffer_load_dword v1, v4, s[0:3], 0 offen
	buffer_load_dword v2, v4, s[0:3], 0 offen offset:4
	buffer_load_dword v3, v4, s[0:3], 0 offen offset:8
	;; [unrolled: 1-line block ×3, first 2 shown]
	s_waitcnt vmcnt(0)
	ds_write2_b64 v255, v[1:2], v[3:4] offset1:1
	s_branch .LBB123_236
.LBB123_235:                            ;   in Loop: Header=BB123_236 Depth=1
	s_andn2_b32 vcc_lo, exec_lo, s8
	s_cbranch_vccz .LBB123_238
.LBB123_236:                            ; =>This Inner Loop Header: Depth=1
	v_mov_b32_e32 v1, s5
	s_mov_b32 s7, s5
	s_mov_b32 s8, -1
	s_cmpk_eq_i32 s5, 0x3b0
	s_clause 0xb
	buffer_load_dword v2, v1, s[0:3], 0 offen
	buffer_load_dword v3, v1, s[0:3], 0 offen offset:4
	buffer_load_dword v73, v1, s[0:3], 0 offen offset:8
	;; [unrolled: 1-line block ×11, first 2 shown]
	v_add_nc_u32_e32 v1, s5, v245
	s_waitcnt vmcnt(8)
	ds_write2_b64 v1, v[2:3], v[73:74] offset1:1
	s_waitcnt vmcnt(4)
	ds_write2_b64 v1, v[75:76], v[77:78] offset0:2 offset1:3
	s_waitcnt vmcnt(0)
	ds_write2_b64 v1, v[79:80], v[81:82] offset0:4 offset1:5
	s_cbranch_scc1 .LBB123_235
; %bb.237:                              ;   in Loop: Header=BB123_236 Depth=1
	v_mov_b32_e32 v4, s7
	s_addk_i32 s5, 0x80
	s_mov_b32 s8, 0
	s_clause 0x13
	buffer_load_dword v2, v4, s[0:3], 0 offen offset:48
	buffer_load_dword v3, v4, s[0:3], 0 offen offset:52
	buffer_load_dword v73, v4, s[0:3], 0 offen offset:56
	buffer_load_dword v74, v4, s[0:3], 0 offen offset:60
	buffer_load_dword v75, v4, s[0:3], 0 offen offset:64
	buffer_load_dword v76, v4, s[0:3], 0 offen offset:68
	buffer_load_dword v77, v4, s[0:3], 0 offen offset:72
	buffer_load_dword v78, v4, s[0:3], 0 offen offset:76
	buffer_load_dword v79, v4, s[0:3], 0 offen offset:80
	buffer_load_dword v80, v4, s[0:3], 0 offen offset:84
	buffer_load_dword v81, v4, s[0:3], 0 offen offset:88
	buffer_load_dword v82, v4, s[0:3], 0 offen offset:92
	buffer_load_dword v83, v4, s[0:3], 0 offen offset:96
	buffer_load_dword v84, v4, s[0:3], 0 offen offset:100
	buffer_load_dword v85, v4, s[0:3], 0 offen offset:104
	buffer_load_dword v86, v4, s[0:3], 0 offen offset:108
	buffer_load_dword v88, v4, s[0:3], 0 offen offset:124
	buffer_load_dword v87, v4, s[0:3], 0 offen offset:120
	buffer_load_dword v90, v4, s[0:3], 0 offen offset:116
	buffer_load_dword v89, v4, s[0:3], 0 offen offset:112
	s_waitcnt vmcnt(16)
	ds_write2_b64 v1, v[2:3], v[73:74] offset0:6 offset1:7
	s_waitcnt vmcnt(12)
	ds_write2_b64 v1, v[75:76], v[77:78] offset0:8 offset1:9
	;; [unrolled: 2-line block ×5, first 2 shown]
	s_branch .LBB123_235
.LBB123_238:
	ds_read2_b64 v[73:76], v255 offset1:1
	s_waitcnt lgkmcnt(0)
	v_cmp_neq_f64_e32 vcc_lo, 0, v[73:74]
	v_cmp_neq_f64_e64 s5, 0, v[75:76]
	s_or_b32 s5, vcc_lo, s5
	s_and_b32 exec_lo, exec_lo, s5
	s_cbranch_execz .LBB123_244
; %bb.239:
	v_cmp_ngt_f64_e64 s5, |v[73:74]|, |v[75:76]|
                                        ; implicit-def: $vgpr1_vgpr2
	s_and_saveexec_b32 s7, s5
	s_xor_b32 s5, exec_lo, s7
                                        ; implicit-def: $vgpr3_vgpr4
	s_cbranch_execz .LBB123_241
; %bb.240:
	v_div_scale_f64 v[1:2], null, v[75:76], v[75:76], v[73:74]
	v_div_scale_f64 v[79:80], vcc_lo, v[73:74], v[75:76], v[73:74]
	v_rcp_f64_e32 v[3:4], v[1:2]
	v_fma_f64 v[77:78], -v[1:2], v[3:4], 1.0
	v_fma_f64 v[3:4], v[3:4], v[77:78], v[3:4]
	v_fma_f64 v[77:78], -v[1:2], v[3:4], 1.0
	v_fma_f64 v[3:4], v[3:4], v[77:78], v[3:4]
	v_mul_f64 v[77:78], v[79:80], v[3:4]
	v_fma_f64 v[1:2], -v[1:2], v[77:78], v[79:80]
	v_div_fmas_f64 v[1:2], v[1:2], v[3:4], v[77:78]
	v_div_fixup_f64 v[1:2], v[1:2], v[75:76], v[73:74]
	v_fma_f64 v[3:4], v[73:74], v[1:2], v[75:76]
	v_div_scale_f64 v[73:74], null, v[3:4], v[3:4], 1.0
	v_rcp_f64_e32 v[75:76], v[73:74]
	v_fma_f64 v[77:78], -v[73:74], v[75:76], 1.0
	v_fma_f64 v[75:76], v[75:76], v[77:78], v[75:76]
	v_fma_f64 v[77:78], -v[73:74], v[75:76], 1.0
	v_fma_f64 v[75:76], v[75:76], v[77:78], v[75:76]
	v_div_scale_f64 v[77:78], vcc_lo, 1.0, v[3:4], 1.0
	v_mul_f64 v[79:80], v[77:78], v[75:76]
	v_fma_f64 v[73:74], -v[73:74], v[79:80], v[77:78]
	v_div_fmas_f64 v[73:74], v[73:74], v[75:76], v[79:80]
	v_div_fixup_f64 v[3:4], v[73:74], v[3:4], 1.0
                                        ; implicit-def: $vgpr73_vgpr74
	v_mul_f64 v[1:2], v[1:2], v[3:4]
	v_xor_b32_e32 v4, 0x80000000, v4
.LBB123_241:
	s_andn2_saveexec_b32 s5, s5
	s_cbranch_execz .LBB123_243
; %bb.242:
	v_div_scale_f64 v[1:2], null, v[73:74], v[73:74], v[75:76]
	v_div_scale_f64 v[79:80], vcc_lo, v[75:76], v[73:74], v[75:76]
	v_rcp_f64_e32 v[3:4], v[1:2]
	v_fma_f64 v[77:78], -v[1:2], v[3:4], 1.0
	v_fma_f64 v[3:4], v[3:4], v[77:78], v[3:4]
	v_fma_f64 v[77:78], -v[1:2], v[3:4], 1.0
	v_fma_f64 v[3:4], v[3:4], v[77:78], v[3:4]
	v_mul_f64 v[77:78], v[79:80], v[3:4]
	v_fma_f64 v[1:2], -v[1:2], v[77:78], v[79:80]
	v_div_fmas_f64 v[1:2], v[1:2], v[3:4], v[77:78]
	v_div_fixup_f64 v[3:4], v[1:2], v[73:74], v[75:76]
	v_fma_f64 v[1:2], v[75:76], v[3:4], v[73:74]
	v_div_scale_f64 v[73:74], null, v[1:2], v[1:2], 1.0
	v_rcp_f64_e32 v[75:76], v[73:74]
	v_fma_f64 v[77:78], -v[73:74], v[75:76], 1.0
	v_fma_f64 v[75:76], v[75:76], v[77:78], v[75:76]
	v_fma_f64 v[77:78], -v[73:74], v[75:76], 1.0
	v_fma_f64 v[75:76], v[75:76], v[77:78], v[75:76]
	v_div_scale_f64 v[77:78], vcc_lo, 1.0, v[1:2], 1.0
	v_mul_f64 v[79:80], v[77:78], v[75:76]
	v_fma_f64 v[73:74], -v[73:74], v[79:80], v[77:78]
	v_div_fmas_f64 v[73:74], v[73:74], v[75:76], v[79:80]
	v_div_fixup_f64 v[1:2], v[73:74], v[1:2], 1.0
	v_mul_f64 v[3:4], v[3:4], -v[1:2]
.LBB123_243:
	s_or_b32 exec_lo, exec_lo, s5
	ds_write2_b64 v255, v[1:2], v[3:4] offset1:1
.LBB123_244:
	s_or_b32 exec_lo, exec_lo, s6
	s_waitcnt lgkmcnt(0)
	s_barrier
	buffer_gl0_inv
	ds_read2_b64 v[73:76], v255 offset1:1
	s_mov_b32 s5, exec_lo
	v_cmpx_lt_u32_e32 18, v0
	s_cbranch_execz .LBB123_249
; %bb.245:
	s_clause 0x3
	buffer_load_dword v1, off, s[0:3], 0 offset:296
	buffer_load_dword v2, off, s[0:3], 0 offset:300
	buffer_load_dword v3, off, s[0:3], 0 offset:288
	buffer_load_dword v4, off, s[0:3], 0 offset:292
	s_movk_i32 s6, 0x130
	s_waitcnt vmcnt(2) lgkmcnt(0)
	v_mul_f64 v[77:78], v[75:76], v[1:2]
	v_mul_f64 v[1:2], v[73:74], v[1:2]
	s_waitcnt vmcnt(0)
	v_fma_f64 v[77:78], v[73:74], v[3:4], -v[77:78]
	v_fma_f64 v[79:80], v[75:76], v[3:4], v[1:2]
	buffer_store_dword v77, off, s[0:3], 0 offset:288
	buffer_store_dword v78, off, s[0:3], 0 offset:292
	;; [unrolled: 1-line block ×4, first 2 shown]
	s_branch .LBB123_247
.LBB123_246:                            ;   in Loop: Header=BB123_247 Depth=1
	s_andn2_b32 vcc_lo, exec_lo, s8
	s_cbranch_vccz .LBB123_249
.LBB123_247:                            ; =>This Inner Loop Header: Depth=1
	v_mov_b32_e32 v5, s6
	v_add_nc_u32_e32 v1, s6, v245
	s_mov_b32 s7, s6
	s_mov_b32 s8, -1
	s_cmpk_eq_i32 s6, 0x3b0
	s_clause 0x3
	buffer_load_dword v2, v5, s[0:3], 0 offen
	buffer_load_dword v3, v5, s[0:3], 0 offen offset:4
	buffer_load_dword v89, v5, s[0:3], 0 offen offset:8
	buffer_load_dword v90, v5, s[0:3], 0 offen offset:12
	ds_read2_b64 v[81:84], v1 offset1:1
	ds_read2_b64 v[85:88], v1 offset0:2 offset1:3
	s_waitcnt vmcnt(5) lgkmcnt(1)
	v_mul_f64 v[91:92], v[83:84], v[79:80]
	v_mul_f64 v[79:80], v[81:82], v[79:80]
	s_waitcnt vmcnt(4)
	v_fma_f64 v[81:82], v[81:82], v[77:78], -v[91:92]
	v_fma_f64 v[77:78], v[83:84], v[77:78], v[79:80]
	s_clause 0x2
	buffer_load_dword v4, v5, s[0:3], 0 offen offset:20
	buffer_load_dword v79, v5, s[0:3], 0 offen offset:28
	;; [unrolled: 1-line block ×3, first 2 shown]
	s_waitcnt vmcnt(5)
	v_add_f64 v[2:3], v[2:3], -v[81:82]
	s_waitcnt vmcnt(3)
	v_add_f64 v[77:78], v[89:90], -v[77:78]
	buffer_store_dword v3, v5, s[0:3], 0 offen offset:4
	buffer_store_dword v2, v5, s[0:3], 0 offen
	buffer_store_dword v78, v5, s[0:3], 0 offen offset:12
	buffer_store_dword v77, v5, s[0:3], 0 offen offset:8
	s_clause 0x6
	buffer_load_dword v78, v5, s[0:3], 0 offen offset:24
	buffer_load_dword v82, v5, s[0:3], 0 offen offset:36
	buffer_load_dword v81, off, s[0:3], 0 offset:300
	buffer_load_dword v80, off, s[0:3], 0 offset:296
	;; [unrolled: 1-line block ×4, first 2 shown]
	buffer_load_dword v3, v5, s[0:3], 0 offen offset:16
	s_waitcnt vmcnt(3) lgkmcnt(0)
	v_mul_f64 v[91:92], v[87:88], v[80:81]
	v_mul_f64 v[80:81], v[85:86], v[80:81]
	s_waitcnt vmcnt(1)
	v_fma_f64 v[84:85], v[85:86], v[89:90], -v[91:92]
	v_fma_f64 v[80:81], v[87:88], v[89:90], v[80:81]
	s_waitcnt vmcnt(0)
	v_add_f64 v[2:3], v[3:4], -v[84:85]
	v_add_f64 v[77:78], v[78:79], -v[80:81]
	buffer_store_dword v3, v5, s[0:3], 0 offen offset:20
	buffer_store_dword v2, v5, s[0:3], 0 offen offset:16
	;; [unrolled: 1-line block ×4, first 2 shown]
	s_clause 0x5
	buffer_load_dword v84, v5, s[0:3], 0 offen offset:44
	buffer_load_dword v2, off, s[0:3], 0 offset:296
	buffer_load_dword v3, off, s[0:3], 0 offset:300
	;; [unrolled: 1-line block ×4, first 2 shown]
	buffer_load_dword v81, v5, s[0:3], 0 offen offset:32
	ds_read2_b64 v[77:80], v1 offset0:4 offset1:5
	s_waitcnt vmcnt(3) lgkmcnt(0)
	v_mul_f64 v[87:88], v[79:80], v[2:3]
	v_mul_f64 v[2:3], v[77:78], v[2:3]
	s_waitcnt vmcnt(1)
	v_fma_f64 v[77:78], v[77:78], v[85:86], -v[87:88]
	v_fma_f64 v[2:3], v[79:80], v[85:86], v[2:3]
                                        ; implicit-def: $vgpr79_vgpr80
	s_waitcnt vmcnt(0)
	v_add_f64 v[77:78], v[81:82], -v[77:78]
	v_add_f64 v[2:3], v[83:84], -v[2:3]
	buffer_store_dword v78, v5, s[0:3], 0 offen offset:36
	buffer_store_dword v77, v5, s[0:3], 0 offen offset:32
	;; [unrolled: 1-line block ×4, first 2 shown]
                                        ; implicit-def: $vgpr77_vgpr78
	s_cbranch_scc1 .LBB123_246
; %bb.248:                              ;   in Loop: Header=BB123_247 Depth=1
	s_clause 0x3
	buffer_load_dword v77, off, s[0:3], 0 offset:296
	buffer_load_dword v78, off, s[0:3], 0 offset:300
	;; [unrolled: 1-line block ×4, first 2 shown]
	v_mov_b32_e32 v5, s7
	s_add_i32 s6, s6, 64
	s_mov_b32 s8, 0
	s_clause 0x3
	buffer_load_dword v81, v5, s[0:3], 0 offen offset:48
	buffer_load_dword v82, v5, s[0:3], 0 offen offset:52
	;; [unrolled: 1-line block ×4, first 2 shown]
	ds_read2_b64 v[1:4], v1 offset0:6 offset1:7
	s_waitcnt vmcnt(6) lgkmcnt(0)
	v_mul_f64 v[85:86], v[3:4], v[77:78]
	v_mul_f64 v[77:78], v[1:2], v[77:78]
	s_waitcnt vmcnt(4)
	v_fma_f64 v[1:2], v[1:2], v[79:80], -v[85:86]
	v_fma_f64 v[3:4], v[3:4], v[79:80], v[77:78]
	s_waitcnt vmcnt(2)
	v_add_f64 v[1:2], v[81:82], -v[1:2]
	s_waitcnt vmcnt(0)
	v_add_f64 v[3:4], v[83:84], -v[3:4]
	buffer_store_dword v2, v5, s[0:3], 0 offen offset:52
	buffer_store_dword v1, v5, s[0:3], 0 offen offset:48
	;; [unrolled: 1-line block ×4, first 2 shown]
	s_clause 0x3
	buffer_load_dword v78, off, s[0:3], 0 offset:292
	buffer_load_dword v80, off, s[0:3], 0 offset:300
	;; [unrolled: 1-line block ×4, first 2 shown]
	s_branch .LBB123_246
.LBB123_249:
	s_or_b32 exec_lo, exec_lo, s5
	s_mov_b32 s6, exec_lo
	s_waitcnt vmcnt(0) lgkmcnt(0)
	s_waitcnt_vscnt null, 0x0
	s_barrier
	buffer_gl0_inv
	v_cmpx_eq_u32_e32 19, v0
	s_cbranch_execz .LBB123_258
; %bb.250:
	v_mov_b32_e32 v4, s56
	s_movk_i32 s5, 0x140
	s_clause 0x3
	buffer_load_dword v1, v4, s[0:3], 0 offen
	buffer_load_dword v2, v4, s[0:3], 0 offen offset:4
	buffer_load_dword v3, v4, s[0:3], 0 offen offset:8
	;; [unrolled: 1-line block ×3, first 2 shown]
	s_waitcnt vmcnt(0)
	ds_write2_b64 v255, v[1:2], v[3:4] offset1:1
.LBB123_251:                            ; =>This Inner Loop Header: Depth=1
	v_mov_b32_e32 v5, s5
	v_add_nc_u32_e32 v6, s5, v245
	s_addk_i32 s5, 0xe0
	s_clause 0xf
	buffer_load_dword v1, v5, s[0:3], 0 offen
	buffer_load_dword v2, v5, s[0:3], 0 offen offset:4
	buffer_load_dword v3, v5, s[0:3], 0 offen offset:8
	;; [unrolled: 1-line block ×15, first 2 shown]
	s_cmpk_lg_i32 s5, 0x3e0
	s_waitcnt vmcnt(12)
	ds_write2_b64 v6, v[1:2], v[3:4] offset1:1
	s_waitcnt vmcnt(8)
	ds_write2_b64 v6, v[77:78], v[79:80] offset0:2 offset1:3
	s_waitcnt vmcnt(4)
	ds_write2_b64 v6, v[81:82], v[83:84] offset0:4 offset1:5
	;; [unrolled: 2-line block ×3, first 2 shown]
	s_clause 0x3
	buffer_load_dword v2, v5, s[0:3], 0 offen offset:76
	buffer_load_dword v1, v5, s[0:3], 0 offen offset:72
	buffer_load_dword v4, v5, s[0:3], 0 offen offset:68
	buffer_load_dword v3, v5, s[0:3], 0 offen offset:64
	s_waitcnt vmcnt(0)
	ds_write2_b64 v6, v[3:4], v[1:2] offset0:8 offset1:9
	s_clause 0x3
	buffer_load_dword v2, v5, s[0:3], 0 offen offset:92
	buffer_load_dword v1, v5, s[0:3], 0 offen offset:88
	buffer_load_dword v4, v5, s[0:3], 0 offen offset:84
	buffer_load_dword v3, v5, s[0:3], 0 offen offset:80
	s_waitcnt vmcnt(0)
	ds_write2_b64 v6, v[3:4], v[1:2] offset0:10 offset1:11
	;; [unrolled: 7-line block ×10, first 2 shown]
	s_cbranch_scc1 .LBB123_251
; %bb.252:
	ds_read2_b64 v[77:80], v255 offset1:1
	s_waitcnt lgkmcnt(0)
	v_cmp_neq_f64_e32 vcc_lo, 0, v[77:78]
	v_cmp_neq_f64_e64 s5, 0, v[79:80]
	s_or_b32 s5, vcc_lo, s5
	s_and_b32 exec_lo, exec_lo, s5
	s_cbranch_execz .LBB123_258
; %bb.253:
	v_cmp_ngt_f64_e64 s5, |v[77:78]|, |v[79:80]|
                                        ; implicit-def: $vgpr1_vgpr2
	s_and_saveexec_b32 s7, s5
	s_xor_b32 s5, exec_lo, s7
                                        ; implicit-def: $vgpr3_vgpr4
	s_cbranch_execz .LBB123_255
; %bb.254:
	v_div_scale_f64 v[1:2], null, v[79:80], v[79:80], v[77:78]
	v_div_scale_f64 v[83:84], vcc_lo, v[77:78], v[79:80], v[77:78]
	v_rcp_f64_e32 v[3:4], v[1:2]
	v_fma_f64 v[81:82], -v[1:2], v[3:4], 1.0
	v_fma_f64 v[3:4], v[3:4], v[81:82], v[3:4]
	v_fma_f64 v[81:82], -v[1:2], v[3:4], 1.0
	v_fma_f64 v[3:4], v[3:4], v[81:82], v[3:4]
	v_mul_f64 v[81:82], v[83:84], v[3:4]
	v_fma_f64 v[1:2], -v[1:2], v[81:82], v[83:84]
	v_div_fmas_f64 v[1:2], v[1:2], v[3:4], v[81:82]
	v_div_fixup_f64 v[1:2], v[1:2], v[79:80], v[77:78]
	v_fma_f64 v[3:4], v[77:78], v[1:2], v[79:80]
	v_div_scale_f64 v[77:78], null, v[3:4], v[3:4], 1.0
	v_rcp_f64_e32 v[79:80], v[77:78]
	v_fma_f64 v[81:82], -v[77:78], v[79:80], 1.0
	v_fma_f64 v[79:80], v[79:80], v[81:82], v[79:80]
	v_fma_f64 v[81:82], -v[77:78], v[79:80], 1.0
	v_fma_f64 v[79:80], v[79:80], v[81:82], v[79:80]
	v_div_scale_f64 v[81:82], vcc_lo, 1.0, v[3:4], 1.0
	v_mul_f64 v[83:84], v[81:82], v[79:80]
	v_fma_f64 v[77:78], -v[77:78], v[83:84], v[81:82]
	v_div_fmas_f64 v[77:78], v[77:78], v[79:80], v[83:84]
	v_div_fixup_f64 v[3:4], v[77:78], v[3:4], 1.0
                                        ; implicit-def: $vgpr77_vgpr78
	v_mul_f64 v[1:2], v[1:2], v[3:4]
	v_xor_b32_e32 v4, 0x80000000, v4
.LBB123_255:
	s_andn2_saveexec_b32 s5, s5
	s_cbranch_execz .LBB123_257
; %bb.256:
	v_div_scale_f64 v[1:2], null, v[77:78], v[77:78], v[79:80]
	v_div_scale_f64 v[83:84], vcc_lo, v[79:80], v[77:78], v[79:80]
	v_rcp_f64_e32 v[3:4], v[1:2]
	v_fma_f64 v[81:82], -v[1:2], v[3:4], 1.0
	v_fma_f64 v[3:4], v[3:4], v[81:82], v[3:4]
	v_fma_f64 v[81:82], -v[1:2], v[3:4], 1.0
	v_fma_f64 v[3:4], v[3:4], v[81:82], v[3:4]
	v_mul_f64 v[81:82], v[83:84], v[3:4]
	v_fma_f64 v[1:2], -v[1:2], v[81:82], v[83:84]
	v_div_fmas_f64 v[1:2], v[1:2], v[3:4], v[81:82]
	v_div_fixup_f64 v[3:4], v[1:2], v[77:78], v[79:80]
	v_fma_f64 v[1:2], v[79:80], v[3:4], v[77:78]
	v_div_scale_f64 v[77:78], null, v[1:2], v[1:2], 1.0
	v_rcp_f64_e32 v[79:80], v[77:78]
	v_fma_f64 v[81:82], -v[77:78], v[79:80], 1.0
	v_fma_f64 v[79:80], v[79:80], v[81:82], v[79:80]
	v_fma_f64 v[81:82], -v[77:78], v[79:80], 1.0
	v_fma_f64 v[79:80], v[79:80], v[81:82], v[79:80]
	v_div_scale_f64 v[81:82], vcc_lo, 1.0, v[1:2], 1.0
	v_mul_f64 v[83:84], v[81:82], v[79:80]
	v_fma_f64 v[77:78], -v[77:78], v[83:84], v[81:82]
	v_div_fmas_f64 v[77:78], v[77:78], v[79:80], v[83:84]
	v_div_fixup_f64 v[1:2], v[77:78], v[1:2], 1.0
	v_mul_f64 v[3:4], v[3:4], -v[1:2]
.LBB123_257:
	s_or_b32 exec_lo, exec_lo, s5
	ds_write2_b64 v255, v[1:2], v[3:4] offset1:1
.LBB123_258:
	s_or_b32 exec_lo, exec_lo, s6
	s_waitcnt lgkmcnt(0)
	s_barrier
	buffer_gl0_inv
	ds_read2_b64 v[77:80], v255 offset1:1
	s_mov_b32 s5, exec_lo
	v_cmpx_lt_u32_e32 19, v0
	s_cbranch_execz .LBB123_261
; %bb.259:
	s_clause 0x3
	buffer_load_dword v1, off, s[0:3], 0 offset:312
	buffer_load_dword v2, off, s[0:3], 0 offset:316
	;; [unrolled: 1-line block ×4, first 2 shown]
	s_movk_i32 s6, 0x140
	s_waitcnt vmcnt(2) lgkmcnt(0)
	v_mul_f64 v[81:82], v[79:80], v[1:2]
	v_mul_f64 v[1:2], v[77:78], v[1:2]
	s_waitcnt vmcnt(0)
	v_fma_f64 v[81:82], v[77:78], v[3:4], -v[81:82]
	v_fma_f64 v[1:2], v[79:80], v[3:4], v[1:2]
	buffer_store_dword v81, off, s[0:3], 0 offset:304
	buffer_store_dword v82, off, s[0:3], 0 offset:308
	;; [unrolled: 1-line block ×4, first 2 shown]
.LBB123_260:                            ; =>This Inner Loop Header: Depth=1
	s_clause 0x3
	buffer_load_dword v85, off, s[0:3], 0 offset:312
	buffer_load_dword v86, off, s[0:3], 0 offset:316
	;; [unrolled: 1-line block ×4, first 2 shown]
	v_mov_b32_e32 v5, s6
	v_add_nc_u32_e32 v6, s6, v245
	s_addk_i32 s6, 0x70
	s_clause 0x3
	buffer_load_dword v89, v5, s[0:3], 0 offen
	buffer_load_dword v90, v5, s[0:3], 0 offen offset:4
	buffer_load_dword v91, v5, s[0:3], 0 offen offset:8
	;; [unrolled: 1-line block ×3, first 2 shown]
	ds_read2_b64 v[1:4], v6 offset1:1
	s_clause 0x3
	buffer_load_dword v93, v5, s[0:3], 0 offen offset:16
	buffer_load_dword v94, v5, s[0:3], 0 offen offset:20
	;; [unrolled: 1-line block ×4, first 2 shown]
	ds_read2_b64 v[81:84], v6 offset0:2 offset1:3
	s_cmpk_lg_i32 s6, 0x3e0
	s_waitcnt vmcnt(10) lgkmcnt(1)
	v_mul_f64 v[97:98], v[3:4], v[85:86]
	v_mul_f64 v[85:86], v[1:2], v[85:86]
	s_waitcnt vmcnt(8)
	v_fma_f64 v[1:2], v[1:2], v[87:88], -v[97:98]
	v_fma_f64 v[3:4], v[3:4], v[87:88], v[85:86]
	s_waitcnt vmcnt(6)
	v_add_f64 v[1:2], v[89:90], -v[1:2]
	s_waitcnt vmcnt(4)
	v_add_f64 v[3:4], v[91:92], -v[3:4]
	buffer_store_dword v2, v5, s[0:3], 0 offen offset:4
	buffer_store_dword v1, v5, s[0:3], 0 offen
	buffer_store_dword v4, v5, s[0:3], 0 offen offset:12
	buffer_store_dword v3, v5, s[0:3], 0 offen offset:8
	s_clause 0x7
	buffer_load_dword v2, off, s[0:3], 0 offset:316
	buffer_load_dword v1, off, s[0:3], 0 offset:312
	;; [unrolled: 1-line block ×4, first 2 shown]
	buffer_load_dword v85, v5, s[0:3], 0 offen offset:32
	buffer_load_dword v86, v5, s[0:3], 0 offen offset:36
	;; [unrolled: 1-line block ×4, first 2 shown]
	s_waitcnt vmcnt(6) lgkmcnt(0)
	v_mul_f64 v[89:90], v[83:84], v[1:2]
	v_mul_f64 v[1:2], v[81:82], v[1:2]
	s_waitcnt vmcnt(4)
	v_fma_f64 v[81:82], v[81:82], v[3:4], -v[89:90]
	v_fma_f64 v[1:2], v[83:84], v[3:4], v[1:2]
	v_add_f64 v[3:4], v[93:94], -v[81:82]
	v_add_f64 v[1:2], v[95:96], -v[1:2]
	buffer_store_dword v4, v5, s[0:3], 0 offen offset:20
	buffer_store_dword v3, v5, s[0:3], 0 offen offset:16
	;; [unrolled: 1-line block ×4, first 2 shown]
	s_clause 0x3
	buffer_load_dword v89, off, s[0:3], 0 offset:312
	buffer_load_dword v90, off, s[0:3], 0 offset:316
	;; [unrolled: 1-line block ×4, first 2 shown]
	ds_read2_b64 v[1:4], v6 offset0:4 offset1:5
	ds_read2_b64 v[81:84], v6 offset0:6 offset1:7
	s_waitcnt vmcnt(2) lgkmcnt(1)
	v_mul_f64 v[93:94], v[3:4], v[89:90]
	v_mul_f64 v[89:90], v[1:2], v[89:90]
	s_waitcnt vmcnt(0)
	v_fma_f64 v[1:2], v[1:2], v[91:92], -v[93:94]
	v_fma_f64 v[3:4], v[3:4], v[91:92], v[89:90]
	v_add_f64 v[1:2], v[85:86], -v[1:2]
	v_add_f64 v[3:4], v[87:88], -v[3:4]
	buffer_store_dword v2, v5, s[0:3], 0 offen offset:36
	buffer_store_dword v1, v5, s[0:3], 0 offen offset:32
	;; [unrolled: 1-line block ×4, first 2 shown]
	s_clause 0x7
	buffer_load_dword v1, off, s[0:3], 0 offset:312
	buffer_load_dword v2, off, s[0:3], 0 offset:316
	;; [unrolled: 1-line block ×4, first 2 shown]
	buffer_load_dword v85, v5, s[0:3], 0 offen offset:48
	buffer_load_dword v86, v5, s[0:3], 0 offen offset:52
	;; [unrolled: 1-line block ×4, first 2 shown]
	s_waitcnt vmcnt(6) lgkmcnt(0)
	v_mul_f64 v[89:90], v[83:84], v[1:2]
	v_mul_f64 v[1:2], v[81:82], v[1:2]
	s_waitcnt vmcnt(4)
	v_fma_f64 v[81:82], v[81:82], v[3:4], -v[89:90]
	v_fma_f64 v[1:2], v[83:84], v[3:4], v[1:2]
	s_waitcnt vmcnt(2)
	v_add_f64 v[3:4], v[85:86], -v[81:82]
	s_waitcnt vmcnt(0)
	v_add_f64 v[1:2], v[87:88], -v[1:2]
	buffer_store_dword v4, v5, s[0:3], 0 offen offset:52
	buffer_store_dword v3, v5, s[0:3], 0 offen offset:48
	;; [unrolled: 1-line block ×4, first 2 shown]
	s_clause 0x7
	buffer_load_dword v85, off, s[0:3], 0 offset:312
	buffer_load_dword v86, off, s[0:3], 0 offset:316
	;; [unrolled: 1-line block ×4, first 2 shown]
	buffer_load_dword v89, v5, s[0:3], 0 offen offset:64
	buffer_load_dword v90, v5, s[0:3], 0 offen offset:68
	;; [unrolled: 1-line block ×4, first 2 shown]
	ds_read2_b64 v[1:4], v6 offset0:8 offset1:9
	ds_read2_b64 v[81:84], v6 offset0:10 offset1:11
	s_waitcnt vmcnt(6) lgkmcnt(1)
	v_mul_f64 v[93:94], v[3:4], v[85:86]
	v_mul_f64 v[85:86], v[1:2], v[85:86]
	s_waitcnt vmcnt(4)
	v_fma_f64 v[1:2], v[1:2], v[87:88], -v[93:94]
	v_fma_f64 v[3:4], v[3:4], v[87:88], v[85:86]
	s_waitcnt vmcnt(2)
	v_add_f64 v[1:2], v[89:90], -v[1:2]
	s_waitcnt vmcnt(0)
	v_add_f64 v[3:4], v[91:92], -v[3:4]
	buffer_store_dword v2, v5, s[0:3], 0 offen offset:68
	buffer_store_dword v1, v5, s[0:3], 0 offen offset:64
	;; [unrolled: 1-line block ×4, first 2 shown]
	s_clause 0x7
	buffer_load_dword v1, off, s[0:3], 0 offset:312
	buffer_load_dword v2, off, s[0:3], 0 offset:316
	;; [unrolled: 1-line block ×4, first 2 shown]
	buffer_load_dword v85, v5, s[0:3], 0 offen offset:80
	buffer_load_dword v86, v5, s[0:3], 0 offen offset:84
	;; [unrolled: 1-line block ×4, first 2 shown]
	s_waitcnt vmcnt(6) lgkmcnt(0)
	v_mul_f64 v[89:90], v[83:84], v[1:2]
	v_mul_f64 v[1:2], v[81:82], v[1:2]
	s_waitcnt vmcnt(4)
	v_fma_f64 v[81:82], v[81:82], v[3:4], -v[89:90]
	v_fma_f64 v[1:2], v[83:84], v[3:4], v[1:2]
	s_waitcnt vmcnt(2)
	v_add_f64 v[3:4], v[85:86], -v[81:82]
	s_waitcnt vmcnt(0)
	v_add_f64 v[1:2], v[87:88], -v[1:2]
	buffer_store_dword v4, v5, s[0:3], 0 offen offset:84
	buffer_store_dword v3, v5, s[0:3], 0 offen offset:80
	;; [unrolled: 1-line block ×4, first 2 shown]
	s_clause 0x7
	buffer_load_dword v81, off, s[0:3], 0 offset:312
	buffer_load_dword v82, off, s[0:3], 0 offset:316
	;; [unrolled: 1-line block ×4, first 2 shown]
	buffer_load_dword v85, v5, s[0:3], 0 offen offset:96
	buffer_load_dword v86, v5, s[0:3], 0 offen offset:100
	buffer_load_dword v87, v5, s[0:3], 0 offen offset:104
	buffer_load_dword v88, v5, s[0:3], 0 offen offset:108
	ds_read2_b64 v[1:4], v6 offset0:12 offset1:13
	s_waitcnt vmcnt(6) lgkmcnt(0)
	v_mul_f64 v[89:90], v[3:4], v[81:82]
	v_mul_f64 v[81:82], v[1:2], v[81:82]
	s_waitcnt vmcnt(4)
	v_fma_f64 v[1:2], v[1:2], v[83:84], -v[89:90]
	v_fma_f64 v[3:4], v[3:4], v[83:84], v[81:82]
	s_waitcnt vmcnt(2)
	v_add_f64 v[1:2], v[85:86], -v[1:2]
	s_waitcnt vmcnt(0)
	v_add_f64 v[3:4], v[87:88], -v[3:4]
	buffer_store_dword v2, v5, s[0:3], 0 offen offset:100
	buffer_store_dword v1, v5, s[0:3], 0 offen offset:96
	;; [unrolled: 1-line block ×4, first 2 shown]
	s_cbranch_scc1 .LBB123_260
.LBB123_261:
	s_or_b32 exec_lo, exec_lo, s5
	s_mov_b32 s6, exec_lo
	s_waitcnt lgkmcnt(0)
	s_waitcnt_vscnt null, 0x0
	s_barrier
	buffer_gl0_inv
	v_cmpx_eq_u32_e32 20, v0
	s_cbranch_execz .LBB123_272
; %bb.262:
	v_mov_b32_e32 v4, s55
	s_movk_i32 s5, 0x150
	s_clause 0x3
	buffer_load_dword v1, v4, s[0:3], 0 offen
	buffer_load_dword v2, v4, s[0:3], 0 offen offset:4
	buffer_load_dword v3, v4, s[0:3], 0 offen offset:8
	;; [unrolled: 1-line block ×3, first 2 shown]
	s_waitcnt vmcnt(0)
	ds_write2_b64 v255, v[1:2], v[3:4] offset1:1
	s_branch .LBB123_264
.LBB123_263:                            ;   in Loop: Header=BB123_264 Depth=1
	s_andn2_b32 vcc_lo, exec_lo, s8
	s_cbranch_vccz .LBB123_266
.LBB123_264:                            ; =>This Inner Loop Header: Depth=1
	v_mov_b32_e32 v1, s5
	s_mov_b32 s7, s5
	s_cmpk_eq_i32 s5, 0x3d0
	s_mov_b32 s8, -1
	s_clause 0x3
	buffer_load_dword v2, v1, s[0:3], 0 offen
	buffer_load_dword v3, v1, s[0:3], 0 offen offset:4
	buffer_load_dword v81, v1, s[0:3], 0 offen offset:8
	;; [unrolled: 1-line block ×3, first 2 shown]
	v_add_nc_u32_e32 v1, s5, v245
	s_waitcnt vmcnt(0)
	ds_write2_b64 v1, v[2:3], v[81:82] offset1:1
	s_cbranch_scc1 .LBB123_263
; %bb.265:                              ;   in Loop: Header=BB123_264 Depth=1
	v_mov_b32_e32 v4, s7
	s_addk_i32 s5, 0x80
	s_mov_b32 s8, 0
	s_clause 0x1b
	buffer_load_dword v2, v4, s[0:3], 0 offen offset:16
	buffer_load_dword v3, v4, s[0:3], 0 offen offset:20
	buffer_load_dword v81, v4, s[0:3], 0 offen offset:24
	buffer_load_dword v82, v4, s[0:3], 0 offen offset:28
	buffer_load_dword v83, v4, s[0:3], 0 offen offset:32
	buffer_load_dword v84, v4, s[0:3], 0 offen offset:36
	buffer_load_dword v85, v4, s[0:3], 0 offen offset:40
	buffer_load_dword v86, v4, s[0:3], 0 offen offset:44
	buffer_load_dword v87, v4, s[0:3], 0 offen offset:48
	buffer_load_dword v88, v4, s[0:3], 0 offen offset:52
	buffer_load_dword v89, v4, s[0:3], 0 offen offset:56
	buffer_load_dword v90, v4, s[0:3], 0 offen offset:60
	buffer_load_dword v91, v4, s[0:3], 0 offen offset:64
	buffer_load_dword v92, v4, s[0:3], 0 offen offset:68
	buffer_load_dword v93, v4, s[0:3], 0 offen offset:72
	buffer_load_dword v94, v4, s[0:3], 0 offen offset:76
	buffer_load_dword v96, v4, s[0:3], 0 offen offset:92
	buffer_load_dword v98, v4, s[0:3], 0 offen offset:108
	buffer_load_dword v97, v4, s[0:3], 0 offen offset:104
	buffer_load_dword v100, v4, s[0:3], 0 offen offset:100
	buffer_load_dword v99, v4, s[0:3], 0 offen offset:96
	buffer_load_dword v95, v4, s[0:3], 0 offen offset:88
	buffer_load_dword v102, v4, s[0:3], 0 offen offset:84
	buffer_load_dword v101, v4, s[0:3], 0 offen offset:80
	buffer_load_dword v104, v4, s[0:3], 0 offen offset:124
	buffer_load_dword v103, v4, s[0:3], 0 offen offset:120
	buffer_load_dword v106, v4, s[0:3], 0 offen offset:116
	buffer_load_dword v105, v4, s[0:3], 0 offen offset:112
	s_waitcnt vmcnt(24)
	ds_write2_b64 v1, v[2:3], v[81:82] offset0:2 offset1:3
	s_waitcnt vmcnt(20)
	ds_write2_b64 v1, v[83:84], v[85:86] offset0:4 offset1:5
	;; [unrolled: 2-line block ×5, first 2 shown]
	ds_write2_b64 v1, v[99:100], v[97:98] offset0:12 offset1:13
	s_waitcnt vmcnt(0)
	ds_write2_b64 v1, v[105:106], v[103:104] offset0:14 offset1:15
	s_branch .LBB123_263
.LBB123_266:
	ds_read2_b64 v[81:84], v255 offset1:1
	s_waitcnt lgkmcnt(0)
	v_cmp_neq_f64_e32 vcc_lo, 0, v[81:82]
	v_cmp_neq_f64_e64 s5, 0, v[83:84]
	s_or_b32 s5, vcc_lo, s5
	s_and_b32 exec_lo, exec_lo, s5
	s_cbranch_execz .LBB123_272
; %bb.267:
	v_cmp_ngt_f64_e64 s5, |v[81:82]|, |v[83:84]|
                                        ; implicit-def: $vgpr1_vgpr2
	s_and_saveexec_b32 s7, s5
	s_xor_b32 s5, exec_lo, s7
                                        ; implicit-def: $vgpr3_vgpr4
	s_cbranch_execz .LBB123_269
; %bb.268:
	v_div_scale_f64 v[1:2], null, v[83:84], v[83:84], v[81:82]
	v_div_scale_f64 v[87:88], vcc_lo, v[81:82], v[83:84], v[81:82]
	v_rcp_f64_e32 v[3:4], v[1:2]
	v_fma_f64 v[85:86], -v[1:2], v[3:4], 1.0
	v_fma_f64 v[3:4], v[3:4], v[85:86], v[3:4]
	v_fma_f64 v[85:86], -v[1:2], v[3:4], 1.0
	v_fma_f64 v[3:4], v[3:4], v[85:86], v[3:4]
	v_mul_f64 v[85:86], v[87:88], v[3:4]
	v_fma_f64 v[1:2], -v[1:2], v[85:86], v[87:88]
	v_div_fmas_f64 v[1:2], v[1:2], v[3:4], v[85:86]
	v_div_fixup_f64 v[1:2], v[1:2], v[83:84], v[81:82]
	v_fma_f64 v[3:4], v[81:82], v[1:2], v[83:84]
	v_div_scale_f64 v[81:82], null, v[3:4], v[3:4], 1.0
	v_rcp_f64_e32 v[83:84], v[81:82]
	v_fma_f64 v[85:86], -v[81:82], v[83:84], 1.0
	v_fma_f64 v[83:84], v[83:84], v[85:86], v[83:84]
	v_fma_f64 v[85:86], -v[81:82], v[83:84], 1.0
	v_fma_f64 v[83:84], v[83:84], v[85:86], v[83:84]
	v_div_scale_f64 v[85:86], vcc_lo, 1.0, v[3:4], 1.0
	v_mul_f64 v[87:88], v[85:86], v[83:84]
	v_fma_f64 v[81:82], -v[81:82], v[87:88], v[85:86]
	v_div_fmas_f64 v[81:82], v[81:82], v[83:84], v[87:88]
	v_div_fixup_f64 v[3:4], v[81:82], v[3:4], 1.0
                                        ; implicit-def: $vgpr81_vgpr82
	v_mul_f64 v[1:2], v[1:2], v[3:4]
	v_xor_b32_e32 v4, 0x80000000, v4
.LBB123_269:
	s_andn2_saveexec_b32 s5, s5
	s_cbranch_execz .LBB123_271
; %bb.270:
	v_div_scale_f64 v[1:2], null, v[81:82], v[81:82], v[83:84]
	v_div_scale_f64 v[87:88], vcc_lo, v[83:84], v[81:82], v[83:84]
	v_rcp_f64_e32 v[3:4], v[1:2]
	v_fma_f64 v[85:86], -v[1:2], v[3:4], 1.0
	v_fma_f64 v[3:4], v[3:4], v[85:86], v[3:4]
	v_fma_f64 v[85:86], -v[1:2], v[3:4], 1.0
	v_fma_f64 v[3:4], v[3:4], v[85:86], v[3:4]
	v_mul_f64 v[85:86], v[87:88], v[3:4]
	v_fma_f64 v[1:2], -v[1:2], v[85:86], v[87:88]
	v_div_fmas_f64 v[1:2], v[1:2], v[3:4], v[85:86]
	v_div_fixup_f64 v[3:4], v[1:2], v[81:82], v[83:84]
	v_fma_f64 v[1:2], v[83:84], v[3:4], v[81:82]
	v_div_scale_f64 v[81:82], null, v[1:2], v[1:2], 1.0
	v_rcp_f64_e32 v[83:84], v[81:82]
	v_fma_f64 v[85:86], -v[81:82], v[83:84], 1.0
	v_fma_f64 v[83:84], v[83:84], v[85:86], v[83:84]
	v_fma_f64 v[85:86], -v[81:82], v[83:84], 1.0
	v_fma_f64 v[83:84], v[83:84], v[85:86], v[83:84]
	v_div_scale_f64 v[85:86], vcc_lo, 1.0, v[1:2], 1.0
	v_mul_f64 v[87:88], v[85:86], v[83:84]
	v_fma_f64 v[81:82], -v[81:82], v[87:88], v[85:86]
	v_div_fmas_f64 v[81:82], v[81:82], v[83:84], v[87:88]
	v_div_fixup_f64 v[1:2], v[81:82], v[1:2], 1.0
	v_mul_f64 v[3:4], v[3:4], -v[1:2]
.LBB123_271:
	s_or_b32 exec_lo, exec_lo, s5
	ds_write2_b64 v255, v[1:2], v[3:4] offset1:1
.LBB123_272:
	s_or_b32 exec_lo, exec_lo, s6
	s_waitcnt lgkmcnt(0)
	s_barrier
	buffer_gl0_inv
	ds_read2_b64 v[81:84], v255 offset1:1
	s_mov_b32 s5, exec_lo
	v_cmpx_lt_u32_e32 20, v0
	s_cbranch_execz .LBB123_277
; %bb.273:
	s_clause 0x3
	buffer_load_dword v1, off, s[0:3], 0 offset:328
	buffer_load_dword v2, off, s[0:3], 0 offset:332
	buffer_load_dword v3, off, s[0:3], 0 offset:320
	buffer_load_dword v4, off, s[0:3], 0 offset:324
	s_movk_i32 s6, 0x150
	s_waitcnt vmcnt(2) lgkmcnt(0)
	v_mul_f64 v[85:86], v[83:84], v[1:2]
	v_mul_f64 v[1:2], v[81:82], v[1:2]
	s_waitcnt vmcnt(0)
	v_fma_f64 v[85:86], v[81:82], v[3:4], -v[85:86]
	v_fma_f64 v[87:88], v[83:84], v[3:4], v[1:2]
	buffer_store_dword v85, off, s[0:3], 0 offset:320
	buffer_store_dword v86, off, s[0:3], 0 offset:324
	;; [unrolled: 1-line block ×4, first 2 shown]
	s_branch .LBB123_275
.LBB123_274:                            ;   in Loop: Header=BB123_275 Depth=1
	s_andn2_b32 vcc_lo, exec_lo, s8
	s_cbranch_vccz .LBB123_277
.LBB123_275:                            ; =>This Inner Loop Header: Depth=1
	v_mov_b32_e32 v4, s6
	v_add_nc_u32_e32 v1, s6, v245
	s_mov_b32 s7, s6
	s_mov_b32 s8, -1
	s_cmpk_eq_i32 s6, 0x3d0
	s_clause 0x3
	buffer_load_dword v2, v4, s[0:3], 0 offen
	buffer_load_dword v3, v4, s[0:3], 0 offen offset:4
	buffer_load_dword v93, v4, s[0:3], 0 offen offset:8
	;; [unrolled: 1-line block ×3, first 2 shown]
	ds_read2_b64 v[89:92], v1 offset1:1
	s_waitcnt vmcnt(4) lgkmcnt(0)
	v_mul_f64 v[95:96], v[91:92], v[87:88]
	v_mul_f64 v[87:88], v[89:90], v[87:88]
	v_fma_f64 v[89:90], v[89:90], v[85:86], -v[95:96]
	v_fma_f64 v[85:86], v[91:92], v[85:86], v[87:88]
                                        ; implicit-def: $vgpr87_vgpr88
	s_waitcnt vmcnt(2)
	v_add_f64 v[2:3], v[2:3], -v[89:90]
	s_waitcnt vmcnt(0)
	v_add_f64 v[85:86], v[93:94], -v[85:86]
	buffer_store_dword v2, v4, s[0:3], 0 offen
	buffer_store_dword v3, v4, s[0:3], 0 offen offset:4
	buffer_store_dword v85, v4, s[0:3], 0 offen offset:8
	;; [unrolled: 1-line block ×3, first 2 shown]
                                        ; implicit-def: $vgpr85_vgpr86
	s_cbranch_scc1 .LBB123_274
; %bb.276:                              ;   in Loop: Header=BB123_275 Depth=1
	s_clause 0x3
	buffer_load_dword v2, off, s[0:3], 0 offset:328
	buffer_load_dword v3, off, s[0:3], 0 offset:332
	;; [unrolled: 1-line block ×4, first 2 shown]
	v_mov_b32_e32 v5, s7
	s_add_i32 s6, s6, 64
	s_mov_b32 s8, 0
	s_clause 0x3
	buffer_load_dword v95, v5, s[0:3], 0 offen offset:16
	buffer_load_dword v96, v5, s[0:3], 0 offen offset:20
	;; [unrolled: 1-line block ×4, first 2 shown]
	ds_read2_b64 v[85:88], v1 offset0:2 offset1:3
	ds_read2_b64 v[89:92], v1 offset0:4 offset1:5
	s_waitcnt vmcnt(6) lgkmcnt(1)
	v_mul_f64 v[99:100], v[87:88], v[2:3]
	v_mul_f64 v[2:3], v[85:86], v[2:3]
	s_waitcnt vmcnt(4)
	v_fma_f64 v[85:86], v[85:86], v[93:94], -v[99:100]
	v_fma_f64 v[2:3], v[87:88], v[93:94], v[2:3]
	s_waitcnt vmcnt(2)
	v_add_f64 v[85:86], v[95:96], -v[85:86]
	s_waitcnt vmcnt(0)
	v_add_f64 v[2:3], v[97:98], -v[2:3]
	buffer_store_dword v86, v5, s[0:3], 0 offen offset:20
	buffer_store_dword v85, v5, s[0:3], 0 offen offset:16
	;; [unrolled: 1-line block ×4, first 2 shown]
	s_clause 0x7
	buffer_load_dword v3, v5, s[0:3], 0 offen offset:36
	buffer_load_dword v85, v5, s[0:3], 0 offen offset:40
	;; [unrolled: 1-line block ×3, first 2 shown]
	buffer_load_dword v88, off, s[0:3], 0 offset:332
	buffer_load_dword v87, off, s[0:3], 0 offset:328
	buffer_load_dword v94, off, s[0:3], 0 offset:324
	buffer_load_dword v93, off, s[0:3], 0 offset:320
	buffer_load_dword v2, v5, s[0:3], 0 offen offset:32
	s_waitcnt vmcnt(3) lgkmcnt(0)
	v_mul_f64 v[95:96], v[91:92], v[87:88]
	v_mul_f64 v[87:88], v[89:90], v[87:88]
	s_waitcnt vmcnt(1)
	v_fma_f64 v[89:90], v[89:90], v[93:94], -v[95:96]
	v_fma_f64 v[87:88], v[91:92], v[93:94], v[87:88]
	s_waitcnt vmcnt(0)
	v_add_f64 v[2:3], v[2:3], -v[89:90]
	v_add_f64 v[85:86], v[85:86], -v[87:88]
	buffer_store_dword v3, v5, s[0:3], 0 offen offset:36
	buffer_store_dword v2, v5, s[0:3], 0 offen offset:32
	;; [unrolled: 1-line block ×4, first 2 shown]
	s_clause 0x7
	buffer_load_dword v86, v5, s[0:3], 0 offen offset:52
	buffer_load_dword v87, v5, s[0:3], 0 offen offset:56
	;; [unrolled: 1-line block ×3, first 2 shown]
	buffer_load_dword v89, off, s[0:3], 0 offset:328
	buffer_load_dword v90, off, s[0:3], 0 offset:332
	;; [unrolled: 1-line block ×4, first 2 shown]
	buffer_load_dword v85, v5, s[0:3], 0 offen offset:48
	ds_read2_b64 v[1:4], v1 offset0:6 offset1:7
	s_waitcnt vmcnt(3) lgkmcnt(0)
	v_mul_f64 v[93:94], v[3:4], v[89:90]
	v_mul_f64 v[89:90], v[1:2], v[89:90]
	s_waitcnt vmcnt(1)
	v_fma_f64 v[1:2], v[1:2], v[91:92], -v[93:94]
	v_fma_f64 v[3:4], v[3:4], v[91:92], v[89:90]
	s_waitcnt vmcnt(0)
	v_add_f64 v[1:2], v[85:86], -v[1:2]
	v_add_f64 v[3:4], v[87:88], -v[3:4]
	buffer_store_dword v2, v5, s[0:3], 0 offen offset:52
	buffer_store_dword v1, v5, s[0:3], 0 offen offset:48
	;; [unrolled: 1-line block ×4, first 2 shown]
	s_clause 0x3
	buffer_load_dword v85, off, s[0:3], 0 offset:320
	buffer_load_dword v86, off, s[0:3], 0 offset:324
	buffer_load_dword v87, off, s[0:3], 0 offset:328
	buffer_load_dword v88, off, s[0:3], 0 offset:332
	s_branch .LBB123_274
.LBB123_277:
	s_or_b32 exec_lo, exec_lo, s5
	s_mov_b32 s6, exec_lo
	s_waitcnt vmcnt(0) lgkmcnt(0)
	s_waitcnt_vscnt null, 0x0
	s_barrier
	buffer_gl0_inv
	v_cmpx_eq_u32_e32 21, v0
	s_cbranch_execz .LBB123_286
; %bb.278:
	v_mov_b32_e32 v4, s54
	s_movk_i32 s5, 0x160
	s_clause 0x3
	buffer_load_dword v1, v4, s[0:3], 0 offen
	buffer_load_dword v2, v4, s[0:3], 0 offen offset:4
	buffer_load_dword v3, v4, s[0:3], 0 offen offset:8
	;; [unrolled: 1-line block ×3, first 2 shown]
	s_waitcnt vmcnt(0)
	ds_write2_b64 v255, v[1:2], v[3:4] offset1:1
.LBB123_279:                            ; =>This Inner Loop Header: Depth=1
	v_mov_b32_e32 v5, s5
	s_clause 0x27
	buffer_load_dword v1, v5, s[0:3], 0 offen
	buffer_load_dword v2, v5, s[0:3], 0 offen offset:4
	buffer_load_dword v3, v5, s[0:3], 0 offen offset:8
	;; [unrolled: 1-line block ×39, first 2 shown]
	v_add_nc_u32_e32 v5, s5, v245
	s_addk_i32 s5, 0xa0
	s_waitcnt vmcnt(36)
	ds_write2_b64 v5, v[1:2], v[3:4] offset1:1
	s_waitcnt vmcnt(32)
	ds_write2_b64 v5, v[85:86], v[87:88] offset0:2 offset1:3
	s_waitcnt vmcnt(28)
	ds_write2_b64 v5, v[89:90], v[91:92] offset0:4 offset1:5
	;; [unrolled: 2-line block ×4, first 2 shown]
	ds_write2_b64 v5, v[101:102], v[99:100] offset0:10 offset1:11
	s_waitcnt vmcnt(8)
	ds_write2_b64 v5, v[111:112], v[105:106] offset0:12 offset1:13
	ds_write2_b64 v5, v[109:110], v[107:108] offset0:14 offset1:15
	s_waitcnt vmcnt(4)
	ds_write2_b64 v5, v[113:114], v[115:116] offset0:16 offset1:17
	s_waitcnt vmcnt(0)
	ds_write2_b64 v5, v[117:118], v[119:120] offset0:18 offset1:19
	s_cmpk_lg_i32 s5, 0x3e0
	s_cbranch_scc1 .LBB123_279
; %bb.280:
	ds_read2_b64 v[85:88], v255 offset1:1
	s_waitcnt lgkmcnt(0)
	v_cmp_neq_f64_e32 vcc_lo, 0, v[85:86]
	v_cmp_neq_f64_e64 s5, 0, v[87:88]
	s_or_b32 s5, vcc_lo, s5
	s_and_b32 exec_lo, exec_lo, s5
	s_cbranch_execz .LBB123_286
; %bb.281:
	v_cmp_ngt_f64_e64 s5, |v[85:86]|, |v[87:88]|
                                        ; implicit-def: $vgpr1_vgpr2
	s_and_saveexec_b32 s7, s5
	s_xor_b32 s5, exec_lo, s7
                                        ; implicit-def: $vgpr3_vgpr4
	s_cbranch_execz .LBB123_283
; %bb.282:
	v_div_scale_f64 v[1:2], null, v[87:88], v[87:88], v[85:86]
	v_div_scale_f64 v[91:92], vcc_lo, v[85:86], v[87:88], v[85:86]
	v_rcp_f64_e32 v[3:4], v[1:2]
	v_fma_f64 v[89:90], -v[1:2], v[3:4], 1.0
	v_fma_f64 v[3:4], v[3:4], v[89:90], v[3:4]
	v_fma_f64 v[89:90], -v[1:2], v[3:4], 1.0
	v_fma_f64 v[3:4], v[3:4], v[89:90], v[3:4]
	v_mul_f64 v[89:90], v[91:92], v[3:4]
	v_fma_f64 v[1:2], -v[1:2], v[89:90], v[91:92]
	v_div_fmas_f64 v[1:2], v[1:2], v[3:4], v[89:90]
	v_div_fixup_f64 v[1:2], v[1:2], v[87:88], v[85:86]
	v_fma_f64 v[3:4], v[85:86], v[1:2], v[87:88]
	v_div_scale_f64 v[85:86], null, v[3:4], v[3:4], 1.0
	v_rcp_f64_e32 v[87:88], v[85:86]
	v_fma_f64 v[89:90], -v[85:86], v[87:88], 1.0
	v_fma_f64 v[87:88], v[87:88], v[89:90], v[87:88]
	v_fma_f64 v[89:90], -v[85:86], v[87:88], 1.0
	v_fma_f64 v[87:88], v[87:88], v[89:90], v[87:88]
	v_div_scale_f64 v[89:90], vcc_lo, 1.0, v[3:4], 1.0
	v_mul_f64 v[91:92], v[89:90], v[87:88]
	v_fma_f64 v[85:86], -v[85:86], v[91:92], v[89:90]
	v_div_fmas_f64 v[85:86], v[85:86], v[87:88], v[91:92]
	v_div_fixup_f64 v[3:4], v[85:86], v[3:4], 1.0
                                        ; implicit-def: $vgpr85_vgpr86
	v_mul_f64 v[1:2], v[1:2], v[3:4]
	v_xor_b32_e32 v4, 0x80000000, v4
.LBB123_283:
	s_andn2_saveexec_b32 s5, s5
	s_cbranch_execz .LBB123_285
; %bb.284:
	v_div_scale_f64 v[1:2], null, v[85:86], v[85:86], v[87:88]
	v_div_scale_f64 v[91:92], vcc_lo, v[87:88], v[85:86], v[87:88]
	v_rcp_f64_e32 v[3:4], v[1:2]
	v_fma_f64 v[89:90], -v[1:2], v[3:4], 1.0
	v_fma_f64 v[3:4], v[3:4], v[89:90], v[3:4]
	v_fma_f64 v[89:90], -v[1:2], v[3:4], 1.0
	v_fma_f64 v[3:4], v[3:4], v[89:90], v[3:4]
	v_mul_f64 v[89:90], v[91:92], v[3:4]
	v_fma_f64 v[1:2], -v[1:2], v[89:90], v[91:92]
	v_div_fmas_f64 v[1:2], v[1:2], v[3:4], v[89:90]
	v_div_fixup_f64 v[3:4], v[1:2], v[85:86], v[87:88]
	v_fma_f64 v[1:2], v[87:88], v[3:4], v[85:86]
	v_div_scale_f64 v[85:86], null, v[1:2], v[1:2], 1.0
	v_rcp_f64_e32 v[87:88], v[85:86]
	v_fma_f64 v[89:90], -v[85:86], v[87:88], 1.0
	v_fma_f64 v[87:88], v[87:88], v[89:90], v[87:88]
	v_fma_f64 v[89:90], -v[85:86], v[87:88], 1.0
	v_fma_f64 v[87:88], v[87:88], v[89:90], v[87:88]
	v_div_scale_f64 v[89:90], vcc_lo, 1.0, v[1:2], 1.0
	v_mul_f64 v[91:92], v[89:90], v[87:88]
	v_fma_f64 v[85:86], -v[85:86], v[91:92], v[89:90]
	v_div_fmas_f64 v[85:86], v[85:86], v[87:88], v[91:92]
	v_div_fixup_f64 v[1:2], v[85:86], v[1:2], 1.0
	v_mul_f64 v[3:4], v[3:4], -v[1:2]
.LBB123_285:
	s_or_b32 exec_lo, exec_lo, s5
	ds_write2_b64 v255, v[1:2], v[3:4] offset1:1
.LBB123_286:
	s_or_b32 exec_lo, exec_lo, s6
	s_waitcnt lgkmcnt(0)
	s_barrier
	buffer_gl0_inv
	ds_read2_b64 v[85:88], v255 offset1:1
	s_mov_b32 s5, exec_lo
	v_cmpx_lt_u32_e32 21, v0
	s_cbranch_execz .LBB123_289
; %bb.287:
	s_clause 0x3
	buffer_load_dword v1, off, s[0:3], 0 offset:344
	buffer_load_dword v2, off, s[0:3], 0 offset:348
	;; [unrolled: 1-line block ×4, first 2 shown]
	s_movk_i32 s6, 0x160
	s_waitcnt vmcnt(2) lgkmcnt(0)
	v_mul_f64 v[89:90], v[87:88], v[1:2]
	v_mul_f64 v[1:2], v[85:86], v[1:2]
	s_waitcnt vmcnt(0)
	v_fma_f64 v[89:90], v[85:86], v[3:4], -v[89:90]
	v_fma_f64 v[1:2], v[87:88], v[3:4], v[1:2]
	buffer_store_dword v89, off, s[0:3], 0 offset:336
	buffer_store_dword v90, off, s[0:3], 0 offset:340
	buffer_store_dword v1, off, s[0:3], 0 offset:344
	buffer_store_dword v2, off, s[0:3], 0 offset:348
.LBB123_288:                            ; =>This Inner Loop Header: Depth=1
	s_clause 0x3
	buffer_load_dword v93, off, s[0:3], 0 offset:344
	buffer_load_dword v94, off, s[0:3], 0 offset:348
	;; [unrolled: 1-line block ×4, first 2 shown]
	v_mov_b32_e32 v5, s6
	v_add_nc_u32_e32 v6, s6, v245
	s_addk_i32 s6, 0x50
	s_clause 0x3
	buffer_load_dword v97, v5, s[0:3], 0 offen
	buffer_load_dword v98, v5, s[0:3], 0 offen offset:4
	buffer_load_dword v99, v5, s[0:3], 0 offen offset:8
	;; [unrolled: 1-line block ×3, first 2 shown]
	ds_read2_b64 v[1:4], v6 offset1:1
	ds_read2_b64 v[89:92], v6 offset0:2 offset1:3
	s_cmpk_lg_i32 s6, 0x3e0
	s_waitcnt vmcnt(6) lgkmcnt(1)
	v_mul_f64 v[101:102], v[3:4], v[93:94]
	v_mul_f64 v[93:94], v[1:2], v[93:94]
	s_waitcnt vmcnt(4)
	v_fma_f64 v[1:2], v[1:2], v[95:96], -v[101:102]
	v_fma_f64 v[3:4], v[3:4], v[95:96], v[93:94]
	s_clause 0x3
	buffer_load_dword v93, v5, s[0:3], 0 offen offset:16
	buffer_load_dword v94, v5, s[0:3], 0 offen offset:20
	;; [unrolled: 1-line block ×4, first 2 shown]
	s_waitcnt vmcnt(6)
	v_add_f64 v[1:2], v[97:98], -v[1:2]
	s_waitcnt vmcnt(4)
	v_add_f64 v[3:4], v[99:100], -v[3:4]
	buffer_store_dword v2, v5, s[0:3], 0 offen offset:4
	buffer_store_dword v1, v5, s[0:3], 0 offen
	buffer_store_dword v4, v5, s[0:3], 0 offen offset:12
	buffer_store_dword v3, v5, s[0:3], 0 offen offset:8
	s_clause 0x3
	buffer_load_dword v2, off, s[0:3], 0 offset:348
	buffer_load_dword v1, off, s[0:3], 0 offset:344
	;; [unrolled: 1-line block ×4, first 2 shown]
	s_waitcnt vmcnt(2) lgkmcnt(0)
	v_mul_f64 v[97:98], v[91:92], v[1:2]
	v_mul_f64 v[1:2], v[89:90], v[1:2]
	s_waitcnt vmcnt(0)
	v_fma_f64 v[89:90], v[89:90], v[3:4], -v[97:98]
	v_fma_f64 v[1:2], v[91:92], v[3:4], v[1:2]
	v_add_f64 v[3:4], v[93:94], -v[89:90]
	v_add_f64 v[1:2], v[95:96], -v[1:2]
	s_clause 0x3
	buffer_load_dword v93, v5, s[0:3], 0 offen offset:32
	buffer_load_dword v94, v5, s[0:3], 0 offen offset:36
	;; [unrolled: 1-line block ×4, first 2 shown]
	buffer_store_dword v4, v5, s[0:3], 0 offen offset:20
	buffer_store_dword v3, v5, s[0:3], 0 offen offset:16
	;; [unrolled: 1-line block ×4, first 2 shown]
	s_clause 0x3
	buffer_load_dword v97, off, s[0:3], 0 offset:344
	buffer_load_dword v98, off, s[0:3], 0 offset:348
	;; [unrolled: 1-line block ×4, first 2 shown]
	ds_read2_b64 v[1:4], v6 offset0:4 offset1:5
	ds_read2_b64 v[89:92], v6 offset0:6 offset1:7
	s_waitcnt vmcnt(2) lgkmcnt(1)
	v_mul_f64 v[101:102], v[3:4], v[97:98]
	v_mul_f64 v[97:98], v[1:2], v[97:98]
	s_waitcnt vmcnt(0)
	v_fma_f64 v[1:2], v[1:2], v[99:100], -v[101:102]
	v_fma_f64 v[3:4], v[3:4], v[99:100], v[97:98]
	v_add_f64 v[1:2], v[93:94], -v[1:2]
	v_add_f64 v[3:4], v[95:96], -v[3:4]
	buffer_store_dword v2, v5, s[0:3], 0 offen offset:36
	buffer_store_dword v1, v5, s[0:3], 0 offen offset:32
	;; [unrolled: 1-line block ×4, first 2 shown]
	s_clause 0x7
	buffer_load_dword v1, off, s[0:3], 0 offset:344
	buffer_load_dword v2, off, s[0:3], 0 offset:348
	;; [unrolled: 1-line block ×4, first 2 shown]
	buffer_load_dword v93, v5, s[0:3], 0 offen offset:48
	buffer_load_dword v94, v5, s[0:3], 0 offen offset:52
	;; [unrolled: 1-line block ×4, first 2 shown]
	s_waitcnt vmcnt(6) lgkmcnt(0)
	v_mul_f64 v[97:98], v[91:92], v[1:2]
	v_mul_f64 v[1:2], v[89:90], v[1:2]
	s_waitcnt vmcnt(4)
	v_fma_f64 v[89:90], v[89:90], v[3:4], -v[97:98]
	v_fma_f64 v[1:2], v[91:92], v[3:4], v[1:2]
	s_waitcnt vmcnt(2)
	v_add_f64 v[3:4], v[93:94], -v[89:90]
	s_waitcnt vmcnt(0)
	v_add_f64 v[1:2], v[95:96], -v[1:2]
	buffer_store_dword v4, v5, s[0:3], 0 offen offset:52
	buffer_store_dword v3, v5, s[0:3], 0 offen offset:48
	;; [unrolled: 1-line block ×4, first 2 shown]
	s_clause 0x7
	buffer_load_dword v89, off, s[0:3], 0 offset:344
	buffer_load_dword v90, off, s[0:3], 0 offset:348
	;; [unrolled: 1-line block ×4, first 2 shown]
	buffer_load_dword v93, v5, s[0:3], 0 offen offset:64
	buffer_load_dword v94, v5, s[0:3], 0 offen offset:68
	;; [unrolled: 1-line block ×4, first 2 shown]
	ds_read2_b64 v[1:4], v6 offset0:8 offset1:9
	s_waitcnt vmcnt(6) lgkmcnt(0)
	v_mul_f64 v[97:98], v[3:4], v[89:90]
	v_mul_f64 v[89:90], v[1:2], v[89:90]
	s_waitcnt vmcnt(4)
	v_fma_f64 v[1:2], v[1:2], v[91:92], -v[97:98]
	v_fma_f64 v[3:4], v[3:4], v[91:92], v[89:90]
	s_waitcnt vmcnt(2)
	v_add_f64 v[1:2], v[93:94], -v[1:2]
	s_waitcnt vmcnt(0)
	v_add_f64 v[3:4], v[95:96], -v[3:4]
	buffer_store_dword v2, v5, s[0:3], 0 offen offset:68
	buffer_store_dword v1, v5, s[0:3], 0 offen offset:64
	;; [unrolled: 1-line block ×4, first 2 shown]
	s_cbranch_scc1 .LBB123_288
.LBB123_289:
	s_or_b32 exec_lo, exec_lo, s5
	s_mov_b32 s6, exec_lo
	s_waitcnt lgkmcnt(0)
	s_waitcnt_vscnt null, 0x0
	s_barrier
	buffer_gl0_inv
	v_cmpx_eq_u32_e32 22, v0
	s_cbranch_execz .LBB123_298
; %bb.290:
	v_mov_b32_e32 v4, s53
	s_movk_i32 s5, 0x170
	s_clause 0x3
	buffer_load_dword v1, v4, s[0:3], 0 offen
	buffer_load_dword v2, v4, s[0:3], 0 offen offset:4
	buffer_load_dword v3, v4, s[0:3], 0 offen offset:8
	;; [unrolled: 1-line block ×3, first 2 shown]
	s_waitcnt vmcnt(0)
	ds_write2_b64 v255, v[1:2], v[3:4] offset1:1
.LBB123_291:                            ; =>This Inner Loop Header: Depth=1
	v_mov_b32_e32 v5, s5
	v_add_nc_u32_e32 v6, s5, v245
	s_addk_i32 s5, 0xd0
	s_clause 0xf
	buffer_load_dword v1, v5, s[0:3], 0 offen
	buffer_load_dword v2, v5, s[0:3], 0 offen offset:4
	buffer_load_dword v3, v5, s[0:3], 0 offen offset:8
	buffer_load_dword v4, v5, s[0:3], 0 offen offset:12
	buffer_load_dword v89, v5, s[0:3], 0 offen offset:16
	buffer_load_dword v90, v5, s[0:3], 0 offen offset:20
	buffer_load_dword v91, v5, s[0:3], 0 offen offset:24
	buffer_load_dword v92, v5, s[0:3], 0 offen offset:28
	buffer_load_dword v93, v5, s[0:3], 0 offen offset:32
	buffer_load_dword v94, v5, s[0:3], 0 offen offset:36
	buffer_load_dword v95, v5, s[0:3], 0 offen offset:40
	buffer_load_dword v96, v5, s[0:3], 0 offen offset:44
	buffer_load_dword v97, v5, s[0:3], 0 offen offset:48
	buffer_load_dword v98, v5, s[0:3], 0 offen offset:52
	buffer_load_dword v99, v5, s[0:3], 0 offen offset:56
	buffer_load_dword v100, v5, s[0:3], 0 offen offset:60
	s_cmpk_lg_i32 s5, 0x3e0
	s_waitcnt vmcnt(12)
	ds_write2_b64 v6, v[1:2], v[3:4] offset1:1
	s_waitcnt vmcnt(8)
	ds_write2_b64 v6, v[89:90], v[91:92] offset0:2 offset1:3
	s_waitcnt vmcnt(4)
	ds_write2_b64 v6, v[93:94], v[95:96] offset0:4 offset1:5
	;; [unrolled: 2-line block ×3, first 2 shown]
	s_clause 0x3
	buffer_load_dword v2, v5, s[0:3], 0 offen offset:76
	buffer_load_dword v1, v5, s[0:3], 0 offen offset:72
	buffer_load_dword v4, v5, s[0:3], 0 offen offset:68
	buffer_load_dword v3, v5, s[0:3], 0 offen offset:64
	s_waitcnt vmcnt(0)
	ds_write2_b64 v6, v[3:4], v[1:2] offset0:8 offset1:9
	s_clause 0x3
	buffer_load_dword v2, v5, s[0:3], 0 offen offset:92
	buffer_load_dword v1, v5, s[0:3], 0 offen offset:88
	buffer_load_dword v4, v5, s[0:3], 0 offen offset:84
	buffer_load_dword v3, v5, s[0:3], 0 offen offset:80
	s_waitcnt vmcnt(0)
	ds_write2_b64 v6, v[3:4], v[1:2] offset0:10 offset1:11
	;; [unrolled: 7-line block ×9, first 2 shown]
	s_cbranch_scc1 .LBB123_291
; %bb.292:
	ds_read2_b64 v[89:92], v255 offset1:1
	s_waitcnt lgkmcnt(0)
	v_cmp_neq_f64_e32 vcc_lo, 0, v[89:90]
	v_cmp_neq_f64_e64 s5, 0, v[91:92]
	s_or_b32 s5, vcc_lo, s5
	s_and_b32 exec_lo, exec_lo, s5
	s_cbranch_execz .LBB123_298
; %bb.293:
	v_cmp_ngt_f64_e64 s5, |v[89:90]|, |v[91:92]|
                                        ; implicit-def: $vgpr1_vgpr2
	s_and_saveexec_b32 s7, s5
	s_xor_b32 s5, exec_lo, s7
                                        ; implicit-def: $vgpr3_vgpr4
	s_cbranch_execz .LBB123_295
; %bb.294:
	v_div_scale_f64 v[1:2], null, v[91:92], v[91:92], v[89:90]
	v_div_scale_f64 v[95:96], vcc_lo, v[89:90], v[91:92], v[89:90]
	v_rcp_f64_e32 v[3:4], v[1:2]
	v_fma_f64 v[93:94], -v[1:2], v[3:4], 1.0
	v_fma_f64 v[3:4], v[3:4], v[93:94], v[3:4]
	v_fma_f64 v[93:94], -v[1:2], v[3:4], 1.0
	v_fma_f64 v[3:4], v[3:4], v[93:94], v[3:4]
	v_mul_f64 v[93:94], v[95:96], v[3:4]
	v_fma_f64 v[1:2], -v[1:2], v[93:94], v[95:96]
	v_div_fmas_f64 v[1:2], v[1:2], v[3:4], v[93:94]
	v_div_fixup_f64 v[1:2], v[1:2], v[91:92], v[89:90]
	v_fma_f64 v[3:4], v[89:90], v[1:2], v[91:92]
	v_div_scale_f64 v[89:90], null, v[3:4], v[3:4], 1.0
	v_rcp_f64_e32 v[91:92], v[89:90]
	v_fma_f64 v[93:94], -v[89:90], v[91:92], 1.0
	v_fma_f64 v[91:92], v[91:92], v[93:94], v[91:92]
	v_fma_f64 v[93:94], -v[89:90], v[91:92], 1.0
	v_fma_f64 v[91:92], v[91:92], v[93:94], v[91:92]
	v_div_scale_f64 v[93:94], vcc_lo, 1.0, v[3:4], 1.0
	v_mul_f64 v[95:96], v[93:94], v[91:92]
	v_fma_f64 v[89:90], -v[89:90], v[95:96], v[93:94]
	v_div_fmas_f64 v[89:90], v[89:90], v[91:92], v[95:96]
	v_div_fixup_f64 v[3:4], v[89:90], v[3:4], 1.0
                                        ; implicit-def: $vgpr89_vgpr90
	v_mul_f64 v[1:2], v[1:2], v[3:4]
	v_xor_b32_e32 v4, 0x80000000, v4
.LBB123_295:
	s_andn2_saveexec_b32 s5, s5
	s_cbranch_execz .LBB123_297
; %bb.296:
	v_div_scale_f64 v[1:2], null, v[89:90], v[89:90], v[91:92]
	v_div_scale_f64 v[95:96], vcc_lo, v[91:92], v[89:90], v[91:92]
	v_rcp_f64_e32 v[3:4], v[1:2]
	v_fma_f64 v[93:94], -v[1:2], v[3:4], 1.0
	v_fma_f64 v[3:4], v[3:4], v[93:94], v[3:4]
	v_fma_f64 v[93:94], -v[1:2], v[3:4], 1.0
	v_fma_f64 v[3:4], v[3:4], v[93:94], v[3:4]
	v_mul_f64 v[93:94], v[95:96], v[3:4]
	v_fma_f64 v[1:2], -v[1:2], v[93:94], v[95:96]
	v_div_fmas_f64 v[1:2], v[1:2], v[3:4], v[93:94]
	v_div_fixup_f64 v[3:4], v[1:2], v[89:90], v[91:92]
	v_fma_f64 v[1:2], v[91:92], v[3:4], v[89:90]
	v_div_scale_f64 v[89:90], null, v[1:2], v[1:2], 1.0
	v_rcp_f64_e32 v[91:92], v[89:90]
	v_fma_f64 v[93:94], -v[89:90], v[91:92], 1.0
	v_fma_f64 v[91:92], v[91:92], v[93:94], v[91:92]
	v_fma_f64 v[93:94], -v[89:90], v[91:92], 1.0
	v_fma_f64 v[91:92], v[91:92], v[93:94], v[91:92]
	v_div_scale_f64 v[93:94], vcc_lo, 1.0, v[1:2], 1.0
	v_mul_f64 v[95:96], v[93:94], v[91:92]
	v_fma_f64 v[89:90], -v[89:90], v[95:96], v[93:94]
	v_div_fmas_f64 v[89:90], v[89:90], v[91:92], v[95:96]
	v_div_fixup_f64 v[1:2], v[89:90], v[1:2], 1.0
	v_mul_f64 v[3:4], v[3:4], -v[1:2]
.LBB123_297:
	s_or_b32 exec_lo, exec_lo, s5
	ds_write2_b64 v255, v[1:2], v[3:4] offset1:1
.LBB123_298:
	s_or_b32 exec_lo, exec_lo, s6
	s_waitcnt lgkmcnt(0)
	s_barrier
	buffer_gl0_inv
	ds_read2_b64 v[89:92], v255 offset1:1
	s_mov_b32 s5, exec_lo
	v_cmpx_lt_u32_e32 22, v0
	s_cbranch_execz .LBB123_301
; %bb.299:
	s_clause 0x3
	buffer_load_dword v1, off, s[0:3], 0 offset:360
	buffer_load_dword v2, off, s[0:3], 0 offset:364
	;; [unrolled: 1-line block ×4, first 2 shown]
	s_movk_i32 s6, 0x170
	s_waitcnt vmcnt(2) lgkmcnt(0)
	v_mul_f64 v[93:94], v[91:92], v[1:2]
	v_mul_f64 v[1:2], v[89:90], v[1:2]
	s_waitcnt vmcnt(0)
	v_fma_f64 v[93:94], v[89:90], v[3:4], -v[93:94]
	v_fma_f64 v[1:2], v[91:92], v[3:4], v[1:2]
	buffer_store_dword v93, off, s[0:3], 0 offset:352
	buffer_store_dword v94, off, s[0:3], 0 offset:356
	;; [unrolled: 1-line block ×4, first 2 shown]
.LBB123_300:                            ; =>This Inner Loop Header: Depth=1
	s_clause 0x3
	buffer_load_dword v97, off, s[0:3], 0 offset:360
	buffer_load_dword v98, off, s[0:3], 0 offset:364
	;; [unrolled: 1-line block ×4, first 2 shown]
	v_mov_b32_e32 v5, s6
	v_add_nc_u32_e32 v6, s6, v245
	s_add_i32 s6, s6, 48
	s_clause 0x3
	buffer_load_dword v101, v5, s[0:3], 0 offen
	buffer_load_dword v102, v5, s[0:3], 0 offen offset:4
	buffer_load_dword v103, v5, s[0:3], 0 offen offset:8
	;; [unrolled: 1-line block ×3, first 2 shown]
	ds_read2_b64 v[1:4], v6 offset1:1
	ds_read2_b64 v[93:96], v6 offset0:2 offset1:3
	s_cmpk_lg_i32 s6, 0x3e0
	s_waitcnt vmcnt(6) lgkmcnt(1)
	v_mul_f64 v[105:106], v[3:4], v[97:98]
	v_mul_f64 v[97:98], v[1:2], v[97:98]
	s_waitcnt vmcnt(4)
	v_fma_f64 v[1:2], v[1:2], v[99:100], -v[105:106]
	v_fma_f64 v[3:4], v[3:4], v[99:100], v[97:98]
	s_clause 0x3
	buffer_load_dword v97, v5, s[0:3], 0 offen offset:16
	buffer_load_dword v98, v5, s[0:3], 0 offen offset:20
	;; [unrolled: 1-line block ×4, first 2 shown]
	s_waitcnt vmcnt(6)
	v_add_f64 v[1:2], v[101:102], -v[1:2]
	s_waitcnt vmcnt(4)
	v_add_f64 v[3:4], v[103:104], -v[3:4]
	buffer_store_dword v2, v5, s[0:3], 0 offen offset:4
	buffer_store_dword v1, v5, s[0:3], 0 offen
	buffer_store_dword v4, v5, s[0:3], 0 offen offset:12
	buffer_store_dword v3, v5, s[0:3], 0 offen offset:8
	s_clause 0x3
	buffer_load_dword v2, off, s[0:3], 0 offset:364
	buffer_load_dword v1, off, s[0:3], 0 offset:360
	;; [unrolled: 1-line block ×4, first 2 shown]
	s_waitcnt vmcnt(2) lgkmcnt(0)
	v_mul_f64 v[101:102], v[95:96], v[1:2]
	v_mul_f64 v[1:2], v[93:94], v[1:2]
	s_waitcnt vmcnt(0)
	v_fma_f64 v[93:94], v[93:94], v[3:4], -v[101:102]
	v_fma_f64 v[1:2], v[95:96], v[3:4], v[1:2]
	v_add_f64 v[3:4], v[97:98], -v[93:94]
	v_add_f64 v[1:2], v[99:100], -v[1:2]
	s_clause 0x3
	buffer_load_dword v93, v5, s[0:3], 0 offen offset:32
	buffer_load_dword v94, v5, s[0:3], 0 offen offset:36
	;; [unrolled: 1-line block ×4, first 2 shown]
	buffer_store_dword v4, v5, s[0:3], 0 offen offset:20
	buffer_store_dword v3, v5, s[0:3], 0 offen offset:16
	;; [unrolled: 1-line block ×4, first 2 shown]
	s_clause 0x3
	buffer_load_dword v97, off, s[0:3], 0 offset:360
	buffer_load_dword v98, off, s[0:3], 0 offset:364
	;; [unrolled: 1-line block ×4, first 2 shown]
	ds_read2_b64 v[1:4], v6 offset0:4 offset1:5
	s_waitcnt vmcnt(2) lgkmcnt(0)
	v_mul_f64 v[101:102], v[3:4], v[97:98]
	v_mul_f64 v[97:98], v[1:2], v[97:98]
	s_waitcnt vmcnt(0)
	v_fma_f64 v[1:2], v[1:2], v[99:100], -v[101:102]
	v_fma_f64 v[3:4], v[3:4], v[99:100], v[97:98]
	v_add_f64 v[1:2], v[93:94], -v[1:2]
	v_add_f64 v[3:4], v[95:96], -v[3:4]
	buffer_store_dword v2, v5, s[0:3], 0 offen offset:36
	buffer_store_dword v1, v5, s[0:3], 0 offen offset:32
	buffer_store_dword v4, v5, s[0:3], 0 offen offset:44
	buffer_store_dword v3, v5, s[0:3], 0 offen offset:40
	s_cbranch_scc1 .LBB123_300
.LBB123_301:
	s_or_b32 exec_lo, exec_lo, s5
	s_mov_b32 s6, exec_lo
	s_waitcnt lgkmcnt(0)
	s_waitcnt_vscnt null, 0x0
	s_barrier
	buffer_gl0_inv
	v_cmpx_eq_u32_e32 23, v0
	s_cbranch_execz .LBB123_310
; %bb.302:
	v_mov_b32_e32 v4, s52
	s_movk_i32 s5, 0x180
	s_clause 0x3
	buffer_load_dword v1, v4, s[0:3], 0 offen
	buffer_load_dword v2, v4, s[0:3], 0 offen offset:4
	buffer_load_dword v3, v4, s[0:3], 0 offen offset:8
	;; [unrolled: 1-line block ×3, first 2 shown]
	s_waitcnt vmcnt(0)
	ds_write2_b64 v255, v[1:2], v[3:4] offset1:1
	.p2align	6
.LBB123_303:                            ; =>This Inner Loop Header: Depth=1
	v_mov_b32_e32 v5, s5
	s_clause 0x7
	buffer_load_dword v1, v5, s[0:3], 0 offen
	buffer_load_dword v2, v5, s[0:3], 0 offen offset:4
	buffer_load_dword v3, v5, s[0:3], 0 offen offset:8
	;; [unrolled: 1-line block ×7, first 2 shown]
	v_add_nc_u32_e32 v5, s5, v245
	s_add_i32 s5, s5, 32
	s_waitcnt vmcnt(4)
	ds_write2_b64 v5, v[1:2], v[3:4] offset1:1
	s_waitcnt vmcnt(0)
	ds_write2_b64 v5, v[93:94], v[95:96] offset0:2 offset1:3
	s_cmpk_lg_i32 s5, 0x3e0
	s_cbranch_scc1 .LBB123_303
; %bb.304:
	ds_read2_b64 v[93:96], v255 offset1:1
	s_waitcnt lgkmcnt(0)
	v_cmp_neq_f64_e32 vcc_lo, 0, v[93:94]
	v_cmp_neq_f64_e64 s5, 0, v[95:96]
	s_or_b32 s5, vcc_lo, s5
	s_and_b32 exec_lo, exec_lo, s5
	s_cbranch_execz .LBB123_310
; %bb.305:
	v_cmp_ngt_f64_e64 s5, |v[93:94]|, |v[95:96]|
                                        ; implicit-def: $vgpr1_vgpr2
	s_and_saveexec_b32 s7, s5
	s_xor_b32 s5, exec_lo, s7
                                        ; implicit-def: $vgpr3_vgpr4
	s_cbranch_execz .LBB123_307
; %bb.306:
	v_div_scale_f64 v[1:2], null, v[95:96], v[95:96], v[93:94]
	v_div_scale_f64 v[99:100], vcc_lo, v[93:94], v[95:96], v[93:94]
	v_rcp_f64_e32 v[3:4], v[1:2]
	v_fma_f64 v[97:98], -v[1:2], v[3:4], 1.0
	v_fma_f64 v[3:4], v[3:4], v[97:98], v[3:4]
	v_fma_f64 v[97:98], -v[1:2], v[3:4], 1.0
	v_fma_f64 v[3:4], v[3:4], v[97:98], v[3:4]
	v_mul_f64 v[97:98], v[99:100], v[3:4]
	v_fma_f64 v[1:2], -v[1:2], v[97:98], v[99:100]
	v_div_fmas_f64 v[1:2], v[1:2], v[3:4], v[97:98]
	v_div_fixup_f64 v[1:2], v[1:2], v[95:96], v[93:94]
	v_fma_f64 v[3:4], v[93:94], v[1:2], v[95:96]
	v_div_scale_f64 v[93:94], null, v[3:4], v[3:4], 1.0
	v_rcp_f64_e32 v[95:96], v[93:94]
	v_fma_f64 v[97:98], -v[93:94], v[95:96], 1.0
	v_fma_f64 v[95:96], v[95:96], v[97:98], v[95:96]
	v_fma_f64 v[97:98], -v[93:94], v[95:96], 1.0
	v_fma_f64 v[95:96], v[95:96], v[97:98], v[95:96]
	v_div_scale_f64 v[97:98], vcc_lo, 1.0, v[3:4], 1.0
	v_mul_f64 v[99:100], v[97:98], v[95:96]
	v_fma_f64 v[93:94], -v[93:94], v[99:100], v[97:98]
	v_div_fmas_f64 v[93:94], v[93:94], v[95:96], v[99:100]
	v_div_fixup_f64 v[3:4], v[93:94], v[3:4], 1.0
                                        ; implicit-def: $vgpr93_vgpr94
	v_mul_f64 v[1:2], v[1:2], v[3:4]
	v_xor_b32_e32 v4, 0x80000000, v4
.LBB123_307:
	s_andn2_saveexec_b32 s5, s5
	s_cbranch_execz .LBB123_309
; %bb.308:
	v_div_scale_f64 v[1:2], null, v[93:94], v[93:94], v[95:96]
	v_div_scale_f64 v[99:100], vcc_lo, v[95:96], v[93:94], v[95:96]
	v_rcp_f64_e32 v[3:4], v[1:2]
	v_fma_f64 v[97:98], -v[1:2], v[3:4], 1.0
	v_fma_f64 v[3:4], v[3:4], v[97:98], v[3:4]
	v_fma_f64 v[97:98], -v[1:2], v[3:4], 1.0
	v_fma_f64 v[3:4], v[3:4], v[97:98], v[3:4]
	v_mul_f64 v[97:98], v[99:100], v[3:4]
	v_fma_f64 v[1:2], -v[1:2], v[97:98], v[99:100]
	v_div_fmas_f64 v[1:2], v[1:2], v[3:4], v[97:98]
	v_div_fixup_f64 v[3:4], v[1:2], v[93:94], v[95:96]
	v_fma_f64 v[1:2], v[95:96], v[3:4], v[93:94]
	v_div_scale_f64 v[93:94], null, v[1:2], v[1:2], 1.0
	v_rcp_f64_e32 v[95:96], v[93:94]
	v_fma_f64 v[97:98], -v[93:94], v[95:96], 1.0
	v_fma_f64 v[95:96], v[95:96], v[97:98], v[95:96]
	v_fma_f64 v[97:98], -v[93:94], v[95:96], 1.0
	v_fma_f64 v[95:96], v[95:96], v[97:98], v[95:96]
	v_div_scale_f64 v[97:98], vcc_lo, 1.0, v[1:2], 1.0
	v_mul_f64 v[99:100], v[97:98], v[95:96]
	v_fma_f64 v[93:94], -v[93:94], v[99:100], v[97:98]
	v_div_fmas_f64 v[93:94], v[93:94], v[95:96], v[99:100]
	v_div_fixup_f64 v[1:2], v[93:94], v[1:2], 1.0
	v_mul_f64 v[3:4], v[3:4], -v[1:2]
.LBB123_309:
	s_or_b32 exec_lo, exec_lo, s5
	ds_write2_b64 v255, v[1:2], v[3:4] offset1:1
.LBB123_310:
	s_or_b32 exec_lo, exec_lo, s6
	s_waitcnt lgkmcnt(0)
	s_barrier
	buffer_gl0_inv
	ds_read2_b64 v[93:96], v255 offset1:1
	s_mov_b32 s5, exec_lo
	v_cmpx_lt_u32_e32 23, v0
	s_cbranch_execz .LBB123_313
; %bb.311:
	s_clause 0x3
	buffer_load_dword v1, off, s[0:3], 0 offset:376
	buffer_load_dword v2, off, s[0:3], 0 offset:380
	;; [unrolled: 1-line block ×4, first 2 shown]
	s_movk_i32 s6, 0x180
	s_waitcnt vmcnt(2) lgkmcnt(0)
	v_mul_f64 v[97:98], v[95:96], v[1:2]
	v_mul_f64 v[1:2], v[93:94], v[1:2]
	s_waitcnt vmcnt(0)
	v_fma_f64 v[97:98], v[93:94], v[3:4], -v[97:98]
	v_fma_f64 v[1:2], v[95:96], v[3:4], v[1:2]
	buffer_store_dword v97, off, s[0:3], 0 offset:368
	buffer_store_dword v98, off, s[0:3], 0 offset:372
	;; [unrolled: 1-line block ×4, first 2 shown]
.LBB123_312:                            ; =>This Inner Loop Header: Depth=1
	s_clause 0x3
	buffer_load_dword v101, off, s[0:3], 0 offset:376
	buffer_load_dword v102, off, s[0:3], 0 offset:380
	;; [unrolled: 1-line block ×4, first 2 shown]
	v_mov_b32_e32 v5, s6
	v_add_nc_u32_e32 v6, s6, v245
	s_add_i32 s6, s6, 32
	s_clause 0x3
	buffer_load_dword v105, v5, s[0:3], 0 offen
	buffer_load_dword v106, v5, s[0:3], 0 offen offset:4
	buffer_load_dword v107, v5, s[0:3], 0 offen offset:8
	;; [unrolled: 1-line block ×3, first 2 shown]
	ds_read2_b64 v[1:4], v6 offset1:1
	ds_read2_b64 v[97:100], v6 offset0:2 offset1:3
	s_cmpk_lg_i32 s6, 0x3e0
	s_waitcnt vmcnt(6) lgkmcnt(1)
	v_mul_f64 v[109:110], v[3:4], v[101:102]
	v_mul_f64 v[101:102], v[1:2], v[101:102]
	s_waitcnt vmcnt(4)
	v_fma_f64 v[1:2], v[1:2], v[103:104], -v[109:110]
	v_fma_f64 v[3:4], v[3:4], v[103:104], v[101:102]
	s_clause 0x3
	buffer_load_dword v101, v5, s[0:3], 0 offen offset:16
	buffer_load_dword v102, v5, s[0:3], 0 offen offset:20
	;; [unrolled: 1-line block ×4, first 2 shown]
	s_waitcnt vmcnt(6)
	v_add_f64 v[1:2], v[105:106], -v[1:2]
	s_waitcnt vmcnt(4)
	v_add_f64 v[3:4], v[107:108], -v[3:4]
	buffer_store_dword v2, v5, s[0:3], 0 offen offset:4
	buffer_store_dword v1, v5, s[0:3], 0 offen
	buffer_store_dword v4, v5, s[0:3], 0 offen offset:12
	buffer_store_dword v3, v5, s[0:3], 0 offen offset:8
	s_clause 0x3
	buffer_load_dword v2, off, s[0:3], 0 offset:380
	buffer_load_dword v1, off, s[0:3], 0 offset:376
	buffer_load_dword v4, off, s[0:3], 0 offset:372
	buffer_load_dword v3, off, s[0:3], 0 offset:368
	s_waitcnt vmcnt(2) lgkmcnt(0)
	v_mul_f64 v[105:106], v[99:100], v[1:2]
	v_mul_f64 v[1:2], v[97:98], v[1:2]
	s_waitcnt vmcnt(0)
	v_fma_f64 v[97:98], v[97:98], v[3:4], -v[105:106]
	v_fma_f64 v[1:2], v[99:100], v[3:4], v[1:2]
	v_add_f64 v[3:4], v[101:102], -v[97:98]
	v_add_f64 v[1:2], v[103:104], -v[1:2]
	buffer_store_dword v4, v5, s[0:3], 0 offen offset:20
	buffer_store_dword v3, v5, s[0:3], 0 offen offset:16
	;; [unrolled: 1-line block ×4, first 2 shown]
	s_cbranch_scc1 .LBB123_312
.LBB123_313:
	s_or_b32 exec_lo, exec_lo, s5
	s_mov_b32 s6, exec_lo
	s_waitcnt lgkmcnt(0)
	s_waitcnt_vscnt null, 0x0
	s_barrier
	buffer_gl0_inv
	v_cmpx_eq_u32_e32 24, v0
	s_cbranch_execz .LBB123_324
; %bb.314:
	v_mov_b32_e32 v1, s51
	s_mov_b32 s5, 0
	s_clause 0x3
	buffer_load_dword v2, v1, s[0:3], 0 offen
	buffer_load_dword v3, v1, s[0:3], 0 offen offset:4
	buffer_load_dword v97, v1, s[0:3], 0 offen offset:8
	;; [unrolled: 1-line block ×3, first 2 shown]
	v_add3_u32 v1, v181, 0, 0x190
	s_waitcnt vmcnt(0)
	ds_write2_b64 v255, v[2:3], v[97:98] offset1:1
	s_branch .LBB123_316
.LBB123_315:                            ;   in Loop: Header=BB123_316 Depth=1
	s_andn2_b32 vcc_lo, exec_lo, s8
	s_cbranch_vccz .LBB123_318
.LBB123_316:                            ; =>This Inner Loop Header: Depth=1
	s_add_i32 s7, s50, s5
	s_mov_b32 s8, -1
	v_mov_b32_e32 v2, s7
	s_cmpk_eq_i32 s5, 0x200
	s_clause 0x13
	buffer_load_dword v3, v2, s[0:3], 0 offen
	buffer_load_dword v4, v2, s[0:3], 0 offen offset:4
	buffer_load_dword v97, v2, s[0:3], 0 offen offset:8
	;; [unrolled: 1-line block ×19, first 2 shown]
	v_add_nc_u32_e32 v2, s5, v1
	s_waitcnt vmcnt(16)
	ds_write2_b64 v2, v[3:4], v[97:98] offset1:1
	s_waitcnt vmcnt(12)
	ds_write2_b64 v2, v[99:100], v[101:102] offset0:2 offset1:3
	s_waitcnt vmcnt(8)
	ds_write2_b64 v2, v[103:104], v[105:106] offset0:4 offset1:5
	;; [unrolled: 2-line block ×4, first 2 shown]
	s_cbranch_scc1 .LBB123_315
; %bb.317:                              ;   in Loop: Header=BB123_316 Depth=1
	v_mov_b32_e32 v5, s7
	s_addk_i32 s5, 0x80
	s_mov_b32 s8, 0
	s_clause 0xb
	buffer_load_dword v3, v5, s[0:3], 0 offen offset:80
	buffer_load_dword v4, v5, s[0:3], 0 offen offset:84
	;; [unrolled: 1-line block ×12, first 2 shown]
	s_waitcnt vmcnt(8)
	ds_write2_b64 v2, v[3:4], v[97:98] offset0:10 offset1:11
	s_waitcnt vmcnt(4)
	ds_write2_b64 v2, v[99:100], v[101:102] offset0:12 offset1:13
	;; [unrolled: 2-line block ×3, first 2 shown]
	s_branch .LBB123_315
.LBB123_318:
	ds_read2_b64 v[97:100], v255 offset1:1
	s_waitcnt lgkmcnt(0)
	v_cmp_neq_f64_e32 vcc_lo, 0, v[97:98]
	v_cmp_neq_f64_e64 s5, 0, v[99:100]
	s_or_b32 s5, vcc_lo, s5
	s_and_b32 exec_lo, exec_lo, s5
	s_cbranch_execz .LBB123_324
; %bb.319:
	v_cmp_ngt_f64_e64 s5, |v[97:98]|, |v[99:100]|
                                        ; implicit-def: $vgpr1_vgpr2
	s_and_saveexec_b32 s7, s5
	s_xor_b32 s5, exec_lo, s7
                                        ; implicit-def: $vgpr3_vgpr4
	s_cbranch_execz .LBB123_321
; %bb.320:
	v_div_scale_f64 v[1:2], null, v[99:100], v[99:100], v[97:98]
	v_div_scale_f64 v[103:104], vcc_lo, v[97:98], v[99:100], v[97:98]
	v_rcp_f64_e32 v[3:4], v[1:2]
	v_fma_f64 v[101:102], -v[1:2], v[3:4], 1.0
	v_fma_f64 v[3:4], v[3:4], v[101:102], v[3:4]
	v_fma_f64 v[101:102], -v[1:2], v[3:4], 1.0
	v_fma_f64 v[3:4], v[3:4], v[101:102], v[3:4]
	v_mul_f64 v[101:102], v[103:104], v[3:4]
	v_fma_f64 v[1:2], -v[1:2], v[101:102], v[103:104]
	v_div_fmas_f64 v[1:2], v[1:2], v[3:4], v[101:102]
	v_div_fixup_f64 v[1:2], v[1:2], v[99:100], v[97:98]
	v_fma_f64 v[3:4], v[97:98], v[1:2], v[99:100]
	v_div_scale_f64 v[97:98], null, v[3:4], v[3:4], 1.0
	v_rcp_f64_e32 v[99:100], v[97:98]
	v_fma_f64 v[101:102], -v[97:98], v[99:100], 1.0
	v_fma_f64 v[99:100], v[99:100], v[101:102], v[99:100]
	v_fma_f64 v[101:102], -v[97:98], v[99:100], 1.0
	v_fma_f64 v[99:100], v[99:100], v[101:102], v[99:100]
	v_div_scale_f64 v[101:102], vcc_lo, 1.0, v[3:4], 1.0
	v_mul_f64 v[103:104], v[101:102], v[99:100]
	v_fma_f64 v[97:98], -v[97:98], v[103:104], v[101:102]
	v_div_fmas_f64 v[97:98], v[97:98], v[99:100], v[103:104]
	v_div_fixup_f64 v[3:4], v[97:98], v[3:4], 1.0
                                        ; implicit-def: $vgpr97_vgpr98
	v_mul_f64 v[1:2], v[1:2], v[3:4]
	v_xor_b32_e32 v4, 0x80000000, v4
.LBB123_321:
	s_andn2_saveexec_b32 s5, s5
	s_cbranch_execz .LBB123_323
; %bb.322:
	v_div_scale_f64 v[1:2], null, v[97:98], v[97:98], v[99:100]
	v_div_scale_f64 v[103:104], vcc_lo, v[99:100], v[97:98], v[99:100]
	v_rcp_f64_e32 v[3:4], v[1:2]
	v_fma_f64 v[101:102], -v[1:2], v[3:4], 1.0
	v_fma_f64 v[3:4], v[3:4], v[101:102], v[3:4]
	v_fma_f64 v[101:102], -v[1:2], v[3:4], 1.0
	v_fma_f64 v[3:4], v[3:4], v[101:102], v[3:4]
	v_mul_f64 v[101:102], v[103:104], v[3:4]
	v_fma_f64 v[1:2], -v[1:2], v[101:102], v[103:104]
	v_div_fmas_f64 v[1:2], v[1:2], v[3:4], v[101:102]
	v_div_fixup_f64 v[3:4], v[1:2], v[97:98], v[99:100]
	v_fma_f64 v[1:2], v[99:100], v[3:4], v[97:98]
	v_div_scale_f64 v[97:98], null, v[1:2], v[1:2], 1.0
	v_rcp_f64_e32 v[99:100], v[97:98]
	v_fma_f64 v[101:102], -v[97:98], v[99:100], 1.0
	v_fma_f64 v[99:100], v[99:100], v[101:102], v[99:100]
	v_fma_f64 v[101:102], -v[97:98], v[99:100], 1.0
	v_fma_f64 v[99:100], v[99:100], v[101:102], v[99:100]
	v_div_scale_f64 v[101:102], vcc_lo, 1.0, v[1:2], 1.0
	v_mul_f64 v[103:104], v[101:102], v[99:100]
	v_fma_f64 v[97:98], -v[97:98], v[103:104], v[101:102]
	v_div_fmas_f64 v[97:98], v[97:98], v[99:100], v[103:104]
	v_div_fixup_f64 v[1:2], v[97:98], v[1:2], 1.0
	v_mul_f64 v[3:4], v[3:4], -v[1:2]
.LBB123_323:
	s_or_b32 exec_lo, exec_lo, s5
	ds_write2_b64 v255, v[1:2], v[3:4] offset1:1
.LBB123_324:
	s_or_b32 exec_lo, exec_lo, s6
	s_waitcnt lgkmcnt(0)
	s_barrier
	buffer_gl0_inv
	ds_read2_b64 v[97:100], v255 offset1:1
	s_mov_b32 s5, exec_lo
	v_cmpx_lt_u32_e32 24, v0
	s_cbranch_execz .LBB123_329
; %bb.325:
	s_clause 0x3
	buffer_load_dword v1, off, s[0:3], 0 offset:392
	buffer_load_dword v2, off, s[0:3], 0 offset:396
	buffer_load_dword v3, off, s[0:3], 0 offset:384
	buffer_load_dword v4, off, s[0:3], 0 offset:388
	s_movk_i32 s6, 0x190
	s_waitcnt vmcnt(2) lgkmcnt(0)
	v_mul_f64 v[101:102], v[99:100], v[1:2]
	v_mul_f64 v[1:2], v[97:98], v[1:2]
	s_waitcnt vmcnt(0)
	v_fma_f64 v[101:102], v[97:98], v[3:4], -v[101:102]
	v_fma_f64 v[103:104], v[99:100], v[3:4], v[1:2]
	buffer_store_dword v101, off, s[0:3], 0 offset:384
	buffer_store_dword v102, off, s[0:3], 0 offset:388
	;; [unrolled: 1-line block ×4, first 2 shown]
	s_branch .LBB123_327
.LBB123_326:                            ;   in Loop: Header=BB123_327 Depth=1
	s_andn2_b32 vcc_lo, exec_lo, s8
	s_cbranch_vccz .LBB123_329
.LBB123_327:                            ; =>This Inner Loop Header: Depth=1
	v_mov_b32_e32 v4, s6
	v_add_nc_u32_e32 v1, s6, v245
	s_mov_b32 s7, s6
	s_mov_b32 s8, -1
	s_cmpk_eq_i32 s6, 0x3d0
	s_clause 0x3
	buffer_load_dword v2, v4, s[0:3], 0 offen
	buffer_load_dword v3, v4, s[0:3], 0 offen offset:4
	buffer_load_dword v109, v4, s[0:3], 0 offen offset:8
	;; [unrolled: 1-line block ×3, first 2 shown]
	ds_read2_b64 v[105:108], v1 offset1:1
	s_waitcnt vmcnt(4) lgkmcnt(0)
	v_mul_f64 v[111:112], v[107:108], v[103:104]
	v_mul_f64 v[103:104], v[105:106], v[103:104]
	v_fma_f64 v[105:106], v[105:106], v[101:102], -v[111:112]
	v_fma_f64 v[101:102], v[107:108], v[101:102], v[103:104]
                                        ; implicit-def: $vgpr103_vgpr104
	s_waitcnt vmcnt(2)
	v_add_f64 v[2:3], v[2:3], -v[105:106]
	s_waitcnt vmcnt(0)
	v_add_f64 v[101:102], v[109:110], -v[101:102]
	buffer_store_dword v2, v4, s[0:3], 0 offen
	buffer_store_dword v3, v4, s[0:3], 0 offen offset:4
	buffer_store_dword v101, v4, s[0:3], 0 offen offset:8
	;; [unrolled: 1-line block ×3, first 2 shown]
                                        ; implicit-def: $vgpr101_vgpr102
	s_cbranch_scc1 .LBB123_326
; %bb.328:                              ;   in Loop: Header=BB123_327 Depth=1
	s_clause 0x3
	buffer_load_dword v2, off, s[0:3], 0 offset:392
	buffer_load_dword v3, off, s[0:3], 0 offset:396
	;; [unrolled: 1-line block ×4, first 2 shown]
	v_mov_b32_e32 v5, s7
	s_add_i32 s6, s6, 64
	s_mov_b32 s8, 0
	s_clause 0x3
	buffer_load_dword v111, v5, s[0:3], 0 offen offset:16
	buffer_load_dword v112, v5, s[0:3], 0 offen offset:20
	;; [unrolled: 1-line block ×4, first 2 shown]
	ds_read2_b64 v[101:104], v1 offset0:2 offset1:3
	ds_read2_b64 v[105:108], v1 offset0:4 offset1:5
	s_waitcnt vmcnt(6) lgkmcnt(1)
	v_mul_f64 v[115:116], v[103:104], v[2:3]
	v_mul_f64 v[2:3], v[101:102], v[2:3]
	s_waitcnt vmcnt(4)
	v_fma_f64 v[101:102], v[101:102], v[109:110], -v[115:116]
	v_fma_f64 v[2:3], v[103:104], v[109:110], v[2:3]
	s_waitcnt vmcnt(2)
	v_add_f64 v[101:102], v[111:112], -v[101:102]
	s_waitcnt vmcnt(0)
	v_add_f64 v[2:3], v[113:114], -v[2:3]
	buffer_store_dword v102, v5, s[0:3], 0 offen offset:20
	buffer_store_dword v101, v5, s[0:3], 0 offen offset:16
	;; [unrolled: 1-line block ×4, first 2 shown]
	s_clause 0x7
	buffer_load_dword v3, v5, s[0:3], 0 offen offset:36
	buffer_load_dword v101, v5, s[0:3], 0 offen offset:40
	;; [unrolled: 1-line block ×3, first 2 shown]
	buffer_load_dword v104, off, s[0:3], 0 offset:396
	buffer_load_dword v103, off, s[0:3], 0 offset:392
	;; [unrolled: 1-line block ×4, first 2 shown]
	buffer_load_dword v2, v5, s[0:3], 0 offen offset:32
	s_waitcnt vmcnt(3) lgkmcnt(0)
	v_mul_f64 v[111:112], v[107:108], v[103:104]
	v_mul_f64 v[103:104], v[105:106], v[103:104]
	s_waitcnt vmcnt(1)
	v_fma_f64 v[105:106], v[105:106], v[109:110], -v[111:112]
	v_fma_f64 v[103:104], v[107:108], v[109:110], v[103:104]
	s_waitcnt vmcnt(0)
	v_add_f64 v[2:3], v[2:3], -v[105:106]
	v_add_f64 v[101:102], v[101:102], -v[103:104]
	buffer_store_dword v3, v5, s[0:3], 0 offen offset:36
	buffer_store_dword v2, v5, s[0:3], 0 offen offset:32
	;; [unrolled: 1-line block ×4, first 2 shown]
	s_clause 0x7
	buffer_load_dword v102, v5, s[0:3], 0 offen offset:52
	buffer_load_dword v103, v5, s[0:3], 0 offen offset:56
	;; [unrolled: 1-line block ×3, first 2 shown]
	buffer_load_dword v105, off, s[0:3], 0 offset:392
	buffer_load_dword v106, off, s[0:3], 0 offset:396
	;; [unrolled: 1-line block ×4, first 2 shown]
	buffer_load_dword v101, v5, s[0:3], 0 offen offset:48
	ds_read2_b64 v[1:4], v1 offset0:6 offset1:7
	s_waitcnt vmcnt(3) lgkmcnt(0)
	v_mul_f64 v[109:110], v[3:4], v[105:106]
	v_mul_f64 v[105:106], v[1:2], v[105:106]
	s_waitcnt vmcnt(1)
	v_fma_f64 v[1:2], v[1:2], v[107:108], -v[109:110]
	v_fma_f64 v[3:4], v[3:4], v[107:108], v[105:106]
	s_waitcnt vmcnt(0)
	v_add_f64 v[1:2], v[101:102], -v[1:2]
	v_add_f64 v[3:4], v[103:104], -v[3:4]
	buffer_store_dword v2, v5, s[0:3], 0 offen offset:52
	buffer_store_dword v1, v5, s[0:3], 0 offen offset:48
	;; [unrolled: 1-line block ×4, first 2 shown]
	s_clause 0x3
	buffer_load_dword v101, off, s[0:3], 0 offset:384
	buffer_load_dword v102, off, s[0:3], 0 offset:388
	;; [unrolled: 1-line block ×4, first 2 shown]
	s_branch .LBB123_326
.LBB123_329:
	s_or_b32 exec_lo, exec_lo, s5
	s_mov_b32 s6, exec_lo
	s_waitcnt vmcnt(0) lgkmcnt(0)
	s_waitcnt_vscnt null, 0x0
	s_barrier
	buffer_gl0_inv
	v_cmpx_eq_u32_e32 25, v0
	s_cbranch_execz .LBB123_336
; %bb.330:
	v_mov_b32_e32 v4, s50
	s_clause 0x3
	buffer_load_dword v1, v4, s[0:3], 0 offen
	buffer_load_dword v2, v4, s[0:3], 0 offen offset:4
	buffer_load_dword v3, v4, s[0:3], 0 offen offset:8
	;; [unrolled: 1-line block ×3, first 2 shown]
	s_waitcnt vmcnt(0)
	ds_write2_b64 v255, v[1:2], v[3:4] offset1:1
	v_mov_b32_e32 v4, s49
	s_clause 0x3
	buffer_load_dword v1, v4, s[0:3], 0 offen
	buffer_load_dword v2, v4, s[0:3], 0 offen offset:4
	buffer_load_dword v3, v4, s[0:3], 0 offen offset:8
	buffer_load_dword v4, v4, s[0:3], 0 offen offset:12
	s_waitcnt vmcnt(0)
	ds_write2_b64 v245, v[1:2], v[3:4] offset0:52 offset1:53
	v_mov_b32_e32 v4, s48
	s_clause 0x3
	buffer_load_dword v1, v4, s[0:3], 0 offen
	buffer_load_dword v2, v4, s[0:3], 0 offen offset:4
	buffer_load_dword v3, v4, s[0:3], 0 offen offset:8
	buffer_load_dword v4, v4, s[0:3], 0 offen offset:12
	s_waitcnt vmcnt(0)
	ds_write2_b64 v245, v[1:2], v[3:4] offset0:54 offset1:55
	;; [unrolled: 8-line block ×36, first 2 shown]
	ds_read2_b64 v[101:104], v255 offset1:1
	s_waitcnt lgkmcnt(0)
	v_cmp_neq_f64_e32 vcc_lo, 0, v[101:102]
	v_cmp_neq_f64_e64 s5, 0, v[103:104]
	s_or_b32 s5, vcc_lo, s5
	s_and_b32 exec_lo, exec_lo, s5
	s_cbranch_execz .LBB123_336
; %bb.331:
	v_cmp_ngt_f64_e64 s5, |v[101:102]|, |v[103:104]|
                                        ; implicit-def: $vgpr1_vgpr2
	s_and_saveexec_b32 s7, s5
	s_xor_b32 s5, exec_lo, s7
                                        ; implicit-def: $vgpr3_vgpr4
	s_cbranch_execz .LBB123_333
; %bb.332:
	v_div_scale_f64 v[1:2], null, v[103:104], v[103:104], v[101:102]
	v_div_scale_f64 v[107:108], vcc_lo, v[101:102], v[103:104], v[101:102]
	v_rcp_f64_e32 v[3:4], v[1:2]
	v_fma_f64 v[105:106], -v[1:2], v[3:4], 1.0
	v_fma_f64 v[3:4], v[3:4], v[105:106], v[3:4]
	v_fma_f64 v[105:106], -v[1:2], v[3:4], 1.0
	v_fma_f64 v[3:4], v[3:4], v[105:106], v[3:4]
	v_mul_f64 v[105:106], v[107:108], v[3:4]
	v_fma_f64 v[1:2], -v[1:2], v[105:106], v[107:108]
	v_div_fmas_f64 v[1:2], v[1:2], v[3:4], v[105:106]
	v_div_fixup_f64 v[1:2], v[1:2], v[103:104], v[101:102]
	v_fma_f64 v[3:4], v[101:102], v[1:2], v[103:104]
	v_div_scale_f64 v[101:102], null, v[3:4], v[3:4], 1.0
	v_rcp_f64_e32 v[103:104], v[101:102]
	v_fma_f64 v[105:106], -v[101:102], v[103:104], 1.0
	v_fma_f64 v[103:104], v[103:104], v[105:106], v[103:104]
	v_fma_f64 v[105:106], -v[101:102], v[103:104], 1.0
	v_fma_f64 v[103:104], v[103:104], v[105:106], v[103:104]
	v_div_scale_f64 v[105:106], vcc_lo, 1.0, v[3:4], 1.0
	v_mul_f64 v[107:108], v[105:106], v[103:104]
	v_fma_f64 v[101:102], -v[101:102], v[107:108], v[105:106]
	v_div_fmas_f64 v[101:102], v[101:102], v[103:104], v[107:108]
	v_div_fixup_f64 v[3:4], v[101:102], v[3:4], 1.0
                                        ; implicit-def: $vgpr101_vgpr102
	v_mul_f64 v[1:2], v[1:2], v[3:4]
	v_xor_b32_e32 v4, 0x80000000, v4
.LBB123_333:
	s_andn2_saveexec_b32 s5, s5
	s_cbranch_execz .LBB123_335
; %bb.334:
	v_div_scale_f64 v[1:2], null, v[101:102], v[101:102], v[103:104]
	v_div_scale_f64 v[107:108], vcc_lo, v[103:104], v[101:102], v[103:104]
	v_rcp_f64_e32 v[3:4], v[1:2]
	v_fma_f64 v[105:106], -v[1:2], v[3:4], 1.0
	v_fma_f64 v[3:4], v[3:4], v[105:106], v[3:4]
	v_fma_f64 v[105:106], -v[1:2], v[3:4], 1.0
	v_fma_f64 v[3:4], v[3:4], v[105:106], v[3:4]
	v_mul_f64 v[105:106], v[107:108], v[3:4]
	v_fma_f64 v[1:2], -v[1:2], v[105:106], v[107:108]
	v_div_fmas_f64 v[1:2], v[1:2], v[3:4], v[105:106]
	v_div_fixup_f64 v[3:4], v[1:2], v[101:102], v[103:104]
	v_fma_f64 v[1:2], v[103:104], v[3:4], v[101:102]
	v_div_scale_f64 v[101:102], null, v[1:2], v[1:2], 1.0
	v_rcp_f64_e32 v[103:104], v[101:102]
	v_fma_f64 v[105:106], -v[101:102], v[103:104], 1.0
	v_fma_f64 v[103:104], v[103:104], v[105:106], v[103:104]
	v_fma_f64 v[105:106], -v[101:102], v[103:104], 1.0
	v_fma_f64 v[103:104], v[103:104], v[105:106], v[103:104]
	v_div_scale_f64 v[105:106], vcc_lo, 1.0, v[1:2], 1.0
	v_mul_f64 v[107:108], v[105:106], v[103:104]
	v_fma_f64 v[101:102], -v[101:102], v[107:108], v[105:106]
	v_div_fmas_f64 v[101:102], v[101:102], v[103:104], v[107:108]
	v_div_fixup_f64 v[1:2], v[101:102], v[1:2], 1.0
	v_mul_f64 v[3:4], v[3:4], -v[1:2]
.LBB123_335:
	s_or_b32 exec_lo, exec_lo, s5
	ds_write2_b64 v255, v[1:2], v[3:4] offset1:1
.LBB123_336:
	s_or_b32 exec_lo, exec_lo, s6
	s_waitcnt lgkmcnt(0)
	s_barrier
	buffer_gl0_inv
	ds_read2_b64 v[101:104], v255 offset1:1
	s_mov_b32 s5, exec_lo
	v_cmpx_lt_u32_e32 25, v0
	s_cbranch_execz .LBB123_339
; %bb.337:
	s_clause 0x3
	buffer_load_dword v1, off, s[0:3], 0 offset:408
	buffer_load_dword v2, off, s[0:3], 0 offset:412
	;; [unrolled: 1-line block ×4, first 2 shown]
	s_movk_i32 s6, 0x1a0
	s_waitcnt vmcnt(2) lgkmcnt(0)
	v_mul_f64 v[105:106], v[103:104], v[1:2]
	v_mul_f64 v[1:2], v[101:102], v[1:2]
	s_waitcnt vmcnt(0)
	v_fma_f64 v[105:106], v[101:102], v[3:4], -v[105:106]
	v_fma_f64 v[1:2], v[103:104], v[3:4], v[1:2]
	buffer_store_dword v105, off, s[0:3], 0 offset:400
	buffer_store_dword v106, off, s[0:3], 0 offset:404
	;; [unrolled: 1-line block ×4, first 2 shown]
.LBB123_338:                            ; =>This Inner Loop Header: Depth=1
	s_clause 0x3
	buffer_load_dword v105, off, s[0:3], 0 offset:408
	buffer_load_dword v106, off, s[0:3], 0 offset:412
	;; [unrolled: 1-line block ×4, first 2 shown]
	v_mov_b32_e32 v5, s6
	v_add_nc_u32_e32 v6, s6, v245
	s_addk_i32 s6, 0x60
	s_clause 0x3
	buffer_load_dword v109, v5, s[0:3], 0 offen
	buffer_load_dword v110, v5, s[0:3], 0 offen offset:4
	buffer_load_dword v111, v5, s[0:3], 0 offen offset:8
	;; [unrolled: 1-line block ×3, first 2 shown]
	ds_read2_b64 v[1:4], v6 offset1:1
	s_cmpk_lg_i32 s6, 0x3e0
	s_waitcnt vmcnt(6) lgkmcnt(0)
	v_mul_f64 v[113:114], v[3:4], v[105:106]
	v_mul_f64 v[105:106], v[1:2], v[105:106]
	s_waitcnt vmcnt(4)
	v_fma_f64 v[1:2], v[1:2], v[107:108], -v[113:114]
	v_fma_f64 v[3:4], v[3:4], v[107:108], v[105:106]
	s_waitcnt vmcnt(2)
	v_add_f64 v[1:2], v[109:110], -v[1:2]
	s_waitcnt vmcnt(0)
	v_add_f64 v[3:4], v[111:112], -v[3:4]
	buffer_store_dword v2, v5, s[0:3], 0 offen offset:4
	buffer_store_dword v1, v5, s[0:3], 0 offen
	buffer_store_dword v4, v5, s[0:3], 0 offen offset:12
	buffer_store_dword v3, v5, s[0:3], 0 offen offset:8
	s_clause 0x7
	buffer_load_dword v106, off, s[0:3], 0 offset:412
	buffer_load_dword v105, off, s[0:3], 0 offset:408
	buffer_load_dword v108, off, s[0:3], 0 offset:404
	buffer_load_dword v107, off, s[0:3], 0 offset:400
	buffer_load_dword v109, v5, s[0:3], 0 offen offset:16
	buffer_load_dword v110, v5, s[0:3], 0 offen offset:20
	buffer_load_dword v111, v5, s[0:3], 0 offen offset:24
	buffer_load_dword v112, v5, s[0:3], 0 offen offset:28
	ds_read2_b64 v[1:4], v6 offset0:2 offset1:3
	s_waitcnt vmcnt(6) lgkmcnt(0)
	v_mul_f64 v[113:114], v[3:4], v[105:106]
	v_mul_f64 v[105:106], v[1:2], v[105:106]
	s_waitcnt vmcnt(4)
	v_fma_f64 v[1:2], v[1:2], v[107:108], -v[113:114]
	v_fma_f64 v[3:4], v[3:4], v[107:108], v[105:106]
	s_waitcnt vmcnt(2)
	v_add_f64 v[1:2], v[109:110], -v[1:2]
	s_waitcnt vmcnt(0)
	v_add_f64 v[3:4], v[111:112], -v[3:4]
	buffer_store_dword v2, v5, s[0:3], 0 offen offset:20
	buffer_store_dword v1, v5, s[0:3], 0 offen offset:16
	buffer_store_dword v4, v5, s[0:3], 0 offen offset:28
	buffer_store_dword v3, v5, s[0:3], 0 offen offset:24
	s_clause 0x7
	buffer_load_dword v105, off, s[0:3], 0 offset:408
	buffer_load_dword v106, off, s[0:3], 0 offset:412
	buffer_load_dword v107, off, s[0:3], 0 offset:400
	buffer_load_dword v108, off, s[0:3], 0 offset:404
	buffer_load_dword v109, v5, s[0:3], 0 offen offset:32
	buffer_load_dword v110, v5, s[0:3], 0 offen offset:36
	buffer_load_dword v111, v5, s[0:3], 0 offen offset:40
	buffer_load_dword v112, v5, s[0:3], 0 offen offset:44
	ds_read2_b64 v[1:4], v6 offset0:4 offset1:5
	s_waitcnt vmcnt(6) lgkmcnt(0)
	v_mul_f64 v[113:114], v[3:4], v[105:106]
	v_mul_f64 v[105:106], v[1:2], v[105:106]
	s_waitcnt vmcnt(4)
	v_fma_f64 v[1:2], v[1:2], v[107:108], -v[113:114]
	v_fma_f64 v[3:4], v[3:4], v[107:108], v[105:106]
	s_waitcnt vmcnt(2)
	v_add_f64 v[1:2], v[109:110], -v[1:2]
	s_waitcnt vmcnt(0)
	v_add_f64 v[3:4], v[111:112], -v[3:4]
	buffer_store_dword v2, v5, s[0:3], 0 offen offset:36
	buffer_store_dword v1, v5, s[0:3], 0 offen offset:32
	;; [unrolled: 24-line block ×5, first 2 shown]
	buffer_store_dword v4, v5, s[0:3], 0 offen offset:92
	buffer_store_dword v3, v5, s[0:3], 0 offen offset:88
	s_cbranch_scc1 .LBB123_338
.LBB123_339:
	s_or_b32 exec_lo, exec_lo, s5
	s_mov_b32 s6, exec_lo
	s_waitcnt lgkmcnt(0)
	s_waitcnt_vscnt null, 0x0
	s_barrier
	buffer_gl0_inv
	v_cmpx_eq_u32_e32 26, v0
	s_cbranch_execz .LBB123_346
; %bb.340:
	v_mov_b32_e32 v4, s49
	s_clause 0x3
	buffer_load_dword v1, v4, s[0:3], 0 offen
	buffer_load_dword v2, v4, s[0:3], 0 offen offset:4
	buffer_load_dword v3, v4, s[0:3], 0 offen offset:8
	;; [unrolled: 1-line block ×3, first 2 shown]
	s_waitcnt vmcnt(0)
	ds_write2_b64 v255, v[1:2], v[3:4] offset1:1
	v_mov_b32_e32 v4, s48
	s_clause 0x3
	buffer_load_dword v1, v4, s[0:3], 0 offen
	buffer_load_dword v2, v4, s[0:3], 0 offen offset:4
	buffer_load_dword v3, v4, s[0:3], 0 offen offset:8
	buffer_load_dword v4, v4, s[0:3], 0 offen offset:12
	s_waitcnt vmcnt(0)
	ds_write2_b64 v245, v[1:2], v[3:4] offset0:54 offset1:55
	v_mov_b32_e32 v4, s47
	s_clause 0x3
	buffer_load_dword v1, v4, s[0:3], 0 offen
	buffer_load_dword v2, v4, s[0:3], 0 offen offset:4
	buffer_load_dword v3, v4, s[0:3], 0 offen offset:8
	buffer_load_dword v4, v4, s[0:3], 0 offen offset:12
	s_waitcnt vmcnt(0)
	ds_write2_b64 v245, v[1:2], v[3:4] offset0:56 offset1:57
	;; [unrolled: 8-line block ×35, first 2 shown]
	ds_read2_b64 v[105:108], v255 offset1:1
	s_waitcnt lgkmcnt(0)
	v_cmp_neq_f64_e32 vcc_lo, 0, v[105:106]
	v_cmp_neq_f64_e64 s5, 0, v[107:108]
	s_or_b32 s5, vcc_lo, s5
	s_and_b32 exec_lo, exec_lo, s5
	s_cbranch_execz .LBB123_346
; %bb.341:
	v_cmp_ngt_f64_e64 s5, |v[105:106]|, |v[107:108]|
                                        ; implicit-def: $vgpr1_vgpr2
	s_and_saveexec_b32 s7, s5
	s_xor_b32 s5, exec_lo, s7
                                        ; implicit-def: $vgpr3_vgpr4
	s_cbranch_execz .LBB123_343
; %bb.342:
	v_div_scale_f64 v[1:2], null, v[107:108], v[107:108], v[105:106]
	v_div_scale_f64 v[111:112], vcc_lo, v[105:106], v[107:108], v[105:106]
	v_rcp_f64_e32 v[3:4], v[1:2]
	v_fma_f64 v[109:110], -v[1:2], v[3:4], 1.0
	v_fma_f64 v[3:4], v[3:4], v[109:110], v[3:4]
	v_fma_f64 v[109:110], -v[1:2], v[3:4], 1.0
	v_fma_f64 v[3:4], v[3:4], v[109:110], v[3:4]
	v_mul_f64 v[109:110], v[111:112], v[3:4]
	v_fma_f64 v[1:2], -v[1:2], v[109:110], v[111:112]
	v_div_fmas_f64 v[1:2], v[1:2], v[3:4], v[109:110]
	v_div_fixup_f64 v[1:2], v[1:2], v[107:108], v[105:106]
	v_fma_f64 v[3:4], v[105:106], v[1:2], v[107:108]
	v_div_scale_f64 v[105:106], null, v[3:4], v[3:4], 1.0
	v_rcp_f64_e32 v[107:108], v[105:106]
	v_fma_f64 v[109:110], -v[105:106], v[107:108], 1.0
	v_fma_f64 v[107:108], v[107:108], v[109:110], v[107:108]
	v_fma_f64 v[109:110], -v[105:106], v[107:108], 1.0
	v_fma_f64 v[107:108], v[107:108], v[109:110], v[107:108]
	v_div_scale_f64 v[109:110], vcc_lo, 1.0, v[3:4], 1.0
	v_mul_f64 v[111:112], v[109:110], v[107:108]
	v_fma_f64 v[105:106], -v[105:106], v[111:112], v[109:110]
	v_div_fmas_f64 v[105:106], v[105:106], v[107:108], v[111:112]
	v_div_fixup_f64 v[3:4], v[105:106], v[3:4], 1.0
                                        ; implicit-def: $vgpr105_vgpr106
	v_mul_f64 v[1:2], v[1:2], v[3:4]
	v_xor_b32_e32 v4, 0x80000000, v4
.LBB123_343:
	s_andn2_saveexec_b32 s5, s5
	s_cbranch_execz .LBB123_345
; %bb.344:
	v_div_scale_f64 v[1:2], null, v[105:106], v[105:106], v[107:108]
	v_div_scale_f64 v[111:112], vcc_lo, v[107:108], v[105:106], v[107:108]
	v_rcp_f64_e32 v[3:4], v[1:2]
	v_fma_f64 v[109:110], -v[1:2], v[3:4], 1.0
	v_fma_f64 v[3:4], v[3:4], v[109:110], v[3:4]
	v_fma_f64 v[109:110], -v[1:2], v[3:4], 1.0
	v_fma_f64 v[3:4], v[3:4], v[109:110], v[3:4]
	v_mul_f64 v[109:110], v[111:112], v[3:4]
	v_fma_f64 v[1:2], -v[1:2], v[109:110], v[111:112]
	v_div_fmas_f64 v[1:2], v[1:2], v[3:4], v[109:110]
	v_div_fixup_f64 v[3:4], v[1:2], v[105:106], v[107:108]
	v_fma_f64 v[1:2], v[107:108], v[3:4], v[105:106]
	v_div_scale_f64 v[105:106], null, v[1:2], v[1:2], 1.0
	v_rcp_f64_e32 v[107:108], v[105:106]
	v_fma_f64 v[109:110], -v[105:106], v[107:108], 1.0
	v_fma_f64 v[107:108], v[107:108], v[109:110], v[107:108]
	v_fma_f64 v[109:110], -v[105:106], v[107:108], 1.0
	v_fma_f64 v[107:108], v[107:108], v[109:110], v[107:108]
	v_div_scale_f64 v[109:110], vcc_lo, 1.0, v[1:2], 1.0
	v_mul_f64 v[111:112], v[109:110], v[107:108]
	v_fma_f64 v[105:106], -v[105:106], v[111:112], v[109:110]
	v_div_fmas_f64 v[105:106], v[105:106], v[107:108], v[111:112]
	v_div_fixup_f64 v[1:2], v[105:106], v[1:2], 1.0
	v_mul_f64 v[3:4], v[3:4], -v[1:2]
.LBB123_345:
	s_or_b32 exec_lo, exec_lo, s5
	ds_write2_b64 v255, v[1:2], v[3:4] offset1:1
.LBB123_346:
	s_or_b32 exec_lo, exec_lo, s6
	buffer_store_dword v121, off, s[0:3], 0 offset:1488 ; 4-byte Folded Spill
	buffer_store_dword v122, off, s[0:3], 0 offset:1492 ; 4-byte Folded Spill
	;; [unrolled: 1-line block ×4, first 2 shown]
	s_waitcnt lgkmcnt(0)
	s_waitcnt_vscnt null, 0x0
	s_barrier
	buffer_gl0_inv
	ds_read2_b64 v[105:108], v255 offset1:1
	s_mov_b32 s5, exec_lo
	v_cmpx_lt_u32_e32 26, v0
	s_cbranch_execz .LBB123_349
; %bb.347:
	s_clause 0x3
	buffer_load_dword v1, off, s[0:3], 0 offset:424
	buffer_load_dword v2, off, s[0:3], 0 offset:428
	;; [unrolled: 1-line block ×4, first 2 shown]
	s_movk_i32 s6, 0x1b0
	s_waitcnt vmcnt(2) lgkmcnt(0)
	v_mul_f64 v[109:110], v[107:108], v[1:2]
	v_mul_f64 v[1:2], v[105:106], v[1:2]
	s_waitcnt vmcnt(0)
	v_fma_f64 v[109:110], v[105:106], v[3:4], -v[109:110]
	v_fma_f64 v[1:2], v[107:108], v[3:4], v[1:2]
	buffer_store_dword v109, off, s[0:3], 0 offset:416
	buffer_store_dword v110, off, s[0:3], 0 offset:420
	;; [unrolled: 1-line block ×4, first 2 shown]
.LBB123_348:                            ; =>This Inner Loop Header: Depth=1
	s_clause 0x3
	buffer_load_dword v109, off, s[0:3], 0 offset:424
	buffer_load_dword v110, off, s[0:3], 0 offset:428
	buffer_load_dword v111, off, s[0:3], 0 offset:416
	buffer_load_dword v112, off, s[0:3], 0 offset:420
	v_mov_b32_e32 v5, s6
	v_add_nc_u32_e32 v6, s6, v245
	s_addk_i32 s6, 0x70
	s_clause 0x3
	buffer_load_dword v113, v5, s[0:3], 0 offen
	buffer_load_dword v114, v5, s[0:3], 0 offen offset:4
	buffer_load_dword v115, v5, s[0:3], 0 offen offset:8
	;; [unrolled: 1-line block ×3, first 2 shown]
	ds_read2_b64 v[1:4], v6 offset1:1
	s_clause 0x2
	buffer_load_dword v117, v5, s[0:3], 0 offen offset:16
	buffer_load_dword v118, v5, s[0:3], 0 offen offset:20
	;; [unrolled: 1-line block ×3, first 2 shown]
	s_cmpk_lg_i32 s6, 0x3e0
	s_waitcnt vmcnt(9) lgkmcnt(0)
	v_mul_f64 v[120:121], v[3:4], v[109:110]
	v_mul_f64 v[109:110], v[1:2], v[109:110]
	s_waitcnt vmcnt(7)
	v_fma_f64 v[1:2], v[1:2], v[111:112], -v[120:121]
	v_fma_f64 v[3:4], v[3:4], v[111:112], v[109:110]
	s_waitcnt vmcnt(5)
	v_add_f64 v[1:2], v[113:114], -v[1:2]
	s_waitcnt vmcnt(3)
	v_add_f64 v[3:4], v[115:116], -v[3:4]
	buffer_store_dword v2, v5, s[0:3], 0 offen offset:4
	buffer_store_dword v1, v5, s[0:3], 0 offen
	buffer_store_dword v4, v5, s[0:3], 0 offen offset:12
	buffer_store_dword v3, v5, s[0:3], 0 offen offset:8
	s_clause 0x4
	buffer_load_dword v110, off, s[0:3], 0 offset:428
	buffer_load_dword v109, off, s[0:3], 0 offset:424
	;; [unrolled: 1-line block ×4, first 2 shown]
	buffer_load_dword v120, v5, s[0:3], 0 offen offset:28
	ds_read2_b64 v[1:4], v6 offset0:2 offset1:3
	s_waitcnt vmcnt(3) lgkmcnt(0)
	v_mul_f64 v[113:114], v[3:4], v[109:110]
	v_mul_f64 v[109:110], v[1:2], v[109:110]
	s_waitcnt vmcnt(1)
	v_fma_f64 v[1:2], v[1:2], v[111:112], -v[113:114]
	v_fma_f64 v[3:4], v[3:4], v[111:112], v[109:110]
	v_add_f64 v[1:2], v[117:118], -v[1:2]
	s_waitcnt vmcnt(0)
	v_add_f64 v[3:4], v[119:120], -v[3:4]
	buffer_store_dword v2, v5, s[0:3], 0 offen offset:20
	buffer_store_dword v1, v5, s[0:3], 0 offen offset:16
	buffer_store_dword v4, v5, s[0:3], 0 offen offset:28
	buffer_store_dword v3, v5, s[0:3], 0 offen offset:24
	s_clause 0x7
	buffer_load_dword v109, off, s[0:3], 0 offset:424
	buffer_load_dword v110, off, s[0:3], 0 offset:428
	buffer_load_dword v111, off, s[0:3], 0 offset:416
	buffer_load_dword v112, off, s[0:3], 0 offset:420
	buffer_load_dword v113, v5, s[0:3], 0 offen offset:32
	buffer_load_dword v114, v5, s[0:3], 0 offen offset:36
	buffer_load_dword v115, v5, s[0:3], 0 offen offset:40
	buffer_load_dword v116, v5, s[0:3], 0 offen offset:44
	ds_read2_b64 v[1:4], v6 offset0:4 offset1:5
	s_waitcnt vmcnt(6) lgkmcnt(0)
	v_mul_f64 v[117:118], v[3:4], v[109:110]
	v_mul_f64 v[109:110], v[1:2], v[109:110]
	s_waitcnt vmcnt(4)
	v_fma_f64 v[1:2], v[1:2], v[111:112], -v[117:118]
	v_fma_f64 v[3:4], v[3:4], v[111:112], v[109:110]
	s_waitcnt vmcnt(2)
	v_add_f64 v[1:2], v[113:114], -v[1:2]
	s_waitcnt vmcnt(0)
	v_add_f64 v[3:4], v[115:116], -v[3:4]
	buffer_store_dword v2, v5, s[0:3], 0 offen offset:36
	buffer_store_dword v1, v5, s[0:3], 0 offen offset:32
	buffer_store_dword v4, v5, s[0:3], 0 offen offset:44
	buffer_store_dword v3, v5, s[0:3], 0 offen offset:40
	s_clause 0x7
	buffer_load_dword v109, off, s[0:3], 0 offset:424
	buffer_load_dword v110, off, s[0:3], 0 offset:428
	buffer_load_dword v111, off, s[0:3], 0 offset:416
	buffer_load_dword v112, off, s[0:3], 0 offset:420
	buffer_load_dword v113, v5, s[0:3], 0 offen offset:48
	buffer_load_dword v114, v5, s[0:3], 0 offen offset:52
	buffer_load_dword v115, v5, s[0:3], 0 offen offset:56
	buffer_load_dword v116, v5, s[0:3], 0 offen offset:60
	ds_read2_b64 v[1:4], v6 offset0:6 offset1:7
	s_waitcnt vmcnt(6) lgkmcnt(0)
	v_mul_f64 v[117:118], v[3:4], v[109:110]
	v_mul_f64 v[109:110], v[1:2], v[109:110]
	s_waitcnt vmcnt(4)
	v_fma_f64 v[1:2], v[1:2], v[111:112], -v[117:118]
	v_fma_f64 v[3:4], v[3:4], v[111:112], v[109:110]
	s_waitcnt vmcnt(2)
	;; [unrolled: 24-line block ×5, first 2 shown]
	v_add_f64 v[1:2], v[113:114], -v[1:2]
	s_waitcnt vmcnt(0)
	v_add_f64 v[3:4], v[115:116], -v[3:4]
	buffer_store_dword v2, v5, s[0:3], 0 offen offset:100
	buffer_store_dword v1, v5, s[0:3], 0 offen offset:96
	;; [unrolled: 1-line block ×4, first 2 shown]
	s_cbranch_scc1 .LBB123_348
.LBB123_349:
	s_or_b32 exec_lo, exec_lo, s5
	s_mov_b32 s6, exec_lo
	s_waitcnt lgkmcnt(0)
	s_waitcnt_vscnt null, 0x0
	s_barrier
	buffer_gl0_inv
	v_cmpx_eq_u32_e32 27, v0
	s_cbranch_execz .LBB123_356
; %bb.350:
	v_mov_b32_e32 v4, s48
	s_clause 0x3
	buffer_load_dword v1, v4, s[0:3], 0 offen
	buffer_load_dword v2, v4, s[0:3], 0 offen offset:4
	buffer_load_dword v3, v4, s[0:3], 0 offen offset:8
	;; [unrolled: 1-line block ×3, first 2 shown]
	s_waitcnt vmcnt(0)
	ds_write2_b64 v255, v[1:2], v[3:4] offset1:1
	v_mov_b32_e32 v4, s47
	s_clause 0x3
	buffer_load_dword v1, v4, s[0:3], 0 offen
	buffer_load_dword v2, v4, s[0:3], 0 offen offset:4
	buffer_load_dword v3, v4, s[0:3], 0 offen offset:8
	buffer_load_dword v4, v4, s[0:3], 0 offen offset:12
	s_waitcnt vmcnt(0)
	ds_write2_b64 v245, v[1:2], v[3:4] offset0:56 offset1:57
	v_mov_b32_e32 v4, s46
	s_clause 0x3
	buffer_load_dword v1, v4, s[0:3], 0 offen
	buffer_load_dword v2, v4, s[0:3], 0 offen offset:4
	buffer_load_dword v3, v4, s[0:3], 0 offen offset:8
	buffer_load_dword v4, v4, s[0:3], 0 offen offset:12
	s_waitcnt vmcnt(0)
	ds_write2_b64 v245, v[1:2], v[3:4] offset0:58 offset1:59
	;; [unrolled: 8-line block ×34, first 2 shown]
	ds_read2_b64 v[109:112], v255 offset1:1
	s_waitcnt lgkmcnt(0)
	v_cmp_neq_f64_e32 vcc_lo, 0, v[109:110]
	v_cmp_neq_f64_e64 s5, 0, v[111:112]
	s_or_b32 s5, vcc_lo, s5
	s_and_b32 exec_lo, exec_lo, s5
	s_cbranch_execz .LBB123_356
; %bb.351:
	v_cmp_ngt_f64_e64 s5, |v[109:110]|, |v[111:112]|
                                        ; implicit-def: $vgpr1_vgpr2
	s_and_saveexec_b32 s7, s5
	s_xor_b32 s5, exec_lo, s7
                                        ; implicit-def: $vgpr3_vgpr4
	s_cbranch_execz .LBB123_353
; %bb.352:
	v_div_scale_f64 v[1:2], null, v[111:112], v[111:112], v[109:110]
	v_div_scale_f64 v[115:116], vcc_lo, v[109:110], v[111:112], v[109:110]
	v_rcp_f64_e32 v[3:4], v[1:2]
	v_fma_f64 v[113:114], -v[1:2], v[3:4], 1.0
	v_fma_f64 v[3:4], v[3:4], v[113:114], v[3:4]
	v_fma_f64 v[113:114], -v[1:2], v[3:4], 1.0
	v_fma_f64 v[3:4], v[3:4], v[113:114], v[3:4]
	v_mul_f64 v[113:114], v[115:116], v[3:4]
	v_fma_f64 v[1:2], -v[1:2], v[113:114], v[115:116]
	v_div_fmas_f64 v[1:2], v[1:2], v[3:4], v[113:114]
	v_div_fixup_f64 v[1:2], v[1:2], v[111:112], v[109:110]
	v_fma_f64 v[3:4], v[109:110], v[1:2], v[111:112]
	v_div_scale_f64 v[109:110], null, v[3:4], v[3:4], 1.0
	v_rcp_f64_e32 v[111:112], v[109:110]
	v_fma_f64 v[113:114], -v[109:110], v[111:112], 1.0
	v_fma_f64 v[111:112], v[111:112], v[113:114], v[111:112]
	v_fma_f64 v[113:114], -v[109:110], v[111:112], 1.0
	v_fma_f64 v[111:112], v[111:112], v[113:114], v[111:112]
	v_div_scale_f64 v[113:114], vcc_lo, 1.0, v[3:4], 1.0
	v_mul_f64 v[115:116], v[113:114], v[111:112]
	v_fma_f64 v[109:110], -v[109:110], v[115:116], v[113:114]
	v_div_fmas_f64 v[109:110], v[109:110], v[111:112], v[115:116]
	v_div_fixup_f64 v[3:4], v[109:110], v[3:4], 1.0
                                        ; implicit-def: $vgpr109_vgpr110
	v_mul_f64 v[1:2], v[1:2], v[3:4]
	v_xor_b32_e32 v4, 0x80000000, v4
.LBB123_353:
	s_andn2_saveexec_b32 s5, s5
	s_cbranch_execz .LBB123_355
; %bb.354:
	v_div_scale_f64 v[1:2], null, v[109:110], v[109:110], v[111:112]
	v_div_scale_f64 v[115:116], vcc_lo, v[111:112], v[109:110], v[111:112]
	v_rcp_f64_e32 v[3:4], v[1:2]
	v_fma_f64 v[113:114], -v[1:2], v[3:4], 1.0
	v_fma_f64 v[3:4], v[3:4], v[113:114], v[3:4]
	v_fma_f64 v[113:114], -v[1:2], v[3:4], 1.0
	v_fma_f64 v[3:4], v[3:4], v[113:114], v[3:4]
	v_mul_f64 v[113:114], v[115:116], v[3:4]
	v_fma_f64 v[1:2], -v[1:2], v[113:114], v[115:116]
	v_div_fmas_f64 v[1:2], v[1:2], v[3:4], v[113:114]
	v_div_fixup_f64 v[3:4], v[1:2], v[109:110], v[111:112]
	v_fma_f64 v[1:2], v[111:112], v[3:4], v[109:110]
	v_div_scale_f64 v[109:110], null, v[1:2], v[1:2], 1.0
	v_rcp_f64_e32 v[111:112], v[109:110]
	v_fma_f64 v[113:114], -v[109:110], v[111:112], 1.0
	v_fma_f64 v[111:112], v[111:112], v[113:114], v[111:112]
	v_fma_f64 v[113:114], -v[109:110], v[111:112], 1.0
	v_fma_f64 v[111:112], v[111:112], v[113:114], v[111:112]
	v_div_scale_f64 v[113:114], vcc_lo, 1.0, v[1:2], 1.0
	v_mul_f64 v[115:116], v[113:114], v[111:112]
	v_fma_f64 v[109:110], -v[109:110], v[115:116], v[113:114]
	v_div_fmas_f64 v[109:110], v[109:110], v[111:112], v[115:116]
	v_div_fixup_f64 v[1:2], v[109:110], v[1:2], 1.0
	v_mul_f64 v[3:4], v[3:4], -v[1:2]
.LBB123_355:
	s_or_b32 exec_lo, exec_lo, s5
	ds_write2_b64 v255, v[1:2], v[3:4] offset1:1
.LBB123_356:
	s_or_b32 exec_lo, exec_lo, s6
	s_waitcnt lgkmcnt(0)
	s_barrier
	buffer_gl0_inv
	ds_read2_b64 v[109:112], v255 offset1:1
	s_mov_b32 s5, exec_lo
	v_cmpx_lt_u32_e32 27, v0
	s_cbranch_execz .LBB123_359
; %bb.357:
	s_clause 0x3
	buffer_load_dword v1, off, s[0:3], 0 offset:440
	buffer_load_dword v2, off, s[0:3], 0 offset:444
	;; [unrolled: 1-line block ×4, first 2 shown]
	s_movk_i32 s6, 0x1c0
	s_waitcnt vmcnt(2) lgkmcnt(0)
	v_mul_f64 v[113:114], v[111:112], v[1:2]
	v_mul_f64 v[1:2], v[109:110], v[1:2]
	s_waitcnt vmcnt(0)
	v_fma_f64 v[113:114], v[109:110], v[3:4], -v[113:114]
	v_fma_f64 v[1:2], v[111:112], v[3:4], v[1:2]
	buffer_store_dword v113, off, s[0:3], 0 offset:432
	buffer_store_dword v114, off, s[0:3], 0 offset:436
	;; [unrolled: 1-line block ×4, first 2 shown]
.LBB123_358:                            ; =>This Inner Loop Header: Depth=1
	v_add_nc_u32_e32 v5, s6, v245
	v_mov_b32_e32 v6, s6
	s_add_i32 s6, s6, 32
	s_cmpk_lg_i32 s6, 0x3e0
	ds_read2_b64 v[1:4], v5 offset1:1
	s_clause 0x3
	buffer_load_dword v113, off, s[0:3], 0 offset:432
	buffer_load_dword v114, off, s[0:3], 0 offset:436
	;; [unrolled: 1-line block ×4, first 2 shown]
	s_waitcnt vmcnt(0) lgkmcnt(0)
	v_mul_f64 v[117:118], v[3:4], v[115:116]
	v_fma_f64 v[117:118], v[1:2], v[113:114], -v[117:118]
	v_mul_f64 v[1:2], v[1:2], v[115:116]
	v_fma_f64 v[1:2], v[3:4], v[113:114], v[1:2]
	s_clause 0x7
	buffer_load_dword v3, v6, s[0:3], 0 offen
	buffer_load_dword v4, v6, s[0:3], 0 offen offset:4
	buffer_load_dword v113, v6, s[0:3], 0 offen offset:8
	;; [unrolled: 1-line block ×7, first 2 shown]
	s_waitcnt vmcnt(6)
	v_add_f64 v[3:4], v[3:4], -v[117:118]
	s_waitcnt vmcnt(4)
	v_add_f64 v[1:2], v[113:114], -v[1:2]
	buffer_store_dword v4, v6, s[0:3], 0 offen offset:4
	buffer_store_dword v3, v6, s[0:3], 0 offen
	buffer_store_dword v2, v6, s[0:3], 0 offen offset:12
	buffer_store_dword v1, v6, s[0:3], 0 offen offset:8
	ds_read2_b64 v[1:4], v5 offset0:2 offset1:3
	s_clause 0x3
	buffer_load_dword v114, off, s[0:3], 0 offset:436
	buffer_load_dword v113, off, s[0:3], 0 offset:432
	;; [unrolled: 1-line block ×4, first 2 shown]
	s_waitcnt vmcnt(0) lgkmcnt(0)
	v_mul_f64 v[121:122], v[3:4], v[117:118]
	v_fma_f64 v[121:122], v[1:2], v[113:114], -v[121:122]
	v_mul_f64 v[1:2], v[1:2], v[117:118]
	v_fma_f64 v[1:2], v[3:4], v[113:114], v[1:2]
	v_add_f64 v[3:4], v[115:116], -v[121:122]
	v_add_f64 v[1:2], v[119:120], -v[1:2]
	buffer_store_dword v4, v6, s[0:3], 0 offen offset:20
	buffer_store_dword v3, v6, s[0:3], 0 offen offset:16
	;; [unrolled: 1-line block ×4, first 2 shown]
	s_cbranch_scc1 .LBB123_358
.LBB123_359:
	s_or_b32 exec_lo, exec_lo, s5
	s_mov_b32 s6, exec_lo
	s_waitcnt lgkmcnt(0)
	s_waitcnt_vscnt null, 0x0
	s_barrier
	buffer_gl0_inv
	v_cmpx_eq_u32_e32 28, v0
	s_cbranch_execz .LBB123_366
; %bb.360:
	v_mov_b32_e32 v4, s47
	s_clause 0x3
	buffer_load_dword v1, v4, s[0:3], 0 offen
	buffer_load_dword v2, v4, s[0:3], 0 offen offset:4
	buffer_load_dword v3, v4, s[0:3], 0 offen offset:8
	;; [unrolled: 1-line block ×3, first 2 shown]
	s_waitcnt vmcnt(0)
	ds_write2_b64 v255, v[1:2], v[3:4] offset1:1
	v_mov_b32_e32 v4, s46
	s_clause 0x3
	buffer_load_dword v1, v4, s[0:3], 0 offen
	buffer_load_dword v2, v4, s[0:3], 0 offen offset:4
	buffer_load_dword v3, v4, s[0:3], 0 offen offset:8
	buffer_load_dword v4, v4, s[0:3], 0 offen offset:12
	s_waitcnt vmcnt(0)
	ds_write2_b64 v245, v[1:2], v[3:4] offset0:58 offset1:59
	v_mov_b32_e32 v4, s45
	s_clause 0x3
	buffer_load_dword v1, v4, s[0:3], 0 offen
	buffer_load_dword v2, v4, s[0:3], 0 offen offset:4
	buffer_load_dword v3, v4, s[0:3], 0 offen offset:8
	buffer_load_dword v4, v4, s[0:3], 0 offen offset:12
	s_waitcnt vmcnt(0)
	ds_write2_b64 v245, v[1:2], v[3:4] offset0:60 offset1:61
	v_mov_b32_e32 v4, s44
	s_clause 0x3
	buffer_load_dword v1, v4, s[0:3], 0 offen
	buffer_load_dword v2, v4, s[0:3], 0 offen offset:4
	buffer_load_dword v3, v4, s[0:3], 0 offen offset:8
	buffer_load_dword v4, v4, s[0:3], 0 offen offset:12
	s_waitcnt vmcnt(0)
	ds_write2_b64 v245, v[1:2], v[3:4] offset0:62 offset1:63
	v_mov_b32_e32 v4, s43
	s_clause 0x3
	buffer_load_dword v1, v4, s[0:3], 0 offen
	buffer_load_dword v2, v4, s[0:3], 0 offen offset:4
	buffer_load_dword v3, v4, s[0:3], 0 offen offset:8
	buffer_load_dword v4, v4, s[0:3], 0 offen offset:12
	s_waitcnt vmcnt(0)
	ds_write2_b64 v245, v[1:2], v[3:4] offset0:64 offset1:65
	v_mov_b32_e32 v4, s42
	s_clause 0x3
	buffer_load_dword v1, v4, s[0:3], 0 offen
	buffer_load_dword v2, v4, s[0:3], 0 offen offset:4
	buffer_load_dword v3, v4, s[0:3], 0 offen offset:8
	buffer_load_dword v4, v4, s[0:3], 0 offen offset:12
	s_waitcnt vmcnt(0)
	ds_write2_b64 v245, v[1:2], v[3:4] offset0:66 offset1:67
	v_mov_b32_e32 v4, s41
	s_clause 0x3
	buffer_load_dword v1, v4, s[0:3], 0 offen
	buffer_load_dword v2, v4, s[0:3], 0 offen offset:4
	buffer_load_dword v3, v4, s[0:3], 0 offen offset:8
	buffer_load_dword v4, v4, s[0:3], 0 offen offset:12
	s_waitcnt vmcnt(0)
	ds_write2_b64 v245, v[1:2], v[3:4] offset0:68 offset1:69
	v_mov_b32_e32 v4, s40
	s_clause 0x3
	buffer_load_dword v1, v4, s[0:3], 0 offen
	buffer_load_dword v2, v4, s[0:3], 0 offen offset:4
	buffer_load_dword v3, v4, s[0:3], 0 offen offset:8
	buffer_load_dword v4, v4, s[0:3], 0 offen offset:12
	s_waitcnt vmcnt(0)
	ds_write2_b64 v245, v[1:2], v[3:4] offset0:70 offset1:71
	v_mov_b32_e32 v4, s39
	s_clause 0x3
	buffer_load_dword v1, v4, s[0:3], 0 offen
	buffer_load_dword v2, v4, s[0:3], 0 offen offset:4
	buffer_load_dword v3, v4, s[0:3], 0 offen offset:8
	buffer_load_dword v4, v4, s[0:3], 0 offen offset:12
	s_waitcnt vmcnt(0)
	ds_write2_b64 v245, v[1:2], v[3:4] offset0:72 offset1:73
	v_mov_b32_e32 v4, s38
	s_clause 0x3
	buffer_load_dword v1, v4, s[0:3], 0 offen
	buffer_load_dword v2, v4, s[0:3], 0 offen offset:4
	buffer_load_dword v3, v4, s[0:3], 0 offen offset:8
	buffer_load_dword v4, v4, s[0:3], 0 offen offset:12
	s_waitcnt vmcnt(0)
	ds_write2_b64 v245, v[1:2], v[3:4] offset0:74 offset1:75
	v_mov_b32_e32 v4, s37
	s_clause 0x3
	buffer_load_dword v1, v4, s[0:3], 0 offen
	buffer_load_dword v2, v4, s[0:3], 0 offen offset:4
	buffer_load_dword v3, v4, s[0:3], 0 offen offset:8
	buffer_load_dword v4, v4, s[0:3], 0 offen offset:12
	s_waitcnt vmcnt(0)
	ds_write2_b64 v245, v[1:2], v[3:4] offset0:76 offset1:77
	v_mov_b32_e32 v4, s36
	s_clause 0x3
	buffer_load_dword v1, v4, s[0:3], 0 offen
	buffer_load_dword v2, v4, s[0:3], 0 offen offset:4
	buffer_load_dword v3, v4, s[0:3], 0 offen offset:8
	buffer_load_dword v4, v4, s[0:3], 0 offen offset:12
	s_waitcnt vmcnt(0)
	ds_write2_b64 v245, v[1:2], v[3:4] offset0:78 offset1:79
	v_mov_b32_e32 v4, s35
	s_clause 0x3
	buffer_load_dword v1, v4, s[0:3], 0 offen
	buffer_load_dword v2, v4, s[0:3], 0 offen offset:4
	buffer_load_dword v3, v4, s[0:3], 0 offen offset:8
	buffer_load_dword v4, v4, s[0:3], 0 offen offset:12
	s_waitcnt vmcnt(0)
	ds_write2_b64 v245, v[1:2], v[3:4] offset0:80 offset1:81
	v_mov_b32_e32 v4, s34
	s_clause 0x3
	buffer_load_dword v1, v4, s[0:3], 0 offen
	buffer_load_dword v2, v4, s[0:3], 0 offen offset:4
	buffer_load_dword v3, v4, s[0:3], 0 offen offset:8
	buffer_load_dword v4, v4, s[0:3], 0 offen offset:12
	s_waitcnt vmcnt(0)
	ds_write2_b64 v245, v[1:2], v[3:4] offset0:82 offset1:83
	v_mov_b32_e32 v4, s33
	s_clause 0x3
	buffer_load_dword v1, v4, s[0:3], 0 offen
	buffer_load_dword v2, v4, s[0:3], 0 offen offset:4
	buffer_load_dword v3, v4, s[0:3], 0 offen offset:8
	buffer_load_dword v4, v4, s[0:3], 0 offen offset:12
	s_waitcnt vmcnt(0)
	ds_write2_b64 v245, v[1:2], v[3:4] offset0:84 offset1:85
	v_mov_b32_e32 v4, s31
	s_clause 0x3
	buffer_load_dword v1, v4, s[0:3], 0 offen
	buffer_load_dword v2, v4, s[0:3], 0 offen offset:4
	buffer_load_dword v3, v4, s[0:3], 0 offen offset:8
	buffer_load_dword v4, v4, s[0:3], 0 offen offset:12
	s_waitcnt vmcnt(0)
	ds_write2_b64 v245, v[1:2], v[3:4] offset0:86 offset1:87
	v_mov_b32_e32 v4, s30
	s_clause 0x3
	buffer_load_dword v1, v4, s[0:3], 0 offen
	buffer_load_dword v2, v4, s[0:3], 0 offen offset:4
	buffer_load_dword v3, v4, s[0:3], 0 offen offset:8
	buffer_load_dword v4, v4, s[0:3], 0 offen offset:12
	s_waitcnt vmcnt(0)
	ds_write2_b64 v245, v[1:2], v[3:4] offset0:88 offset1:89
	v_mov_b32_e32 v4, s29
	s_clause 0x3
	buffer_load_dword v1, v4, s[0:3], 0 offen
	buffer_load_dword v2, v4, s[0:3], 0 offen offset:4
	buffer_load_dword v3, v4, s[0:3], 0 offen offset:8
	buffer_load_dword v4, v4, s[0:3], 0 offen offset:12
	s_waitcnt vmcnt(0)
	ds_write2_b64 v245, v[1:2], v[3:4] offset0:90 offset1:91
	v_mov_b32_e32 v4, s28
	s_clause 0x3
	buffer_load_dword v1, v4, s[0:3], 0 offen
	buffer_load_dword v2, v4, s[0:3], 0 offen offset:4
	buffer_load_dword v3, v4, s[0:3], 0 offen offset:8
	buffer_load_dword v4, v4, s[0:3], 0 offen offset:12
	s_waitcnt vmcnt(0)
	ds_write2_b64 v245, v[1:2], v[3:4] offset0:92 offset1:93
	v_mov_b32_e32 v4, s27
	s_clause 0x3
	buffer_load_dword v1, v4, s[0:3], 0 offen
	buffer_load_dword v2, v4, s[0:3], 0 offen offset:4
	buffer_load_dword v3, v4, s[0:3], 0 offen offset:8
	buffer_load_dword v4, v4, s[0:3], 0 offen offset:12
	s_waitcnt vmcnt(0)
	ds_write2_b64 v245, v[1:2], v[3:4] offset0:94 offset1:95
	v_mov_b32_e32 v4, s26
	s_clause 0x3
	buffer_load_dword v1, v4, s[0:3], 0 offen
	buffer_load_dword v2, v4, s[0:3], 0 offen offset:4
	buffer_load_dword v3, v4, s[0:3], 0 offen offset:8
	buffer_load_dword v4, v4, s[0:3], 0 offen offset:12
	s_waitcnt vmcnt(0)
	ds_write2_b64 v245, v[1:2], v[3:4] offset0:96 offset1:97
	v_mov_b32_e32 v4, s25
	s_clause 0x3
	buffer_load_dword v1, v4, s[0:3], 0 offen
	buffer_load_dword v2, v4, s[0:3], 0 offen offset:4
	buffer_load_dword v3, v4, s[0:3], 0 offen offset:8
	buffer_load_dword v4, v4, s[0:3], 0 offen offset:12
	s_waitcnt vmcnt(0)
	ds_write2_b64 v245, v[1:2], v[3:4] offset0:98 offset1:99
	v_mov_b32_e32 v4, s24
	s_clause 0x3
	buffer_load_dword v1, v4, s[0:3], 0 offen
	buffer_load_dword v2, v4, s[0:3], 0 offen offset:4
	buffer_load_dword v3, v4, s[0:3], 0 offen offset:8
	buffer_load_dword v4, v4, s[0:3], 0 offen offset:12
	s_waitcnt vmcnt(0)
	ds_write2_b64 v245, v[1:2], v[3:4] offset0:100 offset1:101
	v_mov_b32_e32 v4, s23
	s_clause 0x3
	buffer_load_dword v1, v4, s[0:3], 0 offen
	buffer_load_dword v2, v4, s[0:3], 0 offen offset:4
	buffer_load_dword v3, v4, s[0:3], 0 offen offset:8
	buffer_load_dword v4, v4, s[0:3], 0 offen offset:12
	s_waitcnt vmcnt(0)
	ds_write2_b64 v245, v[1:2], v[3:4] offset0:102 offset1:103
	v_mov_b32_e32 v4, s22
	s_clause 0x3
	buffer_load_dword v1, v4, s[0:3], 0 offen
	buffer_load_dword v2, v4, s[0:3], 0 offen offset:4
	buffer_load_dword v3, v4, s[0:3], 0 offen offset:8
	buffer_load_dword v4, v4, s[0:3], 0 offen offset:12
	s_waitcnt vmcnt(0)
	ds_write2_b64 v245, v[1:2], v[3:4] offset0:104 offset1:105
	v_mov_b32_e32 v4, s21
	s_clause 0x3
	buffer_load_dword v1, v4, s[0:3], 0 offen
	buffer_load_dword v2, v4, s[0:3], 0 offen offset:4
	buffer_load_dword v3, v4, s[0:3], 0 offen offset:8
	buffer_load_dword v4, v4, s[0:3], 0 offen offset:12
	s_waitcnt vmcnt(0)
	ds_write2_b64 v245, v[1:2], v[3:4] offset0:106 offset1:107
	v_mov_b32_e32 v4, s20
	s_clause 0x3
	buffer_load_dword v1, v4, s[0:3], 0 offen
	buffer_load_dword v2, v4, s[0:3], 0 offen offset:4
	buffer_load_dword v3, v4, s[0:3], 0 offen offset:8
	buffer_load_dword v4, v4, s[0:3], 0 offen offset:12
	s_waitcnt vmcnt(0)
	ds_write2_b64 v245, v[1:2], v[3:4] offset0:108 offset1:109
	v_mov_b32_e32 v4, s19
	s_clause 0x3
	buffer_load_dword v1, v4, s[0:3], 0 offen
	buffer_load_dword v2, v4, s[0:3], 0 offen offset:4
	buffer_load_dword v3, v4, s[0:3], 0 offen offset:8
	buffer_load_dword v4, v4, s[0:3], 0 offen offset:12
	s_waitcnt vmcnt(0)
	ds_write2_b64 v245, v[1:2], v[3:4] offset0:110 offset1:111
	v_mov_b32_e32 v4, s18
	s_clause 0x3
	buffer_load_dword v1, v4, s[0:3], 0 offen
	buffer_load_dword v2, v4, s[0:3], 0 offen offset:4
	buffer_load_dword v3, v4, s[0:3], 0 offen offset:8
	buffer_load_dword v4, v4, s[0:3], 0 offen offset:12
	s_waitcnt vmcnt(0)
	ds_write2_b64 v245, v[1:2], v[3:4] offset0:112 offset1:113
	v_mov_b32_e32 v4, s17
	s_clause 0x3
	buffer_load_dword v1, v4, s[0:3], 0 offen
	buffer_load_dword v2, v4, s[0:3], 0 offen offset:4
	buffer_load_dword v3, v4, s[0:3], 0 offen offset:8
	buffer_load_dword v4, v4, s[0:3], 0 offen offset:12
	s_waitcnt vmcnt(0)
	ds_write2_b64 v245, v[1:2], v[3:4] offset0:114 offset1:115
	v_mov_b32_e32 v4, s16
	s_clause 0x3
	buffer_load_dword v1, v4, s[0:3], 0 offen
	buffer_load_dword v2, v4, s[0:3], 0 offen offset:4
	buffer_load_dword v3, v4, s[0:3], 0 offen offset:8
	buffer_load_dword v4, v4, s[0:3], 0 offen offset:12
	s_waitcnt vmcnt(0)
	ds_write2_b64 v245, v[1:2], v[3:4] offset0:116 offset1:117
	v_mov_b32_e32 v4, s15
	s_clause 0x3
	buffer_load_dword v1, v4, s[0:3], 0 offen
	buffer_load_dword v2, v4, s[0:3], 0 offen offset:4
	buffer_load_dword v3, v4, s[0:3], 0 offen offset:8
	buffer_load_dword v4, v4, s[0:3], 0 offen offset:12
	s_waitcnt vmcnt(0)
	ds_write2_b64 v245, v[1:2], v[3:4] offset0:118 offset1:119
	v_mov_b32_e32 v4, s14
	s_clause 0x3
	buffer_load_dword v1, v4, s[0:3], 0 offen
	buffer_load_dword v2, v4, s[0:3], 0 offen offset:4
	buffer_load_dword v3, v4, s[0:3], 0 offen offset:8
	buffer_load_dword v4, v4, s[0:3], 0 offen offset:12
	s_waitcnt vmcnt(0)
	ds_write2_b64 v245, v[1:2], v[3:4] offset0:120 offset1:121
	v_mov_b32_e32 v4, s12
	s_clause 0x3
	buffer_load_dword v1, v4, s[0:3], 0 offen
	buffer_load_dword v2, v4, s[0:3], 0 offen offset:4
	buffer_load_dword v3, v4, s[0:3], 0 offen offset:8
	buffer_load_dword v4, v4, s[0:3], 0 offen offset:12
	s_waitcnt vmcnt(0)
	ds_write2_b64 v245, v[1:2], v[3:4] offset0:122 offset1:123
	ds_read2_b64 v[113:116], v255 offset1:1
	s_waitcnt lgkmcnt(0)
	v_cmp_neq_f64_e32 vcc_lo, 0, v[113:114]
	v_cmp_neq_f64_e64 s5, 0, v[115:116]
	s_or_b32 s5, vcc_lo, s5
	s_and_b32 exec_lo, exec_lo, s5
	s_cbranch_execz .LBB123_366
; %bb.361:
	v_cmp_ngt_f64_e64 s5, |v[113:114]|, |v[115:116]|
                                        ; implicit-def: $vgpr1_vgpr2
	s_and_saveexec_b32 s7, s5
	s_xor_b32 s5, exec_lo, s7
                                        ; implicit-def: $vgpr3_vgpr4
	s_cbranch_execz .LBB123_363
; %bb.362:
	v_div_scale_f64 v[1:2], null, v[115:116], v[115:116], v[113:114]
	v_div_scale_f64 v[119:120], vcc_lo, v[113:114], v[115:116], v[113:114]
	v_rcp_f64_e32 v[3:4], v[1:2]
	v_fma_f64 v[117:118], -v[1:2], v[3:4], 1.0
	v_fma_f64 v[3:4], v[3:4], v[117:118], v[3:4]
	v_fma_f64 v[117:118], -v[1:2], v[3:4], 1.0
	v_fma_f64 v[3:4], v[3:4], v[117:118], v[3:4]
	v_mul_f64 v[117:118], v[119:120], v[3:4]
	v_fma_f64 v[1:2], -v[1:2], v[117:118], v[119:120]
	v_div_fmas_f64 v[1:2], v[1:2], v[3:4], v[117:118]
	v_div_fixup_f64 v[1:2], v[1:2], v[115:116], v[113:114]
	v_fma_f64 v[3:4], v[113:114], v[1:2], v[115:116]
	v_div_scale_f64 v[113:114], null, v[3:4], v[3:4], 1.0
	v_rcp_f64_e32 v[115:116], v[113:114]
	v_fma_f64 v[117:118], -v[113:114], v[115:116], 1.0
	v_fma_f64 v[115:116], v[115:116], v[117:118], v[115:116]
	v_fma_f64 v[117:118], -v[113:114], v[115:116], 1.0
	v_fma_f64 v[115:116], v[115:116], v[117:118], v[115:116]
	v_div_scale_f64 v[117:118], vcc_lo, 1.0, v[3:4], 1.0
	v_mul_f64 v[119:120], v[117:118], v[115:116]
	v_fma_f64 v[113:114], -v[113:114], v[119:120], v[117:118]
	v_div_fmas_f64 v[113:114], v[113:114], v[115:116], v[119:120]
	v_div_fixup_f64 v[3:4], v[113:114], v[3:4], 1.0
                                        ; implicit-def: $vgpr113_vgpr114
	v_mul_f64 v[1:2], v[1:2], v[3:4]
	v_xor_b32_e32 v4, 0x80000000, v4
.LBB123_363:
	s_andn2_saveexec_b32 s5, s5
	s_cbranch_execz .LBB123_365
; %bb.364:
	v_div_scale_f64 v[1:2], null, v[113:114], v[113:114], v[115:116]
	v_div_scale_f64 v[119:120], vcc_lo, v[115:116], v[113:114], v[115:116]
	v_rcp_f64_e32 v[3:4], v[1:2]
	v_fma_f64 v[117:118], -v[1:2], v[3:4], 1.0
	v_fma_f64 v[3:4], v[3:4], v[117:118], v[3:4]
	v_fma_f64 v[117:118], -v[1:2], v[3:4], 1.0
	v_fma_f64 v[3:4], v[3:4], v[117:118], v[3:4]
	v_mul_f64 v[117:118], v[119:120], v[3:4]
	v_fma_f64 v[1:2], -v[1:2], v[117:118], v[119:120]
	v_div_fmas_f64 v[1:2], v[1:2], v[3:4], v[117:118]
	v_div_fixup_f64 v[3:4], v[1:2], v[113:114], v[115:116]
	v_fma_f64 v[1:2], v[115:116], v[3:4], v[113:114]
	v_div_scale_f64 v[113:114], null, v[1:2], v[1:2], 1.0
	v_rcp_f64_e32 v[115:116], v[113:114]
	v_fma_f64 v[117:118], -v[113:114], v[115:116], 1.0
	v_fma_f64 v[115:116], v[115:116], v[117:118], v[115:116]
	v_fma_f64 v[117:118], -v[113:114], v[115:116], 1.0
	v_fma_f64 v[115:116], v[115:116], v[117:118], v[115:116]
	v_div_scale_f64 v[117:118], vcc_lo, 1.0, v[1:2], 1.0
	v_mul_f64 v[119:120], v[117:118], v[115:116]
	v_fma_f64 v[113:114], -v[113:114], v[119:120], v[117:118]
	v_div_fmas_f64 v[113:114], v[113:114], v[115:116], v[119:120]
	v_div_fixup_f64 v[1:2], v[113:114], v[1:2], 1.0
	v_mul_f64 v[3:4], v[3:4], -v[1:2]
.LBB123_365:
	s_or_b32 exec_lo, exec_lo, s5
	ds_write2_b64 v255, v[1:2], v[3:4] offset1:1
.LBB123_366:
	s_or_b32 exec_lo, exec_lo, s6
	buffer_store_dword v7, off, s[0:3], 0 offset:1504 ; 4-byte Folded Spill
	buffer_store_dword v8, off, s[0:3], 0 offset:1508 ; 4-byte Folded Spill
	buffer_store_dword v9, off, s[0:3], 0 offset:1512 ; 4-byte Folded Spill
	buffer_store_dword v10, off, s[0:3], 0 offset:1516 ; 4-byte Folded Spill
	s_waitcnt lgkmcnt(0)
	s_waitcnt_vscnt null, 0x0
	s_barrier
	buffer_gl0_inv
	ds_read2_b64 v[113:116], v255 offset1:1
	s_mov_b32 s5, exec_lo
	v_cmpx_lt_u32_e32 28, v0
	s_cbranch_execz .LBB123_369
; %bb.367:
	s_clause 0x3
	buffer_load_dword v1, off, s[0:3], 0 offset:456
	buffer_load_dword v2, off, s[0:3], 0 offset:460
	;; [unrolled: 1-line block ×4, first 2 shown]
	s_movk_i32 s6, 0x1d0
	s_waitcnt vmcnt(2) lgkmcnt(0)
	v_mul_f64 v[117:118], v[115:116], v[1:2]
	v_mul_f64 v[1:2], v[113:114], v[1:2]
	s_waitcnt vmcnt(0)
	v_fma_f64 v[117:118], v[113:114], v[3:4], -v[117:118]
	v_fma_f64 v[1:2], v[115:116], v[3:4], v[1:2]
	buffer_store_dword v117, off, s[0:3], 0 offset:448
	buffer_store_dword v118, off, s[0:3], 0 offset:452
	;; [unrolled: 1-line block ×4, first 2 shown]
.LBB123_368:                            ; =>This Inner Loop Header: Depth=1
	s_clause 0x3
	buffer_load_dword v117, off, s[0:3], 0 offset:456
	buffer_load_dword v118, off, s[0:3], 0 offset:460
	;; [unrolled: 1-line block ×4, first 2 shown]
	v_mov_b32_e32 v5, s6
	v_add_nc_u32_e32 v6, s6, v245
	s_add_i32 s6, s6, 48
	s_clause 0x3
	buffer_load_dword v121, v5, s[0:3], 0 offen
	buffer_load_dword v122, v5, s[0:3], 0 offen offset:4
	buffer_load_dword v123, v5, s[0:3], 0 offen offset:8
	;; [unrolled: 1-line block ×3, first 2 shown]
	ds_read2_b64 v[1:4], v6 offset1:1
	s_cmpk_lg_i32 s6, 0x3e0
	s_waitcnt vmcnt(6) lgkmcnt(0)
	v_mul_f64 v[125:126], v[3:4], v[117:118]
	v_mul_f64 v[117:118], v[1:2], v[117:118]
	s_waitcnt vmcnt(4)
	v_fma_f64 v[1:2], v[1:2], v[119:120], -v[125:126]
	v_fma_f64 v[3:4], v[3:4], v[119:120], v[117:118]
	s_waitcnt vmcnt(2)
	v_add_f64 v[1:2], v[121:122], -v[1:2]
	s_waitcnt vmcnt(0)
	v_add_f64 v[3:4], v[123:124], -v[3:4]
	buffer_store_dword v2, v5, s[0:3], 0 offen offset:4
	buffer_store_dword v1, v5, s[0:3], 0 offen
	buffer_store_dword v4, v5, s[0:3], 0 offen offset:12
	buffer_store_dword v3, v5, s[0:3], 0 offen offset:8
	s_clause 0x7
	buffer_load_dword v118, off, s[0:3], 0 offset:460
	buffer_load_dword v117, off, s[0:3], 0 offset:456
	;; [unrolled: 1-line block ×4, first 2 shown]
	buffer_load_dword v121, v5, s[0:3], 0 offen offset:16
	buffer_load_dword v122, v5, s[0:3], 0 offen offset:20
	;; [unrolled: 1-line block ×4, first 2 shown]
	ds_read2_b64 v[1:4], v6 offset0:2 offset1:3
	s_waitcnt vmcnt(6) lgkmcnt(0)
	v_mul_f64 v[125:126], v[3:4], v[117:118]
	v_mul_f64 v[117:118], v[1:2], v[117:118]
	s_waitcnt vmcnt(4)
	v_fma_f64 v[1:2], v[1:2], v[119:120], -v[125:126]
	v_fma_f64 v[3:4], v[3:4], v[119:120], v[117:118]
	s_waitcnt vmcnt(2)
	v_add_f64 v[1:2], v[121:122], -v[1:2]
	s_waitcnt vmcnt(0)
	v_add_f64 v[3:4], v[123:124], -v[3:4]
	buffer_store_dword v2, v5, s[0:3], 0 offen offset:20
	buffer_store_dword v1, v5, s[0:3], 0 offen offset:16
	;; [unrolled: 1-line block ×4, first 2 shown]
	s_clause 0x7
	buffer_load_dword v117, off, s[0:3], 0 offset:456
	buffer_load_dword v118, off, s[0:3], 0 offset:460
	;; [unrolled: 1-line block ×4, first 2 shown]
	buffer_load_dword v121, v5, s[0:3], 0 offen offset:32
	buffer_load_dword v122, v5, s[0:3], 0 offen offset:36
	;; [unrolled: 1-line block ×4, first 2 shown]
	ds_read2_b64 v[1:4], v6 offset0:4 offset1:5
	s_waitcnt vmcnt(6) lgkmcnt(0)
	v_mul_f64 v[125:126], v[3:4], v[117:118]
	v_mul_f64 v[117:118], v[1:2], v[117:118]
	s_waitcnt vmcnt(4)
	v_fma_f64 v[1:2], v[1:2], v[119:120], -v[125:126]
	v_fma_f64 v[3:4], v[3:4], v[119:120], v[117:118]
	s_waitcnt vmcnt(2)
	v_add_f64 v[1:2], v[121:122], -v[1:2]
	s_waitcnt vmcnt(0)
	v_add_f64 v[3:4], v[123:124], -v[3:4]
	buffer_store_dword v2, v5, s[0:3], 0 offen offset:36
	buffer_store_dword v1, v5, s[0:3], 0 offen offset:32
	;; [unrolled: 1-line block ×4, first 2 shown]
	s_cbranch_scc1 .LBB123_368
.LBB123_369:
	s_or_b32 exec_lo, exec_lo, s5
	s_mov_b32 s6, exec_lo
	s_waitcnt lgkmcnt(0)
	s_waitcnt_vscnt null, 0x0
	s_barrier
	buffer_gl0_inv
	v_cmpx_eq_u32_e32 29, v0
	s_cbranch_execz .LBB123_376
; %bb.370:
	v_mov_b32_e32 v4, s46
	s_clause 0x3
	buffer_load_dword v1, v4, s[0:3], 0 offen
	buffer_load_dword v2, v4, s[0:3], 0 offen offset:4
	buffer_load_dword v3, v4, s[0:3], 0 offen offset:8
	;; [unrolled: 1-line block ×3, first 2 shown]
	s_waitcnt vmcnt(0)
	ds_write2_b64 v255, v[1:2], v[3:4] offset1:1
	v_mov_b32_e32 v4, s45
	s_clause 0x3
	buffer_load_dword v1, v4, s[0:3], 0 offen
	buffer_load_dword v2, v4, s[0:3], 0 offen offset:4
	buffer_load_dword v3, v4, s[0:3], 0 offen offset:8
	buffer_load_dword v4, v4, s[0:3], 0 offen offset:12
	s_waitcnt vmcnt(0)
	ds_write2_b64 v245, v[1:2], v[3:4] offset0:60 offset1:61
	v_mov_b32_e32 v4, s44
	s_clause 0x3
	buffer_load_dword v1, v4, s[0:3], 0 offen
	buffer_load_dword v2, v4, s[0:3], 0 offen offset:4
	buffer_load_dword v3, v4, s[0:3], 0 offen offset:8
	buffer_load_dword v4, v4, s[0:3], 0 offen offset:12
	s_waitcnt vmcnt(0)
	ds_write2_b64 v245, v[1:2], v[3:4] offset0:62 offset1:63
	;; [unrolled: 8-line block ×32, first 2 shown]
	ds_read2_b64 v[117:120], v255 offset1:1
	s_waitcnt lgkmcnt(0)
	v_cmp_neq_f64_e32 vcc_lo, 0, v[117:118]
	v_cmp_neq_f64_e64 s5, 0, v[119:120]
	s_or_b32 s5, vcc_lo, s5
	s_and_b32 exec_lo, exec_lo, s5
	s_cbranch_execz .LBB123_376
; %bb.371:
	v_cmp_ngt_f64_e64 s5, |v[117:118]|, |v[119:120]|
                                        ; implicit-def: $vgpr1_vgpr2
	s_and_saveexec_b32 s7, s5
	s_xor_b32 s5, exec_lo, s7
                                        ; implicit-def: $vgpr3_vgpr4
	s_cbranch_execz .LBB123_373
; %bb.372:
	v_div_scale_f64 v[1:2], null, v[119:120], v[119:120], v[117:118]
	v_div_scale_f64 v[123:124], vcc_lo, v[117:118], v[119:120], v[117:118]
	v_rcp_f64_e32 v[3:4], v[1:2]
	v_fma_f64 v[121:122], -v[1:2], v[3:4], 1.0
	v_fma_f64 v[3:4], v[3:4], v[121:122], v[3:4]
	v_fma_f64 v[121:122], -v[1:2], v[3:4], 1.0
	v_fma_f64 v[3:4], v[3:4], v[121:122], v[3:4]
	v_mul_f64 v[121:122], v[123:124], v[3:4]
	v_fma_f64 v[1:2], -v[1:2], v[121:122], v[123:124]
	v_div_fmas_f64 v[1:2], v[1:2], v[3:4], v[121:122]
	v_div_fixup_f64 v[1:2], v[1:2], v[119:120], v[117:118]
	v_fma_f64 v[3:4], v[117:118], v[1:2], v[119:120]
	v_div_scale_f64 v[117:118], null, v[3:4], v[3:4], 1.0
	v_rcp_f64_e32 v[119:120], v[117:118]
	v_fma_f64 v[121:122], -v[117:118], v[119:120], 1.0
	v_fma_f64 v[119:120], v[119:120], v[121:122], v[119:120]
	v_fma_f64 v[121:122], -v[117:118], v[119:120], 1.0
	v_fma_f64 v[119:120], v[119:120], v[121:122], v[119:120]
	v_div_scale_f64 v[121:122], vcc_lo, 1.0, v[3:4], 1.0
	v_mul_f64 v[123:124], v[121:122], v[119:120]
	v_fma_f64 v[117:118], -v[117:118], v[123:124], v[121:122]
	v_div_fmas_f64 v[117:118], v[117:118], v[119:120], v[123:124]
	v_div_fixup_f64 v[3:4], v[117:118], v[3:4], 1.0
                                        ; implicit-def: $vgpr117_vgpr118
	v_mul_f64 v[1:2], v[1:2], v[3:4]
	v_xor_b32_e32 v4, 0x80000000, v4
.LBB123_373:
	s_andn2_saveexec_b32 s5, s5
	s_cbranch_execz .LBB123_375
; %bb.374:
	v_div_scale_f64 v[1:2], null, v[117:118], v[117:118], v[119:120]
	v_div_scale_f64 v[123:124], vcc_lo, v[119:120], v[117:118], v[119:120]
	v_rcp_f64_e32 v[3:4], v[1:2]
	v_fma_f64 v[121:122], -v[1:2], v[3:4], 1.0
	v_fma_f64 v[3:4], v[3:4], v[121:122], v[3:4]
	v_fma_f64 v[121:122], -v[1:2], v[3:4], 1.0
	v_fma_f64 v[3:4], v[3:4], v[121:122], v[3:4]
	v_mul_f64 v[121:122], v[123:124], v[3:4]
	v_fma_f64 v[1:2], -v[1:2], v[121:122], v[123:124]
	v_div_fmas_f64 v[1:2], v[1:2], v[3:4], v[121:122]
	v_div_fixup_f64 v[3:4], v[1:2], v[117:118], v[119:120]
	v_fma_f64 v[1:2], v[119:120], v[3:4], v[117:118]
	v_div_scale_f64 v[117:118], null, v[1:2], v[1:2], 1.0
	v_rcp_f64_e32 v[119:120], v[117:118]
	v_fma_f64 v[121:122], -v[117:118], v[119:120], 1.0
	v_fma_f64 v[119:120], v[119:120], v[121:122], v[119:120]
	v_fma_f64 v[121:122], -v[117:118], v[119:120], 1.0
	v_fma_f64 v[119:120], v[119:120], v[121:122], v[119:120]
	v_div_scale_f64 v[121:122], vcc_lo, 1.0, v[1:2], 1.0
	v_mul_f64 v[123:124], v[121:122], v[119:120]
	v_fma_f64 v[117:118], -v[117:118], v[123:124], v[121:122]
	v_div_fmas_f64 v[117:118], v[117:118], v[119:120], v[123:124]
	v_div_fixup_f64 v[1:2], v[117:118], v[1:2], 1.0
	v_mul_f64 v[3:4], v[3:4], -v[1:2]
.LBB123_375:
	s_or_b32 exec_lo, exec_lo, s5
	ds_write2_b64 v255, v[1:2], v[3:4] offset1:1
.LBB123_376:
	s_or_b32 exec_lo, exec_lo, s6
	s_waitcnt lgkmcnt(0)
	s_barrier
	buffer_gl0_inv
	ds_read2_b64 v[117:120], v255 offset1:1
	s_mov_b32 s5, exec_lo
	v_cmpx_lt_u32_e32 29, v0
	s_cbranch_execz .LBB123_379
; %bb.377:
	s_clause 0x3
	buffer_load_dword v1, off, s[0:3], 0 offset:472
	buffer_load_dword v2, off, s[0:3], 0 offset:476
	;; [unrolled: 1-line block ×4, first 2 shown]
	s_mov_b32 s6, 0
	s_waitcnt vmcnt(2) lgkmcnt(0)
	v_mul_f64 v[121:122], v[119:120], v[1:2]
	v_mul_f64 v[1:2], v[117:118], v[1:2]
	s_waitcnt vmcnt(0)
	v_fma_f64 v[121:122], v[117:118], v[3:4], -v[121:122]
	v_fma_f64 v[123:124], v[119:120], v[3:4], v[1:2]
	buffer_store_dword v121, off, s[0:3], 0 offset:464
	buffer_store_dword v122, off, s[0:3], 0 offset:468
	;; [unrolled: 1-line block ×4, first 2 shown]
.LBB123_378:                            ; =>This Inner Loop Header: Depth=1
	v_add3_u32 v1, v181, 0, 0x1e0
	v_mov_b32_e32 v6, s6
	v_add_nc_u32_e32 v5, s6, v1
	s_add_i32 s6, s6, 64
	s_cmpk_lg_i32 s6, 0x200
	ds_read2_b64 v[1:4], v5 offset1:1
	s_waitcnt lgkmcnt(0)
	v_mul_f64 v[125:126], v[3:4], v[123:124]
	v_fma_f64 v[125:126], v[1:2], v[121:122], -v[125:126]
	v_mul_f64 v[1:2], v[1:2], v[123:124]
	v_fma_f64 v[1:2], v[3:4], v[121:122], v[1:2]
	s_clause 0xf
	buffer_load_dword v3, v6, s[0:3], 0 offen offset:480
	buffer_load_dword v4, v6, s[0:3], 0 offen offset:484
	buffer_load_dword v127, v6, s[0:3], 0 offen offset:488
	buffer_load_dword v128, v6, s[0:3], 0 offen offset:492
	buffer_load_dword v129, v6, s[0:3], 0 offen offset:496
	buffer_load_dword v130, v6, s[0:3], 0 offen offset:500
	buffer_load_dword v131, v6, s[0:3], 0 offen offset:504
	buffer_load_dword v132, v6, s[0:3], 0 offen offset:508
	buffer_load_dword v133, v6, s[0:3], 0 offen offset:512
	buffer_load_dword v134, v6, s[0:3], 0 offen offset:516
	buffer_load_dword v135, v6, s[0:3], 0 offen offset:520
	buffer_load_dword v136, v6, s[0:3], 0 offen offset:524
	buffer_load_dword v137, v6, s[0:3], 0 offen offset:528
	buffer_load_dword v138, v6, s[0:3], 0 offen offset:532
	buffer_load_dword v139, v6, s[0:3], 0 offen offset:536
	buffer_load_dword v140, v6, s[0:3], 0 offen offset:540
	s_waitcnt vmcnt(14)
	v_add_f64 v[3:4], v[3:4], -v[125:126]
	s_waitcnt vmcnt(12)
	v_add_f64 v[1:2], v[127:128], -v[1:2]
	buffer_store_dword v3, v6, s[0:3], 0 offen offset:480
	buffer_store_dword v4, v6, s[0:3], 0 offen offset:484
	buffer_store_dword v1, v6, s[0:3], 0 offen offset:488
	buffer_store_dword v2, v6, s[0:3], 0 offen offset:492
	ds_read2_b64 v[1:4], v5 offset0:2 offset1:3
	s_waitcnt lgkmcnt(0)
	v_mul_f64 v[125:126], v[3:4], v[123:124]
	v_fma_f64 v[125:126], v[1:2], v[121:122], -v[125:126]
	v_mul_f64 v[1:2], v[1:2], v[123:124]
	v_fma_f64 v[1:2], v[3:4], v[121:122], v[1:2]
	s_waitcnt vmcnt(10)
	v_add_f64 v[3:4], v[129:130], -v[125:126]
	s_waitcnt vmcnt(8)
	v_add_f64 v[1:2], v[131:132], -v[1:2]
	buffer_store_dword v3, v6, s[0:3], 0 offen offset:496
	buffer_store_dword v4, v6, s[0:3], 0 offen offset:500
	buffer_store_dword v1, v6, s[0:3], 0 offen offset:504
	buffer_store_dword v2, v6, s[0:3], 0 offen offset:508
	ds_read2_b64 v[1:4], v5 offset0:4 offset1:5
	s_waitcnt lgkmcnt(0)
	v_mul_f64 v[125:126], v[3:4], v[123:124]
	v_fma_f64 v[125:126], v[1:2], v[121:122], -v[125:126]
	v_mul_f64 v[1:2], v[1:2], v[123:124]
	v_fma_f64 v[1:2], v[3:4], v[121:122], v[1:2]
	s_waitcnt vmcnt(6)
	v_add_f64 v[3:4], v[133:134], -v[125:126]
	s_waitcnt vmcnt(4)
	v_add_f64 v[1:2], v[135:136], -v[1:2]
	buffer_store_dword v3, v6, s[0:3], 0 offen offset:512
	buffer_store_dword v4, v6, s[0:3], 0 offen offset:516
	buffer_store_dword v1, v6, s[0:3], 0 offen offset:520
	buffer_store_dword v2, v6, s[0:3], 0 offen offset:524
	ds_read2_b64 v[1:4], v5 offset0:6 offset1:7
	s_waitcnt lgkmcnt(0)
	v_mul_f64 v[125:126], v[3:4], v[123:124]
	v_fma_f64 v[125:126], v[1:2], v[121:122], -v[125:126]
	v_mul_f64 v[1:2], v[1:2], v[123:124]
	v_fma_f64 v[1:2], v[3:4], v[121:122], v[1:2]
	s_waitcnt vmcnt(2)
	v_add_f64 v[3:4], v[137:138], -v[125:126]
	s_waitcnt vmcnt(0)
	v_add_f64 v[1:2], v[139:140], -v[1:2]
	buffer_store_dword v4, v6, s[0:3], 0 offen offset:532
	buffer_store_dword v3, v6, s[0:3], 0 offen offset:528
	;; [unrolled: 1-line block ×4, first 2 shown]
	s_cbranch_scc1 .LBB123_378
.LBB123_379:
	s_or_b32 exec_lo, exec_lo, s5
	s_mov_b32 s6, exec_lo
	s_waitcnt lgkmcnt(0)
	s_waitcnt_vscnt null, 0x0
	s_barrier
	buffer_gl0_inv
	v_cmpx_eq_u32_e32 30, v0
	s_cbranch_execz .LBB123_386
; %bb.380:
	v_mov_b32_e32 v4, s45
	s_clause 0x3
	buffer_load_dword v1, v4, s[0:3], 0 offen
	buffer_load_dword v2, v4, s[0:3], 0 offen offset:4
	buffer_load_dword v3, v4, s[0:3], 0 offen offset:8
	;; [unrolled: 1-line block ×3, first 2 shown]
	s_waitcnt vmcnt(0)
	ds_write2_b64 v255, v[1:2], v[3:4] offset1:1
	v_mov_b32_e32 v4, s44
	s_clause 0x3
	buffer_load_dword v1, v4, s[0:3], 0 offen
	buffer_load_dword v2, v4, s[0:3], 0 offen offset:4
	buffer_load_dword v3, v4, s[0:3], 0 offen offset:8
	buffer_load_dword v4, v4, s[0:3], 0 offen offset:12
	s_waitcnt vmcnt(0)
	ds_write2_b64 v245, v[1:2], v[3:4] offset0:62 offset1:63
	v_mov_b32_e32 v4, s43
	s_clause 0x3
	buffer_load_dword v1, v4, s[0:3], 0 offen
	buffer_load_dword v2, v4, s[0:3], 0 offen offset:4
	buffer_load_dword v3, v4, s[0:3], 0 offen offset:8
	buffer_load_dword v4, v4, s[0:3], 0 offen offset:12
	s_waitcnt vmcnt(0)
	ds_write2_b64 v245, v[1:2], v[3:4] offset0:64 offset1:65
	;; [unrolled: 8-line block ×31, first 2 shown]
	ds_read2_b64 v[121:124], v255 offset1:1
	s_waitcnt lgkmcnt(0)
	v_cmp_neq_f64_e32 vcc_lo, 0, v[121:122]
	v_cmp_neq_f64_e64 s5, 0, v[123:124]
	s_or_b32 s5, vcc_lo, s5
	s_and_b32 exec_lo, exec_lo, s5
	s_cbranch_execz .LBB123_386
; %bb.381:
	v_cmp_ngt_f64_e64 s5, |v[121:122]|, |v[123:124]|
                                        ; implicit-def: $vgpr1_vgpr2
	s_and_saveexec_b32 s7, s5
	s_xor_b32 s5, exec_lo, s7
                                        ; implicit-def: $vgpr3_vgpr4
	s_cbranch_execz .LBB123_383
; %bb.382:
	v_div_scale_f64 v[1:2], null, v[123:124], v[123:124], v[121:122]
	v_div_scale_f64 v[127:128], vcc_lo, v[121:122], v[123:124], v[121:122]
	v_rcp_f64_e32 v[3:4], v[1:2]
	v_fma_f64 v[125:126], -v[1:2], v[3:4], 1.0
	v_fma_f64 v[3:4], v[3:4], v[125:126], v[3:4]
	v_fma_f64 v[125:126], -v[1:2], v[3:4], 1.0
	v_fma_f64 v[3:4], v[3:4], v[125:126], v[3:4]
	v_mul_f64 v[125:126], v[127:128], v[3:4]
	v_fma_f64 v[1:2], -v[1:2], v[125:126], v[127:128]
	v_div_fmas_f64 v[1:2], v[1:2], v[3:4], v[125:126]
	v_div_fixup_f64 v[1:2], v[1:2], v[123:124], v[121:122]
	v_fma_f64 v[3:4], v[121:122], v[1:2], v[123:124]
	v_div_scale_f64 v[121:122], null, v[3:4], v[3:4], 1.0
	v_rcp_f64_e32 v[123:124], v[121:122]
	v_fma_f64 v[125:126], -v[121:122], v[123:124], 1.0
	v_fma_f64 v[123:124], v[123:124], v[125:126], v[123:124]
	v_fma_f64 v[125:126], -v[121:122], v[123:124], 1.0
	v_fma_f64 v[123:124], v[123:124], v[125:126], v[123:124]
	v_div_scale_f64 v[125:126], vcc_lo, 1.0, v[3:4], 1.0
	v_mul_f64 v[127:128], v[125:126], v[123:124]
	v_fma_f64 v[121:122], -v[121:122], v[127:128], v[125:126]
	v_div_fmas_f64 v[121:122], v[121:122], v[123:124], v[127:128]
	v_div_fixup_f64 v[3:4], v[121:122], v[3:4], 1.0
                                        ; implicit-def: $vgpr121_vgpr122
	v_mul_f64 v[1:2], v[1:2], v[3:4]
	v_xor_b32_e32 v4, 0x80000000, v4
.LBB123_383:
	s_andn2_saveexec_b32 s5, s5
	s_cbranch_execz .LBB123_385
; %bb.384:
	v_div_scale_f64 v[1:2], null, v[121:122], v[121:122], v[123:124]
	v_div_scale_f64 v[127:128], vcc_lo, v[123:124], v[121:122], v[123:124]
	v_rcp_f64_e32 v[3:4], v[1:2]
	v_fma_f64 v[125:126], -v[1:2], v[3:4], 1.0
	v_fma_f64 v[3:4], v[3:4], v[125:126], v[3:4]
	v_fma_f64 v[125:126], -v[1:2], v[3:4], 1.0
	v_fma_f64 v[3:4], v[3:4], v[125:126], v[3:4]
	v_mul_f64 v[125:126], v[127:128], v[3:4]
	v_fma_f64 v[1:2], -v[1:2], v[125:126], v[127:128]
	v_div_fmas_f64 v[1:2], v[1:2], v[3:4], v[125:126]
	v_div_fixup_f64 v[3:4], v[1:2], v[121:122], v[123:124]
	v_fma_f64 v[1:2], v[123:124], v[3:4], v[121:122]
	v_div_scale_f64 v[121:122], null, v[1:2], v[1:2], 1.0
	v_rcp_f64_e32 v[123:124], v[121:122]
	v_fma_f64 v[125:126], -v[121:122], v[123:124], 1.0
	v_fma_f64 v[123:124], v[123:124], v[125:126], v[123:124]
	v_fma_f64 v[125:126], -v[121:122], v[123:124], 1.0
	v_fma_f64 v[123:124], v[123:124], v[125:126], v[123:124]
	v_div_scale_f64 v[125:126], vcc_lo, 1.0, v[1:2], 1.0
	v_mul_f64 v[127:128], v[125:126], v[123:124]
	v_fma_f64 v[121:122], -v[121:122], v[127:128], v[125:126]
	v_div_fmas_f64 v[121:122], v[121:122], v[123:124], v[127:128]
	v_div_fixup_f64 v[1:2], v[121:122], v[1:2], 1.0
	v_mul_f64 v[3:4], v[3:4], -v[1:2]
.LBB123_385:
	s_or_b32 exec_lo, exec_lo, s5
	ds_write2_b64 v255, v[1:2], v[3:4] offset1:1
.LBB123_386:
	s_or_b32 exec_lo, exec_lo, s6
	s_waitcnt lgkmcnt(0)
	s_barrier
	buffer_gl0_inv
	ds_read2_b64 v[121:124], v255 offset1:1
	s_mov_b32 s5, exec_lo
	v_cmpx_lt_u32_e32 30, v0
	s_cbranch_execz .LBB123_391
; %bb.387:
	s_clause 0x3
	buffer_load_dword v1, off, s[0:3], 0 offset:488
	buffer_load_dword v2, off, s[0:3], 0 offset:492
	;; [unrolled: 1-line block ×4, first 2 shown]
	s_mov_b32 s6, 0
	s_waitcnt vmcnt(2) lgkmcnt(0)
	v_mul_f64 v[125:126], v[123:124], v[1:2]
	v_mul_f64 v[1:2], v[121:122], v[1:2]
	s_waitcnt vmcnt(0)
	v_fma_f64 v[125:126], v[121:122], v[3:4], -v[125:126]
	v_fma_f64 v[127:128], v[123:124], v[3:4], v[1:2]
	buffer_store_dword v125, off, s[0:3], 0 offset:480
	buffer_store_dword v126, off, s[0:3], 0 offset:484
	;; [unrolled: 1-line block ×4, first 2 shown]
	s_branch .LBB123_389
.LBB123_388:                            ;   in Loop: Header=BB123_389 Depth=1
	s_andn2_b32 vcc_lo, exec_lo, s8
	s_cbranch_vccz .LBB123_391
.LBB123_389:                            ; =>This Inner Loop Header: Depth=1
	v_add3_u32 v1, v181, 0, 0x1f0
	v_mov_b32_e32 v4, s6
	s_mov_b32 s7, s6
	s_mov_b32 s8, -1
	s_cmpk_eq_i32 s6, 0x1c0
	v_add_nc_u32_e32 v1, s6, v1
	ds_read2_b64 v[129:132], v1 offset1:1
	s_waitcnt lgkmcnt(0)
	v_mul_f64 v[2:3], v[131:132], v[127:128]
	v_fma_f64 v[2:3], v[129:130], v[125:126], -v[2:3]
	v_mul_f64 v[129:130], v[129:130], v[127:128]
	v_fma_f64 v[129:130], v[131:132], v[125:126], v[129:130]
	s_clause 0xb
	buffer_load_dword v131, v4, s[0:3], 0 offen offset:496
	buffer_load_dword v132, v4, s[0:3], 0 offen offset:500
	;; [unrolled: 1-line block ×12, first 2 shown]
	s_waitcnt vmcnt(10)
	v_add_f64 v[2:3], v[131:132], -v[2:3]
	s_waitcnt vmcnt(8)
	v_add_f64 v[129:130], v[133:134], -v[129:130]
	buffer_store_dword v2, v4, s[0:3], 0 offen offset:496
	buffer_store_dword v3, v4, s[0:3], 0 offen offset:500
	;; [unrolled: 1-line block ×4, first 2 shown]
	ds_read2_b64 v[129:132], v1 offset0:2 offset1:3
	s_waitcnt lgkmcnt(0)
	v_mul_f64 v[2:3], v[131:132], v[127:128]
	v_fma_f64 v[2:3], v[129:130], v[125:126], -v[2:3]
	v_mul_f64 v[129:130], v[129:130], v[127:128]
	s_waitcnt vmcnt(6)
	v_add_f64 v[2:3], v[135:136], -v[2:3]
	v_fma_f64 v[129:130], v[131:132], v[125:126], v[129:130]
	s_waitcnt vmcnt(4)
	v_add_f64 v[129:130], v[137:138], -v[129:130]
	buffer_store_dword v2, v4, s[0:3], 0 offen offset:512
	buffer_store_dword v3, v4, s[0:3], 0 offen offset:516
	;; [unrolled: 1-line block ×4, first 2 shown]
	ds_read2_b64 v[129:132], v1 offset0:4 offset1:5
	s_waitcnt lgkmcnt(0)
	v_mul_f64 v[2:3], v[131:132], v[127:128]
	v_fma_f64 v[2:3], v[129:130], v[125:126], -v[2:3]
	v_mul_f64 v[129:130], v[129:130], v[127:128]
	s_waitcnt vmcnt(2)
	v_add_f64 v[2:3], v[139:140], -v[2:3]
	v_fma_f64 v[129:130], v[131:132], v[125:126], v[129:130]
	s_waitcnt vmcnt(0)
	v_add_f64 v[129:130], v[141:142], -v[129:130]
	buffer_store_dword v2, v4, s[0:3], 0 offen offset:528
	buffer_store_dword v3, v4, s[0:3], 0 offen offset:532
	;; [unrolled: 1-line block ×4, first 2 shown]
	s_cbranch_scc1 .LBB123_388
; %bb.390:                              ;   in Loop: Header=BB123_389 Depth=1
	ds_read2_b64 v[1:4], v1 offset0:6 offset1:7
	v_mov_b32_e32 v5, s7
	s_add_i32 s6, s6, 64
	s_mov_b32 s8, 0
	s_waitcnt lgkmcnt(0)
	v_mul_f64 v[129:130], v[3:4], v[127:128]
	v_fma_f64 v[129:130], v[1:2], v[125:126], -v[129:130]
	v_mul_f64 v[1:2], v[1:2], v[127:128]
	v_fma_f64 v[1:2], v[3:4], v[125:126], v[1:2]
	s_clause 0x3
	buffer_load_dword v3, v5, s[0:3], 0 offen offset:544
	buffer_load_dword v4, v5, s[0:3], 0 offen offset:548
	;; [unrolled: 1-line block ×4, first 2 shown]
	s_waitcnt vmcnt(2)
	v_add_f64 v[3:4], v[3:4], -v[129:130]
	s_waitcnt vmcnt(0)
	v_add_f64 v[1:2], v[131:132], -v[1:2]
	buffer_store_dword v3, v5, s[0:3], 0 offen offset:544
	buffer_store_dword v4, v5, s[0:3], 0 offen offset:548
	;; [unrolled: 1-line block ×4, first 2 shown]
	s_branch .LBB123_388
.LBB123_391:
	s_or_b32 exec_lo, exec_lo, s5
	s_mov_b32 s6, exec_lo
	s_waitcnt lgkmcnt(0)
	s_waitcnt_vscnt null, 0x0
	s_barrier
	buffer_gl0_inv
	v_cmpx_eq_u32_e32 31, v0
	s_cbranch_execz .LBB123_398
; %bb.392:
	v_mov_b32_e32 v4, s44
	s_clause 0x3
	buffer_load_dword v1, v4, s[0:3], 0 offen
	buffer_load_dword v2, v4, s[0:3], 0 offen offset:4
	buffer_load_dword v3, v4, s[0:3], 0 offen offset:8
	;; [unrolled: 1-line block ×3, first 2 shown]
	s_waitcnt vmcnt(0)
	ds_write2_b64 v255, v[1:2], v[3:4] offset1:1
	v_mov_b32_e32 v4, s43
	s_clause 0x3
	buffer_load_dword v1, v4, s[0:3], 0 offen
	buffer_load_dword v2, v4, s[0:3], 0 offen offset:4
	buffer_load_dword v3, v4, s[0:3], 0 offen offset:8
	buffer_load_dword v4, v4, s[0:3], 0 offen offset:12
	s_waitcnt vmcnt(0)
	ds_write2_b64 v245, v[1:2], v[3:4] offset0:64 offset1:65
	v_mov_b32_e32 v4, s42
	s_clause 0x3
	buffer_load_dword v1, v4, s[0:3], 0 offen
	buffer_load_dword v2, v4, s[0:3], 0 offen offset:4
	buffer_load_dword v3, v4, s[0:3], 0 offen offset:8
	buffer_load_dword v4, v4, s[0:3], 0 offen offset:12
	s_waitcnt vmcnt(0)
	ds_write2_b64 v245, v[1:2], v[3:4] offset0:66 offset1:67
	;; [unrolled: 8-line block ×30, first 2 shown]
	ds_read2_b64 v[125:128], v255 offset1:1
	s_waitcnt lgkmcnt(0)
	v_cmp_neq_f64_e32 vcc_lo, 0, v[125:126]
	v_cmp_neq_f64_e64 s5, 0, v[127:128]
	s_or_b32 s5, vcc_lo, s5
	s_and_b32 exec_lo, exec_lo, s5
	s_cbranch_execz .LBB123_398
; %bb.393:
	v_cmp_ngt_f64_e64 s5, |v[125:126]|, |v[127:128]|
                                        ; implicit-def: $vgpr1_vgpr2
	s_and_saveexec_b32 s7, s5
	s_xor_b32 s5, exec_lo, s7
                                        ; implicit-def: $vgpr3_vgpr4
	s_cbranch_execz .LBB123_395
; %bb.394:
	v_div_scale_f64 v[1:2], null, v[127:128], v[127:128], v[125:126]
	v_div_scale_f64 v[131:132], vcc_lo, v[125:126], v[127:128], v[125:126]
	v_rcp_f64_e32 v[3:4], v[1:2]
	v_fma_f64 v[129:130], -v[1:2], v[3:4], 1.0
	v_fma_f64 v[3:4], v[3:4], v[129:130], v[3:4]
	v_fma_f64 v[129:130], -v[1:2], v[3:4], 1.0
	v_fma_f64 v[3:4], v[3:4], v[129:130], v[3:4]
	v_mul_f64 v[129:130], v[131:132], v[3:4]
	v_fma_f64 v[1:2], -v[1:2], v[129:130], v[131:132]
	v_div_fmas_f64 v[1:2], v[1:2], v[3:4], v[129:130]
	v_div_fixup_f64 v[1:2], v[1:2], v[127:128], v[125:126]
	v_fma_f64 v[3:4], v[125:126], v[1:2], v[127:128]
	v_div_scale_f64 v[125:126], null, v[3:4], v[3:4], 1.0
	v_rcp_f64_e32 v[127:128], v[125:126]
	v_fma_f64 v[129:130], -v[125:126], v[127:128], 1.0
	v_fma_f64 v[127:128], v[127:128], v[129:130], v[127:128]
	v_fma_f64 v[129:130], -v[125:126], v[127:128], 1.0
	v_fma_f64 v[127:128], v[127:128], v[129:130], v[127:128]
	v_div_scale_f64 v[129:130], vcc_lo, 1.0, v[3:4], 1.0
	v_mul_f64 v[131:132], v[129:130], v[127:128]
	v_fma_f64 v[125:126], -v[125:126], v[131:132], v[129:130]
	v_div_fmas_f64 v[125:126], v[125:126], v[127:128], v[131:132]
	v_div_fixup_f64 v[3:4], v[125:126], v[3:4], 1.0
                                        ; implicit-def: $vgpr125_vgpr126
	v_mul_f64 v[1:2], v[1:2], v[3:4]
	v_xor_b32_e32 v4, 0x80000000, v4
.LBB123_395:
	s_andn2_saveexec_b32 s5, s5
	s_cbranch_execz .LBB123_397
; %bb.396:
	v_div_scale_f64 v[1:2], null, v[125:126], v[125:126], v[127:128]
	v_div_scale_f64 v[131:132], vcc_lo, v[127:128], v[125:126], v[127:128]
	v_rcp_f64_e32 v[3:4], v[1:2]
	v_fma_f64 v[129:130], -v[1:2], v[3:4], 1.0
	v_fma_f64 v[3:4], v[3:4], v[129:130], v[3:4]
	v_fma_f64 v[129:130], -v[1:2], v[3:4], 1.0
	v_fma_f64 v[3:4], v[3:4], v[129:130], v[3:4]
	v_mul_f64 v[129:130], v[131:132], v[3:4]
	v_fma_f64 v[1:2], -v[1:2], v[129:130], v[131:132]
	v_div_fmas_f64 v[1:2], v[1:2], v[3:4], v[129:130]
	v_div_fixup_f64 v[3:4], v[1:2], v[125:126], v[127:128]
	v_fma_f64 v[1:2], v[127:128], v[3:4], v[125:126]
	v_div_scale_f64 v[125:126], null, v[1:2], v[1:2], 1.0
	v_rcp_f64_e32 v[127:128], v[125:126]
	v_fma_f64 v[129:130], -v[125:126], v[127:128], 1.0
	v_fma_f64 v[127:128], v[127:128], v[129:130], v[127:128]
	v_fma_f64 v[129:130], -v[125:126], v[127:128], 1.0
	v_fma_f64 v[127:128], v[127:128], v[129:130], v[127:128]
	v_div_scale_f64 v[129:130], vcc_lo, 1.0, v[1:2], 1.0
	v_mul_f64 v[131:132], v[129:130], v[127:128]
	v_fma_f64 v[125:126], -v[125:126], v[131:132], v[129:130]
	v_div_fmas_f64 v[125:126], v[125:126], v[127:128], v[131:132]
	v_div_fixup_f64 v[1:2], v[125:126], v[1:2], 1.0
	v_mul_f64 v[3:4], v[3:4], -v[1:2]
.LBB123_397:
	s_or_b32 exec_lo, exec_lo, s5
	ds_write2_b64 v255, v[1:2], v[3:4] offset1:1
.LBB123_398:
	s_or_b32 exec_lo, exec_lo, s6
	s_waitcnt lgkmcnt(0)
	s_barrier
	buffer_gl0_inv
	ds_read2_b64 v[125:128], v255 offset1:1
	s_mov_b32 s5, exec_lo
	v_cmpx_lt_u32_e32 31, v0
	s_cbranch_execz .LBB123_401
; %bb.399:
	s_clause 0x3
	buffer_load_dword v1, off, s[0:3], 0 offset:504
	buffer_load_dword v2, off, s[0:3], 0 offset:508
	;; [unrolled: 1-line block ×4, first 2 shown]
	s_mov_b32 s6, 0
	s_waitcnt vmcnt(2) lgkmcnt(0)
	v_mul_f64 v[129:130], v[127:128], v[1:2]
	v_mul_f64 v[1:2], v[125:126], v[1:2]
	s_waitcnt vmcnt(0)
	v_fma_f64 v[129:130], v[125:126], v[3:4], -v[129:130]
	v_fma_f64 v[131:132], v[127:128], v[3:4], v[1:2]
	buffer_store_dword v129, off, s[0:3], 0 offset:496
	buffer_store_dword v130, off, s[0:3], 0 offset:500
	;; [unrolled: 1-line block ×4, first 2 shown]
.LBB123_400:                            ; =>This Inner Loop Header: Depth=1
	v_add3_u32 v1, v181, 0, 0x200
	v_mov_b32_e32 v6, s6
	v_add_nc_u32_e32 v5, s6, v1
	s_addk_i32 s6, 0x60
	s_cmpk_lg_i32 s6, 0x1e0
	ds_read2_b64 v[1:4], v5 offset1:1
	s_waitcnt lgkmcnt(0)
	v_mul_f64 v[133:134], v[3:4], v[131:132]
	v_fma_f64 v[133:134], v[1:2], v[129:130], -v[133:134]
	v_mul_f64 v[1:2], v[1:2], v[131:132]
	v_fma_f64 v[1:2], v[3:4], v[129:130], v[1:2]
	s_clause 0xf
	buffer_load_dword v3, v6, s[0:3], 0 offen offset:512
	buffer_load_dword v4, v6, s[0:3], 0 offen offset:516
	;; [unrolled: 1-line block ×16, first 2 shown]
	s_waitcnt vmcnt(14)
	v_add_f64 v[3:4], v[3:4], -v[133:134]
	s_waitcnt vmcnt(12)
	v_add_f64 v[1:2], v[135:136], -v[1:2]
	buffer_store_dword v3, v6, s[0:3], 0 offen offset:512
	buffer_store_dword v4, v6, s[0:3], 0 offen offset:516
	buffer_store_dword v1, v6, s[0:3], 0 offen offset:520
	buffer_store_dword v2, v6, s[0:3], 0 offen offset:524
	ds_read2_b64 v[1:4], v5 offset0:2 offset1:3
	s_waitcnt lgkmcnt(0)
	v_mul_f64 v[133:134], v[3:4], v[131:132]
	v_fma_f64 v[133:134], v[1:2], v[129:130], -v[133:134]
	v_mul_f64 v[1:2], v[1:2], v[131:132]
	v_fma_f64 v[1:2], v[3:4], v[129:130], v[1:2]
	s_waitcnt vmcnt(10)
	v_add_f64 v[3:4], v[137:138], -v[133:134]
	s_waitcnt vmcnt(8)
	v_add_f64 v[1:2], v[139:140], -v[1:2]
	buffer_store_dword v3, v6, s[0:3], 0 offen offset:528
	buffer_store_dword v4, v6, s[0:3], 0 offen offset:532
	buffer_store_dword v1, v6, s[0:3], 0 offen offset:536
	buffer_store_dword v2, v6, s[0:3], 0 offen offset:540
	ds_read2_b64 v[1:4], v5 offset0:4 offset1:5
	s_waitcnt lgkmcnt(0)
	v_mul_f64 v[133:134], v[3:4], v[131:132]
	v_fma_f64 v[133:134], v[1:2], v[129:130], -v[133:134]
	v_mul_f64 v[1:2], v[1:2], v[131:132]
	v_fma_f64 v[1:2], v[3:4], v[129:130], v[1:2]
	;; [unrolled: 14-line block ×4, first 2 shown]
	s_clause 0x3
	buffer_load_dword v3, v6, s[0:3], 0 offen offset:576
	buffer_load_dword v4, v6, s[0:3], 0 offen offset:580
	;; [unrolled: 1-line block ×4, first 2 shown]
	s_waitcnt vmcnt(2)
	v_add_f64 v[3:4], v[3:4], -v[133:134]
	s_waitcnt vmcnt(0)
	v_add_f64 v[1:2], v[135:136], -v[1:2]
	buffer_store_dword v4, v6, s[0:3], 0 offen offset:580
	buffer_store_dword v3, v6, s[0:3], 0 offen offset:576
	;; [unrolled: 1-line block ×4, first 2 shown]
	ds_read2_b64 v[1:4], v5 offset0:10 offset1:11
	s_waitcnt lgkmcnt(0)
	v_mul_f64 v[133:134], v[3:4], v[131:132]
	v_fma_f64 v[133:134], v[1:2], v[129:130], -v[133:134]
	v_mul_f64 v[1:2], v[1:2], v[131:132]
	v_fma_f64 v[1:2], v[3:4], v[129:130], v[1:2]
	s_clause 0x3
	buffer_load_dword v3, v6, s[0:3], 0 offen offset:592
	buffer_load_dword v4, v6, s[0:3], 0 offen offset:596
	;; [unrolled: 1-line block ×4, first 2 shown]
	s_waitcnt vmcnt(2)
	v_add_f64 v[3:4], v[3:4], -v[133:134]
	s_waitcnt vmcnt(0)
	v_add_f64 v[1:2], v[135:136], -v[1:2]
	buffer_store_dword v4, v6, s[0:3], 0 offen offset:596
	buffer_store_dword v3, v6, s[0:3], 0 offen offset:592
	;; [unrolled: 1-line block ×4, first 2 shown]
	s_cbranch_scc1 .LBB123_400
.LBB123_401:
	s_or_b32 exec_lo, exec_lo, s5
	s_mov_b32 s6, exec_lo
	s_waitcnt lgkmcnt(0)
	s_waitcnt_vscnt null, 0x0
	s_barrier
	buffer_gl0_inv
	v_cmpx_eq_u32_e32 32, v0
	s_cbranch_execz .LBB123_408
; %bb.402:
	v_mov_b32_e32 v4, s43
	s_clause 0x3
	buffer_load_dword v1, v4, s[0:3], 0 offen
	buffer_load_dword v2, v4, s[0:3], 0 offen offset:4
	buffer_load_dword v3, v4, s[0:3], 0 offen offset:8
	;; [unrolled: 1-line block ×3, first 2 shown]
	s_waitcnt vmcnt(0)
	ds_write2_b64 v255, v[1:2], v[3:4] offset1:1
	v_mov_b32_e32 v4, s42
	s_clause 0x3
	buffer_load_dword v1, v4, s[0:3], 0 offen
	buffer_load_dword v2, v4, s[0:3], 0 offen offset:4
	buffer_load_dword v3, v4, s[0:3], 0 offen offset:8
	buffer_load_dword v4, v4, s[0:3], 0 offen offset:12
	s_waitcnt vmcnt(0)
	ds_write2_b64 v245, v[1:2], v[3:4] offset0:66 offset1:67
	v_mov_b32_e32 v4, s41
	s_clause 0x3
	buffer_load_dword v1, v4, s[0:3], 0 offen
	buffer_load_dword v2, v4, s[0:3], 0 offen offset:4
	buffer_load_dword v3, v4, s[0:3], 0 offen offset:8
	buffer_load_dword v4, v4, s[0:3], 0 offen offset:12
	s_waitcnt vmcnt(0)
	ds_write2_b64 v245, v[1:2], v[3:4] offset0:68 offset1:69
	;; [unrolled: 8-line block ×29, first 2 shown]
	ds_read2_b64 v[129:132], v255 offset1:1
	s_waitcnt lgkmcnt(0)
	v_cmp_neq_f64_e32 vcc_lo, 0, v[129:130]
	v_cmp_neq_f64_e64 s5, 0, v[131:132]
	s_or_b32 s5, vcc_lo, s5
	s_and_b32 exec_lo, exec_lo, s5
	s_cbranch_execz .LBB123_408
; %bb.403:
	v_cmp_ngt_f64_e64 s5, |v[129:130]|, |v[131:132]|
                                        ; implicit-def: $vgpr1_vgpr2
	s_and_saveexec_b32 s7, s5
	s_xor_b32 s5, exec_lo, s7
                                        ; implicit-def: $vgpr3_vgpr4
	s_cbranch_execz .LBB123_405
; %bb.404:
	v_div_scale_f64 v[1:2], null, v[131:132], v[131:132], v[129:130]
	v_div_scale_f64 v[135:136], vcc_lo, v[129:130], v[131:132], v[129:130]
	v_rcp_f64_e32 v[3:4], v[1:2]
	v_fma_f64 v[133:134], -v[1:2], v[3:4], 1.0
	v_fma_f64 v[3:4], v[3:4], v[133:134], v[3:4]
	v_fma_f64 v[133:134], -v[1:2], v[3:4], 1.0
	v_fma_f64 v[3:4], v[3:4], v[133:134], v[3:4]
	v_mul_f64 v[133:134], v[135:136], v[3:4]
	v_fma_f64 v[1:2], -v[1:2], v[133:134], v[135:136]
	v_div_fmas_f64 v[1:2], v[1:2], v[3:4], v[133:134]
	v_div_fixup_f64 v[1:2], v[1:2], v[131:132], v[129:130]
	v_fma_f64 v[3:4], v[129:130], v[1:2], v[131:132]
	v_div_scale_f64 v[129:130], null, v[3:4], v[3:4], 1.0
	v_rcp_f64_e32 v[131:132], v[129:130]
	v_fma_f64 v[133:134], -v[129:130], v[131:132], 1.0
	v_fma_f64 v[131:132], v[131:132], v[133:134], v[131:132]
	v_fma_f64 v[133:134], -v[129:130], v[131:132], 1.0
	v_fma_f64 v[131:132], v[131:132], v[133:134], v[131:132]
	v_div_scale_f64 v[133:134], vcc_lo, 1.0, v[3:4], 1.0
	v_mul_f64 v[135:136], v[133:134], v[131:132]
	v_fma_f64 v[129:130], -v[129:130], v[135:136], v[133:134]
	v_div_fmas_f64 v[129:130], v[129:130], v[131:132], v[135:136]
	v_div_fixup_f64 v[3:4], v[129:130], v[3:4], 1.0
                                        ; implicit-def: $vgpr129_vgpr130
	v_mul_f64 v[1:2], v[1:2], v[3:4]
	v_xor_b32_e32 v4, 0x80000000, v4
.LBB123_405:
	s_andn2_saveexec_b32 s5, s5
	s_cbranch_execz .LBB123_407
; %bb.406:
	v_div_scale_f64 v[1:2], null, v[129:130], v[129:130], v[131:132]
	v_div_scale_f64 v[135:136], vcc_lo, v[131:132], v[129:130], v[131:132]
	v_rcp_f64_e32 v[3:4], v[1:2]
	v_fma_f64 v[133:134], -v[1:2], v[3:4], 1.0
	v_fma_f64 v[3:4], v[3:4], v[133:134], v[3:4]
	v_fma_f64 v[133:134], -v[1:2], v[3:4], 1.0
	v_fma_f64 v[3:4], v[3:4], v[133:134], v[3:4]
	v_mul_f64 v[133:134], v[135:136], v[3:4]
	v_fma_f64 v[1:2], -v[1:2], v[133:134], v[135:136]
	v_div_fmas_f64 v[1:2], v[1:2], v[3:4], v[133:134]
	v_div_fixup_f64 v[3:4], v[1:2], v[129:130], v[131:132]
	v_fma_f64 v[1:2], v[131:132], v[3:4], v[129:130]
	v_div_scale_f64 v[129:130], null, v[1:2], v[1:2], 1.0
	v_rcp_f64_e32 v[131:132], v[129:130]
	v_fma_f64 v[133:134], -v[129:130], v[131:132], 1.0
	v_fma_f64 v[131:132], v[131:132], v[133:134], v[131:132]
	v_fma_f64 v[133:134], -v[129:130], v[131:132], 1.0
	v_fma_f64 v[131:132], v[131:132], v[133:134], v[131:132]
	v_div_scale_f64 v[133:134], vcc_lo, 1.0, v[1:2], 1.0
	v_mul_f64 v[135:136], v[133:134], v[131:132]
	v_fma_f64 v[129:130], -v[129:130], v[135:136], v[133:134]
	v_div_fmas_f64 v[129:130], v[129:130], v[131:132], v[135:136]
	v_div_fixup_f64 v[1:2], v[129:130], v[1:2], 1.0
	v_mul_f64 v[3:4], v[3:4], -v[1:2]
.LBB123_407:
	s_or_b32 exec_lo, exec_lo, s5
	ds_write2_b64 v255, v[1:2], v[3:4] offset1:1
.LBB123_408:
	s_or_b32 exec_lo, exec_lo, s6
	s_waitcnt lgkmcnt(0)
	s_barrier
	buffer_gl0_inv
	ds_read2_b64 v[129:132], v255 offset1:1
	s_mov_b32 s5, exec_lo
	v_cmpx_lt_u32_e32 32, v0
	s_cbranch_execz .LBB123_413
; %bb.409:
	s_clause 0x3
	buffer_load_dword v1, off, s[0:3], 0 offset:520
	buffer_load_dword v2, off, s[0:3], 0 offset:524
	;; [unrolled: 1-line block ×4, first 2 shown]
	s_mov_b32 s6, 0
	s_waitcnt vmcnt(2) lgkmcnt(0)
	v_mul_f64 v[133:134], v[131:132], v[1:2]
	v_mul_f64 v[1:2], v[129:130], v[1:2]
	s_waitcnt vmcnt(0)
	v_fma_f64 v[133:134], v[129:130], v[3:4], -v[133:134]
	v_fma_f64 v[135:136], v[131:132], v[3:4], v[1:2]
	buffer_store_dword v133, off, s[0:3], 0 offset:512
	buffer_store_dword v134, off, s[0:3], 0 offset:516
	;; [unrolled: 1-line block ×4, first 2 shown]
	s_branch .LBB123_411
.LBB123_410:                            ;   in Loop: Header=BB123_411 Depth=1
	s_andn2_b32 vcc_lo, exec_lo, s8
	s_cbranch_vccz .LBB123_413
.LBB123_411:                            ; =>This Inner Loop Header: Depth=1
	v_add3_u32 v1, v181, 0, 0x210
	v_mov_b32_e32 v4, s6
	s_mov_b32 s7, s6
	s_mov_b32 s8, -1
	s_cmpk_eq_i32 s6, 0x1c0
	v_add_nc_u32_e32 v1, s6, v1
	ds_read2_b64 v[137:140], v1 offset1:1
	s_waitcnt lgkmcnt(0)
	v_mul_f64 v[2:3], v[139:140], v[135:136]
	v_fma_f64 v[2:3], v[137:138], v[133:134], -v[2:3]
	v_mul_f64 v[137:138], v[137:138], v[135:136]
	v_fma_f64 v[137:138], v[139:140], v[133:134], v[137:138]
	s_clause 0x3
	buffer_load_dword v139, v4, s[0:3], 0 offen offset:528
	buffer_load_dword v140, v4, s[0:3], 0 offen offset:532
	;; [unrolled: 1-line block ×4, first 2 shown]
	s_waitcnt vmcnt(2)
	v_add_f64 v[2:3], v[139:140], -v[2:3]
	s_waitcnt vmcnt(0)
	v_add_f64 v[137:138], v[141:142], -v[137:138]
	buffer_store_dword v2, v4, s[0:3], 0 offen offset:528
	buffer_store_dword v3, v4, s[0:3], 0 offen offset:532
	;; [unrolled: 1-line block ×4, first 2 shown]
	s_cbranch_scc1 .LBB123_410
; %bb.412:                              ;   in Loop: Header=BB123_411 Depth=1
	ds_read2_b64 v[137:140], v1 offset0:2 offset1:3
	v_mov_b32_e32 v5, s7
	s_add_i32 s6, s6, 64
	s_mov_b32 s8, 0
	s_waitcnt lgkmcnt(0)
	v_mul_f64 v[2:3], v[139:140], v[135:136]
	v_fma_f64 v[2:3], v[137:138], v[133:134], -v[2:3]
	v_mul_f64 v[137:138], v[137:138], v[135:136]
	v_fma_f64 v[137:138], v[139:140], v[133:134], v[137:138]
	s_clause 0xb
	buffer_load_dword v139, v5, s[0:3], 0 offen offset:544
	buffer_load_dword v140, v5, s[0:3], 0 offen offset:548
	;; [unrolled: 1-line block ×12, first 2 shown]
	s_waitcnt vmcnt(10)
	v_add_f64 v[2:3], v[139:140], -v[2:3]
	s_waitcnt vmcnt(8)
	v_add_f64 v[137:138], v[141:142], -v[137:138]
	buffer_store_dword v2, v5, s[0:3], 0 offen offset:544
	buffer_store_dword v3, v5, s[0:3], 0 offen offset:548
	;; [unrolled: 1-line block ×4, first 2 shown]
	ds_read2_b64 v[137:140], v1 offset0:4 offset1:5
	s_waitcnt lgkmcnt(0)
	v_mul_f64 v[2:3], v[139:140], v[135:136]
	v_fma_f64 v[2:3], v[137:138], v[133:134], -v[2:3]
	v_mul_f64 v[137:138], v[137:138], v[135:136]
	s_waitcnt vmcnt(6)
	v_add_f64 v[2:3], v[143:144], -v[2:3]
	v_fma_f64 v[137:138], v[139:140], v[133:134], v[137:138]
	s_waitcnt vmcnt(4)
	v_add_f64 v[137:138], v[145:146], -v[137:138]
	buffer_store_dword v2, v5, s[0:3], 0 offen offset:560
	buffer_store_dword v3, v5, s[0:3], 0 offen offset:564
	;; [unrolled: 1-line block ×4, first 2 shown]
	ds_read2_b64 v[1:4], v1 offset0:6 offset1:7
	s_waitcnt lgkmcnt(0)
	v_mul_f64 v[137:138], v[3:4], v[135:136]
	v_fma_f64 v[137:138], v[1:2], v[133:134], -v[137:138]
	v_mul_f64 v[1:2], v[1:2], v[135:136]
	v_fma_f64 v[1:2], v[3:4], v[133:134], v[1:2]
	s_waitcnt vmcnt(2)
	v_add_f64 v[3:4], v[147:148], -v[137:138]
	s_waitcnt vmcnt(0)
	v_add_f64 v[1:2], v[149:150], -v[1:2]
	buffer_store_dword v3, v5, s[0:3], 0 offen offset:576
	buffer_store_dword v4, v5, s[0:3], 0 offen offset:580
	;; [unrolled: 1-line block ×4, first 2 shown]
	s_branch .LBB123_410
.LBB123_413:
	s_or_b32 exec_lo, exec_lo, s5
	s_mov_b32 s6, exec_lo
	s_waitcnt lgkmcnt(0)
	s_waitcnt_vscnt null, 0x0
	s_barrier
	buffer_gl0_inv
	v_cmpx_eq_u32_e32 33, v0
	s_cbranch_execz .LBB123_420
; %bb.414:
	v_mov_b32_e32 v4, s42
	s_clause 0x3
	buffer_load_dword v1, v4, s[0:3], 0 offen
	buffer_load_dword v2, v4, s[0:3], 0 offen offset:4
	buffer_load_dword v3, v4, s[0:3], 0 offen offset:8
	;; [unrolled: 1-line block ×3, first 2 shown]
	s_waitcnt vmcnt(0)
	ds_write2_b64 v255, v[1:2], v[3:4] offset1:1
	v_mov_b32_e32 v4, s41
	s_clause 0x3
	buffer_load_dword v1, v4, s[0:3], 0 offen
	buffer_load_dword v2, v4, s[0:3], 0 offen offset:4
	buffer_load_dword v3, v4, s[0:3], 0 offen offset:8
	buffer_load_dword v4, v4, s[0:3], 0 offen offset:12
	s_waitcnt vmcnt(0)
	ds_write2_b64 v245, v[1:2], v[3:4] offset0:68 offset1:69
	v_mov_b32_e32 v4, s40
	s_clause 0x3
	buffer_load_dword v1, v4, s[0:3], 0 offen
	buffer_load_dword v2, v4, s[0:3], 0 offen offset:4
	buffer_load_dword v3, v4, s[0:3], 0 offen offset:8
	buffer_load_dword v4, v4, s[0:3], 0 offen offset:12
	s_waitcnt vmcnt(0)
	ds_write2_b64 v245, v[1:2], v[3:4] offset0:70 offset1:71
	;; [unrolled: 8-line block ×28, first 2 shown]
	ds_read2_b64 v[133:136], v255 offset1:1
	s_waitcnt lgkmcnt(0)
	v_cmp_neq_f64_e32 vcc_lo, 0, v[133:134]
	v_cmp_neq_f64_e64 s5, 0, v[135:136]
	s_or_b32 s5, vcc_lo, s5
	s_and_b32 exec_lo, exec_lo, s5
	s_cbranch_execz .LBB123_420
; %bb.415:
	v_cmp_ngt_f64_e64 s5, |v[133:134]|, |v[135:136]|
                                        ; implicit-def: $vgpr1_vgpr2
	s_and_saveexec_b32 s7, s5
	s_xor_b32 s5, exec_lo, s7
                                        ; implicit-def: $vgpr3_vgpr4
	s_cbranch_execz .LBB123_417
; %bb.416:
	v_div_scale_f64 v[1:2], null, v[135:136], v[135:136], v[133:134]
	v_div_scale_f64 v[139:140], vcc_lo, v[133:134], v[135:136], v[133:134]
	v_rcp_f64_e32 v[3:4], v[1:2]
	v_fma_f64 v[137:138], -v[1:2], v[3:4], 1.0
	v_fma_f64 v[3:4], v[3:4], v[137:138], v[3:4]
	v_fma_f64 v[137:138], -v[1:2], v[3:4], 1.0
	v_fma_f64 v[3:4], v[3:4], v[137:138], v[3:4]
	v_mul_f64 v[137:138], v[139:140], v[3:4]
	v_fma_f64 v[1:2], -v[1:2], v[137:138], v[139:140]
	v_div_fmas_f64 v[1:2], v[1:2], v[3:4], v[137:138]
	v_div_fixup_f64 v[1:2], v[1:2], v[135:136], v[133:134]
	v_fma_f64 v[3:4], v[133:134], v[1:2], v[135:136]
	v_div_scale_f64 v[133:134], null, v[3:4], v[3:4], 1.0
	v_rcp_f64_e32 v[135:136], v[133:134]
	v_fma_f64 v[137:138], -v[133:134], v[135:136], 1.0
	v_fma_f64 v[135:136], v[135:136], v[137:138], v[135:136]
	v_fma_f64 v[137:138], -v[133:134], v[135:136], 1.0
	v_fma_f64 v[135:136], v[135:136], v[137:138], v[135:136]
	v_div_scale_f64 v[137:138], vcc_lo, 1.0, v[3:4], 1.0
	v_mul_f64 v[139:140], v[137:138], v[135:136]
	v_fma_f64 v[133:134], -v[133:134], v[139:140], v[137:138]
	v_div_fmas_f64 v[133:134], v[133:134], v[135:136], v[139:140]
	v_div_fixup_f64 v[3:4], v[133:134], v[3:4], 1.0
                                        ; implicit-def: $vgpr133_vgpr134
	v_mul_f64 v[1:2], v[1:2], v[3:4]
	v_xor_b32_e32 v4, 0x80000000, v4
.LBB123_417:
	s_andn2_saveexec_b32 s5, s5
	s_cbranch_execz .LBB123_419
; %bb.418:
	v_div_scale_f64 v[1:2], null, v[133:134], v[133:134], v[135:136]
	v_div_scale_f64 v[139:140], vcc_lo, v[135:136], v[133:134], v[135:136]
	v_rcp_f64_e32 v[3:4], v[1:2]
	v_fma_f64 v[137:138], -v[1:2], v[3:4], 1.0
	v_fma_f64 v[3:4], v[3:4], v[137:138], v[3:4]
	v_fma_f64 v[137:138], -v[1:2], v[3:4], 1.0
	v_fma_f64 v[3:4], v[3:4], v[137:138], v[3:4]
	v_mul_f64 v[137:138], v[139:140], v[3:4]
	v_fma_f64 v[1:2], -v[1:2], v[137:138], v[139:140]
	v_div_fmas_f64 v[1:2], v[1:2], v[3:4], v[137:138]
	v_div_fixup_f64 v[3:4], v[1:2], v[133:134], v[135:136]
	v_fma_f64 v[1:2], v[135:136], v[3:4], v[133:134]
	v_div_scale_f64 v[133:134], null, v[1:2], v[1:2], 1.0
	v_rcp_f64_e32 v[135:136], v[133:134]
	v_fma_f64 v[137:138], -v[133:134], v[135:136], 1.0
	v_fma_f64 v[135:136], v[135:136], v[137:138], v[135:136]
	v_fma_f64 v[137:138], -v[133:134], v[135:136], 1.0
	v_fma_f64 v[135:136], v[135:136], v[137:138], v[135:136]
	v_div_scale_f64 v[137:138], vcc_lo, 1.0, v[1:2], 1.0
	v_mul_f64 v[139:140], v[137:138], v[135:136]
	v_fma_f64 v[133:134], -v[133:134], v[139:140], v[137:138]
	v_div_fmas_f64 v[133:134], v[133:134], v[135:136], v[139:140]
	v_div_fixup_f64 v[1:2], v[133:134], v[1:2], 1.0
	v_mul_f64 v[3:4], v[3:4], -v[1:2]
.LBB123_419:
	s_or_b32 exec_lo, exec_lo, s5
	ds_write2_b64 v255, v[1:2], v[3:4] offset1:1
.LBB123_420:
	s_or_b32 exec_lo, exec_lo, s6
	s_waitcnt lgkmcnt(0)
	s_barrier
	buffer_gl0_inv
	ds_read2_b64 v[133:136], v255 offset1:1
	s_mov_b32 s5, exec_lo
	v_cmpx_lt_u32_e32 33, v0
	s_cbranch_execz .LBB123_423
; %bb.421:
	s_clause 0x3
	buffer_load_dword v1, off, s[0:3], 0 offset:536
	buffer_load_dword v2, off, s[0:3], 0 offset:540
	;; [unrolled: 1-line block ×4, first 2 shown]
	s_mov_b32 s6, 0
	s_waitcnt vmcnt(2) lgkmcnt(0)
	v_mul_f64 v[137:138], v[135:136], v[1:2]
	v_mul_f64 v[1:2], v[133:134], v[1:2]
	s_waitcnt vmcnt(0)
	v_fma_f64 v[137:138], v[133:134], v[3:4], -v[137:138]
	v_fma_f64 v[139:140], v[135:136], v[3:4], v[1:2]
	buffer_store_dword v137, off, s[0:3], 0 offset:528
	buffer_store_dword v138, off, s[0:3], 0 offset:532
	;; [unrolled: 1-line block ×4, first 2 shown]
.LBB123_422:                            ; =>This Inner Loop Header: Depth=1
	v_add3_u32 v1, v181, 0, 0x220
	v_add_nc_u32_e32 v5, s6, v1
	ds_read2_b64 v[1:4], v5 offset1:1
	s_waitcnt lgkmcnt(0)
	v_mul_f64 v[141:142], v[3:4], v[139:140]
	v_fma_f64 v[141:142], v[1:2], v[137:138], -v[141:142]
	v_mul_f64 v[1:2], v[1:2], v[139:140]
	v_fma_f64 v[2:3], v[3:4], v[137:138], v[1:2]
	v_mov_b32_e32 v1, s6
	s_addk_i32 s6, 0x70
	s_clause 0xf
	buffer_load_dword v143, v1, s[0:3], 0 offen offset:544
	buffer_load_dword v144, v1, s[0:3], 0 offen offset:548
	buffer_load_dword v145, v1, s[0:3], 0 offen offset:552
	buffer_load_dword v146, v1, s[0:3], 0 offen offset:556
	buffer_load_dword v147, v1, s[0:3], 0 offen offset:560
	buffer_load_dword v148, v1, s[0:3], 0 offen offset:564
	buffer_load_dword v149, v1, s[0:3], 0 offen offset:568
	buffer_load_dword v150, v1, s[0:3], 0 offen offset:572
	buffer_load_dword v151, v1, s[0:3], 0 offen offset:576
	buffer_load_dword v152, v1, s[0:3], 0 offen offset:580
	buffer_load_dword v153, v1, s[0:3], 0 offen offset:584
	buffer_load_dword v154, v1, s[0:3], 0 offen offset:588
	buffer_load_dword v155, v1, s[0:3], 0 offen offset:592
	buffer_load_dword v156, v1, s[0:3], 0 offen offset:596
	buffer_load_dword v157, v1, s[0:3], 0 offen offset:600
	buffer_load_dword v158, v1, s[0:3], 0 offen offset:604
	s_cmpk_lg_i32 s6, 0x1c0
	s_waitcnt vmcnt(14)
	v_add_f64 v[141:142], v[143:144], -v[141:142]
	s_waitcnt vmcnt(12)
	v_add_f64 v[2:3], v[145:146], -v[2:3]
	buffer_store_dword v141, v1, s[0:3], 0 offen offset:544
	buffer_store_dword v142, v1, s[0:3], 0 offen offset:548
	buffer_store_dword v2, v1, s[0:3], 0 offen offset:552
	buffer_store_dword v3, v1, s[0:3], 0 offen offset:556
	ds_read2_b64 v[141:144], v5 offset0:2 offset1:3
	s_waitcnt lgkmcnt(0)
	v_mul_f64 v[2:3], v[143:144], v[139:140]
	v_fma_f64 v[2:3], v[141:142], v[137:138], -v[2:3]
	v_mul_f64 v[141:142], v[141:142], v[139:140]
	s_waitcnt vmcnt(10)
	v_add_f64 v[2:3], v[147:148], -v[2:3]
	v_fma_f64 v[141:142], v[143:144], v[137:138], v[141:142]
	s_waitcnt vmcnt(8)
	v_add_f64 v[141:142], v[149:150], -v[141:142]
	buffer_store_dword v2, v1, s[0:3], 0 offen offset:560
	buffer_store_dword v3, v1, s[0:3], 0 offen offset:564
	buffer_store_dword v141, v1, s[0:3], 0 offen offset:568
	buffer_store_dword v142, v1, s[0:3], 0 offen offset:572
	ds_read2_b64 v[141:144], v5 offset0:4 offset1:5
	s_waitcnt lgkmcnt(0)
	v_mul_f64 v[2:3], v[143:144], v[139:140]
	v_fma_f64 v[2:3], v[141:142], v[137:138], -v[2:3]
	v_mul_f64 v[141:142], v[141:142], v[139:140]
	s_waitcnt vmcnt(6)
	v_add_f64 v[2:3], v[151:152], -v[2:3]
	v_fma_f64 v[141:142], v[143:144], v[137:138], v[141:142]
	s_waitcnt vmcnt(4)
	v_add_f64 v[141:142], v[153:154], -v[141:142]
	buffer_store_dword v2, v1, s[0:3], 0 offen offset:576
	buffer_store_dword v3, v1, s[0:3], 0 offen offset:580
	buffer_store_dword v141, v1, s[0:3], 0 offen offset:584
	buffer_store_dword v142, v1, s[0:3], 0 offen offset:588
	ds_read2_b64 v[141:144], v5 offset0:6 offset1:7
	s_waitcnt lgkmcnt(0)
	v_mul_f64 v[2:3], v[143:144], v[139:140]
	v_fma_f64 v[2:3], v[141:142], v[137:138], -v[2:3]
	v_mul_f64 v[141:142], v[141:142], v[139:140]
	s_waitcnt vmcnt(2)
	v_add_f64 v[2:3], v[155:156], -v[2:3]
	v_fma_f64 v[141:142], v[143:144], v[137:138], v[141:142]
	s_waitcnt vmcnt(0)
	v_add_f64 v[141:142], v[157:158], -v[141:142]
	buffer_store_dword v3, v1, s[0:3], 0 offen offset:596
	buffer_store_dword v2, v1, s[0:3], 0 offen offset:592
	;; [unrolled: 1-line block ×4, first 2 shown]
	ds_read2_b64 v[141:144], v5 offset0:8 offset1:9
	s_waitcnt lgkmcnt(0)
	v_mul_f64 v[2:3], v[143:144], v[139:140]
	v_fma_f64 v[2:3], v[141:142], v[137:138], -v[2:3]
	v_mul_f64 v[141:142], v[141:142], v[139:140]
	v_fma_f64 v[141:142], v[143:144], v[137:138], v[141:142]
	s_clause 0x3
	buffer_load_dword v143, v1, s[0:3], 0 offen offset:608
	buffer_load_dword v144, v1, s[0:3], 0 offen offset:612
	;; [unrolled: 1-line block ×4, first 2 shown]
	s_waitcnt vmcnt(2)
	v_add_f64 v[2:3], v[143:144], -v[2:3]
	s_waitcnt vmcnt(0)
	v_add_f64 v[141:142], v[145:146], -v[141:142]
	buffer_store_dword v3, v1, s[0:3], 0 offen offset:612
	buffer_store_dword v2, v1, s[0:3], 0 offen offset:608
	;; [unrolled: 1-line block ×4, first 2 shown]
	ds_read2_b64 v[141:144], v5 offset0:10 offset1:11
	s_waitcnt lgkmcnt(0)
	v_mul_f64 v[2:3], v[143:144], v[139:140]
	v_mul_f64 v[139:140], v[141:142], v[139:140]
	v_fma_f64 v[2:3], v[141:142], v[137:138], -v[2:3]
	v_fma_f64 v[137:138], v[143:144], v[137:138], v[139:140]
	s_clause 0x3
	buffer_load_dword v139, v1, s[0:3], 0 offen offset:624
	buffer_load_dword v140, v1, s[0:3], 0 offen offset:628
	;; [unrolled: 1-line block ×4, first 2 shown]
	s_waitcnt vmcnt(2)
	v_add_f64 v[2:3], v[139:140], -v[2:3]
	s_waitcnt vmcnt(0)
	v_add_f64 v[137:138], v[141:142], -v[137:138]
	buffer_store_dword v3, v1, s[0:3], 0 offen offset:628
	buffer_store_dword v2, v1, s[0:3], 0 offen offset:624
	;; [unrolled: 1-line block ×4, first 2 shown]
	ds_read2_b64 v[141:144], v5 offset0:12 offset1:13
	s_clause 0x3
	buffer_load_dword v137, off, s[0:3], 0 offset:528
	buffer_load_dword v138, off, s[0:3], 0 offset:532
	;; [unrolled: 1-line block ×4, first 2 shown]
	s_waitcnt vmcnt(0) lgkmcnt(0)
	v_mul_f64 v[2:3], v[143:144], v[139:140]
	v_fma_f64 v[2:3], v[141:142], v[137:138], -v[2:3]
	v_mul_f64 v[141:142], v[141:142], v[139:140]
	v_fma_f64 v[141:142], v[143:144], v[137:138], v[141:142]
	s_clause 0x3
	buffer_load_dword v143, v1, s[0:3], 0 offen offset:640
	buffer_load_dword v144, v1, s[0:3], 0 offen offset:644
	;; [unrolled: 1-line block ×4, first 2 shown]
	s_waitcnt vmcnt(2)
	v_add_f64 v[2:3], v[143:144], -v[2:3]
	s_waitcnt vmcnt(0)
	v_add_f64 v[141:142], v[145:146], -v[141:142]
	buffer_store_dword v3, v1, s[0:3], 0 offen offset:644
	buffer_store_dword v2, v1, s[0:3], 0 offen offset:640
	;; [unrolled: 1-line block ×4, first 2 shown]
	s_cbranch_scc1 .LBB123_422
.LBB123_423:
	s_or_b32 exec_lo, exec_lo, s5
	s_mov_b32 s6, exec_lo
	s_waitcnt lgkmcnt(0)
	s_waitcnt_vscnt null, 0x0
	s_barrier
	buffer_gl0_inv
	v_cmpx_eq_u32_e32 34, v0
	s_cbranch_execz .LBB123_430
; %bb.424:
	v_mov_b32_e32 v4, s41
	s_clause 0x3
	buffer_load_dword v1, v4, s[0:3], 0 offen
	buffer_load_dword v2, v4, s[0:3], 0 offen offset:4
	buffer_load_dword v3, v4, s[0:3], 0 offen offset:8
	;; [unrolled: 1-line block ×3, first 2 shown]
	s_waitcnt vmcnt(0)
	ds_write2_b64 v255, v[1:2], v[3:4] offset1:1
	v_mov_b32_e32 v4, s40
	s_clause 0x3
	buffer_load_dword v1, v4, s[0:3], 0 offen
	buffer_load_dword v2, v4, s[0:3], 0 offen offset:4
	buffer_load_dword v3, v4, s[0:3], 0 offen offset:8
	buffer_load_dword v4, v4, s[0:3], 0 offen offset:12
	s_waitcnt vmcnt(0)
	ds_write2_b64 v245, v[1:2], v[3:4] offset0:70 offset1:71
	v_mov_b32_e32 v4, s39
	s_clause 0x3
	buffer_load_dword v1, v4, s[0:3], 0 offen
	buffer_load_dword v2, v4, s[0:3], 0 offen offset:4
	buffer_load_dword v3, v4, s[0:3], 0 offen offset:8
	buffer_load_dword v4, v4, s[0:3], 0 offen offset:12
	s_waitcnt vmcnt(0)
	ds_write2_b64 v245, v[1:2], v[3:4] offset0:72 offset1:73
	;; [unrolled: 8-line block ×27, first 2 shown]
	ds_read2_b64 v[137:140], v255 offset1:1
	s_waitcnt lgkmcnt(0)
	v_cmp_neq_f64_e32 vcc_lo, 0, v[137:138]
	v_cmp_neq_f64_e64 s5, 0, v[139:140]
	s_or_b32 s5, vcc_lo, s5
	s_and_b32 exec_lo, exec_lo, s5
	s_cbranch_execz .LBB123_430
; %bb.425:
	v_cmp_ngt_f64_e64 s5, |v[137:138]|, |v[139:140]|
                                        ; implicit-def: $vgpr1_vgpr2
	s_and_saveexec_b32 s7, s5
	s_xor_b32 s5, exec_lo, s7
                                        ; implicit-def: $vgpr3_vgpr4
	s_cbranch_execz .LBB123_427
; %bb.426:
	v_div_scale_f64 v[1:2], null, v[139:140], v[139:140], v[137:138]
	v_div_scale_f64 v[143:144], vcc_lo, v[137:138], v[139:140], v[137:138]
	v_rcp_f64_e32 v[3:4], v[1:2]
	v_fma_f64 v[141:142], -v[1:2], v[3:4], 1.0
	v_fma_f64 v[3:4], v[3:4], v[141:142], v[3:4]
	v_fma_f64 v[141:142], -v[1:2], v[3:4], 1.0
	v_fma_f64 v[3:4], v[3:4], v[141:142], v[3:4]
	v_mul_f64 v[141:142], v[143:144], v[3:4]
	v_fma_f64 v[1:2], -v[1:2], v[141:142], v[143:144]
	v_div_fmas_f64 v[1:2], v[1:2], v[3:4], v[141:142]
	v_div_fixup_f64 v[1:2], v[1:2], v[139:140], v[137:138]
	v_fma_f64 v[3:4], v[137:138], v[1:2], v[139:140]
	v_div_scale_f64 v[137:138], null, v[3:4], v[3:4], 1.0
	v_rcp_f64_e32 v[139:140], v[137:138]
	v_fma_f64 v[141:142], -v[137:138], v[139:140], 1.0
	v_fma_f64 v[139:140], v[139:140], v[141:142], v[139:140]
	v_fma_f64 v[141:142], -v[137:138], v[139:140], 1.0
	v_fma_f64 v[139:140], v[139:140], v[141:142], v[139:140]
	v_div_scale_f64 v[141:142], vcc_lo, 1.0, v[3:4], 1.0
	v_mul_f64 v[143:144], v[141:142], v[139:140]
	v_fma_f64 v[137:138], -v[137:138], v[143:144], v[141:142]
	v_div_fmas_f64 v[137:138], v[137:138], v[139:140], v[143:144]
	v_div_fixup_f64 v[3:4], v[137:138], v[3:4], 1.0
                                        ; implicit-def: $vgpr137_vgpr138
	v_mul_f64 v[1:2], v[1:2], v[3:4]
	v_xor_b32_e32 v4, 0x80000000, v4
.LBB123_427:
	s_andn2_saveexec_b32 s5, s5
	s_cbranch_execz .LBB123_429
; %bb.428:
	v_div_scale_f64 v[1:2], null, v[137:138], v[137:138], v[139:140]
	v_div_scale_f64 v[143:144], vcc_lo, v[139:140], v[137:138], v[139:140]
	v_rcp_f64_e32 v[3:4], v[1:2]
	v_fma_f64 v[141:142], -v[1:2], v[3:4], 1.0
	v_fma_f64 v[3:4], v[3:4], v[141:142], v[3:4]
	v_fma_f64 v[141:142], -v[1:2], v[3:4], 1.0
	v_fma_f64 v[3:4], v[3:4], v[141:142], v[3:4]
	v_mul_f64 v[141:142], v[143:144], v[3:4]
	v_fma_f64 v[1:2], -v[1:2], v[141:142], v[143:144]
	v_div_fmas_f64 v[1:2], v[1:2], v[3:4], v[141:142]
	v_div_fixup_f64 v[3:4], v[1:2], v[137:138], v[139:140]
	v_fma_f64 v[1:2], v[139:140], v[3:4], v[137:138]
	v_div_scale_f64 v[137:138], null, v[1:2], v[1:2], 1.0
	v_rcp_f64_e32 v[139:140], v[137:138]
	v_fma_f64 v[141:142], -v[137:138], v[139:140], 1.0
	v_fma_f64 v[139:140], v[139:140], v[141:142], v[139:140]
	v_fma_f64 v[141:142], -v[137:138], v[139:140], 1.0
	v_fma_f64 v[139:140], v[139:140], v[141:142], v[139:140]
	v_div_scale_f64 v[141:142], vcc_lo, 1.0, v[1:2], 1.0
	v_mul_f64 v[143:144], v[141:142], v[139:140]
	v_fma_f64 v[137:138], -v[137:138], v[143:144], v[141:142]
	v_div_fmas_f64 v[137:138], v[137:138], v[139:140], v[143:144]
	v_div_fixup_f64 v[1:2], v[137:138], v[1:2], 1.0
	v_mul_f64 v[3:4], v[3:4], -v[1:2]
.LBB123_429:
	s_or_b32 exec_lo, exec_lo, s5
	ds_write2_b64 v255, v[1:2], v[3:4] offset1:1
.LBB123_430:
	s_or_b32 exec_lo, exec_lo, s6
	s_waitcnt lgkmcnt(0)
	s_barrier
	buffer_gl0_inv
	ds_read2_b64 v[137:140], v255 offset1:1
	s_mov_b32 s5, exec_lo
	v_cmpx_lt_u32_e32 34, v0
	s_cbranch_execz .LBB123_433
; %bb.431:
	s_clause 0x3
	buffer_load_dword v1, off, s[0:3], 0 offset:552
	buffer_load_dword v2, off, s[0:3], 0 offset:556
	;; [unrolled: 1-line block ×4, first 2 shown]
	s_mov_b32 s6, 0
	s_waitcnt vmcnt(2) lgkmcnt(0)
	v_mul_f64 v[141:142], v[139:140], v[1:2]
	v_mul_f64 v[1:2], v[137:138], v[1:2]
	s_waitcnt vmcnt(0)
	v_fma_f64 v[141:142], v[137:138], v[3:4], -v[141:142]
	v_fma_f64 v[143:144], v[139:140], v[3:4], v[1:2]
	buffer_store_dword v141, off, s[0:3], 0 offset:544
	buffer_store_dword v142, off, s[0:3], 0 offset:548
	;; [unrolled: 1-line block ×4, first 2 shown]
.LBB123_432:                            ; =>This Inner Loop Header: Depth=1
	v_add3_u32 v1, v181, 0, 0x230
	v_mov_b32_e32 v6, s6
	v_add_nc_u32_e32 v5, s6, v1
	s_add_i32 s6, s6, 48
	s_cmpk_lg_i32 s6, 0x1b0
	ds_read2_b64 v[1:4], v5 offset1:1
	s_waitcnt lgkmcnt(0)
	v_mul_f64 v[145:146], v[3:4], v[143:144]
	v_fma_f64 v[145:146], v[1:2], v[141:142], -v[145:146]
	v_mul_f64 v[1:2], v[1:2], v[143:144]
	v_fma_f64 v[1:2], v[3:4], v[141:142], v[1:2]
	s_clause 0xb
	buffer_load_dword v3, v6, s[0:3], 0 offen offset:560
	buffer_load_dword v4, v6, s[0:3], 0 offen offset:564
	;; [unrolled: 1-line block ×12, first 2 shown]
	s_waitcnt vmcnt(10)
	v_add_f64 v[3:4], v[3:4], -v[145:146]
	s_waitcnt vmcnt(8)
	v_add_f64 v[1:2], v[147:148], -v[1:2]
	buffer_store_dword v3, v6, s[0:3], 0 offen offset:560
	buffer_store_dword v4, v6, s[0:3], 0 offen offset:564
	;; [unrolled: 1-line block ×4, first 2 shown]
	ds_read2_b64 v[1:4], v5 offset0:2 offset1:3
	s_waitcnt lgkmcnt(0)
	v_mul_f64 v[145:146], v[3:4], v[143:144]
	v_fma_f64 v[145:146], v[1:2], v[141:142], -v[145:146]
	v_mul_f64 v[1:2], v[1:2], v[143:144]
	v_fma_f64 v[1:2], v[3:4], v[141:142], v[1:2]
	s_waitcnt vmcnt(6)
	v_add_f64 v[3:4], v[149:150], -v[145:146]
	s_waitcnt vmcnt(4)
	v_add_f64 v[1:2], v[151:152], -v[1:2]
	buffer_store_dword v3, v6, s[0:3], 0 offen offset:576
	buffer_store_dword v4, v6, s[0:3], 0 offen offset:580
	;; [unrolled: 1-line block ×4, first 2 shown]
	ds_read2_b64 v[1:4], v5 offset0:4 offset1:5
	s_waitcnt lgkmcnt(0)
	v_mul_f64 v[145:146], v[3:4], v[143:144]
	v_fma_f64 v[145:146], v[1:2], v[141:142], -v[145:146]
	v_mul_f64 v[1:2], v[1:2], v[143:144]
	v_fma_f64 v[1:2], v[3:4], v[141:142], v[1:2]
	s_waitcnt vmcnt(2)
	v_add_f64 v[3:4], v[153:154], -v[145:146]
	s_waitcnt vmcnt(0)
	v_add_f64 v[1:2], v[155:156], -v[1:2]
	buffer_store_dword v3, v6, s[0:3], 0 offen offset:592
	buffer_store_dword v4, v6, s[0:3], 0 offen offset:596
	;; [unrolled: 1-line block ×4, first 2 shown]
	s_cbranch_scc1 .LBB123_432
.LBB123_433:
	s_or_b32 exec_lo, exec_lo, s5
	s_mov_b32 s6, exec_lo
	s_waitcnt lgkmcnt(0)
	s_waitcnt_vscnt null, 0x0
	s_barrier
	buffer_gl0_inv
	v_cmpx_eq_u32_e32 35, v0
	s_cbranch_execz .LBB123_440
; %bb.434:
	v_mov_b32_e32 v4, s40
	s_clause 0x3
	buffer_load_dword v1, v4, s[0:3], 0 offen
	buffer_load_dword v2, v4, s[0:3], 0 offen offset:4
	buffer_load_dword v3, v4, s[0:3], 0 offen offset:8
	;; [unrolled: 1-line block ×3, first 2 shown]
	s_waitcnt vmcnt(0)
	ds_write2_b64 v255, v[1:2], v[3:4] offset1:1
	v_mov_b32_e32 v4, s39
	s_clause 0x3
	buffer_load_dword v1, v4, s[0:3], 0 offen
	buffer_load_dword v2, v4, s[0:3], 0 offen offset:4
	buffer_load_dword v3, v4, s[0:3], 0 offen offset:8
	buffer_load_dword v4, v4, s[0:3], 0 offen offset:12
	s_waitcnt vmcnt(0)
	ds_write2_b64 v245, v[1:2], v[3:4] offset0:72 offset1:73
	v_mov_b32_e32 v4, s38
	s_clause 0x3
	buffer_load_dword v1, v4, s[0:3], 0 offen
	buffer_load_dword v2, v4, s[0:3], 0 offen offset:4
	buffer_load_dword v3, v4, s[0:3], 0 offen offset:8
	buffer_load_dword v4, v4, s[0:3], 0 offen offset:12
	s_waitcnt vmcnt(0)
	ds_write2_b64 v245, v[1:2], v[3:4] offset0:74 offset1:75
	;; [unrolled: 8-line block ×26, first 2 shown]
	ds_read2_b64 v[141:144], v255 offset1:1
	s_waitcnt lgkmcnt(0)
	v_cmp_neq_f64_e32 vcc_lo, 0, v[141:142]
	v_cmp_neq_f64_e64 s5, 0, v[143:144]
	s_or_b32 s5, vcc_lo, s5
	s_and_b32 exec_lo, exec_lo, s5
	s_cbranch_execz .LBB123_440
; %bb.435:
	v_cmp_ngt_f64_e64 s5, |v[141:142]|, |v[143:144]|
                                        ; implicit-def: $vgpr1_vgpr2
	s_and_saveexec_b32 s7, s5
	s_xor_b32 s5, exec_lo, s7
                                        ; implicit-def: $vgpr3_vgpr4
	s_cbranch_execz .LBB123_437
; %bb.436:
	v_div_scale_f64 v[1:2], null, v[143:144], v[143:144], v[141:142]
	v_div_scale_f64 v[147:148], vcc_lo, v[141:142], v[143:144], v[141:142]
	v_rcp_f64_e32 v[3:4], v[1:2]
	v_fma_f64 v[145:146], -v[1:2], v[3:4], 1.0
	v_fma_f64 v[3:4], v[3:4], v[145:146], v[3:4]
	v_fma_f64 v[145:146], -v[1:2], v[3:4], 1.0
	v_fma_f64 v[3:4], v[3:4], v[145:146], v[3:4]
	v_mul_f64 v[145:146], v[147:148], v[3:4]
	v_fma_f64 v[1:2], -v[1:2], v[145:146], v[147:148]
	v_div_fmas_f64 v[1:2], v[1:2], v[3:4], v[145:146]
	v_div_fixup_f64 v[1:2], v[1:2], v[143:144], v[141:142]
	v_fma_f64 v[3:4], v[141:142], v[1:2], v[143:144]
	v_div_scale_f64 v[141:142], null, v[3:4], v[3:4], 1.0
	v_rcp_f64_e32 v[143:144], v[141:142]
	v_fma_f64 v[145:146], -v[141:142], v[143:144], 1.0
	v_fma_f64 v[143:144], v[143:144], v[145:146], v[143:144]
	v_fma_f64 v[145:146], -v[141:142], v[143:144], 1.0
	v_fma_f64 v[143:144], v[143:144], v[145:146], v[143:144]
	v_div_scale_f64 v[145:146], vcc_lo, 1.0, v[3:4], 1.0
	v_mul_f64 v[147:148], v[145:146], v[143:144]
	v_fma_f64 v[141:142], -v[141:142], v[147:148], v[145:146]
	v_div_fmas_f64 v[141:142], v[141:142], v[143:144], v[147:148]
	v_div_fixup_f64 v[3:4], v[141:142], v[3:4], 1.0
                                        ; implicit-def: $vgpr141_vgpr142
	v_mul_f64 v[1:2], v[1:2], v[3:4]
	v_xor_b32_e32 v4, 0x80000000, v4
.LBB123_437:
	s_andn2_saveexec_b32 s5, s5
	s_cbranch_execz .LBB123_439
; %bb.438:
	v_div_scale_f64 v[1:2], null, v[141:142], v[141:142], v[143:144]
	v_div_scale_f64 v[147:148], vcc_lo, v[143:144], v[141:142], v[143:144]
	v_rcp_f64_e32 v[3:4], v[1:2]
	v_fma_f64 v[145:146], -v[1:2], v[3:4], 1.0
	v_fma_f64 v[3:4], v[3:4], v[145:146], v[3:4]
	v_fma_f64 v[145:146], -v[1:2], v[3:4], 1.0
	v_fma_f64 v[3:4], v[3:4], v[145:146], v[3:4]
	v_mul_f64 v[145:146], v[147:148], v[3:4]
	v_fma_f64 v[1:2], -v[1:2], v[145:146], v[147:148]
	v_div_fmas_f64 v[1:2], v[1:2], v[3:4], v[145:146]
	v_div_fixup_f64 v[3:4], v[1:2], v[141:142], v[143:144]
	v_fma_f64 v[1:2], v[143:144], v[3:4], v[141:142]
	v_div_scale_f64 v[141:142], null, v[1:2], v[1:2], 1.0
	v_rcp_f64_e32 v[143:144], v[141:142]
	v_fma_f64 v[145:146], -v[141:142], v[143:144], 1.0
	v_fma_f64 v[143:144], v[143:144], v[145:146], v[143:144]
	v_fma_f64 v[145:146], -v[141:142], v[143:144], 1.0
	v_fma_f64 v[143:144], v[143:144], v[145:146], v[143:144]
	v_div_scale_f64 v[145:146], vcc_lo, 1.0, v[1:2], 1.0
	v_mul_f64 v[147:148], v[145:146], v[143:144]
	v_fma_f64 v[141:142], -v[141:142], v[147:148], v[145:146]
	v_div_fmas_f64 v[141:142], v[141:142], v[143:144], v[147:148]
	v_div_fixup_f64 v[1:2], v[141:142], v[1:2], 1.0
	v_mul_f64 v[3:4], v[3:4], -v[1:2]
.LBB123_439:
	s_or_b32 exec_lo, exec_lo, s5
	ds_write2_b64 v255, v[1:2], v[3:4] offset1:1
.LBB123_440:
	s_or_b32 exec_lo, exec_lo, s6
	s_waitcnt lgkmcnt(0)
	s_barrier
	buffer_gl0_inv
	ds_read2_b64 v[141:144], v255 offset1:1
	s_mov_b32 s5, exec_lo
	v_cmpx_lt_u32_e32 35, v0
	s_cbranch_execz .LBB123_443
; %bb.441:
	s_clause 0x3
	buffer_load_dword v1, off, s[0:3], 0 offset:568
	buffer_load_dword v2, off, s[0:3], 0 offset:572
	;; [unrolled: 1-line block ×4, first 2 shown]
	s_mov_b32 s6, 0
	s_waitcnt vmcnt(2) lgkmcnt(0)
	v_mul_f64 v[145:146], v[143:144], v[1:2]
	v_mul_f64 v[1:2], v[141:142], v[1:2]
	s_waitcnt vmcnt(0)
	v_fma_f64 v[145:146], v[141:142], v[3:4], -v[145:146]
	v_fma_f64 v[147:148], v[143:144], v[3:4], v[1:2]
	buffer_store_dword v145, off, s[0:3], 0 offset:560
	buffer_store_dword v146, off, s[0:3], 0 offset:564
	;; [unrolled: 1-line block ×4, first 2 shown]
.LBB123_442:                            ; =>This Inner Loop Header: Depth=1
	v_add3_u32 v1, v181, 0, 0x240
	v_mov_b32_e32 v6, s6
	v_add_nc_u32_e32 v5, s6, v1
	s_add_i32 s6, s6, 32
	s_cmpk_lg_i32 s6, 0x1a0
	ds_read2_b64 v[1:4], v5 offset1:1
	s_waitcnt lgkmcnt(0)
	v_mul_f64 v[149:150], v[3:4], v[147:148]
	v_fma_f64 v[149:150], v[1:2], v[145:146], -v[149:150]
	v_mul_f64 v[1:2], v[1:2], v[147:148]
	v_fma_f64 v[1:2], v[3:4], v[145:146], v[1:2]
	s_clause 0x7
	buffer_load_dword v3, v6, s[0:3], 0 offen offset:576
	buffer_load_dword v4, v6, s[0:3], 0 offen offset:580
	;; [unrolled: 1-line block ×8, first 2 shown]
	s_waitcnt vmcnt(6)
	v_add_f64 v[3:4], v[3:4], -v[149:150]
	s_waitcnt vmcnt(4)
	v_add_f64 v[1:2], v[151:152], -v[1:2]
	buffer_store_dword v3, v6, s[0:3], 0 offen offset:576
	buffer_store_dword v4, v6, s[0:3], 0 offen offset:580
	buffer_store_dword v1, v6, s[0:3], 0 offen offset:584
	buffer_store_dword v2, v6, s[0:3], 0 offen offset:588
	ds_read2_b64 v[1:4], v5 offset0:2 offset1:3
	s_waitcnt lgkmcnt(0)
	v_mul_f64 v[149:150], v[3:4], v[147:148]
	v_fma_f64 v[149:150], v[1:2], v[145:146], -v[149:150]
	v_mul_f64 v[1:2], v[1:2], v[147:148]
	v_fma_f64 v[1:2], v[3:4], v[145:146], v[1:2]
	s_waitcnt vmcnt(2)
	v_add_f64 v[3:4], v[153:154], -v[149:150]
	s_waitcnt vmcnt(0)
	v_add_f64 v[1:2], v[155:156], -v[1:2]
	buffer_store_dword v3, v6, s[0:3], 0 offen offset:592
	buffer_store_dword v4, v6, s[0:3], 0 offen offset:596
	;; [unrolled: 1-line block ×4, first 2 shown]
	s_cbranch_scc1 .LBB123_442
.LBB123_443:
	s_or_b32 exec_lo, exec_lo, s5
	s_mov_b32 s6, exec_lo
	s_waitcnt lgkmcnt(0)
	s_waitcnt_vscnt null, 0x0
	s_barrier
	buffer_gl0_inv
	v_cmpx_eq_u32_e32 36, v0
	s_cbranch_execz .LBB123_450
; %bb.444:
	v_mov_b32_e32 v4, s39
	s_clause 0x3
	buffer_load_dword v1, v4, s[0:3], 0 offen
	buffer_load_dword v2, v4, s[0:3], 0 offen offset:4
	buffer_load_dword v3, v4, s[0:3], 0 offen offset:8
	;; [unrolled: 1-line block ×3, first 2 shown]
	s_waitcnt vmcnt(0)
	ds_write2_b64 v255, v[1:2], v[3:4] offset1:1
	v_mov_b32_e32 v4, s38
	s_clause 0x3
	buffer_load_dword v1, v4, s[0:3], 0 offen
	buffer_load_dword v2, v4, s[0:3], 0 offen offset:4
	buffer_load_dword v3, v4, s[0:3], 0 offen offset:8
	buffer_load_dword v4, v4, s[0:3], 0 offen offset:12
	s_waitcnt vmcnt(0)
	ds_write2_b64 v245, v[1:2], v[3:4] offset0:74 offset1:75
	v_mov_b32_e32 v4, s37
	s_clause 0x3
	buffer_load_dword v1, v4, s[0:3], 0 offen
	buffer_load_dword v2, v4, s[0:3], 0 offen offset:4
	buffer_load_dword v3, v4, s[0:3], 0 offen offset:8
	buffer_load_dword v4, v4, s[0:3], 0 offen offset:12
	s_waitcnt vmcnt(0)
	ds_write2_b64 v245, v[1:2], v[3:4] offset0:76 offset1:77
	;; [unrolled: 8-line block ×25, first 2 shown]
	ds_read2_b64 v[145:148], v255 offset1:1
	s_waitcnt lgkmcnt(0)
	v_cmp_neq_f64_e32 vcc_lo, 0, v[145:146]
	v_cmp_neq_f64_e64 s5, 0, v[147:148]
	s_or_b32 s5, vcc_lo, s5
	s_and_b32 exec_lo, exec_lo, s5
	s_cbranch_execz .LBB123_450
; %bb.445:
	v_cmp_ngt_f64_e64 s5, |v[145:146]|, |v[147:148]|
                                        ; implicit-def: $vgpr1_vgpr2
	s_and_saveexec_b32 s7, s5
	s_xor_b32 s5, exec_lo, s7
                                        ; implicit-def: $vgpr3_vgpr4
	s_cbranch_execz .LBB123_447
; %bb.446:
	v_div_scale_f64 v[1:2], null, v[147:148], v[147:148], v[145:146]
	v_div_scale_f64 v[151:152], vcc_lo, v[145:146], v[147:148], v[145:146]
	v_rcp_f64_e32 v[3:4], v[1:2]
	v_fma_f64 v[149:150], -v[1:2], v[3:4], 1.0
	v_fma_f64 v[3:4], v[3:4], v[149:150], v[3:4]
	v_fma_f64 v[149:150], -v[1:2], v[3:4], 1.0
	v_fma_f64 v[3:4], v[3:4], v[149:150], v[3:4]
	v_mul_f64 v[149:150], v[151:152], v[3:4]
	v_fma_f64 v[1:2], -v[1:2], v[149:150], v[151:152]
	v_div_fmas_f64 v[1:2], v[1:2], v[3:4], v[149:150]
	v_div_fixup_f64 v[1:2], v[1:2], v[147:148], v[145:146]
	v_fma_f64 v[3:4], v[145:146], v[1:2], v[147:148]
	v_div_scale_f64 v[145:146], null, v[3:4], v[3:4], 1.0
	v_rcp_f64_e32 v[147:148], v[145:146]
	v_fma_f64 v[149:150], -v[145:146], v[147:148], 1.0
	v_fma_f64 v[147:148], v[147:148], v[149:150], v[147:148]
	v_fma_f64 v[149:150], -v[145:146], v[147:148], 1.0
	v_fma_f64 v[147:148], v[147:148], v[149:150], v[147:148]
	v_div_scale_f64 v[149:150], vcc_lo, 1.0, v[3:4], 1.0
	v_mul_f64 v[151:152], v[149:150], v[147:148]
	v_fma_f64 v[145:146], -v[145:146], v[151:152], v[149:150]
	v_div_fmas_f64 v[145:146], v[145:146], v[147:148], v[151:152]
	v_div_fixup_f64 v[3:4], v[145:146], v[3:4], 1.0
                                        ; implicit-def: $vgpr145_vgpr146
	v_mul_f64 v[1:2], v[1:2], v[3:4]
	v_xor_b32_e32 v4, 0x80000000, v4
.LBB123_447:
	s_andn2_saveexec_b32 s5, s5
	s_cbranch_execz .LBB123_449
; %bb.448:
	v_div_scale_f64 v[1:2], null, v[145:146], v[145:146], v[147:148]
	v_div_scale_f64 v[151:152], vcc_lo, v[147:148], v[145:146], v[147:148]
	v_rcp_f64_e32 v[3:4], v[1:2]
	v_fma_f64 v[149:150], -v[1:2], v[3:4], 1.0
	v_fma_f64 v[3:4], v[3:4], v[149:150], v[3:4]
	v_fma_f64 v[149:150], -v[1:2], v[3:4], 1.0
	v_fma_f64 v[3:4], v[3:4], v[149:150], v[3:4]
	v_mul_f64 v[149:150], v[151:152], v[3:4]
	v_fma_f64 v[1:2], -v[1:2], v[149:150], v[151:152]
	v_div_fmas_f64 v[1:2], v[1:2], v[3:4], v[149:150]
	v_div_fixup_f64 v[3:4], v[1:2], v[145:146], v[147:148]
	v_fma_f64 v[1:2], v[147:148], v[3:4], v[145:146]
	v_div_scale_f64 v[145:146], null, v[1:2], v[1:2], 1.0
	v_rcp_f64_e32 v[147:148], v[145:146]
	v_fma_f64 v[149:150], -v[145:146], v[147:148], 1.0
	v_fma_f64 v[147:148], v[147:148], v[149:150], v[147:148]
	v_fma_f64 v[149:150], -v[145:146], v[147:148], 1.0
	v_fma_f64 v[147:148], v[147:148], v[149:150], v[147:148]
	v_div_scale_f64 v[149:150], vcc_lo, 1.0, v[1:2], 1.0
	v_mul_f64 v[151:152], v[149:150], v[147:148]
	v_fma_f64 v[145:146], -v[145:146], v[151:152], v[149:150]
	v_div_fmas_f64 v[145:146], v[145:146], v[147:148], v[151:152]
	v_div_fixup_f64 v[1:2], v[145:146], v[1:2], 1.0
	v_mul_f64 v[3:4], v[3:4], -v[1:2]
.LBB123_449:
	s_or_b32 exec_lo, exec_lo, s5
	ds_write2_b64 v255, v[1:2], v[3:4] offset1:1
.LBB123_450:
	s_or_b32 exec_lo, exec_lo, s6
	s_waitcnt lgkmcnt(0)
	s_barrier
	buffer_gl0_inv
	ds_read2_b64 v[145:148], v255 offset1:1
	s_mov_b32 s5, exec_lo
	v_cmpx_lt_u32_e32 36, v0
	s_cbranch_execz .LBB123_453
; %bb.451:
	s_clause 0x3
	buffer_load_dword v1, off, s[0:3], 0 offset:584
	buffer_load_dword v2, off, s[0:3], 0 offset:588
	;; [unrolled: 1-line block ×4, first 2 shown]
	s_mov_b32 s6, 0
	s_waitcnt vmcnt(2) lgkmcnt(0)
	v_mul_f64 v[149:150], v[147:148], v[1:2]
	v_mul_f64 v[1:2], v[145:146], v[1:2]
	s_waitcnt vmcnt(0)
	v_fma_f64 v[149:150], v[145:146], v[3:4], -v[149:150]
	v_fma_f64 v[151:152], v[147:148], v[3:4], v[1:2]
	buffer_store_dword v149, off, s[0:3], 0 offset:576
	buffer_store_dword v150, off, s[0:3], 0 offset:580
	;; [unrolled: 1-line block ×4, first 2 shown]
.LBB123_452:                            ; =>This Inner Loop Header: Depth=1
	v_add3_u32 v1, v181, 0, 0x250
	v_mov_b32_e32 v6, s6
	v_add_nc_u32_e32 v5, s6, v1
	s_addk_i32 s6, 0x50
	s_cmpk_lg_i32 s6, 0x190
	ds_read2_b64 v[1:4], v5 offset1:1
	s_waitcnt lgkmcnt(0)
	v_mul_f64 v[153:154], v[3:4], v[151:152]
	v_fma_f64 v[153:154], v[1:2], v[149:150], -v[153:154]
	v_mul_f64 v[1:2], v[1:2], v[151:152]
	v_fma_f64 v[1:2], v[3:4], v[149:150], v[1:2]
	s_clause 0xf
	buffer_load_dword v3, v6, s[0:3], 0 offen offset:592
	buffer_load_dword v4, v6, s[0:3], 0 offen offset:596
	buffer_load_dword v155, v6, s[0:3], 0 offen offset:600
	buffer_load_dword v156, v6, s[0:3], 0 offen offset:604
	buffer_load_dword v157, v6, s[0:3], 0 offen offset:608
	buffer_load_dword v158, v6, s[0:3], 0 offen offset:612
	buffer_load_dword v159, v6, s[0:3], 0 offen offset:616
	buffer_load_dword v160, v6, s[0:3], 0 offen offset:620
	buffer_load_dword v161, v6, s[0:3], 0 offen offset:624
	buffer_load_dword v162, v6, s[0:3], 0 offen offset:628
	buffer_load_dword v163, v6, s[0:3], 0 offen offset:632
	buffer_load_dword v164, v6, s[0:3], 0 offen offset:636
	buffer_load_dword v165, v6, s[0:3], 0 offen offset:640
	buffer_load_dword v166, v6, s[0:3], 0 offen offset:644
	buffer_load_dword v167, v6, s[0:3], 0 offen offset:648
	buffer_load_dword v168, v6, s[0:3], 0 offen offset:652
	s_waitcnt vmcnt(14)
	v_add_f64 v[3:4], v[3:4], -v[153:154]
	s_waitcnt vmcnt(12)
	v_add_f64 v[1:2], v[155:156], -v[1:2]
	buffer_store_dword v3, v6, s[0:3], 0 offen offset:592
	buffer_store_dword v4, v6, s[0:3], 0 offen offset:596
	buffer_store_dword v1, v6, s[0:3], 0 offen offset:600
	buffer_store_dword v2, v6, s[0:3], 0 offen offset:604
	ds_read2_b64 v[1:4], v5 offset0:2 offset1:3
	s_waitcnt lgkmcnt(0)
	v_mul_f64 v[153:154], v[3:4], v[151:152]
	v_fma_f64 v[153:154], v[1:2], v[149:150], -v[153:154]
	v_mul_f64 v[1:2], v[1:2], v[151:152]
	v_fma_f64 v[1:2], v[3:4], v[149:150], v[1:2]
	s_waitcnt vmcnt(10)
	v_add_f64 v[3:4], v[157:158], -v[153:154]
	s_waitcnt vmcnt(8)
	v_add_f64 v[1:2], v[159:160], -v[1:2]
	buffer_store_dword v3, v6, s[0:3], 0 offen offset:608
	buffer_store_dword v4, v6, s[0:3], 0 offen offset:612
	buffer_store_dword v1, v6, s[0:3], 0 offen offset:616
	buffer_store_dword v2, v6, s[0:3], 0 offen offset:620
	ds_read2_b64 v[1:4], v5 offset0:4 offset1:5
	s_waitcnt lgkmcnt(0)
	v_mul_f64 v[153:154], v[3:4], v[151:152]
	v_fma_f64 v[153:154], v[1:2], v[149:150], -v[153:154]
	v_mul_f64 v[1:2], v[1:2], v[151:152]
	v_fma_f64 v[1:2], v[3:4], v[149:150], v[1:2]
	s_waitcnt vmcnt(6)
	v_add_f64 v[3:4], v[161:162], -v[153:154]
	s_waitcnt vmcnt(4)
	v_add_f64 v[1:2], v[163:164], -v[1:2]
	buffer_store_dword v3, v6, s[0:3], 0 offen offset:624
	buffer_store_dword v4, v6, s[0:3], 0 offen offset:628
	buffer_store_dword v1, v6, s[0:3], 0 offen offset:632
	buffer_store_dword v2, v6, s[0:3], 0 offen offset:636
	ds_read2_b64 v[1:4], v5 offset0:6 offset1:7
	s_waitcnt lgkmcnt(0)
	v_mul_f64 v[153:154], v[3:4], v[151:152]
	v_fma_f64 v[153:154], v[1:2], v[149:150], -v[153:154]
	v_mul_f64 v[1:2], v[1:2], v[151:152]
	v_fma_f64 v[1:2], v[3:4], v[149:150], v[1:2]
	s_waitcnt vmcnt(2)
	v_add_f64 v[3:4], v[165:166], -v[153:154]
	s_waitcnt vmcnt(0)
	v_add_f64 v[1:2], v[167:168], -v[1:2]
	buffer_store_dword v4, v6, s[0:3], 0 offen offset:644
	buffer_store_dword v3, v6, s[0:3], 0 offen offset:640
	buffer_store_dword v1, v6, s[0:3], 0 offen offset:648
	buffer_store_dword v2, v6, s[0:3], 0 offen offset:652
	ds_read2_b64 v[1:4], v5 offset0:8 offset1:9
	s_waitcnt lgkmcnt(0)
	v_mul_f64 v[153:154], v[3:4], v[151:152]
	v_fma_f64 v[153:154], v[1:2], v[149:150], -v[153:154]
	v_mul_f64 v[1:2], v[1:2], v[151:152]
	v_fma_f64 v[1:2], v[3:4], v[149:150], v[1:2]
	s_clause 0x3
	buffer_load_dword v3, v6, s[0:3], 0 offen offset:656
	buffer_load_dword v4, v6, s[0:3], 0 offen offset:660
	;; [unrolled: 1-line block ×4, first 2 shown]
	s_waitcnt vmcnt(2)
	v_add_f64 v[3:4], v[3:4], -v[153:154]
	s_waitcnt vmcnt(0)
	v_add_f64 v[1:2], v[155:156], -v[1:2]
	buffer_store_dword v4, v6, s[0:3], 0 offen offset:660
	buffer_store_dword v3, v6, s[0:3], 0 offen offset:656
	;; [unrolled: 1-line block ×4, first 2 shown]
	s_cbranch_scc1 .LBB123_452
.LBB123_453:
	s_or_b32 exec_lo, exec_lo, s5
	s_mov_b32 s6, exec_lo
	s_waitcnt lgkmcnt(0)
	s_waitcnt_vscnt null, 0x0
	s_barrier
	buffer_gl0_inv
	v_cmpx_eq_u32_e32 37, v0
	s_cbranch_execz .LBB123_460
; %bb.454:
	v_mov_b32_e32 v4, s38
	s_clause 0x3
	buffer_load_dword v1, v4, s[0:3], 0 offen
	buffer_load_dword v2, v4, s[0:3], 0 offen offset:4
	buffer_load_dword v3, v4, s[0:3], 0 offen offset:8
	;; [unrolled: 1-line block ×3, first 2 shown]
	s_waitcnt vmcnt(0)
	ds_write2_b64 v255, v[1:2], v[3:4] offset1:1
	v_mov_b32_e32 v4, s37
	s_clause 0x3
	buffer_load_dword v1, v4, s[0:3], 0 offen
	buffer_load_dword v2, v4, s[0:3], 0 offen offset:4
	buffer_load_dword v3, v4, s[0:3], 0 offen offset:8
	buffer_load_dword v4, v4, s[0:3], 0 offen offset:12
	s_waitcnt vmcnt(0)
	ds_write2_b64 v245, v[1:2], v[3:4] offset0:76 offset1:77
	v_mov_b32_e32 v4, s36
	s_clause 0x3
	buffer_load_dword v1, v4, s[0:3], 0 offen
	buffer_load_dword v2, v4, s[0:3], 0 offen offset:4
	buffer_load_dword v3, v4, s[0:3], 0 offen offset:8
	buffer_load_dword v4, v4, s[0:3], 0 offen offset:12
	s_waitcnt vmcnt(0)
	ds_write2_b64 v245, v[1:2], v[3:4] offset0:78 offset1:79
	;; [unrolled: 8-line block ×24, first 2 shown]
	ds_read2_b64 v[149:152], v255 offset1:1
	s_waitcnt lgkmcnt(0)
	v_cmp_neq_f64_e32 vcc_lo, 0, v[149:150]
	v_cmp_neq_f64_e64 s5, 0, v[151:152]
	s_or_b32 s5, vcc_lo, s5
	s_and_b32 exec_lo, exec_lo, s5
	s_cbranch_execz .LBB123_460
; %bb.455:
	v_cmp_ngt_f64_e64 s5, |v[149:150]|, |v[151:152]|
                                        ; implicit-def: $vgpr1_vgpr2
	s_and_saveexec_b32 s7, s5
	s_xor_b32 s5, exec_lo, s7
                                        ; implicit-def: $vgpr3_vgpr4
	s_cbranch_execz .LBB123_457
; %bb.456:
	v_div_scale_f64 v[1:2], null, v[151:152], v[151:152], v[149:150]
	v_div_scale_f64 v[155:156], vcc_lo, v[149:150], v[151:152], v[149:150]
	v_rcp_f64_e32 v[3:4], v[1:2]
	v_fma_f64 v[153:154], -v[1:2], v[3:4], 1.0
	v_fma_f64 v[3:4], v[3:4], v[153:154], v[3:4]
	v_fma_f64 v[153:154], -v[1:2], v[3:4], 1.0
	v_fma_f64 v[3:4], v[3:4], v[153:154], v[3:4]
	v_mul_f64 v[153:154], v[155:156], v[3:4]
	v_fma_f64 v[1:2], -v[1:2], v[153:154], v[155:156]
	v_div_fmas_f64 v[1:2], v[1:2], v[3:4], v[153:154]
	v_div_fixup_f64 v[1:2], v[1:2], v[151:152], v[149:150]
	v_fma_f64 v[3:4], v[149:150], v[1:2], v[151:152]
	v_div_scale_f64 v[149:150], null, v[3:4], v[3:4], 1.0
	v_rcp_f64_e32 v[151:152], v[149:150]
	v_fma_f64 v[153:154], -v[149:150], v[151:152], 1.0
	v_fma_f64 v[151:152], v[151:152], v[153:154], v[151:152]
	v_fma_f64 v[153:154], -v[149:150], v[151:152], 1.0
	v_fma_f64 v[151:152], v[151:152], v[153:154], v[151:152]
	v_div_scale_f64 v[153:154], vcc_lo, 1.0, v[3:4], 1.0
	v_mul_f64 v[155:156], v[153:154], v[151:152]
	v_fma_f64 v[149:150], -v[149:150], v[155:156], v[153:154]
	v_div_fmas_f64 v[149:150], v[149:150], v[151:152], v[155:156]
	v_div_fixup_f64 v[3:4], v[149:150], v[3:4], 1.0
                                        ; implicit-def: $vgpr149_vgpr150
	v_mul_f64 v[1:2], v[1:2], v[3:4]
	v_xor_b32_e32 v4, 0x80000000, v4
.LBB123_457:
	s_andn2_saveexec_b32 s5, s5
	s_cbranch_execz .LBB123_459
; %bb.458:
	v_div_scale_f64 v[1:2], null, v[149:150], v[149:150], v[151:152]
	v_div_scale_f64 v[155:156], vcc_lo, v[151:152], v[149:150], v[151:152]
	v_rcp_f64_e32 v[3:4], v[1:2]
	v_fma_f64 v[153:154], -v[1:2], v[3:4], 1.0
	v_fma_f64 v[3:4], v[3:4], v[153:154], v[3:4]
	v_fma_f64 v[153:154], -v[1:2], v[3:4], 1.0
	v_fma_f64 v[3:4], v[3:4], v[153:154], v[3:4]
	v_mul_f64 v[153:154], v[155:156], v[3:4]
	v_fma_f64 v[1:2], -v[1:2], v[153:154], v[155:156]
	v_div_fmas_f64 v[1:2], v[1:2], v[3:4], v[153:154]
	v_div_fixup_f64 v[3:4], v[1:2], v[149:150], v[151:152]
	v_fma_f64 v[1:2], v[151:152], v[3:4], v[149:150]
	v_div_scale_f64 v[149:150], null, v[1:2], v[1:2], 1.0
	v_rcp_f64_e32 v[151:152], v[149:150]
	v_fma_f64 v[153:154], -v[149:150], v[151:152], 1.0
	v_fma_f64 v[151:152], v[151:152], v[153:154], v[151:152]
	v_fma_f64 v[153:154], -v[149:150], v[151:152], 1.0
	v_fma_f64 v[151:152], v[151:152], v[153:154], v[151:152]
	v_div_scale_f64 v[153:154], vcc_lo, 1.0, v[1:2], 1.0
	v_mul_f64 v[155:156], v[153:154], v[151:152]
	v_fma_f64 v[149:150], -v[149:150], v[155:156], v[153:154]
	v_div_fmas_f64 v[149:150], v[149:150], v[151:152], v[155:156]
	v_div_fixup_f64 v[1:2], v[149:150], v[1:2], 1.0
	v_mul_f64 v[3:4], v[3:4], -v[1:2]
.LBB123_459:
	s_or_b32 exec_lo, exec_lo, s5
	ds_write2_b64 v255, v[1:2], v[3:4] offset1:1
.LBB123_460:
	s_or_b32 exec_lo, exec_lo, s6
	s_waitcnt lgkmcnt(0)
	s_barrier
	buffer_gl0_inv
	ds_read2_b64 v[149:152], v255 offset1:1
	s_mov_b32 s5, exec_lo
	v_cmpx_lt_u32_e32 37, v0
	s_cbranch_execz .LBB123_463
; %bb.461:
	s_clause 0x3
	buffer_load_dword v1, off, s[0:3], 0 offset:600
	buffer_load_dword v2, off, s[0:3], 0 offset:604
	;; [unrolled: 1-line block ×4, first 2 shown]
	s_mov_b32 s6, 0
	s_waitcnt vmcnt(2) lgkmcnt(0)
	v_mul_f64 v[153:154], v[151:152], v[1:2]
	v_mul_f64 v[1:2], v[149:150], v[1:2]
	s_waitcnt vmcnt(0)
	v_fma_f64 v[153:154], v[149:150], v[3:4], -v[153:154]
	v_fma_f64 v[155:156], v[151:152], v[3:4], v[1:2]
	buffer_store_dword v153, off, s[0:3], 0 offset:592
	buffer_store_dword v154, off, s[0:3], 0 offset:596
	;; [unrolled: 1-line block ×4, first 2 shown]
.LBB123_462:                            ; =>This Inner Loop Header: Depth=1
	v_add3_u32 v1, v181, 0, 0x260
	v_mov_b32_e32 v6, s6
	v_add_nc_u32_e32 v5, s6, v1
	s_addk_i32 s6, 0x60
	s_cmpk_lg_i32 s6, 0x180
	ds_read2_b64 v[1:4], v5 offset1:1
	s_waitcnt lgkmcnt(0)
	v_mul_f64 v[157:158], v[3:4], v[155:156]
	v_fma_f64 v[157:158], v[1:2], v[153:154], -v[157:158]
	v_mul_f64 v[1:2], v[1:2], v[155:156]
	v_fma_f64 v[1:2], v[3:4], v[153:154], v[1:2]
	s_clause 0xf
	buffer_load_dword v3, v6, s[0:3], 0 offen offset:608
	buffer_load_dword v4, v6, s[0:3], 0 offen offset:612
	;; [unrolled: 1-line block ×16, first 2 shown]
	s_waitcnt vmcnt(14)
	v_add_f64 v[3:4], v[3:4], -v[157:158]
	s_waitcnt vmcnt(12)
	v_add_f64 v[1:2], v[159:160], -v[1:2]
	buffer_store_dword v3, v6, s[0:3], 0 offen offset:608
	buffer_store_dword v4, v6, s[0:3], 0 offen offset:612
	buffer_store_dword v1, v6, s[0:3], 0 offen offset:616
	buffer_store_dword v2, v6, s[0:3], 0 offen offset:620
	ds_read2_b64 v[1:4], v5 offset0:2 offset1:3
	s_waitcnt lgkmcnt(0)
	v_mul_f64 v[157:158], v[3:4], v[155:156]
	v_fma_f64 v[157:158], v[1:2], v[153:154], -v[157:158]
	v_mul_f64 v[1:2], v[1:2], v[155:156]
	v_fma_f64 v[1:2], v[3:4], v[153:154], v[1:2]
	s_waitcnt vmcnt(10)
	v_add_f64 v[3:4], v[161:162], -v[157:158]
	s_waitcnt vmcnt(8)
	v_add_f64 v[1:2], v[163:164], -v[1:2]
	buffer_store_dword v3, v6, s[0:3], 0 offen offset:624
	buffer_store_dword v4, v6, s[0:3], 0 offen offset:628
	buffer_store_dword v1, v6, s[0:3], 0 offen offset:632
	buffer_store_dword v2, v6, s[0:3], 0 offen offset:636
	ds_read2_b64 v[1:4], v5 offset0:4 offset1:5
	s_waitcnt lgkmcnt(0)
	v_mul_f64 v[157:158], v[3:4], v[155:156]
	v_fma_f64 v[157:158], v[1:2], v[153:154], -v[157:158]
	v_mul_f64 v[1:2], v[1:2], v[155:156]
	v_fma_f64 v[1:2], v[3:4], v[153:154], v[1:2]
	;; [unrolled: 14-line block ×4, first 2 shown]
	s_clause 0x3
	buffer_load_dword v3, v6, s[0:3], 0 offen offset:672
	buffer_load_dword v4, v6, s[0:3], 0 offen offset:676
	;; [unrolled: 1-line block ×4, first 2 shown]
	s_waitcnt vmcnt(2)
	v_add_f64 v[3:4], v[3:4], -v[157:158]
	s_waitcnt vmcnt(0)
	v_add_f64 v[1:2], v[159:160], -v[1:2]
	buffer_store_dword v4, v6, s[0:3], 0 offen offset:676
	buffer_store_dword v3, v6, s[0:3], 0 offen offset:672
	;; [unrolled: 1-line block ×4, first 2 shown]
	ds_read2_b64 v[1:4], v5 offset0:10 offset1:11
	s_waitcnt lgkmcnt(0)
	v_mul_f64 v[157:158], v[3:4], v[155:156]
	v_fma_f64 v[157:158], v[1:2], v[153:154], -v[157:158]
	v_mul_f64 v[1:2], v[1:2], v[155:156]
	v_fma_f64 v[1:2], v[3:4], v[153:154], v[1:2]
	s_clause 0x3
	buffer_load_dword v3, v6, s[0:3], 0 offen offset:688
	buffer_load_dword v4, v6, s[0:3], 0 offen offset:692
	;; [unrolled: 1-line block ×4, first 2 shown]
	s_waitcnt vmcnt(2)
	v_add_f64 v[3:4], v[3:4], -v[157:158]
	s_waitcnt vmcnt(0)
	v_add_f64 v[1:2], v[159:160], -v[1:2]
	buffer_store_dword v4, v6, s[0:3], 0 offen offset:692
	buffer_store_dword v3, v6, s[0:3], 0 offen offset:688
	;; [unrolled: 1-line block ×4, first 2 shown]
	s_cbranch_scc1 .LBB123_462
.LBB123_463:
	s_or_b32 exec_lo, exec_lo, s5
	s_mov_b32 s6, exec_lo
	s_waitcnt lgkmcnt(0)
	s_waitcnt_vscnt null, 0x0
	s_barrier
	buffer_gl0_inv
	v_cmpx_eq_u32_e32 38, v0
	s_cbranch_execz .LBB123_470
; %bb.464:
	v_mov_b32_e32 v4, s37
	s_clause 0x3
	buffer_load_dword v1, v4, s[0:3], 0 offen
	buffer_load_dword v2, v4, s[0:3], 0 offen offset:4
	buffer_load_dword v3, v4, s[0:3], 0 offen offset:8
	;; [unrolled: 1-line block ×3, first 2 shown]
	s_waitcnt vmcnt(0)
	ds_write2_b64 v255, v[1:2], v[3:4] offset1:1
	v_mov_b32_e32 v4, s36
	s_clause 0x3
	buffer_load_dword v1, v4, s[0:3], 0 offen
	buffer_load_dword v2, v4, s[0:3], 0 offen offset:4
	buffer_load_dword v3, v4, s[0:3], 0 offen offset:8
	buffer_load_dword v4, v4, s[0:3], 0 offen offset:12
	s_waitcnt vmcnt(0)
	ds_write2_b64 v245, v[1:2], v[3:4] offset0:78 offset1:79
	v_mov_b32_e32 v4, s35
	s_clause 0x3
	buffer_load_dword v1, v4, s[0:3], 0 offen
	buffer_load_dword v2, v4, s[0:3], 0 offen offset:4
	buffer_load_dword v3, v4, s[0:3], 0 offen offset:8
	buffer_load_dword v4, v4, s[0:3], 0 offen offset:12
	s_waitcnt vmcnt(0)
	ds_write2_b64 v245, v[1:2], v[3:4] offset0:80 offset1:81
	;; [unrolled: 8-line block ×23, first 2 shown]
	ds_read2_b64 v[153:156], v255 offset1:1
	s_waitcnt lgkmcnt(0)
	v_cmp_neq_f64_e32 vcc_lo, 0, v[153:154]
	v_cmp_neq_f64_e64 s5, 0, v[155:156]
	s_or_b32 s5, vcc_lo, s5
	s_and_b32 exec_lo, exec_lo, s5
	s_cbranch_execz .LBB123_470
; %bb.465:
	v_cmp_ngt_f64_e64 s5, |v[153:154]|, |v[155:156]|
                                        ; implicit-def: $vgpr1_vgpr2
	s_and_saveexec_b32 s7, s5
	s_xor_b32 s5, exec_lo, s7
                                        ; implicit-def: $vgpr3_vgpr4
	s_cbranch_execz .LBB123_467
; %bb.466:
	v_div_scale_f64 v[1:2], null, v[155:156], v[155:156], v[153:154]
	v_div_scale_f64 v[159:160], vcc_lo, v[153:154], v[155:156], v[153:154]
	v_rcp_f64_e32 v[3:4], v[1:2]
	v_fma_f64 v[157:158], -v[1:2], v[3:4], 1.0
	v_fma_f64 v[3:4], v[3:4], v[157:158], v[3:4]
	v_fma_f64 v[157:158], -v[1:2], v[3:4], 1.0
	v_fma_f64 v[3:4], v[3:4], v[157:158], v[3:4]
	v_mul_f64 v[157:158], v[159:160], v[3:4]
	v_fma_f64 v[1:2], -v[1:2], v[157:158], v[159:160]
	v_div_fmas_f64 v[1:2], v[1:2], v[3:4], v[157:158]
	v_div_fixup_f64 v[1:2], v[1:2], v[155:156], v[153:154]
	v_fma_f64 v[3:4], v[153:154], v[1:2], v[155:156]
	v_div_scale_f64 v[153:154], null, v[3:4], v[3:4], 1.0
	v_rcp_f64_e32 v[155:156], v[153:154]
	v_fma_f64 v[157:158], -v[153:154], v[155:156], 1.0
	v_fma_f64 v[155:156], v[155:156], v[157:158], v[155:156]
	v_fma_f64 v[157:158], -v[153:154], v[155:156], 1.0
	v_fma_f64 v[155:156], v[155:156], v[157:158], v[155:156]
	v_div_scale_f64 v[157:158], vcc_lo, 1.0, v[3:4], 1.0
	v_mul_f64 v[159:160], v[157:158], v[155:156]
	v_fma_f64 v[153:154], -v[153:154], v[159:160], v[157:158]
	v_div_fmas_f64 v[153:154], v[153:154], v[155:156], v[159:160]
	v_div_fixup_f64 v[3:4], v[153:154], v[3:4], 1.0
                                        ; implicit-def: $vgpr153_vgpr154
	v_mul_f64 v[1:2], v[1:2], v[3:4]
	v_xor_b32_e32 v4, 0x80000000, v4
.LBB123_467:
	s_andn2_saveexec_b32 s5, s5
	s_cbranch_execz .LBB123_469
; %bb.468:
	v_div_scale_f64 v[1:2], null, v[153:154], v[153:154], v[155:156]
	v_div_scale_f64 v[159:160], vcc_lo, v[155:156], v[153:154], v[155:156]
	v_rcp_f64_e32 v[3:4], v[1:2]
	v_fma_f64 v[157:158], -v[1:2], v[3:4], 1.0
	v_fma_f64 v[3:4], v[3:4], v[157:158], v[3:4]
	v_fma_f64 v[157:158], -v[1:2], v[3:4], 1.0
	v_fma_f64 v[3:4], v[3:4], v[157:158], v[3:4]
	v_mul_f64 v[157:158], v[159:160], v[3:4]
	v_fma_f64 v[1:2], -v[1:2], v[157:158], v[159:160]
	v_div_fmas_f64 v[1:2], v[1:2], v[3:4], v[157:158]
	v_div_fixup_f64 v[3:4], v[1:2], v[153:154], v[155:156]
	v_fma_f64 v[1:2], v[155:156], v[3:4], v[153:154]
	v_div_scale_f64 v[153:154], null, v[1:2], v[1:2], 1.0
	v_rcp_f64_e32 v[155:156], v[153:154]
	v_fma_f64 v[157:158], -v[153:154], v[155:156], 1.0
	v_fma_f64 v[155:156], v[155:156], v[157:158], v[155:156]
	v_fma_f64 v[157:158], -v[153:154], v[155:156], 1.0
	v_fma_f64 v[155:156], v[155:156], v[157:158], v[155:156]
	v_div_scale_f64 v[157:158], vcc_lo, 1.0, v[1:2], 1.0
	v_mul_f64 v[159:160], v[157:158], v[155:156]
	v_fma_f64 v[153:154], -v[153:154], v[159:160], v[157:158]
	v_div_fmas_f64 v[153:154], v[153:154], v[155:156], v[159:160]
	v_div_fixup_f64 v[1:2], v[153:154], v[1:2], 1.0
	v_mul_f64 v[3:4], v[3:4], -v[1:2]
.LBB123_469:
	s_or_b32 exec_lo, exec_lo, s5
	ds_write2_b64 v255, v[1:2], v[3:4] offset1:1
.LBB123_470:
	s_or_b32 exec_lo, exec_lo, s6
	s_waitcnt lgkmcnt(0)
	s_barrier
	buffer_gl0_inv
	ds_read2_b64 v[153:156], v255 offset1:1
	s_mov_b32 s5, exec_lo
	v_cmpx_lt_u32_e32 38, v0
	s_cbranch_execz .LBB123_475
; %bb.471:
	s_clause 0x3
	buffer_load_dword v1, off, s[0:3], 0 offset:616
	buffer_load_dword v2, off, s[0:3], 0 offset:620
	;; [unrolled: 1-line block ×4, first 2 shown]
	s_mov_b32 s6, 0
	s_waitcnt vmcnt(2) lgkmcnt(0)
	v_mul_f64 v[157:158], v[155:156], v[1:2]
	v_mul_f64 v[1:2], v[153:154], v[1:2]
	s_waitcnt vmcnt(0)
	v_fma_f64 v[157:158], v[153:154], v[3:4], -v[157:158]
	v_fma_f64 v[159:160], v[155:156], v[3:4], v[1:2]
	buffer_store_dword v157, off, s[0:3], 0 offset:608
	buffer_store_dword v158, off, s[0:3], 0 offset:612
	;; [unrolled: 1-line block ×4, first 2 shown]
	s_branch .LBB123_473
.LBB123_472:                            ;   in Loop: Header=BB123_473 Depth=1
	s_andn2_b32 vcc_lo, exec_lo, s8
	s_cbranch_vccz .LBB123_475
.LBB123_473:                            ; =>This Inner Loop Header: Depth=1
	v_add3_u32 v1, v181, 0, 0x270
	v_mov_b32_e32 v4, s6
	s_mov_b32 s7, s6
	s_mov_b32 s8, -1
	s_cmpk_eq_i32 s6, 0x140
	v_add_nc_u32_e32 v1, s6, v1
	ds_read2_b64 v[161:164], v1 offset1:1
	s_waitcnt lgkmcnt(0)
	v_mul_f64 v[2:3], v[163:164], v[159:160]
	v_fma_f64 v[2:3], v[161:162], v[157:158], -v[2:3]
	v_mul_f64 v[161:162], v[161:162], v[159:160]
	v_fma_f64 v[161:162], v[163:164], v[157:158], v[161:162]
	s_clause 0xb
	buffer_load_dword v163, v4, s[0:3], 0 offen offset:624
	buffer_load_dword v164, v4, s[0:3], 0 offen offset:628
	;; [unrolled: 1-line block ×12, first 2 shown]
	s_waitcnt vmcnt(10)
	v_add_f64 v[2:3], v[163:164], -v[2:3]
	s_waitcnt vmcnt(8)
	v_add_f64 v[161:162], v[165:166], -v[161:162]
	buffer_store_dword v2, v4, s[0:3], 0 offen offset:624
	buffer_store_dword v3, v4, s[0:3], 0 offen offset:628
	;; [unrolled: 1-line block ×4, first 2 shown]
	ds_read2_b64 v[161:164], v1 offset0:2 offset1:3
	s_waitcnt lgkmcnt(0)
	v_mul_f64 v[2:3], v[163:164], v[159:160]
	v_fma_f64 v[2:3], v[161:162], v[157:158], -v[2:3]
	v_mul_f64 v[161:162], v[161:162], v[159:160]
	s_waitcnt vmcnt(6)
	v_add_f64 v[2:3], v[167:168], -v[2:3]
	v_fma_f64 v[161:162], v[163:164], v[157:158], v[161:162]
	s_waitcnt vmcnt(4)
	v_add_f64 v[161:162], v[169:170], -v[161:162]
	buffer_store_dword v2, v4, s[0:3], 0 offen offset:640
	buffer_store_dword v3, v4, s[0:3], 0 offen offset:644
	;; [unrolled: 1-line block ×4, first 2 shown]
	ds_read2_b64 v[161:164], v1 offset0:4 offset1:5
	s_waitcnt lgkmcnt(0)
	v_mul_f64 v[2:3], v[163:164], v[159:160]
	v_fma_f64 v[2:3], v[161:162], v[157:158], -v[2:3]
	v_mul_f64 v[161:162], v[161:162], v[159:160]
	s_waitcnt vmcnt(2)
	v_add_f64 v[2:3], v[171:172], -v[2:3]
	v_fma_f64 v[161:162], v[163:164], v[157:158], v[161:162]
	s_waitcnt vmcnt(0)
	v_add_f64 v[161:162], v[173:174], -v[161:162]
	buffer_store_dword v2, v4, s[0:3], 0 offen offset:656
	buffer_store_dword v3, v4, s[0:3], 0 offen offset:660
	;; [unrolled: 1-line block ×4, first 2 shown]
	s_cbranch_scc1 .LBB123_472
; %bb.474:                              ;   in Loop: Header=BB123_473 Depth=1
	ds_read2_b64 v[1:4], v1 offset0:6 offset1:7
	v_mov_b32_e32 v5, s7
	s_add_i32 s6, s6, 64
	s_mov_b32 s8, 0
	s_waitcnt lgkmcnt(0)
	v_mul_f64 v[161:162], v[3:4], v[159:160]
	v_fma_f64 v[161:162], v[1:2], v[157:158], -v[161:162]
	v_mul_f64 v[1:2], v[1:2], v[159:160]
	v_fma_f64 v[1:2], v[3:4], v[157:158], v[1:2]
	s_clause 0x3
	buffer_load_dword v3, v5, s[0:3], 0 offen offset:672
	buffer_load_dword v4, v5, s[0:3], 0 offen offset:676
	;; [unrolled: 1-line block ×4, first 2 shown]
	s_waitcnt vmcnt(2)
	v_add_f64 v[3:4], v[3:4], -v[161:162]
	s_waitcnt vmcnt(0)
	v_add_f64 v[1:2], v[163:164], -v[1:2]
	buffer_store_dword v3, v5, s[0:3], 0 offen offset:672
	buffer_store_dword v4, v5, s[0:3], 0 offen offset:676
	;; [unrolled: 1-line block ×4, first 2 shown]
	s_branch .LBB123_472
.LBB123_475:
	s_or_b32 exec_lo, exec_lo, s5
	s_mov_b32 s6, exec_lo
	s_waitcnt lgkmcnt(0)
	s_waitcnt_vscnt null, 0x0
	s_barrier
	buffer_gl0_inv
	v_cmpx_eq_u32_e32 39, v0
	s_cbranch_execz .LBB123_482
; %bb.476:
	v_mov_b32_e32 v4, s36
	s_clause 0x3
	buffer_load_dword v1, v4, s[0:3], 0 offen
	buffer_load_dword v2, v4, s[0:3], 0 offen offset:4
	buffer_load_dword v3, v4, s[0:3], 0 offen offset:8
	;; [unrolled: 1-line block ×3, first 2 shown]
	s_waitcnt vmcnt(0)
	ds_write2_b64 v255, v[1:2], v[3:4] offset1:1
	v_mov_b32_e32 v4, s35
	s_clause 0x3
	buffer_load_dword v1, v4, s[0:3], 0 offen
	buffer_load_dword v2, v4, s[0:3], 0 offen offset:4
	buffer_load_dword v3, v4, s[0:3], 0 offen offset:8
	buffer_load_dword v4, v4, s[0:3], 0 offen offset:12
	s_waitcnt vmcnt(0)
	ds_write2_b64 v245, v[1:2], v[3:4] offset0:80 offset1:81
	v_mov_b32_e32 v4, s34
	s_clause 0x3
	buffer_load_dword v1, v4, s[0:3], 0 offen
	buffer_load_dword v2, v4, s[0:3], 0 offen offset:4
	buffer_load_dword v3, v4, s[0:3], 0 offen offset:8
	buffer_load_dword v4, v4, s[0:3], 0 offen offset:12
	s_waitcnt vmcnt(0)
	ds_write2_b64 v245, v[1:2], v[3:4] offset0:82 offset1:83
	v_mov_b32_e32 v4, s33
	s_clause 0x3
	buffer_load_dword v1, v4, s[0:3], 0 offen
	buffer_load_dword v2, v4, s[0:3], 0 offen offset:4
	buffer_load_dword v3, v4, s[0:3], 0 offen offset:8
	buffer_load_dword v4, v4, s[0:3], 0 offen offset:12
	s_waitcnt vmcnt(0)
	ds_write2_b64 v245, v[1:2], v[3:4] offset0:84 offset1:85
	v_mov_b32_e32 v4, s31
	s_clause 0x3
	buffer_load_dword v1, v4, s[0:3], 0 offen
	buffer_load_dword v2, v4, s[0:3], 0 offen offset:4
	buffer_load_dword v3, v4, s[0:3], 0 offen offset:8
	buffer_load_dword v4, v4, s[0:3], 0 offen offset:12
	s_waitcnt vmcnt(0)
	ds_write2_b64 v245, v[1:2], v[3:4] offset0:86 offset1:87
	v_mov_b32_e32 v4, s30
	s_clause 0x3
	buffer_load_dword v1, v4, s[0:3], 0 offen
	buffer_load_dword v2, v4, s[0:3], 0 offen offset:4
	buffer_load_dword v3, v4, s[0:3], 0 offen offset:8
	buffer_load_dword v4, v4, s[0:3], 0 offen offset:12
	s_waitcnt vmcnt(0)
	ds_write2_b64 v245, v[1:2], v[3:4] offset0:88 offset1:89
	v_mov_b32_e32 v4, s29
	s_clause 0x3
	buffer_load_dword v1, v4, s[0:3], 0 offen
	buffer_load_dword v2, v4, s[0:3], 0 offen offset:4
	buffer_load_dword v3, v4, s[0:3], 0 offen offset:8
	buffer_load_dword v4, v4, s[0:3], 0 offen offset:12
	s_waitcnt vmcnt(0)
	ds_write2_b64 v245, v[1:2], v[3:4] offset0:90 offset1:91
	v_mov_b32_e32 v4, s28
	s_clause 0x3
	buffer_load_dword v1, v4, s[0:3], 0 offen
	buffer_load_dword v2, v4, s[0:3], 0 offen offset:4
	buffer_load_dword v3, v4, s[0:3], 0 offen offset:8
	buffer_load_dword v4, v4, s[0:3], 0 offen offset:12
	s_waitcnt vmcnt(0)
	ds_write2_b64 v245, v[1:2], v[3:4] offset0:92 offset1:93
	v_mov_b32_e32 v4, s27
	s_clause 0x3
	buffer_load_dword v1, v4, s[0:3], 0 offen
	buffer_load_dword v2, v4, s[0:3], 0 offen offset:4
	buffer_load_dword v3, v4, s[0:3], 0 offen offset:8
	buffer_load_dword v4, v4, s[0:3], 0 offen offset:12
	s_waitcnt vmcnt(0)
	ds_write2_b64 v245, v[1:2], v[3:4] offset0:94 offset1:95
	v_mov_b32_e32 v4, s26
	s_clause 0x3
	buffer_load_dword v1, v4, s[0:3], 0 offen
	buffer_load_dword v2, v4, s[0:3], 0 offen offset:4
	buffer_load_dword v3, v4, s[0:3], 0 offen offset:8
	buffer_load_dword v4, v4, s[0:3], 0 offen offset:12
	s_waitcnt vmcnt(0)
	ds_write2_b64 v245, v[1:2], v[3:4] offset0:96 offset1:97
	v_mov_b32_e32 v4, s25
	s_clause 0x3
	buffer_load_dword v1, v4, s[0:3], 0 offen
	buffer_load_dword v2, v4, s[0:3], 0 offen offset:4
	buffer_load_dword v3, v4, s[0:3], 0 offen offset:8
	buffer_load_dword v4, v4, s[0:3], 0 offen offset:12
	s_waitcnt vmcnt(0)
	ds_write2_b64 v245, v[1:2], v[3:4] offset0:98 offset1:99
	v_mov_b32_e32 v4, s24
	s_clause 0x3
	buffer_load_dword v1, v4, s[0:3], 0 offen
	buffer_load_dword v2, v4, s[0:3], 0 offen offset:4
	buffer_load_dword v3, v4, s[0:3], 0 offen offset:8
	buffer_load_dword v4, v4, s[0:3], 0 offen offset:12
	s_waitcnt vmcnt(0)
	ds_write2_b64 v245, v[1:2], v[3:4] offset0:100 offset1:101
	v_mov_b32_e32 v4, s23
	s_clause 0x3
	buffer_load_dword v1, v4, s[0:3], 0 offen
	buffer_load_dword v2, v4, s[0:3], 0 offen offset:4
	buffer_load_dword v3, v4, s[0:3], 0 offen offset:8
	buffer_load_dword v4, v4, s[0:3], 0 offen offset:12
	s_waitcnt vmcnt(0)
	ds_write2_b64 v245, v[1:2], v[3:4] offset0:102 offset1:103
	v_mov_b32_e32 v4, s22
	s_clause 0x3
	buffer_load_dword v1, v4, s[0:3], 0 offen
	buffer_load_dword v2, v4, s[0:3], 0 offen offset:4
	buffer_load_dword v3, v4, s[0:3], 0 offen offset:8
	buffer_load_dword v4, v4, s[0:3], 0 offen offset:12
	s_waitcnt vmcnt(0)
	ds_write2_b64 v245, v[1:2], v[3:4] offset0:104 offset1:105
	v_mov_b32_e32 v4, s21
	s_clause 0x3
	buffer_load_dword v1, v4, s[0:3], 0 offen
	buffer_load_dword v2, v4, s[0:3], 0 offen offset:4
	buffer_load_dword v3, v4, s[0:3], 0 offen offset:8
	buffer_load_dword v4, v4, s[0:3], 0 offen offset:12
	s_waitcnt vmcnt(0)
	ds_write2_b64 v245, v[1:2], v[3:4] offset0:106 offset1:107
	v_mov_b32_e32 v4, s20
	s_clause 0x3
	buffer_load_dword v1, v4, s[0:3], 0 offen
	buffer_load_dword v2, v4, s[0:3], 0 offen offset:4
	buffer_load_dword v3, v4, s[0:3], 0 offen offset:8
	buffer_load_dword v4, v4, s[0:3], 0 offen offset:12
	s_waitcnt vmcnt(0)
	ds_write2_b64 v245, v[1:2], v[3:4] offset0:108 offset1:109
	v_mov_b32_e32 v4, s19
	s_clause 0x3
	buffer_load_dword v1, v4, s[0:3], 0 offen
	buffer_load_dword v2, v4, s[0:3], 0 offen offset:4
	buffer_load_dword v3, v4, s[0:3], 0 offen offset:8
	buffer_load_dword v4, v4, s[0:3], 0 offen offset:12
	s_waitcnt vmcnt(0)
	ds_write2_b64 v245, v[1:2], v[3:4] offset0:110 offset1:111
	v_mov_b32_e32 v4, s18
	s_clause 0x3
	buffer_load_dword v1, v4, s[0:3], 0 offen
	buffer_load_dword v2, v4, s[0:3], 0 offen offset:4
	buffer_load_dword v3, v4, s[0:3], 0 offen offset:8
	buffer_load_dword v4, v4, s[0:3], 0 offen offset:12
	s_waitcnt vmcnt(0)
	ds_write2_b64 v245, v[1:2], v[3:4] offset0:112 offset1:113
	v_mov_b32_e32 v4, s17
	s_clause 0x3
	buffer_load_dword v1, v4, s[0:3], 0 offen
	buffer_load_dword v2, v4, s[0:3], 0 offen offset:4
	buffer_load_dword v3, v4, s[0:3], 0 offen offset:8
	buffer_load_dword v4, v4, s[0:3], 0 offen offset:12
	s_waitcnt vmcnt(0)
	ds_write2_b64 v245, v[1:2], v[3:4] offset0:114 offset1:115
	v_mov_b32_e32 v4, s16
	s_clause 0x3
	buffer_load_dword v1, v4, s[0:3], 0 offen
	buffer_load_dword v2, v4, s[0:3], 0 offen offset:4
	buffer_load_dword v3, v4, s[0:3], 0 offen offset:8
	buffer_load_dword v4, v4, s[0:3], 0 offen offset:12
	s_waitcnt vmcnt(0)
	ds_write2_b64 v245, v[1:2], v[3:4] offset0:116 offset1:117
	v_mov_b32_e32 v4, s15
	s_clause 0x3
	buffer_load_dword v1, v4, s[0:3], 0 offen
	buffer_load_dword v2, v4, s[0:3], 0 offen offset:4
	buffer_load_dword v3, v4, s[0:3], 0 offen offset:8
	buffer_load_dword v4, v4, s[0:3], 0 offen offset:12
	s_waitcnt vmcnt(0)
	ds_write2_b64 v245, v[1:2], v[3:4] offset0:118 offset1:119
	v_mov_b32_e32 v4, s14
	s_clause 0x3
	buffer_load_dword v1, v4, s[0:3], 0 offen
	buffer_load_dword v2, v4, s[0:3], 0 offen offset:4
	buffer_load_dword v3, v4, s[0:3], 0 offen offset:8
	buffer_load_dword v4, v4, s[0:3], 0 offen offset:12
	s_waitcnt vmcnt(0)
	ds_write2_b64 v245, v[1:2], v[3:4] offset0:120 offset1:121
	v_mov_b32_e32 v4, s12
	s_clause 0x3
	buffer_load_dword v1, v4, s[0:3], 0 offen
	buffer_load_dword v2, v4, s[0:3], 0 offen offset:4
	buffer_load_dword v3, v4, s[0:3], 0 offen offset:8
	buffer_load_dword v4, v4, s[0:3], 0 offen offset:12
	s_waitcnt vmcnt(0)
	ds_write2_b64 v245, v[1:2], v[3:4] offset0:122 offset1:123
	ds_read2_b64 v[157:160], v255 offset1:1
	s_waitcnt lgkmcnt(0)
	v_cmp_neq_f64_e32 vcc_lo, 0, v[157:158]
	v_cmp_neq_f64_e64 s5, 0, v[159:160]
	s_or_b32 s5, vcc_lo, s5
	s_and_b32 exec_lo, exec_lo, s5
	s_cbranch_execz .LBB123_482
; %bb.477:
	v_cmp_ngt_f64_e64 s5, |v[157:158]|, |v[159:160]|
                                        ; implicit-def: $vgpr1_vgpr2
	s_and_saveexec_b32 s7, s5
	s_xor_b32 s5, exec_lo, s7
                                        ; implicit-def: $vgpr3_vgpr4
	s_cbranch_execz .LBB123_479
; %bb.478:
	v_div_scale_f64 v[1:2], null, v[159:160], v[159:160], v[157:158]
	v_div_scale_f64 v[163:164], vcc_lo, v[157:158], v[159:160], v[157:158]
	v_rcp_f64_e32 v[3:4], v[1:2]
	v_fma_f64 v[161:162], -v[1:2], v[3:4], 1.0
	v_fma_f64 v[3:4], v[3:4], v[161:162], v[3:4]
	v_fma_f64 v[161:162], -v[1:2], v[3:4], 1.0
	v_fma_f64 v[3:4], v[3:4], v[161:162], v[3:4]
	v_mul_f64 v[161:162], v[163:164], v[3:4]
	v_fma_f64 v[1:2], -v[1:2], v[161:162], v[163:164]
	v_div_fmas_f64 v[1:2], v[1:2], v[3:4], v[161:162]
	v_div_fixup_f64 v[1:2], v[1:2], v[159:160], v[157:158]
	v_fma_f64 v[3:4], v[157:158], v[1:2], v[159:160]
	v_div_scale_f64 v[157:158], null, v[3:4], v[3:4], 1.0
	v_rcp_f64_e32 v[159:160], v[157:158]
	v_fma_f64 v[161:162], -v[157:158], v[159:160], 1.0
	v_fma_f64 v[159:160], v[159:160], v[161:162], v[159:160]
	v_fma_f64 v[161:162], -v[157:158], v[159:160], 1.0
	v_fma_f64 v[159:160], v[159:160], v[161:162], v[159:160]
	v_div_scale_f64 v[161:162], vcc_lo, 1.0, v[3:4], 1.0
	v_mul_f64 v[163:164], v[161:162], v[159:160]
	v_fma_f64 v[157:158], -v[157:158], v[163:164], v[161:162]
	v_div_fmas_f64 v[157:158], v[157:158], v[159:160], v[163:164]
	v_div_fixup_f64 v[3:4], v[157:158], v[3:4], 1.0
                                        ; implicit-def: $vgpr157_vgpr158
	v_mul_f64 v[1:2], v[1:2], v[3:4]
	v_xor_b32_e32 v4, 0x80000000, v4
.LBB123_479:
	s_andn2_saveexec_b32 s5, s5
	s_cbranch_execz .LBB123_481
; %bb.480:
	v_div_scale_f64 v[1:2], null, v[157:158], v[157:158], v[159:160]
	v_div_scale_f64 v[163:164], vcc_lo, v[159:160], v[157:158], v[159:160]
	v_rcp_f64_e32 v[3:4], v[1:2]
	v_fma_f64 v[161:162], -v[1:2], v[3:4], 1.0
	v_fma_f64 v[3:4], v[3:4], v[161:162], v[3:4]
	v_fma_f64 v[161:162], -v[1:2], v[3:4], 1.0
	v_fma_f64 v[3:4], v[3:4], v[161:162], v[3:4]
	v_mul_f64 v[161:162], v[163:164], v[3:4]
	v_fma_f64 v[1:2], -v[1:2], v[161:162], v[163:164]
	v_div_fmas_f64 v[1:2], v[1:2], v[3:4], v[161:162]
	v_div_fixup_f64 v[3:4], v[1:2], v[157:158], v[159:160]
	v_fma_f64 v[1:2], v[159:160], v[3:4], v[157:158]
	v_div_scale_f64 v[157:158], null, v[1:2], v[1:2], 1.0
	v_rcp_f64_e32 v[159:160], v[157:158]
	v_fma_f64 v[161:162], -v[157:158], v[159:160], 1.0
	v_fma_f64 v[159:160], v[159:160], v[161:162], v[159:160]
	v_fma_f64 v[161:162], -v[157:158], v[159:160], 1.0
	v_fma_f64 v[159:160], v[159:160], v[161:162], v[159:160]
	v_div_scale_f64 v[161:162], vcc_lo, 1.0, v[1:2], 1.0
	v_mul_f64 v[163:164], v[161:162], v[159:160]
	v_fma_f64 v[157:158], -v[157:158], v[163:164], v[161:162]
	v_div_fmas_f64 v[157:158], v[157:158], v[159:160], v[163:164]
	v_div_fixup_f64 v[1:2], v[157:158], v[1:2], 1.0
	v_mul_f64 v[3:4], v[3:4], -v[1:2]
.LBB123_481:
	s_or_b32 exec_lo, exec_lo, s5
	ds_write2_b64 v255, v[1:2], v[3:4] offset1:1
.LBB123_482:
	s_or_b32 exec_lo, exec_lo, s6
	s_waitcnt lgkmcnt(0)
	s_barrier
	buffer_gl0_inv
	ds_read2_b64 v[157:160], v255 offset1:1
	s_mov_b32 s5, exec_lo
	v_cmpx_lt_u32_e32 39, v0
	s_cbranch_execz .LBB123_485
; %bb.483:
	s_clause 0x3
	buffer_load_dword v1, off, s[0:3], 0 offset:632
	buffer_load_dword v2, off, s[0:3], 0 offset:636
	;; [unrolled: 1-line block ×4, first 2 shown]
	s_mov_b32 s6, 0
	s_waitcnt vmcnt(2) lgkmcnt(0)
	v_mul_f64 v[161:162], v[159:160], v[1:2]
	v_mul_f64 v[1:2], v[157:158], v[1:2]
	s_waitcnt vmcnt(0)
	v_fma_f64 v[161:162], v[157:158], v[3:4], -v[161:162]
	v_fma_f64 v[163:164], v[159:160], v[3:4], v[1:2]
	buffer_store_dword v161, off, s[0:3], 0 offset:624
	buffer_store_dword v162, off, s[0:3], 0 offset:628
	;; [unrolled: 1-line block ×4, first 2 shown]
.LBB123_484:                            ; =>This Inner Loop Header: Depth=1
	v_add3_u32 v1, v181, 0, 0x280
	v_mov_b32_e32 v6, s6
	v_add_nc_u32_e32 v5, s6, v1
	s_add_i32 s6, s6, 32
	s_cmpk_lg_i32 s6, 0x160
	ds_read2_b64 v[1:4], v5 offset1:1
	s_waitcnt lgkmcnt(0)
	v_mul_f64 v[165:166], v[3:4], v[163:164]
	v_fma_f64 v[165:166], v[1:2], v[161:162], -v[165:166]
	v_mul_f64 v[1:2], v[1:2], v[163:164]
	v_fma_f64 v[1:2], v[3:4], v[161:162], v[1:2]
	s_clause 0x7
	buffer_load_dword v3, v6, s[0:3], 0 offen offset:640
	buffer_load_dword v4, v6, s[0:3], 0 offen offset:644
	;; [unrolled: 1-line block ×8, first 2 shown]
	s_waitcnt vmcnt(6)
	v_add_f64 v[3:4], v[3:4], -v[165:166]
	s_waitcnt vmcnt(4)
	v_add_f64 v[1:2], v[167:168], -v[1:2]
	buffer_store_dword v3, v6, s[0:3], 0 offen offset:640
	buffer_store_dword v4, v6, s[0:3], 0 offen offset:644
	;; [unrolled: 1-line block ×4, first 2 shown]
	ds_read2_b64 v[1:4], v5 offset0:2 offset1:3
	s_waitcnt lgkmcnt(0)
	v_mul_f64 v[165:166], v[3:4], v[163:164]
	v_fma_f64 v[165:166], v[1:2], v[161:162], -v[165:166]
	v_mul_f64 v[1:2], v[1:2], v[163:164]
	v_fma_f64 v[1:2], v[3:4], v[161:162], v[1:2]
	s_waitcnt vmcnt(2)
	v_add_f64 v[3:4], v[169:170], -v[165:166]
	s_waitcnt vmcnt(0)
	v_add_f64 v[1:2], v[171:172], -v[1:2]
	buffer_store_dword v3, v6, s[0:3], 0 offen offset:656
	buffer_store_dword v4, v6, s[0:3], 0 offen offset:660
	;; [unrolled: 1-line block ×4, first 2 shown]
	s_cbranch_scc1 .LBB123_484
.LBB123_485:
	s_or_b32 exec_lo, exec_lo, s5
	s_mov_b32 s6, exec_lo
	s_waitcnt lgkmcnt(0)
	s_waitcnt_vscnt null, 0x0
	s_barrier
	buffer_gl0_inv
	v_cmpx_eq_u32_e32 40, v0
	s_cbranch_execz .LBB123_492
; %bb.486:
	v_mov_b32_e32 v4, s35
	s_clause 0x3
	buffer_load_dword v1, v4, s[0:3], 0 offen
	buffer_load_dword v2, v4, s[0:3], 0 offen offset:4
	buffer_load_dword v3, v4, s[0:3], 0 offen offset:8
	;; [unrolled: 1-line block ×3, first 2 shown]
	s_waitcnt vmcnt(0)
	ds_write2_b64 v255, v[1:2], v[3:4] offset1:1
	v_mov_b32_e32 v4, s34
	s_clause 0x3
	buffer_load_dword v1, v4, s[0:3], 0 offen
	buffer_load_dword v2, v4, s[0:3], 0 offen offset:4
	buffer_load_dword v3, v4, s[0:3], 0 offen offset:8
	buffer_load_dword v4, v4, s[0:3], 0 offen offset:12
	s_waitcnt vmcnt(0)
	ds_write2_b64 v245, v[1:2], v[3:4] offset0:82 offset1:83
	v_mov_b32_e32 v4, s33
	s_clause 0x3
	buffer_load_dword v1, v4, s[0:3], 0 offen
	buffer_load_dword v2, v4, s[0:3], 0 offen offset:4
	buffer_load_dword v3, v4, s[0:3], 0 offen offset:8
	buffer_load_dword v4, v4, s[0:3], 0 offen offset:12
	s_waitcnt vmcnt(0)
	ds_write2_b64 v245, v[1:2], v[3:4] offset0:84 offset1:85
	;; [unrolled: 8-line block ×21, first 2 shown]
	ds_read2_b64 v[161:164], v255 offset1:1
	s_waitcnt lgkmcnt(0)
	v_cmp_neq_f64_e32 vcc_lo, 0, v[161:162]
	v_cmp_neq_f64_e64 s5, 0, v[163:164]
	s_or_b32 s5, vcc_lo, s5
	s_and_b32 exec_lo, exec_lo, s5
	s_cbranch_execz .LBB123_492
; %bb.487:
	v_cmp_ngt_f64_e64 s5, |v[161:162]|, |v[163:164]|
                                        ; implicit-def: $vgpr1_vgpr2
	s_and_saveexec_b32 s7, s5
	s_xor_b32 s5, exec_lo, s7
                                        ; implicit-def: $vgpr3_vgpr4
	s_cbranch_execz .LBB123_489
; %bb.488:
	v_div_scale_f64 v[1:2], null, v[163:164], v[163:164], v[161:162]
	v_div_scale_f64 v[167:168], vcc_lo, v[161:162], v[163:164], v[161:162]
	v_rcp_f64_e32 v[3:4], v[1:2]
	v_fma_f64 v[165:166], -v[1:2], v[3:4], 1.0
	v_fma_f64 v[3:4], v[3:4], v[165:166], v[3:4]
	v_fma_f64 v[165:166], -v[1:2], v[3:4], 1.0
	v_fma_f64 v[3:4], v[3:4], v[165:166], v[3:4]
	v_mul_f64 v[165:166], v[167:168], v[3:4]
	v_fma_f64 v[1:2], -v[1:2], v[165:166], v[167:168]
	v_div_fmas_f64 v[1:2], v[1:2], v[3:4], v[165:166]
	v_div_fixup_f64 v[1:2], v[1:2], v[163:164], v[161:162]
	v_fma_f64 v[3:4], v[161:162], v[1:2], v[163:164]
	v_div_scale_f64 v[161:162], null, v[3:4], v[3:4], 1.0
	v_rcp_f64_e32 v[163:164], v[161:162]
	v_fma_f64 v[165:166], -v[161:162], v[163:164], 1.0
	v_fma_f64 v[163:164], v[163:164], v[165:166], v[163:164]
	v_fma_f64 v[165:166], -v[161:162], v[163:164], 1.0
	v_fma_f64 v[163:164], v[163:164], v[165:166], v[163:164]
	v_div_scale_f64 v[165:166], vcc_lo, 1.0, v[3:4], 1.0
	v_mul_f64 v[167:168], v[165:166], v[163:164]
	v_fma_f64 v[161:162], -v[161:162], v[167:168], v[165:166]
	v_div_fmas_f64 v[161:162], v[161:162], v[163:164], v[167:168]
	v_div_fixup_f64 v[3:4], v[161:162], v[3:4], 1.0
                                        ; implicit-def: $vgpr161_vgpr162
	v_mul_f64 v[1:2], v[1:2], v[3:4]
	v_xor_b32_e32 v4, 0x80000000, v4
.LBB123_489:
	s_andn2_saveexec_b32 s5, s5
	s_cbranch_execz .LBB123_491
; %bb.490:
	v_div_scale_f64 v[1:2], null, v[161:162], v[161:162], v[163:164]
	v_div_scale_f64 v[167:168], vcc_lo, v[163:164], v[161:162], v[163:164]
	v_rcp_f64_e32 v[3:4], v[1:2]
	v_fma_f64 v[165:166], -v[1:2], v[3:4], 1.0
	v_fma_f64 v[3:4], v[3:4], v[165:166], v[3:4]
	v_fma_f64 v[165:166], -v[1:2], v[3:4], 1.0
	v_fma_f64 v[3:4], v[3:4], v[165:166], v[3:4]
	v_mul_f64 v[165:166], v[167:168], v[3:4]
	v_fma_f64 v[1:2], -v[1:2], v[165:166], v[167:168]
	v_div_fmas_f64 v[1:2], v[1:2], v[3:4], v[165:166]
	v_div_fixup_f64 v[3:4], v[1:2], v[161:162], v[163:164]
	v_fma_f64 v[1:2], v[163:164], v[3:4], v[161:162]
	v_div_scale_f64 v[161:162], null, v[1:2], v[1:2], 1.0
	v_rcp_f64_e32 v[163:164], v[161:162]
	v_fma_f64 v[165:166], -v[161:162], v[163:164], 1.0
	v_fma_f64 v[163:164], v[163:164], v[165:166], v[163:164]
	v_fma_f64 v[165:166], -v[161:162], v[163:164], 1.0
	v_fma_f64 v[163:164], v[163:164], v[165:166], v[163:164]
	v_div_scale_f64 v[165:166], vcc_lo, 1.0, v[1:2], 1.0
	v_mul_f64 v[167:168], v[165:166], v[163:164]
	v_fma_f64 v[161:162], -v[161:162], v[167:168], v[165:166]
	v_div_fmas_f64 v[161:162], v[161:162], v[163:164], v[167:168]
	v_div_fixup_f64 v[1:2], v[161:162], v[1:2], 1.0
	v_mul_f64 v[3:4], v[3:4], -v[1:2]
.LBB123_491:
	s_or_b32 exec_lo, exec_lo, s5
	ds_write2_b64 v255, v[1:2], v[3:4] offset1:1
.LBB123_492:
	s_or_b32 exec_lo, exec_lo, s6
	s_waitcnt lgkmcnt(0)
	s_barrier
	buffer_gl0_inv
	ds_read2_b64 v[161:164], v255 offset1:1
	s_mov_b32 s5, exec_lo
	v_cmpx_lt_u32_e32 40, v0
	s_cbranch_execz .LBB123_495
; %bb.493:
	s_clause 0x3
	buffer_load_dword v1, off, s[0:3], 0 offset:648
	buffer_load_dword v2, off, s[0:3], 0 offset:652
	;; [unrolled: 1-line block ×4, first 2 shown]
	s_mov_b32 s6, 0
	s_waitcnt vmcnt(2) lgkmcnt(0)
	v_mul_f64 v[165:166], v[163:164], v[1:2]
	v_mul_f64 v[1:2], v[161:162], v[1:2]
	s_waitcnt vmcnt(0)
	v_fma_f64 v[165:166], v[161:162], v[3:4], -v[165:166]
	v_fma_f64 v[167:168], v[163:164], v[3:4], v[1:2]
	buffer_store_dword v165, off, s[0:3], 0 offset:640
	buffer_store_dword v166, off, s[0:3], 0 offset:644
	;; [unrolled: 1-line block ×4, first 2 shown]
.LBB123_494:                            ; =>This Inner Loop Header: Depth=1
	v_add3_u32 v1, v181, 0, 0x290
	v_add_nc_u32_e32 v5, s6, v1
	ds_read2_b64 v[1:4], v5 offset1:1
	s_waitcnt lgkmcnt(0)
	v_mul_f64 v[169:170], v[3:4], v[167:168]
	v_fma_f64 v[169:170], v[1:2], v[165:166], -v[169:170]
	v_mul_f64 v[1:2], v[1:2], v[167:168]
	v_fma_f64 v[2:3], v[3:4], v[165:166], v[1:2]
	v_mov_b32_e32 v1, s6
	s_addk_i32 s6, 0x70
	s_clause 0xf
	buffer_load_dword v171, v1, s[0:3], 0 offen offset:656
	buffer_load_dword v172, v1, s[0:3], 0 offen offset:660
	;; [unrolled: 1-line block ×16, first 2 shown]
	s_cmpk_lg_i32 s6, 0x150
	s_waitcnt vmcnt(14)
	v_add_f64 v[169:170], v[171:172], -v[169:170]
	s_waitcnt vmcnt(12)
	v_add_f64 v[2:3], v[173:174], -v[2:3]
	buffer_store_dword v169, v1, s[0:3], 0 offen offset:656
	buffer_store_dword v170, v1, s[0:3], 0 offen offset:660
	buffer_store_dword v2, v1, s[0:3], 0 offen offset:664
	buffer_store_dword v3, v1, s[0:3], 0 offen offset:668
	ds_read2_b64 v[169:172], v5 offset0:2 offset1:3
	s_waitcnt lgkmcnt(0)
	v_mul_f64 v[2:3], v[171:172], v[167:168]
	v_fma_f64 v[2:3], v[169:170], v[165:166], -v[2:3]
	v_mul_f64 v[169:170], v[169:170], v[167:168]
	s_waitcnt vmcnt(10)
	v_add_f64 v[2:3], v[175:176], -v[2:3]
	v_fma_f64 v[169:170], v[171:172], v[165:166], v[169:170]
	s_waitcnt vmcnt(8)
	v_add_f64 v[169:170], v[177:178], -v[169:170]
	buffer_store_dword v2, v1, s[0:3], 0 offen offset:672
	buffer_store_dword v3, v1, s[0:3], 0 offen offset:676
	buffer_store_dword v169, v1, s[0:3], 0 offen offset:680
	buffer_store_dword v170, v1, s[0:3], 0 offen offset:684
	ds_read2_b64 v[169:172], v5 offset0:4 offset1:5
	s_waitcnt lgkmcnt(0)
	v_mul_f64 v[2:3], v[171:172], v[167:168]
	v_fma_f64 v[2:3], v[169:170], v[165:166], -v[2:3]
	v_mul_f64 v[169:170], v[169:170], v[167:168]
	s_waitcnt vmcnt(6)
	v_add_f64 v[2:3], v[179:180], -v[2:3]
	v_fma_f64 v[169:170], v[171:172], v[165:166], v[169:170]
	;; [unrolled: 14-line block ×3, first 2 shown]
	s_waitcnt vmcnt(0)
	v_add_f64 v[169:170], v[186:187], -v[169:170]
	buffer_store_dword v3, v1, s[0:3], 0 offen offset:708
	buffer_store_dword v2, v1, s[0:3], 0 offen offset:704
	;; [unrolled: 1-line block ×4, first 2 shown]
	ds_read2_b64 v[169:172], v5 offset0:8 offset1:9
	s_waitcnt lgkmcnt(0)
	v_mul_f64 v[2:3], v[171:172], v[167:168]
	v_fma_f64 v[2:3], v[169:170], v[165:166], -v[2:3]
	v_mul_f64 v[169:170], v[169:170], v[167:168]
	v_fma_f64 v[169:170], v[171:172], v[165:166], v[169:170]
	s_clause 0x3
	buffer_load_dword v171, v1, s[0:3], 0 offen offset:720
	buffer_load_dword v172, v1, s[0:3], 0 offen offset:724
	;; [unrolled: 1-line block ×4, first 2 shown]
	s_waitcnt vmcnt(2)
	v_add_f64 v[2:3], v[171:172], -v[2:3]
	s_waitcnt vmcnt(0)
	v_add_f64 v[169:170], v[173:174], -v[169:170]
	buffer_store_dword v3, v1, s[0:3], 0 offen offset:724
	buffer_store_dword v2, v1, s[0:3], 0 offen offset:720
	;; [unrolled: 1-line block ×4, first 2 shown]
	ds_read2_b64 v[169:172], v5 offset0:10 offset1:11
	s_waitcnt lgkmcnt(0)
	v_mul_f64 v[2:3], v[171:172], v[167:168]
	v_mul_f64 v[167:168], v[169:170], v[167:168]
	v_fma_f64 v[2:3], v[169:170], v[165:166], -v[2:3]
	v_fma_f64 v[165:166], v[171:172], v[165:166], v[167:168]
	s_clause 0x3
	buffer_load_dword v167, v1, s[0:3], 0 offen offset:736
	buffer_load_dword v168, v1, s[0:3], 0 offen offset:740
	;; [unrolled: 1-line block ×4, first 2 shown]
	s_waitcnt vmcnt(2)
	v_add_f64 v[2:3], v[167:168], -v[2:3]
	s_waitcnt vmcnt(0)
	v_add_f64 v[165:166], v[169:170], -v[165:166]
	buffer_store_dword v3, v1, s[0:3], 0 offen offset:740
	buffer_store_dword v2, v1, s[0:3], 0 offen offset:736
	;; [unrolled: 1-line block ×4, first 2 shown]
	ds_read2_b64 v[169:172], v5 offset0:12 offset1:13
	s_clause 0x3
	buffer_load_dword v165, off, s[0:3], 0 offset:640
	buffer_load_dword v166, off, s[0:3], 0 offset:644
	;; [unrolled: 1-line block ×4, first 2 shown]
	s_waitcnt vmcnt(0) lgkmcnt(0)
	v_mul_f64 v[2:3], v[171:172], v[167:168]
	v_fma_f64 v[2:3], v[169:170], v[165:166], -v[2:3]
	v_mul_f64 v[169:170], v[169:170], v[167:168]
	v_fma_f64 v[169:170], v[171:172], v[165:166], v[169:170]
	s_clause 0x3
	buffer_load_dword v171, v1, s[0:3], 0 offen offset:752
	buffer_load_dword v172, v1, s[0:3], 0 offen offset:756
	;; [unrolled: 1-line block ×4, first 2 shown]
	s_waitcnt vmcnt(2)
	v_add_f64 v[2:3], v[171:172], -v[2:3]
	s_waitcnt vmcnt(0)
	v_add_f64 v[169:170], v[173:174], -v[169:170]
	buffer_store_dword v3, v1, s[0:3], 0 offen offset:756
	buffer_store_dword v2, v1, s[0:3], 0 offen offset:752
	buffer_store_dword v170, v1, s[0:3], 0 offen offset:764
	buffer_store_dword v169, v1, s[0:3], 0 offen offset:760
	s_cbranch_scc1 .LBB123_494
.LBB123_495:
	s_or_b32 exec_lo, exec_lo, s5
	s_mov_b32 s6, exec_lo
	s_waitcnt lgkmcnt(0)
	s_waitcnt_vscnt null, 0x0
	s_barrier
	buffer_gl0_inv
	v_cmpx_eq_u32_e32 41, v0
	s_cbranch_execz .LBB123_502
; %bb.496:
	v_mov_b32_e32 v4, s34
	s_clause 0x3
	buffer_load_dword v1, v4, s[0:3], 0 offen
	buffer_load_dword v2, v4, s[0:3], 0 offen offset:4
	buffer_load_dword v3, v4, s[0:3], 0 offen offset:8
	;; [unrolled: 1-line block ×3, first 2 shown]
	s_waitcnt vmcnt(0)
	ds_write2_b64 v255, v[1:2], v[3:4] offset1:1
	v_mov_b32_e32 v4, s33
	s_clause 0x3
	buffer_load_dword v1, v4, s[0:3], 0 offen
	buffer_load_dword v2, v4, s[0:3], 0 offen offset:4
	buffer_load_dword v3, v4, s[0:3], 0 offen offset:8
	buffer_load_dword v4, v4, s[0:3], 0 offen offset:12
	s_waitcnt vmcnt(0)
	ds_write2_b64 v245, v[1:2], v[3:4] offset0:84 offset1:85
	v_mov_b32_e32 v4, s31
	s_clause 0x3
	buffer_load_dword v1, v4, s[0:3], 0 offen
	buffer_load_dword v2, v4, s[0:3], 0 offen offset:4
	buffer_load_dword v3, v4, s[0:3], 0 offen offset:8
	buffer_load_dword v4, v4, s[0:3], 0 offen offset:12
	s_waitcnt vmcnt(0)
	ds_write2_b64 v245, v[1:2], v[3:4] offset0:86 offset1:87
	;; [unrolled: 8-line block ×20, first 2 shown]
	ds_read2_b64 v[165:168], v255 offset1:1
	s_waitcnt lgkmcnt(0)
	v_cmp_neq_f64_e32 vcc_lo, 0, v[165:166]
	v_cmp_neq_f64_e64 s5, 0, v[167:168]
	s_or_b32 s5, vcc_lo, s5
	s_and_b32 exec_lo, exec_lo, s5
	s_cbranch_execz .LBB123_502
; %bb.497:
	v_cmp_ngt_f64_e64 s5, |v[165:166]|, |v[167:168]|
                                        ; implicit-def: $vgpr1_vgpr2
	s_and_saveexec_b32 s7, s5
	s_xor_b32 s5, exec_lo, s7
                                        ; implicit-def: $vgpr3_vgpr4
	s_cbranch_execz .LBB123_499
; %bb.498:
	v_div_scale_f64 v[1:2], null, v[167:168], v[167:168], v[165:166]
	v_div_scale_f64 v[171:172], vcc_lo, v[165:166], v[167:168], v[165:166]
	v_rcp_f64_e32 v[3:4], v[1:2]
	v_fma_f64 v[169:170], -v[1:2], v[3:4], 1.0
	v_fma_f64 v[3:4], v[3:4], v[169:170], v[3:4]
	v_fma_f64 v[169:170], -v[1:2], v[3:4], 1.0
	v_fma_f64 v[3:4], v[3:4], v[169:170], v[3:4]
	v_mul_f64 v[169:170], v[171:172], v[3:4]
	v_fma_f64 v[1:2], -v[1:2], v[169:170], v[171:172]
	v_div_fmas_f64 v[1:2], v[1:2], v[3:4], v[169:170]
	v_div_fixup_f64 v[1:2], v[1:2], v[167:168], v[165:166]
	v_fma_f64 v[3:4], v[165:166], v[1:2], v[167:168]
	v_div_scale_f64 v[165:166], null, v[3:4], v[3:4], 1.0
	v_rcp_f64_e32 v[167:168], v[165:166]
	v_fma_f64 v[169:170], -v[165:166], v[167:168], 1.0
	v_fma_f64 v[167:168], v[167:168], v[169:170], v[167:168]
	v_fma_f64 v[169:170], -v[165:166], v[167:168], 1.0
	v_fma_f64 v[167:168], v[167:168], v[169:170], v[167:168]
	v_div_scale_f64 v[169:170], vcc_lo, 1.0, v[3:4], 1.0
	v_mul_f64 v[171:172], v[169:170], v[167:168]
	v_fma_f64 v[165:166], -v[165:166], v[171:172], v[169:170]
	v_div_fmas_f64 v[165:166], v[165:166], v[167:168], v[171:172]
	v_div_fixup_f64 v[3:4], v[165:166], v[3:4], 1.0
                                        ; implicit-def: $vgpr165_vgpr166
	v_mul_f64 v[1:2], v[1:2], v[3:4]
	v_xor_b32_e32 v4, 0x80000000, v4
.LBB123_499:
	s_andn2_saveexec_b32 s5, s5
	s_cbranch_execz .LBB123_501
; %bb.500:
	v_div_scale_f64 v[1:2], null, v[165:166], v[165:166], v[167:168]
	v_div_scale_f64 v[171:172], vcc_lo, v[167:168], v[165:166], v[167:168]
	v_rcp_f64_e32 v[3:4], v[1:2]
	v_fma_f64 v[169:170], -v[1:2], v[3:4], 1.0
	v_fma_f64 v[3:4], v[3:4], v[169:170], v[3:4]
	v_fma_f64 v[169:170], -v[1:2], v[3:4], 1.0
	v_fma_f64 v[3:4], v[3:4], v[169:170], v[3:4]
	v_mul_f64 v[169:170], v[171:172], v[3:4]
	v_fma_f64 v[1:2], -v[1:2], v[169:170], v[171:172]
	v_div_fmas_f64 v[1:2], v[1:2], v[3:4], v[169:170]
	v_div_fixup_f64 v[3:4], v[1:2], v[165:166], v[167:168]
	v_fma_f64 v[1:2], v[167:168], v[3:4], v[165:166]
	v_div_scale_f64 v[165:166], null, v[1:2], v[1:2], 1.0
	v_rcp_f64_e32 v[167:168], v[165:166]
	v_fma_f64 v[169:170], -v[165:166], v[167:168], 1.0
	v_fma_f64 v[167:168], v[167:168], v[169:170], v[167:168]
	v_fma_f64 v[169:170], -v[165:166], v[167:168], 1.0
	v_fma_f64 v[167:168], v[167:168], v[169:170], v[167:168]
	v_div_scale_f64 v[169:170], vcc_lo, 1.0, v[1:2], 1.0
	v_mul_f64 v[171:172], v[169:170], v[167:168]
	v_fma_f64 v[165:166], -v[165:166], v[171:172], v[169:170]
	v_div_fmas_f64 v[165:166], v[165:166], v[167:168], v[171:172]
	v_div_fixup_f64 v[1:2], v[165:166], v[1:2], 1.0
	v_mul_f64 v[3:4], v[3:4], -v[1:2]
.LBB123_501:
	s_or_b32 exec_lo, exec_lo, s5
	ds_write2_b64 v255, v[1:2], v[3:4] offset1:1
.LBB123_502:
	s_or_b32 exec_lo, exec_lo, s6
	s_waitcnt lgkmcnt(0)
	s_barrier
	buffer_gl0_inv
	ds_read2_b64 v[165:168], v255 offset1:1
	s_mov_b32 s5, exec_lo
	v_cmpx_lt_u32_e32 41, v0
	s_cbranch_execz .LBB123_505
; %bb.503:
	s_clause 0x3
	buffer_load_dword v1, off, s[0:3], 0 offset:664
	buffer_load_dword v2, off, s[0:3], 0 offset:668
	;; [unrolled: 1-line block ×4, first 2 shown]
	s_mov_b32 s6, 0
	s_waitcnt vmcnt(2) lgkmcnt(0)
	v_mul_f64 v[169:170], v[167:168], v[1:2]
	v_mul_f64 v[1:2], v[165:166], v[1:2]
	s_waitcnt vmcnt(0)
	v_fma_f64 v[169:170], v[165:166], v[3:4], -v[169:170]
	v_fma_f64 v[171:172], v[167:168], v[3:4], v[1:2]
	buffer_store_dword v169, off, s[0:3], 0 offset:656
	buffer_store_dword v170, off, s[0:3], 0 offset:660
	;; [unrolled: 1-line block ×4, first 2 shown]
.LBB123_504:                            ; =>This Inner Loop Header: Depth=1
	v_add3_u32 v1, v181, 0, 0x2a0
	v_mov_b32_e32 v6, s6
	v_add_nc_u32_e32 v5, s6, v1
	s_addk_i32 s6, 0x50
	s_cmpk_lg_i32 s6, 0x140
	ds_read2_b64 v[1:4], v5 offset1:1
	s_waitcnt lgkmcnt(0)
	v_mul_f64 v[173:174], v[3:4], v[171:172]
	v_fma_f64 v[173:174], v[1:2], v[169:170], -v[173:174]
	v_mul_f64 v[1:2], v[1:2], v[171:172]
	v_fma_f64 v[1:2], v[3:4], v[169:170], v[1:2]
	s_clause 0xf
	buffer_load_dword v3, v6, s[0:3], 0 offen offset:672
	buffer_load_dword v4, v6, s[0:3], 0 offen offset:676
	;; [unrolled: 1-line block ×16, first 2 shown]
	s_waitcnt vmcnt(14)
	v_add_f64 v[3:4], v[3:4], -v[173:174]
	s_waitcnt vmcnt(12)
	v_add_f64 v[1:2], v[175:176], -v[1:2]
	buffer_store_dword v3, v6, s[0:3], 0 offen offset:672
	buffer_store_dword v4, v6, s[0:3], 0 offen offset:676
	buffer_store_dword v1, v6, s[0:3], 0 offen offset:680
	buffer_store_dword v2, v6, s[0:3], 0 offen offset:684
	ds_read2_b64 v[1:4], v5 offset0:2 offset1:3
	s_waitcnt lgkmcnt(0)
	v_mul_f64 v[173:174], v[3:4], v[171:172]
	v_fma_f64 v[173:174], v[1:2], v[169:170], -v[173:174]
	v_mul_f64 v[1:2], v[1:2], v[171:172]
	v_fma_f64 v[1:2], v[3:4], v[169:170], v[1:2]
	s_waitcnt vmcnt(10)
	v_add_f64 v[3:4], v[177:178], -v[173:174]
	s_waitcnt vmcnt(8)
	v_add_f64 v[1:2], v[179:180], -v[1:2]
	buffer_store_dword v3, v6, s[0:3], 0 offen offset:688
	buffer_store_dword v4, v6, s[0:3], 0 offen offset:692
	buffer_store_dword v1, v6, s[0:3], 0 offen offset:696
	buffer_store_dword v2, v6, s[0:3], 0 offen offset:700
	ds_read2_b64 v[1:4], v5 offset0:4 offset1:5
	s_waitcnt lgkmcnt(0)
	v_mul_f64 v[173:174], v[3:4], v[171:172]
	v_fma_f64 v[173:174], v[1:2], v[169:170], -v[173:174]
	v_mul_f64 v[1:2], v[1:2], v[171:172]
	v_fma_f64 v[1:2], v[3:4], v[169:170], v[1:2]
	;; [unrolled: 14-line block ×4, first 2 shown]
	s_clause 0x3
	buffer_load_dword v3, v6, s[0:3], 0 offen offset:736
	buffer_load_dword v4, v6, s[0:3], 0 offen offset:740
	;; [unrolled: 1-line block ×4, first 2 shown]
	s_waitcnt vmcnt(2)
	v_add_f64 v[3:4], v[3:4], -v[173:174]
	s_waitcnt vmcnt(0)
	v_add_f64 v[1:2], v[175:176], -v[1:2]
	buffer_store_dword v4, v6, s[0:3], 0 offen offset:740
	buffer_store_dword v3, v6, s[0:3], 0 offen offset:736
	;; [unrolled: 1-line block ×4, first 2 shown]
	s_cbranch_scc1 .LBB123_504
.LBB123_505:
	s_or_b32 exec_lo, exec_lo, s5
	s_mov_b32 s6, exec_lo
	s_waitcnt lgkmcnt(0)
	s_waitcnt_vscnt null, 0x0
	s_barrier
	buffer_gl0_inv
	v_cmpx_eq_u32_e32 42, v0
	s_cbranch_execz .LBB123_512
; %bb.506:
	v_mov_b32_e32 v4, s33
	s_clause 0x3
	buffer_load_dword v1, v4, s[0:3], 0 offen
	buffer_load_dword v2, v4, s[0:3], 0 offen offset:4
	buffer_load_dword v3, v4, s[0:3], 0 offen offset:8
	;; [unrolled: 1-line block ×3, first 2 shown]
	s_waitcnt vmcnt(0)
	ds_write2_b64 v255, v[1:2], v[3:4] offset1:1
	v_mov_b32_e32 v4, s31
	s_clause 0x3
	buffer_load_dword v1, v4, s[0:3], 0 offen
	buffer_load_dword v2, v4, s[0:3], 0 offen offset:4
	buffer_load_dword v3, v4, s[0:3], 0 offen offset:8
	buffer_load_dword v4, v4, s[0:3], 0 offen offset:12
	s_waitcnt vmcnt(0)
	ds_write2_b64 v245, v[1:2], v[3:4] offset0:86 offset1:87
	v_mov_b32_e32 v4, s30
	s_clause 0x3
	buffer_load_dword v1, v4, s[0:3], 0 offen
	buffer_load_dword v2, v4, s[0:3], 0 offen offset:4
	buffer_load_dword v3, v4, s[0:3], 0 offen offset:8
	buffer_load_dword v4, v4, s[0:3], 0 offen offset:12
	s_waitcnt vmcnt(0)
	ds_write2_b64 v245, v[1:2], v[3:4] offset0:88 offset1:89
	;; [unrolled: 8-line block ×19, first 2 shown]
	ds_read2_b64 v[169:172], v255 offset1:1
	s_waitcnt lgkmcnt(0)
	v_cmp_neq_f64_e32 vcc_lo, 0, v[169:170]
	v_cmp_neq_f64_e64 s5, 0, v[171:172]
	s_or_b32 s5, vcc_lo, s5
	s_and_b32 exec_lo, exec_lo, s5
	s_cbranch_execz .LBB123_512
; %bb.507:
	v_cmp_ngt_f64_e64 s5, |v[169:170]|, |v[171:172]|
                                        ; implicit-def: $vgpr1_vgpr2
	s_and_saveexec_b32 s7, s5
	s_xor_b32 s5, exec_lo, s7
                                        ; implicit-def: $vgpr3_vgpr4
	s_cbranch_execz .LBB123_509
; %bb.508:
	v_div_scale_f64 v[1:2], null, v[171:172], v[171:172], v[169:170]
	v_div_scale_f64 v[175:176], vcc_lo, v[169:170], v[171:172], v[169:170]
	v_rcp_f64_e32 v[3:4], v[1:2]
	v_fma_f64 v[173:174], -v[1:2], v[3:4], 1.0
	v_fma_f64 v[3:4], v[3:4], v[173:174], v[3:4]
	v_fma_f64 v[173:174], -v[1:2], v[3:4], 1.0
	v_fma_f64 v[3:4], v[3:4], v[173:174], v[3:4]
	v_mul_f64 v[173:174], v[175:176], v[3:4]
	v_fma_f64 v[1:2], -v[1:2], v[173:174], v[175:176]
	v_div_fmas_f64 v[1:2], v[1:2], v[3:4], v[173:174]
	v_div_fixup_f64 v[1:2], v[1:2], v[171:172], v[169:170]
	v_fma_f64 v[3:4], v[169:170], v[1:2], v[171:172]
	v_div_scale_f64 v[169:170], null, v[3:4], v[3:4], 1.0
	v_rcp_f64_e32 v[171:172], v[169:170]
	v_fma_f64 v[173:174], -v[169:170], v[171:172], 1.0
	v_fma_f64 v[171:172], v[171:172], v[173:174], v[171:172]
	v_fma_f64 v[173:174], -v[169:170], v[171:172], 1.0
	v_fma_f64 v[171:172], v[171:172], v[173:174], v[171:172]
	v_div_scale_f64 v[173:174], vcc_lo, 1.0, v[3:4], 1.0
	v_mul_f64 v[175:176], v[173:174], v[171:172]
	v_fma_f64 v[169:170], -v[169:170], v[175:176], v[173:174]
	v_div_fmas_f64 v[169:170], v[169:170], v[171:172], v[175:176]
	v_div_fixup_f64 v[3:4], v[169:170], v[3:4], 1.0
                                        ; implicit-def: $vgpr169_vgpr170
	v_mul_f64 v[1:2], v[1:2], v[3:4]
	v_xor_b32_e32 v4, 0x80000000, v4
.LBB123_509:
	s_andn2_saveexec_b32 s5, s5
	s_cbranch_execz .LBB123_511
; %bb.510:
	v_div_scale_f64 v[1:2], null, v[169:170], v[169:170], v[171:172]
	v_div_scale_f64 v[175:176], vcc_lo, v[171:172], v[169:170], v[171:172]
	v_rcp_f64_e32 v[3:4], v[1:2]
	v_fma_f64 v[173:174], -v[1:2], v[3:4], 1.0
	v_fma_f64 v[3:4], v[3:4], v[173:174], v[3:4]
	v_fma_f64 v[173:174], -v[1:2], v[3:4], 1.0
	v_fma_f64 v[3:4], v[3:4], v[173:174], v[3:4]
	v_mul_f64 v[173:174], v[175:176], v[3:4]
	v_fma_f64 v[1:2], -v[1:2], v[173:174], v[175:176]
	v_div_fmas_f64 v[1:2], v[1:2], v[3:4], v[173:174]
	v_div_fixup_f64 v[3:4], v[1:2], v[169:170], v[171:172]
	v_fma_f64 v[1:2], v[171:172], v[3:4], v[169:170]
	v_div_scale_f64 v[169:170], null, v[1:2], v[1:2], 1.0
	v_rcp_f64_e32 v[171:172], v[169:170]
	v_fma_f64 v[173:174], -v[169:170], v[171:172], 1.0
	v_fma_f64 v[171:172], v[171:172], v[173:174], v[171:172]
	v_fma_f64 v[173:174], -v[169:170], v[171:172], 1.0
	v_fma_f64 v[171:172], v[171:172], v[173:174], v[171:172]
	v_div_scale_f64 v[173:174], vcc_lo, 1.0, v[1:2], 1.0
	v_mul_f64 v[175:176], v[173:174], v[171:172]
	v_fma_f64 v[169:170], -v[169:170], v[175:176], v[173:174]
	v_div_fmas_f64 v[169:170], v[169:170], v[171:172], v[175:176]
	v_div_fixup_f64 v[1:2], v[169:170], v[1:2], 1.0
	v_mul_f64 v[3:4], v[3:4], -v[1:2]
.LBB123_511:
	s_or_b32 exec_lo, exec_lo, s5
	ds_write2_b64 v255, v[1:2], v[3:4] offset1:1
.LBB123_512:
	s_or_b32 exec_lo, exec_lo, s6
	s_waitcnt lgkmcnt(0)
	s_barrier
	buffer_gl0_inv
	ds_read2_b64 v[169:172], v255 offset1:1
	s_mov_b32 s5, exec_lo
	v_cmpx_lt_u32_e32 42, v0
	s_cbranch_execz .LBB123_517
; %bb.513:
	s_clause 0x3
	buffer_load_dword v1, off, s[0:3], 0 offset:680
	buffer_load_dword v2, off, s[0:3], 0 offset:684
	;; [unrolled: 1-line block ×4, first 2 shown]
	s_mov_b32 s6, 0
	s_waitcnt vmcnt(2) lgkmcnt(0)
	v_mul_f64 v[173:174], v[171:172], v[1:2]
	v_mul_f64 v[1:2], v[169:170], v[1:2]
	s_waitcnt vmcnt(0)
	v_fma_f64 v[173:174], v[169:170], v[3:4], -v[173:174]
	v_fma_f64 v[175:176], v[171:172], v[3:4], v[1:2]
	buffer_store_dword v173, off, s[0:3], 0 offset:672
	buffer_store_dword v174, off, s[0:3], 0 offset:676
	;; [unrolled: 1-line block ×4, first 2 shown]
	s_branch .LBB123_515
.LBB123_514:                            ;   in Loop: Header=BB123_515 Depth=1
	s_andn2_b32 vcc_lo, exec_lo, s8
	s_cbranch_vccz .LBB123_517
.LBB123_515:                            ; =>This Inner Loop Header: Depth=1
	v_add3_u32 v1, v181, 0, 0x2b0
	v_mov_b32_e32 v4, s6
	s_mov_b32 s7, s6
	s_mov_b32 s8, -1
	s_cmpk_eq_i32 s6, 0x100
	v_add_nc_u32_e32 v1, s6, v1
	ds_read2_b64 v[177:180], v1 offset1:1
	s_waitcnt lgkmcnt(0)
	v_mul_f64 v[2:3], v[179:180], v[175:176]
	v_fma_f64 v[2:3], v[177:178], v[173:174], -v[2:3]
	v_mul_f64 v[177:178], v[177:178], v[175:176]
	v_fma_f64 v[177:178], v[179:180], v[173:174], v[177:178]
	s_clause 0xb
	buffer_load_dword v179, v4, s[0:3], 0 offen offset:688
	buffer_load_dword v180, v4, s[0:3], 0 offen offset:692
	;; [unrolled: 1-line block ×12, first 2 shown]
	s_waitcnt vmcnt(10)
	v_add_f64 v[2:3], v[179:180], -v[2:3]
	s_waitcnt vmcnt(8)
	v_add_f64 v[177:178], v[182:183], -v[177:178]
	buffer_store_dword v2, v4, s[0:3], 0 offen offset:688
	buffer_store_dword v3, v4, s[0:3], 0 offen offset:692
	buffer_store_dword v177, v4, s[0:3], 0 offen offset:696
	buffer_store_dword v178, v4, s[0:3], 0 offen offset:700
	ds_read2_b64 v[177:180], v1 offset0:2 offset1:3
	s_waitcnt lgkmcnt(0)
	v_mul_f64 v[2:3], v[179:180], v[175:176]
	v_fma_f64 v[2:3], v[177:178], v[173:174], -v[2:3]
	v_mul_f64 v[177:178], v[177:178], v[175:176]
	s_waitcnt vmcnt(6)
	v_add_f64 v[2:3], v[184:185], -v[2:3]
	v_fma_f64 v[177:178], v[179:180], v[173:174], v[177:178]
	s_waitcnt vmcnt(4)
	v_add_f64 v[177:178], v[186:187], -v[177:178]
	buffer_store_dword v2, v4, s[0:3], 0 offen offset:704
	buffer_store_dword v3, v4, s[0:3], 0 offen offset:708
	;; [unrolled: 1-line block ×4, first 2 shown]
	ds_read2_b64 v[177:180], v1 offset0:4 offset1:5
	s_waitcnt lgkmcnt(0)
	v_mul_f64 v[2:3], v[179:180], v[175:176]
	v_fma_f64 v[2:3], v[177:178], v[173:174], -v[2:3]
	v_mul_f64 v[177:178], v[177:178], v[175:176]
	s_waitcnt vmcnt(2)
	v_add_f64 v[2:3], v[188:189], -v[2:3]
	v_fma_f64 v[177:178], v[179:180], v[173:174], v[177:178]
	s_waitcnt vmcnt(0)
	v_add_f64 v[177:178], v[190:191], -v[177:178]
	buffer_store_dword v2, v4, s[0:3], 0 offen offset:720
	buffer_store_dword v3, v4, s[0:3], 0 offen offset:724
	;; [unrolled: 1-line block ×4, first 2 shown]
	s_cbranch_scc1 .LBB123_514
; %bb.516:                              ;   in Loop: Header=BB123_515 Depth=1
	ds_read2_b64 v[1:4], v1 offset0:6 offset1:7
	v_mov_b32_e32 v5, s7
	s_add_i32 s6, s6, 64
	s_mov_b32 s8, 0
	s_waitcnt lgkmcnt(0)
	v_mul_f64 v[177:178], v[3:4], v[175:176]
	v_fma_f64 v[177:178], v[1:2], v[173:174], -v[177:178]
	v_mul_f64 v[1:2], v[1:2], v[175:176]
	v_fma_f64 v[1:2], v[3:4], v[173:174], v[1:2]
	s_clause 0x3
	buffer_load_dword v3, v5, s[0:3], 0 offen offset:736
	buffer_load_dword v4, v5, s[0:3], 0 offen offset:740
	;; [unrolled: 1-line block ×4, first 2 shown]
	s_waitcnt vmcnt(2)
	v_add_f64 v[3:4], v[3:4], -v[177:178]
	s_waitcnt vmcnt(0)
	v_add_f64 v[1:2], v[179:180], -v[1:2]
	buffer_store_dword v3, v5, s[0:3], 0 offen offset:736
	buffer_store_dword v4, v5, s[0:3], 0 offen offset:740
	buffer_store_dword v1, v5, s[0:3], 0 offen offset:744
	buffer_store_dword v2, v5, s[0:3], 0 offen offset:748
	s_branch .LBB123_514
.LBB123_517:
	s_or_b32 exec_lo, exec_lo, s5
	s_mov_b32 s6, exec_lo
	s_waitcnt lgkmcnt(0)
	s_waitcnt_vscnt null, 0x0
	s_barrier
	buffer_gl0_inv
	v_cmpx_eq_u32_e32 43, v0
	s_cbranch_execz .LBB123_524
; %bb.518:
	v_mov_b32_e32 v4, s31
	s_clause 0x3
	buffer_load_dword v1, v4, s[0:3], 0 offen
	buffer_load_dword v2, v4, s[0:3], 0 offen offset:4
	buffer_load_dword v3, v4, s[0:3], 0 offen offset:8
	buffer_load_dword v4, v4, s[0:3], 0 offen offset:12
	s_waitcnt vmcnt(0)
	ds_write2_b64 v255, v[1:2], v[3:4] offset1:1
	v_mov_b32_e32 v4, s30
	s_clause 0x3
	buffer_load_dword v1, v4, s[0:3], 0 offen
	buffer_load_dword v2, v4, s[0:3], 0 offen offset:4
	buffer_load_dword v3, v4, s[0:3], 0 offen offset:8
	buffer_load_dword v4, v4, s[0:3], 0 offen offset:12
	s_waitcnt vmcnt(0)
	ds_write2_b64 v245, v[1:2], v[3:4] offset0:88 offset1:89
	v_mov_b32_e32 v4, s29
	s_clause 0x3
	buffer_load_dword v1, v4, s[0:3], 0 offen
	buffer_load_dword v2, v4, s[0:3], 0 offen offset:4
	buffer_load_dword v3, v4, s[0:3], 0 offen offset:8
	buffer_load_dword v4, v4, s[0:3], 0 offen offset:12
	s_waitcnt vmcnt(0)
	ds_write2_b64 v245, v[1:2], v[3:4] offset0:90 offset1:91
	;; [unrolled: 8-line block ×18, first 2 shown]
	ds_read2_b64 v[173:176], v255 offset1:1
	s_waitcnt lgkmcnt(0)
	v_cmp_neq_f64_e32 vcc_lo, 0, v[173:174]
	v_cmp_neq_f64_e64 s5, 0, v[175:176]
	s_or_b32 s5, vcc_lo, s5
	s_and_b32 exec_lo, exec_lo, s5
	s_cbranch_execz .LBB123_524
; %bb.519:
	v_cmp_ngt_f64_e64 s5, |v[173:174]|, |v[175:176]|
                                        ; implicit-def: $vgpr1_vgpr2
	s_and_saveexec_b32 s7, s5
	s_xor_b32 s5, exec_lo, s7
                                        ; implicit-def: $vgpr3_vgpr4
	s_cbranch_execz .LBB123_521
; %bb.520:
	v_div_scale_f64 v[1:2], null, v[175:176], v[175:176], v[173:174]
	v_div_scale_f64 v[179:180], vcc_lo, v[173:174], v[175:176], v[173:174]
	v_rcp_f64_e32 v[3:4], v[1:2]
	v_fma_f64 v[177:178], -v[1:2], v[3:4], 1.0
	v_fma_f64 v[3:4], v[3:4], v[177:178], v[3:4]
	v_fma_f64 v[177:178], -v[1:2], v[3:4], 1.0
	v_fma_f64 v[3:4], v[3:4], v[177:178], v[3:4]
	v_mul_f64 v[177:178], v[179:180], v[3:4]
	v_fma_f64 v[1:2], -v[1:2], v[177:178], v[179:180]
	v_div_fmas_f64 v[1:2], v[1:2], v[3:4], v[177:178]
	v_div_fixup_f64 v[1:2], v[1:2], v[175:176], v[173:174]
	v_fma_f64 v[3:4], v[173:174], v[1:2], v[175:176]
	v_div_scale_f64 v[173:174], null, v[3:4], v[3:4], 1.0
	v_rcp_f64_e32 v[175:176], v[173:174]
	v_fma_f64 v[177:178], -v[173:174], v[175:176], 1.0
	v_fma_f64 v[175:176], v[175:176], v[177:178], v[175:176]
	v_fma_f64 v[177:178], -v[173:174], v[175:176], 1.0
	v_fma_f64 v[175:176], v[175:176], v[177:178], v[175:176]
	v_div_scale_f64 v[177:178], vcc_lo, 1.0, v[3:4], 1.0
	v_mul_f64 v[179:180], v[177:178], v[175:176]
	v_fma_f64 v[173:174], -v[173:174], v[179:180], v[177:178]
	v_div_fmas_f64 v[173:174], v[173:174], v[175:176], v[179:180]
	v_div_fixup_f64 v[3:4], v[173:174], v[3:4], 1.0
                                        ; implicit-def: $vgpr173_vgpr174
	v_mul_f64 v[1:2], v[1:2], v[3:4]
	v_xor_b32_e32 v4, 0x80000000, v4
.LBB123_521:
	s_andn2_saveexec_b32 s5, s5
	s_cbranch_execz .LBB123_523
; %bb.522:
	v_div_scale_f64 v[1:2], null, v[173:174], v[173:174], v[175:176]
	v_div_scale_f64 v[179:180], vcc_lo, v[175:176], v[173:174], v[175:176]
	v_rcp_f64_e32 v[3:4], v[1:2]
	v_fma_f64 v[177:178], -v[1:2], v[3:4], 1.0
	v_fma_f64 v[3:4], v[3:4], v[177:178], v[3:4]
	v_fma_f64 v[177:178], -v[1:2], v[3:4], 1.0
	v_fma_f64 v[3:4], v[3:4], v[177:178], v[3:4]
	v_mul_f64 v[177:178], v[179:180], v[3:4]
	v_fma_f64 v[1:2], -v[1:2], v[177:178], v[179:180]
	v_div_fmas_f64 v[1:2], v[1:2], v[3:4], v[177:178]
	v_div_fixup_f64 v[3:4], v[1:2], v[173:174], v[175:176]
	v_fma_f64 v[1:2], v[175:176], v[3:4], v[173:174]
	v_div_scale_f64 v[173:174], null, v[1:2], v[1:2], 1.0
	v_rcp_f64_e32 v[175:176], v[173:174]
	v_fma_f64 v[177:178], -v[173:174], v[175:176], 1.0
	v_fma_f64 v[175:176], v[175:176], v[177:178], v[175:176]
	v_fma_f64 v[177:178], -v[173:174], v[175:176], 1.0
	v_fma_f64 v[175:176], v[175:176], v[177:178], v[175:176]
	v_div_scale_f64 v[177:178], vcc_lo, 1.0, v[1:2], 1.0
	v_mul_f64 v[179:180], v[177:178], v[175:176]
	v_fma_f64 v[173:174], -v[173:174], v[179:180], v[177:178]
	v_div_fmas_f64 v[173:174], v[173:174], v[175:176], v[179:180]
	v_div_fixup_f64 v[1:2], v[173:174], v[1:2], 1.0
	v_mul_f64 v[3:4], v[3:4], -v[1:2]
.LBB123_523:
	s_or_b32 exec_lo, exec_lo, s5
	ds_write2_b64 v255, v[1:2], v[3:4] offset1:1
.LBB123_524:
	s_or_b32 exec_lo, exec_lo, s6
	s_waitcnt lgkmcnt(0)
	s_barrier
	buffer_gl0_inv
	ds_read2_b64 v[173:176], v255 offset1:1
	s_mov_b32 s5, exec_lo
	v_cmpx_lt_u32_e32 43, v0
	s_cbranch_execz .LBB123_527
; %bb.525:
	s_clause 0x3
	buffer_load_dword v1, off, s[0:3], 0 offset:696
	buffer_load_dword v2, off, s[0:3], 0 offset:700
	;; [unrolled: 1-line block ×4, first 2 shown]
	s_mov_b32 s6, 0
	s_waitcnt vmcnt(2) lgkmcnt(0)
	v_mul_f64 v[177:178], v[175:176], v[1:2]
	v_mul_f64 v[1:2], v[173:174], v[1:2]
	s_waitcnt vmcnt(0)
	v_fma_f64 v[177:178], v[173:174], v[3:4], -v[177:178]
	v_fma_f64 v[179:180], v[175:176], v[3:4], v[1:2]
	v_add3_u32 v1, v181, 0, 0x2c0
	buffer_store_dword v177, off, s[0:3], 0 offset:688
	buffer_store_dword v178, off, s[0:3], 0 offset:692
	;; [unrolled: 1-line block ×4, first 2 shown]
.LBB123_526:                            ; =>This Inner Loop Header: Depth=1
	v_add_nc_u32_e32 v4, s6, v1
	v_mov_b32_e32 v5, s6
	s_addk_i32 s6, 0x60
	s_cmpk_lg_i32 s6, 0x120
	ds_read2_b64 v[181:184], v4 offset1:1
	s_waitcnt lgkmcnt(0)
	v_mul_f64 v[2:3], v[183:184], v[179:180]
	v_fma_f64 v[2:3], v[181:182], v[177:178], -v[2:3]
	v_mul_f64 v[181:182], v[181:182], v[179:180]
	v_fma_f64 v[181:182], v[183:184], v[177:178], v[181:182]
	s_clause 0xf
	buffer_load_dword v183, v5, s[0:3], 0 offen offset:704
	buffer_load_dword v184, v5, s[0:3], 0 offen offset:708
	;; [unrolled: 1-line block ×16, first 2 shown]
	s_waitcnt vmcnt(14)
	v_add_f64 v[2:3], v[183:184], -v[2:3]
	s_waitcnt vmcnt(12)
	v_add_f64 v[181:182], v[185:186], -v[181:182]
	buffer_store_dword v2, v5, s[0:3], 0 offen offset:704
	buffer_store_dword v3, v5, s[0:3], 0 offen offset:708
	buffer_store_dword v181, v5, s[0:3], 0 offen offset:712
	buffer_store_dword v182, v5, s[0:3], 0 offen offset:716
	ds_read2_b64 v[181:184], v4 offset0:2 offset1:3
	s_waitcnt lgkmcnt(0)
	v_mul_f64 v[2:3], v[183:184], v[179:180]
	v_fma_f64 v[2:3], v[181:182], v[177:178], -v[2:3]
	v_mul_f64 v[181:182], v[181:182], v[179:180]
	s_waitcnt vmcnt(10)
	v_add_f64 v[2:3], v[187:188], -v[2:3]
	v_fma_f64 v[181:182], v[183:184], v[177:178], v[181:182]
	s_waitcnt vmcnt(8)
	v_add_f64 v[181:182], v[189:190], -v[181:182]
	buffer_store_dword v2, v5, s[0:3], 0 offen offset:720
	buffer_store_dword v3, v5, s[0:3], 0 offen offset:724
	buffer_store_dword v181, v5, s[0:3], 0 offen offset:728
	buffer_store_dword v182, v5, s[0:3], 0 offen offset:732
	ds_read2_b64 v[181:184], v4 offset0:4 offset1:5
	s_waitcnt lgkmcnt(0)
	v_mul_f64 v[2:3], v[183:184], v[179:180]
	v_fma_f64 v[2:3], v[181:182], v[177:178], -v[2:3]
	v_mul_f64 v[181:182], v[181:182], v[179:180]
	s_waitcnt vmcnt(6)
	v_add_f64 v[2:3], v[191:192], -v[2:3]
	v_fma_f64 v[181:182], v[183:184], v[177:178], v[181:182]
	;; [unrolled: 14-line block ×3, first 2 shown]
	s_waitcnt vmcnt(0)
	v_add_f64 v[181:182], v[197:198], -v[181:182]
	buffer_store_dword v3, v5, s[0:3], 0 offen offset:756
	buffer_store_dword v2, v5, s[0:3], 0 offen offset:752
	;; [unrolled: 1-line block ×4, first 2 shown]
	ds_read2_b64 v[181:184], v4 offset0:8 offset1:9
	s_waitcnt lgkmcnt(0)
	v_mul_f64 v[2:3], v[183:184], v[179:180]
	v_fma_f64 v[2:3], v[181:182], v[177:178], -v[2:3]
	v_mul_f64 v[181:182], v[181:182], v[179:180]
	v_fma_f64 v[181:182], v[183:184], v[177:178], v[181:182]
	s_clause 0x3
	buffer_load_dword v183, v5, s[0:3], 0 offen offset:768
	buffer_load_dword v184, v5, s[0:3], 0 offen offset:772
	;; [unrolled: 1-line block ×4, first 2 shown]
	s_waitcnt vmcnt(2)
	v_add_f64 v[2:3], v[183:184], -v[2:3]
	s_waitcnt vmcnt(0)
	v_add_f64 v[181:182], v[185:186], -v[181:182]
	buffer_store_dword v3, v5, s[0:3], 0 offen offset:772
	buffer_store_dword v2, v5, s[0:3], 0 offen offset:768
	;; [unrolled: 1-line block ×4, first 2 shown]
	ds_read2_b64 v[181:184], v4 offset0:10 offset1:11
	s_waitcnt lgkmcnt(0)
	v_mul_f64 v[2:3], v[183:184], v[179:180]
	v_fma_f64 v[2:3], v[181:182], v[177:178], -v[2:3]
	v_mul_f64 v[181:182], v[181:182], v[179:180]
	v_fma_f64 v[181:182], v[183:184], v[177:178], v[181:182]
	s_clause 0x3
	buffer_load_dword v183, v5, s[0:3], 0 offen offset:784
	buffer_load_dword v184, v5, s[0:3], 0 offen offset:788
	;; [unrolled: 1-line block ×4, first 2 shown]
	s_waitcnt vmcnt(2)
	v_add_f64 v[2:3], v[183:184], -v[2:3]
	s_waitcnt vmcnt(0)
	v_add_f64 v[181:182], v[185:186], -v[181:182]
	buffer_store_dword v3, v5, s[0:3], 0 offen offset:788
	buffer_store_dword v2, v5, s[0:3], 0 offen offset:784
	;; [unrolled: 1-line block ×4, first 2 shown]
	s_cbranch_scc1 .LBB123_526
.LBB123_527:
	s_or_b32 exec_lo, exec_lo, s5
	s_mov_b32 s6, exec_lo
	s_waitcnt lgkmcnt(0)
	s_waitcnt_vscnt null, 0x0
	s_barrier
	buffer_gl0_inv
	v_cmpx_eq_u32_e32 44, v0
	s_cbranch_execz .LBB123_534
; %bb.528:
	v_mov_b32_e32 v4, s30
	s_clause 0x3
	buffer_load_dword v1, v4, s[0:3], 0 offen
	buffer_load_dword v2, v4, s[0:3], 0 offen offset:4
	buffer_load_dword v3, v4, s[0:3], 0 offen offset:8
	;; [unrolled: 1-line block ×3, first 2 shown]
	s_waitcnt vmcnt(0)
	ds_write2_b64 v255, v[1:2], v[3:4] offset1:1
	v_mov_b32_e32 v4, s29
	s_clause 0x3
	buffer_load_dword v1, v4, s[0:3], 0 offen
	buffer_load_dword v2, v4, s[0:3], 0 offen offset:4
	buffer_load_dword v3, v4, s[0:3], 0 offen offset:8
	buffer_load_dword v4, v4, s[0:3], 0 offen offset:12
	s_waitcnt vmcnt(0)
	ds_write2_b64 v245, v[1:2], v[3:4] offset0:90 offset1:91
	v_mov_b32_e32 v4, s28
	s_clause 0x3
	buffer_load_dword v1, v4, s[0:3], 0 offen
	buffer_load_dword v2, v4, s[0:3], 0 offen offset:4
	buffer_load_dword v3, v4, s[0:3], 0 offen offset:8
	buffer_load_dword v4, v4, s[0:3], 0 offen offset:12
	s_waitcnt vmcnt(0)
	ds_write2_b64 v245, v[1:2], v[3:4] offset0:92 offset1:93
	v_mov_b32_e32 v4, s27
	s_clause 0x3
	buffer_load_dword v1, v4, s[0:3], 0 offen
	buffer_load_dword v2, v4, s[0:3], 0 offen offset:4
	buffer_load_dword v3, v4, s[0:3], 0 offen offset:8
	buffer_load_dword v4, v4, s[0:3], 0 offen offset:12
	s_waitcnt vmcnt(0)
	ds_write2_b64 v245, v[1:2], v[3:4] offset0:94 offset1:95
	v_mov_b32_e32 v4, s26
	s_clause 0x3
	buffer_load_dword v1, v4, s[0:3], 0 offen
	buffer_load_dword v2, v4, s[0:3], 0 offen offset:4
	buffer_load_dword v3, v4, s[0:3], 0 offen offset:8
	buffer_load_dword v4, v4, s[0:3], 0 offen offset:12
	s_waitcnt vmcnt(0)
	ds_write2_b64 v245, v[1:2], v[3:4] offset0:96 offset1:97
	v_mov_b32_e32 v4, s25
	s_clause 0x3
	buffer_load_dword v1, v4, s[0:3], 0 offen
	buffer_load_dword v2, v4, s[0:3], 0 offen offset:4
	buffer_load_dword v3, v4, s[0:3], 0 offen offset:8
	buffer_load_dword v4, v4, s[0:3], 0 offen offset:12
	s_waitcnt vmcnt(0)
	ds_write2_b64 v245, v[1:2], v[3:4] offset0:98 offset1:99
	v_mov_b32_e32 v4, s24
	s_clause 0x3
	buffer_load_dword v1, v4, s[0:3], 0 offen
	buffer_load_dword v2, v4, s[0:3], 0 offen offset:4
	buffer_load_dword v3, v4, s[0:3], 0 offen offset:8
	buffer_load_dword v4, v4, s[0:3], 0 offen offset:12
	s_waitcnt vmcnt(0)
	ds_write2_b64 v245, v[1:2], v[3:4] offset0:100 offset1:101
	v_mov_b32_e32 v4, s23
	s_clause 0x3
	buffer_load_dword v1, v4, s[0:3], 0 offen
	buffer_load_dword v2, v4, s[0:3], 0 offen offset:4
	buffer_load_dword v3, v4, s[0:3], 0 offen offset:8
	buffer_load_dword v4, v4, s[0:3], 0 offen offset:12
	s_waitcnt vmcnt(0)
	ds_write2_b64 v245, v[1:2], v[3:4] offset0:102 offset1:103
	v_mov_b32_e32 v4, s22
	s_clause 0x3
	buffer_load_dword v1, v4, s[0:3], 0 offen
	buffer_load_dword v2, v4, s[0:3], 0 offen offset:4
	buffer_load_dword v3, v4, s[0:3], 0 offen offset:8
	buffer_load_dword v4, v4, s[0:3], 0 offen offset:12
	s_waitcnt vmcnt(0)
	ds_write2_b64 v245, v[1:2], v[3:4] offset0:104 offset1:105
	v_mov_b32_e32 v4, s21
	s_clause 0x3
	buffer_load_dword v1, v4, s[0:3], 0 offen
	buffer_load_dword v2, v4, s[0:3], 0 offen offset:4
	buffer_load_dword v3, v4, s[0:3], 0 offen offset:8
	buffer_load_dword v4, v4, s[0:3], 0 offen offset:12
	s_waitcnt vmcnt(0)
	ds_write2_b64 v245, v[1:2], v[3:4] offset0:106 offset1:107
	v_mov_b32_e32 v4, s20
	s_clause 0x3
	buffer_load_dword v1, v4, s[0:3], 0 offen
	buffer_load_dword v2, v4, s[0:3], 0 offen offset:4
	buffer_load_dword v3, v4, s[0:3], 0 offen offset:8
	buffer_load_dword v4, v4, s[0:3], 0 offen offset:12
	s_waitcnt vmcnt(0)
	ds_write2_b64 v245, v[1:2], v[3:4] offset0:108 offset1:109
	v_mov_b32_e32 v4, s19
	s_clause 0x3
	buffer_load_dword v1, v4, s[0:3], 0 offen
	buffer_load_dword v2, v4, s[0:3], 0 offen offset:4
	buffer_load_dword v3, v4, s[0:3], 0 offen offset:8
	buffer_load_dword v4, v4, s[0:3], 0 offen offset:12
	s_waitcnt vmcnt(0)
	ds_write2_b64 v245, v[1:2], v[3:4] offset0:110 offset1:111
	v_mov_b32_e32 v4, s18
	s_clause 0x3
	buffer_load_dword v1, v4, s[0:3], 0 offen
	buffer_load_dword v2, v4, s[0:3], 0 offen offset:4
	buffer_load_dword v3, v4, s[0:3], 0 offen offset:8
	buffer_load_dword v4, v4, s[0:3], 0 offen offset:12
	s_waitcnt vmcnt(0)
	ds_write2_b64 v245, v[1:2], v[3:4] offset0:112 offset1:113
	v_mov_b32_e32 v4, s17
	s_clause 0x3
	buffer_load_dword v1, v4, s[0:3], 0 offen
	buffer_load_dword v2, v4, s[0:3], 0 offen offset:4
	buffer_load_dword v3, v4, s[0:3], 0 offen offset:8
	buffer_load_dword v4, v4, s[0:3], 0 offen offset:12
	s_waitcnt vmcnt(0)
	ds_write2_b64 v245, v[1:2], v[3:4] offset0:114 offset1:115
	v_mov_b32_e32 v4, s16
	s_clause 0x3
	buffer_load_dword v1, v4, s[0:3], 0 offen
	buffer_load_dword v2, v4, s[0:3], 0 offen offset:4
	buffer_load_dword v3, v4, s[0:3], 0 offen offset:8
	buffer_load_dword v4, v4, s[0:3], 0 offen offset:12
	s_waitcnt vmcnt(0)
	ds_write2_b64 v245, v[1:2], v[3:4] offset0:116 offset1:117
	v_mov_b32_e32 v4, s15
	s_clause 0x3
	buffer_load_dword v1, v4, s[0:3], 0 offen
	buffer_load_dword v2, v4, s[0:3], 0 offen offset:4
	buffer_load_dword v3, v4, s[0:3], 0 offen offset:8
	buffer_load_dword v4, v4, s[0:3], 0 offen offset:12
	s_waitcnt vmcnt(0)
	ds_write2_b64 v245, v[1:2], v[3:4] offset0:118 offset1:119
	v_mov_b32_e32 v4, s14
	s_clause 0x3
	buffer_load_dword v1, v4, s[0:3], 0 offen
	buffer_load_dword v2, v4, s[0:3], 0 offen offset:4
	buffer_load_dword v3, v4, s[0:3], 0 offen offset:8
	buffer_load_dword v4, v4, s[0:3], 0 offen offset:12
	s_waitcnt vmcnt(0)
	ds_write2_b64 v245, v[1:2], v[3:4] offset0:120 offset1:121
	v_mov_b32_e32 v4, s12
	s_clause 0x3
	buffer_load_dword v1, v4, s[0:3], 0 offen
	buffer_load_dword v2, v4, s[0:3], 0 offen offset:4
	buffer_load_dword v3, v4, s[0:3], 0 offen offset:8
	buffer_load_dword v4, v4, s[0:3], 0 offen offset:12
	s_waitcnt vmcnt(0)
	ds_write2_b64 v245, v[1:2], v[3:4] offset0:122 offset1:123
	ds_read2_b64 v[177:180], v255 offset1:1
	s_waitcnt lgkmcnt(0)
	v_cmp_neq_f64_e32 vcc_lo, 0, v[177:178]
	v_cmp_neq_f64_e64 s5, 0, v[179:180]
	s_or_b32 s5, vcc_lo, s5
	s_and_b32 exec_lo, exec_lo, s5
	s_cbranch_execz .LBB123_534
; %bb.529:
	v_cmp_ngt_f64_e64 s5, |v[177:178]|, |v[179:180]|
                                        ; implicit-def: $vgpr1_vgpr2
	s_and_saveexec_b32 s7, s5
	s_xor_b32 s5, exec_lo, s7
                                        ; implicit-def: $vgpr3_vgpr4
	s_cbranch_execz .LBB123_531
; %bb.530:
	v_div_scale_f64 v[1:2], null, v[179:180], v[179:180], v[177:178]
	v_div_scale_f64 v[183:184], vcc_lo, v[177:178], v[179:180], v[177:178]
	v_rcp_f64_e32 v[3:4], v[1:2]
	v_fma_f64 v[181:182], -v[1:2], v[3:4], 1.0
	v_fma_f64 v[3:4], v[3:4], v[181:182], v[3:4]
	v_fma_f64 v[181:182], -v[1:2], v[3:4], 1.0
	v_fma_f64 v[3:4], v[3:4], v[181:182], v[3:4]
	v_mul_f64 v[181:182], v[183:184], v[3:4]
	v_fma_f64 v[1:2], -v[1:2], v[181:182], v[183:184]
	v_div_fmas_f64 v[1:2], v[1:2], v[3:4], v[181:182]
	v_div_fixup_f64 v[1:2], v[1:2], v[179:180], v[177:178]
	v_fma_f64 v[3:4], v[177:178], v[1:2], v[179:180]
	v_div_scale_f64 v[177:178], null, v[3:4], v[3:4], 1.0
	v_rcp_f64_e32 v[179:180], v[177:178]
	v_fma_f64 v[181:182], -v[177:178], v[179:180], 1.0
	v_fma_f64 v[179:180], v[179:180], v[181:182], v[179:180]
	v_fma_f64 v[181:182], -v[177:178], v[179:180], 1.0
	v_fma_f64 v[179:180], v[179:180], v[181:182], v[179:180]
	v_div_scale_f64 v[181:182], vcc_lo, 1.0, v[3:4], 1.0
	v_mul_f64 v[183:184], v[181:182], v[179:180]
	v_fma_f64 v[177:178], -v[177:178], v[183:184], v[181:182]
	v_div_fmas_f64 v[177:178], v[177:178], v[179:180], v[183:184]
	v_div_fixup_f64 v[3:4], v[177:178], v[3:4], 1.0
                                        ; implicit-def: $vgpr177_vgpr178
	v_mul_f64 v[1:2], v[1:2], v[3:4]
	v_xor_b32_e32 v4, 0x80000000, v4
.LBB123_531:
	s_andn2_saveexec_b32 s5, s5
	s_cbranch_execz .LBB123_533
; %bb.532:
	v_div_scale_f64 v[1:2], null, v[177:178], v[177:178], v[179:180]
	v_div_scale_f64 v[183:184], vcc_lo, v[179:180], v[177:178], v[179:180]
	v_rcp_f64_e32 v[3:4], v[1:2]
	v_fma_f64 v[181:182], -v[1:2], v[3:4], 1.0
	v_fma_f64 v[3:4], v[3:4], v[181:182], v[3:4]
	v_fma_f64 v[181:182], -v[1:2], v[3:4], 1.0
	v_fma_f64 v[3:4], v[3:4], v[181:182], v[3:4]
	v_mul_f64 v[181:182], v[183:184], v[3:4]
	v_fma_f64 v[1:2], -v[1:2], v[181:182], v[183:184]
	v_div_fmas_f64 v[1:2], v[1:2], v[3:4], v[181:182]
	v_div_fixup_f64 v[3:4], v[1:2], v[177:178], v[179:180]
	v_fma_f64 v[1:2], v[179:180], v[3:4], v[177:178]
	v_div_scale_f64 v[177:178], null, v[1:2], v[1:2], 1.0
	v_rcp_f64_e32 v[179:180], v[177:178]
	v_fma_f64 v[181:182], -v[177:178], v[179:180], 1.0
	v_fma_f64 v[179:180], v[179:180], v[181:182], v[179:180]
	v_fma_f64 v[181:182], -v[177:178], v[179:180], 1.0
	v_fma_f64 v[179:180], v[179:180], v[181:182], v[179:180]
	v_div_scale_f64 v[181:182], vcc_lo, 1.0, v[1:2], 1.0
	v_mul_f64 v[183:184], v[181:182], v[179:180]
	v_fma_f64 v[177:178], -v[177:178], v[183:184], v[181:182]
	v_div_fmas_f64 v[177:178], v[177:178], v[179:180], v[183:184]
	v_div_fixup_f64 v[1:2], v[177:178], v[1:2], 1.0
	v_mul_f64 v[3:4], v[3:4], -v[1:2]
.LBB123_533:
	s_or_b32 exec_lo, exec_lo, s5
	ds_write2_b64 v255, v[1:2], v[3:4] offset1:1
.LBB123_534:
	s_or_b32 exec_lo, exec_lo, s6
	s_waitcnt lgkmcnt(0)
	s_barrier
	buffer_gl0_inv
	ds_read2_b64 v[177:180], v255 offset1:1
	s_mov_b32 s5, exec_lo
	v_cmpx_lt_u32_e32 44, v0
	s_cbranch_execz .LBB123_536
; %bb.535:
	s_clause 0xf
	buffer_load_dword v1, off, s[0:3], 0 offset:704
	buffer_load_dword v2, off, s[0:3], 0 offset:708
	;; [unrolled: 1-line block ×16, first 2 shown]
	s_waitcnt vmcnt(12) lgkmcnt(0)
	v_mul_f64 v[193:194], v[179:180], v[3:4]
	v_mul_f64 v[3:4], v[177:178], v[3:4]
	v_fma_f64 v[193:194], v[177:178], v[1:2], -v[193:194]
	v_fma_f64 v[195:196], v[179:180], v[1:2], v[3:4]
	buffer_store_dword v193, off, s[0:3], 0 offset:704
	buffer_store_dword v194, off, s[0:3], 0 offset:708
	buffer_store_dword v195, off, s[0:3], 0 offset:712
	buffer_store_dword v196, off, s[0:3], 0 offset:716
	ds_read2_b64 v[1:4], v245 offset0:90 offset1:91
	s_waitcnt lgkmcnt(0)
	v_mul_f64 v[197:198], v[3:4], v[195:196]
	v_fma_f64 v[197:198], v[1:2], v[193:194], -v[197:198]
	v_mul_f64 v[1:2], v[1:2], v[195:196]
	v_fma_f64 v[1:2], v[3:4], v[193:194], v[1:2]
	s_waitcnt vmcnt(10)
	v_add_f64 v[3:4], v[181:182], -v[197:198]
	s_waitcnt vmcnt(8)
	v_add_f64 v[1:2], v[183:184], -v[1:2]
	buffer_store_dword v3, off, s[0:3], 0 offset:720
	buffer_store_dword v4, off, s[0:3], 0 offset:724
	buffer_store_dword v1, off, s[0:3], 0 offset:728
	buffer_store_dword v2, off, s[0:3], 0 offset:732
	ds_read2_b64 v[1:4], v245 offset0:92 offset1:93
	s_waitcnt lgkmcnt(0)
	v_mul_f64 v[181:182], v[3:4], v[195:196]
	v_fma_f64 v[181:182], v[1:2], v[193:194], -v[181:182]
	v_mul_f64 v[1:2], v[1:2], v[195:196]
	v_fma_f64 v[1:2], v[3:4], v[193:194], v[1:2]
	s_waitcnt vmcnt(6)
	v_add_f64 v[3:4], v[185:186], -v[181:182]
	s_waitcnt vmcnt(4)
	v_add_f64 v[1:2], v[187:188], -v[1:2]
	;; [unrolled: 14-line block ×3, first 2 shown]
	buffer_store_dword v4, off, s[0:3], 0 offset:756
	buffer_store_dword v3, off, s[0:3], 0 offset:752
	buffer_store_dword v1, off, s[0:3], 0 offset:760
	buffer_store_dword v2, off, s[0:3], 0 offset:764
	ds_read2_b64 v[1:4], v245 offset0:96 offset1:97
	s_waitcnt lgkmcnt(0)
	v_mul_f64 v[181:182], v[3:4], v[195:196]
	v_fma_f64 v[181:182], v[1:2], v[193:194], -v[181:182]
	v_mul_f64 v[1:2], v[1:2], v[195:196]
	v_fma_f64 v[1:2], v[3:4], v[193:194], v[1:2]
	s_clause 0x3
	buffer_load_dword v3, off, s[0:3], 0 offset:768
	buffer_load_dword v4, off, s[0:3], 0 offset:772
	buffer_load_dword v183, off, s[0:3], 0 offset:776
	buffer_load_dword v184, off, s[0:3], 0 offset:780
	s_waitcnt vmcnt(2)
	v_add_f64 v[3:4], v[3:4], -v[181:182]
	s_waitcnt vmcnt(0)
	v_add_f64 v[1:2], v[183:184], -v[1:2]
	buffer_store_dword v4, off, s[0:3], 0 offset:772
	buffer_store_dword v3, off, s[0:3], 0 offset:768
	buffer_store_dword v2, off, s[0:3], 0 offset:780
	buffer_store_dword v1, off, s[0:3], 0 offset:776
	ds_read2_b64 v[1:4], v245 offset0:98 offset1:99
	s_waitcnt lgkmcnt(0)
	v_mul_f64 v[181:182], v[3:4], v[195:196]
	v_fma_f64 v[181:182], v[1:2], v[193:194], -v[181:182]
	v_mul_f64 v[1:2], v[1:2], v[195:196]
	v_fma_f64 v[1:2], v[3:4], v[193:194], v[1:2]
	s_clause 0x3
	buffer_load_dword v3, off, s[0:3], 0 offset:784
	buffer_load_dword v4, off, s[0:3], 0 offset:788
	buffer_load_dword v183, off, s[0:3], 0 offset:792
	buffer_load_dword v184, off, s[0:3], 0 offset:796
	s_waitcnt vmcnt(2)
	v_add_f64 v[3:4], v[3:4], -v[181:182]
	s_waitcnt vmcnt(0)
	v_add_f64 v[1:2], v[183:184], -v[1:2]
	;; [unrolled: 19-line block ×3, first 2 shown]
	buffer_store_dword v4, off, s[0:3], 0 offset:804
	buffer_store_dword v3, off, s[0:3], 0 offset:800
	;; [unrolled: 1-line block ×4, first 2 shown]
	ds_read2_b64 v[1:4], v245 offset0:102 offset1:103
	s_clause 0x3
	buffer_load_dword v181, off, s[0:3], 0 offset:704
	buffer_load_dword v182, off, s[0:3], 0 offset:708
	;; [unrolled: 1-line block ×4, first 2 shown]
	s_waitcnt vmcnt(0) lgkmcnt(0)
	v_mul_f64 v[185:186], v[3:4], v[183:184]
	v_fma_f64 v[185:186], v[1:2], v[181:182], -v[185:186]
	v_mul_f64 v[1:2], v[1:2], v[183:184]
	v_fma_f64 v[1:2], v[3:4], v[181:182], v[1:2]
	s_clause 0x1
	buffer_load_dword v4, off, s[0:3], 0 offset:820
	buffer_load_dword v3, off, s[0:3], 0 offset:816
	s_waitcnt vmcnt(0)
	v_add_f64 v[3:4], v[3:4], -v[185:186]
	s_clause 0x1
	buffer_load_dword v186, off, s[0:3], 0 offset:828
	buffer_load_dword v185, off, s[0:3], 0 offset:824
	s_waitcnt vmcnt(0)
	v_add_f64 v[1:2], v[185:186], -v[1:2]
	buffer_store_dword v4, off, s[0:3], 0 offset:820
	buffer_store_dword v3, off, s[0:3], 0 offset:816
	buffer_store_dword v2, off, s[0:3], 0 offset:828
	buffer_store_dword v1, off, s[0:3], 0 offset:824
	ds_read2_b64 v[1:4], v245 offset0:104 offset1:105
	s_waitcnt lgkmcnt(0)
	v_mul_f64 v[185:186], v[3:4], v[183:184]
	v_fma_f64 v[185:186], v[1:2], v[181:182], -v[185:186]
	v_mul_f64 v[1:2], v[1:2], v[183:184]
	v_fma_f64 v[1:2], v[3:4], v[181:182], v[1:2]
	s_clause 0x3
	buffer_load_dword v3, off, s[0:3], 0 offset:832
	buffer_load_dword v4, off, s[0:3], 0 offset:836
	buffer_load_dword v187, off, s[0:3], 0 offset:840
	buffer_load_dword v188, off, s[0:3], 0 offset:844
	s_waitcnt vmcnt(2)
	v_add_f64 v[3:4], v[3:4], -v[185:186]
	s_waitcnt vmcnt(0)
	v_add_f64 v[1:2], v[187:188], -v[1:2]
	buffer_store_dword v4, off, s[0:3], 0 offset:836
	buffer_store_dword v3, off, s[0:3], 0 offset:832
	buffer_store_dword v2, off, s[0:3], 0 offset:844
	buffer_store_dword v1, off, s[0:3], 0 offset:840
	ds_read2_b64 v[1:4], v245 offset0:106 offset1:107
	s_waitcnt lgkmcnt(0)
	v_mul_f64 v[185:186], v[3:4], v[183:184]
	v_fma_f64 v[185:186], v[1:2], v[181:182], -v[185:186]
	v_mul_f64 v[1:2], v[1:2], v[183:184]
	v_fma_f64 v[1:2], v[3:4], v[181:182], v[1:2]
	s_clause 0x3
	buffer_load_dword v3, off, s[0:3], 0 offset:848
	buffer_load_dword v4, off, s[0:3], 0 offset:852
	buffer_load_dword v187, off, s[0:3], 0 offset:856
	buffer_load_dword v188, off, s[0:3], 0 offset:860
	s_waitcnt vmcnt(2)
	v_add_f64 v[3:4], v[3:4], -v[185:186]
	;; [unrolled: 19-line block ×5, first 2 shown]
	s_waitcnt vmcnt(0)
	v_add_f64 v[1:2], v[181:182], -v[1:2]
	buffer_store_dword v4, off, s[0:3], 0 offset:900
	buffer_store_dword v3, off, s[0:3], 0 offset:896
	buffer_store_dword v2, off, s[0:3], 0 offset:908
	buffer_store_dword v1, off, s[0:3], 0 offset:904
	ds_read2_b64 v[1:4], v245 offset0:114 offset1:115
	s_clause 0x3
	buffer_load_dword v181, off, s[0:3], 0 offset:704
	buffer_load_dword v182, off, s[0:3], 0 offset:708
	buffer_load_dword v183, off, s[0:3], 0 offset:712
	buffer_load_dword v184, off, s[0:3], 0 offset:716
	s_waitcnt vmcnt(0) lgkmcnt(0)
	v_mul_f64 v[185:186], v[3:4], v[183:184]
	v_fma_f64 v[185:186], v[1:2], v[181:182], -v[185:186]
	v_mul_f64 v[1:2], v[1:2], v[183:184]
	v_fma_f64 v[1:2], v[3:4], v[181:182], v[1:2]
	s_clause 0x1
	buffer_load_dword v4, off, s[0:3], 0 offset:916
	buffer_load_dword v3, off, s[0:3], 0 offset:912
	s_waitcnt vmcnt(0)
	v_add_f64 v[3:4], v[3:4], -v[185:186]
	s_clause 0x1
	buffer_load_dword v186, off, s[0:3], 0 offset:924
	buffer_load_dword v185, off, s[0:3], 0 offset:920
	s_waitcnt vmcnt(0)
	v_add_f64 v[1:2], v[185:186], -v[1:2]
	buffer_store_dword v4, off, s[0:3], 0 offset:916
	buffer_store_dword v3, off, s[0:3], 0 offset:912
	buffer_store_dword v2, off, s[0:3], 0 offset:924
	buffer_store_dword v1, off, s[0:3], 0 offset:920
	ds_read2_b64 v[1:4], v245 offset0:116 offset1:117
	s_waitcnt lgkmcnt(0)
	v_mul_f64 v[185:186], v[3:4], v[183:184]
	v_fma_f64 v[185:186], v[1:2], v[181:182], -v[185:186]
	v_mul_f64 v[1:2], v[1:2], v[183:184]
	v_fma_f64 v[1:2], v[3:4], v[181:182], v[1:2]
	s_clause 0x3
	buffer_load_dword v3, off, s[0:3], 0 offset:928
	buffer_load_dword v4, off, s[0:3], 0 offset:932
	buffer_load_dword v187, off, s[0:3], 0 offset:936
	buffer_load_dword v188, off, s[0:3], 0 offset:940
	s_waitcnt vmcnt(2)
	v_add_f64 v[3:4], v[3:4], -v[185:186]
	s_waitcnt vmcnt(0)
	v_add_f64 v[1:2], v[187:188], -v[1:2]
	buffer_store_dword v4, off, s[0:3], 0 offset:932
	buffer_store_dword v3, off, s[0:3], 0 offset:928
	buffer_store_dword v2, off, s[0:3], 0 offset:940
	buffer_store_dword v1, off, s[0:3], 0 offset:936
	ds_read2_b64 v[1:4], v245 offset0:118 offset1:119
	s_waitcnt lgkmcnt(0)
	v_mul_f64 v[185:186], v[3:4], v[183:184]
	v_fma_f64 v[185:186], v[1:2], v[181:182], -v[185:186]
	v_mul_f64 v[1:2], v[1:2], v[183:184]
	v_fma_f64 v[1:2], v[3:4], v[181:182], v[1:2]
	s_clause 0x3
	buffer_load_dword v3, off, s[0:3], 0 offset:944
	buffer_load_dword v4, off, s[0:3], 0 offset:948
	buffer_load_dword v187, off, s[0:3], 0 offset:952
	buffer_load_dword v188, off, s[0:3], 0 offset:956
	s_waitcnt vmcnt(2)
	v_add_f64 v[3:4], v[3:4], -v[185:186]
	;; [unrolled: 19-line block ×4, first 2 shown]
	s_waitcnt vmcnt(0)
	v_add_f64 v[1:2], v[181:182], -v[1:2]
	buffer_store_dword v4, off, s[0:3], 0 offset:980
	buffer_store_dword v3, off, s[0:3], 0 offset:976
	;; [unrolled: 1-line block ×4, first 2 shown]
.LBB123_536:
	s_or_b32 exec_lo, exec_lo, s5
	s_mov_b32 s6, exec_lo
	s_waitcnt lgkmcnt(0)
	s_waitcnt_vscnt null, 0x0
	s_barrier
	buffer_gl0_inv
	v_cmpx_eq_u32_e32 45, v0
	s_cbranch_execz .LBB123_543
; %bb.537:
	v_mov_b32_e32 v4, s29
	s_clause 0x3
	buffer_load_dword v1, v4, s[0:3], 0 offen
	buffer_load_dword v2, v4, s[0:3], 0 offen offset:4
	buffer_load_dword v3, v4, s[0:3], 0 offen offset:8
	;; [unrolled: 1-line block ×3, first 2 shown]
	s_waitcnt vmcnt(0)
	ds_write2_b64 v255, v[1:2], v[3:4] offset1:1
	v_mov_b32_e32 v4, s28
	s_clause 0x3
	buffer_load_dword v1, v4, s[0:3], 0 offen
	buffer_load_dword v2, v4, s[0:3], 0 offen offset:4
	buffer_load_dword v3, v4, s[0:3], 0 offen offset:8
	buffer_load_dword v4, v4, s[0:3], 0 offen offset:12
	s_waitcnt vmcnt(0)
	ds_write2_b64 v245, v[1:2], v[3:4] offset0:92 offset1:93
	v_mov_b32_e32 v4, s27
	s_clause 0x3
	buffer_load_dword v1, v4, s[0:3], 0 offen
	buffer_load_dword v2, v4, s[0:3], 0 offen offset:4
	buffer_load_dword v3, v4, s[0:3], 0 offen offset:8
	buffer_load_dword v4, v4, s[0:3], 0 offen offset:12
	s_waitcnt vmcnt(0)
	ds_write2_b64 v245, v[1:2], v[3:4] offset0:94 offset1:95
	v_mov_b32_e32 v4, s26
	s_clause 0x3
	buffer_load_dword v1, v4, s[0:3], 0 offen
	buffer_load_dword v2, v4, s[0:3], 0 offen offset:4
	buffer_load_dword v3, v4, s[0:3], 0 offen offset:8
	buffer_load_dword v4, v4, s[0:3], 0 offen offset:12
	s_waitcnt vmcnt(0)
	ds_write2_b64 v245, v[1:2], v[3:4] offset0:96 offset1:97
	v_mov_b32_e32 v4, s25
	s_clause 0x3
	buffer_load_dword v1, v4, s[0:3], 0 offen
	buffer_load_dword v2, v4, s[0:3], 0 offen offset:4
	buffer_load_dword v3, v4, s[0:3], 0 offen offset:8
	buffer_load_dword v4, v4, s[0:3], 0 offen offset:12
	s_waitcnt vmcnt(0)
	ds_write2_b64 v245, v[1:2], v[3:4] offset0:98 offset1:99
	v_mov_b32_e32 v4, s24
	s_clause 0x3
	buffer_load_dword v1, v4, s[0:3], 0 offen
	buffer_load_dword v2, v4, s[0:3], 0 offen offset:4
	buffer_load_dword v3, v4, s[0:3], 0 offen offset:8
	buffer_load_dword v4, v4, s[0:3], 0 offen offset:12
	s_waitcnt vmcnt(0)
	ds_write2_b64 v245, v[1:2], v[3:4] offset0:100 offset1:101
	v_mov_b32_e32 v4, s23
	s_clause 0x3
	buffer_load_dword v1, v4, s[0:3], 0 offen
	buffer_load_dword v2, v4, s[0:3], 0 offen offset:4
	buffer_load_dword v3, v4, s[0:3], 0 offen offset:8
	buffer_load_dword v4, v4, s[0:3], 0 offen offset:12
	s_waitcnt vmcnt(0)
	ds_write2_b64 v245, v[1:2], v[3:4] offset0:102 offset1:103
	v_mov_b32_e32 v4, s22
	s_clause 0x3
	buffer_load_dword v1, v4, s[0:3], 0 offen
	buffer_load_dword v2, v4, s[0:3], 0 offen offset:4
	buffer_load_dword v3, v4, s[0:3], 0 offen offset:8
	buffer_load_dword v4, v4, s[0:3], 0 offen offset:12
	s_waitcnt vmcnt(0)
	ds_write2_b64 v245, v[1:2], v[3:4] offset0:104 offset1:105
	v_mov_b32_e32 v4, s21
	s_clause 0x3
	buffer_load_dword v1, v4, s[0:3], 0 offen
	buffer_load_dword v2, v4, s[0:3], 0 offen offset:4
	buffer_load_dword v3, v4, s[0:3], 0 offen offset:8
	buffer_load_dword v4, v4, s[0:3], 0 offen offset:12
	s_waitcnt vmcnt(0)
	ds_write2_b64 v245, v[1:2], v[3:4] offset0:106 offset1:107
	v_mov_b32_e32 v4, s20
	s_clause 0x3
	buffer_load_dword v1, v4, s[0:3], 0 offen
	buffer_load_dword v2, v4, s[0:3], 0 offen offset:4
	buffer_load_dword v3, v4, s[0:3], 0 offen offset:8
	buffer_load_dword v4, v4, s[0:3], 0 offen offset:12
	s_waitcnt vmcnt(0)
	ds_write2_b64 v245, v[1:2], v[3:4] offset0:108 offset1:109
	v_mov_b32_e32 v4, s19
	s_clause 0x3
	buffer_load_dword v1, v4, s[0:3], 0 offen
	buffer_load_dword v2, v4, s[0:3], 0 offen offset:4
	buffer_load_dword v3, v4, s[0:3], 0 offen offset:8
	buffer_load_dword v4, v4, s[0:3], 0 offen offset:12
	s_waitcnt vmcnt(0)
	ds_write2_b64 v245, v[1:2], v[3:4] offset0:110 offset1:111
	v_mov_b32_e32 v4, s18
	s_clause 0x3
	buffer_load_dword v1, v4, s[0:3], 0 offen
	buffer_load_dword v2, v4, s[0:3], 0 offen offset:4
	buffer_load_dword v3, v4, s[0:3], 0 offen offset:8
	buffer_load_dword v4, v4, s[0:3], 0 offen offset:12
	s_waitcnt vmcnt(0)
	ds_write2_b64 v245, v[1:2], v[3:4] offset0:112 offset1:113
	v_mov_b32_e32 v4, s17
	s_clause 0x3
	buffer_load_dword v1, v4, s[0:3], 0 offen
	buffer_load_dword v2, v4, s[0:3], 0 offen offset:4
	buffer_load_dword v3, v4, s[0:3], 0 offen offset:8
	buffer_load_dword v4, v4, s[0:3], 0 offen offset:12
	s_waitcnt vmcnt(0)
	ds_write2_b64 v245, v[1:2], v[3:4] offset0:114 offset1:115
	v_mov_b32_e32 v4, s16
	s_clause 0x3
	buffer_load_dword v1, v4, s[0:3], 0 offen
	buffer_load_dword v2, v4, s[0:3], 0 offen offset:4
	buffer_load_dword v3, v4, s[0:3], 0 offen offset:8
	buffer_load_dword v4, v4, s[0:3], 0 offen offset:12
	s_waitcnt vmcnt(0)
	ds_write2_b64 v245, v[1:2], v[3:4] offset0:116 offset1:117
	v_mov_b32_e32 v4, s15
	s_clause 0x3
	buffer_load_dword v1, v4, s[0:3], 0 offen
	buffer_load_dword v2, v4, s[0:3], 0 offen offset:4
	buffer_load_dword v3, v4, s[0:3], 0 offen offset:8
	buffer_load_dword v4, v4, s[0:3], 0 offen offset:12
	s_waitcnt vmcnt(0)
	ds_write2_b64 v245, v[1:2], v[3:4] offset0:118 offset1:119
	v_mov_b32_e32 v4, s14
	s_clause 0x3
	buffer_load_dword v1, v4, s[0:3], 0 offen
	buffer_load_dword v2, v4, s[0:3], 0 offen offset:4
	buffer_load_dword v3, v4, s[0:3], 0 offen offset:8
	buffer_load_dword v4, v4, s[0:3], 0 offen offset:12
	s_waitcnt vmcnt(0)
	ds_write2_b64 v245, v[1:2], v[3:4] offset0:120 offset1:121
	v_mov_b32_e32 v4, s12
	s_clause 0x3
	buffer_load_dword v1, v4, s[0:3], 0 offen
	buffer_load_dword v2, v4, s[0:3], 0 offen offset:4
	buffer_load_dword v3, v4, s[0:3], 0 offen offset:8
	buffer_load_dword v4, v4, s[0:3], 0 offen offset:12
	s_waitcnt vmcnt(0)
	ds_write2_b64 v245, v[1:2], v[3:4] offset0:122 offset1:123
	ds_read2_b64 v[181:184], v255 offset1:1
	s_waitcnt lgkmcnt(0)
	v_cmp_neq_f64_e32 vcc_lo, 0, v[181:182]
	v_cmp_neq_f64_e64 s5, 0, v[183:184]
	s_or_b32 s5, vcc_lo, s5
	s_and_b32 exec_lo, exec_lo, s5
	s_cbranch_execz .LBB123_543
; %bb.538:
	v_cmp_ngt_f64_e64 s5, |v[181:182]|, |v[183:184]|
                                        ; implicit-def: $vgpr1_vgpr2
	s_and_saveexec_b32 s7, s5
	s_xor_b32 s5, exec_lo, s7
                                        ; implicit-def: $vgpr3_vgpr4
	s_cbranch_execz .LBB123_540
; %bb.539:
	v_div_scale_f64 v[1:2], null, v[183:184], v[183:184], v[181:182]
	v_div_scale_f64 v[187:188], vcc_lo, v[181:182], v[183:184], v[181:182]
	v_rcp_f64_e32 v[3:4], v[1:2]
	v_fma_f64 v[185:186], -v[1:2], v[3:4], 1.0
	v_fma_f64 v[3:4], v[3:4], v[185:186], v[3:4]
	v_fma_f64 v[185:186], -v[1:2], v[3:4], 1.0
	v_fma_f64 v[3:4], v[3:4], v[185:186], v[3:4]
	v_mul_f64 v[185:186], v[187:188], v[3:4]
	v_fma_f64 v[1:2], -v[1:2], v[185:186], v[187:188]
	v_div_fmas_f64 v[1:2], v[1:2], v[3:4], v[185:186]
	v_div_fixup_f64 v[1:2], v[1:2], v[183:184], v[181:182]
	v_fma_f64 v[3:4], v[181:182], v[1:2], v[183:184]
	v_div_scale_f64 v[181:182], null, v[3:4], v[3:4], 1.0
	v_rcp_f64_e32 v[183:184], v[181:182]
	v_fma_f64 v[185:186], -v[181:182], v[183:184], 1.0
	v_fma_f64 v[183:184], v[183:184], v[185:186], v[183:184]
	v_fma_f64 v[185:186], -v[181:182], v[183:184], 1.0
	v_fma_f64 v[183:184], v[183:184], v[185:186], v[183:184]
	v_div_scale_f64 v[185:186], vcc_lo, 1.0, v[3:4], 1.0
	v_mul_f64 v[187:188], v[185:186], v[183:184]
	v_fma_f64 v[181:182], -v[181:182], v[187:188], v[185:186]
	v_div_fmas_f64 v[181:182], v[181:182], v[183:184], v[187:188]
	v_div_fixup_f64 v[3:4], v[181:182], v[3:4], 1.0
                                        ; implicit-def: $vgpr181_vgpr182
	v_mul_f64 v[1:2], v[1:2], v[3:4]
	v_xor_b32_e32 v4, 0x80000000, v4
.LBB123_540:
	s_andn2_saveexec_b32 s5, s5
	s_cbranch_execz .LBB123_542
; %bb.541:
	v_div_scale_f64 v[1:2], null, v[181:182], v[181:182], v[183:184]
	v_div_scale_f64 v[187:188], vcc_lo, v[183:184], v[181:182], v[183:184]
	v_rcp_f64_e32 v[3:4], v[1:2]
	v_fma_f64 v[185:186], -v[1:2], v[3:4], 1.0
	v_fma_f64 v[3:4], v[3:4], v[185:186], v[3:4]
	v_fma_f64 v[185:186], -v[1:2], v[3:4], 1.0
	v_fma_f64 v[3:4], v[3:4], v[185:186], v[3:4]
	v_mul_f64 v[185:186], v[187:188], v[3:4]
	v_fma_f64 v[1:2], -v[1:2], v[185:186], v[187:188]
	v_div_fmas_f64 v[1:2], v[1:2], v[3:4], v[185:186]
	v_div_fixup_f64 v[3:4], v[1:2], v[181:182], v[183:184]
	v_fma_f64 v[1:2], v[183:184], v[3:4], v[181:182]
	v_div_scale_f64 v[181:182], null, v[1:2], v[1:2], 1.0
	v_rcp_f64_e32 v[183:184], v[181:182]
	v_fma_f64 v[185:186], -v[181:182], v[183:184], 1.0
	v_fma_f64 v[183:184], v[183:184], v[185:186], v[183:184]
	v_fma_f64 v[185:186], -v[181:182], v[183:184], 1.0
	v_fma_f64 v[183:184], v[183:184], v[185:186], v[183:184]
	v_div_scale_f64 v[185:186], vcc_lo, 1.0, v[1:2], 1.0
	v_mul_f64 v[187:188], v[185:186], v[183:184]
	v_fma_f64 v[181:182], -v[181:182], v[187:188], v[185:186]
	v_div_fmas_f64 v[181:182], v[181:182], v[183:184], v[187:188]
	v_div_fixup_f64 v[1:2], v[181:182], v[1:2], 1.0
	v_mul_f64 v[3:4], v[3:4], -v[1:2]
.LBB123_542:
	s_or_b32 exec_lo, exec_lo, s5
	ds_write2_b64 v255, v[1:2], v[3:4] offset1:1
.LBB123_543:
	s_or_b32 exec_lo, exec_lo, s6
	s_waitcnt lgkmcnt(0)
	s_barrier
	buffer_gl0_inv
	ds_read2_b64 v[181:184], v255 offset1:1
	s_mov_b32 s5, exec_lo
	v_cmpx_lt_u32_e32 45, v0
	s_cbranch_execz .LBB123_545
; %bb.544:
	s_clause 0xf
	buffer_load_dword v1, off, s[0:3], 0 offset:720
	buffer_load_dword v2, off, s[0:3], 0 offset:724
	;; [unrolled: 1-line block ×16, first 2 shown]
	s_waitcnt vmcnt(12) lgkmcnt(0)
	v_mul_f64 v[197:198], v[183:184], v[3:4]
	v_mul_f64 v[3:4], v[181:182], v[3:4]
	v_fma_f64 v[197:198], v[181:182], v[1:2], -v[197:198]
	v_fma_f64 v[199:200], v[183:184], v[1:2], v[3:4]
	buffer_store_dword v197, off, s[0:3], 0 offset:720
	buffer_store_dword v198, off, s[0:3], 0 offset:724
	buffer_store_dword v199, off, s[0:3], 0 offset:728
	buffer_store_dword v200, off, s[0:3], 0 offset:732
	ds_read2_b64 v[1:4], v245 offset0:92 offset1:93
	s_waitcnt lgkmcnt(0)
	v_mul_f64 v[201:202], v[3:4], v[199:200]
	v_fma_f64 v[201:202], v[1:2], v[197:198], -v[201:202]
	v_mul_f64 v[1:2], v[1:2], v[199:200]
	v_fma_f64 v[1:2], v[3:4], v[197:198], v[1:2]
	s_waitcnt vmcnt(10)
	v_add_f64 v[3:4], v[185:186], -v[201:202]
	s_waitcnt vmcnt(8)
	v_add_f64 v[1:2], v[187:188], -v[1:2]
	buffer_store_dword v3, off, s[0:3], 0 offset:736
	buffer_store_dword v4, off, s[0:3], 0 offset:740
	buffer_store_dword v1, off, s[0:3], 0 offset:744
	buffer_store_dword v2, off, s[0:3], 0 offset:748
	ds_read2_b64 v[1:4], v245 offset0:94 offset1:95
	s_waitcnt lgkmcnt(0)
	v_mul_f64 v[185:186], v[3:4], v[199:200]
	v_fma_f64 v[185:186], v[1:2], v[197:198], -v[185:186]
	v_mul_f64 v[1:2], v[1:2], v[199:200]
	v_fma_f64 v[1:2], v[3:4], v[197:198], v[1:2]
	s_waitcnt vmcnt(6)
	v_add_f64 v[3:4], v[189:190], -v[185:186]
	s_waitcnt vmcnt(4)
	v_add_f64 v[1:2], v[191:192], -v[1:2]
	;; [unrolled: 14-line block ×3, first 2 shown]
	buffer_store_dword v4, off, s[0:3], 0 offset:772
	buffer_store_dword v3, off, s[0:3], 0 offset:768
	buffer_store_dword v1, off, s[0:3], 0 offset:776
	buffer_store_dword v2, off, s[0:3], 0 offset:780
	ds_read2_b64 v[1:4], v245 offset0:98 offset1:99
	s_waitcnt lgkmcnt(0)
	v_mul_f64 v[185:186], v[3:4], v[199:200]
	v_fma_f64 v[185:186], v[1:2], v[197:198], -v[185:186]
	v_mul_f64 v[1:2], v[1:2], v[199:200]
	v_fma_f64 v[1:2], v[3:4], v[197:198], v[1:2]
	s_clause 0x3
	buffer_load_dword v3, off, s[0:3], 0 offset:784
	buffer_load_dword v4, off, s[0:3], 0 offset:788
	buffer_load_dword v187, off, s[0:3], 0 offset:792
	buffer_load_dword v188, off, s[0:3], 0 offset:796
	s_waitcnt vmcnt(2)
	v_add_f64 v[3:4], v[3:4], -v[185:186]
	s_waitcnt vmcnt(0)
	v_add_f64 v[1:2], v[187:188], -v[1:2]
	buffer_store_dword v4, off, s[0:3], 0 offset:788
	buffer_store_dword v3, off, s[0:3], 0 offset:784
	buffer_store_dword v2, off, s[0:3], 0 offset:796
	buffer_store_dword v1, off, s[0:3], 0 offset:792
	ds_read2_b64 v[1:4], v245 offset0:100 offset1:101
	s_waitcnt lgkmcnt(0)
	v_mul_f64 v[185:186], v[3:4], v[199:200]
	v_fma_f64 v[185:186], v[1:2], v[197:198], -v[185:186]
	v_mul_f64 v[1:2], v[1:2], v[199:200]
	v_fma_f64 v[1:2], v[3:4], v[197:198], v[1:2]
	s_clause 0x3
	buffer_load_dword v3, off, s[0:3], 0 offset:800
	buffer_load_dword v4, off, s[0:3], 0 offset:804
	buffer_load_dword v187, off, s[0:3], 0 offset:808
	buffer_load_dword v188, off, s[0:3], 0 offset:812
	s_waitcnt vmcnt(2)
	v_add_f64 v[3:4], v[3:4], -v[185:186]
	s_waitcnt vmcnt(0)
	v_add_f64 v[1:2], v[187:188], -v[1:2]
	;; [unrolled: 19-line block ×3, first 2 shown]
	buffer_store_dword v4, off, s[0:3], 0 offset:820
	buffer_store_dword v3, off, s[0:3], 0 offset:816
	;; [unrolled: 1-line block ×4, first 2 shown]
	ds_read2_b64 v[1:4], v245 offset0:104 offset1:105
	s_clause 0x3
	buffer_load_dword v185, off, s[0:3], 0 offset:720
	buffer_load_dword v186, off, s[0:3], 0 offset:724
	;; [unrolled: 1-line block ×4, first 2 shown]
	s_waitcnt vmcnt(0) lgkmcnt(0)
	v_mul_f64 v[189:190], v[3:4], v[187:188]
	v_fma_f64 v[189:190], v[1:2], v[185:186], -v[189:190]
	v_mul_f64 v[1:2], v[1:2], v[187:188]
	v_fma_f64 v[1:2], v[3:4], v[185:186], v[1:2]
	s_clause 0x1
	buffer_load_dword v4, off, s[0:3], 0 offset:836
	buffer_load_dword v3, off, s[0:3], 0 offset:832
	s_waitcnt vmcnt(0)
	v_add_f64 v[3:4], v[3:4], -v[189:190]
	s_clause 0x1
	buffer_load_dword v190, off, s[0:3], 0 offset:844
	buffer_load_dword v189, off, s[0:3], 0 offset:840
	s_waitcnt vmcnt(0)
	v_add_f64 v[1:2], v[189:190], -v[1:2]
	buffer_store_dword v4, off, s[0:3], 0 offset:836
	buffer_store_dword v3, off, s[0:3], 0 offset:832
	buffer_store_dword v2, off, s[0:3], 0 offset:844
	buffer_store_dword v1, off, s[0:3], 0 offset:840
	ds_read2_b64 v[1:4], v245 offset0:106 offset1:107
	s_waitcnt lgkmcnt(0)
	v_mul_f64 v[189:190], v[3:4], v[187:188]
	v_fma_f64 v[189:190], v[1:2], v[185:186], -v[189:190]
	v_mul_f64 v[1:2], v[1:2], v[187:188]
	v_fma_f64 v[1:2], v[3:4], v[185:186], v[1:2]
	s_clause 0x3
	buffer_load_dword v3, off, s[0:3], 0 offset:848
	buffer_load_dword v4, off, s[0:3], 0 offset:852
	buffer_load_dword v191, off, s[0:3], 0 offset:856
	buffer_load_dword v192, off, s[0:3], 0 offset:860
	s_waitcnt vmcnt(2)
	v_add_f64 v[3:4], v[3:4], -v[189:190]
	s_waitcnt vmcnt(0)
	v_add_f64 v[1:2], v[191:192], -v[1:2]
	buffer_store_dword v4, off, s[0:3], 0 offset:852
	buffer_store_dword v3, off, s[0:3], 0 offset:848
	buffer_store_dword v2, off, s[0:3], 0 offset:860
	buffer_store_dword v1, off, s[0:3], 0 offset:856
	ds_read2_b64 v[1:4], v245 offset0:108 offset1:109
	s_waitcnt lgkmcnt(0)
	v_mul_f64 v[189:190], v[3:4], v[187:188]
	v_fma_f64 v[189:190], v[1:2], v[185:186], -v[189:190]
	v_mul_f64 v[1:2], v[1:2], v[187:188]
	v_fma_f64 v[1:2], v[3:4], v[185:186], v[1:2]
	s_clause 0x3
	buffer_load_dword v3, off, s[0:3], 0 offset:864
	buffer_load_dword v4, off, s[0:3], 0 offset:868
	buffer_load_dword v191, off, s[0:3], 0 offset:872
	buffer_load_dword v192, off, s[0:3], 0 offset:876
	s_waitcnt vmcnt(2)
	v_add_f64 v[3:4], v[3:4], -v[189:190]
	;; [unrolled: 19-line block ×5, first 2 shown]
	s_waitcnt vmcnt(0)
	v_add_f64 v[1:2], v[185:186], -v[1:2]
	buffer_store_dword v4, off, s[0:3], 0 offset:916
	buffer_store_dword v3, off, s[0:3], 0 offset:912
	;; [unrolled: 1-line block ×4, first 2 shown]
	ds_read2_b64 v[1:4], v245 offset0:116 offset1:117
	s_clause 0x3
	buffer_load_dword v185, off, s[0:3], 0 offset:720
	buffer_load_dword v186, off, s[0:3], 0 offset:724
	;; [unrolled: 1-line block ×4, first 2 shown]
	s_waitcnt vmcnt(0) lgkmcnt(0)
	v_mul_f64 v[189:190], v[3:4], v[187:188]
	v_fma_f64 v[189:190], v[1:2], v[185:186], -v[189:190]
	v_mul_f64 v[1:2], v[1:2], v[187:188]
	v_fma_f64 v[1:2], v[3:4], v[185:186], v[1:2]
	s_clause 0x1
	buffer_load_dword v4, off, s[0:3], 0 offset:932
	buffer_load_dword v3, off, s[0:3], 0 offset:928
	s_waitcnt vmcnt(0)
	v_add_f64 v[3:4], v[3:4], -v[189:190]
	s_clause 0x1
	buffer_load_dword v190, off, s[0:3], 0 offset:940
	buffer_load_dword v189, off, s[0:3], 0 offset:936
	s_waitcnt vmcnt(0)
	v_add_f64 v[1:2], v[189:190], -v[1:2]
	buffer_store_dword v4, off, s[0:3], 0 offset:932
	buffer_store_dword v3, off, s[0:3], 0 offset:928
	buffer_store_dword v2, off, s[0:3], 0 offset:940
	buffer_store_dword v1, off, s[0:3], 0 offset:936
	ds_read2_b64 v[1:4], v245 offset0:118 offset1:119
	s_waitcnt lgkmcnt(0)
	v_mul_f64 v[189:190], v[3:4], v[187:188]
	v_fma_f64 v[189:190], v[1:2], v[185:186], -v[189:190]
	v_mul_f64 v[1:2], v[1:2], v[187:188]
	v_fma_f64 v[1:2], v[3:4], v[185:186], v[1:2]
	s_clause 0x3
	buffer_load_dword v3, off, s[0:3], 0 offset:944
	buffer_load_dword v4, off, s[0:3], 0 offset:948
	buffer_load_dword v191, off, s[0:3], 0 offset:952
	buffer_load_dword v192, off, s[0:3], 0 offset:956
	s_waitcnt vmcnt(2)
	v_add_f64 v[3:4], v[3:4], -v[189:190]
	s_waitcnt vmcnt(0)
	v_add_f64 v[1:2], v[191:192], -v[1:2]
	buffer_store_dword v4, off, s[0:3], 0 offset:948
	buffer_store_dword v3, off, s[0:3], 0 offset:944
	buffer_store_dword v2, off, s[0:3], 0 offset:956
	buffer_store_dword v1, off, s[0:3], 0 offset:952
	ds_read2_b64 v[1:4], v245 offset0:120 offset1:121
	s_waitcnt lgkmcnt(0)
	v_mul_f64 v[189:190], v[3:4], v[187:188]
	v_fma_f64 v[189:190], v[1:2], v[185:186], -v[189:190]
	v_mul_f64 v[1:2], v[1:2], v[187:188]
	v_fma_f64 v[1:2], v[3:4], v[185:186], v[1:2]
	s_clause 0x3
	buffer_load_dword v3, off, s[0:3], 0 offset:960
	buffer_load_dword v4, off, s[0:3], 0 offset:964
	buffer_load_dword v191, off, s[0:3], 0 offset:968
	buffer_load_dword v192, off, s[0:3], 0 offset:972
	s_waitcnt vmcnt(2)
	v_add_f64 v[3:4], v[3:4], -v[189:190]
	;; [unrolled: 19-line block ×3, first 2 shown]
	s_waitcnt vmcnt(0)
	v_add_f64 v[1:2], v[185:186], -v[1:2]
	buffer_store_dword v4, off, s[0:3], 0 offset:980
	buffer_store_dword v3, off, s[0:3], 0 offset:976
	;; [unrolled: 1-line block ×4, first 2 shown]
.LBB123_545:
	s_or_b32 exec_lo, exec_lo, s5
	s_mov_b32 s6, exec_lo
	s_waitcnt lgkmcnt(0)
	s_waitcnt_vscnt null, 0x0
	s_barrier
	buffer_gl0_inv
	v_cmpx_eq_u32_e32 46, v0
	s_cbranch_execz .LBB123_552
; %bb.546:
	v_mov_b32_e32 v4, s28
	s_clause 0x3
	buffer_load_dword v1, v4, s[0:3], 0 offen
	buffer_load_dword v2, v4, s[0:3], 0 offen offset:4
	buffer_load_dword v3, v4, s[0:3], 0 offen offset:8
	;; [unrolled: 1-line block ×3, first 2 shown]
	s_waitcnt vmcnt(0)
	ds_write2_b64 v255, v[1:2], v[3:4] offset1:1
	v_mov_b32_e32 v4, s27
	s_clause 0x3
	buffer_load_dword v1, v4, s[0:3], 0 offen
	buffer_load_dword v2, v4, s[0:3], 0 offen offset:4
	buffer_load_dword v3, v4, s[0:3], 0 offen offset:8
	buffer_load_dword v4, v4, s[0:3], 0 offen offset:12
	s_waitcnt vmcnt(0)
	ds_write2_b64 v245, v[1:2], v[3:4] offset0:94 offset1:95
	v_mov_b32_e32 v4, s26
	s_clause 0x3
	buffer_load_dword v1, v4, s[0:3], 0 offen
	buffer_load_dword v2, v4, s[0:3], 0 offen offset:4
	buffer_load_dword v3, v4, s[0:3], 0 offen offset:8
	buffer_load_dword v4, v4, s[0:3], 0 offen offset:12
	s_waitcnt vmcnt(0)
	ds_write2_b64 v245, v[1:2], v[3:4] offset0:96 offset1:97
	;; [unrolled: 8-line block ×15, first 2 shown]
	ds_read2_b64 v[185:188], v255 offset1:1
	s_waitcnt lgkmcnt(0)
	v_cmp_neq_f64_e32 vcc_lo, 0, v[185:186]
	v_cmp_neq_f64_e64 s5, 0, v[187:188]
	s_or_b32 s5, vcc_lo, s5
	s_and_b32 exec_lo, exec_lo, s5
	s_cbranch_execz .LBB123_552
; %bb.547:
	v_cmp_ngt_f64_e64 s5, |v[185:186]|, |v[187:188]|
                                        ; implicit-def: $vgpr1_vgpr2
	s_and_saveexec_b32 s7, s5
	s_xor_b32 s5, exec_lo, s7
                                        ; implicit-def: $vgpr3_vgpr4
	s_cbranch_execz .LBB123_549
; %bb.548:
	v_div_scale_f64 v[1:2], null, v[187:188], v[187:188], v[185:186]
	v_div_scale_f64 v[191:192], vcc_lo, v[185:186], v[187:188], v[185:186]
	v_rcp_f64_e32 v[3:4], v[1:2]
	v_fma_f64 v[189:190], -v[1:2], v[3:4], 1.0
	v_fma_f64 v[3:4], v[3:4], v[189:190], v[3:4]
	v_fma_f64 v[189:190], -v[1:2], v[3:4], 1.0
	v_fma_f64 v[3:4], v[3:4], v[189:190], v[3:4]
	v_mul_f64 v[189:190], v[191:192], v[3:4]
	v_fma_f64 v[1:2], -v[1:2], v[189:190], v[191:192]
	v_div_fmas_f64 v[1:2], v[1:2], v[3:4], v[189:190]
	v_div_fixup_f64 v[1:2], v[1:2], v[187:188], v[185:186]
	v_fma_f64 v[3:4], v[185:186], v[1:2], v[187:188]
	v_div_scale_f64 v[185:186], null, v[3:4], v[3:4], 1.0
	v_rcp_f64_e32 v[187:188], v[185:186]
	v_fma_f64 v[189:190], -v[185:186], v[187:188], 1.0
	v_fma_f64 v[187:188], v[187:188], v[189:190], v[187:188]
	v_fma_f64 v[189:190], -v[185:186], v[187:188], 1.0
	v_fma_f64 v[187:188], v[187:188], v[189:190], v[187:188]
	v_div_scale_f64 v[189:190], vcc_lo, 1.0, v[3:4], 1.0
	v_mul_f64 v[191:192], v[189:190], v[187:188]
	v_fma_f64 v[185:186], -v[185:186], v[191:192], v[189:190]
	v_div_fmas_f64 v[185:186], v[185:186], v[187:188], v[191:192]
	v_div_fixup_f64 v[3:4], v[185:186], v[3:4], 1.0
                                        ; implicit-def: $vgpr185_vgpr186
	v_mul_f64 v[1:2], v[1:2], v[3:4]
	v_xor_b32_e32 v4, 0x80000000, v4
.LBB123_549:
	s_andn2_saveexec_b32 s5, s5
	s_cbranch_execz .LBB123_551
; %bb.550:
	v_div_scale_f64 v[1:2], null, v[185:186], v[185:186], v[187:188]
	v_div_scale_f64 v[191:192], vcc_lo, v[187:188], v[185:186], v[187:188]
	v_rcp_f64_e32 v[3:4], v[1:2]
	v_fma_f64 v[189:190], -v[1:2], v[3:4], 1.0
	v_fma_f64 v[3:4], v[3:4], v[189:190], v[3:4]
	v_fma_f64 v[189:190], -v[1:2], v[3:4], 1.0
	v_fma_f64 v[3:4], v[3:4], v[189:190], v[3:4]
	v_mul_f64 v[189:190], v[191:192], v[3:4]
	v_fma_f64 v[1:2], -v[1:2], v[189:190], v[191:192]
	v_div_fmas_f64 v[1:2], v[1:2], v[3:4], v[189:190]
	v_div_fixup_f64 v[3:4], v[1:2], v[185:186], v[187:188]
	v_fma_f64 v[1:2], v[187:188], v[3:4], v[185:186]
	v_div_scale_f64 v[185:186], null, v[1:2], v[1:2], 1.0
	v_rcp_f64_e32 v[187:188], v[185:186]
	v_fma_f64 v[189:190], -v[185:186], v[187:188], 1.0
	v_fma_f64 v[187:188], v[187:188], v[189:190], v[187:188]
	v_fma_f64 v[189:190], -v[185:186], v[187:188], 1.0
	v_fma_f64 v[187:188], v[187:188], v[189:190], v[187:188]
	v_div_scale_f64 v[189:190], vcc_lo, 1.0, v[1:2], 1.0
	v_mul_f64 v[191:192], v[189:190], v[187:188]
	v_fma_f64 v[185:186], -v[185:186], v[191:192], v[189:190]
	v_div_fmas_f64 v[185:186], v[185:186], v[187:188], v[191:192]
	v_div_fixup_f64 v[1:2], v[185:186], v[1:2], 1.0
	v_mul_f64 v[3:4], v[3:4], -v[1:2]
.LBB123_551:
	s_or_b32 exec_lo, exec_lo, s5
	ds_write2_b64 v255, v[1:2], v[3:4] offset1:1
.LBB123_552:
	s_or_b32 exec_lo, exec_lo, s6
	s_waitcnt lgkmcnt(0)
	s_barrier
	buffer_gl0_inv
	ds_read2_b64 v[185:188], v255 offset1:1
	s_mov_b32 s5, exec_lo
	v_cmpx_lt_u32_e32 46, v0
	s_cbranch_execz .LBB123_554
; %bb.553:
	s_clause 0xf
	buffer_load_dword v1, off, s[0:3], 0 offset:736
	buffer_load_dword v2, off, s[0:3], 0 offset:740
	;; [unrolled: 1-line block ×16, first 2 shown]
	s_waitcnt vmcnt(12) lgkmcnt(0)
	v_mul_f64 v[201:202], v[187:188], v[3:4]
	v_mul_f64 v[3:4], v[185:186], v[3:4]
	v_fma_f64 v[201:202], v[185:186], v[1:2], -v[201:202]
	v_fma_f64 v[203:204], v[187:188], v[1:2], v[3:4]
	buffer_store_dword v201, off, s[0:3], 0 offset:736
	buffer_store_dword v202, off, s[0:3], 0 offset:740
	buffer_store_dword v203, off, s[0:3], 0 offset:744
	buffer_store_dword v204, off, s[0:3], 0 offset:748
	ds_read2_b64 v[1:4], v245 offset0:94 offset1:95
	s_waitcnt lgkmcnt(0)
	v_mul_f64 v[205:206], v[3:4], v[203:204]
	v_fma_f64 v[205:206], v[1:2], v[201:202], -v[205:206]
	v_mul_f64 v[1:2], v[1:2], v[203:204]
	v_fma_f64 v[1:2], v[3:4], v[201:202], v[1:2]
	s_waitcnt vmcnt(10)
	v_add_f64 v[3:4], v[189:190], -v[205:206]
	s_waitcnt vmcnt(8)
	v_add_f64 v[1:2], v[191:192], -v[1:2]
	buffer_store_dword v3, off, s[0:3], 0 offset:752
	buffer_store_dword v4, off, s[0:3], 0 offset:756
	buffer_store_dword v1, off, s[0:3], 0 offset:760
	buffer_store_dword v2, off, s[0:3], 0 offset:764
	ds_read2_b64 v[1:4], v245 offset0:96 offset1:97
	s_waitcnt lgkmcnt(0)
	v_mul_f64 v[189:190], v[3:4], v[203:204]
	v_fma_f64 v[189:190], v[1:2], v[201:202], -v[189:190]
	v_mul_f64 v[1:2], v[1:2], v[203:204]
	v_fma_f64 v[1:2], v[3:4], v[201:202], v[1:2]
	s_waitcnt vmcnt(6)
	v_add_f64 v[3:4], v[193:194], -v[189:190]
	s_waitcnt vmcnt(4)
	v_add_f64 v[1:2], v[195:196], -v[1:2]
	;; [unrolled: 14-line block ×3, first 2 shown]
	buffer_store_dword v4, off, s[0:3], 0 offset:788
	buffer_store_dword v3, off, s[0:3], 0 offset:784
	buffer_store_dword v1, off, s[0:3], 0 offset:792
	buffer_store_dword v2, off, s[0:3], 0 offset:796
	ds_read2_b64 v[1:4], v245 offset0:100 offset1:101
	s_waitcnt lgkmcnt(0)
	v_mul_f64 v[189:190], v[3:4], v[203:204]
	v_fma_f64 v[189:190], v[1:2], v[201:202], -v[189:190]
	v_mul_f64 v[1:2], v[1:2], v[203:204]
	v_fma_f64 v[1:2], v[3:4], v[201:202], v[1:2]
	s_clause 0x3
	buffer_load_dword v3, off, s[0:3], 0 offset:800
	buffer_load_dword v4, off, s[0:3], 0 offset:804
	buffer_load_dword v191, off, s[0:3], 0 offset:808
	buffer_load_dword v192, off, s[0:3], 0 offset:812
	s_waitcnt vmcnt(2)
	v_add_f64 v[3:4], v[3:4], -v[189:190]
	s_waitcnt vmcnt(0)
	v_add_f64 v[1:2], v[191:192], -v[1:2]
	buffer_store_dword v4, off, s[0:3], 0 offset:804
	buffer_store_dword v3, off, s[0:3], 0 offset:800
	buffer_store_dword v2, off, s[0:3], 0 offset:812
	buffer_store_dword v1, off, s[0:3], 0 offset:808
	ds_read2_b64 v[1:4], v245 offset0:102 offset1:103
	s_waitcnt lgkmcnt(0)
	v_mul_f64 v[189:190], v[3:4], v[203:204]
	v_fma_f64 v[189:190], v[1:2], v[201:202], -v[189:190]
	v_mul_f64 v[1:2], v[1:2], v[203:204]
	v_fma_f64 v[1:2], v[3:4], v[201:202], v[1:2]
	s_clause 0x3
	buffer_load_dword v3, off, s[0:3], 0 offset:816
	buffer_load_dword v4, off, s[0:3], 0 offset:820
	buffer_load_dword v191, off, s[0:3], 0 offset:824
	buffer_load_dword v192, off, s[0:3], 0 offset:828
	s_waitcnt vmcnt(2)
	v_add_f64 v[3:4], v[3:4], -v[189:190]
	s_waitcnt vmcnt(0)
	v_add_f64 v[1:2], v[191:192], -v[1:2]
	;; [unrolled: 19-line block ×3, first 2 shown]
	buffer_store_dword v4, off, s[0:3], 0 offset:836
	buffer_store_dword v3, off, s[0:3], 0 offset:832
	;; [unrolled: 1-line block ×4, first 2 shown]
	ds_read2_b64 v[1:4], v245 offset0:106 offset1:107
	s_clause 0x3
	buffer_load_dword v189, off, s[0:3], 0 offset:736
	buffer_load_dword v190, off, s[0:3], 0 offset:740
	;; [unrolled: 1-line block ×4, first 2 shown]
	s_waitcnt vmcnt(0) lgkmcnt(0)
	v_mul_f64 v[193:194], v[3:4], v[191:192]
	v_fma_f64 v[193:194], v[1:2], v[189:190], -v[193:194]
	v_mul_f64 v[1:2], v[1:2], v[191:192]
	v_fma_f64 v[1:2], v[3:4], v[189:190], v[1:2]
	s_clause 0x1
	buffer_load_dword v4, off, s[0:3], 0 offset:852
	buffer_load_dword v3, off, s[0:3], 0 offset:848
	s_waitcnt vmcnt(0)
	v_add_f64 v[3:4], v[3:4], -v[193:194]
	s_clause 0x1
	buffer_load_dword v194, off, s[0:3], 0 offset:860
	buffer_load_dword v193, off, s[0:3], 0 offset:856
	s_waitcnt vmcnt(0)
	v_add_f64 v[1:2], v[193:194], -v[1:2]
	buffer_store_dword v4, off, s[0:3], 0 offset:852
	buffer_store_dword v3, off, s[0:3], 0 offset:848
	buffer_store_dword v2, off, s[0:3], 0 offset:860
	buffer_store_dword v1, off, s[0:3], 0 offset:856
	ds_read2_b64 v[1:4], v245 offset0:108 offset1:109
	s_waitcnt lgkmcnt(0)
	v_mul_f64 v[193:194], v[3:4], v[191:192]
	v_fma_f64 v[193:194], v[1:2], v[189:190], -v[193:194]
	v_mul_f64 v[1:2], v[1:2], v[191:192]
	v_fma_f64 v[1:2], v[3:4], v[189:190], v[1:2]
	s_clause 0x3
	buffer_load_dword v3, off, s[0:3], 0 offset:864
	buffer_load_dword v4, off, s[0:3], 0 offset:868
	buffer_load_dword v195, off, s[0:3], 0 offset:872
	buffer_load_dword v196, off, s[0:3], 0 offset:876
	s_waitcnt vmcnt(2)
	v_add_f64 v[3:4], v[3:4], -v[193:194]
	s_waitcnt vmcnt(0)
	v_add_f64 v[1:2], v[195:196], -v[1:2]
	buffer_store_dword v4, off, s[0:3], 0 offset:868
	buffer_store_dword v3, off, s[0:3], 0 offset:864
	buffer_store_dword v2, off, s[0:3], 0 offset:876
	buffer_store_dword v1, off, s[0:3], 0 offset:872
	ds_read2_b64 v[1:4], v245 offset0:110 offset1:111
	s_waitcnt lgkmcnt(0)
	v_mul_f64 v[193:194], v[3:4], v[191:192]
	v_fma_f64 v[193:194], v[1:2], v[189:190], -v[193:194]
	v_mul_f64 v[1:2], v[1:2], v[191:192]
	v_fma_f64 v[1:2], v[3:4], v[189:190], v[1:2]
	s_clause 0x3
	buffer_load_dword v3, off, s[0:3], 0 offset:880
	buffer_load_dword v4, off, s[0:3], 0 offset:884
	buffer_load_dword v195, off, s[0:3], 0 offset:888
	buffer_load_dword v196, off, s[0:3], 0 offset:892
	s_waitcnt vmcnt(2)
	v_add_f64 v[3:4], v[3:4], -v[193:194]
	;; [unrolled: 19-line block ×5, first 2 shown]
	s_waitcnt vmcnt(0)
	v_add_f64 v[1:2], v[189:190], -v[1:2]
	buffer_store_dword v4, off, s[0:3], 0 offset:932
	buffer_store_dword v3, off, s[0:3], 0 offset:928
	;; [unrolled: 1-line block ×4, first 2 shown]
	ds_read2_b64 v[1:4], v245 offset0:118 offset1:119
	s_clause 0x3
	buffer_load_dword v189, off, s[0:3], 0 offset:736
	buffer_load_dword v190, off, s[0:3], 0 offset:740
	buffer_load_dword v191, off, s[0:3], 0 offset:744
	buffer_load_dword v192, off, s[0:3], 0 offset:748
	s_waitcnt vmcnt(0) lgkmcnt(0)
	v_mul_f64 v[193:194], v[3:4], v[191:192]
	v_fma_f64 v[193:194], v[1:2], v[189:190], -v[193:194]
	v_mul_f64 v[1:2], v[1:2], v[191:192]
	v_fma_f64 v[1:2], v[3:4], v[189:190], v[1:2]
	s_clause 0x1
	buffer_load_dword v4, off, s[0:3], 0 offset:948
	buffer_load_dword v3, off, s[0:3], 0 offset:944
	s_waitcnt vmcnt(0)
	v_add_f64 v[3:4], v[3:4], -v[193:194]
	s_clause 0x1
	buffer_load_dword v194, off, s[0:3], 0 offset:956
	buffer_load_dword v193, off, s[0:3], 0 offset:952
	s_waitcnt vmcnt(0)
	v_add_f64 v[1:2], v[193:194], -v[1:2]
	buffer_store_dword v4, off, s[0:3], 0 offset:948
	buffer_store_dword v3, off, s[0:3], 0 offset:944
	buffer_store_dword v2, off, s[0:3], 0 offset:956
	buffer_store_dword v1, off, s[0:3], 0 offset:952
	ds_read2_b64 v[1:4], v245 offset0:120 offset1:121
	s_waitcnt lgkmcnt(0)
	v_mul_f64 v[193:194], v[3:4], v[191:192]
	v_fma_f64 v[193:194], v[1:2], v[189:190], -v[193:194]
	v_mul_f64 v[1:2], v[1:2], v[191:192]
	v_fma_f64 v[1:2], v[3:4], v[189:190], v[1:2]
	s_clause 0x3
	buffer_load_dword v3, off, s[0:3], 0 offset:960
	buffer_load_dword v4, off, s[0:3], 0 offset:964
	;; [unrolled: 1-line block ×4, first 2 shown]
	s_waitcnt vmcnt(2)
	v_add_f64 v[3:4], v[3:4], -v[193:194]
	s_waitcnt vmcnt(0)
	v_add_f64 v[1:2], v[195:196], -v[1:2]
	buffer_store_dword v4, off, s[0:3], 0 offset:964
	buffer_store_dword v3, off, s[0:3], 0 offset:960
	;; [unrolled: 1-line block ×4, first 2 shown]
	ds_read2_b64 v[1:4], v245 offset0:122 offset1:123
	s_waitcnt lgkmcnt(0)
	v_mul_f64 v[193:194], v[3:4], v[191:192]
	v_fma_f64 v[193:194], v[1:2], v[189:190], -v[193:194]
	v_mul_f64 v[1:2], v[1:2], v[191:192]
	v_fma_f64 v[1:2], v[3:4], v[189:190], v[1:2]
	s_clause 0x3
	buffer_load_dword v3, off, s[0:3], 0 offset:976
	buffer_load_dword v4, off, s[0:3], 0 offset:980
	;; [unrolled: 1-line block ×4, first 2 shown]
	s_waitcnt vmcnt(2)
	v_add_f64 v[3:4], v[3:4], -v[193:194]
	s_waitcnt vmcnt(0)
	v_add_f64 v[1:2], v[189:190], -v[1:2]
	buffer_store_dword v4, off, s[0:3], 0 offset:980
	buffer_store_dword v3, off, s[0:3], 0 offset:976
	;; [unrolled: 1-line block ×4, first 2 shown]
.LBB123_554:
	s_or_b32 exec_lo, exec_lo, s5
	s_mov_b32 s6, exec_lo
	s_waitcnt lgkmcnt(0)
	s_waitcnt_vscnt null, 0x0
	s_barrier
	buffer_gl0_inv
	v_cmpx_eq_u32_e32 47, v0
	s_cbranch_execz .LBB123_561
; %bb.555:
	v_mov_b32_e32 v4, s27
	s_clause 0x3
	buffer_load_dword v1, v4, s[0:3], 0 offen
	buffer_load_dword v2, v4, s[0:3], 0 offen offset:4
	buffer_load_dword v3, v4, s[0:3], 0 offen offset:8
	;; [unrolled: 1-line block ×3, first 2 shown]
	s_waitcnt vmcnt(0)
	ds_write2_b64 v255, v[1:2], v[3:4] offset1:1
	v_mov_b32_e32 v4, s26
	s_clause 0x3
	buffer_load_dword v1, v4, s[0:3], 0 offen
	buffer_load_dword v2, v4, s[0:3], 0 offen offset:4
	buffer_load_dword v3, v4, s[0:3], 0 offen offset:8
	buffer_load_dword v4, v4, s[0:3], 0 offen offset:12
	s_waitcnt vmcnt(0)
	ds_write2_b64 v245, v[1:2], v[3:4] offset0:96 offset1:97
	v_mov_b32_e32 v4, s25
	s_clause 0x3
	buffer_load_dword v1, v4, s[0:3], 0 offen
	buffer_load_dword v2, v4, s[0:3], 0 offen offset:4
	buffer_load_dword v3, v4, s[0:3], 0 offen offset:8
	buffer_load_dword v4, v4, s[0:3], 0 offen offset:12
	s_waitcnt vmcnt(0)
	ds_write2_b64 v245, v[1:2], v[3:4] offset0:98 offset1:99
	;; [unrolled: 8-line block ×14, first 2 shown]
	ds_read2_b64 v[189:192], v255 offset1:1
	s_waitcnt lgkmcnt(0)
	v_cmp_neq_f64_e32 vcc_lo, 0, v[189:190]
	v_cmp_neq_f64_e64 s5, 0, v[191:192]
	s_or_b32 s5, vcc_lo, s5
	s_and_b32 exec_lo, exec_lo, s5
	s_cbranch_execz .LBB123_561
; %bb.556:
	v_cmp_ngt_f64_e64 s5, |v[189:190]|, |v[191:192]|
                                        ; implicit-def: $vgpr1_vgpr2
	s_and_saveexec_b32 s7, s5
	s_xor_b32 s5, exec_lo, s7
                                        ; implicit-def: $vgpr3_vgpr4
	s_cbranch_execz .LBB123_558
; %bb.557:
	v_div_scale_f64 v[1:2], null, v[191:192], v[191:192], v[189:190]
	v_div_scale_f64 v[195:196], vcc_lo, v[189:190], v[191:192], v[189:190]
	v_rcp_f64_e32 v[3:4], v[1:2]
	v_fma_f64 v[193:194], -v[1:2], v[3:4], 1.0
	v_fma_f64 v[3:4], v[3:4], v[193:194], v[3:4]
	v_fma_f64 v[193:194], -v[1:2], v[3:4], 1.0
	v_fma_f64 v[3:4], v[3:4], v[193:194], v[3:4]
	v_mul_f64 v[193:194], v[195:196], v[3:4]
	v_fma_f64 v[1:2], -v[1:2], v[193:194], v[195:196]
	v_div_fmas_f64 v[1:2], v[1:2], v[3:4], v[193:194]
	v_div_fixup_f64 v[1:2], v[1:2], v[191:192], v[189:190]
	v_fma_f64 v[3:4], v[189:190], v[1:2], v[191:192]
	v_div_scale_f64 v[189:190], null, v[3:4], v[3:4], 1.0
	v_rcp_f64_e32 v[191:192], v[189:190]
	v_fma_f64 v[193:194], -v[189:190], v[191:192], 1.0
	v_fma_f64 v[191:192], v[191:192], v[193:194], v[191:192]
	v_fma_f64 v[193:194], -v[189:190], v[191:192], 1.0
	v_fma_f64 v[191:192], v[191:192], v[193:194], v[191:192]
	v_div_scale_f64 v[193:194], vcc_lo, 1.0, v[3:4], 1.0
	v_mul_f64 v[195:196], v[193:194], v[191:192]
	v_fma_f64 v[189:190], -v[189:190], v[195:196], v[193:194]
	v_div_fmas_f64 v[189:190], v[189:190], v[191:192], v[195:196]
	v_div_fixup_f64 v[3:4], v[189:190], v[3:4], 1.0
                                        ; implicit-def: $vgpr189_vgpr190
	v_mul_f64 v[1:2], v[1:2], v[3:4]
	v_xor_b32_e32 v4, 0x80000000, v4
.LBB123_558:
	s_andn2_saveexec_b32 s5, s5
	s_cbranch_execz .LBB123_560
; %bb.559:
	v_div_scale_f64 v[1:2], null, v[189:190], v[189:190], v[191:192]
	v_div_scale_f64 v[195:196], vcc_lo, v[191:192], v[189:190], v[191:192]
	v_rcp_f64_e32 v[3:4], v[1:2]
	v_fma_f64 v[193:194], -v[1:2], v[3:4], 1.0
	v_fma_f64 v[3:4], v[3:4], v[193:194], v[3:4]
	v_fma_f64 v[193:194], -v[1:2], v[3:4], 1.0
	v_fma_f64 v[3:4], v[3:4], v[193:194], v[3:4]
	v_mul_f64 v[193:194], v[195:196], v[3:4]
	v_fma_f64 v[1:2], -v[1:2], v[193:194], v[195:196]
	v_div_fmas_f64 v[1:2], v[1:2], v[3:4], v[193:194]
	v_div_fixup_f64 v[3:4], v[1:2], v[189:190], v[191:192]
	v_fma_f64 v[1:2], v[191:192], v[3:4], v[189:190]
	v_div_scale_f64 v[189:190], null, v[1:2], v[1:2], 1.0
	v_rcp_f64_e32 v[191:192], v[189:190]
	v_fma_f64 v[193:194], -v[189:190], v[191:192], 1.0
	v_fma_f64 v[191:192], v[191:192], v[193:194], v[191:192]
	v_fma_f64 v[193:194], -v[189:190], v[191:192], 1.0
	v_fma_f64 v[191:192], v[191:192], v[193:194], v[191:192]
	v_div_scale_f64 v[193:194], vcc_lo, 1.0, v[1:2], 1.0
	v_mul_f64 v[195:196], v[193:194], v[191:192]
	v_fma_f64 v[189:190], -v[189:190], v[195:196], v[193:194]
	v_div_fmas_f64 v[189:190], v[189:190], v[191:192], v[195:196]
	v_div_fixup_f64 v[1:2], v[189:190], v[1:2], 1.0
	v_mul_f64 v[3:4], v[3:4], -v[1:2]
.LBB123_560:
	s_or_b32 exec_lo, exec_lo, s5
	ds_write2_b64 v255, v[1:2], v[3:4] offset1:1
.LBB123_561:
	s_or_b32 exec_lo, exec_lo, s6
	s_waitcnt lgkmcnt(0)
	s_barrier
	buffer_gl0_inv
	ds_read2_b64 v[189:192], v255 offset1:1
	s_mov_b32 s5, exec_lo
	v_cmpx_lt_u32_e32 47, v0
	s_cbranch_execz .LBB123_563
; %bb.562:
	s_clause 0xf
	buffer_load_dword v1, off, s[0:3], 0 offset:752
	buffer_load_dword v2, off, s[0:3], 0 offset:756
	;; [unrolled: 1-line block ×16, first 2 shown]
	s_waitcnt vmcnt(12) lgkmcnt(0)
	v_mul_f64 v[205:206], v[191:192], v[3:4]
	v_mul_f64 v[3:4], v[189:190], v[3:4]
	v_fma_f64 v[205:206], v[189:190], v[1:2], -v[205:206]
	v_fma_f64 v[207:208], v[191:192], v[1:2], v[3:4]
	buffer_store_dword v205, off, s[0:3], 0 offset:752
	buffer_store_dword v206, off, s[0:3], 0 offset:756
	buffer_store_dword v207, off, s[0:3], 0 offset:760
	buffer_store_dword v208, off, s[0:3], 0 offset:764
	ds_read2_b64 v[1:4], v245 offset0:96 offset1:97
	s_waitcnt lgkmcnt(0)
	v_mul_f64 v[209:210], v[3:4], v[207:208]
	v_fma_f64 v[209:210], v[1:2], v[205:206], -v[209:210]
	v_mul_f64 v[1:2], v[1:2], v[207:208]
	v_fma_f64 v[1:2], v[3:4], v[205:206], v[1:2]
	s_waitcnt vmcnt(10)
	v_add_f64 v[3:4], v[193:194], -v[209:210]
	s_waitcnt vmcnt(8)
	v_add_f64 v[1:2], v[195:196], -v[1:2]
	buffer_store_dword v3, off, s[0:3], 0 offset:768
	buffer_store_dword v4, off, s[0:3], 0 offset:772
	buffer_store_dword v1, off, s[0:3], 0 offset:776
	buffer_store_dword v2, off, s[0:3], 0 offset:780
	ds_read2_b64 v[1:4], v245 offset0:98 offset1:99
	s_waitcnt lgkmcnt(0)
	v_mul_f64 v[193:194], v[3:4], v[207:208]
	v_fma_f64 v[193:194], v[1:2], v[205:206], -v[193:194]
	v_mul_f64 v[1:2], v[1:2], v[207:208]
	v_fma_f64 v[1:2], v[3:4], v[205:206], v[1:2]
	s_waitcnt vmcnt(6)
	v_add_f64 v[3:4], v[197:198], -v[193:194]
	s_waitcnt vmcnt(4)
	v_add_f64 v[1:2], v[199:200], -v[1:2]
	;; [unrolled: 14-line block ×3, first 2 shown]
	buffer_store_dword v4, off, s[0:3], 0 offset:804
	buffer_store_dword v3, off, s[0:3], 0 offset:800
	buffer_store_dword v1, off, s[0:3], 0 offset:808
	buffer_store_dword v2, off, s[0:3], 0 offset:812
	ds_read2_b64 v[1:4], v245 offset0:102 offset1:103
	s_waitcnt lgkmcnt(0)
	v_mul_f64 v[193:194], v[3:4], v[207:208]
	v_fma_f64 v[193:194], v[1:2], v[205:206], -v[193:194]
	v_mul_f64 v[1:2], v[1:2], v[207:208]
	v_fma_f64 v[1:2], v[3:4], v[205:206], v[1:2]
	s_clause 0x3
	buffer_load_dword v3, off, s[0:3], 0 offset:816
	buffer_load_dword v4, off, s[0:3], 0 offset:820
	buffer_load_dword v195, off, s[0:3], 0 offset:824
	buffer_load_dword v196, off, s[0:3], 0 offset:828
	s_waitcnt vmcnt(2)
	v_add_f64 v[3:4], v[3:4], -v[193:194]
	s_waitcnt vmcnt(0)
	v_add_f64 v[1:2], v[195:196], -v[1:2]
	buffer_store_dword v4, off, s[0:3], 0 offset:820
	buffer_store_dword v3, off, s[0:3], 0 offset:816
	buffer_store_dword v2, off, s[0:3], 0 offset:828
	buffer_store_dword v1, off, s[0:3], 0 offset:824
	ds_read2_b64 v[1:4], v245 offset0:104 offset1:105
	s_waitcnt lgkmcnt(0)
	v_mul_f64 v[193:194], v[3:4], v[207:208]
	v_fma_f64 v[193:194], v[1:2], v[205:206], -v[193:194]
	v_mul_f64 v[1:2], v[1:2], v[207:208]
	v_fma_f64 v[1:2], v[3:4], v[205:206], v[1:2]
	s_clause 0x3
	buffer_load_dword v3, off, s[0:3], 0 offset:832
	buffer_load_dword v4, off, s[0:3], 0 offset:836
	buffer_load_dword v195, off, s[0:3], 0 offset:840
	buffer_load_dword v196, off, s[0:3], 0 offset:844
	s_waitcnt vmcnt(2)
	v_add_f64 v[3:4], v[3:4], -v[193:194]
	s_waitcnt vmcnt(0)
	v_add_f64 v[1:2], v[195:196], -v[1:2]
	;; [unrolled: 19-line block ×3, first 2 shown]
	buffer_store_dword v4, off, s[0:3], 0 offset:852
	buffer_store_dword v3, off, s[0:3], 0 offset:848
	;; [unrolled: 1-line block ×4, first 2 shown]
	ds_read2_b64 v[1:4], v245 offset0:108 offset1:109
	s_clause 0x3
	buffer_load_dword v193, off, s[0:3], 0 offset:752
	buffer_load_dword v194, off, s[0:3], 0 offset:756
	;; [unrolled: 1-line block ×4, first 2 shown]
	s_waitcnt vmcnt(0) lgkmcnt(0)
	v_mul_f64 v[197:198], v[3:4], v[195:196]
	v_fma_f64 v[197:198], v[1:2], v[193:194], -v[197:198]
	v_mul_f64 v[1:2], v[1:2], v[195:196]
	v_fma_f64 v[1:2], v[3:4], v[193:194], v[1:2]
	s_clause 0x1
	buffer_load_dword v4, off, s[0:3], 0 offset:868
	buffer_load_dword v3, off, s[0:3], 0 offset:864
	s_waitcnt vmcnt(0)
	v_add_f64 v[3:4], v[3:4], -v[197:198]
	s_clause 0x1
	buffer_load_dword v198, off, s[0:3], 0 offset:876
	buffer_load_dword v197, off, s[0:3], 0 offset:872
	s_waitcnt vmcnt(0)
	v_add_f64 v[1:2], v[197:198], -v[1:2]
	buffer_store_dword v4, off, s[0:3], 0 offset:868
	buffer_store_dword v3, off, s[0:3], 0 offset:864
	buffer_store_dword v2, off, s[0:3], 0 offset:876
	buffer_store_dword v1, off, s[0:3], 0 offset:872
	ds_read2_b64 v[1:4], v245 offset0:110 offset1:111
	s_waitcnt lgkmcnt(0)
	v_mul_f64 v[197:198], v[3:4], v[195:196]
	v_fma_f64 v[197:198], v[1:2], v[193:194], -v[197:198]
	v_mul_f64 v[1:2], v[1:2], v[195:196]
	v_fma_f64 v[1:2], v[3:4], v[193:194], v[1:2]
	s_clause 0x3
	buffer_load_dword v3, off, s[0:3], 0 offset:880
	buffer_load_dword v4, off, s[0:3], 0 offset:884
	buffer_load_dword v199, off, s[0:3], 0 offset:888
	buffer_load_dword v200, off, s[0:3], 0 offset:892
	s_waitcnt vmcnt(2)
	v_add_f64 v[3:4], v[3:4], -v[197:198]
	s_waitcnt vmcnt(0)
	v_add_f64 v[1:2], v[199:200], -v[1:2]
	buffer_store_dword v4, off, s[0:3], 0 offset:884
	buffer_store_dword v3, off, s[0:3], 0 offset:880
	buffer_store_dword v2, off, s[0:3], 0 offset:892
	buffer_store_dword v1, off, s[0:3], 0 offset:888
	ds_read2_b64 v[1:4], v245 offset0:112 offset1:113
	s_waitcnt lgkmcnt(0)
	v_mul_f64 v[197:198], v[3:4], v[195:196]
	v_fma_f64 v[197:198], v[1:2], v[193:194], -v[197:198]
	v_mul_f64 v[1:2], v[1:2], v[195:196]
	v_fma_f64 v[1:2], v[3:4], v[193:194], v[1:2]
	s_clause 0x3
	buffer_load_dword v3, off, s[0:3], 0 offset:896
	buffer_load_dword v4, off, s[0:3], 0 offset:900
	buffer_load_dword v199, off, s[0:3], 0 offset:904
	buffer_load_dword v200, off, s[0:3], 0 offset:908
	s_waitcnt vmcnt(2)
	v_add_f64 v[3:4], v[3:4], -v[197:198]
	;; [unrolled: 19-line block ×5, first 2 shown]
	s_waitcnt vmcnt(0)
	v_add_f64 v[1:2], v[193:194], -v[1:2]
	buffer_store_dword v4, off, s[0:3], 0 offset:948
	buffer_store_dword v3, off, s[0:3], 0 offset:944
	;; [unrolled: 1-line block ×4, first 2 shown]
	ds_read2_b64 v[1:4], v245 offset0:120 offset1:121
	s_clause 0x3
	buffer_load_dword v193, off, s[0:3], 0 offset:752
	buffer_load_dword v194, off, s[0:3], 0 offset:756
	;; [unrolled: 1-line block ×4, first 2 shown]
	s_waitcnt vmcnt(0) lgkmcnt(0)
	v_mul_f64 v[197:198], v[3:4], v[195:196]
	v_fma_f64 v[197:198], v[1:2], v[193:194], -v[197:198]
	v_mul_f64 v[1:2], v[1:2], v[195:196]
	v_fma_f64 v[1:2], v[3:4], v[193:194], v[1:2]
	s_clause 0x1
	buffer_load_dword v4, off, s[0:3], 0 offset:964
	buffer_load_dword v3, off, s[0:3], 0 offset:960
	s_waitcnt vmcnt(0)
	v_add_f64 v[3:4], v[3:4], -v[197:198]
	s_clause 0x1
	buffer_load_dword v198, off, s[0:3], 0 offset:972
	buffer_load_dword v197, off, s[0:3], 0 offset:968
	s_waitcnt vmcnt(0)
	v_add_f64 v[1:2], v[197:198], -v[1:2]
	buffer_store_dword v4, off, s[0:3], 0 offset:964
	buffer_store_dword v3, off, s[0:3], 0 offset:960
	;; [unrolled: 1-line block ×4, first 2 shown]
	ds_read2_b64 v[1:4], v245 offset0:122 offset1:123
	s_waitcnt lgkmcnt(0)
	v_mul_f64 v[197:198], v[3:4], v[195:196]
	v_fma_f64 v[197:198], v[1:2], v[193:194], -v[197:198]
	v_mul_f64 v[1:2], v[1:2], v[195:196]
	v_fma_f64 v[1:2], v[3:4], v[193:194], v[1:2]
	s_clause 0x3
	buffer_load_dword v3, off, s[0:3], 0 offset:976
	buffer_load_dword v4, off, s[0:3], 0 offset:980
	;; [unrolled: 1-line block ×4, first 2 shown]
	s_waitcnt vmcnt(2)
	v_add_f64 v[3:4], v[3:4], -v[197:198]
	s_waitcnt vmcnt(0)
	v_add_f64 v[1:2], v[193:194], -v[1:2]
	buffer_store_dword v4, off, s[0:3], 0 offset:980
	buffer_store_dword v3, off, s[0:3], 0 offset:976
	;; [unrolled: 1-line block ×4, first 2 shown]
.LBB123_563:
	s_or_b32 exec_lo, exec_lo, s5
	s_mov_b32 s6, exec_lo
	s_waitcnt lgkmcnt(0)
	s_waitcnt_vscnt null, 0x0
	s_barrier
	buffer_gl0_inv
	v_cmpx_eq_u32_e32 48, v0
	s_cbranch_execz .LBB123_570
; %bb.564:
	v_mov_b32_e32 v4, s26
	s_clause 0x3
	buffer_load_dword v1, v4, s[0:3], 0 offen
	buffer_load_dword v2, v4, s[0:3], 0 offen offset:4
	buffer_load_dword v3, v4, s[0:3], 0 offen offset:8
	;; [unrolled: 1-line block ×3, first 2 shown]
	s_waitcnt vmcnt(0)
	ds_write2_b64 v255, v[1:2], v[3:4] offset1:1
	v_mov_b32_e32 v4, s25
	s_clause 0x3
	buffer_load_dword v1, v4, s[0:3], 0 offen
	buffer_load_dword v2, v4, s[0:3], 0 offen offset:4
	buffer_load_dword v3, v4, s[0:3], 0 offen offset:8
	buffer_load_dword v4, v4, s[0:3], 0 offen offset:12
	s_waitcnt vmcnt(0)
	ds_write2_b64 v245, v[1:2], v[3:4] offset0:98 offset1:99
	v_mov_b32_e32 v4, s24
	s_clause 0x3
	buffer_load_dword v1, v4, s[0:3], 0 offen
	buffer_load_dword v2, v4, s[0:3], 0 offen offset:4
	buffer_load_dword v3, v4, s[0:3], 0 offen offset:8
	buffer_load_dword v4, v4, s[0:3], 0 offen offset:12
	s_waitcnt vmcnt(0)
	ds_write2_b64 v245, v[1:2], v[3:4] offset0:100 offset1:101
	v_mov_b32_e32 v4, s23
	s_clause 0x3
	buffer_load_dword v1, v4, s[0:3], 0 offen
	buffer_load_dword v2, v4, s[0:3], 0 offen offset:4
	buffer_load_dword v3, v4, s[0:3], 0 offen offset:8
	buffer_load_dword v4, v4, s[0:3], 0 offen offset:12
	s_waitcnt vmcnt(0)
	ds_write2_b64 v245, v[1:2], v[3:4] offset0:102 offset1:103
	v_mov_b32_e32 v4, s22
	s_clause 0x3
	buffer_load_dword v1, v4, s[0:3], 0 offen
	buffer_load_dword v2, v4, s[0:3], 0 offen offset:4
	buffer_load_dword v3, v4, s[0:3], 0 offen offset:8
	buffer_load_dword v4, v4, s[0:3], 0 offen offset:12
	s_waitcnt vmcnt(0)
	ds_write2_b64 v245, v[1:2], v[3:4] offset0:104 offset1:105
	v_mov_b32_e32 v4, s21
	s_clause 0x3
	buffer_load_dword v1, v4, s[0:3], 0 offen
	buffer_load_dword v2, v4, s[0:3], 0 offen offset:4
	buffer_load_dword v3, v4, s[0:3], 0 offen offset:8
	buffer_load_dword v4, v4, s[0:3], 0 offen offset:12
	s_waitcnt vmcnt(0)
	ds_write2_b64 v245, v[1:2], v[3:4] offset0:106 offset1:107
	v_mov_b32_e32 v4, s20
	s_clause 0x3
	buffer_load_dword v1, v4, s[0:3], 0 offen
	buffer_load_dword v2, v4, s[0:3], 0 offen offset:4
	buffer_load_dword v3, v4, s[0:3], 0 offen offset:8
	buffer_load_dword v4, v4, s[0:3], 0 offen offset:12
	s_waitcnt vmcnt(0)
	ds_write2_b64 v245, v[1:2], v[3:4] offset0:108 offset1:109
	v_mov_b32_e32 v4, s19
	s_clause 0x3
	buffer_load_dword v1, v4, s[0:3], 0 offen
	buffer_load_dword v2, v4, s[0:3], 0 offen offset:4
	buffer_load_dword v3, v4, s[0:3], 0 offen offset:8
	buffer_load_dword v4, v4, s[0:3], 0 offen offset:12
	s_waitcnt vmcnt(0)
	ds_write2_b64 v245, v[1:2], v[3:4] offset0:110 offset1:111
	v_mov_b32_e32 v4, s18
	s_clause 0x3
	buffer_load_dword v1, v4, s[0:3], 0 offen
	buffer_load_dword v2, v4, s[0:3], 0 offen offset:4
	buffer_load_dword v3, v4, s[0:3], 0 offen offset:8
	buffer_load_dword v4, v4, s[0:3], 0 offen offset:12
	s_waitcnt vmcnt(0)
	ds_write2_b64 v245, v[1:2], v[3:4] offset0:112 offset1:113
	v_mov_b32_e32 v4, s17
	s_clause 0x3
	buffer_load_dword v1, v4, s[0:3], 0 offen
	buffer_load_dword v2, v4, s[0:3], 0 offen offset:4
	buffer_load_dword v3, v4, s[0:3], 0 offen offset:8
	buffer_load_dword v4, v4, s[0:3], 0 offen offset:12
	s_waitcnt vmcnt(0)
	ds_write2_b64 v245, v[1:2], v[3:4] offset0:114 offset1:115
	v_mov_b32_e32 v4, s16
	s_clause 0x3
	buffer_load_dword v1, v4, s[0:3], 0 offen
	buffer_load_dword v2, v4, s[0:3], 0 offen offset:4
	buffer_load_dword v3, v4, s[0:3], 0 offen offset:8
	buffer_load_dword v4, v4, s[0:3], 0 offen offset:12
	s_waitcnt vmcnt(0)
	ds_write2_b64 v245, v[1:2], v[3:4] offset0:116 offset1:117
	v_mov_b32_e32 v4, s15
	s_clause 0x3
	buffer_load_dword v1, v4, s[0:3], 0 offen
	buffer_load_dword v2, v4, s[0:3], 0 offen offset:4
	buffer_load_dword v3, v4, s[0:3], 0 offen offset:8
	buffer_load_dword v4, v4, s[0:3], 0 offen offset:12
	s_waitcnt vmcnt(0)
	ds_write2_b64 v245, v[1:2], v[3:4] offset0:118 offset1:119
	v_mov_b32_e32 v4, s14
	s_clause 0x3
	buffer_load_dword v1, v4, s[0:3], 0 offen
	buffer_load_dword v2, v4, s[0:3], 0 offen offset:4
	buffer_load_dword v3, v4, s[0:3], 0 offen offset:8
	buffer_load_dword v4, v4, s[0:3], 0 offen offset:12
	s_waitcnt vmcnt(0)
	ds_write2_b64 v245, v[1:2], v[3:4] offset0:120 offset1:121
	v_mov_b32_e32 v4, s12
	s_clause 0x3
	buffer_load_dword v1, v4, s[0:3], 0 offen
	buffer_load_dword v2, v4, s[0:3], 0 offen offset:4
	buffer_load_dword v3, v4, s[0:3], 0 offen offset:8
	buffer_load_dword v4, v4, s[0:3], 0 offen offset:12
	s_waitcnt vmcnt(0)
	ds_write2_b64 v245, v[1:2], v[3:4] offset0:122 offset1:123
	ds_read2_b64 v[193:196], v255 offset1:1
	s_waitcnt lgkmcnt(0)
	v_cmp_neq_f64_e32 vcc_lo, 0, v[193:194]
	v_cmp_neq_f64_e64 s5, 0, v[195:196]
	s_or_b32 s5, vcc_lo, s5
	s_and_b32 exec_lo, exec_lo, s5
	s_cbranch_execz .LBB123_570
; %bb.565:
	v_cmp_ngt_f64_e64 s5, |v[193:194]|, |v[195:196]|
                                        ; implicit-def: $vgpr1_vgpr2
	s_and_saveexec_b32 s7, s5
	s_xor_b32 s5, exec_lo, s7
                                        ; implicit-def: $vgpr3_vgpr4
	s_cbranch_execz .LBB123_567
; %bb.566:
	v_div_scale_f64 v[1:2], null, v[195:196], v[195:196], v[193:194]
	v_div_scale_f64 v[199:200], vcc_lo, v[193:194], v[195:196], v[193:194]
	v_rcp_f64_e32 v[3:4], v[1:2]
	v_fma_f64 v[197:198], -v[1:2], v[3:4], 1.0
	v_fma_f64 v[3:4], v[3:4], v[197:198], v[3:4]
	v_fma_f64 v[197:198], -v[1:2], v[3:4], 1.0
	v_fma_f64 v[3:4], v[3:4], v[197:198], v[3:4]
	v_mul_f64 v[197:198], v[199:200], v[3:4]
	v_fma_f64 v[1:2], -v[1:2], v[197:198], v[199:200]
	v_div_fmas_f64 v[1:2], v[1:2], v[3:4], v[197:198]
	v_div_fixup_f64 v[1:2], v[1:2], v[195:196], v[193:194]
	v_fma_f64 v[3:4], v[193:194], v[1:2], v[195:196]
	v_div_scale_f64 v[193:194], null, v[3:4], v[3:4], 1.0
	v_rcp_f64_e32 v[195:196], v[193:194]
	v_fma_f64 v[197:198], -v[193:194], v[195:196], 1.0
	v_fma_f64 v[195:196], v[195:196], v[197:198], v[195:196]
	v_fma_f64 v[197:198], -v[193:194], v[195:196], 1.0
	v_fma_f64 v[195:196], v[195:196], v[197:198], v[195:196]
	v_div_scale_f64 v[197:198], vcc_lo, 1.0, v[3:4], 1.0
	v_mul_f64 v[199:200], v[197:198], v[195:196]
	v_fma_f64 v[193:194], -v[193:194], v[199:200], v[197:198]
	v_div_fmas_f64 v[193:194], v[193:194], v[195:196], v[199:200]
	v_div_fixup_f64 v[3:4], v[193:194], v[3:4], 1.0
                                        ; implicit-def: $vgpr193_vgpr194
	v_mul_f64 v[1:2], v[1:2], v[3:4]
	v_xor_b32_e32 v4, 0x80000000, v4
.LBB123_567:
	s_andn2_saveexec_b32 s5, s5
	s_cbranch_execz .LBB123_569
; %bb.568:
	v_div_scale_f64 v[1:2], null, v[193:194], v[193:194], v[195:196]
	v_div_scale_f64 v[199:200], vcc_lo, v[195:196], v[193:194], v[195:196]
	v_rcp_f64_e32 v[3:4], v[1:2]
	v_fma_f64 v[197:198], -v[1:2], v[3:4], 1.0
	v_fma_f64 v[3:4], v[3:4], v[197:198], v[3:4]
	v_fma_f64 v[197:198], -v[1:2], v[3:4], 1.0
	v_fma_f64 v[3:4], v[3:4], v[197:198], v[3:4]
	v_mul_f64 v[197:198], v[199:200], v[3:4]
	v_fma_f64 v[1:2], -v[1:2], v[197:198], v[199:200]
	v_div_fmas_f64 v[1:2], v[1:2], v[3:4], v[197:198]
	v_div_fixup_f64 v[3:4], v[1:2], v[193:194], v[195:196]
	v_fma_f64 v[1:2], v[195:196], v[3:4], v[193:194]
	v_div_scale_f64 v[193:194], null, v[1:2], v[1:2], 1.0
	v_rcp_f64_e32 v[195:196], v[193:194]
	v_fma_f64 v[197:198], -v[193:194], v[195:196], 1.0
	v_fma_f64 v[195:196], v[195:196], v[197:198], v[195:196]
	v_fma_f64 v[197:198], -v[193:194], v[195:196], 1.0
	v_fma_f64 v[195:196], v[195:196], v[197:198], v[195:196]
	v_div_scale_f64 v[197:198], vcc_lo, 1.0, v[1:2], 1.0
	v_mul_f64 v[199:200], v[197:198], v[195:196]
	v_fma_f64 v[193:194], -v[193:194], v[199:200], v[197:198]
	v_div_fmas_f64 v[193:194], v[193:194], v[195:196], v[199:200]
	v_div_fixup_f64 v[1:2], v[193:194], v[1:2], 1.0
	v_mul_f64 v[3:4], v[3:4], -v[1:2]
.LBB123_569:
	s_or_b32 exec_lo, exec_lo, s5
	ds_write2_b64 v255, v[1:2], v[3:4] offset1:1
.LBB123_570:
	s_or_b32 exec_lo, exec_lo, s6
	s_waitcnt lgkmcnt(0)
	s_barrier
	buffer_gl0_inv
	ds_read2_b64 v[193:196], v255 offset1:1
	s_mov_b32 s5, exec_lo
	v_cmpx_lt_u32_e32 48, v0
	s_cbranch_execz .LBB123_572
; %bb.571:
	s_clause 0xf
	buffer_load_dword v1, off, s[0:3], 0 offset:768
	buffer_load_dword v2, off, s[0:3], 0 offset:772
	;; [unrolled: 1-line block ×16, first 2 shown]
	s_waitcnt vmcnt(12) lgkmcnt(0)
	v_mul_f64 v[209:210], v[195:196], v[3:4]
	v_mul_f64 v[3:4], v[193:194], v[3:4]
	v_fma_f64 v[209:210], v[193:194], v[1:2], -v[209:210]
	v_fma_f64 v[211:212], v[195:196], v[1:2], v[3:4]
	buffer_store_dword v209, off, s[0:3], 0 offset:768
	buffer_store_dword v210, off, s[0:3], 0 offset:772
	buffer_store_dword v211, off, s[0:3], 0 offset:776
	buffer_store_dword v212, off, s[0:3], 0 offset:780
	ds_read2_b64 v[1:4], v245 offset0:98 offset1:99
	s_waitcnt lgkmcnt(0)
	v_mul_f64 v[213:214], v[3:4], v[211:212]
	v_fma_f64 v[213:214], v[1:2], v[209:210], -v[213:214]
	v_mul_f64 v[1:2], v[1:2], v[211:212]
	v_fma_f64 v[1:2], v[3:4], v[209:210], v[1:2]
	s_waitcnt vmcnt(10)
	v_add_f64 v[3:4], v[197:198], -v[213:214]
	s_waitcnt vmcnt(8)
	v_add_f64 v[1:2], v[199:200], -v[1:2]
	buffer_store_dword v3, off, s[0:3], 0 offset:784
	buffer_store_dword v4, off, s[0:3], 0 offset:788
	buffer_store_dword v1, off, s[0:3], 0 offset:792
	buffer_store_dword v2, off, s[0:3], 0 offset:796
	ds_read2_b64 v[1:4], v245 offset0:100 offset1:101
	s_waitcnt lgkmcnt(0)
	v_mul_f64 v[197:198], v[3:4], v[211:212]
	v_fma_f64 v[197:198], v[1:2], v[209:210], -v[197:198]
	v_mul_f64 v[1:2], v[1:2], v[211:212]
	v_fma_f64 v[1:2], v[3:4], v[209:210], v[1:2]
	s_waitcnt vmcnt(6)
	v_add_f64 v[3:4], v[201:202], -v[197:198]
	s_waitcnt vmcnt(4)
	v_add_f64 v[1:2], v[203:204], -v[1:2]
	;; [unrolled: 14-line block ×3, first 2 shown]
	buffer_store_dword v4, off, s[0:3], 0 offset:820
	buffer_store_dword v3, off, s[0:3], 0 offset:816
	buffer_store_dword v1, off, s[0:3], 0 offset:824
	buffer_store_dword v2, off, s[0:3], 0 offset:828
	ds_read2_b64 v[1:4], v245 offset0:104 offset1:105
	s_waitcnt lgkmcnt(0)
	v_mul_f64 v[197:198], v[3:4], v[211:212]
	v_fma_f64 v[197:198], v[1:2], v[209:210], -v[197:198]
	v_mul_f64 v[1:2], v[1:2], v[211:212]
	v_fma_f64 v[1:2], v[3:4], v[209:210], v[1:2]
	s_clause 0x3
	buffer_load_dword v3, off, s[0:3], 0 offset:832
	buffer_load_dword v4, off, s[0:3], 0 offset:836
	buffer_load_dword v199, off, s[0:3], 0 offset:840
	buffer_load_dword v200, off, s[0:3], 0 offset:844
	s_waitcnt vmcnt(2)
	v_add_f64 v[3:4], v[3:4], -v[197:198]
	s_waitcnt vmcnt(0)
	v_add_f64 v[1:2], v[199:200], -v[1:2]
	buffer_store_dword v4, off, s[0:3], 0 offset:836
	buffer_store_dword v3, off, s[0:3], 0 offset:832
	buffer_store_dword v2, off, s[0:3], 0 offset:844
	buffer_store_dword v1, off, s[0:3], 0 offset:840
	ds_read2_b64 v[1:4], v245 offset0:106 offset1:107
	s_waitcnt lgkmcnt(0)
	v_mul_f64 v[197:198], v[3:4], v[211:212]
	v_fma_f64 v[197:198], v[1:2], v[209:210], -v[197:198]
	v_mul_f64 v[1:2], v[1:2], v[211:212]
	v_fma_f64 v[1:2], v[3:4], v[209:210], v[1:2]
	s_clause 0x3
	buffer_load_dword v3, off, s[0:3], 0 offset:848
	buffer_load_dword v4, off, s[0:3], 0 offset:852
	buffer_load_dword v199, off, s[0:3], 0 offset:856
	buffer_load_dword v200, off, s[0:3], 0 offset:860
	s_waitcnt vmcnt(2)
	v_add_f64 v[3:4], v[3:4], -v[197:198]
	s_waitcnt vmcnt(0)
	v_add_f64 v[1:2], v[199:200], -v[1:2]
	;; [unrolled: 19-line block ×3, first 2 shown]
	buffer_store_dword v4, off, s[0:3], 0 offset:868
	buffer_store_dword v3, off, s[0:3], 0 offset:864
	buffer_store_dword v2, off, s[0:3], 0 offset:876
	buffer_store_dword v1, off, s[0:3], 0 offset:872
	ds_read2_b64 v[1:4], v245 offset0:110 offset1:111
	s_clause 0x3
	buffer_load_dword v197, off, s[0:3], 0 offset:768
	buffer_load_dword v198, off, s[0:3], 0 offset:772
	;; [unrolled: 1-line block ×4, first 2 shown]
	s_waitcnt vmcnt(0) lgkmcnt(0)
	v_mul_f64 v[201:202], v[3:4], v[199:200]
	v_fma_f64 v[201:202], v[1:2], v[197:198], -v[201:202]
	v_mul_f64 v[1:2], v[1:2], v[199:200]
	v_fma_f64 v[1:2], v[3:4], v[197:198], v[1:2]
	s_clause 0x1
	buffer_load_dword v4, off, s[0:3], 0 offset:884
	buffer_load_dword v3, off, s[0:3], 0 offset:880
	s_waitcnt vmcnt(0)
	v_add_f64 v[3:4], v[3:4], -v[201:202]
	s_clause 0x1
	buffer_load_dword v202, off, s[0:3], 0 offset:892
	buffer_load_dword v201, off, s[0:3], 0 offset:888
	s_waitcnt vmcnt(0)
	v_add_f64 v[1:2], v[201:202], -v[1:2]
	buffer_store_dword v4, off, s[0:3], 0 offset:884
	buffer_store_dword v3, off, s[0:3], 0 offset:880
	buffer_store_dword v2, off, s[0:3], 0 offset:892
	buffer_store_dword v1, off, s[0:3], 0 offset:888
	ds_read2_b64 v[1:4], v245 offset0:112 offset1:113
	s_waitcnt lgkmcnt(0)
	v_mul_f64 v[201:202], v[3:4], v[199:200]
	v_fma_f64 v[201:202], v[1:2], v[197:198], -v[201:202]
	v_mul_f64 v[1:2], v[1:2], v[199:200]
	v_fma_f64 v[1:2], v[3:4], v[197:198], v[1:2]
	s_clause 0x3
	buffer_load_dword v3, off, s[0:3], 0 offset:896
	buffer_load_dword v4, off, s[0:3], 0 offset:900
	buffer_load_dword v203, off, s[0:3], 0 offset:904
	buffer_load_dword v204, off, s[0:3], 0 offset:908
	s_waitcnt vmcnt(2)
	v_add_f64 v[3:4], v[3:4], -v[201:202]
	s_waitcnt vmcnt(0)
	v_add_f64 v[1:2], v[203:204], -v[1:2]
	buffer_store_dword v4, off, s[0:3], 0 offset:900
	buffer_store_dword v3, off, s[0:3], 0 offset:896
	buffer_store_dword v2, off, s[0:3], 0 offset:908
	buffer_store_dword v1, off, s[0:3], 0 offset:904
	ds_read2_b64 v[1:4], v245 offset0:114 offset1:115
	s_waitcnt lgkmcnt(0)
	v_mul_f64 v[201:202], v[3:4], v[199:200]
	v_fma_f64 v[201:202], v[1:2], v[197:198], -v[201:202]
	v_mul_f64 v[1:2], v[1:2], v[199:200]
	v_fma_f64 v[1:2], v[3:4], v[197:198], v[1:2]
	s_clause 0x3
	buffer_load_dword v3, off, s[0:3], 0 offset:912
	buffer_load_dword v4, off, s[0:3], 0 offset:916
	buffer_load_dword v203, off, s[0:3], 0 offset:920
	buffer_load_dword v204, off, s[0:3], 0 offset:924
	s_waitcnt vmcnt(2)
	v_add_f64 v[3:4], v[3:4], -v[201:202]
	;; [unrolled: 19-line block ×5, first 2 shown]
	s_waitcnt vmcnt(0)
	v_add_f64 v[1:2], v[197:198], -v[1:2]
	buffer_store_dword v4, off, s[0:3], 0 offset:964
	buffer_store_dword v3, off, s[0:3], 0 offset:960
	;; [unrolled: 1-line block ×4, first 2 shown]
	ds_read2_b64 v[1:4], v245 offset0:122 offset1:123
	s_clause 0x3
	buffer_load_dword v197, off, s[0:3], 0 offset:768
	buffer_load_dword v198, off, s[0:3], 0 offset:772
	;; [unrolled: 1-line block ×4, first 2 shown]
	s_waitcnt vmcnt(0) lgkmcnt(0)
	v_mul_f64 v[201:202], v[3:4], v[199:200]
	v_fma_f64 v[201:202], v[1:2], v[197:198], -v[201:202]
	v_mul_f64 v[1:2], v[1:2], v[199:200]
	v_fma_f64 v[1:2], v[3:4], v[197:198], v[1:2]
	s_clause 0x3
	buffer_load_dword v4, off, s[0:3], 0 offset:980
	buffer_load_dword v3, off, s[0:3], 0 offset:976
	;; [unrolled: 1-line block ×4, first 2 shown]
	s_waitcnt vmcnt(2)
	v_add_f64 v[3:4], v[3:4], -v[201:202]
	s_waitcnt vmcnt(0)
	v_add_f64 v[1:2], v[197:198], -v[1:2]
	buffer_store_dword v4, off, s[0:3], 0 offset:980
	buffer_store_dword v3, off, s[0:3], 0 offset:976
	;; [unrolled: 1-line block ×4, first 2 shown]
.LBB123_572:
	s_or_b32 exec_lo, exec_lo, s5
	s_mov_b32 s6, exec_lo
	s_waitcnt lgkmcnt(0)
	s_waitcnt_vscnt null, 0x0
	s_barrier
	buffer_gl0_inv
	v_cmpx_eq_u32_e32 49, v0
	s_cbranch_execz .LBB123_579
; %bb.573:
	v_mov_b32_e32 v4, s25
	s_clause 0x3
	buffer_load_dword v1, v4, s[0:3], 0 offen
	buffer_load_dword v2, v4, s[0:3], 0 offen offset:4
	buffer_load_dword v3, v4, s[0:3], 0 offen offset:8
	;; [unrolled: 1-line block ×3, first 2 shown]
	s_waitcnt vmcnt(0)
	ds_write2_b64 v255, v[1:2], v[3:4] offset1:1
	v_mov_b32_e32 v4, s24
	s_clause 0x3
	buffer_load_dword v1, v4, s[0:3], 0 offen
	buffer_load_dword v2, v4, s[0:3], 0 offen offset:4
	buffer_load_dword v3, v4, s[0:3], 0 offen offset:8
	buffer_load_dword v4, v4, s[0:3], 0 offen offset:12
	s_waitcnt vmcnt(0)
	ds_write2_b64 v245, v[1:2], v[3:4] offset0:100 offset1:101
	v_mov_b32_e32 v4, s23
	s_clause 0x3
	buffer_load_dword v1, v4, s[0:3], 0 offen
	buffer_load_dword v2, v4, s[0:3], 0 offen offset:4
	buffer_load_dword v3, v4, s[0:3], 0 offen offset:8
	buffer_load_dword v4, v4, s[0:3], 0 offen offset:12
	s_waitcnt vmcnt(0)
	ds_write2_b64 v245, v[1:2], v[3:4] offset0:102 offset1:103
	;; [unrolled: 8-line block ×12, first 2 shown]
	ds_read2_b64 v[197:200], v255 offset1:1
	s_waitcnt lgkmcnt(0)
	v_cmp_neq_f64_e32 vcc_lo, 0, v[197:198]
	v_cmp_neq_f64_e64 s5, 0, v[199:200]
	s_or_b32 s5, vcc_lo, s5
	s_and_b32 exec_lo, exec_lo, s5
	s_cbranch_execz .LBB123_579
; %bb.574:
	v_cmp_ngt_f64_e64 s5, |v[197:198]|, |v[199:200]|
                                        ; implicit-def: $vgpr1_vgpr2
	s_and_saveexec_b32 s7, s5
	s_xor_b32 s5, exec_lo, s7
                                        ; implicit-def: $vgpr3_vgpr4
	s_cbranch_execz .LBB123_576
; %bb.575:
	v_div_scale_f64 v[1:2], null, v[199:200], v[199:200], v[197:198]
	v_div_scale_f64 v[203:204], vcc_lo, v[197:198], v[199:200], v[197:198]
	v_rcp_f64_e32 v[3:4], v[1:2]
	v_fma_f64 v[201:202], -v[1:2], v[3:4], 1.0
	v_fma_f64 v[3:4], v[3:4], v[201:202], v[3:4]
	v_fma_f64 v[201:202], -v[1:2], v[3:4], 1.0
	v_fma_f64 v[3:4], v[3:4], v[201:202], v[3:4]
	v_mul_f64 v[201:202], v[203:204], v[3:4]
	v_fma_f64 v[1:2], -v[1:2], v[201:202], v[203:204]
	v_div_fmas_f64 v[1:2], v[1:2], v[3:4], v[201:202]
	v_div_fixup_f64 v[1:2], v[1:2], v[199:200], v[197:198]
	v_fma_f64 v[3:4], v[197:198], v[1:2], v[199:200]
	v_div_scale_f64 v[197:198], null, v[3:4], v[3:4], 1.0
	v_rcp_f64_e32 v[199:200], v[197:198]
	v_fma_f64 v[201:202], -v[197:198], v[199:200], 1.0
	v_fma_f64 v[199:200], v[199:200], v[201:202], v[199:200]
	v_fma_f64 v[201:202], -v[197:198], v[199:200], 1.0
	v_fma_f64 v[199:200], v[199:200], v[201:202], v[199:200]
	v_div_scale_f64 v[201:202], vcc_lo, 1.0, v[3:4], 1.0
	v_mul_f64 v[203:204], v[201:202], v[199:200]
	v_fma_f64 v[197:198], -v[197:198], v[203:204], v[201:202]
	v_div_fmas_f64 v[197:198], v[197:198], v[199:200], v[203:204]
	v_div_fixup_f64 v[3:4], v[197:198], v[3:4], 1.0
                                        ; implicit-def: $vgpr197_vgpr198
	v_mul_f64 v[1:2], v[1:2], v[3:4]
	v_xor_b32_e32 v4, 0x80000000, v4
.LBB123_576:
	s_andn2_saveexec_b32 s5, s5
	s_cbranch_execz .LBB123_578
; %bb.577:
	v_div_scale_f64 v[1:2], null, v[197:198], v[197:198], v[199:200]
	v_div_scale_f64 v[203:204], vcc_lo, v[199:200], v[197:198], v[199:200]
	v_rcp_f64_e32 v[3:4], v[1:2]
	v_fma_f64 v[201:202], -v[1:2], v[3:4], 1.0
	v_fma_f64 v[3:4], v[3:4], v[201:202], v[3:4]
	v_fma_f64 v[201:202], -v[1:2], v[3:4], 1.0
	v_fma_f64 v[3:4], v[3:4], v[201:202], v[3:4]
	v_mul_f64 v[201:202], v[203:204], v[3:4]
	v_fma_f64 v[1:2], -v[1:2], v[201:202], v[203:204]
	v_div_fmas_f64 v[1:2], v[1:2], v[3:4], v[201:202]
	v_div_fixup_f64 v[3:4], v[1:2], v[197:198], v[199:200]
	v_fma_f64 v[1:2], v[199:200], v[3:4], v[197:198]
	v_div_scale_f64 v[197:198], null, v[1:2], v[1:2], 1.0
	v_rcp_f64_e32 v[199:200], v[197:198]
	v_fma_f64 v[201:202], -v[197:198], v[199:200], 1.0
	v_fma_f64 v[199:200], v[199:200], v[201:202], v[199:200]
	v_fma_f64 v[201:202], -v[197:198], v[199:200], 1.0
	v_fma_f64 v[199:200], v[199:200], v[201:202], v[199:200]
	v_div_scale_f64 v[201:202], vcc_lo, 1.0, v[1:2], 1.0
	v_mul_f64 v[203:204], v[201:202], v[199:200]
	v_fma_f64 v[197:198], -v[197:198], v[203:204], v[201:202]
	v_div_fmas_f64 v[197:198], v[197:198], v[199:200], v[203:204]
	v_div_fixup_f64 v[1:2], v[197:198], v[1:2], 1.0
	v_mul_f64 v[3:4], v[3:4], -v[1:2]
.LBB123_578:
	s_or_b32 exec_lo, exec_lo, s5
	ds_write2_b64 v255, v[1:2], v[3:4] offset1:1
.LBB123_579:
	s_or_b32 exec_lo, exec_lo, s6
	s_waitcnt lgkmcnt(0)
	s_barrier
	buffer_gl0_inv
	ds_read2_b64 v[197:200], v255 offset1:1
	s_mov_b32 s5, exec_lo
	v_cmpx_lt_u32_e32 49, v0
	s_cbranch_execz .LBB123_581
; %bb.580:
	s_clause 0xf
	buffer_load_dword v1, off, s[0:3], 0 offset:784
	buffer_load_dword v2, off, s[0:3], 0 offset:788
	;; [unrolled: 1-line block ×16, first 2 shown]
	s_waitcnt vmcnt(12) lgkmcnt(0)
	v_mul_f64 v[213:214], v[199:200], v[3:4]
	v_mul_f64 v[3:4], v[197:198], v[3:4]
	v_fma_f64 v[213:214], v[197:198], v[1:2], -v[213:214]
	v_fma_f64 v[215:216], v[199:200], v[1:2], v[3:4]
	buffer_store_dword v213, off, s[0:3], 0 offset:784
	buffer_store_dword v214, off, s[0:3], 0 offset:788
	buffer_store_dword v215, off, s[0:3], 0 offset:792
	buffer_store_dword v216, off, s[0:3], 0 offset:796
	ds_read2_b64 v[1:4], v245 offset0:100 offset1:101
	s_waitcnt lgkmcnt(0)
	v_mul_f64 v[217:218], v[3:4], v[215:216]
	v_fma_f64 v[217:218], v[1:2], v[213:214], -v[217:218]
	v_mul_f64 v[1:2], v[1:2], v[215:216]
	v_fma_f64 v[1:2], v[3:4], v[213:214], v[1:2]
	s_waitcnt vmcnt(10)
	v_add_f64 v[3:4], v[201:202], -v[217:218]
	s_waitcnt vmcnt(8)
	v_add_f64 v[1:2], v[203:204], -v[1:2]
	buffer_store_dword v3, off, s[0:3], 0 offset:800
	buffer_store_dword v4, off, s[0:3], 0 offset:804
	buffer_store_dword v1, off, s[0:3], 0 offset:808
	buffer_store_dword v2, off, s[0:3], 0 offset:812
	ds_read2_b64 v[1:4], v245 offset0:102 offset1:103
	s_waitcnt lgkmcnt(0)
	v_mul_f64 v[201:202], v[3:4], v[215:216]
	v_fma_f64 v[201:202], v[1:2], v[213:214], -v[201:202]
	v_mul_f64 v[1:2], v[1:2], v[215:216]
	v_fma_f64 v[1:2], v[3:4], v[213:214], v[1:2]
	s_waitcnt vmcnt(6)
	v_add_f64 v[3:4], v[205:206], -v[201:202]
	s_waitcnt vmcnt(4)
	v_add_f64 v[1:2], v[207:208], -v[1:2]
	;; [unrolled: 14-line block ×3, first 2 shown]
	buffer_store_dword v4, off, s[0:3], 0 offset:836
	buffer_store_dword v3, off, s[0:3], 0 offset:832
	buffer_store_dword v1, off, s[0:3], 0 offset:840
	buffer_store_dword v2, off, s[0:3], 0 offset:844
	ds_read2_b64 v[1:4], v245 offset0:106 offset1:107
	s_waitcnt lgkmcnt(0)
	v_mul_f64 v[201:202], v[3:4], v[215:216]
	v_fma_f64 v[201:202], v[1:2], v[213:214], -v[201:202]
	v_mul_f64 v[1:2], v[1:2], v[215:216]
	v_fma_f64 v[1:2], v[3:4], v[213:214], v[1:2]
	s_clause 0x3
	buffer_load_dword v3, off, s[0:3], 0 offset:848
	buffer_load_dword v4, off, s[0:3], 0 offset:852
	buffer_load_dword v203, off, s[0:3], 0 offset:856
	buffer_load_dword v204, off, s[0:3], 0 offset:860
	s_waitcnt vmcnt(2)
	v_add_f64 v[3:4], v[3:4], -v[201:202]
	s_waitcnt vmcnt(0)
	v_add_f64 v[1:2], v[203:204], -v[1:2]
	buffer_store_dword v4, off, s[0:3], 0 offset:852
	buffer_store_dword v3, off, s[0:3], 0 offset:848
	buffer_store_dword v2, off, s[0:3], 0 offset:860
	buffer_store_dword v1, off, s[0:3], 0 offset:856
	ds_read2_b64 v[1:4], v245 offset0:108 offset1:109
	s_waitcnt lgkmcnt(0)
	v_mul_f64 v[201:202], v[3:4], v[215:216]
	v_fma_f64 v[201:202], v[1:2], v[213:214], -v[201:202]
	v_mul_f64 v[1:2], v[1:2], v[215:216]
	v_fma_f64 v[1:2], v[3:4], v[213:214], v[1:2]
	s_clause 0x3
	buffer_load_dword v3, off, s[0:3], 0 offset:864
	buffer_load_dword v4, off, s[0:3], 0 offset:868
	buffer_load_dword v203, off, s[0:3], 0 offset:872
	buffer_load_dword v204, off, s[0:3], 0 offset:876
	s_waitcnt vmcnt(2)
	v_add_f64 v[3:4], v[3:4], -v[201:202]
	s_waitcnt vmcnt(0)
	v_add_f64 v[1:2], v[203:204], -v[1:2]
	;; [unrolled: 19-line block ×3, first 2 shown]
	buffer_store_dword v4, off, s[0:3], 0 offset:884
	buffer_store_dword v3, off, s[0:3], 0 offset:880
	;; [unrolled: 1-line block ×4, first 2 shown]
	ds_read2_b64 v[1:4], v245 offset0:112 offset1:113
	s_clause 0x3
	buffer_load_dword v201, off, s[0:3], 0 offset:784
	buffer_load_dword v202, off, s[0:3], 0 offset:788
	buffer_load_dword v203, off, s[0:3], 0 offset:792
	buffer_load_dword v204, off, s[0:3], 0 offset:796
	s_waitcnt vmcnt(0) lgkmcnt(0)
	v_mul_f64 v[205:206], v[3:4], v[203:204]
	v_fma_f64 v[205:206], v[1:2], v[201:202], -v[205:206]
	v_mul_f64 v[1:2], v[1:2], v[203:204]
	v_fma_f64 v[1:2], v[3:4], v[201:202], v[1:2]
	s_clause 0x1
	buffer_load_dword v4, off, s[0:3], 0 offset:900
	buffer_load_dword v3, off, s[0:3], 0 offset:896
	s_waitcnt vmcnt(0)
	v_add_f64 v[3:4], v[3:4], -v[205:206]
	s_clause 0x1
	buffer_load_dword v206, off, s[0:3], 0 offset:908
	buffer_load_dword v205, off, s[0:3], 0 offset:904
	s_waitcnt vmcnt(0)
	v_add_f64 v[1:2], v[205:206], -v[1:2]
	buffer_store_dword v4, off, s[0:3], 0 offset:900
	buffer_store_dword v3, off, s[0:3], 0 offset:896
	buffer_store_dword v2, off, s[0:3], 0 offset:908
	buffer_store_dword v1, off, s[0:3], 0 offset:904
	ds_read2_b64 v[1:4], v245 offset0:114 offset1:115
	s_waitcnt lgkmcnt(0)
	v_mul_f64 v[205:206], v[3:4], v[203:204]
	v_fma_f64 v[205:206], v[1:2], v[201:202], -v[205:206]
	v_mul_f64 v[1:2], v[1:2], v[203:204]
	v_fma_f64 v[1:2], v[3:4], v[201:202], v[1:2]
	s_clause 0x3
	buffer_load_dword v3, off, s[0:3], 0 offset:912
	buffer_load_dword v4, off, s[0:3], 0 offset:916
	buffer_load_dword v207, off, s[0:3], 0 offset:920
	buffer_load_dword v208, off, s[0:3], 0 offset:924
	s_waitcnt vmcnt(2)
	v_add_f64 v[3:4], v[3:4], -v[205:206]
	s_waitcnt vmcnt(0)
	v_add_f64 v[1:2], v[207:208], -v[1:2]
	buffer_store_dword v4, off, s[0:3], 0 offset:916
	buffer_store_dword v3, off, s[0:3], 0 offset:912
	buffer_store_dword v2, off, s[0:3], 0 offset:924
	buffer_store_dword v1, off, s[0:3], 0 offset:920
	ds_read2_b64 v[1:4], v245 offset0:116 offset1:117
	s_waitcnt lgkmcnt(0)
	v_mul_f64 v[205:206], v[3:4], v[203:204]
	v_fma_f64 v[205:206], v[1:2], v[201:202], -v[205:206]
	v_mul_f64 v[1:2], v[1:2], v[203:204]
	v_fma_f64 v[1:2], v[3:4], v[201:202], v[1:2]
	s_clause 0x3
	buffer_load_dword v3, off, s[0:3], 0 offset:928
	buffer_load_dword v4, off, s[0:3], 0 offset:932
	buffer_load_dword v207, off, s[0:3], 0 offset:936
	buffer_load_dword v208, off, s[0:3], 0 offset:940
	s_waitcnt vmcnt(2)
	v_add_f64 v[3:4], v[3:4], -v[205:206]
	;; [unrolled: 19-line block ×5, first 2 shown]
	s_waitcnt vmcnt(0)
	v_add_f64 v[1:2], v[201:202], -v[1:2]
	buffer_store_dword v4, off, s[0:3], 0 offset:980
	buffer_store_dword v3, off, s[0:3], 0 offset:976
	;; [unrolled: 1-line block ×4, first 2 shown]
.LBB123_581:
	s_or_b32 exec_lo, exec_lo, s5
	s_mov_b32 s6, exec_lo
	s_waitcnt lgkmcnt(0)
	s_waitcnt_vscnt null, 0x0
	s_barrier
	buffer_gl0_inv
	v_cmpx_eq_u32_e32 50, v0
	s_cbranch_execz .LBB123_588
; %bb.582:
	v_mov_b32_e32 v4, s24
	s_clause 0x3
	buffer_load_dword v1, v4, s[0:3], 0 offen
	buffer_load_dword v2, v4, s[0:3], 0 offen offset:4
	buffer_load_dword v3, v4, s[0:3], 0 offen offset:8
	;; [unrolled: 1-line block ×3, first 2 shown]
	s_waitcnt vmcnt(0)
	ds_write2_b64 v255, v[1:2], v[3:4] offset1:1
	v_mov_b32_e32 v4, s23
	s_clause 0x3
	buffer_load_dword v1, v4, s[0:3], 0 offen
	buffer_load_dword v2, v4, s[0:3], 0 offen offset:4
	buffer_load_dword v3, v4, s[0:3], 0 offen offset:8
	buffer_load_dword v4, v4, s[0:3], 0 offen offset:12
	s_waitcnt vmcnt(0)
	ds_write2_b64 v245, v[1:2], v[3:4] offset0:102 offset1:103
	v_mov_b32_e32 v4, s22
	s_clause 0x3
	buffer_load_dword v1, v4, s[0:3], 0 offen
	buffer_load_dword v2, v4, s[0:3], 0 offen offset:4
	buffer_load_dword v3, v4, s[0:3], 0 offen offset:8
	buffer_load_dword v4, v4, s[0:3], 0 offen offset:12
	s_waitcnt vmcnt(0)
	ds_write2_b64 v245, v[1:2], v[3:4] offset0:104 offset1:105
	;; [unrolled: 8-line block ×11, first 2 shown]
	ds_read2_b64 v[201:204], v255 offset1:1
	s_waitcnt lgkmcnt(0)
	v_cmp_neq_f64_e32 vcc_lo, 0, v[201:202]
	v_cmp_neq_f64_e64 s5, 0, v[203:204]
	s_or_b32 s5, vcc_lo, s5
	s_and_b32 exec_lo, exec_lo, s5
	s_cbranch_execz .LBB123_588
; %bb.583:
	v_cmp_ngt_f64_e64 s5, |v[201:202]|, |v[203:204]|
                                        ; implicit-def: $vgpr1_vgpr2
	s_and_saveexec_b32 s7, s5
	s_xor_b32 s5, exec_lo, s7
                                        ; implicit-def: $vgpr3_vgpr4
	s_cbranch_execz .LBB123_585
; %bb.584:
	v_div_scale_f64 v[1:2], null, v[203:204], v[203:204], v[201:202]
	v_div_scale_f64 v[207:208], vcc_lo, v[201:202], v[203:204], v[201:202]
	v_rcp_f64_e32 v[3:4], v[1:2]
	v_fma_f64 v[205:206], -v[1:2], v[3:4], 1.0
	v_fma_f64 v[3:4], v[3:4], v[205:206], v[3:4]
	v_fma_f64 v[205:206], -v[1:2], v[3:4], 1.0
	v_fma_f64 v[3:4], v[3:4], v[205:206], v[3:4]
	v_mul_f64 v[205:206], v[207:208], v[3:4]
	v_fma_f64 v[1:2], -v[1:2], v[205:206], v[207:208]
	v_div_fmas_f64 v[1:2], v[1:2], v[3:4], v[205:206]
	v_div_fixup_f64 v[1:2], v[1:2], v[203:204], v[201:202]
	v_fma_f64 v[3:4], v[201:202], v[1:2], v[203:204]
	v_div_scale_f64 v[201:202], null, v[3:4], v[3:4], 1.0
	v_rcp_f64_e32 v[203:204], v[201:202]
	v_fma_f64 v[205:206], -v[201:202], v[203:204], 1.0
	v_fma_f64 v[203:204], v[203:204], v[205:206], v[203:204]
	v_fma_f64 v[205:206], -v[201:202], v[203:204], 1.0
	v_fma_f64 v[203:204], v[203:204], v[205:206], v[203:204]
	v_div_scale_f64 v[205:206], vcc_lo, 1.0, v[3:4], 1.0
	v_mul_f64 v[207:208], v[205:206], v[203:204]
	v_fma_f64 v[201:202], -v[201:202], v[207:208], v[205:206]
	v_div_fmas_f64 v[201:202], v[201:202], v[203:204], v[207:208]
	v_div_fixup_f64 v[3:4], v[201:202], v[3:4], 1.0
                                        ; implicit-def: $vgpr201_vgpr202
	v_mul_f64 v[1:2], v[1:2], v[3:4]
	v_xor_b32_e32 v4, 0x80000000, v4
.LBB123_585:
	s_andn2_saveexec_b32 s5, s5
	s_cbranch_execz .LBB123_587
; %bb.586:
	v_div_scale_f64 v[1:2], null, v[201:202], v[201:202], v[203:204]
	v_div_scale_f64 v[207:208], vcc_lo, v[203:204], v[201:202], v[203:204]
	v_rcp_f64_e32 v[3:4], v[1:2]
	v_fma_f64 v[205:206], -v[1:2], v[3:4], 1.0
	v_fma_f64 v[3:4], v[3:4], v[205:206], v[3:4]
	v_fma_f64 v[205:206], -v[1:2], v[3:4], 1.0
	v_fma_f64 v[3:4], v[3:4], v[205:206], v[3:4]
	v_mul_f64 v[205:206], v[207:208], v[3:4]
	v_fma_f64 v[1:2], -v[1:2], v[205:206], v[207:208]
	v_div_fmas_f64 v[1:2], v[1:2], v[3:4], v[205:206]
	v_div_fixup_f64 v[3:4], v[1:2], v[201:202], v[203:204]
	v_fma_f64 v[1:2], v[203:204], v[3:4], v[201:202]
	v_div_scale_f64 v[201:202], null, v[1:2], v[1:2], 1.0
	v_rcp_f64_e32 v[203:204], v[201:202]
	v_fma_f64 v[205:206], -v[201:202], v[203:204], 1.0
	v_fma_f64 v[203:204], v[203:204], v[205:206], v[203:204]
	v_fma_f64 v[205:206], -v[201:202], v[203:204], 1.0
	v_fma_f64 v[203:204], v[203:204], v[205:206], v[203:204]
	v_div_scale_f64 v[205:206], vcc_lo, 1.0, v[1:2], 1.0
	v_mul_f64 v[207:208], v[205:206], v[203:204]
	v_fma_f64 v[201:202], -v[201:202], v[207:208], v[205:206]
	v_div_fmas_f64 v[201:202], v[201:202], v[203:204], v[207:208]
	v_div_fixup_f64 v[1:2], v[201:202], v[1:2], 1.0
	v_mul_f64 v[3:4], v[3:4], -v[1:2]
.LBB123_587:
	s_or_b32 exec_lo, exec_lo, s5
	ds_write2_b64 v255, v[1:2], v[3:4] offset1:1
.LBB123_588:
	s_or_b32 exec_lo, exec_lo, s6
	s_waitcnt lgkmcnt(0)
	s_barrier
	buffer_gl0_inv
	ds_read2_b64 v[201:204], v255 offset1:1
	s_mov_b32 s5, exec_lo
	v_cmpx_lt_u32_e32 50, v0
	s_cbranch_execz .LBB123_590
; %bb.589:
	s_clause 0xf
	buffer_load_dword v1, off, s[0:3], 0 offset:800
	buffer_load_dword v2, off, s[0:3], 0 offset:804
	;; [unrolled: 1-line block ×16, first 2 shown]
	s_waitcnt vmcnt(12) lgkmcnt(0)
	v_mul_f64 v[217:218], v[203:204], v[3:4]
	v_mul_f64 v[3:4], v[201:202], v[3:4]
	v_fma_f64 v[217:218], v[201:202], v[1:2], -v[217:218]
	v_fma_f64 v[219:220], v[203:204], v[1:2], v[3:4]
	buffer_store_dword v217, off, s[0:3], 0 offset:800
	buffer_store_dword v218, off, s[0:3], 0 offset:804
	buffer_store_dword v219, off, s[0:3], 0 offset:808
	buffer_store_dword v220, off, s[0:3], 0 offset:812
	ds_read2_b64 v[1:4], v245 offset0:102 offset1:103
	s_waitcnt lgkmcnt(0)
	v_mul_f64 v[221:222], v[3:4], v[219:220]
	v_fma_f64 v[221:222], v[1:2], v[217:218], -v[221:222]
	v_mul_f64 v[1:2], v[1:2], v[219:220]
	v_fma_f64 v[1:2], v[3:4], v[217:218], v[1:2]
	s_waitcnt vmcnt(10)
	v_add_f64 v[3:4], v[205:206], -v[221:222]
	s_waitcnt vmcnt(8)
	v_add_f64 v[1:2], v[207:208], -v[1:2]
	buffer_store_dword v3, off, s[0:3], 0 offset:816
	buffer_store_dword v4, off, s[0:3], 0 offset:820
	buffer_store_dword v1, off, s[0:3], 0 offset:824
	buffer_store_dword v2, off, s[0:3], 0 offset:828
	ds_read2_b64 v[1:4], v245 offset0:104 offset1:105
	s_waitcnt lgkmcnt(0)
	v_mul_f64 v[205:206], v[3:4], v[219:220]
	v_fma_f64 v[205:206], v[1:2], v[217:218], -v[205:206]
	v_mul_f64 v[1:2], v[1:2], v[219:220]
	v_fma_f64 v[1:2], v[3:4], v[217:218], v[1:2]
	s_waitcnt vmcnt(6)
	v_add_f64 v[3:4], v[209:210], -v[205:206]
	s_waitcnt vmcnt(4)
	v_add_f64 v[1:2], v[211:212], -v[1:2]
	;; [unrolled: 14-line block ×3, first 2 shown]
	buffer_store_dword v4, off, s[0:3], 0 offset:852
	buffer_store_dword v3, off, s[0:3], 0 offset:848
	buffer_store_dword v1, off, s[0:3], 0 offset:856
	buffer_store_dword v2, off, s[0:3], 0 offset:860
	ds_read2_b64 v[1:4], v245 offset0:108 offset1:109
	s_waitcnt lgkmcnt(0)
	v_mul_f64 v[205:206], v[3:4], v[219:220]
	v_fma_f64 v[205:206], v[1:2], v[217:218], -v[205:206]
	v_mul_f64 v[1:2], v[1:2], v[219:220]
	v_fma_f64 v[1:2], v[3:4], v[217:218], v[1:2]
	s_clause 0x3
	buffer_load_dword v3, off, s[0:3], 0 offset:864
	buffer_load_dword v4, off, s[0:3], 0 offset:868
	buffer_load_dword v207, off, s[0:3], 0 offset:872
	buffer_load_dword v208, off, s[0:3], 0 offset:876
	s_waitcnt vmcnt(2)
	v_add_f64 v[3:4], v[3:4], -v[205:206]
	s_waitcnt vmcnt(0)
	v_add_f64 v[1:2], v[207:208], -v[1:2]
	buffer_store_dword v4, off, s[0:3], 0 offset:868
	buffer_store_dword v3, off, s[0:3], 0 offset:864
	buffer_store_dword v2, off, s[0:3], 0 offset:876
	buffer_store_dword v1, off, s[0:3], 0 offset:872
	ds_read2_b64 v[1:4], v245 offset0:110 offset1:111
	s_waitcnt lgkmcnt(0)
	v_mul_f64 v[205:206], v[3:4], v[219:220]
	v_fma_f64 v[205:206], v[1:2], v[217:218], -v[205:206]
	v_mul_f64 v[1:2], v[1:2], v[219:220]
	v_fma_f64 v[1:2], v[3:4], v[217:218], v[1:2]
	s_clause 0x3
	buffer_load_dword v3, off, s[0:3], 0 offset:880
	buffer_load_dword v4, off, s[0:3], 0 offset:884
	buffer_load_dword v207, off, s[0:3], 0 offset:888
	buffer_load_dword v208, off, s[0:3], 0 offset:892
	s_waitcnt vmcnt(2)
	v_add_f64 v[3:4], v[3:4], -v[205:206]
	s_waitcnt vmcnt(0)
	v_add_f64 v[1:2], v[207:208], -v[1:2]
	;; [unrolled: 19-line block ×3, first 2 shown]
	buffer_store_dword v4, off, s[0:3], 0 offset:900
	buffer_store_dword v3, off, s[0:3], 0 offset:896
	;; [unrolled: 1-line block ×4, first 2 shown]
	ds_read2_b64 v[1:4], v245 offset0:114 offset1:115
	s_clause 0x3
	buffer_load_dword v205, off, s[0:3], 0 offset:800
	buffer_load_dword v206, off, s[0:3], 0 offset:804
	;; [unrolled: 1-line block ×4, first 2 shown]
	s_waitcnt vmcnt(0) lgkmcnt(0)
	v_mul_f64 v[209:210], v[3:4], v[207:208]
	v_fma_f64 v[209:210], v[1:2], v[205:206], -v[209:210]
	v_mul_f64 v[1:2], v[1:2], v[207:208]
	v_fma_f64 v[1:2], v[3:4], v[205:206], v[1:2]
	s_clause 0x1
	buffer_load_dword v4, off, s[0:3], 0 offset:916
	buffer_load_dword v3, off, s[0:3], 0 offset:912
	s_waitcnt vmcnt(0)
	v_add_f64 v[3:4], v[3:4], -v[209:210]
	s_clause 0x1
	buffer_load_dword v210, off, s[0:3], 0 offset:924
	buffer_load_dword v209, off, s[0:3], 0 offset:920
	s_waitcnt vmcnt(0)
	v_add_f64 v[1:2], v[209:210], -v[1:2]
	buffer_store_dword v4, off, s[0:3], 0 offset:916
	buffer_store_dword v3, off, s[0:3], 0 offset:912
	buffer_store_dword v2, off, s[0:3], 0 offset:924
	buffer_store_dword v1, off, s[0:3], 0 offset:920
	ds_read2_b64 v[1:4], v245 offset0:116 offset1:117
	s_waitcnt lgkmcnt(0)
	v_mul_f64 v[209:210], v[3:4], v[207:208]
	v_fma_f64 v[209:210], v[1:2], v[205:206], -v[209:210]
	v_mul_f64 v[1:2], v[1:2], v[207:208]
	v_fma_f64 v[1:2], v[3:4], v[205:206], v[1:2]
	s_clause 0x3
	buffer_load_dword v3, off, s[0:3], 0 offset:928
	buffer_load_dword v4, off, s[0:3], 0 offset:932
	buffer_load_dword v211, off, s[0:3], 0 offset:936
	buffer_load_dword v212, off, s[0:3], 0 offset:940
	s_waitcnt vmcnt(2)
	v_add_f64 v[3:4], v[3:4], -v[209:210]
	s_waitcnt vmcnt(0)
	v_add_f64 v[1:2], v[211:212], -v[1:2]
	buffer_store_dword v4, off, s[0:3], 0 offset:932
	buffer_store_dword v3, off, s[0:3], 0 offset:928
	buffer_store_dword v2, off, s[0:3], 0 offset:940
	buffer_store_dword v1, off, s[0:3], 0 offset:936
	ds_read2_b64 v[1:4], v245 offset0:118 offset1:119
	s_waitcnt lgkmcnt(0)
	v_mul_f64 v[209:210], v[3:4], v[207:208]
	v_fma_f64 v[209:210], v[1:2], v[205:206], -v[209:210]
	v_mul_f64 v[1:2], v[1:2], v[207:208]
	v_fma_f64 v[1:2], v[3:4], v[205:206], v[1:2]
	s_clause 0x3
	buffer_load_dword v3, off, s[0:3], 0 offset:944
	buffer_load_dword v4, off, s[0:3], 0 offset:948
	buffer_load_dword v211, off, s[0:3], 0 offset:952
	buffer_load_dword v212, off, s[0:3], 0 offset:956
	s_waitcnt vmcnt(2)
	v_add_f64 v[3:4], v[3:4], -v[209:210]
	;; [unrolled: 19-line block ×4, first 2 shown]
	s_waitcnt vmcnt(0)
	v_add_f64 v[1:2], v[205:206], -v[1:2]
	buffer_store_dword v4, off, s[0:3], 0 offset:980
	buffer_store_dword v3, off, s[0:3], 0 offset:976
	;; [unrolled: 1-line block ×4, first 2 shown]
.LBB123_590:
	s_or_b32 exec_lo, exec_lo, s5
	s_mov_b32 s6, exec_lo
	s_waitcnt lgkmcnt(0)
	s_waitcnt_vscnt null, 0x0
	s_barrier
	buffer_gl0_inv
	v_cmpx_eq_u32_e32 51, v0
	s_cbranch_execz .LBB123_597
; %bb.591:
	v_mov_b32_e32 v4, s23
	s_clause 0x3
	buffer_load_dword v1, v4, s[0:3], 0 offen
	buffer_load_dword v2, v4, s[0:3], 0 offen offset:4
	buffer_load_dword v3, v4, s[0:3], 0 offen offset:8
	;; [unrolled: 1-line block ×3, first 2 shown]
	s_waitcnt vmcnt(0)
	ds_write2_b64 v255, v[1:2], v[3:4] offset1:1
	v_mov_b32_e32 v4, s22
	s_clause 0x3
	buffer_load_dword v1, v4, s[0:3], 0 offen
	buffer_load_dword v2, v4, s[0:3], 0 offen offset:4
	buffer_load_dword v3, v4, s[0:3], 0 offen offset:8
	buffer_load_dword v4, v4, s[0:3], 0 offen offset:12
	s_waitcnt vmcnt(0)
	ds_write2_b64 v245, v[1:2], v[3:4] offset0:104 offset1:105
	v_mov_b32_e32 v4, s21
	s_clause 0x3
	buffer_load_dword v1, v4, s[0:3], 0 offen
	buffer_load_dword v2, v4, s[0:3], 0 offen offset:4
	buffer_load_dword v3, v4, s[0:3], 0 offen offset:8
	buffer_load_dword v4, v4, s[0:3], 0 offen offset:12
	s_waitcnt vmcnt(0)
	ds_write2_b64 v245, v[1:2], v[3:4] offset0:106 offset1:107
	;; [unrolled: 8-line block ×10, first 2 shown]
	ds_read2_b64 v[205:208], v255 offset1:1
	s_waitcnt lgkmcnt(0)
	v_cmp_neq_f64_e32 vcc_lo, 0, v[205:206]
	v_cmp_neq_f64_e64 s5, 0, v[207:208]
	s_or_b32 s5, vcc_lo, s5
	s_and_b32 exec_lo, exec_lo, s5
	s_cbranch_execz .LBB123_597
; %bb.592:
	v_cmp_ngt_f64_e64 s5, |v[205:206]|, |v[207:208]|
                                        ; implicit-def: $vgpr1_vgpr2
	s_and_saveexec_b32 s7, s5
	s_xor_b32 s5, exec_lo, s7
                                        ; implicit-def: $vgpr3_vgpr4
	s_cbranch_execz .LBB123_594
; %bb.593:
	v_div_scale_f64 v[1:2], null, v[207:208], v[207:208], v[205:206]
	v_div_scale_f64 v[211:212], vcc_lo, v[205:206], v[207:208], v[205:206]
	v_rcp_f64_e32 v[3:4], v[1:2]
	v_fma_f64 v[209:210], -v[1:2], v[3:4], 1.0
	v_fma_f64 v[3:4], v[3:4], v[209:210], v[3:4]
	v_fma_f64 v[209:210], -v[1:2], v[3:4], 1.0
	v_fma_f64 v[3:4], v[3:4], v[209:210], v[3:4]
	v_mul_f64 v[209:210], v[211:212], v[3:4]
	v_fma_f64 v[1:2], -v[1:2], v[209:210], v[211:212]
	v_div_fmas_f64 v[1:2], v[1:2], v[3:4], v[209:210]
	v_div_fixup_f64 v[1:2], v[1:2], v[207:208], v[205:206]
	v_fma_f64 v[3:4], v[205:206], v[1:2], v[207:208]
	v_div_scale_f64 v[205:206], null, v[3:4], v[3:4], 1.0
	v_rcp_f64_e32 v[207:208], v[205:206]
	v_fma_f64 v[209:210], -v[205:206], v[207:208], 1.0
	v_fma_f64 v[207:208], v[207:208], v[209:210], v[207:208]
	v_fma_f64 v[209:210], -v[205:206], v[207:208], 1.0
	v_fma_f64 v[207:208], v[207:208], v[209:210], v[207:208]
	v_div_scale_f64 v[209:210], vcc_lo, 1.0, v[3:4], 1.0
	v_mul_f64 v[211:212], v[209:210], v[207:208]
	v_fma_f64 v[205:206], -v[205:206], v[211:212], v[209:210]
	v_div_fmas_f64 v[205:206], v[205:206], v[207:208], v[211:212]
	v_div_fixup_f64 v[3:4], v[205:206], v[3:4], 1.0
                                        ; implicit-def: $vgpr205_vgpr206
	v_mul_f64 v[1:2], v[1:2], v[3:4]
	v_xor_b32_e32 v4, 0x80000000, v4
.LBB123_594:
	s_andn2_saveexec_b32 s5, s5
	s_cbranch_execz .LBB123_596
; %bb.595:
	v_div_scale_f64 v[1:2], null, v[205:206], v[205:206], v[207:208]
	v_div_scale_f64 v[211:212], vcc_lo, v[207:208], v[205:206], v[207:208]
	v_rcp_f64_e32 v[3:4], v[1:2]
	v_fma_f64 v[209:210], -v[1:2], v[3:4], 1.0
	v_fma_f64 v[3:4], v[3:4], v[209:210], v[3:4]
	v_fma_f64 v[209:210], -v[1:2], v[3:4], 1.0
	v_fma_f64 v[3:4], v[3:4], v[209:210], v[3:4]
	v_mul_f64 v[209:210], v[211:212], v[3:4]
	v_fma_f64 v[1:2], -v[1:2], v[209:210], v[211:212]
	v_div_fmas_f64 v[1:2], v[1:2], v[3:4], v[209:210]
	v_div_fixup_f64 v[3:4], v[1:2], v[205:206], v[207:208]
	v_fma_f64 v[1:2], v[207:208], v[3:4], v[205:206]
	v_div_scale_f64 v[205:206], null, v[1:2], v[1:2], 1.0
	v_rcp_f64_e32 v[207:208], v[205:206]
	v_fma_f64 v[209:210], -v[205:206], v[207:208], 1.0
	v_fma_f64 v[207:208], v[207:208], v[209:210], v[207:208]
	v_fma_f64 v[209:210], -v[205:206], v[207:208], 1.0
	v_fma_f64 v[207:208], v[207:208], v[209:210], v[207:208]
	v_div_scale_f64 v[209:210], vcc_lo, 1.0, v[1:2], 1.0
	v_mul_f64 v[211:212], v[209:210], v[207:208]
	v_fma_f64 v[205:206], -v[205:206], v[211:212], v[209:210]
	v_div_fmas_f64 v[205:206], v[205:206], v[207:208], v[211:212]
	v_div_fixup_f64 v[1:2], v[205:206], v[1:2], 1.0
	v_mul_f64 v[3:4], v[3:4], -v[1:2]
.LBB123_596:
	s_or_b32 exec_lo, exec_lo, s5
	ds_write2_b64 v255, v[1:2], v[3:4] offset1:1
.LBB123_597:
	s_or_b32 exec_lo, exec_lo, s6
	s_waitcnt lgkmcnt(0)
	s_barrier
	buffer_gl0_inv
	ds_read2_b64 v[205:208], v255 offset1:1
	s_mov_b32 s5, exec_lo
	v_cmpx_lt_u32_e32 51, v0
	s_cbranch_execz .LBB123_599
; %bb.598:
	s_clause 0xf
	buffer_load_dword v1, off, s[0:3], 0 offset:816
	buffer_load_dword v2, off, s[0:3], 0 offset:820
	;; [unrolled: 1-line block ×16, first 2 shown]
	s_waitcnt vmcnt(12) lgkmcnt(0)
	v_mul_f64 v[221:222], v[207:208], v[3:4]
	v_mul_f64 v[3:4], v[205:206], v[3:4]
	v_fma_f64 v[221:222], v[205:206], v[1:2], -v[221:222]
	v_fma_f64 v[223:224], v[207:208], v[1:2], v[3:4]
	buffer_store_dword v221, off, s[0:3], 0 offset:816
	buffer_store_dword v222, off, s[0:3], 0 offset:820
	buffer_store_dword v223, off, s[0:3], 0 offset:824
	buffer_store_dword v224, off, s[0:3], 0 offset:828
	ds_read2_b64 v[1:4], v245 offset0:104 offset1:105
	s_waitcnt lgkmcnt(0)
	v_mul_f64 v[225:226], v[3:4], v[223:224]
	v_fma_f64 v[225:226], v[1:2], v[221:222], -v[225:226]
	v_mul_f64 v[1:2], v[1:2], v[223:224]
	v_fma_f64 v[1:2], v[3:4], v[221:222], v[1:2]
	s_waitcnt vmcnt(10)
	v_add_f64 v[3:4], v[209:210], -v[225:226]
	s_waitcnt vmcnt(8)
	v_add_f64 v[1:2], v[211:212], -v[1:2]
	buffer_store_dword v3, off, s[0:3], 0 offset:832
	buffer_store_dword v4, off, s[0:3], 0 offset:836
	buffer_store_dword v1, off, s[0:3], 0 offset:840
	buffer_store_dword v2, off, s[0:3], 0 offset:844
	ds_read2_b64 v[1:4], v245 offset0:106 offset1:107
	s_waitcnt lgkmcnt(0)
	v_mul_f64 v[209:210], v[3:4], v[223:224]
	v_fma_f64 v[209:210], v[1:2], v[221:222], -v[209:210]
	v_mul_f64 v[1:2], v[1:2], v[223:224]
	v_fma_f64 v[1:2], v[3:4], v[221:222], v[1:2]
	s_waitcnt vmcnt(6)
	v_add_f64 v[3:4], v[213:214], -v[209:210]
	s_waitcnt vmcnt(4)
	v_add_f64 v[1:2], v[215:216], -v[1:2]
	;; [unrolled: 14-line block ×3, first 2 shown]
	buffer_store_dword v4, off, s[0:3], 0 offset:868
	buffer_store_dword v3, off, s[0:3], 0 offset:864
	buffer_store_dword v1, off, s[0:3], 0 offset:872
	buffer_store_dword v2, off, s[0:3], 0 offset:876
	ds_read2_b64 v[1:4], v245 offset0:110 offset1:111
	s_waitcnt lgkmcnt(0)
	v_mul_f64 v[209:210], v[3:4], v[223:224]
	v_fma_f64 v[209:210], v[1:2], v[221:222], -v[209:210]
	v_mul_f64 v[1:2], v[1:2], v[223:224]
	v_fma_f64 v[1:2], v[3:4], v[221:222], v[1:2]
	s_clause 0x3
	buffer_load_dword v3, off, s[0:3], 0 offset:880
	buffer_load_dword v4, off, s[0:3], 0 offset:884
	buffer_load_dword v211, off, s[0:3], 0 offset:888
	buffer_load_dword v212, off, s[0:3], 0 offset:892
	s_waitcnt vmcnt(2)
	v_add_f64 v[3:4], v[3:4], -v[209:210]
	s_waitcnt vmcnt(0)
	v_add_f64 v[1:2], v[211:212], -v[1:2]
	buffer_store_dword v4, off, s[0:3], 0 offset:884
	buffer_store_dword v3, off, s[0:3], 0 offset:880
	buffer_store_dword v2, off, s[0:3], 0 offset:892
	buffer_store_dword v1, off, s[0:3], 0 offset:888
	ds_read2_b64 v[1:4], v245 offset0:112 offset1:113
	s_waitcnt lgkmcnt(0)
	v_mul_f64 v[209:210], v[3:4], v[223:224]
	v_fma_f64 v[209:210], v[1:2], v[221:222], -v[209:210]
	v_mul_f64 v[1:2], v[1:2], v[223:224]
	v_fma_f64 v[1:2], v[3:4], v[221:222], v[1:2]
	s_clause 0x3
	buffer_load_dword v3, off, s[0:3], 0 offset:896
	buffer_load_dword v4, off, s[0:3], 0 offset:900
	buffer_load_dword v211, off, s[0:3], 0 offset:904
	buffer_load_dword v212, off, s[0:3], 0 offset:908
	s_waitcnt vmcnt(2)
	v_add_f64 v[3:4], v[3:4], -v[209:210]
	s_waitcnt vmcnt(0)
	v_add_f64 v[1:2], v[211:212], -v[1:2]
	;; [unrolled: 19-line block ×3, first 2 shown]
	buffer_store_dword v4, off, s[0:3], 0 offset:916
	buffer_store_dword v3, off, s[0:3], 0 offset:912
	;; [unrolled: 1-line block ×4, first 2 shown]
	ds_read2_b64 v[1:4], v245 offset0:116 offset1:117
	s_clause 0x3
	buffer_load_dword v209, off, s[0:3], 0 offset:816
	buffer_load_dword v210, off, s[0:3], 0 offset:820
	;; [unrolled: 1-line block ×4, first 2 shown]
	s_waitcnt vmcnt(0) lgkmcnt(0)
	v_mul_f64 v[213:214], v[3:4], v[211:212]
	v_fma_f64 v[213:214], v[1:2], v[209:210], -v[213:214]
	v_mul_f64 v[1:2], v[1:2], v[211:212]
	v_fma_f64 v[1:2], v[3:4], v[209:210], v[1:2]
	s_clause 0x1
	buffer_load_dword v4, off, s[0:3], 0 offset:932
	buffer_load_dword v3, off, s[0:3], 0 offset:928
	s_waitcnt vmcnt(0)
	v_add_f64 v[3:4], v[3:4], -v[213:214]
	s_clause 0x1
	buffer_load_dword v214, off, s[0:3], 0 offset:940
	buffer_load_dword v213, off, s[0:3], 0 offset:936
	s_waitcnt vmcnt(0)
	v_add_f64 v[1:2], v[213:214], -v[1:2]
	buffer_store_dword v4, off, s[0:3], 0 offset:932
	buffer_store_dword v3, off, s[0:3], 0 offset:928
	buffer_store_dword v2, off, s[0:3], 0 offset:940
	buffer_store_dword v1, off, s[0:3], 0 offset:936
	ds_read2_b64 v[1:4], v245 offset0:118 offset1:119
	s_waitcnt lgkmcnt(0)
	v_mul_f64 v[213:214], v[3:4], v[211:212]
	v_fma_f64 v[213:214], v[1:2], v[209:210], -v[213:214]
	v_mul_f64 v[1:2], v[1:2], v[211:212]
	v_fma_f64 v[1:2], v[3:4], v[209:210], v[1:2]
	s_clause 0x3
	buffer_load_dword v3, off, s[0:3], 0 offset:944
	buffer_load_dword v4, off, s[0:3], 0 offset:948
	buffer_load_dword v215, off, s[0:3], 0 offset:952
	buffer_load_dword v216, off, s[0:3], 0 offset:956
	s_waitcnt vmcnt(2)
	v_add_f64 v[3:4], v[3:4], -v[213:214]
	s_waitcnt vmcnt(0)
	v_add_f64 v[1:2], v[215:216], -v[1:2]
	buffer_store_dword v4, off, s[0:3], 0 offset:948
	buffer_store_dword v3, off, s[0:3], 0 offset:944
	buffer_store_dword v2, off, s[0:3], 0 offset:956
	buffer_store_dword v1, off, s[0:3], 0 offset:952
	ds_read2_b64 v[1:4], v245 offset0:120 offset1:121
	s_waitcnt lgkmcnt(0)
	v_mul_f64 v[213:214], v[3:4], v[211:212]
	v_fma_f64 v[213:214], v[1:2], v[209:210], -v[213:214]
	v_mul_f64 v[1:2], v[1:2], v[211:212]
	v_fma_f64 v[1:2], v[3:4], v[209:210], v[1:2]
	s_clause 0x3
	buffer_load_dword v3, off, s[0:3], 0 offset:960
	buffer_load_dword v4, off, s[0:3], 0 offset:964
	buffer_load_dword v215, off, s[0:3], 0 offset:968
	buffer_load_dword v216, off, s[0:3], 0 offset:972
	s_waitcnt vmcnt(2)
	v_add_f64 v[3:4], v[3:4], -v[213:214]
	;; [unrolled: 19-line block ×3, first 2 shown]
	s_waitcnt vmcnt(0)
	v_add_f64 v[1:2], v[209:210], -v[1:2]
	buffer_store_dword v4, off, s[0:3], 0 offset:980
	buffer_store_dword v3, off, s[0:3], 0 offset:976
	buffer_store_dword v2, off, s[0:3], 0 offset:988
	buffer_store_dword v1, off, s[0:3], 0 offset:984
.LBB123_599:
	s_or_b32 exec_lo, exec_lo, s5
	s_mov_b32 s6, exec_lo
	s_waitcnt lgkmcnt(0)
	s_waitcnt_vscnt null, 0x0
	s_barrier
	buffer_gl0_inv
	v_cmpx_eq_u32_e32 52, v0
	s_cbranch_execz .LBB123_606
; %bb.600:
	v_mov_b32_e32 v4, s22
	s_clause 0x3
	buffer_load_dword v1, v4, s[0:3], 0 offen
	buffer_load_dword v2, v4, s[0:3], 0 offen offset:4
	buffer_load_dword v3, v4, s[0:3], 0 offen offset:8
	;; [unrolled: 1-line block ×3, first 2 shown]
	s_waitcnt vmcnt(0)
	ds_write2_b64 v255, v[1:2], v[3:4] offset1:1
	v_mov_b32_e32 v4, s21
	s_clause 0x3
	buffer_load_dword v1, v4, s[0:3], 0 offen
	buffer_load_dword v2, v4, s[0:3], 0 offen offset:4
	buffer_load_dword v3, v4, s[0:3], 0 offen offset:8
	buffer_load_dword v4, v4, s[0:3], 0 offen offset:12
	s_waitcnt vmcnt(0)
	ds_write2_b64 v245, v[1:2], v[3:4] offset0:106 offset1:107
	v_mov_b32_e32 v4, s20
	s_clause 0x3
	buffer_load_dword v1, v4, s[0:3], 0 offen
	buffer_load_dword v2, v4, s[0:3], 0 offen offset:4
	buffer_load_dword v3, v4, s[0:3], 0 offen offset:8
	buffer_load_dword v4, v4, s[0:3], 0 offen offset:12
	s_waitcnt vmcnt(0)
	ds_write2_b64 v245, v[1:2], v[3:4] offset0:108 offset1:109
	;; [unrolled: 8-line block ×9, first 2 shown]
	ds_read2_b64 v[209:212], v255 offset1:1
	s_waitcnt lgkmcnt(0)
	v_cmp_neq_f64_e32 vcc_lo, 0, v[209:210]
	v_cmp_neq_f64_e64 s5, 0, v[211:212]
	s_or_b32 s5, vcc_lo, s5
	s_and_b32 exec_lo, exec_lo, s5
	s_cbranch_execz .LBB123_606
; %bb.601:
	v_cmp_ngt_f64_e64 s5, |v[209:210]|, |v[211:212]|
                                        ; implicit-def: $vgpr1_vgpr2
	s_and_saveexec_b32 s7, s5
	s_xor_b32 s5, exec_lo, s7
                                        ; implicit-def: $vgpr3_vgpr4
	s_cbranch_execz .LBB123_603
; %bb.602:
	v_div_scale_f64 v[1:2], null, v[211:212], v[211:212], v[209:210]
	v_div_scale_f64 v[215:216], vcc_lo, v[209:210], v[211:212], v[209:210]
	v_rcp_f64_e32 v[3:4], v[1:2]
	v_fma_f64 v[213:214], -v[1:2], v[3:4], 1.0
	v_fma_f64 v[3:4], v[3:4], v[213:214], v[3:4]
	v_fma_f64 v[213:214], -v[1:2], v[3:4], 1.0
	v_fma_f64 v[3:4], v[3:4], v[213:214], v[3:4]
	v_mul_f64 v[213:214], v[215:216], v[3:4]
	v_fma_f64 v[1:2], -v[1:2], v[213:214], v[215:216]
	v_div_fmas_f64 v[1:2], v[1:2], v[3:4], v[213:214]
	v_div_fixup_f64 v[1:2], v[1:2], v[211:212], v[209:210]
	v_fma_f64 v[3:4], v[209:210], v[1:2], v[211:212]
	v_div_scale_f64 v[209:210], null, v[3:4], v[3:4], 1.0
	v_rcp_f64_e32 v[211:212], v[209:210]
	v_fma_f64 v[213:214], -v[209:210], v[211:212], 1.0
	v_fma_f64 v[211:212], v[211:212], v[213:214], v[211:212]
	v_fma_f64 v[213:214], -v[209:210], v[211:212], 1.0
	v_fma_f64 v[211:212], v[211:212], v[213:214], v[211:212]
	v_div_scale_f64 v[213:214], vcc_lo, 1.0, v[3:4], 1.0
	v_mul_f64 v[215:216], v[213:214], v[211:212]
	v_fma_f64 v[209:210], -v[209:210], v[215:216], v[213:214]
	v_div_fmas_f64 v[209:210], v[209:210], v[211:212], v[215:216]
	v_div_fixup_f64 v[3:4], v[209:210], v[3:4], 1.0
                                        ; implicit-def: $vgpr209_vgpr210
	v_mul_f64 v[1:2], v[1:2], v[3:4]
	v_xor_b32_e32 v4, 0x80000000, v4
.LBB123_603:
	s_andn2_saveexec_b32 s5, s5
	s_cbranch_execz .LBB123_605
; %bb.604:
	v_div_scale_f64 v[1:2], null, v[209:210], v[209:210], v[211:212]
	v_div_scale_f64 v[215:216], vcc_lo, v[211:212], v[209:210], v[211:212]
	v_rcp_f64_e32 v[3:4], v[1:2]
	v_fma_f64 v[213:214], -v[1:2], v[3:4], 1.0
	v_fma_f64 v[3:4], v[3:4], v[213:214], v[3:4]
	v_fma_f64 v[213:214], -v[1:2], v[3:4], 1.0
	v_fma_f64 v[3:4], v[3:4], v[213:214], v[3:4]
	v_mul_f64 v[213:214], v[215:216], v[3:4]
	v_fma_f64 v[1:2], -v[1:2], v[213:214], v[215:216]
	v_div_fmas_f64 v[1:2], v[1:2], v[3:4], v[213:214]
	v_div_fixup_f64 v[3:4], v[1:2], v[209:210], v[211:212]
	v_fma_f64 v[1:2], v[211:212], v[3:4], v[209:210]
	v_div_scale_f64 v[209:210], null, v[1:2], v[1:2], 1.0
	v_rcp_f64_e32 v[211:212], v[209:210]
	v_fma_f64 v[213:214], -v[209:210], v[211:212], 1.0
	v_fma_f64 v[211:212], v[211:212], v[213:214], v[211:212]
	v_fma_f64 v[213:214], -v[209:210], v[211:212], 1.0
	v_fma_f64 v[211:212], v[211:212], v[213:214], v[211:212]
	v_div_scale_f64 v[213:214], vcc_lo, 1.0, v[1:2], 1.0
	v_mul_f64 v[215:216], v[213:214], v[211:212]
	v_fma_f64 v[209:210], -v[209:210], v[215:216], v[213:214]
	v_div_fmas_f64 v[209:210], v[209:210], v[211:212], v[215:216]
	v_div_fixup_f64 v[1:2], v[209:210], v[1:2], 1.0
	v_mul_f64 v[3:4], v[3:4], -v[1:2]
.LBB123_605:
	s_or_b32 exec_lo, exec_lo, s5
	ds_write2_b64 v255, v[1:2], v[3:4] offset1:1
.LBB123_606:
	s_or_b32 exec_lo, exec_lo, s6
	s_waitcnt lgkmcnt(0)
	s_barrier
	buffer_gl0_inv
	ds_read2_b64 v[209:212], v255 offset1:1
	s_mov_b32 s5, exec_lo
	v_cmpx_lt_u32_e32 52, v0
	s_cbranch_execz .LBB123_608
; %bb.607:
	s_clause 0xf
	buffer_load_dword v1, off, s[0:3], 0 offset:832
	buffer_load_dword v2, off, s[0:3], 0 offset:836
	;; [unrolled: 1-line block ×16, first 2 shown]
	s_waitcnt vmcnt(12) lgkmcnt(0)
	v_mul_f64 v[225:226], v[211:212], v[3:4]
	v_mul_f64 v[3:4], v[209:210], v[3:4]
	v_fma_f64 v[225:226], v[209:210], v[1:2], -v[225:226]
	v_fma_f64 v[227:228], v[211:212], v[1:2], v[3:4]
	buffer_store_dword v225, off, s[0:3], 0 offset:832
	buffer_store_dword v226, off, s[0:3], 0 offset:836
	buffer_store_dword v227, off, s[0:3], 0 offset:840
	buffer_store_dword v228, off, s[0:3], 0 offset:844
	ds_read2_b64 v[1:4], v245 offset0:106 offset1:107
	s_waitcnt lgkmcnt(0)
	v_mul_f64 v[229:230], v[3:4], v[227:228]
	v_fma_f64 v[229:230], v[1:2], v[225:226], -v[229:230]
	v_mul_f64 v[1:2], v[1:2], v[227:228]
	v_fma_f64 v[1:2], v[3:4], v[225:226], v[1:2]
	s_waitcnt vmcnt(10)
	v_add_f64 v[3:4], v[213:214], -v[229:230]
	s_waitcnt vmcnt(8)
	v_add_f64 v[1:2], v[215:216], -v[1:2]
	buffer_store_dword v3, off, s[0:3], 0 offset:848
	buffer_store_dword v4, off, s[0:3], 0 offset:852
	buffer_store_dword v1, off, s[0:3], 0 offset:856
	buffer_store_dword v2, off, s[0:3], 0 offset:860
	ds_read2_b64 v[1:4], v245 offset0:108 offset1:109
	s_waitcnt lgkmcnt(0)
	v_mul_f64 v[213:214], v[3:4], v[227:228]
	v_fma_f64 v[213:214], v[1:2], v[225:226], -v[213:214]
	v_mul_f64 v[1:2], v[1:2], v[227:228]
	v_fma_f64 v[1:2], v[3:4], v[225:226], v[1:2]
	s_waitcnt vmcnt(6)
	v_add_f64 v[3:4], v[217:218], -v[213:214]
	s_waitcnt vmcnt(4)
	v_add_f64 v[1:2], v[219:220], -v[1:2]
	;; [unrolled: 14-line block ×3, first 2 shown]
	buffer_store_dword v4, off, s[0:3], 0 offset:884
	buffer_store_dword v3, off, s[0:3], 0 offset:880
	buffer_store_dword v1, off, s[0:3], 0 offset:888
	buffer_store_dword v2, off, s[0:3], 0 offset:892
	ds_read2_b64 v[1:4], v245 offset0:112 offset1:113
	s_waitcnt lgkmcnt(0)
	v_mul_f64 v[213:214], v[3:4], v[227:228]
	v_fma_f64 v[213:214], v[1:2], v[225:226], -v[213:214]
	v_mul_f64 v[1:2], v[1:2], v[227:228]
	v_fma_f64 v[1:2], v[3:4], v[225:226], v[1:2]
	s_clause 0x3
	buffer_load_dword v3, off, s[0:3], 0 offset:896
	buffer_load_dword v4, off, s[0:3], 0 offset:900
	buffer_load_dword v215, off, s[0:3], 0 offset:904
	buffer_load_dword v216, off, s[0:3], 0 offset:908
	s_waitcnt vmcnt(2)
	v_add_f64 v[3:4], v[3:4], -v[213:214]
	s_waitcnt vmcnt(0)
	v_add_f64 v[1:2], v[215:216], -v[1:2]
	buffer_store_dword v4, off, s[0:3], 0 offset:900
	buffer_store_dword v3, off, s[0:3], 0 offset:896
	buffer_store_dword v2, off, s[0:3], 0 offset:908
	buffer_store_dword v1, off, s[0:3], 0 offset:904
	ds_read2_b64 v[1:4], v245 offset0:114 offset1:115
	s_waitcnt lgkmcnt(0)
	v_mul_f64 v[213:214], v[3:4], v[227:228]
	v_fma_f64 v[213:214], v[1:2], v[225:226], -v[213:214]
	v_mul_f64 v[1:2], v[1:2], v[227:228]
	v_fma_f64 v[1:2], v[3:4], v[225:226], v[1:2]
	s_clause 0x3
	buffer_load_dword v3, off, s[0:3], 0 offset:912
	buffer_load_dword v4, off, s[0:3], 0 offset:916
	buffer_load_dword v215, off, s[0:3], 0 offset:920
	buffer_load_dword v216, off, s[0:3], 0 offset:924
	s_waitcnt vmcnt(2)
	v_add_f64 v[3:4], v[3:4], -v[213:214]
	s_waitcnt vmcnt(0)
	v_add_f64 v[1:2], v[215:216], -v[1:2]
	;; [unrolled: 19-line block ×3, first 2 shown]
	buffer_store_dword v4, off, s[0:3], 0 offset:932
	buffer_store_dword v3, off, s[0:3], 0 offset:928
	buffer_store_dword v2, off, s[0:3], 0 offset:940
	buffer_store_dword v1, off, s[0:3], 0 offset:936
	ds_read2_b64 v[1:4], v245 offset0:118 offset1:119
	s_clause 0x3
	buffer_load_dword v213, off, s[0:3], 0 offset:832
	buffer_load_dword v214, off, s[0:3], 0 offset:836
	;; [unrolled: 1-line block ×4, first 2 shown]
	s_waitcnt vmcnt(0) lgkmcnt(0)
	v_mul_f64 v[217:218], v[3:4], v[215:216]
	v_fma_f64 v[217:218], v[1:2], v[213:214], -v[217:218]
	v_mul_f64 v[1:2], v[1:2], v[215:216]
	v_fma_f64 v[1:2], v[3:4], v[213:214], v[1:2]
	s_clause 0x1
	buffer_load_dword v4, off, s[0:3], 0 offset:948
	buffer_load_dword v3, off, s[0:3], 0 offset:944
	s_waitcnt vmcnt(0)
	v_add_f64 v[3:4], v[3:4], -v[217:218]
	s_clause 0x1
	buffer_load_dword v218, off, s[0:3], 0 offset:956
	buffer_load_dword v217, off, s[0:3], 0 offset:952
	s_waitcnt vmcnt(0)
	v_add_f64 v[1:2], v[217:218], -v[1:2]
	buffer_store_dword v4, off, s[0:3], 0 offset:948
	buffer_store_dword v3, off, s[0:3], 0 offset:944
	;; [unrolled: 1-line block ×4, first 2 shown]
	ds_read2_b64 v[1:4], v245 offset0:120 offset1:121
	s_waitcnt lgkmcnt(0)
	v_mul_f64 v[217:218], v[3:4], v[215:216]
	v_fma_f64 v[217:218], v[1:2], v[213:214], -v[217:218]
	v_mul_f64 v[1:2], v[1:2], v[215:216]
	v_fma_f64 v[1:2], v[3:4], v[213:214], v[1:2]
	s_clause 0x3
	buffer_load_dword v3, off, s[0:3], 0 offset:960
	buffer_load_dword v4, off, s[0:3], 0 offset:964
	;; [unrolled: 1-line block ×4, first 2 shown]
	s_waitcnt vmcnt(2)
	v_add_f64 v[3:4], v[3:4], -v[217:218]
	s_waitcnt vmcnt(0)
	v_add_f64 v[1:2], v[219:220], -v[1:2]
	buffer_store_dword v4, off, s[0:3], 0 offset:964
	buffer_store_dword v3, off, s[0:3], 0 offset:960
	;; [unrolled: 1-line block ×4, first 2 shown]
	ds_read2_b64 v[1:4], v245 offset0:122 offset1:123
	s_waitcnt lgkmcnt(0)
	v_mul_f64 v[217:218], v[3:4], v[215:216]
	v_fma_f64 v[217:218], v[1:2], v[213:214], -v[217:218]
	v_mul_f64 v[1:2], v[1:2], v[215:216]
	v_fma_f64 v[1:2], v[3:4], v[213:214], v[1:2]
	s_clause 0x3
	buffer_load_dword v3, off, s[0:3], 0 offset:976
	buffer_load_dword v4, off, s[0:3], 0 offset:980
	;; [unrolled: 1-line block ×4, first 2 shown]
	s_waitcnt vmcnt(2)
	v_add_f64 v[3:4], v[3:4], -v[217:218]
	s_waitcnt vmcnt(0)
	v_add_f64 v[1:2], v[213:214], -v[1:2]
	buffer_store_dword v4, off, s[0:3], 0 offset:980
	buffer_store_dword v3, off, s[0:3], 0 offset:976
	;; [unrolled: 1-line block ×4, first 2 shown]
.LBB123_608:
	s_or_b32 exec_lo, exec_lo, s5
	s_mov_b32 s6, exec_lo
	s_waitcnt lgkmcnt(0)
	s_waitcnt_vscnt null, 0x0
	s_barrier
	buffer_gl0_inv
	v_cmpx_eq_u32_e32 53, v0
	s_cbranch_execz .LBB123_615
; %bb.609:
	v_mov_b32_e32 v4, s21
	s_clause 0x3
	buffer_load_dword v1, v4, s[0:3], 0 offen
	buffer_load_dword v2, v4, s[0:3], 0 offen offset:4
	buffer_load_dword v3, v4, s[0:3], 0 offen offset:8
	;; [unrolled: 1-line block ×3, first 2 shown]
	s_waitcnt vmcnt(0)
	ds_write2_b64 v255, v[1:2], v[3:4] offset1:1
	v_mov_b32_e32 v4, s20
	s_clause 0x3
	buffer_load_dword v1, v4, s[0:3], 0 offen
	buffer_load_dword v2, v4, s[0:3], 0 offen offset:4
	buffer_load_dword v3, v4, s[0:3], 0 offen offset:8
	buffer_load_dword v4, v4, s[0:3], 0 offen offset:12
	s_waitcnt vmcnt(0)
	ds_write2_b64 v245, v[1:2], v[3:4] offset0:108 offset1:109
	v_mov_b32_e32 v4, s19
	s_clause 0x3
	buffer_load_dword v1, v4, s[0:3], 0 offen
	buffer_load_dword v2, v4, s[0:3], 0 offen offset:4
	buffer_load_dword v3, v4, s[0:3], 0 offen offset:8
	buffer_load_dword v4, v4, s[0:3], 0 offen offset:12
	s_waitcnt vmcnt(0)
	ds_write2_b64 v245, v[1:2], v[3:4] offset0:110 offset1:111
	;; [unrolled: 8-line block ×8, first 2 shown]
	ds_read2_b64 v[213:216], v255 offset1:1
	s_waitcnt lgkmcnt(0)
	v_cmp_neq_f64_e32 vcc_lo, 0, v[213:214]
	v_cmp_neq_f64_e64 s5, 0, v[215:216]
	s_or_b32 s5, vcc_lo, s5
	s_and_b32 exec_lo, exec_lo, s5
	s_cbranch_execz .LBB123_615
; %bb.610:
	v_cmp_ngt_f64_e64 s5, |v[213:214]|, |v[215:216]|
                                        ; implicit-def: $vgpr1_vgpr2
	s_and_saveexec_b32 s7, s5
	s_xor_b32 s5, exec_lo, s7
                                        ; implicit-def: $vgpr3_vgpr4
	s_cbranch_execz .LBB123_612
; %bb.611:
	v_div_scale_f64 v[1:2], null, v[215:216], v[215:216], v[213:214]
	v_div_scale_f64 v[219:220], vcc_lo, v[213:214], v[215:216], v[213:214]
	v_rcp_f64_e32 v[3:4], v[1:2]
	v_fma_f64 v[217:218], -v[1:2], v[3:4], 1.0
	v_fma_f64 v[3:4], v[3:4], v[217:218], v[3:4]
	v_fma_f64 v[217:218], -v[1:2], v[3:4], 1.0
	v_fma_f64 v[3:4], v[3:4], v[217:218], v[3:4]
	v_mul_f64 v[217:218], v[219:220], v[3:4]
	v_fma_f64 v[1:2], -v[1:2], v[217:218], v[219:220]
	v_div_fmas_f64 v[1:2], v[1:2], v[3:4], v[217:218]
	v_div_fixup_f64 v[1:2], v[1:2], v[215:216], v[213:214]
	v_fma_f64 v[3:4], v[213:214], v[1:2], v[215:216]
	v_div_scale_f64 v[213:214], null, v[3:4], v[3:4], 1.0
	v_rcp_f64_e32 v[215:216], v[213:214]
	v_fma_f64 v[217:218], -v[213:214], v[215:216], 1.0
	v_fma_f64 v[215:216], v[215:216], v[217:218], v[215:216]
	v_fma_f64 v[217:218], -v[213:214], v[215:216], 1.0
	v_fma_f64 v[215:216], v[215:216], v[217:218], v[215:216]
	v_div_scale_f64 v[217:218], vcc_lo, 1.0, v[3:4], 1.0
	v_mul_f64 v[219:220], v[217:218], v[215:216]
	v_fma_f64 v[213:214], -v[213:214], v[219:220], v[217:218]
	v_div_fmas_f64 v[213:214], v[213:214], v[215:216], v[219:220]
	v_div_fixup_f64 v[3:4], v[213:214], v[3:4], 1.0
                                        ; implicit-def: $vgpr213_vgpr214
	v_mul_f64 v[1:2], v[1:2], v[3:4]
	v_xor_b32_e32 v4, 0x80000000, v4
.LBB123_612:
	s_andn2_saveexec_b32 s5, s5
	s_cbranch_execz .LBB123_614
; %bb.613:
	v_div_scale_f64 v[1:2], null, v[213:214], v[213:214], v[215:216]
	v_div_scale_f64 v[219:220], vcc_lo, v[215:216], v[213:214], v[215:216]
	v_rcp_f64_e32 v[3:4], v[1:2]
	v_fma_f64 v[217:218], -v[1:2], v[3:4], 1.0
	v_fma_f64 v[3:4], v[3:4], v[217:218], v[3:4]
	v_fma_f64 v[217:218], -v[1:2], v[3:4], 1.0
	v_fma_f64 v[3:4], v[3:4], v[217:218], v[3:4]
	v_mul_f64 v[217:218], v[219:220], v[3:4]
	v_fma_f64 v[1:2], -v[1:2], v[217:218], v[219:220]
	v_div_fmas_f64 v[1:2], v[1:2], v[3:4], v[217:218]
	v_div_fixup_f64 v[3:4], v[1:2], v[213:214], v[215:216]
	v_fma_f64 v[1:2], v[215:216], v[3:4], v[213:214]
	v_div_scale_f64 v[213:214], null, v[1:2], v[1:2], 1.0
	v_rcp_f64_e32 v[215:216], v[213:214]
	v_fma_f64 v[217:218], -v[213:214], v[215:216], 1.0
	v_fma_f64 v[215:216], v[215:216], v[217:218], v[215:216]
	v_fma_f64 v[217:218], -v[213:214], v[215:216], 1.0
	v_fma_f64 v[215:216], v[215:216], v[217:218], v[215:216]
	v_div_scale_f64 v[217:218], vcc_lo, 1.0, v[1:2], 1.0
	v_mul_f64 v[219:220], v[217:218], v[215:216]
	v_fma_f64 v[213:214], -v[213:214], v[219:220], v[217:218]
	v_div_fmas_f64 v[213:214], v[213:214], v[215:216], v[219:220]
	v_div_fixup_f64 v[1:2], v[213:214], v[1:2], 1.0
	v_mul_f64 v[3:4], v[3:4], -v[1:2]
.LBB123_614:
	s_or_b32 exec_lo, exec_lo, s5
	ds_write2_b64 v255, v[1:2], v[3:4] offset1:1
.LBB123_615:
	s_or_b32 exec_lo, exec_lo, s6
	s_waitcnt lgkmcnt(0)
	s_barrier
	buffer_gl0_inv
	ds_read2_b64 v[213:216], v255 offset1:1
	s_mov_b32 s5, exec_lo
	v_cmpx_lt_u32_e32 53, v0
	s_cbranch_execz .LBB123_617
; %bb.616:
	s_clause 0xf
	buffer_load_dword v1, off, s[0:3], 0 offset:848
	buffer_load_dword v2, off, s[0:3], 0 offset:852
	;; [unrolled: 1-line block ×16, first 2 shown]
	s_waitcnt vmcnt(12) lgkmcnt(0)
	v_mul_f64 v[229:230], v[215:216], v[3:4]
	v_mul_f64 v[3:4], v[213:214], v[3:4]
	v_fma_f64 v[229:230], v[213:214], v[1:2], -v[229:230]
	v_fma_f64 v[231:232], v[215:216], v[1:2], v[3:4]
	buffer_store_dword v229, off, s[0:3], 0 offset:848
	buffer_store_dword v230, off, s[0:3], 0 offset:852
	buffer_store_dword v231, off, s[0:3], 0 offset:856
	buffer_store_dword v232, off, s[0:3], 0 offset:860
	ds_read2_b64 v[1:4], v245 offset0:108 offset1:109
	s_waitcnt lgkmcnt(0)
	v_mul_f64 v[233:234], v[3:4], v[231:232]
	v_fma_f64 v[233:234], v[1:2], v[229:230], -v[233:234]
	v_mul_f64 v[1:2], v[1:2], v[231:232]
	v_fma_f64 v[1:2], v[3:4], v[229:230], v[1:2]
	s_waitcnt vmcnt(10)
	v_add_f64 v[3:4], v[217:218], -v[233:234]
	s_waitcnt vmcnt(8)
	v_add_f64 v[1:2], v[219:220], -v[1:2]
	buffer_store_dword v3, off, s[0:3], 0 offset:864
	buffer_store_dword v4, off, s[0:3], 0 offset:868
	buffer_store_dword v1, off, s[0:3], 0 offset:872
	buffer_store_dword v2, off, s[0:3], 0 offset:876
	ds_read2_b64 v[1:4], v245 offset0:110 offset1:111
	s_waitcnt lgkmcnt(0)
	v_mul_f64 v[217:218], v[3:4], v[231:232]
	v_fma_f64 v[217:218], v[1:2], v[229:230], -v[217:218]
	v_mul_f64 v[1:2], v[1:2], v[231:232]
	v_fma_f64 v[1:2], v[3:4], v[229:230], v[1:2]
	s_waitcnt vmcnt(6)
	v_add_f64 v[3:4], v[221:222], -v[217:218]
	s_waitcnt vmcnt(4)
	v_add_f64 v[1:2], v[223:224], -v[1:2]
	;; [unrolled: 14-line block ×3, first 2 shown]
	buffer_store_dword v4, off, s[0:3], 0 offset:900
	buffer_store_dword v3, off, s[0:3], 0 offset:896
	buffer_store_dword v1, off, s[0:3], 0 offset:904
	buffer_store_dword v2, off, s[0:3], 0 offset:908
	ds_read2_b64 v[1:4], v245 offset0:114 offset1:115
	s_waitcnt lgkmcnt(0)
	v_mul_f64 v[217:218], v[3:4], v[231:232]
	v_fma_f64 v[217:218], v[1:2], v[229:230], -v[217:218]
	v_mul_f64 v[1:2], v[1:2], v[231:232]
	v_fma_f64 v[1:2], v[3:4], v[229:230], v[1:2]
	s_clause 0x3
	buffer_load_dword v3, off, s[0:3], 0 offset:912
	buffer_load_dword v4, off, s[0:3], 0 offset:916
	buffer_load_dword v219, off, s[0:3], 0 offset:920
	buffer_load_dword v220, off, s[0:3], 0 offset:924
	s_waitcnt vmcnt(2)
	v_add_f64 v[3:4], v[3:4], -v[217:218]
	s_waitcnt vmcnt(0)
	v_add_f64 v[1:2], v[219:220], -v[1:2]
	buffer_store_dword v4, off, s[0:3], 0 offset:916
	buffer_store_dword v3, off, s[0:3], 0 offset:912
	buffer_store_dword v2, off, s[0:3], 0 offset:924
	buffer_store_dword v1, off, s[0:3], 0 offset:920
	ds_read2_b64 v[1:4], v245 offset0:116 offset1:117
	s_waitcnt lgkmcnt(0)
	v_mul_f64 v[217:218], v[3:4], v[231:232]
	v_fma_f64 v[217:218], v[1:2], v[229:230], -v[217:218]
	v_mul_f64 v[1:2], v[1:2], v[231:232]
	v_fma_f64 v[1:2], v[3:4], v[229:230], v[1:2]
	s_clause 0x3
	buffer_load_dword v3, off, s[0:3], 0 offset:928
	buffer_load_dword v4, off, s[0:3], 0 offset:932
	buffer_load_dword v219, off, s[0:3], 0 offset:936
	buffer_load_dword v220, off, s[0:3], 0 offset:940
	s_waitcnt vmcnt(2)
	v_add_f64 v[3:4], v[3:4], -v[217:218]
	s_waitcnt vmcnt(0)
	v_add_f64 v[1:2], v[219:220], -v[1:2]
	;; [unrolled: 19-line block ×3, first 2 shown]
	buffer_store_dword v4, off, s[0:3], 0 offset:948
	buffer_store_dword v3, off, s[0:3], 0 offset:944
	;; [unrolled: 1-line block ×4, first 2 shown]
	ds_read2_b64 v[1:4], v245 offset0:120 offset1:121
	s_clause 0x3
	buffer_load_dword v217, off, s[0:3], 0 offset:848
	buffer_load_dword v218, off, s[0:3], 0 offset:852
	;; [unrolled: 1-line block ×4, first 2 shown]
	s_waitcnt vmcnt(0) lgkmcnt(0)
	v_mul_f64 v[221:222], v[3:4], v[219:220]
	v_fma_f64 v[221:222], v[1:2], v[217:218], -v[221:222]
	v_mul_f64 v[1:2], v[1:2], v[219:220]
	v_fma_f64 v[1:2], v[3:4], v[217:218], v[1:2]
	s_clause 0x1
	buffer_load_dword v4, off, s[0:3], 0 offset:964
	buffer_load_dword v3, off, s[0:3], 0 offset:960
	s_waitcnt vmcnt(0)
	v_add_f64 v[3:4], v[3:4], -v[221:222]
	s_clause 0x1
	buffer_load_dword v222, off, s[0:3], 0 offset:972
	buffer_load_dword v221, off, s[0:3], 0 offset:968
	s_waitcnt vmcnt(0)
	v_add_f64 v[1:2], v[221:222], -v[1:2]
	buffer_store_dword v4, off, s[0:3], 0 offset:964
	buffer_store_dword v3, off, s[0:3], 0 offset:960
	buffer_store_dword v2, off, s[0:3], 0 offset:972
	buffer_store_dword v1, off, s[0:3], 0 offset:968
	ds_read2_b64 v[1:4], v245 offset0:122 offset1:123
	s_waitcnt lgkmcnt(0)
	v_mul_f64 v[221:222], v[3:4], v[219:220]
	v_fma_f64 v[221:222], v[1:2], v[217:218], -v[221:222]
	v_mul_f64 v[1:2], v[1:2], v[219:220]
	v_fma_f64 v[1:2], v[3:4], v[217:218], v[1:2]
	s_clause 0x3
	buffer_load_dword v3, off, s[0:3], 0 offset:976
	buffer_load_dword v4, off, s[0:3], 0 offset:980
	;; [unrolled: 1-line block ×4, first 2 shown]
	s_waitcnt vmcnt(2)
	v_add_f64 v[3:4], v[3:4], -v[221:222]
	s_waitcnt vmcnt(0)
	v_add_f64 v[1:2], v[217:218], -v[1:2]
	buffer_store_dword v4, off, s[0:3], 0 offset:980
	buffer_store_dword v3, off, s[0:3], 0 offset:976
	;; [unrolled: 1-line block ×4, first 2 shown]
.LBB123_617:
	s_or_b32 exec_lo, exec_lo, s5
	s_mov_b32 s6, exec_lo
	s_waitcnt lgkmcnt(0)
	s_waitcnt_vscnt null, 0x0
	s_barrier
	buffer_gl0_inv
	v_cmpx_eq_u32_e32 54, v0
	s_cbranch_execz .LBB123_624
; %bb.618:
	v_mov_b32_e32 v4, s20
	s_clause 0x3
	buffer_load_dword v1, v4, s[0:3], 0 offen
	buffer_load_dword v2, v4, s[0:3], 0 offen offset:4
	buffer_load_dword v3, v4, s[0:3], 0 offen offset:8
	;; [unrolled: 1-line block ×3, first 2 shown]
	s_waitcnt vmcnt(0)
	ds_write2_b64 v255, v[1:2], v[3:4] offset1:1
	v_mov_b32_e32 v4, s19
	s_clause 0x3
	buffer_load_dword v1, v4, s[0:3], 0 offen
	buffer_load_dword v2, v4, s[0:3], 0 offen offset:4
	buffer_load_dword v3, v4, s[0:3], 0 offen offset:8
	buffer_load_dword v4, v4, s[0:3], 0 offen offset:12
	s_waitcnt vmcnt(0)
	ds_write2_b64 v245, v[1:2], v[3:4] offset0:110 offset1:111
	v_mov_b32_e32 v4, s18
	s_clause 0x3
	buffer_load_dword v1, v4, s[0:3], 0 offen
	buffer_load_dword v2, v4, s[0:3], 0 offen offset:4
	buffer_load_dword v3, v4, s[0:3], 0 offen offset:8
	buffer_load_dword v4, v4, s[0:3], 0 offen offset:12
	s_waitcnt vmcnt(0)
	ds_write2_b64 v245, v[1:2], v[3:4] offset0:112 offset1:113
	;; [unrolled: 8-line block ×7, first 2 shown]
	ds_read2_b64 v[217:220], v255 offset1:1
	s_waitcnt lgkmcnt(0)
	v_cmp_neq_f64_e32 vcc_lo, 0, v[217:218]
	v_cmp_neq_f64_e64 s5, 0, v[219:220]
	s_or_b32 s5, vcc_lo, s5
	s_and_b32 exec_lo, exec_lo, s5
	s_cbranch_execz .LBB123_624
; %bb.619:
	v_cmp_ngt_f64_e64 s5, |v[217:218]|, |v[219:220]|
                                        ; implicit-def: $vgpr1_vgpr2
	s_and_saveexec_b32 s7, s5
	s_xor_b32 s5, exec_lo, s7
                                        ; implicit-def: $vgpr3_vgpr4
	s_cbranch_execz .LBB123_621
; %bb.620:
	v_div_scale_f64 v[1:2], null, v[219:220], v[219:220], v[217:218]
	v_div_scale_f64 v[223:224], vcc_lo, v[217:218], v[219:220], v[217:218]
	v_rcp_f64_e32 v[3:4], v[1:2]
	v_fma_f64 v[221:222], -v[1:2], v[3:4], 1.0
	v_fma_f64 v[3:4], v[3:4], v[221:222], v[3:4]
	v_fma_f64 v[221:222], -v[1:2], v[3:4], 1.0
	v_fma_f64 v[3:4], v[3:4], v[221:222], v[3:4]
	v_mul_f64 v[221:222], v[223:224], v[3:4]
	v_fma_f64 v[1:2], -v[1:2], v[221:222], v[223:224]
	v_div_fmas_f64 v[1:2], v[1:2], v[3:4], v[221:222]
	v_div_fixup_f64 v[1:2], v[1:2], v[219:220], v[217:218]
	v_fma_f64 v[3:4], v[217:218], v[1:2], v[219:220]
	v_div_scale_f64 v[217:218], null, v[3:4], v[3:4], 1.0
	v_rcp_f64_e32 v[219:220], v[217:218]
	v_fma_f64 v[221:222], -v[217:218], v[219:220], 1.0
	v_fma_f64 v[219:220], v[219:220], v[221:222], v[219:220]
	v_fma_f64 v[221:222], -v[217:218], v[219:220], 1.0
	v_fma_f64 v[219:220], v[219:220], v[221:222], v[219:220]
	v_div_scale_f64 v[221:222], vcc_lo, 1.0, v[3:4], 1.0
	v_mul_f64 v[223:224], v[221:222], v[219:220]
	v_fma_f64 v[217:218], -v[217:218], v[223:224], v[221:222]
	v_div_fmas_f64 v[217:218], v[217:218], v[219:220], v[223:224]
	v_div_fixup_f64 v[3:4], v[217:218], v[3:4], 1.0
                                        ; implicit-def: $vgpr217_vgpr218
	v_mul_f64 v[1:2], v[1:2], v[3:4]
	v_xor_b32_e32 v4, 0x80000000, v4
.LBB123_621:
	s_andn2_saveexec_b32 s5, s5
	s_cbranch_execz .LBB123_623
; %bb.622:
	v_div_scale_f64 v[1:2], null, v[217:218], v[217:218], v[219:220]
	v_div_scale_f64 v[223:224], vcc_lo, v[219:220], v[217:218], v[219:220]
	v_rcp_f64_e32 v[3:4], v[1:2]
	v_fma_f64 v[221:222], -v[1:2], v[3:4], 1.0
	v_fma_f64 v[3:4], v[3:4], v[221:222], v[3:4]
	v_fma_f64 v[221:222], -v[1:2], v[3:4], 1.0
	v_fma_f64 v[3:4], v[3:4], v[221:222], v[3:4]
	v_mul_f64 v[221:222], v[223:224], v[3:4]
	v_fma_f64 v[1:2], -v[1:2], v[221:222], v[223:224]
	v_div_fmas_f64 v[1:2], v[1:2], v[3:4], v[221:222]
	v_div_fixup_f64 v[3:4], v[1:2], v[217:218], v[219:220]
	v_fma_f64 v[1:2], v[219:220], v[3:4], v[217:218]
	v_div_scale_f64 v[217:218], null, v[1:2], v[1:2], 1.0
	v_rcp_f64_e32 v[219:220], v[217:218]
	v_fma_f64 v[221:222], -v[217:218], v[219:220], 1.0
	v_fma_f64 v[219:220], v[219:220], v[221:222], v[219:220]
	v_fma_f64 v[221:222], -v[217:218], v[219:220], 1.0
	v_fma_f64 v[219:220], v[219:220], v[221:222], v[219:220]
	v_div_scale_f64 v[221:222], vcc_lo, 1.0, v[1:2], 1.0
	v_mul_f64 v[223:224], v[221:222], v[219:220]
	v_fma_f64 v[217:218], -v[217:218], v[223:224], v[221:222]
	v_div_fmas_f64 v[217:218], v[217:218], v[219:220], v[223:224]
	v_div_fixup_f64 v[1:2], v[217:218], v[1:2], 1.0
	v_mul_f64 v[3:4], v[3:4], -v[1:2]
.LBB123_623:
	s_or_b32 exec_lo, exec_lo, s5
	ds_write2_b64 v255, v[1:2], v[3:4] offset1:1
.LBB123_624:
	s_or_b32 exec_lo, exec_lo, s6
	s_waitcnt lgkmcnt(0)
	s_barrier
	buffer_gl0_inv
	ds_read2_b64 v[217:220], v255 offset1:1
	s_mov_b32 s5, exec_lo
	v_cmpx_lt_u32_e32 54, v0
	s_cbranch_execz .LBB123_626
; %bb.625:
	s_clause 0xf
	buffer_load_dword v1, off, s[0:3], 0 offset:864
	buffer_load_dword v2, off, s[0:3], 0 offset:868
	;; [unrolled: 1-line block ×16, first 2 shown]
	s_waitcnt vmcnt(12) lgkmcnt(0)
	v_mul_f64 v[233:234], v[219:220], v[3:4]
	v_mul_f64 v[3:4], v[217:218], v[3:4]
	v_fma_f64 v[233:234], v[217:218], v[1:2], -v[233:234]
	v_fma_f64 v[235:236], v[219:220], v[1:2], v[3:4]
	buffer_store_dword v233, off, s[0:3], 0 offset:864
	buffer_store_dword v234, off, s[0:3], 0 offset:868
	buffer_store_dword v235, off, s[0:3], 0 offset:872
	buffer_store_dword v236, off, s[0:3], 0 offset:876
	ds_read2_b64 v[1:4], v245 offset0:110 offset1:111
	s_waitcnt lgkmcnt(0)
	v_mul_f64 v[237:238], v[3:4], v[235:236]
	v_fma_f64 v[237:238], v[1:2], v[233:234], -v[237:238]
	v_mul_f64 v[1:2], v[1:2], v[235:236]
	v_fma_f64 v[1:2], v[3:4], v[233:234], v[1:2]
	s_waitcnt vmcnt(10)
	v_add_f64 v[3:4], v[221:222], -v[237:238]
	s_waitcnt vmcnt(8)
	v_add_f64 v[1:2], v[223:224], -v[1:2]
	buffer_store_dword v3, off, s[0:3], 0 offset:880
	buffer_store_dword v4, off, s[0:3], 0 offset:884
	buffer_store_dword v1, off, s[0:3], 0 offset:888
	buffer_store_dword v2, off, s[0:3], 0 offset:892
	ds_read2_b64 v[1:4], v245 offset0:112 offset1:113
	s_waitcnt lgkmcnt(0)
	v_mul_f64 v[221:222], v[3:4], v[235:236]
	v_fma_f64 v[221:222], v[1:2], v[233:234], -v[221:222]
	v_mul_f64 v[1:2], v[1:2], v[235:236]
	v_fma_f64 v[1:2], v[3:4], v[233:234], v[1:2]
	s_waitcnt vmcnt(6)
	v_add_f64 v[3:4], v[225:226], -v[221:222]
	s_waitcnt vmcnt(4)
	v_add_f64 v[1:2], v[227:228], -v[1:2]
	;; [unrolled: 14-line block ×3, first 2 shown]
	buffer_store_dword v4, off, s[0:3], 0 offset:916
	buffer_store_dword v3, off, s[0:3], 0 offset:912
	buffer_store_dword v1, off, s[0:3], 0 offset:920
	buffer_store_dword v2, off, s[0:3], 0 offset:924
	ds_read2_b64 v[1:4], v245 offset0:116 offset1:117
	s_waitcnt lgkmcnt(0)
	v_mul_f64 v[221:222], v[3:4], v[235:236]
	v_fma_f64 v[221:222], v[1:2], v[233:234], -v[221:222]
	v_mul_f64 v[1:2], v[1:2], v[235:236]
	v_fma_f64 v[1:2], v[3:4], v[233:234], v[1:2]
	s_clause 0x3
	buffer_load_dword v3, off, s[0:3], 0 offset:928
	buffer_load_dword v4, off, s[0:3], 0 offset:932
	buffer_load_dword v223, off, s[0:3], 0 offset:936
	buffer_load_dword v224, off, s[0:3], 0 offset:940
	s_waitcnt vmcnt(2)
	v_add_f64 v[3:4], v[3:4], -v[221:222]
	s_waitcnt vmcnt(0)
	v_add_f64 v[1:2], v[223:224], -v[1:2]
	buffer_store_dword v4, off, s[0:3], 0 offset:932
	buffer_store_dword v3, off, s[0:3], 0 offset:928
	buffer_store_dword v2, off, s[0:3], 0 offset:940
	buffer_store_dword v1, off, s[0:3], 0 offset:936
	ds_read2_b64 v[1:4], v245 offset0:118 offset1:119
	s_waitcnt lgkmcnt(0)
	v_mul_f64 v[221:222], v[3:4], v[235:236]
	v_fma_f64 v[221:222], v[1:2], v[233:234], -v[221:222]
	v_mul_f64 v[1:2], v[1:2], v[235:236]
	v_fma_f64 v[1:2], v[3:4], v[233:234], v[1:2]
	s_clause 0x3
	buffer_load_dword v3, off, s[0:3], 0 offset:944
	buffer_load_dword v4, off, s[0:3], 0 offset:948
	buffer_load_dword v223, off, s[0:3], 0 offset:952
	buffer_load_dword v224, off, s[0:3], 0 offset:956
	s_waitcnt vmcnt(2)
	v_add_f64 v[3:4], v[3:4], -v[221:222]
	s_waitcnt vmcnt(0)
	v_add_f64 v[1:2], v[223:224], -v[1:2]
	;; [unrolled: 19-line block ×3, first 2 shown]
	buffer_store_dword v4, off, s[0:3], 0 offset:964
	buffer_store_dword v3, off, s[0:3], 0 offset:960
	;; [unrolled: 1-line block ×4, first 2 shown]
	ds_read2_b64 v[1:4], v245 offset0:122 offset1:123
	s_clause 0x3
	buffer_load_dword v221, off, s[0:3], 0 offset:864
	buffer_load_dword v222, off, s[0:3], 0 offset:868
	;; [unrolled: 1-line block ×4, first 2 shown]
	s_waitcnt vmcnt(0) lgkmcnt(0)
	v_mul_f64 v[225:226], v[3:4], v[223:224]
	v_fma_f64 v[225:226], v[1:2], v[221:222], -v[225:226]
	v_mul_f64 v[1:2], v[1:2], v[223:224]
	v_fma_f64 v[1:2], v[3:4], v[221:222], v[1:2]
	s_clause 0x3
	buffer_load_dword v4, off, s[0:3], 0 offset:980
	buffer_load_dword v3, off, s[0:3], 0 offset:976
	;; [unrolled: 1-line block ×4, first 2 shown]
	s_waitcnt vmcnt(2)
	v_add_f64 v[3:4], v[3:4], -v[225:226]
	s_waitcnt vmcnt(0)
	v_add_f64 v[1:2], v[221:222], -v[1:2]
	buffer_store_dword v4, off, s[0:3], 0 offset:980
	buffer_store_dword v3, off, s[0:3], 0 offset:976
	;; [unrolled: 1-line block ×4, first 2 shown]
.LBB123_626:
	s_or_b32 exec_lo, exec_lo, s5
	s_mov_b32 s6, exec_lo
	s_waitcnt lgkmcnt(0)
	s_waitcnt_vscnt null, 0x0
	s_barrier
	buffer_gl0_inv
	v_cmpx_eq_u32_e32 55, v0
	s_cbranch_execz .LBB123_633
; %bb.627:
	v_mov_b32_e32 v4, s19
	s_clause 0x3
	buffer_load_dword v1, v4, s[0:3], 0 offen
	buffer_load_dword v2, v4, s[0:3], 0 offen offset:4
	buffer_load_dword v3, v4, s[0:3], 0 offen offset:8
	;; [unrolled: 1-line block ×3, first 2 shown]
	s_waitcnt vmcnt(0)
	ds_write2_b64 v255, v[1:2], v[3:4] offset1:1
	v_mov_b32_e32 v4, s18
	s_clause 0x3
	buffer_load_dword v1, v4, s[0:3], 0 offen
	buffer_load_dword v2, v4, s[0:3], 0 offen offset:4
	buffer_load_dword v3, v4, s[0:3], 0 offen offset:8
	buffer_load_dword v4, v4, s[0:3], 0 offen offset:12
	s_waitcnt vmcnt(0)
	ds_write2_b64 v245, v[1:2], v[3:4] offset0:112 offset1:113
	v_mov_b32_e32 v4, s17
	s_clause 0x3
	buffer_load_dword v1, v4, s[0:3], 0 offen
	buffer_load_dword v2, v4, s[0:3], 0 offen offset:4
	buffer_load_dword v3, v4, s[0:3], 0 offen offset:8
	buffer_load_dword v4, v4, s[0:3], 0 offen offset:12
	s_waitcnt vmcnt(0)
	ds_write2_b64 v245, v[1:2], v[3:4] offset0:114 offset1:115
	;; [unrolled: 8-line block ×6, first 2 shown]
	ds_read2_b64 v[221:224], v255 offset1:1
	s_waitcnt lgkmcnt(0)
	v_cmp_neq_f64_e32 vcc_lo, 0, v[221:222]
	v_cmp_neq_f64_e64 s5, 0, v[223:224]
	s_or_b32 s5, vcc_lo, s5
	s_and_b32 exec_lo, exec_lo, s5
	s_cbranch_execz .LBB123_633
; %bb.628:
	v_cmp_ngt_f64_e64 s5, |v[221:222]|, |v[223:224]|
                                        ; implicit-def: $vgpr1_vgpr2
	s_and_saveexec_b32 s7, s5
	s_xor_b32 s5, exec_lo, s7
                                        ; implicit-def: $vgpr3_vgpr4
	s_cbranch_execz .LBB123_630
; %bb.629:
	v_div_scale_f64 v[1:2], null, v[223:224], v[223:224], v[221:222]
	v_div_scale_f64 v[227:228], vcc_lo, v[221:222], v[223:224], v[221:222]
	v_rcp_f64_e32 v[3:4], v[1:2]
	v_fma_f64 v[225:226], -v[1:2], v[3:4], 1.0
	v_fma_f64 v[3:4], v[3:4], v[225:226], v[3:4]
	v_fma_f64 v[225:226], -v[1:2], v[3:4], 1.0
	v_fma_f64 v[3:4], v[3:4], v[225:226], v[3:4]
	v_mul_f64 v[225:226], v[227:228], v[3:4]
	v_fma_f64 v[1:2], -v[1:2], v[225:226], v[227:228]
	v_div_fmas_f64 v[1:2], v[1:2], v[3:4], v[225:226]
	v_div_fixup_f64 v[1:2], v[1:2], v[223:224], v[221:222]
	v_fma_f64 v[3:4], v[221:222], v[1:2], v[223:224]
	v_div_scale_f64 v[221:222], null, v[3:4], v[3:4], 1.0
	v_rcp_f64_e32 v[223:224], v[221:222]
	v_fma_f64 v[225:226], -v[221:222], v[223:224], 1.0
	v_fma_f64 v[223:224], v[223:224], v[225:226], v[223:224]
	v_fma_f64 v[225:226], -v[221:222], v[223:224], 1.0
	v_fma_f64 v[223:224], v[223:224], v[225:226], v[223:224]
	v_div_scale_f64 v[225:226], vcc_lo, 1.0, v[3:4], 1.0
	v_mul_f64 v[227:228], v[225:226], v[223:224]
	v_fma_f64 v[221:222], -v[221:222], v[227:228], v[225:226]
	v_div_fmas_f64 v[221:222], v[221:222], v[223:224], v[227:228]
	v_div_fixup_f64 v[3:4], v[221:222], v[3:4], 1.0
                                        ; implicit-def: $vgpr221_vgpr222
	v_mul_f64 v[1:2], v[1:2], v[3:4]
	v_xor_b32_e32 v4, 0x80000000, v4
.LBB123_630:
	s_andn2_saveexec_b32 s5, s5
	s_cbranch_execz .LBB123_632
; %bb.631:
	v_div_scale_f64 v[1:2], null, v[221:222], v[221:222], v[223:224]
	v_div_scale_f64 v[227:228], vcc_lo, v[223:224], v[221:222], v[223:224]
	v_rcp_f64_e32 v[3:4], v[1:2]
	v_fma_f64 v[225:226], -v[1:2], v[3:4], 1.0
	v_fma_f64 v[3:4], v[3:4], v[225:226], v[3:4]
	v_fma_f64 v[225:226], -v[1:2], v[3:4], 1.0
	v_fma_f64 v[3:4], v[3:4], v[225:226], v[3:4]
	v_mul_f64 v[225:226], v[227:228], v[3:4]
	v_fma_f64 v[1:2], -v[1:2], v[225:226], v[227:228]
	v_div_fmas_f64 v[1:2], v[1:2], v[3:4], v[225:226]
	v_div_fixup_f64 v[3:4], v[1:2], v[221:222], v[223:224]
	v_fma_f64 v[1:2], v[223:224], v[3:4], v[221:222]
	v_div_scale_f64 v[221:222], null, v[1:2], v[1:2], 1.0
	v_rcp_f64_e32 v[223:224], v[221:222]
	v_fma_f64 v[225:226], -v[221:222], v[223:224], 1.0
	v_fma_f64 v[223:224], v[223:224], v[225:226], v[223:224]
	v_fma_f64 v[225:226], -v[221:222], v[223:224], 1.0
	v_fma_f64 v[223:224], v[223:224], v[225:226], v[223:224]
	v_div_scale_f64 v[225:226], vcc_lo, 1.0, v[1:2], 1.0
	v_mul_f64 v[227:228], v[225:226], v[223:224]
	v_fma_f64 v[221:222], -v[221:222], v[227:228], v[225:226]
	v_div_fmas_f64 v[221:222], v[221:222], v[223:224], v[227:228]
	v_div_fixup_f64 v[1:2], v[221:222], v[1:2], 1.0
	v_mul_f64 v[3:4], v[3:4], -v[1:2]
.LBB123_632:
	s_or_b32 exec_lo, exec_lo, s5
	ds_write2_b64 v255, v[1:2], v[3:4] offset1:1
.LBB123_633:
	s_or_b32 exec_lo, exec_lo, s6
	s_waitcnt lgkmcnt(0)
	s_barrier
	buffer_gl0_inv
	ds_read2_b64 v[221:224], v255 offset1:1
	s_mov_b32 s5, exec_lo
	v_cmpx_lt_u32_e32 55, v0
	s_cbranch_execz .LBB123_635
; %bb.634:
	s_clause 0xf
	buffer_load_dword v1, off, s[0:3], 0 offset:880
	buffer_load_dword v2, off, s[0:3], 0 offset:884
	;; [unrolled: 1-line block ×16, first 2 shown]
	s_waitcnt vmcnt(12) lgkmcnt(0)
	v_mul_f64 v[237:238], v[223:224], v[3:4]
	v_mul_f64 v[3:4], v[221:222], v[3:4]
	v_fma_f64 v[237:238], v[221:222], v[1:2], -v[237:238]
	v_fma_f64 v[239:240], v[223:224], v[1:2], v[3:4]
	buffer_store_dword v237, off, s[0:3], 0 offset:880
	buffer_store_dword v238, off, s[0:3], 0 offset:884
	buffer_store_dword v239, off, s[0:3], 0 offset:888
	buffer_store_dword v240, off, s[0:3], 0 offset:892
	ds_read2_b64 v[1:4], v245 offset0:112 offset1:113
	s_waitcnt lgkmcnt(0)
	v_mul_f64 v[241:242], v[3:4], v[239:240]
	v_fma_f64 v[241:242], v[1:2], v[237:238], -v[241:242]
	v_mul_f64 v[1:2], v[1:2], v[239:240]
	v_fma_f64 v[1:2], v[3:4], v[237:238], v[1:2]
	s_waitcnt vmcnt(10)
	v_add_f64 v[3:4], v[225:226], -v[241:242]
	s_waitcnt vmcnt(8)
	v_add_f64 v[1:2], v[227:228], -v[1:2]
	buffer_store_dword v3, off, s[0:3], 0 offset:896
	buffer_store_dword v4, off, s[0:3], 0 offset:900
	buffer_store_dword v1, off, s[0:3], 0 offset:904
	buffer_store_dword v2, off, s[0:3], 0 offset:908
	ds_read2_b64 v[1:4], v245 offset0:114 offset1:115
	s_waitcnt lgkmcnt(0)
	v_mul_f64 v[225:226], v[3:4], v[239:240]
	v_fma_f64 v[225:226], v[1:2], v[237:238], -v[225:226]
	v_mul_f64 v[1:2], v[1:2], v[239:240]
	v_fma_f64 v[1:2], v[3:4], v[237:238], v[1:2]
	s_waitcnt vmcnt(6)
	v_add_f64 v[3:4], v[229:230], -v[225:226]
	s_waitcnt vmcnt(4)
	v_add_f64 v[1:2], v[231:232], -v[1:2]
	;; [unrolled: 14-line block ×3, first 2 shown]
	buffer_store_dword v4, off, s[0:3], 0 offset:932
	buffer_store_dword v3, off, s[0:3], 0 offset:928
	buffer_store_dword v1, off, s[0:3], 0 offset:936
	buffer_store_dword v2, off, s[0:3], 0 offset:940
	ds_read2_b64 v[1:4], v245 offset0:118 offset1:119
	s_waitcnt lgkmcnt(0)
	v_mul_f64 v[225:226], v[3:4], v[239:240]
	v_fma_f64 v[225:226], v[1:2], v[237:238], -v[225:226]
	v_mul_f64 v[1:2], v[1:2], v[239:240]
	v_fma_f64 v[1:2], v[3:4], v[237:238], v[1:2]
	s_clause 0x3
	buffer_load_dword v3, off, s[0:3], 0 offset:944
	buffer_load_dword v4, off, s[0:3], 0 offset:948
	buffer_load_dword v227, off, s[0:3], 0 offset:952
	buffer_load_dword v228, off, s[0:3], 0 offset:956
	s_waitcnt vmcnt(2)
	v_add_f64 v[3:4], v[3:4], -v[225:226]
	s_waitcnt vmcnt(0)
	v_add_f64 v[1:2], v[227:228], -v[1:2]
	buffer_store_dword v4, off, s[0:3], 0 offset:948
	buffer_store_dword v3, off, s[0:3], 0 offset:944
	buffer_store_dword v2, off, s[0:3], 0 offset:956
	buffer_store_dword v1, off, s[0:3], 0 offset:952
	ds_read2_b64 v[1:4], v245 offset0:120 offset1:121
	s_waitcnt lgkmcnt(0)
	v_mul_f64 v[225:226], v[3:4], v[239:240]
	v_fma_f64 v[225:226], v[1:2], v[237:238], -v[225:226]
	v_mul_f64 v[1:2], v[1:2], v[239:240]
	v_fma_f64 v[1:2], v[3:4], v[237:238], v[1:2]
	s_clause 0x3
	buffer_load_dword v3, off, s[0:3], 0 offset:960
	buffer_load_dword v4, off, s[0:3], 0 offset:964
	buffer_load_dword v227, off, s[0:3], 0 offset:968
	buffer_load_dword v228, off, s[0:3], 0 offset:972
	s_waitcnt vmcnt(2)
	v_add_f64 v[3:4], v[3:4], -v[225:226]
	s_waitcnt vmcnt(0)
	v_add_f64 v[1:2], v[227:228], -v[1:2]
	;; [unrolled: 19-line block ×3, first 2 shown]
	buffer_store_dword v4, off, s[0:3], 0 offset:980
	buffer_store_dword v3, off, s[0:3], 0 offset:976
	;; [unrolled: 1-line block ×4, first 2 shown]
.LBB123_635:
	s_or_b32 exec_lo, exec_lo, s5
	s_mov_b32 s6, exec_lo
	s_waitcnt lgkmcnt(0)
	s_waitcnt_vscnt null, 0x0
	s_barrier
	buffer_gl0_inv
	v_cmpx_eq_u32_e32 56, v0
	s_cbranch_execz .LBB123_642
; %bb.636:
	v_mov_b32_e32 v4, s18
	s_clause 0x3
	buffer_load_dword v1, v4, s[0:3], 0 offen
	buffer_load_dword v2, v4, s[0:3], 0 offen offset:4
	buffer_load_dword v3, v4, s[0:3], 0 offen offset:8
	;; [unrolled: 1-line block ×3, first 2 shown]
	s_waitcnt vmcnt(0)
	ds_write2_b64 v255, v[1:2], v[3:4] offset1:1
	v_mov_b32_e32 v4, s17
	s_clause 0x3
	buffer_load_dword v1, v4, s[0:3], 0 offen
	buffer_load_dword v2, v4, s[0:3], 0 offen offset:4
	buffer_load_dword v3, v4, s[0:3], 0 offen offset:8
	buffer_load_dword v4, v4, s[0:3], 0 offen offset:12
	s_waitcnt vmcnt(0)
	ds_write2_b64 v245, v[1:2], v[3:4] offset0:114 offset1:115
	v_mov_b32_e32 v4, s16
	s_clause 0x3
	buffer_load_dword v1, v4, s[0:3], 0 offen
	buffer_load_dword v2, v4, s[0:3], 0 offen offset:4
	buffer_load_dword v3, v4, s[0:3], 0 offen offset:8
	buffer_load_dword v4, v4, s[0:3], 0 offen offset:12
	s_waitcnt vmcnt(0)
	ds_write2_b64 v245, v[1:2], v[3:4] offset0:116 offset1:117
	;; [unrolled: 8-line block ×5, first 2 shown]
	ds_read2_b64 v[225:228], v255 offset1:1
	s_waitcnt lgkmcnt(0)
	v_cmp_neq_f64_e32 vcc_lo, 0, v[225:226]
	v_cmp_neq_f64_e64 s5, 0, v[227:228]
	s_or_b32 s5, vcc_lo, s5
	s_and_b32 exec_lo, exec_lo, s5
	s_cbranch_execz .LBB123_642
; %bb.637:
	v_cmp_ngt_f64_e64 s5, |v[225:226]|, |v[227:228]|
                                        ; implicit-def: $vgpr1_vgpr2
	s_and_saveexec_b32 s7, s5
	s_xor_b32 s5, exec_lo, s7
                                        ; implicit-def: $vgpr3_vgpr4
	s_cbranch_execz .LBB123_639
; %bb.638:
	v_div_scale_f64 v[1:2], null, v[227:228], v[227:228], v[225:226]
	v_div_scale_f64 v[231:232], vcc_lo, v[225:226], v[227:228], v[225:226]
	v_rcp_f64_e32 v[3:4], v[1:2]
	v_fma_f64 v[229:230], -v[1:2], v[3:4], 1.0
	v_fma_f64 v[3:4], v[3:4], v[229:230], v[3:4]
	v_fma_f64 v[229:230], -v[1:2], v[3:4], 1.0
	v_fma_f64 v[3:4], v[3:4], v[229:230], v[3:4]
	v_mul_f64 v[229:230], v[231:232], v[3:4]
	v_fma_f64 v[1:2], -v[1:2], v[229:230], v[231:232]
	v_div_fmas_f64 v[1:2], v[1:2], v[3:4], v[229:230]
	v_div_fixup_f64 v[1:2], v[1:2], v[227:228], v[225:226]
	v_fma_f64 v[3:4], v[225:226], v[1:2], v[227:228]
	v_div_scale_f64 v[225:226], null, v[3:4], v[3:4], 1.0
	v_rcp_f64_e32 v[227:228], v[225:226]
	v_fma_f64 v[229:230], -v[225:226], v[227:228], 1.0
	v_fma_f64 v[227:228], v[227:228], v[229:230], v[227:228]
	v_fma_f64 v[229:230], -v[225:226], v[227:228], 1.0
	v_fma_f64 v[227:228], v[227:228], v[229:230], v[227:228]
	v_div_scale_f64 v[229:230], vcc_lo, 1.0, v[3:4], 1.0
	v_mul_f64 v[231:232], v[229:230], v[227:228]
	v_fma_f64 v[225:226], -v[225:226], v[231:232], v[229:230]
	v_div_fmas_f64 v[225:226], v[225:226], v[227:228], v[231:232]
	v_div_fixup_f64 v[3:4], v[225:226], v[3:4], 1.0
                                        ; implicit-def: $vgpr225_vgpr226
	v_mul_f64 v[1:2], v[1:2], v[3:4]
	v_xor_b32_e32 v4, 0x80000000, v4
.LBB123_639:
	s_andn2_saveexec_b32 s5, s5
	s_cbranch_execz .LBB123_641
; %bb.640:
	v_div_scale_f64 v[1:2], null, v[225:226], v[225:226], v[227:228]
	v_div_scale_f64 v[231:232], vcc_lo, v[227:228], v[225:226], v[227:228]
	v_rcp_f64_e32 v[3:4], v[1:2]
	v_fma_f64 v[229:230], -v[1:2], v[3:4], 1.0
	v_fma_f64 v[3:4], v[3:4], v[229:230], v[3:4]
	v_fma_f64 v[229:230], -v[1:2], v[3:4], 1.0
	v_fma_f64 v[3:4], v[3:4], v[229:230], v[3:4]
	v_mul_f64 v[229:230], v[231:232], v[3:4]
	v_fma_f64 v[1:2], -v[1:2], v[229:230], v[231:232]
	v_div_fmas_f64 v[1:2], v[1:2], v[3:4], v[229:230]
	v_div_fixup_f64 v[3:4], v[1:2], v[225:226], v[227:228]
	v_fma_f64 v[1:2], v[227:228], v[3:4], v[225:226]
	v_div_scale_f64 v[225:226], null, v[1:2], v[1:2], 1.0
	v_rcp_f64_e32 v[227:228], v[225:226]
	v_fma_f64 v[229:230], -v[225:226], v[227:228], 1.0
	v_fma_f64 v[227:228], v[227:228], v[229:230], v[227:228]
	v_fma_f64 v[229:230], -v[225:226], v[227:228], 1.0
	v_fma_f64 v[227:228], v[227:228], v[229:230], v[227:228]
	v_div_scale_f64 v[229:230], vcc_lo, 1.0, v[1:2], 1.0
	v_mul_f64 v[231:232], v[229:230], v[227:228]
	v_fma_f64 v[225:226], -v[225:226], v[231:232], v[229:230]
	v_div_fmas_f64 v[225:226], v[225:226], v[227:228], v[231:232]
	v_div_fixup_f64 v[1:2], v[225:226], v[1:2], 1.0
	v_mul_f64 v[3:4], v[3:4], -v[1:2]
.LBB123_641:
	s_or_b32 exec_lo, exec_lo, s5
	ds_write2_b64 v255, v[1:2], v[3:4] offset1:1
.LBB123_642:
	s_or_b32 exec_lo, exec_lo, s6
	s_waitcnt lgkmcnt(0)
	s_barrier
	buffer_gl0_inv
	ds_read2_b64 v[225:228], v255 offset1:1
	s_mov_b32 s5, exec_lo
	v_cmpx_lt_u32_e32 56, v0
	s_cbranch_execz .LBB123_644
; %bb.643:
	s_clause 0xf
	buffer_load_dword v1, off, s[0:3], 0 offset:896
	buffer_load_dword v2, off, s[0:3], 0 offset:900
	;; [unrolled: 1-line block ×16, first 2 shown]
	s_waitcnt vmcnt(12) lgkmcnt(0)
	v_mul_f64 v[241:242], v[227:228], v[3:4]
	v_mul_f64 v[3:4], v[225:226], v[3:4]
	v_fma_f64 v[241:242], v[225:226], v[1:2], -v[241:242]
	v_fma_f64 v[243:244], v[227:228], v[1:2], v[3:4]
	buffer_store_dword v241, off, s[0:3], 0 offset:896
	buffer_store_dword v242, off, s[0:3], 0 offset:900
	buffer_store_dword v243, off, s[0:3], 0 offset:904
	buffer_store_dword v244, off, s[0:3], 0 offset:908
	ds_read2_b64 v[1:4], v245 offset0:114 offset1:115
	s_waitcnt lgkmcnt(0)
	v_mul_f64 v[246:247], v[3:4], v[243:244]
	v_fma_f64 v[246:247], v[1:2], v[241:242], -v[246:247]
	v_mul_f64 v[1:2], v[1:2], v[243:244]
	v_fma_f64 v[1:2], v[3:4], v[241:242], v[1:2]
	s_waitcnt vmcnt(10)
	v_add_f64 v[3:4], v[229:230], -v[246:247]
	s_waitcnt vmcnt(8)
	v_add_f64 v[1:2], v[231:232], -v[1:2]
	buffer_store_dword v3, off, s[0:3], 0 offset:912
	buffer_store_dword v4, off, s[0:3], 0 offset:916
	buffer_store_dword v1, off, s[0:3], 0 offset:920
	buffer_store_dword v2, off, s[0:3], 0 offset:924
	ds_read2_b64 v[1:4], v245 offset0:116 offset1:117
	s_waitcnt lgkmcnt(0)
	v_mul_f64 v[229:230], v[3:4], v[243:244]
	v_fma_f64 v[229:230], v[1:2], v[241:242], -v[229:230]
	v_mul_f64 v[1:2], v[1:2], v[243:244]
	v_fma_f64 v[1:2], v[3:4], v[241:242], v[1:2]
	s_waitcnt vmcnt(6)
	v_add_f64 v[3:4], v[233:234], -v[229:230]
	s_waitcnt vmcnt(4)
	v_add_f64 v[1:2], v[235:236], -v[1:2]
	;; [unrolled: 14-line block ×3, first 2 shown]
	buffer_store_dword v4, off, s[0:3], 0 offset:948
	buffer_store_dword v3, off, s[0:3], 0 offset:944
	;; [unrolled: 1-line block ×4, first 2 shown]
	ds_read2_b64 v[1:4], v245 offset0:120 offset1:121
	s_waitcnt lgkmcnt(0)
	v_mul_f64 v[229:230], v[3:4], v[243:244]
	v_fma_f64 v[229:230], v[1:2], v[241:242], -v[229:230]
	v_mul_f64 v[1:2], v[1:2], v[243:244]
	v_fma_f64 v[1:2], v[3:4], v[241:242], v[1:2]
	s_clause 0x3
	buffer_load_dword v3, off, s[0:3], 0 offset:960
	buffer_load_dword v4, off, s[0:3], 0 offset:964
	;; [unrolled: 1-line block ×4, first 2 shown]
	s_waitcnt vmcnt(2)
	v_add_f64 v[3:4], v[3:4], -v[229:230]
	s_waitcnt vmcnt(0)
	v_add_f64 v[1:2], v[231:232], -v[1:2]
	buffer_store_dword v4, off, s[0:3], 0 offset:964
	buffer_store_dword v3, off, s[0:3], 0 offset:960
	;; [unrolled: 1-line block ×4, first 2 shown]
	ds_read2_b64 v[1:4], v245 offset0:122 offset1:123
	s_waitcnt lgkmcnt(0)
	v_mul_f64 v[229:230], v[3:4], v[243:244]
	v_fma_f64 v[229:230], v[1:2], v[241:242], -v[229:230]
	v_mul_f64 v[1:2], v[1:2], v[243:244]
	v_fma_f64 v[1:2], v[3:4], v[241:242], v[1:2]
	s_clause 0x3
	buffer_load_dword v3, off, s[0:3], 0 offset:976
	buffer_load_dword v4, off, s[0:3], 0 offset:980
	;; [unrolled: 1-line block ×4, first 2 shown]
	s_waitcnt vmcnt(2)
	v_add_f64 v[3:4], v[3:4], -v[229:230]
	s_waitcnt vmcnt(0)
	v_add_f64 v[1:2], v[231:232], -v[1:2]
	buffer_store_dword v4, off, s[0:3], 0 offset:980
	buffer_store_dword v3, off, s[0:3], 0 offset:976
	;; [unrolled: 1-line block ×4, first 2 shown]
.LBB123_644:
	s_or_b32 exec_lo, exec_lo, s5
	s_mov_b32 s6, exec_lo
	s_waitcnt lgkmcnt(0)
	s_waitcnt_vscnt null, 0x0
	s_barrier
	buffer_gl0_inv
	v_cmpx_eq_u32_e32 57, v0
	s_cbranch_execz .LBB123_651
; %bb.645:
	v_mov_b32_e32 v4, s17
	s_clause 0x3
	buffer_load_dword v1, v4, s[0:3], 0 offen
	buffer_load_dword v2, v4, s[0:3], 0 offen offset:4
	buffer_load_dword v3, v4, s[0:3], 0 offen offset:8
	;; [unrolled: 1-line block ×3, first 2 shown]
	s_waitcnt vmcnt(0)
	ds_write2_b64 v255, v[1:2], v[3:4] offset1:1
	v_mov_b32_e32 v4, s16
	s_clause 0x3
	buffer_load_dword v1, v4, s[0:3], 0 offen
	buffer_load_dword v2, v4, s[0:3], 0 offen offset:4
	buffer_load_dword v3, v4, s[0:3], 0 offen offset:8
	buffer_load_dword v4, v4, s[0:3], 0 offen offset:12
	s_waitcnt vmcnt(0)
	ds_write2_b64 v245, v[1:2], v[3:4] offset0:116 offset1:117
	v_mov_b32_e32 v4, s15
	s_clause 0x3
	buffer_load_dword v1, v4, s[0:3], 0 offen
	buffer_load_dword v2, v4, s[0:3], 0 offen offset:4
	buffer_load_dword v3, v4, s[0:3], 0 offen offset:8
	buffer_load_dword v4, v4, s[0:3], 0 offen offset:12
	s_waitcnt vmcnt(0)
	ds_write2_b64 v245, v[1:2], v[3:4] offset0:118 offset1:119
	;; [unrolled: 8-line block ×4, first 2 shown]
	ds_read2_b64 v[229:232], v255 offset1:1
	s_waitcnt lgkmcnt(0)
	v_cmp_neq_f64_e32 vcc_lo, 0, v[229:230]
	v_cmp_neq_f64_e64 s5, 0, v[231:232]
	s_or_b32 s5, vcc_lo, s5
	s_and_b32 exec_lo, exec_lo, s5
	s_cbranch_execz .LBB123_651
; %bb.646:
	v_cmp_ngt_f64_e64 s5, |v[229:230]|, |v[231:232]|
                                        ; implicit-def: $vgpr1_vgpr2
	s_and_saveexec_b32 s7, s5
	s_xor_b32 s5, exec_lo, s7
                                        ; implicit-def: $vgpr3_vgpr4
	s_cbranch_execz .LBB123_648
; %bb.647:
	v_div_scale_f64 v[1:2], null, v[231:232], v[231:232], v[229:230]
	v_div_scale_f64 v[235:236], vcc_lo, v[229:230], v[231:232], v[229:230]
	v_rcp_f64_e32 v[3:4], v[1:2]
	v_fma_f64 v[233:234], -v[1:2], v[3:4], 1.0
	v_fma_f64 v[3:4], v[3:4], v[233:234], v[3:4]
	v_fma_f64 v[233:234], -v[1:2], v[3:4], 1.0
	v_fma_f64 v[3:4], v[3:4], v[233:234], v[3:4]
	v_mul_f64 v[233:234], v[235:236], v[3:4]
	v_fma_f64 v[1:2], -v[1:2], v[233:234], v[235:236]
	v_div_fmas_f64 v[1:2], v[1:2], v[3:4], v[233:234]
	v_div_fixup_f64 v[1:2], v[1:2], v[231:232], v[229:230]
	v_fma_f64 v[3:4], v[229:230], v[1:2], v[231:232]
	v_div_scale_f64 v[229:230], null, v[3:4], v[3:4], 1.0
	v_rcp_f64_e32 v[231:232], v[229:230]
	v_fma_f64 v[233:234], -v[229:230], v[231:232], 1.0
	v_fma_f64 v[231:232], v[231:232], v[233:234], v[231:232]
	v_fma_f64 v[233:234], -v[229:230], v[231:232], 1.0
	v_fma_f64 v[231:232], v[231:232], v[233:234], v[231:232]
	v_div_scale_f64 v[233:234], vcc_lo, 1.0, v[3:4], 1.0
	v_mul_f64 v[235:236], v[233:234], v[231:232]
	v_fma_f64 v[229:230], -v[229:230], v[235:236], v[233:234]
	v_div_fmas_f64 v[229:230], v[229:230], v[231:232], v[235:236]
	v_div_fixup_f64 v[3:4], v[229:230], v[3:4], 1.0
                                        ; implicit-def: $vgpr229_vgpr230
	v_mul_f64 v[1:2], v[1:2], v[3:4]
	v_xor_b32_e32 v4, 0x80000000, v4
.LBB123_648:
	s_andn2_saveexec_b32 s5, s5
	s_cbranch_execz .LBB123_650
; %bb.649:
	v_div_scale_f64 v[1:2], null, v[229:230], v[229:230], v[231:232]
	v_div_scale_f64 v[235:236], vcc_lo, v[231:232], v[229:230], v[231:232]
	v_rcp_f64_e32 v[3:4], v[1:2]
	v_fma_f64 v[233:234], -v[1:2], v[3:4], 1.0
	v_fma_f64 v[3:4], v[3:4], v[233:234], v[3:4]
	v_fma_f64 v[233:234], -v[1:2], v[3:4], 1.0
	v_fma_f64 v[3:4], v[3:4], v[233:234], v[3:4]
	v_mul_f64 v[233:234], v[235:236], v[3:4]
	v_fma_f64 v[1:2], -v[1:2], v[233:234], v[235:236]
	v_div_fmas_f64 v[1:2], v[1:2], v[3:4], v[233:234]
	v_div_fixup_f64 v[3:4], v[1:2], v[229:230], v[231:232]
	v_fma_f64 v[1:2], v[231:232], v[3:4], v[229:230]
	v_div_scale_f64 v[229:230], null, v[1:2], v[1:2], 1.0
	v_rcp_f64_e32 v[231:232], v[229:230]
	v_fma_f64 v[233:234], -v[229:230], v[231:232], 1.0
	v_fma_f64 v[231:232], v[231:232], v[233:234], v[231:232]
	v_fma_f64 v[233:234], -v[229:230], v[231:232], 1.0
	v_fma_f64 v[231:232], v[231:232], v[233:234], v[231:232]
	v_div_scale_f64 v[233:234], vcc_lo, 1.0, v[1:2], 1.0
	v_mul_f64 v[235:236], v[233:234], v[231:232]
	v_fma_f64 v[229:230], -v[229:230], v[235:236], v[233:234]
	v_div_fmas_f64 v[229:230], v[229:230], v[231:232], v[235:236]
	v_div_fixup_f64 v[1:2], v[229:230], v[1:2], 1.0
	v_mul_f64 v[3:4], v[3:4], -v[1:2]
.LBB123_650:
	s_or_b32 exec_lo, exec_lo, s5
	ds_write2_b64 v255, v[1:2], v[3:4] offset1:1
.LBB123_651:
	s_or_b32 exec_lo, exec_lo, s6
	s_waitcnt lgkmcnt(0)
	s_barrier
	buffer_gl0_inv
	ds_read2_b64 v[229:232], v255 offset1:1
	s_mov_b32 s5, exec_lo
	v_cmpx_lt_u32_e32 57, v0
	s_cbranch_execz .LBB123_653
; %bb.652:
	s_clause 0xf
	buffer_load_dword v1, off, s[0:3], 0 offset:912
	buffer_load_dword v2, off, s[0:3], 0 offset:916
	;; [unrolled: 1-line block ×16, first 2 shown]
	s_waitcnt vmcnt(12) lgkmcnt(0)
	v_mul_f64 v[246:247], v[231:232], v[3:4]
	v_mul_f64 v[3:4], v[229:230], v[3:4]
	v_fma_f64 v[246:247], v[229:230], v[1:2], -v[246:247]
	v_fma_f64 v[5:6], v[231:232], v[1:2], v[3:4]
	buffer_store_dword v246, off, s[0:3], 0 offset:912
	buffer_store_dword v247, off, s[0:3], 0 offset:916
	buffer_store_dword v5, off, s[0:3], 0 offset:920
	buffer_store_dword v6, off, s[0:3], 0 offset:924
	ds_read2_b64 v[1:4], v245 offset0:116 offset1:117
	s_waitcnt lgkmcnt(0)
	v_mul_f64 v[7:8], v[3:4], v[5:6]
	v_fma_f64 v[7:8], v[1:2], v[246:247], -v[7:8]
	v_mul_f64 v[1:2], v[1:2], v[5:6]
	v_fma_f64 v[1:2], v[3:4], v[246:247], v[1:2]
	s_waitcnt vmcnt(10)
	v_add_f64 v[3:4], v[233:234], -v[7:8]
	s_waitcnt vmcnt(8)
	v_add_f64 v[1:2], v[235:236], -v[1:2]
	buffer_store_dword v3, off, s[0:3], 0 offset:928
	buffer_store_dword v4, off, s[0:3], 0 offset:932
	buffer_store_dword v1, off, s[0:3], 0 offset:936
	buffer_store_dword v2, off, s[0:3], 0 offset:940
	ds_read2_b64 v[1:4], v245 offset0:118 offset1:119
	s_waitcnt lgkmcnt(0)
	v_mul_f64 v[7:8], v[3:4], v[5:6]
	v_fma_f64 v[7:8], v[1:2], v[246:247], -v[7:8]
	v_mul_f64 v[1:2], v[1:2], v[5:6]
	v_fma_f64 v[1:2], v[3:4], v[246:247], v[1:2]
	s_waitcnt vmcnt(6)
	v_add_f64 v[3:4], v[237:238], -v[7:8]
	s_waitcnt vmcnt(4)
	v_add_f64 v[1:2], v[239:240], -v[1:2]
	;; [unrolled: 14-line block ×3, first 2 shown]
	buffer_store_dword v4, off, s[0:3], 0 offset:964
	buffer_store_dword v3, off, s[0:3], 0 offset:960
	;; [unrolled: 1-line block ×4, first 2 shown]
	ds_read2_b64 v[1:4], v245 offset0:122 offset1:123
	s_waitcnt lgkmcnt(0)
	v_mul_f64 v[7:8], v[3:4], v[5:6]
	v_fma_f64 v[7:8], v[1:2], v[246:247], -v[7:8]
	v_mul_f64 v[1:2], v[1:2], v[5:6]
	v_fma_f64 v[1:2], v[3:4], v[246:247], v[1:2]
	s_clause 0x3
	buffer_load_dword v3, off, s[0:3], 0 offset:976
	buffer_load_dword v4, off, s[0:3], 0 offset:980
	;; [unrolled: 1-line block ×4, first 2 shown]
	s_waitcnt vmcnt(2)
	v_add_f64 v[3:4], v[3:4], -v[7:8]
	s_waitcnt vmcnt(0)
	v_add_f64 v[1:2], v[5:6], -v[1:2]
	buffer_store_dword v4, off, s[0:3], 0 offset:980
	buffer_store_dword v3, off, s[0:3], 0 offset:976
	;; [unrolled: 1-line block ×4, first 2 shown]
.LBB123_653:
	s_or_b32 exec_lo, exec_lo, s5
	s_mov_b32 s6, exec_lo
	s_waitcnt lgkmcnt(0)
	s_waitcnt_vscnt null, 0x0
	s_barrier
	buffer_gl0_inv
	v_cmpx_eq_u32_e32 58, v0
	s_cbranch_execz .LBB123_660
; %bb.654:
	v_mov_b32_e32 v4, s16
	s_clause 0x3
	buffer_load_dword v1, v4, s[0:3], 0 offen
	buffer_load_dword v2, v4, s[0:3], 0 offen offset:4
	buffer_load_dword v3, v4, s[0:3], 0 offen offset:8
	;; [unrolled: 1-line block ×3, first 2 shown]
	s_waitcnt vmcnt(0)
	ds_write2_b64 v255, v[1:2], v[3:4] offset1:1
	v_mov_b32_e32 v4, s15
	s_clause 0x3
	buffer_load_dword v1, v4, s[0:3], 0 offen
	buffer_load_dword v2, v4, s[0:3], 0 offen offset:4
	buffer_load_dword v3, v4, s[0:3], 0 offen offset:8
	buffer_load_dword v4, v4, s[0:3], 0 offen offset:12
	s_waitcnt vmcnt(0)
	ds_write2_b64 v245, v[1:2], v[3:4] offset0:118 offset1:119
	v_mov_b32_e32 v4, s14
	s_clause 0x3
	buffer_load_dword v1, v4, s[0:3], 0 offen
	buffer_load_dword v2, v4, s[0:3], 0 offen offset:4
	buffer_load_dword v3, v4, s[0:3], 0 offen offset:8
	buffer_load_dword v4, v4, s[0:3], 0 offen offset:12
	s_waitcnt vmcnt(0)
	ds_write2_b64 v245, v[1:2], v[3:4] offset0:120 offset1:121
	v_mov_b32_e32 v4, s12
	s_clause 0x3
	buffer_load_dword v1, v4, s[0:3], 0 offen
	buffer_load_dword v2, v4, s[0:3], 0 offen offset:4
	buffer_load_dword v3, v4, s[0:3], 0 offen offset:8
	buffer_load_dword v4, v4, s[0:3], 0 offen offset:12
	s_waitcnt vmcnt(0)
	ds_write2_b64 v245, v[1:2], v[3:4] offset0:122 offset1:123
	ds_read2_b64 v[233:236], v255 offset1:1
	s_waitcnt lgkmcnt(0)
	v_cmp_neq_f64_e32 vcc_lo, 0, v[233:234]
	v_cmp_neq_f64_e64 s5, 0, v[235:236]
	s_or_b32 s5, vcc_lo, s5
	s_and_b32 exec_lo, exec_lo, s5
	s_cbranch_execz .LBB123_660
; %bb.655:
	v_cmp_ngt_f64_e64 s5, |v[233:234]|, |v[235:236]|
                                        ; implicit-def: $vgpr1_vgpr2
	s_and_saveexec_b32 s7, s5
	s_xor_b32 s5, exec_lo, s7
                                        ; implicit-def: $vgpr3_vgpr4
	s_cbranch_execz .LBB123_657
; %bb.656:
	v_div_scale_f64 v[1:2], null, v[235:236], v[235:236], v[233:234]
	v_div_scale_f64 v[7:8], vcc_lo, v[233:234], v[235:236], v[233:234]
	v_rcp_f64_e32 v[3:4], v[1:2]
	v_fma_f64 v[5:6], -v[1:2], v[3:4], 1.0
	v_fma_f64 v[3:4], v[3:4], v[5:6], v[3:4]
	v_fma_f64 v[5:6], -v[1:2], v[3:4], 1.0
	v_fma_f64 v[3:4], v[3:4], v[5:6], v[3:4]
	v_mul_f64 v[5:6], v[7:8], v[3:4]
	v_fma_f64 v[1:2], -v[1:2], v[5:6], v[7:8]
	v_div_fmas_f64 v[1:2], v[1:2], v[3:4], v[5:6]
	v_div_fixup_f64 v[1:2], v[1:2], v[235:236], v[233:234]
	v_fma_f64 v[3:4], v[233:234], v[1:2], v[235:236]
	v_div_scale_f64 v[5:6], null, v[3:4], v[3:4], 1.0
	v_rcp_f64_e32 v[7:8], v[5:6]
	v_fma_f64 v[233:234], -v[5:6], v[7:8], 1.0
	v_fma_f64 v[7:8], v[7:8], v[233:234], v[7:8]
	v_fma_f64 v[233:234], -v[5:6], v[7:8], 1.0
	v_fma_f64 v[7:8], v[7:8], v[233:234], v[7:8]
	v_div_scale_f64 v[233:234], vcc_lo, 1.0, v[3:4], 1.0
	v_mul_f64 v[235:236], v[233:234], v[7:8]
	v_fma_f64 v[5:6], -v[5:6], v[235:236], v[233:234]
	v_div_fmas_f64 v[5:6], v[5:6], v[7:8], v[235:236]
                                        ; implicit-def: $vgpr233_vgpr234
	v_div_fixup_f64 v[3:4], v[5:6], v[3:4], 1.0
	v_mul_f64 v[1:2], v[1:2], v[3:4]
	v_xor_b32_e32 v4, 0x80000000, v4
.LBB123_657:
	s_andn2_saveexec_b32 s5, s5
	s_cbranch_execz .LBB123_659
; %bb.658:
	v_div_scale_f64 v[1:2], null, v[233:234], v[233:234], v[235:236]
	v_div_scale_f64 v[7:8], vcc_lo, v[235:236], v[233:234], v[235:236]
	v_rcp_f64_e32 v[3:4], v[1:2]
	v_fma_f64 v[5:6], -v[1:2], v[3:4], 1.0
	v_fma_f64 v[3:4], v[3:4], v[5:6], v[3:4]
	v_fma_f64 v[5:6], -v[1:2], v[3:4], 1.0
	v_fma_f64 v[3:4], v[3:4], v[5:6], v[3:4]
	v_mul_f64 v[5:6], v[7:8], v[3:4]
	v_fma_f64 v[1:2], -v[1:2], v[5:6], v[7:8]
	v_div_fmas_f64 v[1:2], v[1:2], v[3:4], v[5:6]
	v_div_fixup_f64 v[3:4], v[1:2], v[233:234], v[235:236]
	v_fma_f64 v[1:2], v[235:236], v[3:4], v[233:234]
	v_div_scale_f64 v[5:6], null, v[1:2], v[1:2], 1.0
	v_rcp_f64_e32 v[7:8], v[5:6]
	v_fma_f64 v[233:234], -v[5:6], v[7:8], 1.0
	v_fma_f64 v[7:8], v[7:8], v[233:234], v[7:8]
	v_fma_f64 v[233:234], -v[5:6], v[7:8], 1.0
	v_fma_f64 v[7:8], v[7:8], v[233:234], v[7:8]
	v_div_scale_f64 v[233:234], vcc_lo, 1.0, v[1:2], 1.0
	v_mul_f64 v[235:236], v[233:234], v[7:8]
	v_fma_f64 v[5:6], -v[5:6], v[235:236], v[233:234]
	v_div_fmas_f64 v[5:6], v[5:6], v[7:8], v[235:236]
	v_div_fixup_f64 v[1:2], v[5:6], v[1:2], 1.0
	v_mul_f64 v[3:4], v[3:4], -v[1:2]
.LBB123_659:
	s_or_b32 exec_lo, exec_lo, s5
	ds_write2_b64 v255, v[1:2], v[3:4] offset1:1
.LBB123_660:
	s_or_b32 exec_lo, exec_lo, s6
	s_waitcnt lgkmcnt(0)
	s_barrier
	buffer_gl0_inv
	ds_read2_b64 v[233:236], v255 offset1:1
	s_mov_b32 s5, exec_lo
	v_cmpx_lt_u32_e32 58, v0
	s_cbranch_execz .LBB123_662
; %bb.661:
	s_clause 0xf
	buffer_load_dword v1, off, s[0:3], 0 offset:928
	buffer_load_dword v2, off, s[0:3], 0 offset:932
	;; [unrolled: 1-line block ×16, first 2 shown]
	s_waitcnt vmcnt(12) lgkmcnt(0)
	v_mul_f64 v[246:247], v[235:236], v[3:4]
	v_mul_f64 v[3:4], v[233:234], v[3:4]
	v_fma_f64 v[246:247], v[233:234], v[1:2], -v[246:247]
	v_fma_f64 v[9:10], v[235:236], v[1:2], v[3:4]
	buffer_store_dword v246, off, s[0:3], 0 offset:928
	buffer_store_dword v247, off, s[0:3], 0 offset:932
	buffer_store_dword v9, off, s[0:3], 0 offset:936
	buffer_store_dword v10, off, s[0:3], 0 offset:940
	ds_read2_b64 v[1:4], v245 offset0:118 offset1:119
	s_waitcnt lgkmcnt(0)
	v_mul_f64 v[11:12], v[3:4], v[9:10]
	v_fma_f64 v[11:12], v[1:2], v[246:247], -v[11:12]
	v_mul_f64 v[1:2], v[1:2], v[9:10]
	v_fma_f64 v[1:2], v[3:4], v[246:247], v[1:2]
	s_waitcnt vmcnt(10)
	v_add_f64 v[3:4], v[5:6], -v[11:12]
	s_waitcnt vmcnt(8)
	v_add_f64 v[1:2], v[7:8], -v[1:2]
	buffer_store_dword v3, off, s[0:3], 0 offset:944
	buffer_store_dword v4, off, s[0:3], 0 offset:948
	buffer_store_dword v1, off, s[0:3], 0 offset:952
	buffer_store_dword v2, off, s[0:3], 0 offset:956
	ds_read2_b64 v[1:4], v245 offset0:120 offset1:121
	s_waitcnt lgkmcnt(0)
	v_mul_f64 v[5:6], v[3:4], v[9:10]
	v_fma_f64 v[5:6], v[1:2], v[246:247], -v[5:6]
	v_mul_f64 v[1:2], v[1:2], v[9:10]
	v_fma_f64 v[1:2], v[3:4], v[246:247], v[1:2]
	s_waitcnt vmcnt(6)
	v_add_f64 v[3:4], v[237:238], -v[5:6]
	s_waitcnt vmcnt(4)
	v_add_f64 v[1:2], v[239:240], -v[1:2]
	;; [unrolled: 14-line block ×3, first 2 shown]
	buffer_store_dword v4, off, s[0:3], 0 offset:980
	buffer_store_dword v3, off, s[0:3], 0 offset:976
	;; [unrolled: 1-line block ×4, first 2 shown]
.LBB123_662:
	s_or_b32 exec_lo, exec_lo, s5
	s_mov_b32 s6, exec_lo
	s_waitcnt lgkmcnt(0)
	s_waitcnt_vscnt null, 0x0
	s_barrier
	buffer_gl0_inv
	v_cmpx_eq_u32_e32 59, v0
	s_cbranch_execz .LBB123_669
; %bb.663:
	v_mov_b32_e32 v4, s15
	s_clause 0x3
	buffer_load_dword v1, v4, s[0:3], 0 offen
	buffer_load_dword v2, v4, s[0:3], 0 offen offset:4
	buffer_load_dword v3, v4, s[0:3], 0 offen offset:8
	;; [unrolled: 1-line block ×3, first 2 shown]
	s_waitcnt vmcnt(0)
	ds_write2_b64 v255, v[1:2], v[3:4] offset1:1
	v_mov_b32_e32 v4, s14
	s_clause 0x3
	buffer_load_dword v1, v4, s[0:3], 0 offen
	buffer_load_dword v2, v4, s[0:3], 0 offen offset:4
	buffer_load_dword v3, v4, s[0:3], 0 offen offset:8
	;; [unrolled: 1-line block ×3, first 2 shown]
	s_waitcnt vmcnt(0)
	ds_write2_b64 v245, v[1:2], v[3:4] offset0:120 offset1:121
	v_mov_b32_e32 v4, s12
	s_clause 0x3
	buffer_load_dword v1, v4, s[0:3], 0 offen
	buffer_load_dword v2, v4, s[0:3], 0 offen offset:4
	buffer_load_dword v3, v4, s[0:3], 0 offen offset:8
	;; [unrolled: 1-line block ×3, first 2 shown]
	s_waitcnt vmcnt(0)
	ds_write2_b64 v245, v[1:2], v[3:4] offset0:122 offset1:123
	ds_read2_b64 v[237:240], v255 offset1:1
	s_waitcnt lgkmcnt(0)
	v_cmp_neq_f64_e32 vcc_lo, 0, v[237:238]
	v_cmp_neq_f64_e64 s5, 0, v[239:240]
	s_or_b32 s5, vcc_lo, s5
	s_and_b32 exec_lo, exec_lo, s5
	s_cbranch_execz .LBB123_669
; %bb.664:
	v_cmp_ngt_f64_e64 s5, |v[237:238]|, |v[239:240]|
                                        ; implicit-def: $vgpr1_vgpr2
	s_and_saveexec_b32 s7, s5
	s_xor_b32 s5, exec_lo, s7
                                        ; implicit-def: $vgpr3_vgpr4
	s_cbranch_execz .LBB123_666
; %bb.665:
	v_div_scale_f64 v[1:2], null, v[239:240], v[239:240], v[237:238]
	v_div_scale_f64 v[7:8], vcc_lo, v[237:238], v[239:240], v[237:238]
	v_rcp_f64_e32 v[3:4], v[1:2]
	v_fma_f64 v[5:6], -v[1:2], v[3:4], 1.0
	v_fma_f64 v[3:4], v[3:4], v[5:6], v[3:4]
	v_fma_f64 v[5:6], -v[1:2], v[3:4], 1.0
	v_fma_f64 v[3:4], v[3:4], v[5:6], v[3:4]
	v_mul_f64 v[5:6], v[7:8], v[3:4]
	v_fma_f64 v[1:2], -v[1:2], v[5:6], v[7:8]
	v_div_fmas_f64 v[1:2], v[1:2], v[3:4], v[5:6]
	v_div_fixup_f64 v[1:2], v[1:2], v[239:240], v[237:238]
	v_fma_f64 v[3:4], v[237:238], v[1:2], v[239:240]
                                        ; implicit-def: $vgpr237_vgpr238
	v_div_scale_f64 v[5:6], null, v[3:4], v[3:4], 1.0
	v_rcp_f64_e32 v[7:8], v[5:6]
	v_fma_f64 v[9:10], -v[5:6], v[7:8], 1.0
	v_fma_f64 v[7:8], v[7:8], v[9:10], v[7:8]
	v_fma_f64 v[9:10], -v[5:6], v[7:8], 1.0
	v_fma_f64 v[7:8], v[7:8], v[9:10], v[7:8]
	v_div_scale_f64 v[9:10], vcc_lo, 1.0, v[3:4], 1.0
	v_mul_f64 v[11:12], v[9:10], v[7:8]
	v_fma_f64 v[5:6], -v[5:6], v[11:12], v[9:10]
	v_div_fmas_f64 v[5:6], v[5:6], v[7:8], v[11:12]
	v_div_fixup_f64 v[3:4], v[5:6], v[3:4], 1.0
	v_mul_f64 v[1:2], v[1:2], v[3:4]
	v_xor_b32_e32 v4, 0x80000000, v4
.LBB123_666:
	s_andn2_saveexec_b32 s5, s5
	s_cbranch_execz .LBB123_668
; %bb.667:
	v_div_scale_f64 v[1:2], null, v[237:238], v[237:238], v[239:240]
	v_div_scale_f64 v[7:8], vcc_lo, v[239:240], v[237:238], v[239:240]
	v_rcp_f64_e32 v[3:4], v[1:2]
	v_fma_f64 v[5:6], -v[1:2], v[3:4], 1.0
	v_fma_f64 v[3:4], v[3:4], v[5:6], v[3:4]
	v_fma_f64 v[5:6], -v[1:2], v[3:4], 1.0
	v_fma_f64 v[3:4], v[3:4], v[5:6], v[3:4]
	v_mul_f64 v[5:6], v[7:8], v[3:4]
	v_fma_f64 v[1:2], -v[1:2], v[5:6], v[7:8]
	v_div_fmas_f64 v[1:2], v[1:2], v[3:4], v[5:6]
	v_div_fixup_f64 v[3:4], v[1:2], v[237:238], v[239:240]
	v_fma_f64 v[1:2], v[239:240], v[3:4], v[237:238]
	v_div_scale_f64 v[5:6], null, v[1:2], v[1:2], 1.0
	v_rcp_f64_e32 v[7:8], v[5:6]
	v_fma_f64 v[9:10], -v[5:6], v[7:8], 1.0
	v_fma_f64 v[7:8], v[7:8], v[9:10], v[7:8]
	v_fma_f64 v[9:10], -v[5:6], v[7:8], 1.0
	v_fma_f64 v[7:8], v[7:8], v[9:10], v[7:8]
	v_div_scale_f64 v[9:10], vcc_lo, 1.0, v[1:2], 1.0
	v_mul_f64 v[11:12], v[9:10], v[7:8]
	v_fma_f64 v[5:6], -v[5:6], v[11:12], v[9:10]
	v_div_fmas_f64 v[5:6], v[5:6], v[7:8], v[11:12]
	v_div_fixup_f64 v[1:2], v[5:6], v[1:2], 1.0
	v_mul_f64 v[3:4], v[3:4], -v[1:2]
.LBB123_668:
	s_or_b32 exec_lo, exec_lo, s5
	ds_write2_b64 v255, v[1:2], v[3:4] offset1:1
.LBB123_669:
	s_or_b32 exec_lo, exec_lo, s6
	s_waitcnt lgkmcnt(0)
	s_barrier
	buffer_gl0_inv
	ds_read2_b64 v[237:240], v255 offset1:1
	s_mov_b32 s5, exec_lo
	v_cmpx_lt_u32_e32 59, v0
	s_cbranch_execz .LBB123_671
; %bb.670:
	s_clause 0xb
	buffer_load_dword v1, off, s[0:3], 0 offset:944
	buffer_load_dword v2, off, s[0:3], 0 offset:948
	;; [unrolled: 1-line block ×12, first 2 shown]
	s_waitcnt vmcnt(8) lgkmcnt(0)
	v_mul_f64 v[241:242], v[239:240], v[3:4]
	v_mul_f64 v[3:4], v[237:238], v[3:4]
	v_fma_f64 v[241:242], v[237:238], v[1:2], -v[241:242]
	v_fma_f64 v[243:244], v[239:240], v[1:2], v[3:4]
	buffer_store_dword v241, off, s[0:3], 0 offset:944
	buffer_store_dword v242, off, s[0:3], 0 offset:948
	;; [unrolled: 1-line block ×4, first 2 shown]
	ds_read2_b64 v[1:4], v245 offset0:120 offset1:121
	s_waitcnt lgkmcnt(0)
	v_mul_f64 v[246:247], v[3:4], v[243:244]
	v_fma_f64 v[246:247], v[1:2], v[241:242], -v[246:247]
	v_mul_f64 v[1:2], v[1:2], v[243:244]
	v_fma_f64 v[1:2], v[3:4], v[241:242], v[1:2]
	s_waitcnt vmcnt(6)
	v_add_f64 v[3:4], v[5:6], -v[246:247]
	s_waitcnt vmcnt(4)
	v_add_f64 v[1:2], v[7:8], -v[1:2]
	buffer_store_dword v3, off, s[0:3], 0 offset:960
	buffer_store_dword v4, off, s[0:3], 0 offset:964
	;; [unrolled: 1-line block ×4, first 2 shown]
	ds_read2_b64 v[1:4], v245 offset0:122 offset1:123
	s_waitcnt lgkmcnt(0)
	v_mul_f64 v[5:6], v[3:4], v[243:244]
	v_fma_f64 v[5:6], v[1:2], v[241:242], -v[5:6]
	v_mul_f64 v[1:2], v[1:2], v[243:244]
	v_fma_f64 v[1:2], v[3:4], v[241:242], v[1:2]
	s_waitcnt vmcnt(2)
	v_add_f64 v[3:4], v[9:10], -v[5:6]
	s_waitcnt vmcnt(0)
	v_add_f64 v[1:2], v[11:12], -v[1:2]
	buffer_store_dword v3, off, s[0:3], 0 offset:976
	buffer_store_dword v4, off, s[0:3], 0 offset:980
	;; [unrolled: 1-line block ×4, first 2 shown]
.LBB123_671:
	s_or_b32 exec_lo, exec_lo, s5
	s_mov_b32 s6, exec_lo
	s_waitcnt lgkmcnt(0)
	s_waitcnt_vscnt null, 0x0
	s_barrier
	buffer_gl0_inv
	v_cmpx_eq_u32_e32 60, v0
	s_cbranch_execz .LBB123_678
; %bb.672:
	v_mov_b32_e32 v4, s14
	s_clause 0x3
	buffer_load_dword v1, v4, s[0:3], 0 offen
	buffer_load_dword v2, v4, s[0:3], 0 offen offset:4
	buffer_load_dword v3, v4, s[0:3], 0 offen offset:8
	;; [unrolled: 1-line block ×3, first 2 shown]
	s_waitcnt vmcnt(0)
	ds_write2_b64 v255, v[1:2], v[3:4] offset1:1
	v_mov_b32_e32 v4, s12
	s_clause 0x3
	buffer_load_dword v1, v4, s[0:3], 0 offen
	buffer_load_dword v2, v4, s[0:3], 0 offen offset:4
	buffer_load_dword v3, v4, s[0:3], 0 offen offset:8
	;; [unrolled: 1-line block ×3, first 2 shown]
	s_waitcnt vmcnt(0)
	ds_write2_b64 v245, v[1:2], v[3:4] offset0:122 offset1:123
	ds_read2_b64 v[241:244], v255 offset1:1
	s_waitcnt lgkmcnt(0)
	v_cmp_neq_f64_e32 vcc_lo, 0, v[241:242]
	v_cmp_neq_f64_e64 s5, 0, v[243:244]
	s_or_b32 s5, vcc_lo, s5
	s_and_b32 exec_lo, exec_lo, s5
	s_cbranch_execz .LBB123_678
; %bb.673:
	v_cmp_ngt_f64_e64 s5, |v[241:242]|, |v[243:244]|
                                        ; implicit-def: $vgpr1_vgpr2
	s_and_saveexec_b32 s7, s5
	s_xor_b32 s5, exec_lo, s7
                                        ; implicit-def: $vgpr3_vgpr4
	s_cbranch_execz .LBB123_675
; %bb.674:
	v_div_scale_f64 v[1:2], null, v[243:244], v[243:244], v[241:242]
	v_div_scale_f64 v[7:8], vcc_lo, v[241:242], v[243:244], v[241:242]
	v_rcp_f64_e32 v[3:4], v[1:2]
	v_fma_f64 v[5:6], -v[1:2], v[3:4], 1.0
	v_fma_f64 v[3:4], v[3:4], v[5:6], v[3:4]
	v_fma_f64 v[5:6], -v[1:2], v[3:4], 1.0
	v_fma_f64 v[3:4], v[3:4], v[5:6], v[3:4]
	v_mul_f64 v[5:6], v[7:8], v[3:4]
	v_fma_f64 v[1:2], -v[1:2], v[5:6], v[7:8]
	v_div_fmas_f64 v[1:2], v[1:2], v[3:4], v[5:6]
	v_div_fixup_f64 v[1:2], v[1:2], v[243:244], v[241:242]
	v_fma_f64 v[3:4], v[241:242], v[1:2], v[243:244]
                                        ; implicit-def: $vgpr241_vgpr242
	v_div_scale_f64 v[5:6], null, v[3:4], v[3:4], 1.0
	v_rcp_f64_e32 v[7:8], v[5:6]
	v_fma_f64 v[9:10], -v[5:6], v[7:8], 1.0
	v_fma_f64 v[7:8], v[7:8], v[9:10], v[7:8]
	v_fma_f64 v[9:10], -v[5:6], v[7:8], 1.0
	v_fma_f64 v[7:8], v[7:8], v[9:10], v[7:8]
	v_div_scale_f64 v[9:10], vcc_lo, 1.0, v[3:4], 1.0
	v_mul_f64 v[11:12], v[9:10], v[7:8]
	v_fma_f64 v[5:6], -v[5:6], v[11:12], v[9:10]
	v_div_fmas_f64 v[5:6], v[5:6], v[7:8], v[11:12]
	v_div_fixup_f64 v[3:4], v[5:6], v[3:4], 1.0
	v_mul_f64 v[1:2], v[1:2], v[3:4]
	v_xor_b32_e32 v4, 0x80000000, v4
.LBB123_675:
	s_andn2_saveexec_b32 s5, s5
	s_cbranch_execz .LBB123_677
; %bb.676:
	v_div_scale_f64 v[1:2], null, v[241:242], v[241:242], v[243:244]
	v_div_scale_f64 v[7:8], vcc_lo, v[243:244], v[241:242], v[243:244]
	v_rcp_f64_e32 v[3:4], v[1:2]
	v_fma_f64 v[5:6], -v[1:2], v[3:4], 1.0
	v_fma_f64 v[3:4], v[3:4], v[5:6], v[3:4]
	v_fma_f64 v[5:6], -v[1:2], v[3:4], 1.0
	v_fma_f64 v[3:4], v[3:4], v[5:6], v[3:4]
	v_mul_f64 v[5:6], v[7:8], v[3:4]
	v_fma_f64 v[1:2], -v[1:2], v[5:6], v[7:8]
	v_div_fmas_f64 v[1:2], v[1:2], v[3:4], v[5:6]
	v_div_fixup_f64 v[3:4], v[1:2], v[241:242], v[243:244]
	v_fma_f64 v[1:2], v[243:244], v[3:4], v[241:242]
	v_div_scale_f64 v[5:6], null, v[1:2], v[1:2], 1.0
	v_rcp_f64_e32 v[7:8], v[5:6]
	v_fma_f64 v[9:10], -v[5:6], v[7:8], 1.0
	v_fma_f64 v[7:8], v[7:8], v[9:10], v[7:8]
	v_fma_f64 v[9:10], -v[5:6], v[7:8], 1.0
	v_fma_f64 v[7:8], v[7:8], v[9:10], v[7:8]
	v_div_scale_f64 v[9:10], vcc_lo, 1.0, v[1:2], 1.0
	v_mul_f64 v[11:12], v[9:10], v[7:8]
	v_fma_f64 v[5:6], -v[5:6], v[11:12], v[9:10]
	v_div_fmas_f64 v[5:6], v[5:6], v[7:8], v[11:12]
	v_div_fixup_f64 v[1:2], v[5:6], v[1:2], 1.0
	v_mul_f64 v[3:4], v[3:4], -v[1:2]
.LBB123_677:
	s_or_b32 exec_lo, exec_lo, s5
	ds_write2_b64 v255, v[1:2], v[3:4] offset1:1
.LBB123_678:
	s_or_b32 exec_lo, exec_lo, s6
	s_waitcnt lgkmcnt(0)
	s_barrier
	buffer_gl0_inv
	ds_read2_b64 v[241:244], v255 offset1:1
	s_mov_b32 s5, exec_lo
	v_cmpx_lt_u32_e32 60, v0
	s_cbranch_execz .LBB123_680
; %bb.679:
	s_clause 0x7
	buffer_load_dword v1, off, s[0:3], 0 offset:960
	buffer_load_dword v2, off, s[0:3], 0 offset:964
	;; [unrolled: 1-line block ×8, first 2 shown]
	s_waitcnt vmcnt(4) lgkmcnt(0)
	v_mul_f64 v[9:10], v[243:244], v[3:4]
	v_mul_f64 v[3:4], v[241:242], v[3:4]
	v_fma_f64 v[9:10], v[241:242], v[1:2], -v[9:10]
	v_fma_f64 v[11:12], v[243:244], v[1:2], v[3:4]
	buffer_store_dword v9, off, s[0:3], 0 offset:960
	buffer_store_dword v10, off, s[0:3], 0 offset:964
	buffer_store_dword v11, off, s[0:3], 0 offset:968
	buffer_store_dword v12, off, s[0:3], 0 offset:972
	ds_read2_b64 v[1:4], v245 offset0:122 offset1:123
	s_waitcnt lgkmcnt(0)
	v_mul_f64 v[245:246], v[3:4], v[11:12]
	v_fma_f64 v[245:246], v[1:2], v[9:10], -v[245:246]
	v_mul_f64 v[1:2], v[1:2], v[11:12]
	v_fma_f64 v[1:2], v[3:4], v[9:10], v[1:2]
	s_waitcnt vmcnt(2)
	v_add_f64 v[3:4], v[5:6], -v[245:246]
	s_waitcnt vmcnt(0)
	v_add_f64 v[1:2], v[7:8], -v[1:2]
	buffer_store_dword v3, off, s[0:3], 0 offset:976
	buffer_store_dword v4, off, s[0:3], 0 offset:980
	;; [unrolled: 1-line block ×4, first 2 shown]
.LBB123_680:
	s_or_b32 exec_lo, exec_lo, s5
	s_mov_b32 s6, exec_lo
	s_waitcnt lgkmcnt(0)
	s_waitcnt_vscnt null, 0x0
	s_barrier
	buffer_gl0_inv
	v_cmpx_eq_u32_e32 61, v0
	s_cbranch_execz .LBB123_687
; %bb.681:
	v_mov_b32_e32 v1, s12
	s_clause 0x3
	buffer_load_dword v245, v1, s[0:3], 0 offen
	buffer_load_dword v246, v1, s[0:3], 0 offen offset:4
	buffer_load_dword v247, v1, s[0:3], 0 offen offset:8
	;; [unrolled: 1-line block ×3, first 2 shown]
	s_waitcnt vmcnt(2)
	v_cmp_neq_f64_e32 vcc_lo, 0, v[245:246]
	s_waitcnt vmcnt(0)
	v_cmp_neq_f64_e64 s5, 0, v[247:248]
	ds_write2_b64 v255, v[245:246], v[247:248] offset1:1
	s_or_b32 s5, vcc_lo, s5
	s_and_b32 exec_lo, exec_lo, s5
	s_cbranch_execz .LBB123_687
; %bb.682:
	v_cmp_ngt_f64_e64 s5, |v[245:246]|, |v[247:248]|
                                        ; implicit-def: $vgpr1_vgpr2
	s_and_saveexec_b32 s7, s5
	s_xor_b32 s5, exec_lo, s7
                                        ; implicit-def: $vgpr3_vgpr4
	s_cbranch_execz .LBB123_684
; %bb.683:
	v_div_scale_f64 v[1:2], null, v[247:248], v[247:248], v[245:246]
	v_div_scale_f64 v[7:8], vcc_lo, v[245:246], v[247:248], v[245:246]
	v_rcp_f64_e32 v[3:4], v[1:2]
	v_fma_f64 v[5:6], -v[1:2], v[3:4], 1.0
	v_fma_f64 v[3:4], v[3:4], v[5:6], v[3:4]
	v_fma_f64 v[5:6], -v[1:2], v[3:4], 1.0
	v_fma_f64 v[3:4], v[3:4], v[5:6], v[3:4]
	v_mul_f64 v[5:6], v[7:8], v[3:4]
	v_fma_f64 v[1:2], -v[1:2], v[5:6], v[7:8]
	v_div_fmas_f64 v[1:2], v[1:2], v[3:4], v[5:6]
	v_div_fixup_f64 v[1:2], v[1:2], v[247:248], v[245:246]
	v_fma_f64 v[3:4], v[245:246], v[1:2], v[247:248]
                                        ; implicit-def: $vgpr245_vgpr246
                                        ; implicit-def: $vgpr247_vgpr248
	v_div_scale_f64 v[5:6], null, v[3:4], v[3:4], 1.0
	v_rcp_f64_e32 v[7:8], v[5:6]
	v_fma_f64 v[9:10], -v[5:6], v[7:8], 1.0
	v_fma_f64 v[7:8], v[7:8], v[9:10], v[7:8]
	v_fma_f64 v[9:10], -v[5:6], v[7:8], 1.0
	v_fma_f64 v[7:8], v[7:8], v[9:10], v[7:8]
	v_div_scale_f64 v[9:10], vcc_lo, 1.0, v[3:4], 1.0
	v_mul_f64 v[11:12], v[9:10], v[7:8]
	v_fma_f64 v[5:6], -v[5:6], v[11:12], v[9:10]
	v_div_fmas_f64 v[5:6], v[5:6], v[7:8], v[11:12]
	v_div_fixup_f64 v[3:4], v[5:6], v[3:4], 1.0
	v_mul_f64 v[1:2], v[1:2], v[3:4]
	v_xor_b32_e32 v4, 0x80000000, v4
.LBB123_684:
	s_andn2_saveexec_b32 s5, s5
	s_cbranch_execz .LBB123_686
; %bb.685:
	v_div_scale_f64 v[1:2], null, v[245:246], v[245:246], v[247:248]
	v_div_scale_f64 v[7:8], vcc_lo, v[247:248], v[245:246], v[247:248]
	v_rcp_f64_e32 v[3:4], v[1:2]
	v_fma_f64 v[5:6], -v[1:2], v[3:4], 1.0
	v_fma_f64 v[3:4], v[3:4], v[5:6], v[3:4]
	v_fma_f64 v[5:6], -v[1:2], v[3:4], 1.0
	v_fma_f64 v[3:4], v[3:4], v[5:6], v[3:4]
	v_mul_f64 v[5:6], v[7:8], v[3:4]
	v_fma_f64 v[1:2], -v[1:2], v[5:6], v[7:8]
	v_div_fmas_f64 v[1:2], v[1:2], v[3:4], v[5:6]
	v_div_fixup_f64 v[3:4], v[1:2], v[245:246], v[247:248]
	v_fma_f64 v[1:2], v[247:248], v[3:4], v[245:246]
	v_div_scale_f64 v[5:6], null, v[1:2], v[1:2], 1.0
	v_rcp_f64_e32 v[7:8], v[5:6]
	v_fma_f64 v[9:10], -v[5:6], v[7:8], 1.0
	v_fma_f64 v[7:8], v[7:8], v[9:10], v[7:8]
	v_fma_f64 v[9:10], -v[5:6], v[7:8], 1.0
	v_fma_f64 v[7:8], v[7:8], v[9:10], v[7:8]
	v_div_scale_f64 v[9:10], vcc_lo, 1.0, v[1:2], 1.0
	v_mul_f64 v[11:12], v[9:10], v[7:8]
	v_fma_f64 v[5:6], -v[5:6], v[11:12], v[9:10]
	v_div_fmas_f64 v[5:6], v[5:6], v[7:8], v[11:12]
	v_div_fixup_f64 v[1:2], v[5:6], v[1:2], 1.0
	v_mul_f64 v[3:4], v[3:4], -v[1:2]
.LBB123_686:
	s_or_b32 exec_lo, exec_lo, s5
	ds_write2_b64 v255, v[1:2], v[3:4] offset1:1
.LBB123_687:
	s_or_b32 exec_lo, exec_lo, s6
	s_waitcnt lgkmcnt(0)
	s_barrier
	buffer_gl0_inv
	ds_read2_b64 v[245:248], v255 offset1:1
	s_mov_b32 s5, exec_lo
	v_cmpx_lt_u32_e32 61, v0
	s_cbranch_execz .LBB123_689
; %bb.688:
	s_clause 0x3
	buffer_load_dword v0, off, s[0:3], 0 offset:984
	buffer_load_dword v1, off, s[0:3], 0 offset:988
	;; [unrolled: 1-line block ×4, first 2 shown]
	s_waitcnt vmcnt(2) lgkmcnt(0)
	v_mul_f64 v[4:5], v[247:248], v[0:1]
	v_mul_f64 v[0:1], v[245:246], v[0:1]
	s_waitcnt vmcnt(0)
	v_fma_f64 v[4:5], v[245:246], v[2:3], -v[4:5]
	v_fma_f64 v[0:1], v[247:248], v[2:3], v[0:1]
	buffer_store_dword v4, off, s[0:3], 0 offset:976
	buffer_store_dword v5, off, s[0:3], 0 offset:980
	buffer_store_dword v0, off, s[0:3], 0 offset:984
	buffer_store_dword v1, off, s[0:3], 0 offset:988
.LBB123_689:
	s_or_b32 exec_lo, exec_lo, s5
	s_waitcnt lgkmcnt(0)
	s_waitcnt_vscnt null, 0x0
	s_barrier
	buffer_gl0_inv
	s_and_saveexec_b32 s75, s4
	s_cbranch_execz .LBB123_692
; %bb.690:
	s_clause 0x3
	buffer_load_dword v0, off, s[0:3], 0 offset:1472
	buffer_load_dword v1, off, s[0:3], 0 offset:1476
	;; [unrolled: 1-line block ×4, first 2 shown]
	v_cmp_eq_f64_e64 s9, 0, v[13:14]
	s_waitcnt vmcnt(2)
	v_cmp_eq_f64_e32 vcc_lo, 0, v[0:1]
	s_waitcnt vmcnt(0)
	v_cmp_eq_f64_e64 s4, 0, v[2:3]
	s_clause 0x3
	buffer_load_dword v0, off, s[0:3], 0 offset:1488
	buffer_load_dword v1, off, s[0:3], 0 offset:1492
	;; [unrolled: 1-line block ×4, first 2 shown]
	s_and_b32 s4, vcc_lo, s4
	v_cmp_eq_f64_e32 vcc_lo, 0, v[15:16]
	s_and_b32 s9, s9, vcc_lo
	s_waitcnt vmcnt(2)
	v_cmp_neq_f64_e64 s5, 0, v[0:1]
	s_waitcnt vmcnt(0)
	v_cmp_neq_f64_e64 s6, 0, v[2:3]
	s_clause 0x3
	buffer_load_dword v0, off, s[0:3], 0 offset:1504
	buffer_load_dword v1, off, s[0:3], 0 offset:1508
	;; [unrolled: 1-line block ×4, first 2 shown]
	s_or_b32 s5, s5, s6
	v_cmp_eq_f64_e64 s6, 0, v[19:20]
	s_waitcnt vmcnt(2)
	v_cmp_eq_f64_e64 s7, 0, v[0:1]
	v_cndmask_b32_e64 v0, 0, 1, s4
	s_waitcnt vmcnt(0)
	v_cmp_eq_f64_e64 s8, 0, v[2:3]
	s_or_b32 s4, s5, s4
	v_cmp_eq_f64_e64 s5, 0, v[17:18]
	v_cndmask_b32_e64 v0, 2, v0, s4
	v_cmp_eq_u32_e64 s4, 0, v0
	s_and_b32 s7, s7, s8
	v_cmp_eq_f64_e64 s8, 0, v[23:24]
	s_and_b32 s4, s7, s4
	v_cmp_eq_f64_e64 s7, 0, v[21:22]
	v_cndmask_b32_e64 v0, v0, 3, s4
	s_and_b32 s5, s5, s6
	v_cmp_eq_f64_e64 s6, 0, v[31:32]
	v_cmp_eq_u32_e64 s4, 0, v0
	s_and_b32 s4, s9, s4
	v_cmp_eq_f64_e64 s9, 0, v[27:28]
	v_cndmask_b32_e64 v0, v0, 4, s4
	v_cmp_eq_f64_e64 s4, 0, v[25:26]
	v_cmp_eq_u32_e32 vcc_lo, 0, v0
	s_and_b32 s7, s7, s8
	s_and_b32 s5, s5, vcc_lo
	v_cmp_eq_f64_e64 s8, 0, v[35:36]
	v_cndmask_b32_e64 v0, v0, 5, s5
	v_cmp_eq_f64_e64 s5, 0, v[29:30]
	v_cmp_eq_u32_e32 vcc_lo, 0, v0
	s_and_b32 s7, s7, vcc_lo
	s_and_b32 s4, s4, s9
	v_cndmask_b32_e64 v0, v0, 6, s7
	v_cmp_eq_f64_e64 s7, 0, v[33:34]
	v_cmp_eq_f64_e64 s9, 0, v[39:40]
	v_cmp_eq_u32_e32 vcc_lo, 0, v0
	s_and_b32 s4, s4, vcc_lo
	s_and_b32 s5, s5, s6
	v_cndmask_b32_e64 v0, v0, 7, s4
	v_cmp_eq_f64_e64 s4, 0, v[37:38]
	;; [unrolled: 6-line block ×25, first 2 shown]
	v_cmp_eq_u32_e32 vcc_lo, 0, v0
	s_and_b32 s4, s4, vcc_lo
	s_and_b32 s5, s5, s6
	v_cndmask_b32_e64 v0, v0, 31, s4
	v_cmp_eq_f64_e32 vcc_lo, 0, v[133:134]
	v_cmp_eq_f64_e64 s4, 0, v[135:136]
	v_cmp_eq_f64_e64 s6, 0, v[139:140]
	v_cmp_eq_u32_e64 s9, 0, v0
	s_and_b32 s5, s5, s9
	s_and_b32 s9, s7, s8
	v_cndmask_b32_e64 v2, v0, 32, s5
	v_cmp_eq_f64_e64 s5, 0, v[137:138]
	v_lshlrev_b64 v[0:1], 2, v[249:250]
	v_cmp_eq_u32_e64 s7, 0, v2
	v_add_co_u32 v0, s8, s10, v0
	s_and_b32 s7, s9, s7
	v_add_co_ci_u32_e64 v1, null, s11, v1, s8
	v_cndmask_b32_e64 v2, v2, 33, s7
	s_and_b32 s4, vcc_lo, s4
	v_cmp_eq_f64_e64 s8, 0, v[141:142]
	v_cmp_eq_f64_e64 s9, 0, v[143:144]
	global_load_dword v3, v[0:1], off
	v_cmp_eq_u32_e64 s7, 0, v2
	s_and_b32 s4, s4, s7
	s_and_b32 s5, s5, s6
	v_cndmask_b32_e64 v2, v2, 34, s4
	v_cmp_eq_f64_e64 s4, 0, v[145:146]
	v_cmp_eq_f64_e64 s7, 0, v[147:148]
	;; [unrolled: 1-line block ×3, first 2 shown]
	v_cmp_eq_u32_e32 vcc_lo, 0, v2
	s_and_b32 s5, s5, vcc_lo
	v_cndmask_b32_e64 v2, v2, 35, s5
	s_and_b32 s8, s8, s9
	v_cmp_eq_f64_e64 s5, 0, v[149:150]
	v_cmp_eq_f64_e64 s9, 0, v[155:156]
	v_cmp_eq_u32_e32 vcc_lo, 0, v2
	s_and_b32 s8, s8, vcc_lo
	v_cndmask_b32_e64 v2, v2, 36, s8
	s_and_b32 s4, s4, s7
	v_cmp_eq_f64_e64 s8, 0, v[153:154]
	v_cmp_eq_f64_e64 s7, 0, v[159:160]
	;; [unrolled: 6-line block ×24, first 2 shown]
	v_cmp_eq_u32_e32 vcc_lo, 0, v2
	s_and_b32 s5, s5, vcc_lo
	v_cndmask_b32_e64 v2, v2, 59, s5
	s_and_b32 s8, s8, s9
	v_cmp_eq_f64_e64 s5, 0, v[245:246]
	v_cmp_eq_u32_e32 vcc_lo, 0, v2
	s_and_b32 s8, s8, vcc_lo
	v_cndmask_b32_e64 v2, v2, 60, s8
	s_and_b32 s4, s4, s7
	v_cmp_eq_u32_e32 vcc_lo, 0, v2
	s_and_b32 s4, s4, vcc_lo
	v_cndmask_b32_e64 v2, v2, 61, s4
	s_and_b32 s4, s5, s6
	v_cmp_eq_u32_e32 vcc_lo, 0, v2
	s_and_b32 s4, s4, vcc_lo
	s_waitcnt vmcnt(0)
	v_cmp_eq_u32_e32 vcc_lo, 0, v3
	v_cndmask_b32_e64 v2, v2, 62, s4
	v_cmp_ne_u32_e64 s4, 0, v2
	s_and_b32 s4, vcc_lo, s4
	s_and_b32 exec_lo, exec_lo, s4
	s_cbranch_execz .LBB123_692
; %bb.691:
	v_add_nc_u32_e32 v2, s13, v2
	global_store_dword v[0:1], v2, off
.LBB123_692:
	s_or_b32 exec_lo, exec_lo, s75
	s_clause 0x3
	buffer_load_dword v0, off, s[0:3], 0
	buffer_load_dword v1, off, s[0:3], 0 offset:4
	buffer_load_dword v2, off, s[0:3], 0 offset:8
	;; [unrolled: 1-line block ×3, first 2 shown]
	v_mov_b32_e32 v7, s74
	v_mov_b32_e32 v11, s73
	v_mov_b32_e32 v15, s72
	v_mov_b32_e32 v19, s71
	v_mov_b32_e32 v23, s70
	v_mov_b32_e32 v27, s69
	v_mov_b32_e32 v31, s68
	v_mov_b32_e32 v35, s67
	v_mov_b32_e32 v36, s66
	s_clause 0x23
	buffer_load_dword v4, v7, s[0:3], 0 offen
	buffer_load_dword v5, v7, s[0:3], 0 offen offset:4
	buffer_load_dword v6, v7, s[0:3], 0 offen offset:8
	buffer_load_dword v7, v7, s[0:3], 0 offen offset:12
	buffer_load_dword v8, v11, s[0:3], 0 offen
	buffer_load_dword v9, v11, s[0:3], 0 offen offset:4
	buffer_load_dword v10, v11, s[0:3], 0 offen offset:8
	buffer_load_dword v11, v11, s[0:3], 0 offen offset:12
	;; [unrolled: 4-line block ×9, first 2 shown]
	v_mov_b32_e32 v36, s65
	s_clause 0x3
	buffer_load_dword v44, v36, s[0:3], 0 offen
	buffer_load_dword v45, v36, s[0:3], 0 offen offset:4
	buffer_load_dword v46, v36, s[0:3], 0 offen offset:8
	buffer_load_dword v47, v36, s[0:3], 0 offen offset:12
	v_mov_b32_e32 v36, s64
	s_clause 0x3
	buffer_load_dword v48, v36, s[0:3], 0 offen
	buffer_load_dword v49, v36, s[0:3], 0 offen offset:4
	buffer_load_dword v50, v36, s[0:3], 0 offen offset:8
	buffer_load_dword v51, v36, s[0:3], 0 offen offset:12
	;; [unrolled: 6-line block ×8, first 2 shown]
	v_mov_b32_e32 v36, s57
	v_mov_b32_e32 v39, s56
	;; [unrolled: 1-line block ×5, first 2 shown]
	s_clause 0x7
	buffer_load_dword v76, v36, s[0:3], 0 offen
	buffer_load_dword v77, v36, s[0:3], 0 offen offset:4
	buffer_load_dword v78, v36, s[0:3], 0 offen offset:8
	;; [unrolled: 1-line block ×3, first 2 shown]
	buffer_load_dword v36, v39, s[0:3], 0 offen
	buffer_load_dword v37, v39, s[0:3], 0 offen offset:4
	buffer_load_dword v38, v39, s[0:3], 0 offen offset:8
	;; [unrolled: 1-line block ×3, first 2 shown]
	v_mov_b32_e32 v91, s52
	s_clause 0x7
	buffer_load_dword v80, v83, s[0:3], 0 offen
	buffer_load_dword v81, v83, s[0:3], 0 offen offset:4
	buffer_load_dword v82, v83, s[0:3], 0 offen offset:8
	;; [unrolled: 1-line block ×3, first 2 shown]
	buffer_load_dword v84, v87, s[0:3], 0 offen
	buffer_load_dword v85, v87, s[0:3], 0 offen offset:4
	buffer_load_dword v86, v87, s[0:3], 0 offen offset:8
	;; [unrolled: 1-line block ×3, first 2 shown]
	v_mov_b32_e32 v92, s51
	v_mov_b32_e32 v95, s50
	;; [unrolled: 1-line block ×38, first 2 shown]
	s_waitcnt vmcnt(62)
	global_store_dwordx4 v[251:252], v[0:3], off
	s_clause 0x9
	buffer_load_dword v0, v88, s[0:3], 0 offen
	buffer_load_dword v1, v88, s[0:3], 0 offen offset:4
	buffer_load_dword v2, v88, s[0:3], 0 offen offset:8
	buffer_load_dword v3, v88, s[0:3], 0 offen offset:12
	buffer_load_dword v88, v91, s[0:3], 0 offen
	buffer_load_dword v89, v91, s[0:3], 0 offen offset:4
	buffer_load_dword v90, v91, s[0:3], 0 offen offset:8
	buffer_load_dword v91, v91, s[0:3], 0 offen offset:12
	buffer_load_dword v93, off, s[0:3], 0 offset:1032
	buffer_load_dword v94, off, s[0:3], 0 offset:1036
	s_waitcnt vmcnt(0)
	global_store_dwordx4 v[93:94], v[4:7], off
	s_clause 0x9
	buffer_load_dword v4, v92, s[0:3], 0 offen
	buffer_load_dword v5, v92, s[0:3], 0 offen offset:4
	buffer_load_dword v6, v92, s[0:3], 0 offen offset:8
	buffer_load_dword v7, v92, s[0:3], 0 offen offset:12
	buffer_load_dword v92, v95, s[0:3], 0 offen
	buffer_load_dword v93, v95, s[0:3], 0 offen offset:4
	buffer_load_dword v94, v95, s[0:3], 0 offen offset:8
	buffer_load_dword v95, v95, s[0:3], 0 offen offset:12
	buffer_load_dword v97, off, s[0:3], 0 offset:1016
	buffer_load_dword v98, off, s[0:3], 0 offset:1020
	;; [unrolled: 13-line block ×20, first 2 shown]
	s_waitcnt vmcnt(0)
	global_store_dwordx4 v[168:169], v[80:83], off
	s_clause 0x1
	buffer_load_dword v80, off, s[0:3], 0 offset:1152
	buffer_load_dword v81, off, s[0:3], 0 offset:1156
	s_waitcnt vmcnt(0)
	global_store_dwordx4 v[80:81], v[84:87], off
	s_clause 0x1
	buffer_load_dword v80, off, s[0:3], 0 offset:1160
	buffer_load_dword v81, off, s[0:3], 0 offset:1164
	s_waitcnt vmcnt(0)
	global_store_dwordx4 v[80:81], v[0:3], off
	s_clause 0x1
	buffer_load_dword v0, off, s[0:3], 0 offset:1168
	buffer_load_dword v1, off, s[0:3], 0 offset:1172
	s_waitcnt vmcnt(0)
	global_store_dwordx4 v[0:1], v[88:91], off
	s_clause 0x1
	buffer_load_dword v0, off, s[0:3], 0 offset:1176
	buffer_load_dword v1, off, s[0:3], 0 offset:1180
	s_waitcnt vmcnt(0)
	global_store_dwordx4 v[0:1], v[4:7], off
	s_clause 0x1
	buffer_load_dword v0, off, s[0:3], 0 offset:1184
	buffer_load_dword v1, off, s[0:3], 0 offset:1188
	s_waitcnt vmcnt(0)
	global_store_dwordx4 v[0:1], v[92:95], off
	s_clause 0x1
	buffer_load_dword v0, off, s[0:3], 0 offset:1192
	buffer_load_dword v1, off, s[0:3], 0 offset:1196
	s_waitcnt vmcnt(0)
	global_store_dwordx4 v[0:1], v[8:11], off
	s_clause 0x1
	buffer_load_dword v0, off, s[0:3], 0 offset:1200
	buffer_load_dword v1, off, s[0:3], 0 offset:1204
	s_waitcnt vmcnt(0)
	global_store_dwordx4 v[0:1], v[96:99], off
	s_clause 0x1
	buffer_load_dword v0, off, s[0:3], 0 offset:1208
	buffer_load_dword v1, off, s[0:3], 0 offset:1212
	s_waitcnt vmcnt(0)
	global_store_dwordx4 v[0:1], v[12:15], off
	s_clause 0x1
	buffer_load_dword v0, off, s[0:3], 0 offset:1216
	buffer_load_dword v1, off, s[0:3], 0 offset:1220
	s_waitcnt vmcnt(0)
	global_store_dwordx4 v[0:1], v[100:103], off
	s_clause 0x1
	buffer_load_dword v0, off, s[0:3], 0 offset:1224
	buffer_load_dword v1, off, s[0:3], 0 offset:1228
	s_waitcnt vmcnt(0)
	global_store_dwordx4 v[0:1], v[16:19], off
	s_clause 0x1
	buffer_load_dword v0, off, s[0:3], 0 offset:1232
	buffer_load_dword v1, off, s[0:3], 0 offset:1236
	s_waitcnt vmcnt(0)
	global_store_dwordx4 v[0:1], v[104:107], off
	s_clause 0x1
	buffer_load_dword v0, off, s[0:3], 0 offset:1240
	buffer_load_dword v1, off, s[0:3], 0 offset:1244
	s_waitcnt vmcnt(0)
	global_store_dwordx4 v[0:1], v[20:23], off
	s_clause 0x1
	buffer_load_dword v0, off, s[0:3], 0 offset:1248
	buffer_load_dword v1, off, s[0:3], 0 offset:1252
	s_waitcnt vmcnt(0)
	global_store_dwordx4 v[0:1], v[108:111], off
	s_clause 0x1
	buffer_load_dword v0, off, s[0:3], 0 offset:1256
	buffer_load_dword v1, off, s[0:3], 0 offset:1260
	s_waitcnt vmcnt(0)
	global_store_dwordx4 v[0:1], v[24:27], off
	s_clause 0x1
	buffer_load_dword v0, off, s[0:3], 0 offset:1264
	buffer_load_dword v1, off, s[0:3], 0 offset:1268
	s_waitcnt vmcnt(0)
	global_store_dwordx4 v[0:1], v[112:115], off
	s_clause 0x1
	buffer_load_dword v0, off, s[0:3], 0 offset:1272
	buffer_load_dword v1, off, s[0:3], 0 offset:1276
	s_waitcnt vmcnt(0)
	global_store_dwordx4 v[0:1], v[28:31], off
	s_clause 0x1
	buffer_load_dword v0, off, s[0:3], 0 offset:1280
	buffer_load_dword v1, off, s[0:3], 0 offset:1284
	s_waitcnt vmcnt(0)
	global_store_dwordx4 v[0:1], v[116:119], off
	s_clause 0x1
	buffer_load_dword v0, off, s[0:3], 0 offset:1288
	buffer_load_dword v1, off, s[0:3], 0 offset:1292
	s_waitcnt vmcnt(0)
	global_store_dwordx4 v[0:1], v[32:35], off
	s_clause 0x1
	buffer_load_dword v0, off, s[0:3], 0 offset:1296
	buffer_load_dword v1, off, s[0:3], 0 offset:1300
	s_waitcnt vmcnt(0)
	global_store_dwordx4 v[0:1], v[120:123], off
	s_clause 0x1
	buffer_load_dword v0, off, s[0:3], 0 offset:1304
	buffer_load_dword v1, off, s[0:3], 0 offset:1308
	s_waitcnt vmcnt(0)
	global_store_dwordx4 v[0:1], v[40:43], off
	s_clause 0x1
	buffer_load_dword v0, off, s[0:3], 0 offset:1312
	buffer_load_dword v1, off, s[0:3], 0 offset:1316
	s_waitcnt vmcnt(0)
	global_store_dwordx4 v[0:1], v[124:127], off
	s_clause 0x1
	buffer_load_dword v0, off, s[0:3], 0 offset:1320
	buffer_load_dword v1, off, s[0:3], 0 offset:1324
	s_waitcnt vmcnt(0)
	global_store_dwordx4 v[0:1], v[44:47], off
	s_clause 0x1
	buffer_load_dword v0, off, s[0:3], 0 offset:1328
	buffer_load_dword v1, off, s[0:3], 0 offset:1332
	s_waitcnt vmcnt(0)
	global_store_dwordx4 v[0:1], v[128:131], off
	s_clause 0x1
	buffer_load_dword v0, off, s[0:3], 0 offset:1336
	buffer_load_dword v1, off, s[0:3], 0 offset:1340
	s_waitcnt vmcnt(0)
	global_store_dwordx4 v[0:1], v[48:51], off
	s_clause 0x1
	buffer_load_dword v0, off, s[0:3], 0 offset:1344
	buffer_load_dword v1, off, s[0:3], 0 offset:1348
	s_waitcnt vmcnt(0)
	global_store_dwordx4 v[0:1], v[132:135], off
	s_clause 0x1
	buffer_load_dword v0, off, s[0:3], 0 offset:1352
	buffer_load_dword v1, off, s[0:3], 0 offset:1356
	s_waitcnt vmcnt(0)
	global_store_dwordx4 v[0:1], v[52:55], off
	s_clause 0x1
	buffer_load_dword v0, off, s[0:3], 0 offset:1360
	buffer_load_dword v1, off, s[0:3], 0 offset:1364
	s_waitcnt vmcnt(0)
	global_store_dwordx4 v[0:1], v[136:139], off
	s_clause 0x1
	buffer_load_dword v0, off, s[0:3], 0 offset:1368
	buffer_load_dword v1, off, s[0:3], 0 offset:1372
	s_waitcnt vmcnt(0)
	global_store_dwordx4 v[0:1], v[56:59], off
	s_clause 0x1
	buffer_load_dword v0, off, s[0:3], 0 offset:1376
	buffer_load_dword v1, off, s[0:3], 0 offset:1380
	s_waitcnt vmcnt(0)
	global_store_dwordx4 v[0:1], v[140:143], off
	s_clause 0x1
	buffer_load_dword v0, off, s[0:3], 0 offset:1384
	buffer_load_dword v1, off, s[0:3], 0 offset:1388
	s_waitcnt vmcnt(0)
	global_store_dwordx4 v[0:1], v[60:63], off
	s_clause 0x1
	buffer_load_dword v0, off, s[0:3], 0 offset:1392
	buffer_load_dword v1, off, s[0:3], 0 offset:1396
	s_waitcnt vmcnt(0)
	global_store_dwordx4 v[0:1], v[144:147], off
	s_clause 0x1
	buffer_load_dword v0, off, s[0:3], 0 offset:1400
	buffer_load_dword v1, off, s[0:3], 0 offset:1404
	s_waitcnt vmcnt(0)
	global_store_dwordx4 v[0:1], v[64:67], off
	s_clause 0x1
	buffer_load_dword v0, off, s[0:3], 0 offset:1408
	buffer_load_dword v1, off, s[0:3], 0 offset:1412
	s_waitcnt vmcnt(0)
	global_store_dwordx4 v[0:1], v[148:151], off
	s_clause 0x1
	buffer_load_dword v0, off, s[0:3], 0 offset:1416
	buffer_load_dword v1, off, s[0:3], 0 offset:1420
	s_waitcnt vmcnt(0)
	global_store_dwordx4 v[0:1], v[68:71], off
	s_clause 0x1
	buffer_load_dword v0, off, s[0:3], 0 offset:1424
	buffer_load_dword v1, off, s[0:3], 0 offset:1428
	s_waitcnt vmcnt(0)
	global_store_dwordx4 v[0:1], v[152:155], off
	s_clause 0x1
	buffer_load_dword v0, off, s[0:3], 0 offset:1432
	buffer_load_dword v1, off, s[0:3], 0 offset:1436
	s_waitcnt vmcnt(0)
	global_store_dwordx4 v[0:1], v[72:75], off
	s_clause 0x1
	buffer_load_dword v0, off, s[0:3], 0 offset:1440
	buffer_load_dword v1, off, s[0:3], 0 offset:1444
	s_waitcnt vmcnt(0)
	global_store_dwordx4 v[0:1], v[156:159], off
	s_clause 0x1
	buffer_load_dword v0, off, s[0:3], 0 offset:1448
	buffer_load_dword v1, off, s[0:3], 0 offset:1452
	s_waitcnt vmcnt(0)
	global_store_dwordx4 v[0:1], v[76:79], off
	s_clause 0x1
	buffer_load_dword v0, off, s[0:3], 0 offset:1456
	buffer_load_dword v1, off, s[0:3], 0 offset:1460
	s_waitcnt vmcnt(0)
	global_store_dwordx4 v[0:1], v[160:163], off
	global_store_dwordx4 v[253:254], v[36:39], off
	s_clause 0x1
	buffer_load_dword v0, off, s[0:3], 0 offset:1464
	buffer_load_dword v1, off, s[0:3], 0 offset:1468
	s_waitcnt vmcnt(0)
	global_store_dwordx4 v[0:1], v[164:167], off
.LBB123_693:
	s_endpgm
	.section	.rodata,"a",@progbits
	.p2align	6, 0x0
	.amdhsa_kernel _ZN9rocsolver6v33100L23getf2_npvt_small_kernelILi62E19rocblas_complex_numIdEiiPS3_EEvT1_T3_lS5_lPT2_S5_S5_
		.amdhsa_group_segment_fixed_size 0
		.amdhsa_private_segment_fixed_size 1536
		.amdhsa_kernarg_size 312
		.amdhsa_user_sgpr_count 6
		.amdhsa_user_sgpr_private_segment_buffer 1
		.amdhsa_user_sgpr_dispatch_ptr 0
		.amdhsa_user_sgpr_queue_ptr 0
		.amdhsa_user_sgpr_kernarg_segment_ptr 1
		.amdhsa_user_sgpr_dispatch_id 0
		.amdhsa_user_sgpr_flat_scratch_init 0
		.amdhsa_user_sgpr_private_segment_size 0
		.amdhsa_wavefront_size32 1
		.amdhsa_uses_dynamic_stack 0
		.amdhsa_system_sgpr_private_segment_wavefront_offset 1
		.amdhsa_system_sgpr_workgroup_id_x 1
		.amdhsa_system_sgpr_workgroup_id_y 1
		.amdhsa_system_sgpr_workgroup_id_z 0
		.amdhsa_system_sgpr_workgroup_info 0
		.amdhsa_system_vgpr_workitem_id 1
		.amdhsa_next_free_vgpr 256
		.amdhsa_next_free_sgpr 106
		.amdhsa_reserve_vcc 1
		.amdhsa_reserve_flat_scratch 0
		.amdhsa_float_round_mode_32 0
		.amdhsa_float_round_mode_16_64 0
		.amdhsa_float_denorm_mode_32 3
		.amdhsa_float_denorm_mode_16_64 3
		.amdhsa_dx10_clamp 1
		.amdhsa_ieee_mode 1
		.amdhsa_fp16_overflow 0
		.amdhsa_workgroup_processor_mode 1
		.amdhsa_memory_ordered 1
		.amdhsa_forward_progress 1
		.amdhsa_shared_vgpr_count 0
		.amdhsa_exception_fp_ieee_invalid_op 0
		.amdhsa_exception_fp_denorm_src 0
		.amdhsa_exception_fp_ieee_div_zero 0
		.amdhsa_exception_fp_ieee_overflow 0
		.amdhsa_exception_fp_ieee_underflow 0
		.amdhsa_exception_fp_ieee_inexact 0
		.amdhsa_exception_int_div_zero 0
	.end_amdhsa_kernel
	.section	.text._ZN9rocsolver6v33100L23getf2_npvt_small_kernelILi62E19rocblas_complex_numIdEiiPS3_EEvT1_T3_lS5_lPT2_S5_S5_,"axG",@progbits,_ZN9rocsolver6v33100L23getf2_npvt_small_kernelILi62E19rocblas_complex_numIdEiiPS3_EEvT1_T3_lS5_lPT2_S5_S5_,comdat
.Lfunc_end123:
	.size	_ZN9rocsolver6v33100L23getf2_npvt_small_kernelILi62E19rocblas_complex_numIdEiiPS3_EEvT1_T3_lS5_lPT2_S5_S5_, .Lfunc_end123-_ZN9rocsolver6v33100L23getf2_npvt_small_kernelILi62E19rocblas_complex_numIdEiiPS3_EEvT1_T3_lS5_lPT2_S5_S5_
                                        ; -- End function
	.set _ZN9rocsolver6v33100L23getf2_npvt_small_kernelILi62E19rocblas_complex_numIdEiiPS3_EEvT1_T3_lS5_lPT2_S5_S5_.num_vgpr, 256
	.set _ZN9rocsolver6v33100L23getf2_npvt_small_kernelILi62E19rocblas_complex_numIdEiiPS3_EEvT1_T3_lS5_lPT2_S5_S5_.num_agpr, 0
	.set _ZN9rocsolver6v33100L23getf2_npvt_small_kernelILi62E19rocblas_complex_numIdEiiPS3_EEvT1_T3_lS5_lPT2_S5_S5_.numbered_sgpr, 106
	.set _ZN9rocsolver6v33100L23getf2_npvt_small_kernelILi62E19rocblas_complex_numIdEiiPS3_EEvT1_T3_lS5_lPT2_S5_S5_.num_named_barrier, 0
	.set _ZN9rocsolver6v33100L23getf2_npvt_small_kernelILi62E19rocblas_complex_numIdEiiPS3_EEvT1_T3_lS5_lPT2_S5_S5_.private_seg_size, 1536
	.set _ZN9rocsolver6v33100L23getf2_npvt_small_kernelILi62E19rocblas_complex_numIdEiiPS3_EEvT1_T3_lS5_lPT2_S5_S5_.uses_vcc, 1
	.set _ZN9rocsolver6v33100L23getf2_npvt_small_kernelILi62E19rocblas_complex_numIdEiiPS3_EEvT1_T3_lS5_lPT2_S5_S5_.uses_flat_scratch, 0
	.set _ZN9rocsolver6v33100L23getf2_npvt_small_kernelILi62E19rocblas_complex_numIdEiiPS3_EEvT1_T3_lS5_lPT2_S5_S5_.has_dyn_sized_stack, 0
	.set _ZN9rocsolver6v33100L23getf2_npvt_small_kernelILi62E19rocblas_complex_numIdEiiPS3_EEvT1_T3_lS5_lPT2_S5_S5_.has_recursion, 0
	.set _ZN9rocsolver6v33100L23getf2_npvt_small_kernelILi62E19rocblas_complex_numIdEiiPS3_EEvT1_T3_lS5_lPT2_S5_S5_.has_indirect_call, 0
	.section	.AMDGPU.csdata,"",@progbits
; Kernel info:
; codeLenInByte = 156352
; TotalNumSgprs: 108
; NumVgprs: 256
; ScratchSize: 1536
; MemoryBound: 0
; FloatMode: 240
; IeeeMode: 1
; LDSByteSize: 0 bytes/workgroup (compile time only)
; SGPRBlocks: 0
; VGPRBlocks: 31
; NumSGPRsForWavesPerEU: 108
; NumVGPRsForWavesPerEU: 256
; Occupancy: 4
; WaveLimiterHint : 1
; COMPUTE_PGM_RSRC2:SCRATCH_EN: 1
; COMPUTE_PGM_RSRC2:USER_SGPR: 6
; COMPUTE_PGM_RSRC2:TRAP_HANDLER: 0
; COMPUTE_PGM_RSRC2:TGID_X_EN: 1
; COMPUTE_PGM_RSRC2:TGID_Y_EN: 1
; COMPUTE_PGM_RSRC2:TGID_Z_EN: 0
; COMPUTE_PGM_RSRC2:TIDIG_COMP_CNT: 1
	.section	.text._ZN9rocsolver6v33100L18getf2_small_kernelILi63E19rocblas_complex_numIdEiiPS3_EEvT1_T3_lS5_lPS5_llPT2_S5_S5_S7_l,"axG",@progbits,_ZN9rocsolver6v33100L18getf2_small_kernelILi63E19rocblas_complex_numIdEiiPS3_EEvT1_T3_lS5_lPS5_llPT2_S5_S5_S7_l,comdat
	.globl	_ZN9rocsolver6v33100L18getf2_small_kernelILi63E19rocblas_complex_numIdEiiPS3_EEvT1_T3_lS5_lPS5_llPT2_S5_S5_S7_l ; -- Begin function _ZN9rocsolver6v33100L18getf2_small_kernelILi63E19rocblas_complex_numIdEiiPS3_EEvT1_T3_lS5_lPS5_llPT2_S5_S5_S7_l
	.p2align	8
	.type	_ZN9rocsolver6v33100L18getf2_small_kernelILi63E19rocblas_complex_numIdEiiPS3_EEvT1_T3_lS5_lPS5_llPT2_S5_S5_S7_l,@function
_ZN9rocsolver6v33100L18getf2_small_kernelILi63E19rocblas_complex_numIdEiiPS3_EEvT1_T3_lS5_lPS5_llPT2_S5_S5_S7_l: ; @_ZN9rocsolver6v33100L18getf2_small_kernelILi63E19rocblas_complex_numIdEiiPS3_EEvT1_T3_lS5_lPS5_llPT2_S5_S5_S7_l
; %bb.0:
	s_clause 0x1
	s_load_dword s6, s[4:5], 0x6c
	s_load_dwordx2 s[12:13], s[4:5], 0x48
	s_add_u32 s0, s0, s8
	s_addc_u32 s1, s1, 0
	s_waitcnt lgkmcnt(0)
	s_lshr_b32 s6, s6, 16
	v_mad_u64_u32 v[6:7], null, s7, s6, v[1:2]
	s_mov_b32 s6, exec_lo
	v_cmpx_gt_i32_e64 s12, v6
	s_cbranch_execnz .LBB124_1
; %bb.1460:
	s_getpc_b64 s[102:103]
.Lpost_getpc26:
	s_add_u32 s102, s102, (.LBB124_1459-.Lpost_getpc26)&4294967295
	s_addc_u32 s103, s103, (.LBB124_1459-.Lpost_getpc26)>>32
	s_setpc_b64 s[102:103]
.LBB124_1:
	s_load_dwordx4 s[8:11], s[4:5], 0x50
	v_mov_b32_e32 v8, 0
	v_ashrrev_i32_e32 v7, 31, v6
	v_mov_b32_e32 v9, 0
	s_waitcnt lgkmcnt(0)
	s_cmp_eq_u64 s[8:9], 0
	s_cselect_b32 s20, -1, 0
	s_and_b32 vcc_lo, exec_lo, s20
	s_cbranch_vccnz .LBB124_3
; %bb.2:
	v_mul_lo_u32 v4, s11, v6
	v_mul_lo_u32 v5, s10, v7
	v_mad_u64_u32 v[2:3], null, s10, v6, 0
	v_add3_u32 v3, v3, v5, v4
	v_lshlrev_b64 v[2:3], 2, v[2:3]
	v_add_co_u32 v8, vcc_lo, s8, v2
	v_add_co_ci_u32_e64 v9, null, s9, v3, vcc_lo
.LBB124_3:
	s_clause 0x2
	s_load_dwordx8 s[36:43], s[4:5], 0x20
	s_load_dword s6, s[4:5], 0x18
	s_load_dwordx4 s[16:19], s[4:5], 0x8
                                        ; implicit-def: $vgpr162 : SGPR spill to VGPR lane
	v_lshlrev_b32_e32 v11, 4, v0
	s_clause 0x1
	s_load_dword s57, s[4:5], 0x0
	s_load_dwordx2 s[4:5], s[4:5], 0x40
	s_movk_i32 s28, 0xf0
	s_movk_i32 s29, 0x100
	;; [unrolled: 1-line block ×14, first 2 shown]
	s_waitcnt lgkmcnt(0)
	s_mov_b64 s[24:25], s[40:41]
	s_mov_b64 s[26:27], s[42:43]
	;; [unrolled: 1-line block ×3, first 2 shown]
	v_mul_lo_u32 v5, s37, v6
	v_mul_lo_u32 v10, s36, v7
	v_writelane_b32 v162, s20, 0
	v_mad_u64_u32 v[2:3], null, s36, v6, 0
	v_add3_u32 v4, s6, s6, v0
	s_lshl_b64 s[18:19], s[18:19], 4
	v_writelane_b32 v162, s21, 1
	s_ashr_i32 s7, s6, 31
	s_movk_i32 s36, 0x160
	v_add_nc_u32_e32 v12, s6, v4
	v_add3_u32 v3, v3, v10, v5
	v_writelane_b32 v162, s22, 2
	v_ashrrev_i32_e32 v5, 31, v4
	s_lshl_b64 s[8:9], s[6:7], 4
	v_add_nc_u32_e32 v14, s6, v12
	v_lshlrev_b64 v[2:3], 4, v[2:3]
	v_writelane_b32 v162, s23, 3
	v_ashrrev_i32_e32 v13, 31, v12
	v_lshlrev_b64 v[4:5], 4, v[4:5]
	v_add_nc_u32_e32 v16, s6, v14
	v_ashrrev_i32_e32 v15, 31, v14
	v_add_co_u32 v10, vcc_lo, s16, v2
	v_writelane_b32 v162, s24, 4
	v_add_co_ci_u32_e64 v18, null, s17, v3, vcc_lo
	v_add_co_u32 v144, vcc_lo, v10, s18
	v_writelane_b32 v162, s25, 5
	v_lshlrev_b64 v[12:13], 4, v[12:13]
	v_ashrrev_i32_e32 v17, 31, v16
	v_add_nc_u32_e32 v24, s6, v16
	v_add_co_ci_u32_e64 v145, null, s19, v18, vcc_lo
	v_lshlrev_b64 v[2:3], 4, v[14:15]
	v_add_co_u32 v120, vcc_lo, v144, v11
	v_writelane_b32 v162, s26, 6
	v_lshlrev_b64 v[14:15], 4, v[16:17]
	v_add_co_ci_u32_e64 v121, null, 0, v145, vcc_lo
	v_add_co_u32 v16, vcc_lo, v144, v12
	v_add_nc_u32_e32 v34, s6, v24
	v_ashrrev_i32_e32 v25, 31, v24
	v_add_co_ci_u32_e64 v17, null, v145, v13, vcc_lo
	v_add_co_u32 v2, vcc_lo, v144, v2
	v_writelane_b32 v162, s27, 7
	v_add_co_ci_u32_e64 v3, null, v145, v3, vcc_lo
	v_add_co_u32 v32, vcc_lo, v144, v14
	v_add_nc_u32_e32 v40, s6, v34
	v_add_co_ci_u32_e64 v33, null, v145, v15, vcc_lo
	s_clause 0x2
	global_load_dwordx4 v[12:15], v[120:121], off
	global_load_dwordx4 v[16:19], v[16:17], off
	;; [unrolled: 1-line block ×3, first 2 shown]
	v_add_co_u32 v2, vcc_lo, v120, s8
	v_lshlrev_b64 v[25:26], 4, v[24:25]
	v_writelane_b32 v162, s8, 8
	v_add_co_ci_u32_e64 v3, null, s9, v121, vcc_lo
	v_add_co_u32 v4, vcc_lo, v144, v4
	v_ashrrev_i32_e32 v41, 31, v40
	v_add_co_ci_u32_e64 v5, null, v145, v5, vcc_lo
	v_ashrrev_i32_e32 v35, 31, v34
	v_add_co_u32 v36, vcc_lo, v144, v25
	v_add_co_ci_u32_e64 v37, null, v145, v26, vcc_lo
	s_clause 0x1
	global_load_dwordx4 v[24:27], v[2:3], off
	global_load_dwordx4 v[28:31], v[4:5], off
	v_lshlrev_b64 v[4:5], 4, v[40:41]
	v_add_nc_u32_e32 v40, s6, v40
	v_lshlrev_b64 v[2:3], 4, v[34:35]
	s_clause 0x1
	global_load_dwordx4 v[32:35], v[32:33], off
	global_load_dwordx4 v[36:39], v[36:37], off
	s_max_i32 s7, s57, 63
	v_writelane_b32 v162, s9, 9
	v_add_nc_u32_e32 v48, s6, v40
	v_ashrrev_i32_e32 v41, 31, v40
	v_add_co_u32 v2, vcc_lo, v144, v2
	v_add_co_ci_u32_e64 v3, null, v145, v3, vcc_lo
	v_add_co_u32 v4, vcc_lo, v144, v4
	v_ashrrev_i32_e32 v49, 31, v48
	v_add_co_ci_u32_e64 v5, null, v145, v5, vcc_lo
	v_add_nc_u32_e32 v50, s6, v48
	v_lshlrev_b64 v[52:53], 4, v[40:41]
	s_clause 0x1
	global_load_dwordx4 v[40:43], v[2:3], off
	global_load_dwordx4 v[44:47], v[4:5], off
	v_lshlrev_b64 v[3:4], 4, v[48:49]
	v_writelane_b32 v162, s4, 10
	v_add_nc_u32_e32 v2, s6, v50
	v_ashrrev_i32_e32 v51, 31, v50
	v_add_co_u32 v48, vcc_lo, v144, v52
	v_add_co_ci_u32_e64 v49, null, v145, v53, vcc_lo
	v_add_co_u32 v52, vcc_lo, v144, v3
	v_add_co_ci_u32_e64 v53, null, v145, v4, vcc_lo
	v_add_nc_u32_e32 v4, s6, v2
	v_ashrrev_i32_e32 v3, 31, v2
	v_lshlrev_b64 v[56:57], 4, v[50:51]
	s_clause 0x1
	global_load_dwordx4 v[48:51], v[48:49], off
	global_load_dwordx4 v[52:55], v[52:53], off
	v_mov_b32_e32 v10, 0
	v_add_nc_u32_e32 v64, s6, v4
	v_lshlrev_b64 v[2:3], 4, v[2:3]
	v_ashrrev_i32_e32 v5, 31, v4
	v_add_co_u32 v56, vcc_lo, v144, v56
	v_add_nc_u32_e32 v66, s6, v64
	v_add_co_ci_u32_e64 v57, null, v145, v57, vcc_lo
	v_add_co_u32 v2, vcc_lo, v144, v2
	v_ashrrev_i32_e32 v65, 31, v64
	v_add_co_ci_u32_e64 v3, null, v145, v3, vcc_lo
	v_add_nc_u32_e32 v72, s6, v66
	v_lshlrev_b64 v[4:5], 4, v[4:5]
	s_clause 0x1
	global_load_dwordx4 v[56:59], v[56:57], off
	global_load_dwordx4 v[60:63], v[2:3], off
	v_lshlrev_b64 v[2:3], 4, v[64:65]
	v_ashrrev_i32_e32 v67, 31, v66
	v_add_nc_u32_e32 v74, s6, v72
	v_ashrrev_i32_e32 v73, 31, v72
	v_add_co_u32 v4, vcc_lo, v144, v4
	v_add_co_ci_u32_e64 v5, null, v145, v5, vcc_lo
	v_add_co_u32 v2, vcc_lo, v144, v2
	v_ashrrev_i32_e32 v75, 31, v74
	v_add_co_ci_u32_e64 v3, null, v145, v3, vcc_lo
	v_lshlrev_b64 v[76:77], 4, v[66:67]
	s_clause 0x1
	global_load_dwordx4 v[64:67], v[4:5], off
	global_load_dwordx4 v[68:71], v[2:3], off
	v_lshlrev_b64 v[2:3], 4, v[72:73]
	v_lshlrev_b64 v[72:73], 4, v[74:75]
	v_add_nc_u32_e32 v74, s6, v74
	v_add_co_u32 v4, vcc_lo, v144, v76
	v_add_co_ci_u32_e64 v5, null, v145, v77, vcc_lo
	v_ashrrev_i32_e32 v75, 31, v74
	v_add_co_u32 v2, vcc_lo, v144, v2
	v_add_nc_u32_e32 v80, s6, v74
	v_add_co_ci_u32_e64 v3, null, v145, v3, vcc_lo
	v_add_co_u32 v82, vcc_lo, v144, v72
	v_lshlrev_b64 v[84:85], 4, v[74:75]
	v_add_co_ci_u32_e64 v83, null, v145, v73, vcc_lo
	s_clause 0x1
	global_load_dwordx4 v[72:75], v[4:5], off
	global_load_dwordx4 v[76:79], v[2:3], off
	v_add_nc_u32_e32 v2, s6, v80
	v_ashrrev_i32_e32 v81, 31, v80
	v_add_co_u32 v4, vcc_lo, v144, v84
	v_add_co_ci_u32_e64 v5, null, v145, v85, vcc_lo
	v_add_nc_u32_e32 v88, s6, v2
	v_ashrrev_i32_e32 v3, 31, v2
	v_lshlrev_b64 v[90:91], 4, v[80:81]
	s_clause 0x1
	global_load_dwordx4 v[80:83], v[82:83], off
	global_load_dwordx4 v[84:87], v[4:5], off
	v_writelane_b32 v162, s5, 11
	v_add_nc_u32_e32 v4, s6, v88
	v_ashrrev_i32_e32 v89, 31, v88
	v_lshlrev_b64 v[2:3], 4, v[2:3]
	v_add_co_u32 v90, vcc_lo, v144, v90
	v_add_nc_u32_e32 v96, s6, v4
	v_lshlrev_b64 v[88:89], 4, v[88:89]
	v_ashrrev_i32_e32 v5, 31, v4
	v_add_co_ci_u32_e64 v91, null, v145, v91, vcc_lo
	v_add_co_u32 v2, vcc_lo, v144, v2
	v_ashrrev_i32_e32 v97, 31, v96
	v_add_co_ci_u32_e64 v3, null, v145, v3, vcc_lo
	v_add_nc_u32_e32 v98, s6, v96
	v_add_co_u32 v100, vcc_lo, v144, v88
	v_lshlrev_b64 v[4:5], 4, v[4:5]
	v_add_co_ci_u32_e64 v101, null, v145, v89, vcc_lo
	s_clause 0x1
	global_load_dwordx4 v[88:91], v[90:91], off
	global_load_dwordx4 v[92:95], v[2:3], off
	v_lshlrev_b64 v[2:3], 4, v[96:97]
	v_add_nc_u32_e32 v116, s6, v98
	v_ashrrev_i32_e32 v99, 31, v98
	v_add_co_u32 v4, vcc_lo, v144, v4
	v_add_co_ci_u32_e64 v5, null, v145, v5, vcc_lo
	v_add_co_u32 v2, vcc_lo, v144, v2
	v_ashrrev_i32_e32 v117, 31, v116
	v_add_co_ci_u32_e64 v3, null, v145, v3, vcc_lo
	v_lshlrev_b64 v[108:109], 4, v[98:99]
	s_clause 0x2
	global_load_dwordx4 v[96:99], v[100:101], off
	global_load_dwordx4 v[100:103], v[4:5], off
	;; [unrolled: 1-line block ×3, first 2 shown]
	v_lshlrev_b64 v[2:3], 4, v[116:117]
	s_movk_i32 s5, 0x50
	s_movk_i32 s18, 0x70
	;; [unrolled: 1-line block ×3, first 2 shown]
	v_add_co_u32 v4, vcc_lo, v144, v108
	v_add_co_ci_u32_e64 v5, null, v145, v109, vcc_lo
	v_add_co_u32 v2, vcc_lo, v144, v2
	v_add_co_ci_u32_e64 v3, null, v145, v3, vcc_lo
	s_clause 0x1
	global_load_dwordx4 v[108:111], v[4:5], off
	global_load_dwordx4 v[112:115], v[2:3], off
	v_add_nc_u32_e32 v2, s6, v116
	s_movk_i32 s22, 0x90
	s_movk_i32 s23, 0xa0
	;; [unrolled: 1-line block ×4, first 2 shown]
	v_ashrrev_i32_e32 v3, 31, v2
	s_movk_i32 s26, 0xd0
	s_movk_i32 s27, 0xe0
	;; [unrolled: 1-line block ×4, first 2 shown]
	v_lshlrev_b64 v[3:4], 4, v[2:3]
	v_add_nc_u32_e32 v2, s6, v2
	s_movk_i32 s39, 0x190
	s_movk_i32 s40, 0x1a0
	;; [unrolled: 1-line block ×4, first 2 shown]
	v_add_co_u32 v3, vcc_lo, v144, v3
	v_add_co_ci_u32_e64 v4, null, v145, v4, vcc_lo
	v_add_nc_u32_e32 v122, s6, v2
	s_movk_i32 s43, 0x1d0
	s_movk_i32 s85, 0x250
	global_load_dwordx4 v[116:119], v[3:4], off
	v_ashrrev_i32_e32 v3, 31, v2
	v_ashrrev_i32_e32 v123, 31, v122
	v_add_nc_u32_e32 v124, s6, v122
	s_movk_i32 s86, 0x260
	s_movk_i32 s87, 0x270
	v_lshlrev_b64 v[126:127], 4, v[2:3]
	global_load_dwordx4 v[2:5], v[120:121], off
	v_lshlrev_b64 v[120:121], 4, v[122:123]
	v_add_nc_u32_e32 v122, s6, v124
	v_ashrrev_i32_e32 v125, 31, v124
	s_movk_i32 s88, 0x280
	v_add_co_u32 v126, vcc_lo, v144, v126
	v_add_nc_u32_e32 v128, s6, v122
	v_ashrrev_i32_e32 v123, 31, v122
	v_lshlrev_b64 v[130:131], 4, v[124:125]
	v_add_co_ci_u32_e64 v127, null, v145, v127, vcc_lo
	v_add_nc_u32_e32 v132, s6, v128
	v_ashrrev_i32_e32 v129, 31, v128
	v_lshlrev_b64 v[134:135], 4, v[122:123]
	v_add_co_u32 v124, vcc_lo, v144, v120
	v_add_nc_u32_e32 v136, s6, v132
	v_ashrrev_i32_e32 v133, 31, v132
	v_lshlrev_b64 v[128:129], 4, v[128:129]
	v_add_co_ci_u32_e64 v125, null, v145, v121, vcc_lo
	v_add_nc_u32_e32 v140, s6, v136
	v_ashrrev_i32_e32 v137, 31, v136
	v_add_co_u32 v130, vcc_lo, v144, v130
	v_lshlrev_b64 v[138:139], 4, v[132:133]
	v_add_nc_u32_e32 v146, s6, v140
	v_ashrrev_i32_e32 v141, 31, v140
	v_add_co_ci_u32_e64 v131, null, v145, v131, vcc_lo
	v_add_co_u32 v134, vcc_lo, v144, v134
	v_add_nc_u32_e32 v152, s6, v146
	v_add_co_ci_u32_e64 v135, null, v145, v135, vcc_lo
	v_add_co_u32 v142, vcc_lo, v144, v128
	v_lshlrev_b64 v[136:137], 4, v[136:137]
	v_ashrrev_i32_e32 v147, 31, v146
	v_add_co_ci_u32_e64 v143, null, v145, v129, vcc_lo
	v_add_co_u32 v148, vcc_lo, v144, v138
	v_lshlrev_b64 v[150:151], 4, v[140:141]
	v_add_co_ci_u32_e64 v149, null, v145, v139, vcc_lo
	v_add_nc_u32_e32 v156, s6, v152
	v_add_co_u32 v154, vcc_lo, v144, v136
	v_lshlrev_b64 v[146:147], 4, v[146:147]
	v_ashrrev_i32_e32 v153, 31, v152
	s_clause 0x3
	global_load_dwordx4 v[120:123], v[126:127], off
	global_load_dwordx4 v[124:127], v[124:125], off
	;; [unrolled: 1-line block ×4, first 2 shown]
	v_add_co_ci_u32_e64 v155, null, v145, v137, vcc_lo
	s_clause 0x1
	global_load_dwordx4 v[136:139], v[142:143], off
	global_load_dwordx4 v[140:143], v[148:149], off
	v_add_co_u32 v148, vcc_lo, v144, v150
	v_ashrrev_i32_e32 v157, 31, v156
	v_add_nc_u32_e32 v158, s6, v156
	v_add_co_ci_u32_e64 v149, null, v145, v151, vcc_lo
	v_lshlrev_b64 v[150:151], 4, v[152:153]
	v_add_co_u32 v152, vcc_lo, v144, v146
	v_add_co_ci_u32_e64 v153, null, v145, v147, vcc_lo
	v_ashrrev_i32_e32 v159, 31, v158
	v_add_co_u32 v150, vcc_lo, v144, v150
	v_add_co_ci_u32_e64 v151, null, v145, v151, vcc_lo
	s_movk_i32 s89, 0x290
	s_movk_i32 s90, 0x2a0
	;; [unrolled: 1-line block ×14, first 2 shown]
	s_movk_i32 vcc_hi, 0x370
	s_movk_i32 s16, 0x380
	s_movk_i32 s17, 0x390
	;; [unrolled: 1-line block ×6, first 2 shown]
	s_cmp_lt_i32 s57, 2
	s_movk_i32 s81, 0x3e0
	s_waitcnt vmcnt(33)
	buffer_store_dword v15, off, s[0:3], 0 offset:12
	buffer_store_dword v14, off, s[0:3], 0 offset:8
	;; [unrolled: 1-line block ×3, first 2 shown]
	buffer_store_dword v12, off, s[0:3], 0
	s_clause 0x1
	global_load_dwordx4 v[12:15], v[154:155], off
	global_load_dwordx4 v[146:149], v[148:149], off
	v_lshlrev_b64 v[154:155], 4, v[156:157]
	v_add_nc_u32_e32 v156, s6, v158
	v_lshlrev_b64 v[158:159], 4, v[158:159]
	s_waitcnt vmcnt(34)
	buffer_store_dword v19, off, s[0:3], 0 offset:60
	buffer_store_dword v18, off, s[0:3], 0 offset:56
	;; [unrolled: 1-line block ×4, first 2 shown]
	s_waitcnt vmcnt(33)
	buffer_store_dword v23, off, s[0:3], 0 offset:76
	buffer_store_dword v22, off, s[0:3], 0 offset:72
	;; [unrolled: 1-line block ×4, first 2 shown]
	s_clause 0x1
	global_load_dwordx4 v[16:19], v[152:153], off
	global_load_dwordx4 v[20:23], v[150:151], off
	v_add_nc_u32_e32 v160, s6, v156
	v_ashrrev_i32_e32 v157, 31, v156
	v_add_co_u32 v154, vcc_lo, v144, v154
	v_add_co_ci_u32_e64 v155, null, v145, v155, vcc_lo
	v_add_nc_u32_e32 v152, s6, v160
	v_ashrrev_i32_e32 v161, 31, v160
	s_waitcnt vmcnt(32)
	buffer_store_dword v35, off, s[0:3], 0 offset:92
	buffer_store_dword v34, off, s[0:3], 0 offset:88
	;; [unrolled: 1-line block ×4, first 2 shown]
	v_add_co_u32 v32, vcc_lo, v144, v158
	v_lshlrev_b64 v[150:151], 4, v[156:157]
	v_add_nc_u32_e32 v156, s6, v152
	v_add_co_ci_u32_e64 v33, null, v145, v159, vcc_lo
	v_ashrrev_i32_e32 v153, 31, v152
	v_lshlrev_b64 v[158:159], 4, v[160:161]
	buffer_store_dword v27, off, s[0:3], 0 offset:28
	buffer_store_dword v26, off, s[0:3], 0 offset:24
	;; [unrolled: 1-line block ×4, first 2 shown]
	s_clause 0x1
	global_load_dwordx4 v[24:27], v[154:155], off
	global_load_dwordx4 v[32:35], v[32:33], off
	v_add_nc_u32_e32 v154, s6, v156
	v_add_co_u32 v150, vcc_lo, v144, v150
	v_ashrrev_i32_e32 v157, 31, v156
	buffer_store_dword v31, off, s[0:3], 0 offset:44
	buffer_store_dword v30, off, s[0:3], 0 offset:40
	;; [unrolled: 1-line block ×4, first 2 shown]
	v_lshlrev_b64 v[28:29], 4, v[152:153]
	v_add_co_ci_u32_e64 v151, null, v145, v151, vcc_lo
	v_add_co_u32 v152, vcc_lo, v144, v158
	v_add_nc_u32_e32 v160, s6, v154
	v_add_co_ci_u32_e64 v153, null, v145, v159, vcc_lo
	v_lshlrev_b64 v[156:157], 4, v[156:157]
	v_ashrrev_i32_e32 v155, 31, v154
	v_add_co_u32 v158, vcc_lo, v144, v28
	s_waitcnt vmcnt(33)
	buffer_store_dword v39, off, s[0:3], 0 offset:108
	buffer_store_dword v38, off, s[0:3], 0 offset:104
	;; [unrolled: 1-line block ×4, first 2 shown]
	v_add_co_ci_u32_e64 v159, null, v145, v29, vcc_lo
	s_clause 0x1
	global_load_dwordx4 v[28:31], v[150:151], off
	global_load_dwordx4 v[36:39], v[152:153], off
	v_ashrrev_i32_e32 v161, 31, v160
	v_add_nc_u32_e32 v152, s6, v160
	v_lshlrev_b64 v[150:151], 4, v[154:155]
	v_add_co_u32 v154, vcc_lo, v144, v156
	v_add_co_ci_u32_e64 v155, null, v145, v157, vcc_lo
	v_lshlrev_b64 v[156:157], 4, v[160:161]
	v_add_nc_u32_e32 v160, s6, v152
	s_waitcnt vmcnt(34)
	buffer_store_dword v43, off, s[0:3], 0 offset:124
	buffer_store_dword v42, off, s[0:3], 0 offset:120
	;; [unrolled: 1-line block ×4, first 2 shown]
	s_waitcnt vmcnt(33)
	buffer_store_dword v47, off, s[0:3], 0 offset:140
	buffer_store_dword v46, off, s[0:3], 0 offset:136
	;; [unrolled: 1-line block ×4, first 2 shown]
	s_clause 0x1
	global_load_dwordx4 v[40:43], v[158:159], off
	global_load_dwordx4 v[44:47], v[154:155], off
	v_ashrrev_i32_e32 v153, 31, v152
	v_ashrrev_i32_e32 v161, 31, v160
	v_add_co_u32 v150, vcc_lo, v144, v150
	v_add_co_ci_u32_e64 v151, null, v145, v151, vcc_lo
	s_waitcnt vmcnt(34)
	buffer_store_dword v51, off, s[0:3], 0 offset:156
	buffer_store_dword v50, off, s[0:3], 0 offset:152
	buffer_store_dword v49, off, s[0:3], 0 offset:148
	buffer_store_dword v48, off, s[0:3], 0 offset:144
	s_waitcnt vmcnt(33)
	buffer_store_dword v55, off, s[0:3], 0 offset:172
	buffer_store_dword v54, off, s[0:3], 0 offset:168
	buffer_store_dword v53, off, s[0:3], 0 offset:164
	buffer_store_dword v52, off, s[0:3], 0 offset:160
	;; [unrolled: 5-line block ×16, first 2 shown]
	s_waitcnt vmcnt(18)
	buffer_store_dword v115, off, s[0:3], 0 offset:412
	buffer_store_dword v114, off, s[0:3], 0 offset:408
	;; [unrolled: 1-line block ×3, first 2 shown]
	v_add_nc_u32_e32 v50, s6, v160
	v_lshlrev_b64 v[48:49], 4, v[152:153]
	v_lshlrev_b64 v[54:55], 4, v[160:161]
	v_add_co_u32 v52, vcc_lo, v144, v156
	v_add_nc_u32_e32 v56, s6, v50
	v_ashrrev_i32_e32 v51, 31, v50
	v_add_co_ci_u32_e64 v53, null, v145, v157, vcc_lo
	v_add_co_u32 v58, vcc_lo, v144, v48
	v_add_nc_u32_e32 v66, s6, v56
	v_ashrrev_i32_e32 v57, 31, v56
	v_lshlrev_b64 v[62:63], 4, v[50:51]
	v_add_co_ci_u32_e64 v59, null, v145, v49, vcc_lo
	v_add_nc_u32_e32 v72, s6, v66
	v_ashrrev_i32_e32 v67, 31, v66
	v_lshlrev_b64 v[64:65], 4, v[56:57]
	v_add_co_u32 v60, vcc_lo, v144, v54
	v_ashrrev_i32_e32 v73, 31, v72
	v_lshlrev_b64 v[74:75], 4, v[66:67]
	v_add_co_ci_u32_e64 v61, null, v145, v55, vcc_lo
	v_add_co_u32 v68, vcc_lo, v144, v62
	v_lshlrev_b64 v[76:77], 4, v[72:73]
	v_add_nc_u32_e32 v72, s6, v72
	v_add_co_ci_u32_e64 v69, null, v145, v63, vcc_lo
	v_add_co_u32 v70, vcc_lo, v144, v64
	v_add_nc_u32_e32 v80, s6, v72
	v_ashrrev_i32_e32 v73, 31, v72
	v_add_co_ci_u32_e64 v71, null, v145, v65, vcc_lo
	v_add_co_u32 v74, vcc_lo, v144, v74
	v_add_nc_u32_e32 v84, s6, v80
	v_ashrrev_i32_e32 v81, 31, v80
	v_lshlrev_b64 v[82:83], 4, v[72:73]
	v_add_co_ci_u32_e64 v75, null, v145, v75, vcc_lo
	v_add_nc_u32_e32 v88, s6, v84
	v_ashrrev_i32_e32 v85, 31, v84
	v_lshlrev_b64 v[86:87], 4, v[80:81]
	v_add_co_u32 v76, vcc_lo, v144, v76
	v_ashrrev_i32_e32 v89, 31, v88
	v_lshlrev_b64 v[90:91], 4, v[84:85]
	s_clause 0x5
	global_load_dwordx4 v[48:51], v[150:151], off
	global_load_dwordx4 v[52:55], v[52:53], off
	;; [unrolled: 1-line block ×6, first 2 shown]
	v_lshlrev_b64 v[92:93], 4, v[88:89]
	v_add_nc_u32_e32 v88, s6, v88
	buffer_store_dword v112, off, s[0:3], 0 offset:400
	v_add_co_ci_u32_e64 v77, null, v145, v77, vcc_lo
	v_add_co_u32 v82, vcc_lo, v144, v82
	v_add_nc_u32_e32 v96, s6, v88
	v_ashrrev_i32_e32 v89, 31, v88
	v_add_co_ci_u32_e64 v83, null, v145, v83, vcc_lo
	v_add_co_u32 v86, vcc_lo, v144, v86
	v_add_nc_u32_e32 v98, s6, v96
	v_ashrrev_i32_e32 v97, 31, v96
	v_lshlrev_b64 v[100:101], 4, v[88:89]
	v_add_co_ci_u32_e64 v87, null, v145, v87, vcc_lo
	v_ashrrev_i32_e32 v99, 31, v98
	v_add_co_u32 v90, vcc_lo, v144, v90
	v_lshlrev_b64 v[96:97], 4, v[96:97]
	v_add_co_ci_u32_e64 v91, null, v145, v91, vcc_lo
	v_lshlrev_b64 v[102:103], 4, v[98:99]
	v_add_nc_u32_e32 v98, s6, v98
	v_add_co_u32 v92, vcc_lo, v144, v92
	v_add_co_ci_u32_e64 v93, null, v145, v93, vcc_lo
	v_add_nc_u32_e32 v108, s6, v98
	v_ashrrev_i32_e32 v99, 31, v98
	v_add_co_u32 v100, vcc_lo, v144, v100
	v_add_co_ci_u32_e64 v101, null, v145, v101, vcc_lo
	v_add_nc_u32_e32 v112, s6, v108
	v_ashrrev_i32_e32 v109, 31, v108
	v_lshlrev_b64 v[110:111], 4, v[98:99]
	v_add_co_u32 v104, vcc_lo, v144, v96
	v_add_nc_u32_e32 v115, s6, v112
	v_ashrrev_i32_e32 v113, 31, v112
	v_lshlrev_b64 v[108:109], 4, v[108:109]
	s_clause 0x1
	global_load_dwordx4 v[72:75], v[74:75], off
	global_load_dwordx4 v[76:79], v[76:77], off
	s_waitcnt vmcnt(25)
	buffer_store_dword v116, off, s[0:3], 0 offset:416
	v_add_nc_u32_e32 v150, s6, v115
	v_add_co_ci_u32_e64 v105, null, v145, v97, vcc_lo
	v_add_co_u32 v106, vcc_lo, v144, v102
	v_lshlrev_b64 v[113:114], 4, v[112:113]
	v_ashrrev_i32_e32 v116, 31, v115
	v_add_co_ci_u32_e64 v107, null, v145, v103, vcc_lo
	v_add_co_u32 v110, vcc_lo, v144, v110
	v_ashrrev_i32_e32 v151, 31, v150
	buffer_store_dword v117, off, s[0:3], 0 offset:420
	v_add_co_ci_u32_e64 v111, null, v145, v111, vcc_lo
	v_add_co_u32 v117, vcc_lo, v144, v108
	v_lshlrev_b64 v[154:155], 4, v[115:116]
	buffer_store_dword v118, off, s[0:3], 0 offset:424
	v_add_co_ci_u32_e64 v118, null, v145, v109, vcc_lo
	v_add_co_u32 v152, vcc_lo, v144, v113
	v_lshlrev_b64 v[150:151], 4, v[150:151]
	v_add_co_ci_u32_e64 v153, null, v145, v114, vcc_lo
	buffer_store_dword v119, off, s[0:3], 0 offset:428
	s_clause 0x9
	global_load_dwordx4 v[80:83], v[82:83], off
	global_load_dwordx4 v[84:87], v[86:87], off
	;; [unrolled: 1-line block ×10, first 2 shown]
	v_add_co_u32 v152, vcc_lo, v144, v154
	v_add_co_ci_u32_e64 v153, null, v145, v155, vcc_lo
	v_add_co_u32 v154, vcc_lo, v144, v150
	v_add_co_ci_u32_e64 v155, null, v145, v151, vcc_lo
	s_clause 0x1
	global_load_dwordx4 v[150:153], v[152:153], off
	global_load_dwordx4 v[154:157], v[154:155], off
	s_waitcnt vmcnt(35)
	buffer_store_dword v123, off, s[0:3], 0 offset:444
	buffer_store_dword v122, off, s[0:3], 0 offset:440
	buffer_store_dword v121, off, s[0:3], 0 offset:436
	buffer_store_dword v120, off, s[0:3], 0 offset:432
	s_waitcnt vmcnt(34)
	buffer_store_dword v127, off, s[0:3], 0 offset:460
	buffer_store_dword v126, off, s[0:3], 0 offset:456
	buffer_store_dword v125, off, s[0:3], 0 offset:452
	buffer_store_dword v124, off, s[0:3], 0 offset:448
	;; [unrolled: 5-line block ×22, first 2 shown]
	s_waitcnt vmcnt(13)
	buffer_store_dword v75, off, s[0:3], 0 offset:796
	v_mul_lo_u32 v13, s7, v1
	buffer_store_dword v74, off, s[0:3], 0 offset:792
	buffer_store_dword v73, off, s[0:3], 0 offset:788
	;; [unrolled: 1-line block ×3, first 2 shown]
	s_waitcnt vmcnt(12)
	buffer_store_dword v79, off, s[0:3], 0 offset:812
	buffer_store_dword v78, off, s[0:3], 0 offset:808
	;; [unrolled: 1-line block ×4, first 2 shown]
	s_waitcnt vmcnt(11)
	buffer_store_dword v83, off, s[0:3], 0 offset:828
	buffer_store_dword v82, off, s[0:3], 0 offset:824
	;; [unrolled: 1-line block ×4, first 2 shown]
	v_lshl_add_u32 v12, v13, 4, 0
	s_waitcnt vmcnt(10)
	buffer_store_dword v87, off, s[0:3], 0 offset:844
	buffer_store_dword v86, off, s[0:3], 0 offset:840
	buffer_store_dword v85, off, s[0:3], 0 offset:836
	buffer_store_dword v84, off, s[0:3], 0 offset:832
	s_waitcnt vmcnt(9)
	buffer_store_dword v91, off, s[0:3], 0 offset:860
	buffer_store_dword v90, off, s[0:3], 0 offset:856
	buffer_store_dword v89, off, s[0:3], 0 offset:852
	buffer_store_dword v88, off, s[0:3], 0 offset:848
	;; [unrolled: 5-line block ×10, first 2 shown]
	v_add_nc_u32_e32 v1, v12, v11
	s_waitcnt vmcnt(0)
	buffer_store_dword v157, off, s[0:3], 0 offset:1004
	buffer_store_dword v156, off, s[0:3], 0 offset:1000
	;; [unrolled: 1-line block ×4, first 2 shown]
	v_lshlrev_b32_e32 v14, 4, v13
	s_movk_i32 s7, 0x60
	ds_write2_b64 v1, v[2:3], v[4:5] offset1:1
	s_waitcnt lgkmcnt(0)
	s_waitcnt_vscnt null, 0x0
	s_barrier
	buffer_gl0_inv
	ds_read2_b64 v[1:4], v12 offset1:1
	s_cbranch_scc1 .LBB124_6
; %bb.4:
	v_add3_u32 v5, v14, 0, 16
	v_mov_b32_e32 v10, 0
	s_mov_b32 s48, 1
	s_inst_prefetch 0x1
	.p2align	6
.LBB124_5:                              ; =>This Inner Loop Header: Depth=1
	s_waitcnt lgkmcnt(0)
	v_cmp_gt_f64_e32 vcc_lo, 0, v[3:4]
	v_cmp_gt_f64_e64 s4, 0, v[1:2]
	ds_read2_b64 v[15:18], v5 offset1:1
	v_xor_b32_e32 v11, 0x80000000, v2
	v_xor_b32_e32 v13, 0x80000000, v4
	v_mov_b32_e32 v19, v1
	v_mov_b32_e32 v21, v3
	v_add_nc_u32_e32 v5, 16, v5
	s_waitcnt lgkmcnt(0)
	v_mov_b32_e32 v23, v17
	v_cndmask_b32_e64 v20, v2, v11, s4
	v_cndmask_b32_e32 v22, v4, v13, vcc_lo
	v_cmp_gt_f64_e32 vcc_lo, 0, v[17:18]
	v_cmp_gt_f64_e64 s4, 0, v[15:16]
	v_xor_b32_e32 v11, 0x80000000, v16
	v_xor_b32_e32 v13, 0x80000000, v18
	v_add_f64 v[19:20], v[19:20], v[21:22]
	v_mov_b32_e32 v21, v15
	v_cndmask_b32_e32 v24, v18, v13, vcc_lo
	v_cndmask_b32_e64 v22, v16, v11, s4
	v_add_f64 v[21:22], v[21:22], v[23:24]
	v_cmp_lt_f64_e32 vcc_lo, v[19:20], v[21:22]
	v_cndmask_b32_e32 v2, v2, v16, vcc_lo
	v_cndmask_b32_e32 v1, v1, v15, vcc_lo
	;; [unrolled: 1-line block ×4, first 2 shown]
	v_cndmask_b32_e64 v10, v10, s48, vcc_lo
	s_add_i32 s48, s48, 1
	s_cmp_eq_u32 s57, s48
	s_cbranch_scc0 .LBB124_5
.LBB124_6:
	s_inst_prefetch 0x2
	s_waitcnt lgkmcnt(0)
	v_cmp_neq_f64_e32 vcc_lo, 0, v[1:2]
	v_cmp_neq_f64_e64 s4, 0, v[3:4]
	v_mov_b32_e32 v13, 1
	v_mov_b32_e32 v15, 1
	s_mov_b32 s51, 48
	s_mov_b32 s9, 64
	;; [unrolled: 1-line block ×52, first 2 shown]
	s_mov_b32 s25, vcc_hi
	s_mov_b32 s24, s16
	s_mov_b32 s23, s17
	;; [unrolled: 1-line block ×7, first 2 shown]
	s_or_b32 s16, vcc_lo, s4
	s_mov_b32 s11, 16
	s_mov_b32 s10, 32
	s_and_saveexec_b32 s4, s16
	s_mov_b32 s21, s13
	s_mov_b32 s79, s10
	;; [unrolled: 1-line block ×3, first 2 shown]
	s_cbranch_execz .LBB124_12
; %bb.7:
	v_cmp_ngt_f64_e64 s16, |v[1:2]|, |v[3:4]|
	s_and_saveexec_b32 s17, s16
	s_xor_b32 s16, exec_lo, s17
	s_cbranch_execz .LBB124_9
; %bb.8:
	v_div_scale_f64 v[15:16], null, v[3:4], v[3:4], v[1:2]
	v_div_scale_f64 v[21:22], vcc_lo, v[1:2], v[3:4], v[1:2]
	v_rcp_f64_e32 v[17:18], v[15:16]
	v_fma_f64 v[19:20], -v[15:16], v[17:18], 1.0
	v_fma_f64 v[17:18], v[17:18], v[19:20], v[17:18]
	v_fma_f64 v[19:20], -v[15:16], v[17:18], 1.0
	v_fma_f64 v[17:18], v[17:18], v[19:20], v[17:18]
	v_mul_f64 v[19:20], v[21:22], v[17:18]
	v_fma_f64 v[15:16], -v[15:16], v[19:20], v[21:22]
	v_div_fmas_f64 v[15:16], v[15:16], v[17:18], v[19:20]
	v_div_fixup_f64 v[15:16], v[15:16], v[3:4], v[1:2]
	v_fma_f64 v[1:2], v[1:2], v[15:16], v[3:4]
	v_div_scale_f64 v[3:4], null, v[1:2], v[1:2], 1.0
	v_rcp_f64_e32 v[17:18], v[3:4]
	v_fma_f64 v[19:20], -v[3:4], v[17:18], 1.0
	v_fma_f64 v[17:18], v[17:18], v[19:20], v[17:18]
	v_fma_f64 v[19:20], -v[3:4], v[17:18], 1.0
	v_fma_f64 v[17:18], v[17:18], v[19:20], v[17:18]
	v_div_scale_f64 v[19:20], vcc_lo, 1.0, v[1:2], 1.0
	v_mul_f64 v[21:22], v[19:20], v[17:18]
	v_fma_f64 v[3:4], -v[3:4], v[21:22], v[19:20]
	v_div_fmas_f64 v[3:4], v[3:4], v[17:18], v[21:22]
	v_div_fixup_f64 v[3:4], v[3:4], v[1:2], 1.0
	v_mul_f64 v[1:2], v[15:16], v[3:4]
	v_xor_b32_e32 v4, 0x80000000, v4
.LBB124_9:
	s_andn2_saveexec_b32 s16, s16
	s_cbranch_execz .LBB124_11
; %bb.10:
	v_div_scale_f64 v[15:16], null, v[1:2], v[1:2], v[3:4]
	v_div_scale_f64 v[21:22], vcc_lo, v[3:4], v[1:2], v[3:4]
	v_rcp_f64_e32 v[17:18], v[15:16]
	v_fma_f64 v[19:20], -v[15:16], v[17:18], 1.0
	v_fma_f64 v[17:18], v[17:18], v[19:20], v[17:18]
	v_fma_f64 v[19:20], -v[15:16], v[17:18], 1.0
	v_fma_f64 v[17:18], v[17:18], v[19:20], v[17:18]
	v_mul_f64 v[19:20], v[21:22], v[17:18]
	v_fma_f64 v[15:16], -v[15:16], v[19:20], v[21:22]
	v_div_fmas_f64 v[15:16], v[15:16], v[17:18], v[19:20]
	v_div_fixup_f64 v[15:16], v[15:16], v[1:2], v[3:4]
	v_fma_f64 v[1:2], v[3:4], v[15:16], v[1:2]
	v_div_scale_f64 v[3:4], null, v[1:2], v[1:2], 1.0
	v_rcp_f64_e32 v[17:18], v[3:4]
	v_fma_f64 v[19:20], -v[3:4], v[17:18], 1.0
	v_fma_f64 v[17:18], v[17:18], v[19:20], v[17:18]
	v_fma_f64 v[19:20], -v[3:4], v[17:18], 1.0
	v_fma_f64 v[17:18], v[17:18], v[19:20], v[17:18]
	v_div_scale_f64 v[19:20], vcc_lo, 1.0, v[1:2], 1.0
	v_mul_f64 v[21:22], v[19:20], v[17:18]
	v_fma_f64 v[3:4], -v[3:4], v[21:22], v[19:20]
	v_div_fmas_f64 v[3:4], v[3:4], v[17:18], v[21:22]
	v_div_fixup_f64 v[1:2], v[3:4], v[1:2], 1.0
	v_mul_f64 v[3:4], v[15:16], -v[1:2]
.LBB124_11:
	s_or_b32 exec_lo, exec_lo, s16
	v_mov_b32_e32 v15, 0
	v_mov_b32_e32 v13, 2
.LBB124_12:
	s_or_b32 exec_lo, exec_lo, s4
	s_mov_b32 s4, exec_lo
                                        ; implicit-def: $vgpr11
	v_cmpx_ne_u32_e64 v0, v10
	s_xor_b32 s4, exec_lo, s4
	s_cbranch_execz .LBB124_18
; %bb.13:
	s_mov_b32 s16, exec_lo
	v_cmpx_eq_u32_e32 0, v0
	s_cbranch_execz .LBB124_17
; %bb.14:
	v_cmp_ne_u32_e32 vcc_lo, 0, v10
	s_xor_b32 s17, s20, -1
	s_and_b32 s56, s17, vcc_lo
	s_and_saveexec_b32 s17, s56
	s_cbranch_execz .LBB124_16
; %bb.15:
	v_ashrrev_i32_e32 v11, 31, v10
	v_lshlrev_b64 v[16:17], 2, v[10:11]
	v_add_co_u32 v16, vcc_lo, v8, v16
	v_add_co_ci_u32_e64 v17, null, v9, v17, vcc_lo
	s_clause 0x1
	global_load_dword v0, v[16:17], off
	global_load_dword v5, v[8:9], off
	s_waitcnt vmcnt(1)
	global_store_dword v[8:9], v0, off
	s_waitcnt vmcnt(0)
	global_store_dword v[16:17], v5, off
.LBB124_16:
	s_or_b32 exec_lo, exec_lo, s17
	v_mov_b32_e32 v0, v10
.LBB124_17:
	s_or_b32 exec_lo, exec_lo, s16
	v_mov_b32_e32 v11, v0
                                        ; implicit-def: $vgpr0
.LBB124_18:
	s_or_saveexec_b32 s4, s4
	v_mov_b32_e32 v5, v11
	s_xor_b32 exec_lo, exec_lo, s4
	s_cbranch_execz .LBB124_22
; %bb.19:
	s_mov_b32 s16, 16
	.p2align	6
.LBB124_20:                             ; =>This Inner Loop Header: Depth=1
	v_mov_b32_e32 v5, s16
	s_clause 0x7
	buffer_load_dword v10, v5, s[0:3], 0 offen
	buffer_load_dword v11, v5, s[0:3], 0 offen offset:4
	buffer_load_dword v16, v5, s[0:3], 0 offen offset:8
	;; [unrolled: 1-line block ×7, first 2 shown]
	v_add_nc_u32_e32 v5, s16, v12
	s_add_i32 s16, s16, 32
	s_waitcnt vmcnt(4)
	ds_write2_b64 v5, v[10:11], v[16:17] offset1:1
	s_waitcnt vmcnt(0)
	ds_write2_b64 v5, v[18:19], v[20:21] offset0:2 offset1:3
	s_cmpk_eq_i32 s16, 0x3f0
	s_cbranch_scc0 .LBB124_20
; %bb.21:
	v_mov_b32_e32 v11, 0
	v_mov_b32_e32 v5, v0
.LBB124_22:
	s_or_b32 exec_lo, exec_lo, s4
	s_mov_b32 s4, exec_lo
	s_waitcnt lgkmcnt(0)
	s_waitcnt_vscnt null, 0x0
	s_barrier
	buffer_gl0_inv
	v_cmpx_lt_i32_e32 0, v11
	s_cbranch_execz .LBB124_25
; %bb.23:
	s_clause 0x3
	buffer_load_dword v16, off, s[0:3], 0 offset:8
	buffer_load_dword v17, off, s[0:3], 0 offset:12
	buffer_load_dword v18, off, s[0:3], 0
	buffer_load_dword v19, off, s[0:3], 0 offset:4
	s_mov_b32 s16, 16
	s_waitcnt vmcnt(2)
	v_mul_f64 v[20:21], v[3:4], v[16:17]
	v_mul_f64 v[16:17], v[1:2], v[16:17]
	s_waitcnt vmcnt(0)
	v_fma_f64 v[0:1], v[1:2], v[18:19], -v[20:21]
	v_fma_f64 v[2:3], v[3:4], v[18:19], v[16:17]
	buffer_store_dword v0, off, s[0:3], 0
	buffer_store_dword v1, off, s[0:3], 0 offset:4
	buffer_store_dword v2, off, s[0:3], 0 offset:8
	buffer_store_dword v3, off, s[0:3], 0 offset:12
.LBB124_24:                             ; =>This Inner Loop Header: Depth=1
	v_mov_b32_e32 v4, s16
	v_add_nc_u32_e32 v10, s16, v12
	s_add_i32 s16, s16, 32
	s_clause 0x7
	buffer_load_dword v24, v4, s[0:3], 0 offen
	buffer_load_dword v25, v4, s[0:3], 0 offen offset:4
	buffer_load_dword v26, v4, s[0:3], 0 offen offset:8
	;; [unrolled: 1-line block ×7, first 2 shown]
	ds_read2_b64 v[16:19], v10 offset1:1
	ds_read2_b64 v[20:23], v10 offset0:2 offset1:3
	s_cmpk_lg_i32 s16, 0x3f0
	s_waitcnt lgkmcnt(1)
	v_mul_f64 v[32:33], v[18:19], v[2:3]
	v_mul_f64 v[34:35], v[16:17], v[2:3]
	s_waitcnt lgkmcnt(0)
	v_mul_f64 v[36:37], v[22:23], v[2:3]
	v_mul_f64 v[38:39], v[20:21], v[2:3]
	v_fma_f64 v[16:17], v[16:17], v[0:1], -v[32:33]
	v_fma_f64 v[18:19], v[18:19], v[0:1], v[34:35]
	v_fma_f64 v[20:21], v[20:21], v[0:1], -v[36:37]
	v_fma_f64 v[22:23], v[22:23], v[0:1], v[38:39]
	s_waitcnt vmcnt(6)
	v_add_f64 v[16:17], v[24:25], -v[16:17]
	s_waitcnt vmcnt(4)
	v_add_f64 v[18:19], v[26:27], -v[18:19]
	;; [unrolled: 2-line block ×4, first 2 shown]
	buffer_store_dword v16, v4, s[0:3], 0 offen
	buffer_store_dword v17, v4, s[0:3], 0 offen offset:4
	buffer_store_dword v18, v4, s[0:3], 0 offen offset:8
	;; [unrolled: 1-line block ×7, first 2 shown]
	s_cbranch_scc1 .LBB124_24
.LBB124_25:
	s_or_b32 exec_lo, exec_lo, s4
	v_mov_b32_e32 v3, s88
	s_waitcnt_vscnt null, 0x0
	s_barrier
	buffer_gl0_inv
	v_lshl_add_u32 v4, v11, 4, v12
	s_clause 0x3
	buffer_load_dword v0, v3, s[0:3], 0 offen
	buffer_load_dword v1, v3, s[0:3], 0 offen offset:4
	buffer_load_dword v2, v3, s[0:3], 0 offen offset:8
	;; [unrolled: 1-line block ×3, first 2 shown]
	s_cmp_lt_i32 s57, 3
	s_waitcnt vmcnt(0)
	ds_write2_b64 v4, v[0:1], v[2:3] offset1:1
	s_waitcnt lgkmcnt(0)
	s_barrier
	buffer_gl0_inv
	ds_read2_b64 v[0:3], v12 offset0:2 offset1:3
	v_mov_b32_e32 v4, 1
	s_cbranch_scc1 .LBB124_28
; %bb.26:
	v_add3_u32 v10, v14, 0, 32
	v_mov_b32_e32 v4, 1
	s_mov_b32 s16, 2
	s_inst_prefetch 0x1
	.p2align	6
.LBB124_27:                             ; =>This Inner Loop Header: Depth=1
	s_waitcnt lgkmcnt(0)
	v_cmp_gt_f64_e32 vcc_lo, 0, v[2:3]
	v_cmp_gt_f64_e64 s4, 0, v[0:1]
	ds_read2_b64 v[16:19], v10 offset1:1
	v_xor_b32_e32 v21, 0x80000000, v1
	v_xor_b32_e32 v23, 0x80000000, v3
	v_mov_b32_e32 v20, v0
	v_mov_b32_e32 v22, v2
	v_add_nc_u32_e32 v10, 16, v10
	s_waitcnt lgkmcnt(0)
	v_xor_b32_e32 v25, 0x80000000, v19
	v_cndmask_b32_e64 v21, v1, v21, s4
	v_cndmask_b32_e32 v23, v3, v23, vcc_lo
	v_cmp_gt_f64_e32 vcc_lo, 0, v[18:19]
	v_cmp_gt_f64_e64 s4, 0, v[16:17]
	v_mov_b32_e32 v24, v18
	v_add_f64 v[20:21], v[20:21], v[22:23]
	v_xor_b32_e32 v23, 0x80000000, v17
	v_mov_b32_e32 v22, v16
	v_cndmask_b32_e32 v25, v19, v25, vcc_lo
	v_cndmask_b32_e64 v23, v17, v23, s4
	v_add_f64 v[22:23], v[22:23], v[24:25]
	v_cmp_lt_f64_e32 vcc_lo, v[20:21], v[22:23]
	v_cndmask_b32_e32 v1, v1, v17, vcc_lo
	v_cndmask_b32_e32 v0, v0, v16, vcc_lo
	;; [unrolled: 1-line block ×4, first 2 shown]
	v_cndmask_b32_e64 v4, v4, s16, vcc_lo
	s_add_i32 s16, s16, 1
	s_cmp_lg_u32 s57, s16
	s_cbranch_scc1 .LBB124_27
.LBB124_28:
	s_inst_prefetch 0x2
	s_waitcnt lgkmcnt(0)
	v_cmp_neq_f64_e32 vcc_lo, 0, v[0:1]
	v_cmp_neq_f64_e64 s4, 0, v[2:3]
	s_or_b32 s16, vcc_lo, s4
	s_and_saveexec_b32 s4, s16
	s_cbranch_execz .LBB124_34
; %bb.29:
	v_cmp_ngt_f64_e64 s16, |v[0:1]|, |v[2:3]|
	s_and_saveexec_b32 s17, s16
	s_xor_b32 s16, exec_lo, s17
	s_cbranch_execz .LBB124_31
; %bb.30:
	v_div_scale_f64 v[16:17], null, v[2:3], v[2:3], v[0:1]
	v_div_scale_f64 v[22:23], vcc_lo, v[0:1], v[2:3], v[0:1]
	v_rcp_f64_e32 v[18:19], v[16:17]
	v_fma_f64 v[20:21], -v[16:17], v[18:19], 1.0
	v_fma_f64 v[18:19], v[18:19], v[20:21], v[18:19]
	v_fma_f64 v[20:21], -v[16:17], v[18:19], 1.0
	v_fma_f64 v[18:19], v[18:19], v[20:21], v[18:19]
	v_mul_f64 v[20:21], v[22:23], v[18:19]
	v_fma_f64 v[16:17], -v[16:17], v[20:21], v[22:23]
	v_div_fmas_f64 v[16:17], v[16:17], v[18:19], v[20:21]
	v_div_fixup_f64 v[16:17], v[16:17], v[2:3], v[0:1]
	v_fma_f64 v[0:1], v[0:1], v[16:17], v[2:3]
	v_div_scale_f64 v[2:3], null, v[0:1], v[0:1], 1.0
	v_rcp_f64_e32 v[18:19], v[2:3]
	v_fma_f64 v[20:21], -v[2:3], v[18:19], 1.0
	v_fma_f64 v[18:19], v[18:19], v[20:21], v[18:19]
	v_fma_f64 v[20:21], -v[2:3], v[18:19], 1.0
	v_fma_f64 v[18:19], v[18:19], v[20:21], v[18:19]
	v_div_scale_f64 v[20:21], vcc_lo, 1.0, v[0:1], 1.0
	v_mul_f64 v[22:23], v[20:21], v[18:19]
	v_fma_f64 v[2:3], -v[2:3], v[22:23], v[20:21]
	v_div_fmas_f64 v[2:3], v[2:3], v[18:19], v[22:23]
	v_div_fixup_f64 v[2:3], v[2:3], v[0:1], 1.0
	v_mul_f64 v[0:1], v[16:17], v[2:3]
	v_xor_b32_e32 v3, 0x80000000, v3
.LBB124_31:
	s_andn2_saveexec_b32 s16, s16
	s_cbranch_execz .LBB124_33
; %bb.32:
	v_div_scale_f64 v[16:17], null, v[0:1], v[0:1], v[2:3]
	v_div_scale_f64 v[22:23], vcc_lo, v[2:3], v[0:1], v[2:3]
	v_rcp_f64_e32 v[18:19], v[16:17]
	v_fma_f64 v[20:21], -v[16:17], v[18:19], 1.0
	v_fma_f64 v[18:19], v[18:19], v[20:21], v[18:19]
	v_fma_f64 v[20:21], -v[16:17], v[18:19], 1.0
	v_fma_f64 v[18:19], v[18:19], v[20:21], v[18:19]
	v_mul_f64 v[20:21], v[22:23], v[18:19]
	v_fma_f64 v[16:17], -v[16:17], v[20:21], v[22:23]
	v_div_fmas_f64 v[16:17], v[16:17], v[18:19], v[20:21]
	v_div_fixup_f64 v[16:17], v[16:17], v[0:1], v[2:3]
	v_fma_f64 v[0:1], v[2:3], v[16:17], v[0:1]
	v_div_scale_f64 v[2:3], null, v[0:1], v[0:1], 1.0
	v_rcp_f64_e32 v[18:19], v[2:3]
	v_fma_f64 v[20:21], -v[2:3], v[18:19], 1.0
	v_fma_f64 v[18:19], v[18:19], v[20:21], v[18:19]
	v_fma_f64 v[20:21], -v[2:3], v[18:19], 1.0
	v_fma_f64 v[18:19], v[18:19], v[20:21], v[18:19]
	v_div_scale_f64 v[20:21], vcc_lo, 1.0, v[0:1], 1.0
	v_mul_f64 v[22:23], v[20:21], v[18:19]
	v_fma_f64 v[2:3], -v[2:3], v[22:23], v[20:21]
	v_div_fmas_f64 v[2:3], v[2:3], v[18:19], v[22:23]
	v_div_fixup_f64 v[0:1], v[2:3], v[0:1], 1.0
	v_mul_f64 v[2:3], v[16:17], -v[0:1]
.LBB124_33:
	s_or_b32 exec_lo, exec_lo, s16
	v_mov_b32_e32 v13, v15
.LBB124_34:
	s_or_b32 exec_lo, exec_lo, s4
	s_mov_b32 s4, exec_lo
	v_cmpx_ne_u32_e64 v11, v4
	s_xor_b32 s4, exec_lo, s4
	s_cbranch_execz .LBB124_40
; %bb.35:
	s_mov_b32 s16, exec_lo
	v_cmpx_eq_u32_e32 1, v11
	s_cbranch_execz .LBB124_39
; %bb.36:
	v_cmp_ne_u32_e32 vcc_lo, 1, v4
	s_xor_b32 s17, s20, -1
	s_and_b32 s56, s17, vcc_lo
	s_and_saveexec_b32 s17, s56
	s_cbranch_execz .LBB124_38
; %bb.37:
	v_ashrrev_i32_e32 v5, 31, v4
	v_lshlrev_b64 v[10:11], 2, v[4:5]
	v_add_co_u32 v10, vcc_lo, v8, v10
	v_add_co_ci_u32_e64 v11, null, v9, v11, vcc_lo
	s_clause 0x1
	global_load_dword v5, v[10:11], off
	global_load_dword v15, v[8:9], off offset:4
	s_waitcnt vmcnt(1)
	global_store_dword v[8:9], v5, off offset:4
	s_waitcnt vmcnt(0)
	global_store_dword v[10:11], v15, off
.LBB124_38:
	s_or_b32 exec_lo, exec_lo, s17
	v_mov_b32_e32 v11, v4
	v_mov_b32_e32 v5, v4
.LBB124_39:
	s_or_b32 exec_lo, exec_lo, s16
.LBB124_40:
	s_andn2_saveexec_b32 s4, s4
	s_cbranch_execz .LBB124_46
; %bb.41:
	s_mov_b32 s16, 32
	s_branch .LBB124_43
.LBB124_42:                             ;   in Loop: Header=BB124_43 Depth=1
	s_andn2_b32 vcc_lo, exec_lo, s56
	s_cbranch_vccz .LBB124_45
.LBB124_43:                             ; =>This Inner Loop Header: Depth=1
	v_mov_b32_e32 v4, s16
	s_mov_b32 s17, s16
	s_mov_b32 s56, -1
	s_cmpk_eq_i32 s16, 0x3a0
	s_clause 0x13
	buffer_load_dword v10, v4, s[0:3], 0 offen
	buffer_load_dword v11, v4, s[0:3], 0 offen offset:4
	buffer_load_dword v15, v4, s[0:3], 0 offen offset:8
	;; [unrolled: 1-line block ×19, first 2 shown]
	v_add_nc_u32_e32 v4, s16, v12
	s_waitcnt vmcnt(16)
	ds_write2_b64 v4, v[10:11], v[15:16] offset1:1
	s_waitcnt vmcnt(12)
	ds_write2_b64 v4, v[17:18], v[19:20] offset0:2 offset1:3
	s_waitcnt vmcnt(8)
	ds_write2_b64 v4, v[21:22], v[23:24] offset0:4 offset1:5
	;; [unrolled: 2-line block ×4, first 2 shown]
	s_cbranch_scc1 .LBB124_42
; %bb.44:                               ;   in Loop: Header=BB124_43 Depth=1
	v_mov_b32_e32 v24, s17
	s_addk_i32 s16, 0x80
	s_mov_b32 s56, 0
	s_clause 0xb
	buffer_load_dword v10, v24, s[0:3], 0 offen offset:80
	buffer_load_dword v11, v24, s[0:3], 0 offen offset:84
	;; [unrolled: 1-line block ×12, first 2 shown]
	s_waitcnt vmcnt(8)
	ds_write2_b64 v4, v[10:11], v[15:16] offset0:10 offset1:11
	s_waitcnt vmcnt(4)
	ds_write2_b64 v4, v[17:18], v[19:20] offset0:12 offset1:13
	;; [unrolled: 2-line block ×3, first 2 shown]
	s_branch .LBB124_42
.LBB124_45:
	v_mov_b32_e32 v11, 1
.LBB124_46:
	s_or_b32 exec_lo, exec_lo, s4
	s_mov_b32 s4, exec_lo
	s_waitcnt lgkmcnt(0)
	s_waitcnt_vscnt null, 0x0
	s_barrier
	buffer_gl0_inv
	v_cmpx_lt_i32_e32 1, v11
	s_cbranch_execz .LBB124_51
; %bb.47:
	s_clause 0x3
	buffer_load_dword v15, off, s[0:3], 0 offset:24
	buffer_load_dword v16, off, s[0:3], 0 offset:28
	;; [unrolled: 1-line block ×4, first 2 shown]
	s_mov_b32 s82, 32
	s_waitcnt vmcnt(2)
	v_mul_f64 v[19:20], v[2:3], v[15:16]
	v_mul_f64 v[15:16], v[0:1], v[15:16]
	s_waitcnt vmcnt(0)
	v_fma_f64 v[0:1], v[0:1], v[17:18], -v[19:20]
	v_fma_f64 v[2:3], v[2:3], v[17:18], v[15:16]
	buffer_store_dword v0, off, s[0:3], 0 offset:16
	buffer_store_dword v1, off, s[0:3], 0 offset:20
	;; [unrolled: 1-line block ×4, first 2 shown]
	s_branch .LBB124_49
.LBB124_48:                             ;   in Loop: Header=BB124_49 Depth=1
	s_andn2_b32 vcc_lo, exec_lo, s17
	s_cbranch_vccz .LBB124_51
.LBB124_49:                             ; =>This Inner Loop Header: Depth=1
	v_mov_b32_e32 v10, s82
	v_add_nc_u32_e32 v4, s82, v12
	s_mov_b32 s16, s82
	s_mov_b32 s17, -1
	s_cmpk_eq_i32 s82, 0x3e0
	s_clause 0x3
	buffer_load_dword v19, v10, s[0:3], 0 offen
	buffer_load_dword v20, v10, s[0:3], 0 offen offset:4
	buffer_load_dword v21, v10, s[0:3], 0 offen offset:8
	;; [unrolled: 1-line block ×3, first 2 shown]
	ds_read2_b64 v[15:18], v4 offset1:1
	s_waitcnt lgkmcnt(0)
	v_mul_f64 v[23:24], v[17:18], v[2:3]
	v_mul_f64 v[2:3], v[15:16], v[2:3]
	v_fma_f64 v[15:16], v[15:16], v[0:1], -v[23:24]
	v_fma_f64 v[0:1], v[17:18], v[0:1], v[2:3]
	s_waitcnt vmcnt(2)
	v_add_f64 v[2:3], v[19:20], -v[15:16]
	s_waitcnt vmcnt(0)
	v_add_f64 v[0:1], v[21:22], -v[0:1]
	buffer_store_dword v2, v10, s[0:3], 0 offen
	buffer_store_dword v3, v10, s[0:3], 0 offen offset:4
	buffer_store_dword v0, v10, s[0:3], 0 offen offset:8
	;; [unrolled: 1-line block ×3, first 2 shown]
                                        ; implicit-def: $vgpr0_vgpr1
                                        ; implicit-def: $vgpr2_vgpr3
	s_cbranch_scc1 .LBB124_48
; %bb.50:                               ;   in Loop: Header=BB124_49 Depth=1
	s_clause 0x3
	buffer_load_dword v2, off, s[0:3], 0 offset:24
	buffer_load_dword v3, off, s[0:3], 0 offset:28
	;; [unrolled: 1-line block ×4, first 2 shown]
	v_mov_b32_e32 v10, s16
	s_add_i32 s82, s82, 64
	s_mov_b32 s17, 0
	s_clause 0xb
	buffer_load_dword v27, v10, s[0:3], 0 offen offset:16
	buffer_load_dword v28, v10, s[0:3], 0 offen offset:20
	;; [unrolled: 1-line block ×12, first 2 shown]
	ds_read2_b64 v[15:18], v4 offset0:2 offset1:3
	ds_read2_b64 v[19:22], v4 offset0:4 offset1:5
	;; [unrolled: 1-line block ×3, first 2 shown]
	s_waitcnt vmcnt(14) lgkmcnt(2)
	v_mul_f64 v[39:40], v[17:18], v[2:3]
	v_mul_f64 v[41:42], v[15:16], v[2:3]
	s_waitcnt lgkmcnt(1)
	v_mul_f64 v[43:44], v[21:22], v[2:3]
	v_mul_f64 v[45:46], v[19:20], v[2:3]
	s_waitcnt lgkmcnt(0)
	v_mul_f64 v[47:48], v[25:26], v[2:3]
	v_mul_f64 v[49:50], v[23:24], v[2:3]
	s_waitcnt vmcnt(12)
	v_fma_f64 v[15:16], v[15:16], v[0:1], -v[39:40]
	v_fma_f64 v[17:18], v[17:18], v[0:1], v[41:42]
	v_fma_f64 v[19:20], v[19:20], v[0:1], -v[43:44]
	v_fma_f64 v[21:22], v[21:22], v[0:1], v[45:46]
	;; [unrolled: 2-line block ×3, first 2 shown]
	s_waitcnt vmcnt(10)
	v_add_f64 v[15:16], v[27:28], -v[15:16]
	s_waitcnt vmcnt(8)
	v_add_f64 v[17:18], v[29:30], -v[17:18]
	;; [unrolled: 2-line block ×6, first 2 shown]
	buffer_store_dword v15, v10, s[0:3], 0 offen offset:16
	buffer_store_dword v16, v10, s[0:3], 0 offen offset:20
	;; [unrolled: 1-line block ×12, first 2 shown]
	s_branch .LBB124_48
.LBB124_51:
	s_or_b32 exec_lo, exec_lo, s4
	v_mov_b32_e32 v3, s79
	s_waitcnt_vscnt null, 0x0
	s_barrier
	buffer_gl0_inv
	v_lshl_add_u32 v4, v11, 4, v12
	s_clause 0x3
	buffer_load_dword v0, v3, s[0:3], 0 offen
	buffer_load_dword v1, v3, s[0:3], 0 offen offset:4
	buffer_load_dword v2, v3, s[0:3], 0 offen offset:8
	;; [unrolled: 1-line block ×3, first 2 shown]
	s_cmp_lt_i32 s57, 4
	s_waitcnt vmcnt(0)
	ds_write2_b64 v4, v[0:1], v[2:3] offset1:1
	s_waitcnt lgkmcnt(0)
	s_barrier
	buffer_gl0_inv
	ds_read2_b64 v[0:3], v12 offset0:4 offset1:5
	v_mov_b32_e32 v4, 2
	s_cbranch_scc1 .LBB124_54
; %bb.52:
	v_add3_u32 v10, v14, 0, 48
	v_mov_b32_e32 v4, 2
	s_mov_b32 s16, 3
	s_inst_prefetch 0x1
	.p2align	6
.LBB124_53:                             ; =>This Inner Loop Header: Depth=1
	s_waitcnt lgkmcnt(0)
	v_cmp_gt_f64_e32 vcc_lo, 0, v[2:3]
	v_cmp_gt_f64_e64 s4, 0, v[0:1]
	ds_read2_b64 v[15:18], v10 offset1:1
	v_xor_b32_e32 v20, 0x80000000, v1
	v_xor_b32_e32 v22, 0x80000000, v3
	v_mov_b32_e32 v19, v0
	v_mov_b32_e32 v21, v2
	v_add_nc_u32_e32 v10, 16, v10
	s_waitcnt lgkmcnt(0)
	v_xor_b32_e32 v24, 0x80000000, v18
	v_cndmask_b32_e64 v20, v1, v20, s4
	v_cndmask_b32_e32 v22, v3, v22, vcc_lo
	v_cmp_gt_f64_e32 vcc_lo, 0, v[17:18]
	v_cmp_gt_f64_e64 s4, 0, v[15:16]
	v_mov_b32_e32 v23, v17
	v_add_f64 v[19:20], v[19:20], v[21:22]
	v_xor_b32_e32 v22, 0x80000000, v16
	v_mov_b32_e32 v21, v15
	v_cndmask_b32_e32 v24, v18, v24, vcc_lo
	v_cndmask_b32_e64 v22, v16, v22, s4
	v_add_f64 v[21:22], v[21:22], v[23:24]
	v_cmp_lt_f64_e32 vcc_lo, v[19:20], v[21:22]
	v_cndmask_b32_e32 v1, v1, v16, vcc_lo
	v_cndmask_b32_e32 v0, v0, v15, vcc_lo
	;; [unrolled: 1-line block ×4, first 2 shown]
	v_cndmask_b32_e64 v4, v4, s16, vcc_lo
	s_add_i32 s16, s16, 1
	s_cmp_lg_u32 s57, s16
	s_cbranch_scc1 .LBB124_53
.LBB124_54:
	s_inst_prefetch 0x2
	s_waitcnt lgkmcnt(0)
	v_cmp_eq_f64_e32 vcc_lo, 0, v[0:1]
	v_cmp_eq_f64_e64 s4, 0, v[2:3]
	s_and_b32 s4, vcc_lo, s4
	s_and_saveexec_b32 s16, s4
	s_xor_b32 s4, exec_lo, s16
; %bb.55:
	v_cmp_ne_u32_e32 vcc_lo, 0, v13
	v_cndmask_b32_e32 v13, 3, v13, vcc_lo
; %bb.56:
	s_andn2_saveexec_b32 s4, s4
	s_cbranch_execz .LBB124_62
; %bb.57:
	v_cmp_ngt_f64_e64 s16, |v[0:1]|, |v[2:3]|
	s_and_saveexec_b32 s17, s16
	s_xor_b32 s16, exec_lo, s17
	s_cbranch_execz .LBB124_59
; %bb.58:
	v_div_scale_f64 v[15:16], null, v[2:3], v[2:3], v[0:1]
	v_div_scale_f64 v[21:22], vcc_lo, v[0:1], v[2:3], v[0:1]
	v_rcp_f64_e32 v[17:18], v[15:16]
	v_fma_f64 v[19:20], -v[15:16], v[17:18], 1.0
	v_fma_f64 v[17:18], v[17:18], v[19:20], v[17:18]
	v_fma_f64 v[19:20], -v[15:16], v[17:18], 1.0
	v_fma_f64 v[17:18], v[17:18], v[19:20], v[17:18]
	v_mul_f64 v[19:20], v[21:22], v[17:18]
	v_fma_f64 v[15:16], -v[15:16], v[19:20], v[21:22]
	v_div_fmas_f64 v[15:16], v[15:16], v[17:18], v[19:20]
	v_div_fixup_f64 v[15:16], v[15:16], v[2:3], v[0:1]
	v_fma_f64 v[0:1], v[0:1], v[15:16], v[2:3]
	v_div_scale_f64 v[2:3], null, v[0:1], v[0:1], 1.0
	v_rcp_f64_e32 v[17:18], v[2:3]
	v_fma_f64 v[19:20], -v[2:3], v[17:18], 1.0
	v_fma_f64 v[17:18], v[17:18], v[19:20], v[17:18]
	v_fma_f64 v[19:20], -v[2:3], v[17:18], 1.0
	v_fma_f64 v[17:18], v[17:18], v[19:20], v[17:18]
	v_div_scale_f64 v[19:20], vcc_lo, 1.0, v[0:1], 1.0
	v_mul_f64 v[21:22], v[19:20], v[17:18]
	v_fma_f64 v[2:3], -v[2:3], v[21:22], v[19:20]
	v_div_fmas_f64 v[2:3], v[2:3], v[17:18], v[21:22]
	v_div_fixup_f64 v[2:3], v[2:3], v[0:1], 1.0
	v_mul_f64 v[0:1], v[15:16], v[2:3]
	v_xor_b32_e32 v3, 0x80000000, v3
.LBB124_59:
	s_andn2_saveexec_b32 s16, s16
	s_cbranch_execz .LBB124_61
; %bb.60:
	v_div_scale_f64 v[15:16], null, v[0:1], v[0:1], v[2:3]
	v_div_scale_f64 v[21:22], vcc_lo, v[2:3], v[0:1], v[2:3]
	v_rcp_f64_e32 v[17:18], v[15:16]
	v_fma_f64 v[19:20], -v[15:16], v[17:18], 1.0
	v_fma_f64 v[17:18], v[17:18], v[19:20], v[17:18]
	v_fma_f64 v[19:20], -v[15:16], v[17:18], 1.0
	v_fma_f64 v[17:18], v[17:18], v[19:20], v[17:18]
	v_mul_f64 v[19:20], v[21:22], v[17:18]
	v_fma_f64 v[15:16], -v[15:16], v[19:20], v[21:22]
	v_div_fmas_f64 v[15:16], v[15:16], v[17:18], v[19:20]
	v_div_fixup_f64 v[15:16], v[15:16], v[0:1], v[2:3]
	v_fma_f64 v[0:1], v[2:3], v[15:16], v[0:1]
	v_div_scale_f64 v[2:3], null, v[0:1], v[0:1], 1.0
	v_rcp_f64_e32 v[17:18], v[2:3]
	v_fma_f64 v[19:20], -v[2:3], v[17:18], 1.0
	v_fma_f64 v[17:18], v[17:18], v[19:20], v[17:18]
	v_fma_f64 v[19:20], -v[2:3], v[17:18], 1.0
	v_fma_f64 v[17:18], v[17:18], v[19:20], v[17:18]
	v_div_scale_f64 v[19:20], vcc_lo, 1.0, v[0:1], 1.0
	v_mul_f64 v[21:22], v[19:20], v[17:18]
	v_fma_f64 v[2:3], -v[2:3], v[21:22], v[19:20]
	v_div_fmas_f64 v[2:3], v[2:3], v[17:18], v[21:22]
	v_div_fixup_f64 v[0:1], v[2:3], v[0:1], 1.0
	v_mul_f64 v[2:3], v[15:16], -v[0:1]
.LBB124_61:
	s_or_b32 exec_lo, exec_lo, s16
.LBB124_62:
	s_or_b32 exec_lo, exec_lo, s4
	s_mov_b32 s4, exec_lo
	v_cmpx_ne_u32_e64 v11, v4
	s_xor_b32 s4, exec_lo, s4
	s_cbranch_execz .LBB124_68
; %bb.63:
	s_mov_b32 s16, exec_lo
	v_cmpx_eq_u32_e32 2, v11
	s_cbranch_execz .LBB124_67
; %bb.64:
	v_cmp_ne_u32_e32 vcc_lo, 2, v4
	s_xor_b32 s17, s20, -1
	s_and_b32 s56, s17, vcc_lo
	s_and_saveexec_b32 s17, s56
	s_cbranch_execz .LBB124_66
; %bb.65:
	v_ashrrev_i32_e32 v5, 31, v4
	v_lshlrev_b64 v[10:11], 2, v[4:5]
	v_add_co_u32 v10, vcc_lo, v8, v10
	v_add_co_ci_u32_e64 v11, null, v9, v11, vcc_lo
	s_clause 0x1
	global_load_dword v5, v[10:11], off
	global_load_dword v15, v[8:9], off offset:8
	s_waitcnt vmcnt(1)
	global_store_dword v[8:9], v5, off offset:8
	s_waitcnt vmcnt(0)
	global_store_dword v[10:11], v15, off
.LBB124_66:
	s_or_b32 exec_lo, exec_lo, s17
	v_mov_b32_e32 v11, v4
	v_mov_b32_e32 v5, v4
.LBB124_67:
	s_or_b32 exec_lo, exec_lo, s16
.LBB124_68:
	s_andn2_saveexec_b32 s4, s4
	s_cbranch_execz .LBB124_72
; %bb.69:
	s_mov_b32 s82, 48
.LBB124_70:                             ; =>This Inner Loop Header: Depth=1
	v_mov_b32_e32 v4, s82
	s_clause 0x3b
	buffer_load_dword v10, v4, s[0:3], 0 offen
	buffer_load_dword v11, v4, s[0:3], 0 offen offset:4
	buffer_load_dword v15, v4, s[0:3], 0 offen offset:8
	;; [unrolled: 1-line block ×59, first 2 shown]
	v_add_nc_u32_e32 v4, s82, v12
	s_addk_i32 s82, 0xf0
	s_waitcnt vmcnt(56)
	ds_write2_b64 v4, v[10:11], v[15:16] offset1:1
	s_waitcnt vmcnt(52)
	ds_write2_b64 v4, v[17:18], v[19:20] offset0:2 offset1:3
	s_waitcnt vmcnt(48)
	ds_write2_b64 v4, v[21:22], v[23:24] offset0:4 offset1:5
	;; [unrolled: 2-line block ×4, first 2 shown]
	ds_write2_b64 v4, v[33:34], v[31:32] offset0:10 offset1:11
	s_waitcnt vmcnt(28)
	ds_write2_b64 v4, v[43:44], v[37:38] offset0:12 offset1:13
	ds_write2_b64 v4, v[41:42], v[39:40] offset0:14 offset1:15
	s_waitcnt vmcnt(24)
	ds_write2_b64 v4, v[45:46], v[47:48] offset0:16 offset1:17
	s_waitcnt vmcnt(20)
	;; [unrolled: 2-line block ×7, first 2 shown]
	ds_write2_b64 v4, v[69:70], v[71:72] offset0:28 offset1:29
	s_cmpk_eq_i32 s82, 0x3f0
	s_cbranch_scc0 .LBB124_70
; %bb.71:
	v_mov_b32_e32 v11, 2
.LBB124_72:
	s_or_b32 exec_lo, exec_lo, s4
	s_mov_b32 s4, exec_lo
	s_waitcnt lgkmcnt(0)
	s_waitcnt_vscnt null, 0x0
	s_barrier
	buffer_gl0_inv
	v_cmpx_lt_i32_e32 2, v11
	s_cbranch_execz .LBB124_75
; %bb.73:
	s_clause 0x3
	buffer_load_dword v15, off, s[0:3], 0 offset:40
	buffer_load_dword v16, off, s[0:3], 0 offset:44
	;; [unrolled: 1-line block ×4, first 2 shown]
	s_mov_b32 s82, 48
	s_waitcnt vmcnt(2)
	v_mul_f64 v[19:20], v[2:3], v[15:16]
	v_mul_f64 v[15:16], v[0:1], v[15:16]
	s_waitcnt vmcnt(0)
	v_fma_f64 v[0:1], v[0:1], v[17:18], -v[19:20]
	v_fma_f64 v[2:3], v[2:3], v[17:18], v[15:16]
	buffer_store_dword v0, off, s[0:3], 0 offset:32
	buffer_store_dword v1, off, s[0:3], 0 offset:36
	;; [unrolled: 1-line block ×4, first 2 shown]
.LBB124_74:                             ; =>This Inner Loop Header: Depth=1
	v_mov_b32_e32 v4, s82
	v_add_nc_u32_e32 v10, s82, v12
	s_addk_i32 s82, 0x60
	s_clause 0x3
	buffer_load_dword v23, v4, s[0:3], 0 offen
	buffer_load_dword v24, v4, s[0:3], 0 offen offset:4
	buffer_load_dword v25, v4, s[0:3], 0 offen offset:8
	;; [unrolled: 1-line block ×3, first 2 shown]
	ds_read2_b64 v[15:18], v10 offset1:1
	ds_read2_b64 v[19:22], v10 offset0:2 offset1:3
	s_clause 0x7
	buffer_load_dword v27, v4, s[0:3], 0 offen offset:16
	buffer_load_dword v29, v4, s[0:3], 0 offen offset:24
	;; [unrolled: 1-line block ×8, first 2 shown]
	s_cmpk_lg_i32 s82, 0x3f0
	s_waitcnt lgkmcnt(1)
	v_mul_f64 v[36:37], v[17:18], v[2:3]
	v_mul_f64 v[2:3], v[15:16], v[2:3]
	v_fma_f64 v[15:16], v[15:16], v[0:1], -v[36:37]
	v_fma_f64 v[0:1], v[17:18], v[0:1], v[2:3]
	s_waitcnt vmcnt(10)
	v_add_f64 v[2:3], v[23:24], -v[15:16]
	s_waitcnt vmcnt(8)
	v_add_f64 v[0:1], v[25:26], -v[0:1]
	buffer_store_dword v3, v4, s[0:3], 0 offen offset:4
	buffer_store_dword v2, v4, s[0:3], 0 offen
	buffer_store_dword v1, v4, s[0:3], 0 offen offset:12
	buffer_store_dword v0, v4, s[0:3], 0 offen offset:8
	s_clause 0x7
	buffer_load_dword v1, off, s[0:3], 0 offset:44
	buffer_load_dword v0, off, s[0:3], 0 offset:40
	;; [unrolled: 1-line block ×4, first 2 shown]
	buffer_load_dword v31, v4, s[0:3], 0 offen offset:32
	buffer_load_dword v36, v4, s[0:3], 0 offen offset:44
	;; [unrolled: 1-line block ×4, first 2 shown]
	s_waitcnt vmcnt(6) lgkmcnt(0)
	v_mul_f64 v[15:16], v[21:22], v[0:1]
	v_mul_f64 v[0:1], v[19:20], v[0:1]
	s_waitcnt vmcnt(4)
	v_fma_f64 v[15:16], v[19:20], v[2:3], -v[15:16]
	v_fma_f64 v[0:1], v[21:22], v[2:3], v[0:1]
	v_add_f64 v[2:3], v[27:28], -v[15:16]
	v_add_f64 v[0:1], v[29:30], -v[0:1]
	buffer_store_dword v3, v4, s[0:3], 0 offen offset:20
	buffer_store_dword v2, v4, s[0:3], 0 offen offset:16
	;; [unrolled: 1-line block ×4, first 2 shown]
	s_clause 0xb
	buffer_load_dword v2, off, s[0:3], 0 offset:40
	buffer_load_dword v3, off, s[0:3], 0 offset:44
	;; [unrolled: 1-line block ×4, first 2 shown]
	buffer_load_dword v39, v4, s[0:3], 0 offen offset:64
	buffer_load_dword v40, v4, s[0:3], 0 offen offset:68
	;; [unrolled: 1-line block ×8, first 2 shown]
	ds_read2_b64 v[15:18], v10 offset0:4 offset1:5
	ds_read2_b64 v[19:22], v10 offset0:6 offset1:7
	;; [unrolled: 1-line block ×4, first 2 shown]
	s_waitcnt vmcnt(10) lgkmcnt(3)
	v_mul_f64 v[47:48], v[17:18], v[2:3]
	v_mul_f64 v[49:50], v[15:16], v[2:3]
	s_waitcnt lgkmcnt(2)
	v_mul_f64 v[51:52], v[21:22], v[2:3]
	v_mul_f64 v[53:54], v[19:20], v[2:3]
	s_waitcnt lgkmcnt(1)
	;; [unrolled: 3-line block ×3, first 2 shown]
	v_mul_f64 v[59:60], v[29:30], v[2:3]
	v_mul_f64 v[61:62], v[27:28], v[2:3]
	s_waitcnt vmcnt(8)
	v_fma_f64 v[15:16], v[15:16], v[0:1], -v[47:48]
	v_fma_f64 v[17:18], v[17:18], v[0:1], v[49:50]
	v_fma_f64 v[19:20], v[19:20], v[0:1], -v[51:52]
	v_fma_f64 v[21:22], v[21:22], v[0:1], v[53:54]
	;; [unrolled: 2-line block ×4, first 2 shown]
	v_add_f64 v[15:16], v[31:32], -v[15:16]
	v_add_f64 v[17:18], v[35:36], -v[17:18]
	;; [unrolled: 1-line block ×4, first 2 shown]
	s_waitcnt vmcnt(6)
	v_add_f64 v[23:24], v[39:40], -v[23:24]
	s_waitcnt vmcnt(4)
	v_add_f64 v[25:26], v[41:42], -v[25:26]
	;; [unrolled: 2-line block ×4, first 2 shown]
	buffer_store_dword v16, v4, s[0:3], 0 offen offset:36
	buffer_store_dword v15, v4, s[0:3], 0 offen offset:32
	;; [unrolled: 1-line block ×16, first 2 shown]
	s_cbranch_scc1 .LBB124_74
.LBB124_75:
	s_or_b32 exec_lo, exec_lo, s4
	v_mov_b32_e32 v3, s51
	s_waitcnt_vscnt null, 0x0
	s_barrier
	buffer_gl0_inv
	v_lshl_add_u32 v4, v11, 4, v12
	s_clause 0x3
	buffer_load_dword v0, v3, s[0:3], 0 offen
	buffer_load_dword v1, v3, s[0:3], 0 offen offset:4
	buffer_load_dword v2, v3, s[0:3], 0 offen offset:8
	;; [unrolled: 1-line block ×3, first 2 shown]
	s_cmp_lt_i32 s57, 5
	s_mov_b32 s16, 4
	s_waitcnt vmcnt(0)
	ds_write2_b64 v4, v[0:1], v[2:3] offset1:1
	s_waitcnt lgkmcnt(0)
	s_barrier
	buffer_gl0_inv
	ds_read2_b64 v[0:3], v12 offset0:6 offset1:7
	v_mov_b32_e32 v4, 3
	s_cbranch_scc1 .LBB124_78
; %bb.76:
	v_add3_u32 v10, v14, 0, 64
	v_mov_b32_e32 v4, 3
	s_inst_prefetch 0x1
	.p2align	6
.LBB124_77:                             ; =>This Inner Loop Header: Depth=1
	s_waitcnt lgkmcnt(0)
	v_cmp_gt_f64_e32 vcc_lo, 0, v[2:3]
	v_cmp_gt_f64_e64 s4, 0, v[0:1]
	ds_read2_b64 v[15:18], v10 offset1:1
	v_xor_b32_e32 v20, 0x80000000, v1
	v_xor_b32_e32 v22, 0x80000000, v3
	v_mov_b32_e32 v19, v0
	v_mov_b32_e32 v21, v2
	v_add_nc_u32_e32 v10, 16, v10
	s_waitcnt lgkmcnt(0)
	v_xor_b32_e32 v24, 0x80000000, v18
	v_cndmask_b32_e64 v20, v1, v20, s4
	v_cndmask_b32_e32 v22, v3, v22, vcc_lo
	v_cmp_gt_f64_e32 vcc_lo, 0, v[17:18]
	v_cmp_gt_f64_e64 s4, 0, v[15:16]
	v_mov_b32_e32 v23, v17
	v_add_f64 v[19:20], v[19:20], v[21:22]
	v_xor_b32_e32 v22, 0x80000000, v16
	v_mov_b32_e32 v21, v15
	v_cndmask_b32_e32 v24, v18, v24, vcc_lo
	v_cndmask_b32_e64 v22, v16, v22, s4
	v_add_f64 v[21:22], v[21:22], v[23:24]
	v_cmp_lt_f64_e32 vcc_lo, v[19:20], v[21:22]
	v_cndmask_b32_e32 v1, v1, v16, vcc_lo
	v_cndmask_b32_e32 v0, v0, v15, vcc_lo
	;; [unrolled: 1-line block ×4, first 2 shown]
	v_cndmask_b32_e64 v4, v4, s16, vcc_lo
	s_add_i32 s16, s16, 1
	s_cmp_lg_u32 s57, s16
	s_cbranch_scc1 .LBB124_77
.LBB124_78:
	s_inst_prefetch 0x2
	s_waitcnt lgkmcnt(0)
	v_cmp_eq_f64_e32 vcc_lo, 0, v[0:1]
	v_cmp_eq_f64_e64 s4, 0, v[2:3]
	s_and_b32 s4, vcc_lo, s4
	s_and_saveexec_b32 s16, s4
	s_xor_b32 s4, exec_lo, s16
; %bb.79:
	v_cmp_ne_u32_e32 vcc_lo, 0, v13
	v_cndmask_b32_e32 v13, 4, v13, vcc_lo
; %bb.80:
	s_andn2_saveexec_b32 s4, s4
	s_cbranch_execz .LBB124_86
; %bb.81:
	v_cmp_ngt_f64_e64 s16, |v[0:1]|, |v[2:3]|
	s_and_saveexec_b32 s17, s16
	s_xor_b32 s16, exec_lo, s17
	s_cbranch_execz .LBB124_83
; %bb.82:
	v_div_scale_f64 v[15:16], null, v[2:3], v[2:3], v[0:1]
	v_div_scale_f64 v[21:22], vcc_lo, v[0:1], v[2:3], v[0:1]
	v_rcp_f64_e32 v[17:18], v[15:16]
	v_fma_f64 v[19:20], -v[15:16], v[17:18], 1.0
	v_fma_f64 v[17:18], v[17:18], v[19:20], v[17:18]
	v_fma_f64 v[19:20], -v[15:16], v[17:18], 1.0
	v_fma_f64 v[17:18], v[17:18], v[19:20], v[17:18]
	v_mul_f64 v[19:20], v[21:22], v[17:18]
	v_fma_f64 v[15:16], -v[15:16], v[19:20], v[21:22]
	v_div_fmas_f64 v[15:16], v[15:16], v[17:18], v[19:20]
	v_div_fixup_f64 v[15:16], v[15:16], v[2:3], v[0:1]
	v_fma_f64 v[0:1], v[0:1], v[15:16], v[2:3]
	v_div_scale_f64 v[2:3], null, v[0:1], v[0:1], 1.0
	v_rcp_f64_e32 v[17:18], v[2:3]
	v_fma_f64 v[19:20], -v[2:3], v[17:18], 1.0
	v_fma_f64 v[17:18], v[17:18], v[19:20], v[17:18]
	v_fma_f64 v[19:20], -v[2:3], v[17:18], 1.0
	v_fma_f64 v[17:18], v[17:18], v[19:20], v[17:18]
	v_div_scale_f64 v[19:20], vcc_lo, 1.0, v[0:1], 1.0
	v_mul_f64 v[21:22], v[19:20], v[17:18]
	v_fma_f64 v[2:3], -v[2:3], v[21:22], v[19:20]
	v_div_fmas_f64 v[2:3], v[2:3], v[17:18], v[21:22]
	v_div_fixup_f64 v[2:3], v[2:3], v[0:1], 1.0
	v_mul_f64 v[0:1], v[15:16], v[2:3]
	v_xor_b32_e32 v3, 0x80000000, v3
.LBB124_83:
	s_andn2_saveexec_b32 s16, s16
	s_cbranch_execz .LBB124_85
; %bb.84:
	v_div_scale_f64 v[15:16], null, v[0:1], v[0:1], v[2:3]
	v_div_scale_f64 v[21:22], vcc_lo, v[2:3], v[0:1], v[2:3]
	v_rcp_f64_e32 v[17:18], v[15:16]
	v_fma_f64 v[19:20], -v[15:16], v[17:18], 1.0
	v_fma_f64 v[17:18], v[17:18], v[19:20], v[17:18]
	v_fma_f64 v[19:20], -v[15:16], v[17:18], 1.0
	v_fma_f64 v[17:18], v[17:18], v[19:20], v[17:18]
	v_mul_f64 v[19:20], v[21:22], v[17:18]
	v_fma_f64 v[15:16], -v[15:16], v[19:20], v[21:22]
	v_div_fmas_f64 v[15:16], v[15:16], v[17:18], v[19:20]
	v_div_fixup_f64 v[15:16], v[15:16], v[0:1], v[2:3]
	v_fma_f64 v[0:1], v[2:3], v[15:16], v[0:1]
	v_div_scale_f64 v[2:3], null, v[0:1], v[0:1], 1.0
	v_rcp_f64_e32 v[17:18], v[2:3]
	v_fma_f64 v[19:20], -v[2:3], v[17:18], 1.0
	v_fma_f64 v[17:18], v[17:18], v[19:20], v[17:18]
	v_fma_f64 v[19:20], -v[2:3], v[17:18], 1.0
	v_fma_f64 v[17:18], v[17:18], v[19:20], v[17:18]
	v_div_scale_f64 v[19:20], vcc_lo, 1.0, v[0:1], 1.0
	v_mul_f64 v[21:22], v[19:20], v[17:18]
	v_fma_f64 v[2:3], -v[2:3], v[21:22], v[19:20]
	v_div_fmas_f64 v[2:3], v[2:3], v[17:18], v[21:22]
	v_div_fixup_f64 v[0:1], v[2:3], v[0:1], 1.0
	v_mul_f64 v[2:3], v[15:16], -v[0:1]
.LBB124_85:
	s_or_b32 exec_lo, exec_lo, s16
.LBB124_86:
	s_or_b32 exec_lo, exec_lo, s4
	s_mov_b32 s4, exec_lo
	v_cmpx_ne_u32_e64 v11, v4
	s_xor_b32 s4, exec_lo, s4
	s_cbranch_execz .LBB124_92
; %bb.87:
	s_mov_b32 s16, exec_lo
	v_cmpx_eq_u32_e32 3, v11
	s_cbranch_execz .LBB124_91
; %bb.88:
	v_cmp_ne_u32_e32 vcc_lo, 3, v4
	s_xor_b32 s17, s20, -1
	s_and_b32 s56, s17, vcc_lo
	s_and_saveexec_b32 s17, s56
	s_cbranch_execz .LBB124_90
; %bb.89:
	v_ashrrev_i32_e32 v5, 31, v4
	v_lshlrev_b64 v[10:11], 2, v[4:5]
	v_add_co_u32 v10, vcc_lo, v8, v10
	v_add_co_ci_u32_e64 v11, null, v9, v11, vcc_lo
	s_clause 0x1
	global_load_dword v5, v[10:11], off
	global_load_dword v15, v[8:9], off offset:12
	s_waitcnt vmcnt(1)
	global_store_dword v[8:9], v5, off offset:12
	s_waitcnt vmcnt(0)
	global_store_dword v[10:11], v15, off
.LBB124_90:
	s_or_b32 exec_lo, exec_lo, s17
	v_mov_b32_e32 v11, v4
	v_mov_b32_e32 v5, v4
.LBB124_91:
	s_or_b32 exec_lo, exec_lo, s16
.LBB124_92:
	s_andn2_saveexec_b32 s4, s4
	s_cbranch_execz .LBB124_98
; %bb.93:
	s_mov_b32 s16, 64
	s_branch .LBB124_95
.LBB124_94:                             ;   in Loop: Header=BB124_95 Depth=1
	s_andn2_b32 vcc_lo, exec_lo, s56
	s_cbranch_vccz .LBB124_97
.LBB124_95:                             ; =>This Inner Loop Header: Depth=1
	v_mov_b32_e32 v4, s16
	s_mov_b32 s17, s16
	s_mov_b32 s56, -1
	s_cmpk_eq_i32 s16, 0x3c0
	s_clause 0xb
	buffer_load_dword v10, v4, s[0:3], 0 offen
	buffer_load_dword v11, v4, s[0:3], 0 offen offset:4
	buffer_load_dword v15, v4, s[0:3], 0 offen offset:8
	;; [unrolled: 1-line block ×11, first 2 shown]
	v_add_nc_u32_e32 v4, s16, v12
	s_waitcnt vmcnt(8)
	ds_write2_b64 v4, v[10:11], v[15:16] offset1:1
	s_waitcnt vmcnt(4)
	ds_write2_b64 v4, v[17:18], v[19:20] offset0:2 offset1:3
	s_waitcnt vmcnt(0)
	ds_write2_b64 v4, v[21:22], v[23:24] offset0:4 offset1:5
	s_cbranch_scc1 .LBB124_94
; %bb.96:                               ;   in Loop: Header=BB124_95 Depth=1
	v_mov_b32_e32 v31, s17
	s_addk_i32 s16, 0x80
	s_mov_b32 s56, 0
	s_clause 0x13
	buffer_load_dword v10, v31, s[0:3], 0 offen offset:48
	buffer_load_dword v11, v31, s[0:3], 0 offen offset:52
	;; [unrolled: 1-line block ×20, first 2 shown]
	s_waitcnt vmcnt(16)
	ds_write2_b64 v4, v[10:11], v[15:16] offset0:6 offset1:7
	s_waitcnt vmcnt(12)
	ds_write2_b64 v4, v[17:18], v[19:20] offset0:8 offset1:9
	;; [unrolled: 2-line block ×5, first 2 shown]
	s_branch .LBB124_94
.LBB124_97:
	v_mov_b32_e32 v11, 3
.LBB124_98:
	s_or_b32 exec_lo, exec_lo, s4
	s_mov_b32 s4, exec_lo
	s_waitcnt lgkmcnt(0)
	s_waitcnt_vscnt null, 0x0
	s_barrier
	buffer_gl0_inv
	v_cmpx_lt_i32_e32 3, v11
	s_cbranch_execz .LBB124_103
; %bb.99:
	s_clause 0x3
	buffer_load_dword v15, off, s[0:3], 0 offset:56
	buffer_load_dword v16, off, s[0:3], 0 offset:60
	;; [unrolled: 1-line block ×4, first 2 shown]
	s_mov_b32 s82, 64
	s_waitcnt vmcnt(2)
	v_mul_f64 v[19:20], v[2:3], v[15:16]
	v_mul_f64 v[15:16], v[0:1], v[15:16]
	s_waitcnt vmcnt(0)
	v_fma_f64 v[0:1], v[0:1], v[17:18], -v[19:20]
	v_fma_f64 v[2:3], v[2:3], v[17:18], v[15:16]
	buffer_store_dword v0, off, s[0:3], 0 offset:48
	buffer_store_dword v1, off, s[0:3], 0 offset:52
	buffer_store_dword v2, off, s[0:3], 0 offset:56
	buffer_store_dword v3, off, s[0:3], 0 offset:60
	s_branch .LBB124_101
.LBB124_100:                            ;   in Loop: Header=BB124_101 Depth=1
	s_andn2_b32 vcc_lo, exec_lo, s17
	s_cbranch_vccz .LBB124_103
.LBB124_101:                            ; =>This Inner Loop Header: Depth=1
	v_mov_b32_e32 v10, s82
	v_add_nc_u32_e32 v4, s82, v12
	s_mov_b32 s16, s82
	s_mov_b32 s17, -1
	s_cmpk_eq_i32 s82, 0x3c0
	s_clause 0x3
	buffer_load_dword v23, v10, s[0:3], 0 offen
	buffer_load_dword v24, v10, s[0:3], 0 offen offset:4
	buffer_load_dword v25, v10, s[0:3], 0 offen offset:8
	;; [unrolled: 1-line block ×3, first 2 shown]
	ds_read2_b64 v[15:18], v4 offset1:1
	ds_read2_b64 v[19:22], v4 offset0:2 offset1:3
	s_waitcnt lgkmcnt(1)
	v_mul_f64 v[27:28], v[17:18], v[2:3]
	v_mul_f64 v[2:3], v[15:16], v[2:3]
	v_fma_f64 v[15:16], v[15:16], v[0:1], -v[27:28]
	v_fma_f64 v[0:1], v[17:18], v[0:1], v[2:3]
	s_clause 0x2
	buffer_load_dword v2, v10, s[0:3], 0 offen offset:20
	buffer_load_dword v17, v10, s[0:3], 0 offen offset:28
	buffer_load_dword v18, v10, s[0:3], 0 offen offset:40
	s_waitcnt vmcnt(5)
	v_add_f64 v[15:16], v[23:24], -v[15:16]
	s_waitcnt vmcnt(3)
	v_add_f64 v[0:1], v[25:26], -v[0:1]
	buffer_store_dword v16, v10, s[0:3], 0 offen offset:4
	buffer_store_dword v15, v10, s[0:3], 0 offen
	buffer_store_dword v1, v10, s[0:3], 0 offen offset:12
	buffer_store_dword v0, v10, s[0:3], 0 offen offset:8
	s_clause 0x6
	buffer_load_dword v16, v10, s[0:3], 0 offen offset:24
	buffer_load_dword v23, v10, s[0:3], 0 offen offset:36
	buffer_load_dword v25, off, s[0:3], 0 offset:60
	buffer_load_dword v24, off, s[0:3], 0 offset:56
	;; [unrolled: 1-line block ×4, first 2 shown]
	buffer_load_dword v1, v10, s[0:3], 0 offen offset:16
	s_waitcnt vmcnt(3) lgkmcnt(0)
	v_mul_f64 v[28:29], v[21:22], v[24:25]
	v_mul_f64 v[24:25], v[19:20], v[24:25]
	s_waitcnt vmcnt(1)
	v_fma_f64 v[19:20], v[19:20], v[26:27], -v[28:29]
	v_fma_f64 v[21:22], v[21:22], v[26:27], v[24:25]
	s_waitcnt vmcnt(0)
	v_add_f64 v[0:1], v[1:2], -v[19:20]
	v_add_f64 v[2:3], v[16:17], -v[21:22]
	buffer_store_dword v1, v10, s[0:3], 0 offen offset:20
	buffer_store_dword v0, v10, s[0:3], 0 offen offset:16
	buffer_store_dword v3, v10, s[0:3], 0 offen offset:28
	buffer_store_dword v2, v10, s[0:3], 0 offen offset:24
	s_clause 0x5
	buffer_load_dword v19, v10, s[0:3], 0 offen offset:44
	buffer_load_dword v15, off, s[0:3], 0 offset:56
	buffer_load_dword v16, off, s[0:3], 0 offset:60
	;; [unrolled: 1-line block ×4, first 2 shown]
	buffer_load_dword v22, v10, s[0:3], 0 offen offset:32
	ds_read2_b64 v[0:3], v4 offset0:4 offset1:5
	s_waitcnt vmcnt(3) lgkmcnt(0)
	v_mul_f64 v[24:25], v[2:3], v[15:16]
	v_mul_f64 v[15:16], v[0:1], v[15:16]
	s_waitcnt vmcnt(1)
	v_fma_f64 v[0:1], v[0:1], v[20:21], -v[24:25]
	v_fma_f64 v[2:3], v[2:3], v[20:21], v[15:16]
	s_waitcnt vmcnt(0)
	v_add_f64 v[0:1], v[22:23], -v[0:1]
	v_add_f64 v[2:3], v[18:19], -v[2:3]
	buffer_store_dword v1, v10, s[0:3], 0 offen offset:36
	buffer_store_dword v0, v10, s[0:3], 0 offen offset:32
	;; [unrolled: 1-line block ×4, first 2 shown]
                                        ; implicit-def: $vgpr0_vgpr1
                                        ; implicit-def: $vgpr2_vgpr3
	s_cbranch_scc1 .LBB124_100
; %bb.102:                              ;   in Loop: Header=BB124_101 Depth=1
	s_clause 0x3
	buffer_load_dword v2, off, s[0:3], 0 offset:56
	buffer_load_dword v3, off, s[0:3], 0 offset:60
	;; [unrolled: 1-line block ×4, first 2 shown]
	v_mov_b32_e32 v10, s16
	s_add_i32 s82, s82, 64
	s_mov_b32 s17, 0
	s_clause 0x3
	buffer_load_dword v19, v10, s[0:3], 0 offen offset:48
	buffer_load_dword v20, v10, s[0:3], 0 offen offset:52
	buffer_load_dword v21, v10, s[0:3], 0 offen offset:56
	buffer_load_dword v22, v10, s[0:3], 0 offen offset:60
	ds_read2_b64 v[15:18], v4 offset0:6 offset1:7
	s_waitcnt vmcnt(6) lgkmcnt(0)
	v_mul_f64 v[23:24], v[17:18], v[2:3]
	v_mul_f64 v[25:26], v[15:16], v[2:3]
	s_waitcnt vmcnt(4)
	v_fma_f64 v[15:16], v[15:16], v[0:1], -v[23:24]
	v_fma_f64 v[17:18], v[17:18], v[0:1], v[25:26]
	s_waitcnt vmcnt(2)
	v_add_f64 v[15:16], v[19:20], -v[15:16]
	s_waitcnt vmcnt(0)
	v_add_f64 v[17:18], v[21:22], -v[17:18]
	buffer_store_dword v15, v10, s[0:3], 0 offen offset:48
	buffer_store_dword v16, v10, s[0:3], 0 offen offset:52
	;; [unrolled: 1-line block ×4, first 2 shown]
	s_branch .LBB124_100
.LBB124_103:
	s_or_b32 exec_lo, exec_lo, s4
	v_mov_b32_e32 v3, s9
	s_waitcnt_vscnt null, 0x0
	s_barrier
	buffer_gl0_inv
	v_lshl_add_u32 v4, v11, 4, v12
	s_clause 0x3
	buffer_load_dword v0, v3, s[0:3], 0 offen
	buffer_load_dword v1, v3, s[0:3], 0 offen offset:4
	buffer_load_dword v2, v3, s[0:3], 0 offen offset:8
	;; [unrolled: 1-line block ×3, first 2 shown]
	s_cmp_lt_i32 s57, 6
	s_waitcnt vmcnt(0)
	ds_write2_b64 v4, v[0:1], v[2:3] offset1:1
	s_waitcnt lgkmcnt(0)
	s_barrier
	buffer_gl0_inv
	ds_read2_b64 v[0:3], v12 offset0:8 offset1:9
	v_mov_b32_e32 v4, 4
	s_cbranch_scc1 .LBB124_106
; %bb.104:
	v_mov_b32_e32 v4, 4
	v_add3_u32 v10, v14, 0, 0x50
	s_mov_b32 s16, 5
	s_inst_prefetch 0x1
	.p2align	6
.LBB124_105:                            ; =>This Inner Loop Header: Depth=1
	s_waitcnt lgkmcnt(0)
	v_cmp_gt_f64_e32 vcc_lo, 0, v[2:3]
	v_cmp_gt_f64_e64 s4, 0, v[0:1]
	ds_read2_b64 v[15:18], v10 offset1:1
	v_xor_b32_e32 v20, 0x80000000, v1
	v_xor_b32_e32 v22, 0x80000000, v3
	v_mov_b32_e32 v19, v0
	v_mov_b32_e32 v21, v2
	v_add_nc_u32_e32 v10, 16, v10
	s_waitcnt lgkmcnt(0)
	v_xor_b32_e32 v24, 0x80000000, v18
	v_cndmask_b32_e64 v20, v1, v20, s4
	v_cndmask_b32_e32 v22, v3, v22, vcc_lo
	v_cmp_gt_f64_e32 vcc_lo, 0, v[17:18]
	v_cmp_gt_f64_e64 s4, 0, v[15:16]
	v_mov_b32_e32 v23, v17
	v_add_f64 v[19:20], v[19:20], v[21:22]
	v_xor_b32_e32 v22, 0x80000000, v16
	v_mov_b32_e32 v21, v15
	v_cndmask_b32_e32 v24, v18, v24, vcc_lo
	v_cndmask_b32_e64 v22, v16, v22, s4
	v_add_f64 v[21:22], v[21:22], v[23:24]
	v_cmp_lt_f64_e32 vcc_lo, v[19:20], v[21:22]
	v_cndmask_b32_e32 v1, v1, v16, vcc_lo
	v_cndmask_b32_e32 v0, v0, v15, vcc_lo
	;; [unrolled: 1-line block ×4, first 2 shown]
	v_cndmask_b32_e64 v4, v4, s16, vcc_lo
	s_add_i32 s16, s16, 1
	s_cmp_lg_u32 s57, s16
	s_cbranch_scc1 .LBB124_105
.LBB124_106:
	s_inst_prefetch 0x2
	s_waitcnt lgkmcnt(0)
	v_cmp_eq_f64_e32 vcc_lo, 0, v[0:1]
	v_cmp_eq_f64_e64 s4, 0, v[2:3]
	s_and_b32 s4, vcc_lo, s4
	s_and_saveexec_b32 s16, s4
	s_xor_b32 s4, exec_lo, s16
; %bb.107:
	v_cmp_ne_u32_e32 vcc_lo, 0, v13
	v_cndmask_b32_e32 v13, 5, v13, vcc_lo
; %bb.108:
	s_andn2_saveexec_b32 s4, s4
	s_cbranch_execz .LBB124_114
; %bb.109:
	v_cmp_ngt_f64_e64 s16, |v[0:1]|, |v[2:3]|
	s_and_saveexec_b32 s17, s16
	s_xor_b32 s16, exec_lo, s17
	s_cbranch_execz .LBB124_111
; %bb.110:
	v_div_scale_f64 v[15:16], null, v[2:3], v[2:3], v[0:1]
	v_div_scale_f64 v[21:22], vcc_lo, v[0:1], v[2:3], v[0:1]
	v_rcp_f64_e32 v[17:18], v[15:16]
	v_fma_f64 v[19:20], -v[15:16], v[17:18], 1.0
	v_fma_f64 v[17:18], v[17:18], v[19:20], v[17:18]
	v_fma_f64 v[19:20], -v[15:16], v[17:18], 1.0
	v_fma_f64 v[17:18], v[17:18], v[19:20], v[17:18]
	v_mul_f64 v[19:20], v[21:22], v[17:18]
	v_fma_f64 v[15:16], -v[15:16], v[19:20], v[21:22]
	v_div_fmas_f64 v[15:16], v[15:16], v[17:18], v[19:20]
	v_div_fixup_f64 v[15:16], v[15:16], v[2:3], v[0:1]
	v_fma_f64 v[0:1], v[0:1], v[15:16], v[2:3]
	v_div_scale_f64 v[2:3], null, v[0:1], v[0:1], 1.0
	v_rcp_f64_e32 v[17:18], v[2:3]
	v_fma_f64 v[19:20], -v[2:3], v[17:18], 1.0
	v_fma_f64 v[17:18], v[17:18], v[19:20], v[17:18]
	v_fma_f64 v[19:20], -v[2:3], v[17:18], 1.0
	v_fma_f64 v[17:18], v[17:18], v[19:20], v[17:18]
	v_div_scale_f64 v[19:20], vcc_lo, 1.0, v[0:1], 1.0
	v_mul_f64 v[21:22], v[19:20], v[17:18]
	v_fma_f64 v[2:3], -v[2:3], v[21:22], v[19:20]
	v_div_fmas_f64 v[2:3], v[2:3], v[17:18], v[21:22]
	v_div_fixup_f64 v[2:3], v[2:3], v[0:1], 1.0
	v_mul_f64 v[0:1], v[15:16], v[2:3]
	v_xor_b32_e32 v3, 0x80000000, v3
.LBB124_111:
	s_andn2_saveexec_b32 s16, s16
	s_cbranch_execz .LBB124_113
; %bb.112:
	v_div_scale_f64 v[15:16], null, v[0:1], v[0:1], v[2:3]
	v_div_scale_f64 v[21:22], vcc_lo, v[2:3], v[0:1], v[2:3]
	v_rcp_f64_e32 v[17:18], v[15:16]
	v_fma_f64 v[19:20], -v[15:16], v[17:18], 1.0
	v_fma_f64 v[17:18], v[17:18], v[19:20], v[17:18]
	v_fma_f64 v[19:20], -v[15:16], v[17:18], 1.0
	v_fma_f64 v[17:18], v[17:18], v[19:20], v[17:18]
	v_mul_f64 v[19:20], v[21:22], v[17:18]
	v_fma_f64 v[15:16], -v[15:16], v[19:20], v[21:22]
	v_div_fmas_f64 v[15:16], v[15:16], v[17:18], v[19:20]
	v_div_fixup_f64 v[15:16], v[15:16], v[0:1], v[2:3]
	v_fma_f64 v[0:1], v[2:3], v[15:16], v[0:1]
	v_div_scale_f64 v[2:3], null, v[0:1], v[0:1], 1.0
	v_rcp_f64_e32 v[17:18], v[2:3]
	v_fma_f64 v[19:20], -v[2:3], v[17:18], 1.0
	v_fma_f64 v[17:18], v[17:18], v[19:20], v[17:18]
	v_fma_f64 v[19:20], -v[2:3], v[17:18], 1.0
	v_fma_f64 v[17:18], v[17:18], v[19:20], v[17:18]
	v_div_scale_f64 v[19:20], vcc_lo, 1.0, v[0:1], 1.0
	v_mul_f64 v[21:22], v[19:20], v[17:18]
	v_fma_f64 v[2:3], -v[2:3], v[21:22], v[19:20]
	v_div_fmas_f64 v[2:3], v[2:3], v[17:18], v[21:22]
	v_div_fixup_f64 v[0:1], v[2:3], v[0:1], 1.0
	v_mul_f64 v[2:3], v[15:16], -v[0:1]
.LBB124_113:
	s_or_b32 exec_lo, exec_lo, s16
.LBB124_114:
	s_or_b32 exec_lo, exec_lo, s4
	s_mov_b32 s4, exec_lo
	v_cmpx_ne_u32_e64 v11, v4
	s_xor_b32 s4, exec_lo, s4
	s_cbranch_execz .LBB124_120
; %bb.115:
	s_mov_b32 s16, exec_lo
	v_cmpx_eq_u32_e32 4, v11
	s_cbranch_execz .LBB124_119
; %bb.116:
	v_cmp_ne_u32_e32 vcc_lo, 4, v4
	s_xor_b32 s17, s20, -1
	s_and_b32 s56, s17, vcc_lo
	s_and_saveexec_b32 s17, s56
	s_cbranch_execz .LBB124_118
; %bb.117:
	v_ashrrev_i32_e32 v5, 31, v4
	v_lshlrev_b64 v[10:11], 2, v[4:5]
	v_add_co_u32 v10, vcc_lo, v8, v10
	v_add_co_ci_u32_e64 v11, null, v9, v11, vcc_lo
	s_clause 0x1
	global_load_dword v5, v[10:11], off
	global_load_dword v15, v[8:9], off offset:16
	s_waitcnt vmcnt(1)
	global_store_dword v[8:9], v5, off offset:16
	s_waitcnt vmcnt(0)
	global_store_dword v[10:11], v15, off
.LBB124_118:
	s_or_b32 exec_lo, exec_lo, s17
	v_mov_b32_e32 v11, v4
	v_mov_b32_e32 v5, v4
.LBB124_119:
	s_or_b32 exec_lo, exec_lo, s16
.LBB124_120:
	s_andn2_saveexec_b32 s4, s4
	s_cbranch_execz .LBB124_124
; %bb.121:
	s_movk_i32 s16, 0x50
	.p2align	6
.LBB124_122:                            ; =>This Inner Loop Header: Depth=1
	v_mov_b32_e32 v4, s16
	s_clause 0x7
	buffer_load_dword v10, v4, s[0:3], 0 offen
	buffer_load_dword v11, v4, s[0:3], 0 offen offset:4
	buffer_load_dword v15, v4, s[0:3], 0 offen offset:8
	;; [unrolled: 1-line block ×7, first 2 shown]
	v_add_nc_u32_e32 v4, s16, v12
	s_add_i32 s16, s16, 32
	s_waitcnt vmcnt(4)
	ds_write2_b64 v4, v[10:11], v[15:16] offset1:1
	s_waitcnt vmcnt(0)
	ds_write2_b64 v4, v[17:18], v[19:20] offset0:2 offset1:3
	s_cmpk_eq_i32 s16, 0x3f0
	s_cbranch_scc0 .LBB124_122
; %bb.123:
	v_mov_b32_e32 v11, 4
.LBB124_124:
	s_or_b32 exec_lo, exec_lo, s4
	s_mov_b32 s4, exec_lo
	s_waitcnt lgkmcnt(0)
	s_waitcnt_vscnt null, 0x0
	s_barrier
	buffer_gl0_inv
	v_cmpx_lt_i32_e32 4, v11
	s_cbranch_execz .LBB124_127
; %bb.125:
	s_clause 0x3
	buffer_load_dword v15, off, s[0:3], 0 offset:72
	buffer_load_dword v16, off, s[0:3], 0 offset:76
	;; [unrolled: 1-line block ×4, first 2 shown]
	s_movk_i32 s16, 0x50
	s_waitcnt vmcnt(2)
	v_mul_f64 v[19:20], v[2:3], v[15:16]
	v_mul_f64 v[15:16], v[0:1], v[15:16]
	s_waitcnt vmcnt(0)
	v_fma_f64 v[0:1], v[0:1], v[17:18], -v[19:20]
	v_fma_f64 v[2:3], v[2:3], v[17:18], v[15:16]
	buffer_store_dword v0, off, s[0:3], 0 offset:64
	buffer_store_dword v1, off, s[0:3], 0 offset:68
	;; [unrolled: 1-line block ×4, first 2 shown]
.LBB124_126:                            ; =>This Inner Loop Header: Depth=1
	s_clause 0x3
	buffer_load_dword v19, off, s[0:3], 0 offset:72
	buffer_load_dword v20, off, s[0:3], 0 offset:76
	;; [unrolled: 1-line block ×4, first 2 shown]
	v_mov_b32_e32 v4, s16
	v_add_nc_u32_e32 v10, s16, v12
	s_add_i32 s16, s16, 32
	s_clause 0x3
	buffer_load_dword v23, v4, s[0:3], 0 offen
	buffer_load_dword v24, v4, s[0:3], 0 offen offset:4
	buffer_load_dword v25, v4, s[0:3], 0 offen offset:8
	;; [unrolled: 1-line block ×3, first 2 shown]
	ds_read2_b64 v[0:3], v10 offset1:1
	ds_read2_b64 v[15:18], v10 offset0:2 offset1:3
	s_cmpk_lg_i32 s16, 0x3f0
	s_waitcnt vmcnt(6) lgkmcnt(1)
	v_mul_f64 v[27:28], v[2:3], v[19:20]
	v_mul_f64 v[19:20], v[0:1], v[19:20]
	s_waitcnt vmcnt(4)
	v_fma_f64 v[0:1], v[0:1], v[21:22], -v[27:28]
	v_fma_f64 v[2:3], v[2:3], v[21:22], v[19:20]
	s_clause 0x3
	buffer_load_dword v19, v4, s[0:3], 0 offen offset:16
	buffer_load_dword v20, v4, s[0:3], 0 offen offset:20
	;; [unrolled: 1-line block ×4, first 2 shown]
	s_waitcnt vmcnt(6)
	v_add_f64 v[0:1], v[23:24], -v[0:1]
	s_waitcnt vmcnt(4)
	v_add_f64 v[2:3], v[25:26], -v[2:3]
	buffer_store_dword v1, v4, s[0:3], 0 offen offset:4
	buffer_store_dword v0, v4, s[0:3], 0 offen
	buffer_store_dword v3, v4, s[0:3], 0 offen offset:12
	buffer_store_dword v2, v4, s[0:3], 0 offen offset:8
	s_clause 0x3
	buffer_load_dword v1, off, s[0:3], 0 offset:76
	buffer_load_dword v0, off, s[0:3], 0 offset:72
	;; [unrolled: 1-line block ×4, first 2 shown]
	s_waitcnt vmcnt(2) lgkmcnt(0)
	v_mul_f64 v[23:24], v[17:18], v[0:1]
	v_mul_f64 v[0:1], v[15:16], v[0:1]
	s_waitcnt vmcnt(0)
	v_fma_f64 v[15:16], v[15:16], v[2:3], -v[23:24]
	v_fma_f64 v[0:1], v[17:18], v[2:3], v[0:1]
	v_add_f64 v[2:3], v[19:20], -v[15:16]
	v_add_f64 v[0:1], v[21:22], -v[0:1]
	buffer_store_dword v3, v4, s[0:3], 0 offen offset:20
	buffer_store_dword v2, v4, s[0:3], 0 offen offset:16
	;; [unrolled: 1-line block ×4, first 2 shown]
	s_cbranch_scc1 .LBB124_126
.LBB124_127:
	s_or_b32 exec_lo, exec_lo, s4
	v_mov_b32_e32 v3, s78
	s_waitcnt_vscnt null, 0x0
	s_barrier
	buffer_gl0_inv
	v_lshl_add_u32 v4, v11, 4, v12
	s_clause 0x3
	buffer_load_dword v0, v3, s[0:3], 0 offen
	buffer_load_dword v1, v3, s[0:3], 0 offen offset:4
	buffer_load_dword v2, v3, s[0:3], 0 offen offset:8
	;; [unrolled: 1-line block ×3, first 2 shown]
	s_cmp_lt_i32 s57, 7
	s_waitcnt vmcnt(0)
	ds_write2_b64 v4, v[0:1], v[2:3] offset1:1
	s_waitcnt lgkmcnt(0)
	s_barrier
	buffer_gl0_inv
	ds_read2_b64 v[0:3], v12 offset0:10 offset1:11
	v_mov_b32_e32 v4, 5
	s_cbranch_scc1 .LBB124_130
; %bb.128:
	v_add3_u32 v10, v14, 0, 0x60
	v_mov_b32_e32 v4, 5
	s_mov_b32 s16, 6
	s_inst_prefetch 0x1
	.p2align	6
.LBB124_129:                            ; =>This Inner Loop Header: Depth=1
	s_waitcnt lgkmcnt(0)
	v_cmp_gt_f64_e32 vcc_lo, 0, v[2:3]
	v_cmp_gt_f64_e64 s4, 0, v[0:1]
	ds_read2_b64 v[15:18], v10 offset1:1
	v_xor_b32_e32 v20, 0x80000000, v1
	v_xor_b32_e32 v22, 0x80000000, v3
	v_mov_b32_e32 v19, v0
	v_mov_b32_e32 v21, v2
	v_add_nc_u32_e32 v10, 16, v10
	s_waitcnt lgkmcnt(0)
	v_xor_b32_e32 v24, 0x80000000, v18
	v_cndmask_b32_e64 v20, v1, v20, s4
	v_cndmask_b32_e32 v22, v3, v22, vcc_lo
	v_cmp_gt_f64_e32 vcc_lo, 0, v[17:18]
	v_cmp_gt_f64_e64 s4, 0, v[15:16]
	v_mov_b32_e32 v23, v17
	v_add_f64 v[19:20], v[19:20], v[21:22]
	v_xor_b32_e32 v22, 0x80000000, v16
	v_mov_b32_e32 v21, v15
	v_cndmask_b32_e32 v24, v18, v24, vcc_lo
	v_cndmask_b32_e64 v22, v16, v22, s4
	v_add_f64 v[21:22], v[21:22], v[23:24]
	v_cmp_lt_f64_e32 vcc_lo, v[19:20], v[21:22]
	v_cndmask_b32_e32 v1, v1, v16, vcc_lo
	v_cndmask_b32_e32 v0, v0, v15, vcc_lo
	;; [unrolled: 1-line block ×4, first 2 shown]
	v_cndmask_b32_e64 v4, v4, s16, vcc_lo
	s_add_i32 s16, s16, 1
	s_cmp_lg_u32 s57, s16
	s_cbranch_scc1 .LBB124_129
.LBB124_130:
	s_inst_prefetch 0x2
	s_waitcnt lgkmcnt(0)
	v_cmp_eq_f64_e32 vcc_lo, 0, v[0:1]
	v_cmp_eq_f64_e64 s4, 0, v[2:3]
	s_and_b32 s4, vcc_lo, s4
	s_and_saveexec_b32 s16, s4
	s_xor_b32 s4, exec_lo, s16
; %bb.131:
	v_cmp_ne_u32_e32 vcc_lo, 0, v13
	v_cndmask_b32_e32 v13, 6, v13, vcc_lo
; %bb.132:
	s_andn2_saveexec_b32 s4, s4
	s_cbranch_execz .LBB124_138
; %bb.133:
	v_cmp_ngt_f64_e64 s16, |v[0:1]|, |v[2:3]|
	s_and_saveexec_b32 s17, s16
	s_xor_b32 s16, exec_lo, s17
	s_cbranch_execz .LBB124_135
; %bb.134:
	v_div_scale_f64 v[15:16], null, v[2:3], v[2:3], v[0:1]
	v_div_scale_f64 v[21:22], vcc_lo, v[0:1], v[2:3], v[0:1]
	v_rcp_f64_e32 v[17:18], v[15:16]
	v_fma_f64 v[19:20], -v[15:16], v[17:18], 1.0
	v_fma_f64 v[17:18], v[17:18], v[19:20], v[17:18]
	v_fma_f64 v[19:20], -v[15:16], v[17:18], 1.0
	v_fma_f64 v[17:18], v[17:18], v[19:20], v[17:18]
	v_mul_f64 v[19:20], v[21:22], v[17:18]
	v_fma_f64 v[15:16], -v[15:16], v[19:20], v[21:22]
	v_div_fmas_f64 v[15:16], v[15:16], v[17:18], v[19:20]
	v_div_fixup_f64 v[15:16], v[15:16], v[2:3], v[0:1]
	v_fma_f64 v[0:1], v[0:1], v[15:16], v[2:3]
	v_div_scale_f64 v[2:3], null, v[0:1], v[0:1], 1.0
	v_rcp_f64_e32 v[17:18], v[2:3]
	v_fma_f64 v[19:20], -v[2:3], v[17:18], 1.0
	v_fma_f64 v[17:18], v[17:18], v[19:20], v[17:18]
	v_fma_f64 v[19:20], -v[2:3], v[17:18], 1.0
	v_fma_f64 v[17:18], v[17:18], v[19:20], v[17:18]
	v_div_scale_f64 v[19:20], vcc_lo, 1.0, v[0:1], 1.0
	v_mul_f64 v[21:22], v[19:20], v[17:18]
	v_fma_f64 v[2:3], -v[2:3], v[21:22], v[19:20]
	v_div_fmas_f64 v[2:3], v[2:3], v[17:18], v[21:22]
	v_div_fixup_f64 v[2:3], v[2:3], v[0:1], 1.0
	v_mul_f64 v[0:1], v[15:16], v[2:3]
	v_xor_b32_e32 v3, 0x80000000, v3
.LBB124_135:
	s_andn2_saveexec_b32 s16, s16
	s_cbranch_execz .LBB124_137
; %bb.136:
	v_div_scale_f64 v[15:16], null, v[0:1], v[0:1], v[2:3]
	v_div_scale_f64 v[21:22], vcc_lo, v[2:3], v[0:1], v[2:3]
	v_rcp_f64_e32 v[17:18], v[15:16]
	v_fma_f64 v[19:20], -v[15:16], v[17:18], 1.0
	v_fma_f64 v[17:18], v[17:18], v[19:20], v[17:18]
	v_fma_f64 v[19:20], -v[15:16], v[17:18], 1.0
	v_fma_f64 v[17:18], v[17:18], v[19:20], v[17:18]
	v_mul_f64 v[19:20], v[21:22], v[17:18]
	v_fma_f64 v[15:16], -v[15:16], v[19:20], v[21:22]
	v_div_fmas_f64 v[15:16], v[15:16], v[17:18], v[19:20]
	v_div_fixup_f64 v[15:16], v[15:16], v[0:1], v[2:3]
	v_fma_f64 v[0:1], v[2:3], v[15:16], v[0:1]
	v_div_scale_f64 v[2:3], null, v[0:1], v[0:1], 1.0
	v_rcp_f64_e32 v[17:18], v[2:3]
	v_fma_f64 v[19:20], -v[2:3], v[17:18], 1.0
	v_fma_f64 v[17:18], v[17:18], v[19:20], v[17:18]
	v_fma_f64 v[19:20], -v[2:3], v[17:18], 1.0
	v_fma_f64 v[17:18], v[17:18], v[19:20], v[17:18]
	v_div_scale_f64 v[19:20], vcc_lo, 1.0, v[0:1], 1.0
	v_mul_f64 v[21:22], v[19:20], v[17:18]
	v_fma_f64 v[2:3], -v[2:3], v[21:22], v[19:20]
	v_div_fmas_f64 v[2:3], v[2:3], v[17:18], v[21:22]
	v_div_fixup_f64 v[0:1], v[2:3], v[0:1], 1.0
	v_mul_f64 v[2:3], v[15:16], -v[0:1]
.LBB124_137:
	s_or_b32 exec_lo, exec_lo, s16
.LBB124_138:
	s_or_b32 exec_lo, exec_lo, s4
	s_mov_b32 s4, exec_lo
	v_cmpx_ne_u32_e64 v11, v4
	s_xor_b32 s4, exec_lo, s4
	s_cbranch_execz .LBB124_144
; %bb.139:
	s_mov_b32 s16, exec_lo
	v_cmpx_eq_u32_e32 5, v11
	s_cbranch_execz .LBB124_143
; %bb.140:
	v_cmp_ne_u32_e32 vcc_lo, 5, v4
	s_xor_b32 s17, s20, -1
	s_and_b32 s56, s17, vcc_lo
	s_and_saveexec_b32 s17, s56
	s_cbranch_execz .LBB124_142
; %bb.141:
	v_ashrrev_i32_e32 v5, 31, v4
	v_lshlrev_b64 v[10:11], 2, v[4:5]
	v_add_co_u32 v10, vcc_lo, v8, v10
	v_add_co_ci_u32_e64 v11, null, v9, v11, vcc_lo
	s_clause 0x1
	global_load_dword v5, v[10:11], off
	global_load_dword v15, v[8:9], off offset:20
	s_waitcnt vmcnt(1)
	global_store_dword v[8:9], v5, off offset:20
	s_waitcnt vmcnt(0)
	global_store_dword v[10:11], v15, off
.LBB124_142:
	s_or_b32 exec_lo, exec_lo, s17
	v_mov_b32_e32 v11, v4
	v_mov_b32_e32 v5, v4
.LBB124_143:
	s_or_b32 exec_lo, exec_lo, s16
.LBB124_144:
	s_andn2_saveexec_b32 s4, s4
	s_cbranch_execz .LBB124_148
; %bb.145:
	s_movk_i32 s16, 0x60
	s_inst_prefetch 0x1
	.p2align	6
.LBB124_146:                            ; =>This Inner Loop Header: Depth=1
	v_mov_b32_e32 v4, s16
	s_clause 0xb
	buffer_load_dword v10, v4, s[0:3], 0 offen
	buffer_load_dword v11, v4, s[0:3], 0 offen offset:4
	buffer_load_dword v15, v4, s[0:3], 0 offen offset:8
	buffer_load_dword v16, v4, s[0:3], 0 offen offset:12
	buffer_load_dword v17, v4, s[0:3], 0 offen offset:16
	buffer_load_dword v18, v4, s[0:3], 0 offen offset:20
	buffer_load_dword v19, v4, s[0:3], 0 offen offset:24
	buffer_load_dword v20, v4, s[0:3], 0 offen offset:28
	buffer_load_dword v21, v4, s[0:3], 0 offen offset:32
	buffer_load_dword v22, v4, s[0:3], 0 offen offset:36
	buffer_load_dword v23, v4, s[0:3], 0 offen offset:40
	buffer_load_dword v24, v4, s[0:3], 0 offen offset:44
	v_add_nc_u32_e32 v4, s16, v12
	s_add_i32 s16, s16, 48
	s_waitcnt vmcnt(8)
	ds_write2_b64 v4, v[10:11], v[15:16] offset1:1
	s_waitcnt vmcnt(4)
	ds_write2_b64 v4, v[17:18], v[19:20] offset0:2 offset1:3
	s_waitcnt vmcnt(0)
	ds_write2_b64 v4, v[21:22], v[23:24] offset0:4 offset1:5
	s_cmpk_eq_i32 s16, 0x3f0
	s_cbranch_scc0 .LBB124_146
; %bb.147:
	s_inst_prefetch 0x2
	v_mov_b32_e32 v11, 5
.LBB124_148:
	s_or_b32 exec_lo, exec_lo, s4
	s_mov_b32 s4, exec_lo
	s_waitcnt lgkmcnt(0)
	s_waitcnt_vscnt null, 0x0
	s_barrier
	buffer_gl0_inv
	v_cmpx_lt_i32_e32 5, v11
	s_cbranch_execz .LBB124_151
; %bb.149:
	s_clause 0x3
	buffer_load_dword v15, off, s[0:3], 0 offset:88
	buffer_load_dword v16, off, s[0:3], 0 offset:92
	;; [unrolled: 1-line block ×4, first 2 shown]
	s_movk_i32 s16, 0x60
	s_waitcnt vmcnt(2)
	v_mul_f64 v[19:20], v[2:3], v[15:16]
	v_mul_f64 v[15:16], v[0:1], v[15:16]
	s_waitcnt vmcnt(0)
	v_fma_f64 v[0:1], v[0:1], v[17:18], -v[19:20]
	v_fma_f64 v[2:3], v[2:3], v[17:18], v[15:16]
	buffer_store_dword v0, off, s[0:3], 0 offset:80
	buffer_store_dword v1, off, s[0:3], 0 offset:84
	;; [unrolled: 1-line block ×4, first 2 shown]
.LBB124_150:                            ; =>This Inner Loop Header: Depth=1
	s_clause 0x3
	buffer_load_dword v19, off, s[0:3], 0 offset:88
	buffer_load_dword v20, off, s[0:3], 0 offset:92
	;; [unrolled: 1-line block ×4, first 2 shown]
	v_mov_b32_e32 v4, s16
	v_add_nc_u32_e32 v10, s16, v12
	s_add_i32 s16, s16, 48
	s_clause 0x3
	buffer_load_dword v23, v4, s[0:3], 0 offen
	buffer_load_dword v24, v4, s[0:3], 0 offen offset:4
	buffer_load_dword v25, v4, s[0:3], 0 offen offset:8
	;; [unrolled: 1-line block ×3, first 2 shown]
	ds_read2_b64 v[0:3], v10 offset1:1
	ds_read2_b64 v[15:18], v10 offset0:2 offset1:3
	s_cmpk_lg_i32 s16, 0x3f0
	s_waitcnt vmcnt(6) lgkmcnt(1)
	v_mul_f64 v[27:28], v[2:3], v[19:20]
	v_mul_f64 v[19:20], v[0:1], v[19:20]
	s_waitcnt vmcnt(4)
	v_fma_f64 v[0:1], v[0:1], v[21:22], -v[27:28]
	v_fma_f64 v[2:3], v[2:3], v[21:22], v[19:20]
	s_clause 0x3
	buffer_load_dword v19, v4, s[0:3], 0 offen offset:16
	buffer_load_dword v20, v4, s[0:3], 0 offen offset:20
	;; [unrolled: 1-line block ×4, first 2 shown]
	s_waitcnt vmcnt(6)
	v_add_f64 v[0:1], v[23:24], -v[0:1]
	s_waitcnt vmcnt(4)
	v_add_f64 v[2:3], v[25:26], -v[2:3]
	buffer_store_dword v1, v4, s[0:3], 0 offen offset:4
	buffer_store_dword v0, v4, s[0:3], 0 offen
	buffer_store_dword v3, v4, s[0:3], 0 offen offset:12
	buffer_store_dword v2, v4, s[0:3], 0 offen offset:8
	s_clause 0x3
	buffer_load_dword v1, off, s[0:3], 0 offset:92
	buffer_load_dword v0, off, s[0:3], 0 offset:88
	;; [unrolled: 1-line block ×4, first 2 shown]
	s_waitcnt vmcnt(2) lgkmcnt(0)
	v_mul_f64 v[23:24], v[17:18], v[0:1]
	v_mul_f64 v[0:1], v[15:16], v[0:1]
	s_waitcnt vmcnt(0)
	v_fma_f64 v[15:16], v[15:16], v[2:3], -v[23:24]
	v_fma_f64 v[0:1], v[17:18], v[2:3], v[0:1]
	v_add_f64 v[2:3], v[19:20], -v[15:16]
	v_add_f64 v[0:1], v[21:22], -v[0:1]
	s_clause 0x3
	buffer_load_dword v15, v4, s[0:3], 0 offen offset:32
	buffer_load_dword v16, v4, s[0:3], 0 offen offset:36
	;; [unrolled: 1-line block ×4, first 2 shown]
	buffer_store_dword v3, v4, s[0:3], 0 offen offset:20
	buffer_store_dword v2, v4, s[0:3], 0 offen offset:16
	;; [unrolled: 1-line block ×4, first 2 shown]
	s_clause 0x3
	buffer_load_dword v19, off, s[0:3], 0 offset:88
	buffer_load_dword v20, off, s[0:3], 0 offset:92
	;; [unrolled: 1-line block ×4, first 2 shown]
	ds_read2_b64 v[0:3], v10 offset0:4 offset1:5
	s_waitcnt vmcnt(2) lgkmcnt(0)
	v_mul_f64 v[23:24], v[2:3], v[19:20]
	v_mul_f64 v[19:20], v[0:1], v[19:20]
	s_waitcnt vmcnt(0)
	v_fma_f64 v[0:1], v[0:1], v[21:22], -v[23:24]
	v_fma_f64 v[2:3], v[2:3], v[21:22], v[19:20]
	v_add_f64 v[0:1], v[15:16], -v[0:1]
	v_add_f64 v[2:3], v[17:18], -v[2:3]
	buffer_store_dword v1, v4, s[0:3], 0 offen offset:36
	buffer_store_dword v0, v4, s[0:3], 0 offen offset:32
	;; [unrolled: 1-line block ×4, first 2 shown]
	s_cbranch_scc1 .LBB124_150
.LBB124_151:
	s_or_b32 exec_lo, exec_lo, s4
	v_mov_b32_e32 v3, s77
	s_waitcnt_vscnt null, 0x0
	s_barrier
	buffer_gl0_inv
	v_lshl_add_u32 v4, v11, 4, v12
	s_clause 0x3
	buffer_load_dword v0, v3, s[0:3], 0 offen
	buffer_load_dword v1, v3, s[0:3], 0 offen offset:4
	buffer_load_dword v2, v3, s[0:3], 0 offen offset:8
	;; [unrolled: 1-line block ×3, first 2 shown]
	s_cmp_lt_i32 s57, 8
	s_waitcnt vmcnt(0)
	ds_write2_b64 v4, v[0:1], v[2:3] offset1:1
	s_waitcnt lgkmcnt(0)
	s_barrier
	buffer_gl0_inv
	ds_read2_b64 v[0:3], v12 offset0:12 offset1:13
	v_mov_b32_e32 v4, 6
	s_cbranch_scc1 .LBB124_154
; %bb.152:
	v_add3_u32 v10, v14, 0, 0x70
	v_mov_b32_e32 v4, 6
	s_mov_b32 s16, 7
	s_inst_prefetch 0x1
	.p2align	6
.LBB124_153:                            ; =>This Inner Loop Header: Depth=1
	s_waitcnt lgkmcnt(0)
	v_cmp_gt_f64_e32 vcc_lo, 0, v[2:3]
	v_cmp_gt_f64_e64 s4, 0, v[0:1]
	ds_read2_b64 v[15:18], v10 offset1:1
	v_xor_b32_e32 v20, 0x80000000, v1
	v_xor_b32_e32 v22, 0x80000000, v3
	v_mov_b32_e32 v19, v0
	v_mov_b32_e32 v21, v2
	v_add_nc_u32_e32 v10, 16, v10
	s_waitcnt lgkmcnt(0)
	v_xor_b32_e32 v24, 0x80000000, v18
	v_cndmask_b32_e64 v20, v1, v20, s4
	v_cndmask_b32_e32 v22, v3, v22, vcc_lo
	v_cmp_gt_f64_e32 vcc_lo, 0, v[17:18]
	v_cmp_gt_f64_e64 s4, 0, v[15:16]
	v_mov_b32_e32 v23, v17
	v_add_f64 v[19:20], v[19:20], v[21:22]
	v_xor_b32_e32 v22, 0x80000000, v16
	v_mov_b32_e32 v21, v15
	v_cndmask_b32_e32 v24, v18, v24, vcc_lo
	v_cndmask_b32_e64 v22, v16, v22, s4
	v_add_f64 v[21:22], v[21:22], v[23:24]
	v_cmp_lt_f64_e32 vcc_lo, v[19:20], v[21:22]
	v_cndmask_b32_e32 v1, v1, v16, vcc_lo
	v_cndmask_b32_e32 v0, v0, v15, vcc_lo
	;; [unrolled: 1-line block ×4, first 2 shown]
	v_cndmask_b32_e64 v4, v4, s16, vcc_lo
	s_add_i32 s16, s16, 1
	s_cmp_lg_u32 s57, s16
	s_cbranch_scc1 .LBB124_153
.LBB124_154:
	s_inst_prefetch 0x2
	s_waitcnt lgkmcnt(0)
	v_cmp_eq_f64_e32 vcc_lo, 0, v[0:1]
	v_cmp_eq_f64_e64 s4, 0, v[2:3]
	s_and_b32 s4, vcc_lo, s4
	s_and_saveexec_b32 s16, s4
	s_xor_b32 s4, exec_lo, s16
; %bb.155:
	v_cmp_ne_u32_e32 vcc_lo, 0, v13
	v_cndmask_b32_e32 v13, 7, v13, vcc_lo
; %bb.156:
	s_andn2_saveexec_b32 s4, s4
	s_cbranch_execz .LBB124_162
; %bb.157:
	v_cmp_ngt_f64_e64 s16, |v[0:1]|, |v[2:3]|
	s_and_saveexec_b32 s17, s16
	s_xor_b32 s16, exec_lo, s17
	s_cbranch_execz .LBB124_159
; %bb.158:
	v_div_scale_f64 v[15:16], null, v[2:3], v[2:3], v[0:1]
	v_div_scale_f64 v[21:22], vcc_lo, v[0:1], v[2:3], v[0:1]
	v_rcp_f64_e32 v[17:18], v[15:16]
	v_fma_f64 v[19:20], -v[15:16], v[17:18], 1.0
	v_fma_f64 v[17:18], v[17:18], v[19:20], v[17:18]
	v_fma_f64 v[19:20], -v[15:16], v[17:18], 1.0
	v_fma_f64 v[17:18], v[17:18], v[19:20], v[17:18]
	v_mul_f64 v[19:20], v[21:22], v[17:18]
	v_fma_f64 v[15:16], -v[15:16], v[19:20], v[21:22]
	v_div_fmas_f64 v[15:16], v[15:16], v[17:18], v[19:20]
	v_div_fixup_f64 v[15:16], v[15:16], v[2:3], v[0:1]
	v_fma_f64 v[0:1], v[0:1], v[15:16], v[2:3]
	v_div_scale_f64 v[2:3], null, v[0:1], v[0:1], 1.0
	v_rcp_f64_e32 v[17:18], v[2:3]
	v_fma_f64 v[19:20], -v[2:3], v[17:18], 1.0
	v_fma_f64 v[17:18], v[17:18], v[19:20], v[17:18]
	v_fma_f64 v[19:20], -v[2:3], v[17:18], 1.0
	v_fma_f64 v[17:18], v[17:18], v[19:20], v[17:18]
	v_div_scale_f64 v[19:20], vcc_lo, 1.0, v[0:1], 1.0
	v_mul_f64 v[21:22], v[19:20], v[17:18]
	v_fma_f64 v[2:3], -v[2:3], v[21:22], v[19:20]
	v_div_fmas_f64 v[2:3], v[2:3], v[17:18], v[21:22]
	v_div_fixup_f64 v[2:3], v[2:3], v[0:1], 1.0
	v_mul_f64 v[0:1], v[15:16], v[2:3]
	v_xor_b32_e32 v3, 0x80000000, v3
.LBB124_159:
	s_andn2_saveexec_b32 s16, s16
	s_cbranch_execz .LBB124_161
; %bb.160:
	v_div_scale_f64 v[15:16], null, v[0:1], v[0:1], v[2:3]
	v_div_scale_f64 v[21:22], vcc_lo, v[2:3], v[0:1], v[2:3]
	v_rcp_f64_e32 v[17:18], v[15:16]
	v_fma_f64 v[19:20], -v[15:16], v[17:18], 1.0
	v_fma_f64 v[17:18], v[17:18], v[19:20], v[17:18]
	v_fma_f64 v[19:20], -v[15:16], v[17:18], 1.0
	v_fma_f64 v[17:18], v[17:18], v[19:20], v[17:18]
	v_mul_f64 v[19:20], v[21:22], v[17:18]
	v_fma_f64 v[15:16], -v[15:16], v[19:20], v[21:22]
	v_div_fmas_f64 v[15:16], v[15:16], v[17:18], v[19:20]
	v_div_fixup_f64 v[15:16], v[15:16], v[0:1], v[2:3]
	v_fma_f64 v[0:1], v[2:3], v[15:16], v[0:1]
	v_div_scale_f64 v[2:3], null, v[0:1], v[0:1], 1.0
	v_rcp_f64_e32 v[17:18], v[2:3]
	v_fma_f64 v[19:20], -v[2:3], v[17:18], 1.0
	v_fma_f64 v[17:18], v[17:18], v[19:20], v[17:18]
	v_fma_f64 v[19:20], -v[2:3], v[17:18], 1.0
	v_fma_f64 v[17:18], v[17:18], v[19:20], v[17:18]
	v_div_scale_f64 v[19:20], vcc_lo, 1.0, v[0:1], 1.0
	v_mul_f64 v[21:22], v[19:20], v[17:18]
	v_fma_f64 v[2:3], -v[2:3], v[21:22], v[19:20]
	v_div_fmas_f64 v[2:3], v[2:3], v[17:18], v[21:22]
	v_div_fixup_f64 v[0:1], v[2:3], v[0:1], 1.0
	v_mul_f64 v[2:3], v[15:16], -v[0:1]
.LBB124_161:
	s_or_b32 exec_lo, exec_lo, s16
.LBB124_162:
	s_or_b32 exec_lo, exec_lo, s4
	s_mov_b32 s4, exec_lo
	v_cmpx_ne_u32_e64 v11, v4
	s_xor_b32 s4, exec_lo, s4
	s_cbranch_execz .LBB124_168
; %bb.163:
	s_mov_b32 s16, exec_lo
	v_cmpx_eq_u32_e32 6, v11
	s_cbranch_execz .LBB124_167
; %bb.164:
	v_cmp_ne_u32_e32 vcc_lo, 6, v4
	s_xor_b32 s17, s20, -1
	s_and_b32 s56, s17, vcc_lo
	s_and_saveexec_b32 s17, s56
	s_cbranch_execz .LBB124_166
; %bb.165:
	v_ashrrev_i32_e32 v5, 31, v4
	v_lshlrev_b64 v[10:11], 2, v[4:5]
	v_add_co_u32 v10, vcc_lo, v8, v10
	v_add_co_ci_u32_e64 v11, null, v9, v11, vcc_lo
	s_clause 0x1
	global_load_dword v5, v[10:11], off
	global_load_dword v15, v[8:9], off offset:24
	s_waitcnt vmcnt(1)
	global_store_dword v[8:9], v5, off offset:24
	s_waitcnt vmcnt(0)
	global_store_dword v[10:11], v15, off
.LBB124_166:
	s_or_b32 exec_lo, exec_lo, s17
	v_mov_b32_e32 v11, v4
	v_mov_b32_e32 v5, v4
.LBB124_167:
	s_or_b32 exec_lo, exec_lo, s16
.LBB124_168:
	s_andn2_saveexec_b32 s4, s4
	s_cbranch_execz .LBB124_172
; %bb.169:
	s_movk_i32 s16, 0x70
.LBB124_170:                            ; =>This Inner Loop Header: Depth=1
	v_mov_b32_e32 v4, s16
	s_clause 0x37
	buffer_load_dword v10, v4, s[0:3], 0 offen
	buffer_load_dword v11, v4, s[0:3], 0 offen offset:4
	buffer_load_dword v15, v4, s[0:3], 0 offen offset:8
	;; [unrolled: 1-line block ×55, first 2 shown]
	v_add_nc_u32_e32 v4, s16, v12
	s_addk_i32 s16, 0xe0
	s_waitcnt vmcnt(52)
	ds_write2_b64 v4, v[10:11], v[15:16] offset1:1
	s_waitcnt vmcnt(48)
	ds_write2_b64 v4, v[17:18], v[19:20] offset0:2 offset1:3
	s_waitcnt vmcnt(44)
	ds_write2_b64 v4, v[21:22], v[23:24] offset0:4 offset1:5
	;; [unrolled: 2-line block ×4, first 2 shown]
	ds_write2_b64 v4, v[33:34], v[31:32] offset0:10 offset1:11
	s_waitcnt vmcnt(24)
	ds_write2_b64 v4, v[43:44], v[37:38] offset0:12 offset1:13
	ds_write2_b64 v4, v[41:42], v[39:40] offset0:14 offset1:15
	s_waitcnt vmcnt(20)
	ds_write2_b64 v4, v[45:46], v[47:48] offset0:16 offset1:17
	s_waitcnt vmcnt(16)
	;; [unrolled: 2-line block ×6, first 2 shown]
	ds_write2_b64 v4, v[65:66], v[67:68] offset0:26 offset1:27
	s_cmpk_eq_i32 s16, 0x3f0
	s_cbranch_scc0 .LBB124_170
; %bb.171:
	v_mov_b32_e32 v11, 6
.LBB124_172:
	s_or_b32 exec_lo, exec_lo, s4
	s_mov_b32 s4, exec_lo
	s_waitcnt lgkmcnt(0)
	s_waitcnt_vscnt null, 0x0
	s_barrier
	buffer_gl0_inv
	v_cmpx_lt_i32_e32 6, v11
	s_cbranch_execz .LBB124_175
; %bb.173:
	s_clause 0x3
	buffer_load_dword v15, off, s[0:3], 0 offset:104
	buffer_load_dword v16, off, s[0:3], 0 offset:108
	buffer_load_dword v17, off, s[0:3], 0 offset:96
	buffer_load_dword v18, off, s[0:3], 0 offset:100
	s_movk_i32 s82, 0x70
	s_waitcnt vmcnt(2)
	v_mul_f64 v[19:20], v[2:3], v[15:16]
	v_mul_f64 v[15:16], v[0:1], v[15:16]
	s_waitcnt vmcnt(0)
	v_fma_f64 v[0:1], v[0:1], v[17:18], -v[19:20]
	v_fma_f64 v[2:3], v[2:3], v[17:18], v[15:16]
	buffer_store_dword v0, off, s[0:3], 0 offset:96
	buffer_store_dword v1, off, s[0:3], 0 offset:100
	;; [unrolled: 1-line block ×4, first 2 shown]
.LBB124_174:                            ; =>This Inner Loop Header: Depth=1
	v_mov_b32_e32 v10, s82
	v_add_nc_u32_e32 v38, s82, v12
	s_addk_i32 s82, 0x70
	s_clause 0x3
	buffer_load_dword v23, v10, s[0:3], 0 offen
	buffer_load_dword v24, v10, s[0:3], 0 offen offset:4
	buffer_load_dword v25, v10, s[0:3], 0 offen offset:8
	;; [unrolled: 1-line block ×3, first 2 shown]
	ds_read2_b64 v[15:18], v38 offset1:1
	ds_read2_b64 v[19:22], v38 offset0:2 offset1:3
	s_clause 0x7
	buffer_load_dword v27, v10, s[0:3], 0 offen offset:16
	buffer_load_dword v29, v10, s[0:3], 0 offen offset:24
	;; [unrolled: 1-line block ×8, first 2 shown]
	s_cmpk_lg_i32 s82, 0x3f0
	s_waitcnt lgkmcnt(1)
	v_mul_f64 v[36:37], v[17:18], v[2:3]
	v_mul_f64 v[2:3], v[15:16], v[2:3]
	v_fma_f64 v[15:16], v[15:16], v[0:1], -v[36:37]
	v_fma_f64 v[0:1], v[17:18], v[0:1], v[2:3]
	s_waitcnt vmcnt(10)
	v_add_f64 v[2:3], v[23:24], -v[15:16]
	s_waitcnt vmcnt(8)
	v_add_f64 v[0:1], v[25:26], -v[0:1]
	buffer_store_dword v3, v10, s[0:3], 0 offen offset:4
	buffer_store_dword v2, v10, s[0:3], 0 offen
	buffer_store_dword v1, v10, s[0:3], 0 offen offset:12
	buffer_store_dword v0, v10, s[0:3], 0 offen offset:8
	s_clause 0x7
	buffer_load_dword v1, off, s[0:3], 0 offset:108
	buffer_load_dword v0, off, s[0:3], 0 offset:104
	buffer_load_dword v3, off, s[0:3], 0 offset:100
	buffer_load_dword v2, off, s[0:3], 0 offset:96
	buffer_load_dword v31, v10, s[0:3], 0 offen offset:32
	buffer_load_dword v34, v10, s[0:3], 0 offen offset:44
	;; [unrolled: 1-line block ×4, first 2 shown]
	s_waitcnt vmcnt(6) lgkmcnt(0)
	v_mul_f64 v[15:16], v[21:22], v[0:1]
	v_mul_f64 v[0:1], v[19:20], v[0:1]
	s_waitcnt vmcnt(4)
	v_fma_f64 v[15:16], v[19:20], v[2:3], -v[15:16]
	v_fma_f64 v[0:1], v[21:22], v[2:3], v[0:1]
	v_add_f64 v[2:3], v[27:28], -v[15:16]
	v_add_f64 v[0:1], v[29:30], -v[0:1]
	buffer_store_dword v3, v10, s[0:3], 0 offen offset:20
	buffer_store_dword v2, v10, s[0:3], 0 offen offset:16
	;; [unrolled: 1-line block ×4, first 2 shown]
	s_clause 0x3
	buffer_load_dword v19, off, s[0:3], 0 offset:104
	buffer_load_dword v20, off, s[0:3], 0 offset:108
	;; [unrolled: 1-line block ×4, first 2 shown]
	ds_read2_b64 v[0:3], v38 offset0:4 offset1:5
	ds_read2_b64 v[15:18], v38 offset0:6 offset1:7
	s_waitcnt vmcnt(2) lgkmcnt(1)
	v_mul_f64 v[24:25], v[2:3], v[19:20]
	v_mul_f64 v[19:20], v[0:1], v[19:20]
	s_waitcnt vmcnt(0)
	v_fma_f64 v[0:1], v[0:1], v[21:22], -v[24:25]
	v_fma_f64 v[2:3], v[2:3], v[21:22], v[19:20]
	v_add_f64 v[0:1], v[31:32], -v[0:1]
	v_add_f64 v[2:3], v[33:34], -v[2:3]
	buffer_store_dword v1, v10, s[0:3], 0 offen offset:36
	buffer_store_dword v0, v10, s[0:3], 0 offen offset:32
	;; [unrolled: 1-line block ×4, first 2 shown]
	s_clause 0x7
	buffer_load_dword v0, off, s[0:3], 0 offset:104
	buffer_load_dword v1, off, s[0:3], 0 offset:108
	;; [unrolled: 1-line block ×4, first 2 shown]
	buffer_load_dword v3, v10, s[0:3], 0 offen offset:48
	buffer_load_dword v21, v10, s[0:3], 0 offen offset:68
	;; [unrolled: 1-line block ×4, first 2 shown]
	s_waitcnt vmcnt(6) lgkmcnt(0)
	v_mul_f64 v[26:27], v[17:18], v[0:1]
	v_mul_f64 v[0:1], v[15:16], v[0:1]
	s_waitcnt vmcnt(4)
	v_fma_f64 v[15:16], v[15:16], v[19:20], -v[26:27]
	v_fma_f64 v[0:1], v[17:18], v[19:20], v[0:1]
	s_waitcnt vmcnt(3)
	v_add_f64 v[2:3], v[3:4], -v[15:16]
	v_add_f64 v[0:1], v[35:36], -v[0:1]
	buffer_store_dword v3, v10, s[0:3], 0 offen offset:52
	buffer_store_dword v2, v10, s[0:3], 0 offen offset:48
	;; [unrolled: 1-line block ×4, first 2 shown]
	s_clause 0x5
	buffer_load_dword v26, off, s[0:3], 0 offset:104
	buffer_load_dword v27, off, s[0:3], 0 offset:108
	;; [unrolled: 1-line block ×4, first 2 shown]
	buffer_load_dword v20, v10, s[0:3], 0 offen offset:64
	buffer_load_dword v24, v10, s[0:3], 0 offen offset:76
	ds_read2_b64 v[0:3], v38 offset0:8 offset1:9
	ds_read2_b64 v[15:18], v38 offset0:10 offset1:11
	s_clause 0x1
	buffer_load_dword v19, v10, s[0:3], 0 offen offset:88
	buffer_load_dword v30, v10, s[0:3], 0 offen offset:104
	s_waitcnt vmcnt(6) lgkmcnt(1)
	v_mul_f64 v[31:32], v[2:3], v[26:27]
	v_mul_f64 v[26:27], v[0:1], v[26:27]
	s_waitcnt vmcnt(4)
	v_fma_f64 v[0:1], v[0:1], v[28:29], -v[31:32]
	v_fma_f64 v[2:3], v[2:3], v[28:29], v[26:27]
	s_waitcnt vmcnt(3)
	v_add_f64 v[0:1], v[20:21], -v[0:1]
	s_waitcnt vmcnt(2)
	v_add_f64 v[2:3], v[23:24], -v[2:3]
	buffer_store_dword v1, v10, s[0:3], 0 offen offset:68
	buffer_store_dword v0, v10, s[0:3], 0 offen offset:64
	;; [unrolled: 1-line block ×4, first 2 shown]
	s_clause 0x6
	buffer_load_dword v0, off, s[0:3], 0 offset:104
	buffer_load_dword v1, off, s[0:3], 0 offset:108
	;; [unrolled: 1-line block ×4, first 2 shown]
	buffer_load_dword v21, v10, s[0:3], 0 offen offset:80
	buffer_load_dword v20, v10, s[0:3], 0 offen offset:92
	;; [unrolled: 1-line block ×3, first 2 shown]
	s_waitcnt vmcnt(5) lgkmcnt(0)
	v_mul_f64 v[23:24], v[17:18], v[0:1]
	v_mul_f64 v[0:1], v[15:16], v[0:1]
	s_waitcnt vmcnt(3)
	v_fma_f64 v[15:16], v[15:16], v[2:3], -v[23:24]
	v_fma_f64 v[0:1], v[17:18], v[2:3], v[0:1]
	s_waitcnt vmcnt(2)
	v_add_f64 v[2:3], v[21:22], -v[15:16]
	s_waitcnt vmcnt(1)
	v_add_f64 v[0:1], v[19:20], -v[0:1]
	buffer_store_dword v3, v10, s[0:3], 0 offen offset:84
	buffer_store_dword v2, v10, s[0:3], 0 offen offset:80
	;; [unrolled: 1-line block ×4, first 2 shown]
	s_clause 0x4
	buffer_load_dword v2, off, s[0:3], 0 offset:104
	buffer_load_dword v3, off, s[0:3], 0 offset:108
	;; [unrolled: 1-line block ×4, first 2 shown]
	buffer_load_dword v24, v10, s[0:3], 0 offen offset:96
	ds_read2_b64 v[15:18], v38 offset0:12 offset1:13
	s_waitcnt vmcnt(3) lgkmcnt(0)
	v_mul_f64 v[19:20], v[17:18], v[2:3]
	v_mul_f64 v[21:22], v[15:16], v[2:3]
	s_waitcnt vmcnt(1)
	v_fma_f64 v[15:16], v[15:16], v[0:1], -v[19:20]
	v_fma_f64 v[17:18], v[17:18], v[0:1], v[21:22]
	s_waitcnt vmcnt(0)
	v_add_f64 v[15:16], v[24:25], -v[15:16]
	v_add_f64 v[17:18], v[30:31], -v[17:18]
	buffer_store_dword v16, v10, s[0:3], 0 offen offset:100
	buffer_store_dword v15, v10, s[0:3], 0 offen offset:96
	;; [unrolled: 1-line block ×4, first 2 shown]
	s_cbranch_scc1 .LBB124_174
.LBB124_175:
	s_or_b32 exec_lo, exec_lo, s4
	v_mov_b32_e32 v3, s76
	s_waitcnt_vscnt null, 0x0
	s_barrier
	buffer_gl0_inv
	v_lshl_add_u32 v4, v11, 4, v12
	s_clause 0x3
	buffer_load_dword v0, v3, s[0:3], 0 offen
	buffer_load_dword v1, v3, s[0:3], 0 offen offset:4
	buffer_load_dword v2, v3, s[0:3], 0 offen offset:8
	;; [unrolled: 1-line block ×3, first 2 shown]
	s_cmp_lt_i32 s57, 9
	s_waitcnt vmcnt(0)
	ds_write2_b64 v4, v[0:1], v[2:3] offset1:1
	s_waitcnt lgkmcnt(0)
	s_barrier
	buffer_gl0_inv
	ds_read2_b64 v[0:3], v12 offset0:14 offset1:15
	v_mov_b32_e32 v4, 7
	s_cbranch_scc1 .LBB124_178
; %bb.176:
	v_add3_u32 v10, v14, 0, 0x80
	v_mov_b32_e32 v4, 7
	s_mov_b32 s16, 8
	s_inst_prefetch 0x1
	.p2align	6
.LBB124_177:                            ; =>This Inner Loop Header: Depth=1
	s_waitcnt lgkmcnt(0)
	v_cmp_gt_f64_e32 vcc_lo, 0, v[2:3]
	v_cmp_gt_f64_e64 s4, 0, v[0:1]
	ds_read2_b64 v[15:18], v10 offset1:1
	v_xor_b32_e32 v20, 0x80000000, v1
	v_xor_b32_e32 v22, 0x80000000, v3
	v_mov_b32_e32 v19, v0
	v_mov_b32_e32 v21, v2
	v_add_nc_u32_e32 v10, 16, v10
	s_waitcnt lgkmcnt(0)
	v_xor_b32_e32 v24, 0x80000000, v18
	v_cndmask_b32_e64 v20, v1, v20, s4
	v_cndmask_b32_e32 v22, v3, v22, vcc_lo
	v_cmp_gt_f64_e32 vcc_lo, 0, v[17:18]
	v_cmp_gt_f64_e64 s4, 0, v[15:16]
	v_mov_b32_e32 v23, v17
	v_add_f64 v[19:20], v[19:20], v[21:22]
	v_xor_b32_e32 v22, 0x80000000, v16
	v_mov_b32_e32 v21, v15
	v_cndmask_b32_e32 v24, v18, v24, vcc_lo
	v_cndmask_b32_e64 v22, v16, v22, s4
	v_add_f64 v[21:22], v[21:22], v[23:24]
	v_cmp_lt_f64_e32 vcc_lo, v[19:20], v[21:22]
	v_cndmask_b32_e32 v1, v1, v16, vcc_lo
	v_cndmask_b32_e32 v0, v0, v15, vcc_lo
	;; [unrolled: 1-line block ×4, first 2 shown]
	v_cndmask_b32_e64 v4, v4, s16, vcc_lo
	s_add_i32 s16, s16, 1
	s_cmp_lg_u32 s57, s16
	s_cbranch_scc1 .LBB124_177
.LBB124_178:
	s_inst_prefetch 0x2
	s_waitcnt lgkmcnt(0)
	v_cmp_eq_f64_e32 vcc_lo, 0, v[0:1]
	v_cmp_eq_f64_e64 s4, 0, v[2:3]
	s_and_b32 s4, vcc_lo, s4
	s_and_saveexec_b32 s16, s4
	s_xor_b32 s4, exec_lo, s16
; %bb.179:
	v_cmp_ne_u32_e32 vcc_lo, 0, v13
	v_cndmask_b32_e32 v13, 8, v13, vcc_lo
; %bb.180:
	s_andn2_saveexec_b32 s4, s4
	s_cbranch_execz .LBB124_186
; %bb.181:
	v_cmp_ngt_f64_e64 s16, |v[0:1]|, |v[2:3]|
	s_and_saveexec_b32 s17, s16
	s_xor_b32 s16, exec_lo, s17
	s_cbranch_execz .LBB124_183
; %bb.182:
	v_div_scale_f64 v[15:16], null, v[2:3], v[2:3], v[0:1]
	v_div_scale_f64 v[21:22], vcc_lo, v[0:1], v[2:3], v[0:1]
	v_rcp_f64_e32 v[17:18], v[15:16]
	v_fma_f64 v[19:20], -v[15:16], v[17:18], 1.0
	v_fma_f64 v[17:18], v[17:18], v[19:20], v[17:18]
	v_fma_f64 v[19:20], -v[15:16], v[17:18], 1.0
	v_fma_f64 v[17:18], v[17:18], v[19:20], v[17:18]
	v_mul_f64 v[19:20], v[21:22], v[17:18]
	v_fma_f64 v[15:16], -v[15:16], v[19:20], v[21:22]
	v_div_fmas_f64 v[15:16], v[15:16], v[17:18], v[19:20]
	v_div_fixup_f64 v[15:16], v[15:16], v[2:3], v[0:1]
	v_fma_f64 v[0:1], v[0:1], v[15:16], v[2:3]
	v_div_scale_f64 v[2:3], null, v[0:1], v[0:1], 1.0
	v_rcp_f64_e32 v[17:18], v[2:3]
	v_fma_f64 v[19:20], -v[2:3], v[17:18], 1.0
	v_fma_f64 v[17:18], v[17:18], v[19:20], v[17:18]
	v_fma_f64 v[19:20], -v[2:3], v[17:18], 1.0
	v_fma_f64 v[17:18], v[17:18], v[19:20], v[17:18]
	v_div_scale_f64 v[19:20], vcc_lo, 1.0, v[0:1], 1.0
	v_mul_f64 v[21:22], v[19:20], v[17:18]
	v_fma_f64 v[2:3], -v[2:3], v[21:22], v[19:20]
	v_div_fmas_f64 v[2:3], v[2:3], v[17:18], v[21:22]
	v_div_fixup_f64 v[2:3], v[2:3], v[0:1], 1.0
	v_mul_f64 v[0:1], v[15:16], v[2:3]
	v_xor_b32_e32 v3, 0x80000000, v3
.LBB124_183:
	s_andn2_saveexec_b32 s16, s16
	s_cbranch_execz .LBB124_185
; %bb.184:
	v_div_scale_f64 v[15:16], null, v[0:1], v[0:1], v[2:3]
	v_div_scale_f64 v[21:22], vcc_lo, v[2:3], v[0:1], v[2:3]
	v_rcp_f64_e32 v[17:18], v[15:16]
	v_fma_f64 v[19:20], -v[15:16], v[17:18], 1.0
	v_fma_f64 v[17:18], v[17:18], v[19:20], v[17:18]
	v_fma_f64 v[19:20], -v[15:16], v[17:18], 1.0
	v_fma_f64 v[17:18], v[17:18], v[19:20], v[17:18]
	v_mul_f64 v[19:20], v[21:22], v[17:18]
	v_fma_f64 v[15:16], -v[15:16], v[19:20], v[21:22]
	v_div_fmas_f64 v[15:16], v[15:16], v[17:18], v[19:20]
	v_div_fixup_f64 v[15:16], v[15:16], v[0:1], v[2:3]
	v_fma_f64 v[0:1], v[2:3], v[15:16], v[0:1]
	v_div_scale_f64 v[2:3], null, v[0:1], v[0:1], 1.0
	v_rcp_f64_e32 v[17:18], v[2:3]
	v_fma_f64 v[19:20], -v[2:3], v[17:18], 1.0
	v_fma_f64 v[17:18], v[17:18], v[19:20], v[17:18]
	v_fma_f64 v[19:20], -v[2:3], v[17:18], 1.0
	v_fma_f64 v[17:18], v[17:18], v[19:20], v[17:18]
	v_div_scale_f64 v[19:20], vcc_lo, 1.0, v[0:1], 1.0
	v_mul_f64 v[21:22], v[19:20], v[17:18]
	v_fma_f64 v[2:3], -v[2:3], v[21:22], v[19:20]
	v_div_fmas_f64 v[2:3], v[2:3], v[17:18], v[21:22]
	v_div_fixup_f64 v[0:1], v[2:3], v[0:1], 1.0
	v_mul_f64 v[2:3], v[15:16], -v[0:1]
.LBB124_185:
	s_or_b32 exec_lo, exec_lo, s16
.LBB124_186:
	s_or_b32 exec_lo, exec_lo, s4
	s_mov_b32 s4, exec_lo
	v_cmpx_ne_u32_e64 v11, v4
	s_xor_b32 s4, exec_lo, s4
	s_cbranch_execz .LBB124_192
; %bb.187:
	s_mov_b32 s16, exec_lo
	v_cmpx_eq_u32_e32 7, v11
	s_cbranch_execz .LBB124_191
; %bb.188:
	v_cmp_ne_u32_e32 vcc_lo, 7, v4
	s_xor_b32 s17, s20, -1
	s_and_b32 s56, s17, vcc_lo
	s_and_saveexec_b32 s17, s56
	s_cbranch_execz .LBB124_190
; %bb.189:
	v_ashrrev_i32_e32 v5, 31, v4
	v_lshlrev_b64 v[10:11], 2, v[4:5]
	v_add_co_u32 v10, vcc_lo, v8, v10
	v_add_co_ci_u32_e64 v11, null, v9, v11, vcc_lo
	s_clause 0x1
	global_load_dword v5, v[10:11], off
	global_load_dword v15, v[8:9], off offset:28
	s_waitcnt vmcnt(1)
	global_store_dword v[8:9], v5, off offset:28
	s_waitcnt vmcnt(0)
	global_store_dword v[10:11], v15, off
.LBB124_190:
	s_or_b32 exec_lo, exec_lo, s17
	v_mov_b32_e32 v11, v4
	v_mov_b32_e32 v5, v4
.LBB124_191:
	s_or_b32 exec_lo, exec_lo, s16
.LBB124_192:
	s_andn2_saveexec_b32 s4, s4
	s_cbranch_execz .LBB124_196
; %bb.193:
	s_movk_i32 s16, 0x80
.LBB124_194:                            ; =>This Inner Loop Header: Depth=1
	v_mov_b32_e32 v4, s16
	s_clause 0x2b
	buffer_load_dword v10, v4, s[0:3], 0 offen
	buffer_load_dword v11, v4, s[0:3], 0 offen offset:4
	buffer_load_dword v15, v4, s[0:3], 0 offen offset:8
	;; [unrolled: 1-line block ×43, first 2 shown]
	v_add_nc_u32_e32 v4, s16, v12
	s_addk_i32 s16, 0xb0
	s_waitcnt vmcnt(40)
	ds_write2_b64 v4, v[10:11], v[15:16] offset1:1
	s_waitcnt vmcnt(36)
	ds_write2_b64 v4, v[17:18], v[19:20] offset0:2 offset1:3
	s_waitcnt vmcnt(32)
	ds_write2_b64 v4, v[21:22], v[23:24] offset0:4 offset1:5
	;; [unrolled: 2-line block ×4, first 2 shown]
	ds_write2_b64 v4, v[33:34], v[31:32] offset0:10 offset1:11
	s_waitcnt vmcnt(12)
	ds_write2_b64 v4, v[43:44], v[37:38] offset0:12 offset1:13
	ds_write2_b64 v4, v[41:42], v[39:40] offset0:14 offset1:15
	s_waitcnt vmcnt(8)
	ds_write2_b64 v4, v[45:46], v[47:48] offset0:16 offset1:17
	s_waitcnt vmcnt(4)
	;; [unrolled: 2-line block ×3, first 2 shown]
	ds_write2_b64 v4, v[53:54], v[55:56] offset0:20 offset1:21
	s_cmpk_eq_i32 s16, 0x3f0
	s_cbranch_scc0 .LBB124_194
; %bb.195:
	v_mov_b32_e32 v11, 7
.LBB124_196:
	s_or_b32 exec_lo, exec_lo, s4
	s_mov_b32 s4, exec_lo
	s_waitcnt lgkmcnt(0)
	s_waitcnt_vscnt null, 0x0
	s_barrier
	buffer_gl0_inv
	v_cmpx_lt_i32_e32 7, v11
	s_cbranch_execz .LBB124_199
; %bb.197:
	s_clause 0x3
	buffer_load_dword v15, off, s[0:3], 0 offset:120
	buffer_load_dword v16, off, s[0:3], 0 offset:124
	buffer_load_dword v17, off, s[0:3], 0 offset:112
	buffer_load_dword v18, off, s[0:3], 0 offset:116
	s_movk_i32 s82, 0x80
	s_waitcnt vmcnt(2)
	v_mul_f64 v[19:20], v[2:3], v[15:16]
	v_mul_f64 v[15:16], v[0:1], v[15:16]
	s_waitcnt vmcnt(0)
	v_fma_f64 v[0:1], v[0:1], v[17:18], -v[19:20]
	v_fma_f64 v[2:3], v[2:3], v[17:18], v[15:16]
	buffer_store_dword v0, off, s[0:3], 0 offset:112
	buffer_store_dword v1, off, s[0:3], 0 offset:116
	;; [unrolled: 1-line block ×4, first 2 shown]
.LBB124_198:                            ; =>This Inner Loop Header: Depth=1
	s_clause 0x3
	buffer_load_dword v19, off, s[0:3], 0 offset:120
	buffer_load_dword v20, off, s[0:3], 0 offset:124
	;; [unrolled: 1-line block ×4, first 2 shown]
	v_mov_b32_e32 v4, s82
	v_add_nc_u32_e32 v10, s82, v12
	s_addk_i32 s82, 0x50
	s_clause 0x3
	buffer_load_dword v23, v4, s[0:3], 0 offen
	buffer_load_dword v24, v4, s[0:3], 0 offen offset:4
	buffer_load_dword v25, v4, s[0:3], 0 offen offset:8
	;; [unrolled: 1-line block ×3, first 2 shown]
	ds_read2_b64 v[0:3], v10 offset1:1
	ds_read2_b64 v[15:18], v10 offset0:2 offset1:3
	s_cmpk_lg_i32 s82, 0x3f0
	s_waitcnt vmcnt(6) lgkmcnt(1)
	v_mul_f64 v[27:28], v[2:3], v[19:20]
	v_mul_f64 v[19:20], v[0:1], v[19:20]
	s_waitcnt vmcnt(4)
	v_fma_f64 v[0:1], v[0:1], v[21:22], -v[27:28]
	v_fma_f64 v[2:3], v[2:3], v[21:22], v[19:20]
	s_clause 0x3
	buffer_load_dword v19, v4, s[0:3], 0 offen offset:16
	buffer_load_dword v20, v4, s[0:3], 0 offen offset:20
	;; [unrolled: 1-line block ×4, first 2 shown]
	s_waitcnt vmcnt(6)
	v_add_f64 v[0:1], v[23:24], -v[0:1]
	s_waitcnt vmcnt(4)
	v_add_f64 v[2:3], v[25:26], -v[2:3]
	buffer_store_dword v1, v4, s[0:3], 0 offen offset:4
	buffer_store_dword v0, v4, s[0:3], 0 offen
	buffer_store_dword v3, v4, s[0:3], 0 offen offset:12
	buffer_store_dword v2, v4, s[0:3], 0 offen offset:8
	s_clause 0x3
	buffer_load_dword v1, off, s[0:3], 0 offset:124
	buffer_load_dword v0, off, s[0:3], 0 offset:120
	;; [unrolled: 1-line block ×4, first 2 shown]
	s_waitcnt vmcnt(2) lgkmcnt(0)
	v_mul_f64 v[23:24], v[17:18], v[0:1]
	v_mul_f64 v[0:1], v[15:16], v[0:1]
	s_waitcnt vmcnt(0)
	v_fma_f64 v[15:16], v[15:16], v[2:3], -v[23:24]
	v_fma_f64 v[0:1], v[17:18], v[2:3], v[0:1]
	v_add_f64 v[2:3], v[19:20], -v[15:16]
	v_add_f64 v[0:1], v[21:22], -v[0:1]
	s_clause 0x3
	buffer_load_dword v19, v4, s[0:3], 0 offen offset:32
	buffer_load_dword v20, v4, s[0:3], 0 offen offset:36
	;; [unrolled: 1-line block ×4, first 2 shown]
	buffer_store_dword v3, v4, s[0:3], 0 offen offset:20
	buffer_store_dword v2, v4, s[0:3], 0 offen offset:16
	buffer_store_dword v1, v4, s[0:3], 0 offen offset:28
	buffer_store_dword v0, v4, s[0:3], 0 offen offset:24
	s_clause 0x3
	buffer_load_dword v23, off, s[0:3], 0 offset:120
	buffer_load_dword v24, off, s[0:3], 0 offset:124
	;; [unrolled: 1-line block ×4, first 2 shown]
	ds_read2_b64 v[0:3], v10 offset0:4 offset1:5
	ds_read2_b64 v[15:18], v10 offset0:6 offset1:7
	s_waitcnt vmcnt(2) lgkmcnt(1)
	v_mul_f64 v[27:28], v[2:3], v[23:24]
	v_mul_f64 v[23:24], v[0:1], v[23:24]
	s_waitcnt vmcnt(0)
	v_fma_f64 v[0:1], v[0:1], v[25:26], -v[27:28]
	v_fma_f64 v[2:3], v[2:3], v[25:26], v[23:24]
	v_add_f64 v[0:1], v[19:20], -v[0:1]
	v_add_f64 v[2:3], v[21:22], -v[2:3]
	buffer_store_dword v1, v4, s[0:3], 0 offen offset:36
	buffer_store_dword v0, v4, s[0:3], 0 offen offset:32
	;; [unrolled: 1-line block ×4, first 2 shown]
	s_clause 0x7
	buffer_load_dword v0, off, s[0:3], 0 offset:120
	buffer_load_dword v1, off, s[0:3], 0 offset:124
	;; [unrolled: 1-line block ×4, first 2 shown]
	buffer_load_dword v19, v4, s[0:3], 0 offen offset:48
	buffer_load_dword v20, v4, s[0:3], 0 offen offset:52
	;; [unrolled: 1-line block ×4, first 2 shown]
	s_waitcnt vmcnt(6) lgkmcnt(0)
	v_mul_f64 v[23:24], v[17:18], v[0:1]
	v_mul_f64 v[0:1], v[15:16], v[0:1]
	s_waitcnt vmcnt(4)
	v_fma_f64 v[15:16], v[15:16], v[2:3], -v[23:24]
	v_fma_f64 v[0:1], v[17:18], v[2:3], v[0:1]
	s_waitcnt vmcnt(2)
	v_add_f64 v[2:3], v[19:20], -v[15:16]
	s_waitcnt vmcnt(0)
	v_add_f64 v[0:1], v[21:22], -v[0:1]
	buffer_store_dword v3, v4, s[0:3], 0 offen offset:52
	buffer_store_dword v2, v4, s[0:3], 0 offen offset:48
	;; [unrolled: 1-line block ×4, first 2 shown]
	s_clause 0x7
	buffer_load_dword v15, off, s[0:3], 0 offset:120
	buffer_load_dword v16, off, s[0:3], 0 offset:124
	;; [unrolled: 1-line block ×4, first 2 shown]
	buffer_load_dword v19, v4, s[0:3], 0 offen offset:64
	buffer_load_dword v20, v4, s[0:3], 0 offen offset:68
	buffer_load_dword v21, v4, s[0:3], 0 offen offset:72
	buffer_load_dword v22, v4, s[0:3], 0 offen offset:76
	ds_read2_b64 v[0:3], v10 offset0:8 offset1:9
	s_waitcnt vmcnt(6) lgkmcnt(0)
	v_mul_f64 v[23:24], v[2:3], v[15:16]
	v_mul_f64 v[15:16], v[0:1], v[15:16]
	s_waitcnt vmcnt(4)
	v_fma_f64 v[0:1], v[0:1], v[17:18], -v[23:24]
	v_fma_f64 v[2:3], v[2:3], v[17:18], v[15:16]
	s_waitcnt vmcnt(2)
	v_add_f64 v[0:1], v[19:20], -v[0:1]
	s_waitcnt vmcnt(0)
	v_add_f64 v[2:3], v[21:22], -v[2:3]
	buffer_store_dword v1, v4, s[0:3], 0 offen offset:68
	buffer_store_dword v0, v4, s[0:3], 0 offen offset:64
	;; [unrolled: 1-line block ×4, first 2 shown]
	s_cbranch_scc1 .LBB124_198
.LBB124_199:
	s_or_b32 exec_lo, exec_lo, s4
	v_mov_b32_e32 v3, s75
	s_waitcnt_vscnt null, 0x0
	s_barrier
	buffer_gl0_inv
	v_lshl_add_u32 v4, v11, 4, v12
	s_clause 0x3
	buffer_load_dword v0, v3, s[0:3], 0 offen
	buffer_load_dword v1, v3, s[0:3], 0 offen offset:4
	buffer_load_dword v2, v3, s[0:3], 0 offen offset:8
	;; [unrolled: 1-line block ×3, first 2 shown]
	s_cmp_lt_i32 s57, 10
	s_waitcnt vmcnt(0)
	ds_write2_b64 v4, v[0:1], v[2:3] offset1:1
	s_waitcnt lgkmcnt(0)
	s_barrier
	buffer_gl0_inv
	ds_read2_b64 v[0:3], v12 offset0:16 offset1:17
	v_mov_b32_e32 v4, 8
	s_cbranch_scc1 .LBB124_202
; %bb.200:
	v_add3_u32 v10, v14, 0, 0x90
	v_mov_b32_e32 v4, 8
	s_mov_b32 s16, 9
	s_inst_prefetch 0x1
	.p2align	6
.LBB124_201:                            ; =>This Inner Loop Header: Depth=1
	s_waitcnt lgkmcnt(0)
	v_cmp_gt_f64_e32 vcc_lo, 0, v[2:3]
	v_cmp_gt_f64_e64 s4, 0, v[0:1]
	ds_read2_b64 v[15:18], v10 offset1:1
	v_xor_b32_e32 v20, 0x80000000, v1
	v_xor_b32_e32 v22, 0x80000000, v3
	v_mov_b32_e32 v19, v0
	v_mov_b32_e32 v21, v2
	v_add_nc_u32_e32 v10, 16, v10
	s_waitcnt lgkmcnt(0)
	v_xor_b32_e32 v24, 0x80000000, v18
	v_cndmask_b32_e64 v20, v1, v20, s4
	v_cndmask_b32_e32 v22, v3, v22, vcc_lo
	v_cmp_gt_f64_e32 vcc_lo, 0, v[17:18]
	v_cmp_gt_f64_e64 s4, 0, v[15:16]
	v_mov_b32_e32 v23, v17
	v_add_f64 v[19:20], v[19:20], v[21:22]
	v_xor_b32_e32 v22, 0x80000000, v16
	v_mov_b32_e32 v21, v15
	v_cndmask_b32_e32 v24, v18, v24, vcc_lo
	v_cndmask_b32_e64 v22, v16, v22, s4
	v_add_f64 v[21:22], v[21:22], v[23:24]
	v_cmp_lt_f64_e32 vcc_lo, v[19:20], v[21:22]
	v_cndmask_b32_e32 v1, v1, v16, vcc_lo
	v_cndmask_b32_e32 v0, v0, v15, vcc_lo
	v_cndmask_b32_e32 v3, v3, v18, vcc_lo
	v_cndmask_b32_e32 v2, v2, v17, vcc_lo
	v_cndmask_b32_e64 v4, v4, s16, vcc_lo
	s_add_i32 s16, s16, 1
	s_cmp_lg_u32 s57, s16
	s_cbranch_scc1 .LBB124_201
.LBB124_202:
	s_inst_prefetch 0x2
	s_waitcnt lgkmcnt(0)
	v_cmp_eq_f64_e32 vcc_lo, 0, v[0:1]
	v_cmp_eq_f64_e64 s4, 0, v[2:3]
	s_and_b32 s4, vcc_lo, s4
	s_and_saveexec_b32 s16, s4
	s_xor_b32 s4, exec_lo, s16
; %bb.203:
	v_cmp_ne_u32_e32 vcc_lo, 0, v13
	v_cndmask_b32_e32 v13, 9, v13, vcc_lo
; %bb.204:
	s_andn2_saveexec_b32 s4, s4
	s_cbranch_execz .LBB124_210
; %bb.205:
	v_cmp_ngt_f64_e64 s16, |v[0:1]|, |v[2:3]|
	s_and_saveexec_b32 s17, s16
	s_xor_b32 s16, exec_lo, s17
	s_cbranch_execz .LBB124_207
; %bb.206:
	v_div_scale_f64 v[15:16], null, v[2:3], v[2:3], v[0:1]
	v_div_scale_f64 v[21:22], vcc_lo, v[0:1], v[2:3], v[0:1]
	v_rcp_f64_e32 v[17:18], v[15:16]
	v_fma_f64 v[19:20], -v[15:16], v[17:18], 1.0
	v_fma_f64 v[17:18], v[17:18], v[19:20], v[17:18]
	v_fma_f64 v[19:20], -v[15:16], v[17:18], 1.0
	v_fma_f64 v[17:18], v[17:18], v[19:20], v[17:18]
	v_mul_f64 v[19:20], v[21:22], v[17:18]
	v_fma_f64 v[15:16], -v[15:16], v[19:20], v[21:22]
	v_div_fmas_f64 v[15:16], v[15:16], v[17:18], v[19:20]
	v_div_fixup_f64 v[15:16], v[15:16], v[2:3], v[0:1]
	v_fma_f64 v[0:1], v[0:1], v[15:16], v[2:3]
	v_div_scale_f64 v[2:3], null, v[0:1], v[0:1], 1.0
	v_rcp_f64_e32 v[17:18], v[2:3]
	v_fma_f64 v[19:20], -v[2:3], v[17:18], 1.0
	v_fma_f64 v[17:18], v[17:18], v[19:20], v[17:18]
	v_fma_f64 v[19:20], -v[2:3], v[17:18], 1.0
	v_fma_f64 v[17:18], v[17:18], v[19:20], v[17:18]
	v_div_scale_f64 v[19:20], vcc_lo, 1.0, v[0:1], 1.0
	v_mul_f64 v[21:22], v[19:20], v[17:18]
	v_fma_f64 v[2:3], -v[2:3], v[21:22], v[19:20]
	v_div_fmas_f64 v[2:3], v[2:3], v[17:18], v[21:22]
	v_div_fixup_f64 v[2:3], v[2:3], v[0:1], 1.0
	v_mul_f64 v[0:1], v[15:16], v[2:3]
	v_xor_b32_e32 v3, 0x80000000, v3
.LBB124_207:
	s_andn2_saveexec_b32 s16, s16
	s_cbranch_execz .LBB124_209
; %bb.208:
	v_div_scale_f64 v[15:16], null, v[0:1], v[0:1], v[2:3]
	v_div_scale_f64 v[21:22], vcc_lo, v[2:3], v[0:1], v[2:3]
	v_rcp_f64_e32 v[17:18], v[15:16]
	v_fma_f64 v[19:20], -v[15:16], v[17:18], 1.0
	v_fma_f64 v[17:18], v[17:18], v[19:20], v[17:18]
	v_fma_f64 v[19:20], -v[15:16], v[17:18], 1.0
	v_fma_f64 v[17:18], v[17:18], v[19:20], v[17:18]
	v_mul_f64 v[19:20], v[21:22], v[17:18]
	v_fma_f64 v[15:16], -v[15:16], v[19:20], v[21:22]
	v_div_fmas_f64 v[15:16], v[15:16], v[17:18], v[19:20]
	v_div_fixup_f64 v[15:16], v[15:16], v[0:1], v[2:3]
	v_fma_f64 v[0:1], v[2:3], v[15:16], v[0:1]
	v_div_scale_f64 v[2:3], null, v[0:1], v[0:1], 1.0
	v_rcp_f64_e32 v[17:18], v[2:3]
	v_fma_f64 v[19:20], -v[2:3], v[17:18], 1.0
	v_fma_f64 v[17:18], v[17:18], v[19:20], v[17:18]
	v_fma_f64 v[19:20], -v[2:3], v[17:18], 1.0
	v_fma_f64 v[17:18], v[17:18], v[19:20], v[17:18]
	v_div_scale_f64 v[19:20], vcc_lo, 1.0, v[0:1], 1.0
	v_mul_f64 v[21:22], v[19:20], v[17:18]
	v_fma_f64 v[2:3], -v[2:3], v[21:22], v[19:20]
	v_div_fmas_f64 v[2:3], v[2:3], v[17:18], v[21:22]
	v_div_fixup_f64 v[0:1], v[2:3], v[0:1], 1.0
	v_mul_f64 v[2:3], v[15:16], -v[0:1]
.LBB124_209:
	s_or_b32 exec_lo, exec_lo, s16
.LBB124_210:
	s_or_b32 exec_lo, exec_lo, s4
	s_mov_b32 s4, exec_lo
	v_cmpx_ne_u32_e64 v11, v4
	s_xor_b32 s4, exec_lo, s4
	s_cbranch_execz .LBB124_216
; %bb.211:
	s_mov_b32 s16, exec_lo
	v_cmpx_eq_u32_e32 8, v11
	s_cbranch_execz .LBB124_215
; %bb.212:
	v_cmp_ne_u32_e32 vcc_lo, 8, v4
	s_xor_b32 s17, s20, -1
	s_and_b32 s56, s17, vcc_lo
	s_and_saveexec_b32 s17, s56
	s_cbranch_execz .LBB124_214
; %bb.213:
	v_ashrrev_i32_e32 v5, 31, v4
	v_lshlrev_b64 v[10:11], 2, v[4:5]
	v_add_co_u32 v10, vcc_lo, v8, v10
	v_add_co_ci_u32_e64 v11, null, v9, v11, vcc_lo
	s_clause 0x1
	global_load_dword v5, v[10:11], off
	global_load_dword v15, v[8:9], off offset:32
	s_waitcnt vmcnt(1)
	global_store_dword v[8:9], v5, off offset:32
	s_waitcnt vmcnt(0)
	global_store_dword v[10:11], v15, off
.LBB124_214:
	s_or_b32 exec_lo, exec_lo, s17
	v_mov_b32_e32 v11, v4
	v_mov_b32_e32 v5, v4
.LBB124_215:
	s_or_b32 exec_lo, exec_lo, s16
.LBB124_216:
	s_andn2_saveexec_b32 s4, s4
	s_cbranch_execz .LBB124_220
; %bb.217:
	s_movk_i32 s82, 0x90
.LBB124_218:                            ; =>This Inner Loop Header: Depth=1
	v_mov_b32_e32 v4, s82
	s_clause 0x3e
	buffer_load_dword v10, v4, s[0:3], 0 offen
	buffer_load_dword v11, v4, s[0:3], 0 offen offset:4
	buffer_load_dword v15, v4, s[0:3], 0 offen offset:8
	;; [unrolled: 1-line block ×62, first 2 shown]
	s_clause 0x8
	buffer_load_dword v76, v4, s[0:3], 0 offen offset:252
	buffer_load_dword v77, v4, s[0:3], 0 offen offset:256
	;; [unrolled: 1-line block ×9, first 2 shown]
	v_add_nc_u32_e32 v4, s82, v12
	s_addk_i32 s82, 0x120
	s_waitcnt vmcnt(62)
	ds_write2_b64 v4, v[10:11], v[15:16] offset1:1
	ds_write2_b64 v4, v[17:18], v[19:20] offset0:2 offset1:3
	s_waitcnt vmcnt(60)
	ds_write2_b64 v4, v[21:22], v[23:24] offset0:4 offset1:5
	s_waitcnt vmcnt(56)
	;; [unrolled: 2-line block ×3, first 2 shown]
	ds_write2_b64 v4, v[35:36], v[29:30] offset0:8 offset1:9
	ds_write2_b64 v4, v[33:34], v[31:32] offset0:10 offset1:11
	s_waitcnt vmcnt(40)
	ds_write2_b64 v4, v[43:44], v[37:38] offset0:12 offset1:13
	ds_write2_b64 v4, v[41:42], v[39:40] offset0:14 offset1:15
	s_waitcnt vmcnt(36)
	ds_write2_b64 v4, v[45:46], v[47:48] offset0:16 offset1:17
	s_waitcnt vmcnt(32)
	;; [unrolled: 2-line block ×10, first 2 shown]
	ds_write2_b64 v4, v[81:82], v[83:84] offset0:34 offset1:35
	s_cmpk_eq_i32 s82, 0x3f0
	s_cbranch_scc0 .LBB124_218
; %bb.219:
	v_mov_b32_e32 v11, 8
.LBB124_220:
	s_or_b32 exec_lo, exec_lo, s4
	s_mov_b32 s4, exec_lo
	s_waitcnt lgkmcnt(0)
	s_waitcnt_vscnt null, 0x0
	s_barrier
	buffer_gl0_inv
	v_cmpx_lt_i32_e32 8, v11
	s_cbranch_execz .LBB124_223
; %bb.221:
	s_clause 0x3
	buffer_load_dword v15, off, s[0:3], 0 offset:136
	buffer_load_dword v16, off, s[0:3], 0 offset:140
	;; [unrolled: 1-line block ×4, first 2 shown]
	s_movk_i32 s82, 0x90
	s_waitcnt vmcnt(2)
	v_mul_f64 v[19:20], v[2:3], v[15:16]
	v_mul_f64 v[15:16], v[0:1], v[15:16]
	s_waitcnt vmcnt(0)
	v_fma_f64 v[0:1], v[0:1], v[17:18], -v[19:20]
	v_fma_f64 v[2:3], v[2:3], v[17:18], v[15:16]
	buffer_store_dword v0, off, s[0:3], 0 offset:128
	buffer_store_dword v1, off, s[0:3], 0 offset:132
	;; [unrolled: 1-line block ×4, first 2 shown]
.LBB124_222:                            ; =>This Inner Loop Header: Depth=1
	s_clause 0x3
	buffer_load_dword v19, off, s[0:3], 0 offset:136
	buffer_load_dword v20, off, s[0:3], 0 offset:140
	;; [unrolled: 1-line block ×4, first 2 shown]
	v_mov_b32_e32 v4, s82
	v_add_nc_u32_e32 v10, s82, v12
	s_addk_i32 s82, 0x60
	s_clause 0x3
	buffer_load_dword v23, v4, s[0:3], 0 offen
	buffer_load_dword v24, v4, s[0:3], 0 offen offset:4
	buffer_load_dword v25, v4, s[0:3], 0 offen offset:8
	buffer_load_dword v26, v4, s[0:3], 0 offen offset:12
	ds_read2_b64 v[0:3], v10 offset1:1
	s_clause 0x3
	buffer_load_dword v27, v4, s[0:3], 0 offen offset:16
	buffer_load_dword v28, v4, s[0:3], 0 offen offset:20
	;; [unrolled: 1-line block ×4, first 2 shown]
	ds_read2_b64 v[15:18], v10 offset0:2 offset1:3
	s_cmpk_lg_i32 s82, 0x3f0
	s_waitcnt vmcnt(10) lgkmcnt(1)
	v_mul_f64 v[31:32], v[2:3], v[19:20]
	v_mul_f64 v[19:20], v[0:1], v[19:20]
	s_waitcnt vmcnt(8)
	v_fma_f64 v[0:1], v[0:1], v[21:22], -v[31:32]
	v_fma_f64 v[2:3], v[2:3], v[21:22], v[19:20]
	s_waitcnt vmcnt(6)
	v_add_f64 v[0:1], v[23:24], -v[0:1]
	s_waitcnt vmcnt(4)
	v_add_f64 v[2:3], v[25:26], -v[2:3]
	buffer_store_dword v1, v4, s[0:3], 0 offen offset:4
	buffer_store_dword v0, v4, s[0:3], 0 offen
	buffer_store_dword v3, v4, s[0:3], 0 offen offset:12
	buffer_store_dword v2, v4, s[0:3], 0 offen offset:8
	s_clause 0x3
	buffer_load_dword v1, off, s[0:3], 0 offset:140
	buffer_load_dword v0, off, s[0:3], 0 offset:136
	;; [unrolled: 1-line block ×4, first 2 shown]
	s_waitcnt vmcnt(2) lgkmcnt(0)
	v_mul_f64 v[19:20], v[17:18], v[0:1]
	v_mul_f64 v[0:1], v[15:16], v[0:1]
	s_waitcnt vmcnt(0)
	v_fma_f64 v[15:16], v[15:16], v[2:3], -v[19:20]
	v_fma_f64 v[0:1], v[17:18], v[2:3], v[0:1]
	s_clause 0x3
	buffer_load_dword v19, v4, s[0:3], 0 offen offset:32
	buffer_load_dword v20, v4, s[0:3], 0 offen offset:36
	;; [unrolled: 1-line block ×4, first 2 shown]
	v_add_f64 v[2:3], v[27:28], -v[15:16]
	v_add_f64 v[0:1], v[29:30], -v[0:1]
	buffer_store_dword v3, v4, s[0:3], 0 offen offset:20
	buffer_store_dword v2, v4, s[0:3], 0 offen offset:16
	;; [unrolled: 1-line block ×4, first 2 shown]
	s_clause 0x3
	buffer_load_dword v23, off, s[0:3], 0 offset:136
	buffer_load_dword v24, off, s[0:3], 0 offset:140
	;; [unrolled: 1-line block ×4, first 2 shown]
	ds_read2_b64 v[0:3], v10 offset0:4 offset1:5
	ds_read2_b64 v[15:18], v10 offset0:6 offset1:7
	s_waitcnt vmcnt(2) lgkmcnt(1)
	v_mul_f64 v[27:28], v[2:3], v[23:24]
	v_mul_f64 v[23:24], v[0:1], v[23:24]
	s_waitcnt vmcnt(0)
	v_fma_f64 v[0:1], v[0:1], v[25:26], -v[27:28]
	v_fma_f64 v[2:3], v[2:3], v[25:26], v[23:24]
	v_add_f64 v[0:1], v[19:20], -v[0:1]
	v_add_f64 v[2:3], v[21:22], -v[2:3]
	buffer_store_dword v1, v4, s[0:3], 0 offen offset:36
	buffer_store_dword v0, v4, s[0:3], 0 offen offset:32
	;; [unrolled: 1-line block ×4, first 2 shown]
	s_clause 0x7
	buffer_load_dword v0, off, s[0:3], 0 offset:136
	buffer_load_dword v1, off, s[0:3], 0 offset:140
	;; [unrolled: 1-line block ×4, first 2 shown]
	buffer_load_dword v19, v4, s[0:3], 0 offen offset:48
	buffer_load_dword v20, v4, s[0:3], 0 offen offset:52
	buffer_load_dword v21, v4, s[0:3], 0 offen offset:56
	buffer_load_dword v22, v4, s[0:3], 0 offen offset:60
	s_waitcnt vmcnt(6) lgkmcnt(0)
	v_mul_f64 v[23:24], v[17:18], v[0:1]
	v_mul_f64 v[0:1], v[15:16], v[0:1]
	s_waitcnt vmcnt(4)
	v_fma_f64 v[15:16], v[15:16], v[2:3], -v[23:24]
	v_fma_f64 v[0:1], v[17:18], v[2:3], v[0:1]
	s_waitcnt vmcnt(2)
	v_add_f64 v[2:3], v[19:20], -v[15:16]
	s_waitcnt vmcnt(0)
	v_add_f64 v[0:1], v[21:22], -v[0:1]
	buffer_store_dword v3, v4, s[0:3], 0 offen offset:52
	buffer_store_dword v2, v4, s[0:3], 0 offen offset:48
	;; [unrolled: 1-line block ×4, first 2 shown]
	s_clause 0x7
	buffer_load_dword v19, off, s[0:3], 0 offset:136
	buffer_load_dword v20, off, s[0:3], 0 offset:140
	;; [unrolled: 1-line block ×4, first 2 shown]
	buffer_load_dword v23, v4, s[0:3], 0 offen offset:64
	buffer_load_dword v24, v4, s[0:3], 0 offen offset:68
	buffer_load_dword v25, v4, s[0:3], 0 offen offset:72
	buffer_load_dword v26, v4, s[0:3], 0 offen offset:76
	ds_read2_b64 v[0:3], v10 offset0:8 offset1:9
	ds_read2_b64 v[15:18], v10 offset0:10 offset1:11
	s_waitcnt vmcnt(6) lgkmcnt(1)
	v_mul_f64 v[27:28], v[2:3], v[19:20]
	v_mul_f64 v[19:20], v[0:1], v[19:20]
	s_waitcnt vmcnt(4)
	v_fma_f64 v[0:1], v[0:1], v[21:22], -v[27:28]
	v_fma_f64 v[2:3], v[2:3], v[21:22], v[19:20]
	s_waitcnt vmcnt(2)
	v_add_f64 v[0:1], v[23:24], -v[0:1]
	s_waitcnt vmcnt(0)
	v_add_f64 v[2:3], v[25:26], -v[2:3]
	buffer_store_dword v1, v4, s[0:3], 0 offen offset:68
	buffer_store_dword v0, v4, s[0:3], 0 offen offset:64
	;; [unrolled: 1-line block ×4, first 2 shown]
	s_clause 0x7
	buffer_load_dword v0, off, s[0:3], 0 offset:136
	buffer_load_dword v1, off, s[0:3], 0 offset:140
	;; [unrolled: 1-line block ×4, first 2 shown]
	buffer_load_dword v19, v4, s[0:3], 0 offen offset:80
	buffer_load_dword v20, v4, s[0:3], 0 offen offset:84
	;; [unrolled: 1-line block ×4, first 2 shown]
	s_waitcnt vmcnt(6) lgkmcnt(0)
	v_mul_f64 v[23:24], v[17:18], v[0:1]
	v_mul_f64 v[0:1], v[15:16], v[0:1]
	s_waitcnt vmcnt(4)
	v_fma_f64 v[15:16], v[15:16], v[2:3], -v[23:24]
	v_fma_f64 v[0:1], v[17:18], v[2:3], v[0:1]
	s_waitcnt vmcnt(2)
	v_add_f64 v[2:3], v[19:20], -v[15:16]
	s_waitcnt vmcnt(0)
	v_add_f64 v[0:1], v[21:22], -v[0:1]
	buffer_store_dword v3, v4, s[0:3], 0 offen offset:84
	buffer_store_dword v2, v4, s[0:3], 0 offen offset:80
	;; [unrolled: 1-line block ×4, first 2 shown]
	s_cbranch_scc1 .LBB124_222
.LBB124_223:
	s_or_b32 exec_lo, exec_lo, s4
	v_mov_b32_e32 v3, s74
	s_waitcnt_vscnt null, 0x0
	s_barrier
	buffer_gl0_inv
	v_lshl_add_u32 v4, v11, 4, v12
	s_clause 0x3
	buffer_load_dword v0, v3, s[0:3], 0 offen
	buffer_load_dword v1, v3, s[0:3], 0 offen offset:4
	buffer_load_dword v2, v3, s[0:3], 0 offen offset:8
	;; [unrolled: 1-line block ×3, first 2 shown]
	s_cmp_lt_i32 s57, 11
	s_waitcnt vmcnt(0)
	ds_write2_b64 v4, v[0:1], v[2:3] offset1:1
	s_waitcnt lgkmcnt(0)
	s_barrier
	buffer_gl0_inv
	ds_read2_b64 v[0:3], v12 offset0:18 offset1:19
	v_mov_b32_e32 v4, 9
	s_cbranch_scc1 .LBB124_226
; %bb.224:
	v_add3_u32 v10, v14, 0, 0xa0
	v_mov_b32_e32 v4, 9
	s_mov_b32 s16, 10
	s_inst_prefetch 0x1
	.p2align	6
.LBB124_225:                            ; =>This Inner Loop Header: Depth=1
	s_waitcnt lgkmcnt(0)
	v_cmp_gt_f64_e32 vcc_lo, 0, v[2:3]
	v_cmp_gt_f64_e64 s4, 0, v[0:1]
	ds_read2_b64 v[15:18], v10 offset1:1
	v_xor_b32_e32 v20, 0x80000000, v1
	v_xor_b32_e32 v22, 0x80000000, v3
	v_mov_b32_e32 v19, v0
	v_mov_b32_e32 v21, v2
	v_add_nc_u32_e32 v10, 16, v10
	s_waitcnt lgkmcnt(0)
	v_xor_b32_e32 v24, 0x80000000, v18
	v_cndmask_b32_e64 v20, v1, v20, s4
	v_cndmask_b32_e32 v22, v3, v22, vcc_lo
	v_cmp_gt_f64_e32 vcc_lo, 0, v[17:18]
	v_cmp_gt_f64_e64 s4, 0, v[15:16]
	v_mov_b32_e32 v23, v17
	v_add_f64 v[19:20], v[19:20], v[21:22]
	v_xor_b32_e32 v22, 0x80000000, v16
	v_mov_b32_e32 v21, v15
	v_cndmask_b32_e32 v24, v18, v24, vcc_lo
	v_cndmask_b32_e64 v22, v16, v22, s4
	v_add_f64 v[21:22], v[21:22], v[23:24]
	v_cmp_lt_f64_e32 vcc_lo, v[19:20], v[21:22]
	v_cndmask_b32_e32 v1, v1, v16, vcc_lo
	v_cndmask_b32_e32 v0, v0, v15, vcc_lo
	;; [unrolled: 1-line block ×4, first 2 shown]
	v_cndmask_b32_e64 v4, v4, s16, vcc_lo
	s_add_i32 s16, s16, 1
	s_cmp_lg_u32 s57, s16
	s_cbranch_scc1 .LBB124_225
.LBB124_226:
	s_inst_prefetch 0x2
	s_waitcnt lgkmcnt(0)
	v_cmp_eq_f64_e32 vcc_lo, 0, v[0:1]
	v_cmp_eq_f64_e64 s4, 0, v[2:3]
	s_and_b32 s4, vcc_lo, s4
	s_and_saveexec_b32 s16, s4
	s_xor_b32 s4, exec_lo, s16
; %bb.227:
	v_cmp_ne_u32_e32 vcc_lo, 0, v13
	v_cndmask_b32_e32 v13, 10, v13, vcc_lo
; %bb.228:
	s_andn2_saveexec_b32 s4, s4
	s_cbranch_execz .LBB124_234
; %bb.229:
	v_cmp_ngt_f64_e64 s16, |v[0:1]|, |v[2:3]|
	s_and_saveexec_b32 s17, s16
	s_xor_b32 s16, exec_lo, s17
	s_cbranch_execz .LBB124_231
; %bb.230:
	v_div_scale_f64 v[15:16], null, v[2:3], v[2:3], v[0:1]
	v_div_scale_f64 v[21:22], vcc_lo, v[0:1], v[2:3], v[0:1]
	v_rcp_f64_e32 v[17:18], v[15:16]
	v_fma_f64 v[19:20], -v[15:16], v[17:18], 1.0
	v_fma_f64 v[17:18], v[17:18], v[19:20], v[17:18]
	v_fma_f64 v[19:20], -v[15:16], v[17:18], 1.0
	v_fma_f64 v[17:18], v[17:18], v[19:20], v[17:18]
	v_mul_f64 v[19:20], v[21:22], v[17:18]
	v_fma_f64 v[15:16], -v[15:16], v[19:20], v[21:22]
	v_div_fmas_f64 v[15:16], v[15:16], v[17:18], v[19:20]
	v_div_fixup_f64 v[15:16], v[15:16], v[2:3], v[0:1]
	v_fma_f64 v[0:1], v[0:1], v[15:16], v[2:3]
	v_div_scale_f64 v[2:3], null, v[0:1], v[0:1], 1.0
	v_rcp_f64_e32 v[17:18], v[2:3]
	v_fma_f64 v[19:20], -v[2:3], v[17:18], 1.0
	v_fma_f64 v[17:18], v[17:18], v[19:20], v[17:18]
	v_fma_f64 v[19:20], -v[2:3], v[17:18], 1.0
	v_fma_f64 v[17:18], v[17:18], v[19:20], v[17:18]
	v_div_scale_f64 v[19:20], vcc_lo, 1.0, v[0:1], 1.0
	v_mul_f64 v[21:22], v[19:20], v[17:18]
	v_fma_f64 v[2:3], -v[2:3], v[21:22], v[19:20]
	v_div_fmas_f64 v[2:3], v[2:3], v[17:18], v[21:22]
	v_div_fixup_f64 v[2:3], v[2:3], v[0:1], 1.0
	v_mul_f64 v[0:1], v[15:16], v[2:3]
	v_xor_b32_e32 v3, 0x80000000, v3
.LBB124_231:
	s_andn2_saveexec_b32 s16, s16
	s_cbranch_execz .LBB124_233
; %bb.232:
	v_div_scale_f64 v[15:16], null, v[0:1], v[0:1], v[2:3]
	v_div_scale_f64 v[21:22], vcc_lo, v[2:3], v[0:1], v[2:3]
	v_rcp_f64_e32 v[17:18], v[15:16]
	v_fma_f64 v[19:20], -v[15:16], v[17:18], 1.0
	v_fma_f64 v[17:18], v[17:18], v[19:20], v[17:18]
	v_fma_f64 v[19:20], -v[15:16], v[17:18], 1.0
	v_fma_f64 v[17:18], v[17:18], v[19:20], v[17:18]
	v_mul_f64 v[19:20], v[21:22], v[17:18]
	v_fma_f64 v[15:16], -v[15:16], v[19:20], v[21:22]
	v_div_fmas_f64 v[15:16], v[15:16], v[17:18], v[19:20]
	v_div_fixup_f64 v[15:16], v[15:16], v[0:1], v[2:3]
	v_fma_f64 v[0:1], v[2:3], v[15:16], v[0:1]
	v_div_scale_f64 v[2:3], null, v[0:1], v[0:1], 1.0
	v_rcp_f64_e32 v[17:18], v[2:3]
	v_fma_f64 v[19:20], -v[2:3], v[17:18], 1.0
	v_fma_f64 v[17:18], v[17:18], v[19:20], v[17:18]
	v_fma_f64 v[19:20], -v[2:3], v[17:18], 1.0
	v_fma_f64 v[17:18], v[17:18], v[19:20], v[17:18]
	v_div_scale_f64 v[19:20], vcc_lo, 1.0, v[0:1], 1.0
	v_mul_f64 v[21:22], v[19:20], v[17:18]
	v_fma_f64 v[2:3], -v[2:3], v[21:22], v[19:20]
	v_div_fmas_f64 v[2:3], v[2:3], v[17:18], v[21:22]
	v_div_fixup_f64 v[0:1], v[2:3], v[0:1], 1.0
	v_mul_f64 v[2:3], v[15:16], -v[0:1]
.LBB124_233:
	s_or_b32 exec_lo, exec_lo, s16
.LBB124_234:
	s_or_b32 exec_lo, exec_lo, s4
	s_mov_b32 s4, exec_lo
	v_cmpx_ne_u32_e64 v11, v4
	s_xor_b32 s4, exec_lo, s4
	s_cbranch_execz .LBB124_240
; %bb.235:
	s_mov_b32 s16, exec_lo
	v_cmpx_eq_u32_e32 9, v11
	s_cbranch_execz .LBB124_239
; %bb.236:
	v_cmp_ne_u32_e32 vcc_lo, 9, v4
	s_xor_b32 s17, s20, -1
	s_and_b32 s56, s17, vcc_lo
	s_and_saveexec_b32 s17, s56
	s_cbranch_execz .LBB124_238
; %bb.237:
	v_ashrrev_i32_e32 v5, 31, v4
	v_lshlrev_b64 v[10:11], 2, v[4:5]
	v_add_co_u32 v10, vcc_lo, v8, v10
	v_add_co_ci_u32_e64 v11, null, v9, v11, vcc_lo
	s_clause 0x1
	global_load_dword v5, v[10:11], off
	global_load_dword v15, v[8:9], off offset:36
	s_waitcnt vmcnt(1)
	global_store_dword v[8:9], v5, off offset:36
	s_waitcnt vmcnt(0)
	global_store_dword v[10:11], v15, off
.LBB124_238:
	s_or_b32 exec_lo, exec_lo, s17
	v_mov_b32_e32 v11, v4
	v_mov_b32_e32 v5, v4
.LBB124_239:
	s_or_b32 exec_lo, exec_lo, s16
.LBB124_240:
	s_andn2_saveexec_b32 s4, s4
	s_cbranch_execz .LBB124_246
; %bb.241:
	s_movk_i32 s16, 0xa0
	s_branch .LBB124_243
.LBB124_242:                            ;   in Loop: Header=BB124_243 Depth=1
	s_andn2_b32 vcc_lo, exec_lo, s56
	s_cbranch_vccz .LBB124_245
.LBB124_243:                            ; =>This Inner Loop Header: Depth=1
	v_mov_b32_e32 v4, s16
	s_mov_b32 s17, s16
	s_mov_b32 s56, -1
	s_cmpk_eq_i32 s16, 0x3a0
	s_clause 0x13
	buffer_load_dword v10, v4, s[0:3], 0 offen
	buffer_load_dword v11, v4, s[0:3], 0 offen offset:4
	buffer_load_dword v15, v4, s[0:3], 0 offen offset:8
	;; [unrolled: 1-line block ×19, first 2 shown]
	v_add_nc_u32_e32 v4, s16, v12
	s_waitcnt vmcnt(16)
	ds_write2_b64 v4, v[10:11], v[15:16] offset1:1
	s_waitcnt vmcnt(12)
	ds_write2_b64 v4, v[17:18], v[19:20] offset0:2 offset1:3
	s_waitcnt vmcnt(8)
	ds_write2_b64 v4, v[21:22], v[23:24] offset0:4 offset1:5
	;; [unrolled: 2-line block ×4, first 2 shown]
	s_cbranch_scc1 .LBB124_242
; %bb.244:                              ;   in Loop: Header=BB124_243 Depth=1
	v_mov_b32_e32 v24, s17
	s_addk_i32 s16, 0x80
	s_mov_b32 s56, 0
	s_clause 0xb
	buffer_load_dword v10, v24, s[0:3], 0 offen offset:80
	buffer_load_dword v11, v24, s[0:3], 0 offen offset:84
	buffer_load_dword v15, v24, s[0:3], 0 offen offset:88
	buffer_load_dword v16, v24, s[0:3], 0 offen offset:92
	buffer_load_dword v17, v24, s[0:3], 0 offen offset:96
	buffer_load_dword v18, v24, s[0:3], 0 offen offset:100
	buffer_load_dword v19, v24, s[0:3], 0 offen offset:104
	buffer_load_dword v20, v24, s[0:3], 0 offen offset:108
	buffer_load_dword v21, v24, s[0:3], 0 offen offset:112
	buffer_load_dword v22, v24, s[0:3], 0 offen offset:116
	buffer_load_dword v23, v24, s[0:3], 0 offen offset:120
	buffer_load_dword v24, v24, s[0:3], 0 offen offset:124
	s_waitcnt vmcnt(8)
	ds_write2_b64 v4, v[10:11], v[15:16] offset0:10 offset1:11
	s_waitcnt vmcnt(4)
	ds_write2_b64 v4, v[17:18], v[19:20] offset0:12 offset1:13
	;; [unrolled: 2-line block ×3, first 2 shown]
	s_branch .LBB124_242
.LBB124_245:
	v_mov_b32_e32 v11, 9
.LBB124_246:
	s_or_b32 exec_lo, exec_lo, s4
	s_mov_b32 s4, exec_lo
	s_waitcnt lgkmcnt(0)
	s_waitcnt_vscnt null, 0x0
	s_barrier
	buffer_gl0_inv
	v_cmpx_lt_i32_e32 9, v11
	s_cbranch_execz .LBB124_251
; %bb.247:
	s_clause 0x3
	buffer_load_dword v15, off, s[0:3], 0 offset:152
	buffer_load_dword v16, off, s[0:3], 0 offset:156
	;; [unrolled: 1-line block ×4, first 2 shown]
	s_movk_i32 s82, 0xa0
	s_waitcnt vmcnt(2)
	v_mul_f64 v[19:20], v[2:3], v[15:16]
	v_mul_f64 v[15:16], v[0:1], v[15:16]
	s_waitcnt vmcnt(0)
	v_fma_f64 v[0:1], v[0:1], v[17:18], -v[19:20]
	v_fma_f64 v[2:3], v[2:3], v[17:18], v[15:16]
	buffer_store_dword v0, off, s[0:3], 0 offset:144
	buffer_store_dword v1, off, s[0:3], 0 offset:148
	;; [unrolled: 1-line block ×4, first 2 shown]
	s_branch .LBB124_249
.LBB124_248:                            ;   in Loop: Header=BB124_249 Depth=1
	s_andn2_b32 vcc_lo, exec_lo, s17
	s_cbranch_vccz .LBB124_251
.LBB124_249:                            ; =>This Inner Loop Header: Depth=1
	v_mov_b32_e32 v10, s82
	v_add_nc_u32_e32 v4, s82, v12
	s_mov_b32 s16, s82
	s_mov_b32 s17, -1
	s_cmpk_eq_i32 s82, 0x3e0
	s_clause 0x3
	buffer_load_dword v19, v10, s[0:3], 0 offen
	buffer_load_dword v20, v10, s[0:3], 0 offen offset:4
	buffer_load_dword v21, v10, s[0:3], 0 offen offset:8
	;; [unrolled: 1-line block ×3, first 2 shown]
	ds_read2_b64 v[15:18], v4 offset1:1
	s_waitcnt vmcnt(4) lgkmcnt(0)
	v_mul_f64 v[23:24], v[17:18], v[2:3]
	v_mul_f64 v[2:3], v[15:16], v[2:3]
	v_fma_f64 v[15:16], v[15:16], v[0:1], -v[23:24]
	v_fma_f64 v[0:1], v[17:18], v[0:1], v[2:3]
	s_waitcnt vmcnt(2)
	v_add_f64 v[2:3], v[19:20], -v[15:16]
	s_waitcnt vmcnt(0)
	v_add_f64 v[0:1], v[21:22], -v[0:1]
	buffer_store_dword v2, v10, s[0:3], 0 offen
	buffer_store_dword v3, v10, s[0:3], 0 offen offset:4
	buffer_store_dword v0, v10, s[0:3], 0 offen offset:8
	;; [unrolled: 1-line block ×3, first 2 shown]
                                        ; implicit-def: $vgpr0_vgpr1
                                        ; implicit-def: $vgpr2_vgpr3
	s_cbranch_scc1 .LBB124_248
; %bb.250:                              ;   in Loop: Header=BB124_249 Depth=1
	s_clause 0x3
	buffer_load_dword v19, off, s[0:3], 0 offset:152
	buffer_load_dword v20, off, s[0:3], 0 offset:156
	;; [unrolled: 1-line block ×4, first 2 shown]
	v_mov_b32_e32 v10, s16
	s_add_i32 s82, s82, 64
	s_mov_b32 s17, 0
	s_clause 0x3
	buffer_load_dword v23, v10, s[0:3], 0 offen offset:16
	buffer_load_dword v24, v10, s[0:3], 0 offen offset:20
	;; [unrolled: 1-line block ×4, first 2 shown]
	ds_read2_b64 v[0:3], v4 offset0:2 offset1:3
	ds_read2_b64 v[15:18], v4 offset0:4 offset1:5
	s_waitcnt vmcnt(6) lgkmcnt(1)
	v_mul_f64 v[27:28], v[2:3], v[19:20]
	v_mul_f64 v[19:20], v[0:1], v[19:20]
	s_waitcnt vmcnt(4)
	v_fma_f64 v[0:1], v[0:1], v[21:22], -v[27:28]
	v_fma_f64 v[2:3], v[2:3], v[21:22], v[19:20]
	s_waitcnt vmcnt(2)
	v_add_f64 v[0:1], v[23:24], -v[0:1]
	s_waitcnt vmcnt(0)
	v_add_f64 v[2:3], v[25:26], -v[2:3]
	buffer_store_dword v1, v10, s[0:3], 0 offen offset:20
	buffer_store_dword v0, v10, s[0:3], 0 offen offset:16
	;; [unrolled: 1-line block ×4, first 2 shown]
	s_clause 0x7
	buffer_load_dword v1, v10, s[0:3], 0 offen offset:36
	buffer_load_dword v2, v10, s[0:3], 0 offen offset:40
	;; [unrolled: 1-line block ×3, first 2 shown]
	buffer_load_dword v20, off, s[0:3], 0 offset:156
	buffer_load_dword v19, off, s[0:3], 0 offset:152
	;; [unrolled: 1-line block ×4, first 2 shown]
	buffer_load_dword v0, v10, s[0:3], 0 offen offset:32
	s_waitcnt vmcnt(3) lgkmcnt(0)
	v_mul_f64 v[23:24], v[17:18], v[19:20]
	v_mul_f64 v[19:20], v[15:16], v[19:20]
	s_waitcnt vmcnt(1)
	v_fma_f64 v[15:16], v[15:16], v[21:22], -v[23:24]
	v_fma_f64 v[17:18], v[17:18], v[21:22], v[19:20]
	s_waitcnt vmcnt(0)
	v_add_f64 v[0:1], v[0:1], -v[15:16]
	v_add_f64 v[2:3], v[2:3], -v[17:18]
	buffer_store_dword v1, v10, s[0:3], 0 offen offset:36
	buffer_store_dword v0, v10, s[0:3], 0 offen offset:32
	;; [unrolled: 1-line block ×4, first 2 shown]
	s_clause 0x7
	buffer_load_dword v16, v10, s[0:3], 0 offen offset:52
	buffer_load_dword v17, v10, s[0:3], 0 offen offset:56
	;; [unrolled: 1-line block ×3, first 2 shown]
	buffer_load_dword v19, off, s[0:3], 0 offset:152
	buffer_load_dword v20, off, s[0:3], 0 offset:156
	;; [unrolled: 1-line block ×4, first 2 shown]
	buffer_load_dword v15, v10, s[0:3], 0 offen offset:48
	ds_read2_b64 v[0:3], v4 offset0:6 offset1:7
	s_waitcnt vmcnt(3) lgkmcnt(0)
	v_mul_f64 v[23:24], v[2:3], v[19:20]
	v_mul_f64 v[19:20], v[0:1], v[19:20]
	s_waitcnt vmcnt(1)
	v_fma_f64 v[0:1], v[0:1], v[21:22], -v[23:24]
	v_fma_f64 v[2:3], v[2:3], v[21:22], v[19:20]
	s_waitcnt vmcnt(0)
	v_add_f64 v[0:1], v[15:16], -v[0:1]
	v_add_f64 v[2:3], v[17:18], -v[2:3]
	buffer_store_dword v1, v10, s[0:3], 0 offen offset:52
	buffer_store_dword v0, v10, s[0:3], 0 offen offset:48
	;; [unrolled: 1-line block ×4, first 2 shown]
	s_clause 0x3
	buffer_load_dword v0, off, s[0:3], 0 offset:144
	buffer_load_dword v1, off, s[0:3], 0 offset:148
	;; [unrolled: 1-line block ×4, first 2 shown]
	s_branch .LBB124_248
.LBB124_251:
	s_or_b32 exec_lo, exec_lo, s4
	s_waitcnt vmcnt(0)
	v_mov_b32_e32 v3, s73
	s_waitcnt_vscnt null, 0x0
	s_barrier
	buffer_gl0_inv
	v_lshl_add_u32 v4, v11, 4, v12
	s_clause 0x3
	buffer_load_dword v0, v3, s[0:3], 0 offen
	buffer_load_dword v1, v3, s[0:3], 0 offen offset:4
	buffer_load_dword v2, v3, s[0:3], 0 offen offset:8
	;; [unrolled: 1-line block ×3, first 2 shown]
	s_cmp_lt_i32 s57, 12
	s_waitcnt vmcnt(0)
	ds_write2_b64 v4, v[0:1], v[2:3] offset1:1
	s_waitcnt lgkmcnt(0)
	s_barrier
	buffer_gl0_inv
	ds_read2_b64 v[0:3], v12 offset0:20 offset1:21
	v_mov_b32_e32 v4, 10
	s_cbranch_scc1 .LBB124_254
; %bb.252:
	v_add3_u32 v10, v14, 0, 0xb0
	v_mov_b32_e32 v4, 10
	s_mov_b32 s16, 11
	s_inst_prefetch 0x1
	.p2align	6
.LBB124_253:                            ; =>This Inner Loop Header: Depth=1
	s_waitcnt lgkmcnt(0)
	v_cmp_gt_f64_e32 vcc_lo, 0, v[2:3]
	v_cmp_gt_f64_e64 s4, 0, v[0:1]
	ds_read2_b64 v[15:18], v10 offset1:1
	v_xor_b32_e32 v20, 0x80000000, v1
	v_xor_b32_e32 v22, 0x80000000, v3
	v_mov_b32_e32 v19, v0
	v_mov_b32_e32 v21, v2
	v_add_nc_u32_e32 v10, 16, v10
	s_waitcnt lgkmcnt(0)
	v_xor_b32_e32 v24, 0x80000000, v18
	v_cndmask_b32_e64 v20, v1, v20, s4
	v_cndmask_b32_e32 v22, v3, v22, vcc_lo
	v_cmp_gt_f64_e32 vcc_lo, 0, v[17:18]
	v_cmp_gt_f64_e64 s4, 0, v[15:16]
	v_mov_b32_e32 v23, v17
	v_add_f64 v[19:20], v[19:20], v[21:22]
	v_xor_b32_e32 v22, 0x80000000, v16
	v_mov_b32_e32 v21, v15
	v_cndmask_b32_e32 v24, v18, v24, vcc_lo
	v_cndmask_b32_e64 v22, v16, v22, s4
	v_add_f64 v[21:22], v[21:22], v[23:24]
	v_cmp_lt_f64_e32 vcc_lo, v[19:20], v[21:22]
	v_cndmask_b32_e32 v1, v1, v16, vcc_lo
	v_cndmask_b32_e32 v0, v0, v15, vcc_lo
	;; [unrolled: 1-line block ×4, first 2 shown]
	v_cndmask_b32_e64 v4, v4, s16, vcc_lo
	s_add_i32 s16, s16, 1
	s_cmp_lg_u32 s57, s16
	s_cbranch_scc1 .LBB124_253
.LBB124_254:
	s_inst_prefetch 0x2
	s_waitcnt lgkmcnt(0)
	v_cmp_eq_f64_e32 vcc_lo, 0, v[0:1]
	v_cmp_eq_f64_e64 s4, 0, v[2:3]
	s_and_b32 s4, vcc_lo, s4
	s_and_saveexec_b32 s16, s4
	s_xor_b32 s4, exec_lo, s16
; %bb.255:
	v_cmp_ne_u32_e32 vcc_lo, 0, v13
	v_cndmask_b32_e32 v13, 11, v13, vcc_lo
; %bb.256:
	s_andn2_saveexec_b32 s4, s4
	s_cbranch_execz .LBB124_262
; %bb.257:
	v_cmp_ngt_f64_e64 s16, |v[0:1]|, |v[2:3]|
	s_and_saveexec_b32 s17, s16
	s_xor_b32 s16, exec_lo, s17
	s_cbranch_execz .LBB124_259
; %bb.258:
	v_div_scale_f64 v[15:16], null, v[2:3], v[2:3], v[0:1]
	v_div_scale_f64 v[21:22], vcc_lo, v[0:1], v[2:3], v[0:1]
	v_rcp_f64_e32 v[17:18], v[15:16]
	v_fma_f64 v[19:20], -v[15:16], v[17:18], 1.0
	v_fma_f64 v[17:18], v[17:18], v[19:20], v[17:18]
	v_fma_f64 v[19:20], -v[15:16], v[17:18], 1.0
	v_fma_f64 v[17:18], v[17:18], v[19:20], v[17:18]
	v_mul_f64 v[19:20], v[21:22], v[17:18]
	v_fma_f64 v[15:16], -v[15:16], v[19:20], v[21:22]
	v_div_fmas_f64 v[15:16], v[15:16], v[17:18], v[19:20]
	v_div_fixup_f64 v[15:16], v[15:16], v[2:3], v[0:1]
	v_fma_f64 v[0:1], v[0:1], v[15:16], v[2:3]
	v_div_scale_f64 v[2:3], null, v[0:1], v[0:1], 1.0
	v_rcp_f64_e32 v[17:18], v[2:3]
	v_fma_f64 v[19:20], -v[2:3], v[17:18], 1.0
	v_fma_f64 v[17:18], v[17:18], v[19:20], v[17:18]
	v_fma_f64 v[19:20], -v[2:3], v[17:18], 1.0
	v_fma_f64 v[17:18], v[17:18], v[19:20], v[17:18]
	v_div_scale_f64 v[19:20], vcc_lo, 1.0, v[0:1], 1.0
	v_mul_f64 v[21:22], v[19:20], v[17:18]
	v_fma_f64 v[2:3], -v[2:3], v[21:22], v[19:20]
	v_div_fmas_f64 v[2:3], v[2:3], v[17:18], v[21:22]
	v_div_fixup_f64 v[2:3], v[2:3], v[0:1], 1.0
	v_mul_f64 v[0:1], v[15:16], v[2:3]
	v_xor_b32_e32 v3, 0x80000000, v3
.LBB124_259:
	s_andn2_saveexec_b32 s16, s16
	s_cbranch_execz .LBB124_261
; %bb.260:
	v_div_scale_f64 v[15:16], null, v[0:1], v[0:1], v[2:3]
	v_div_scale_f64 v[21:22], vcc_lo, v[2:3], v[0:1], v[2:3]
	v_rcp_f64_e32 v[17:18], v[15:16]
	v_fma_f64 v[19:20], -v[15:16], v[17:18], 1.0
	v_fma_f64 v[17:18], v[17:18], v[19:20], v[17:18]
	v_fma_f64 v[19:20], -v[15:16], v[17:18], 1.0
	v_fma_f64 v[17:18], v[17:18], v[19:20], v[17:18]
	v_mul_f64 v[19:20], v[21:22], v[17:18]
	v_fma_f64 v[15:16], -v[15:16], v[19:20], v[21:22]
	v_div_fmas_f64 v[15:16], v[15:16], v[17:18], v[19:20]
	v_div_fixup_f64 v[15:16], v[15:16], v[0:1], v[2:3]
	v_fma_f64 v[0:1], v[2:3], v[15:16], v[0:1]
	v_div_scale_f64 v[2:3], null, v[0:1], v[0:1], 1.0
	v_rcp_f64_e32 v[17:18], v[2:3]
	v_fma_f64 v[19:20], -v[2:3], v[17:18], 1.0
	v_fma_f64 v[17:18], v[17:18], v[19:20], v[17:18]
	v_fma_f64 v[19:20], -v[2:3], v[17:18], 1.0
	v_fma_f64 v[17:18], v[17:18], v[19:20], v[17:18]
	v_div_scale_f64 v[19:20], vcc_lo, 1.0, v[0:1], 1.0
	v_mul_f64 v[21:22], v[19:20], v[17:18]
	v_fma_f64 v[2:3], -v[2:3], v[21:22], v[19:20]
	v_div_fmas_f64 v[2:3], v[2:3], v[17:18], v[21:22]
	v_div_fixup_f64 v[0:1], v[2:3], v[0:1], 1.0
	v_mul_f64 v[2:3], v[15:16], -v[0:1]
.LBB124_261:
	s_or_b32 exec_lo, exec_lo, s16
.LBB124_262:
	s_or_b32 exec_lo, exec_lo, s4
	s_mov_b32 s4, exec_lo
	v_cmpx_ne_u32_e64 v11, v4
	s_xor_b32 s4, exec_lo, s4
	s_cbranch_execz .LBB124_268
; %bb.263:
	s_mov_b32 s16, exec_lo
	v_cmpx_eq_u32_e32 10, v11
	s_cbranch_execz .LBB124_267
; %bb.264:
	v_cmp_ne_u32_e32 vcc_lo, 10, v4
	s_xor_b32 s17, s20, -1
	s_and_b32 s56, s17, vcc_lo
	s_and_saveexec_b32 s17, s56
	s_cbranch_execz .LBB124_266
; %bb.265:
	v_ashrrev_i32_e32 v5, 31, v4
	v_lshlrev_b64 v[10:11], 2, v[4:5]
	v_add_co_u32 v10, vcc_lo, v8, v10
	v_add_co_ci_u32_e64 v11, null, v9, v11, vcc_lo
	s_clause 0x1
	global_load_dword v5, v[10:11], off
	global_load_dword v15, v[8:9], off offset:40
	s_waitcnt vmcnt(1)
	global_store_dword v[8:9], v5, off offset:40
	s_waitcnt vmcnt(0)
	global_store_dword v[10:11], v15, off
.LBB124_266:
	s_or_b32 exec_lo, exec_lo, s17
	v_mov_b32_e32 v11, v4
	v_mov_b32_e32 v5, v4
.LBB124_267:
	s_or_b32 exec_lo, exec_lo, s16
.LBB124_268:
	s_andn2_saveexec_b32 s4, s4
	s_cbranch_execz .LBB124_272
; %bb.269:
	s_movk_i32 s16, 0xb0
.LBB124_270:                            ; =>This Inner Loop Header: Depth=1
	v_mov_b32_e32 v4, s16
	s_clause 0x33
	buffer_load_dword v10, v4, s[0:3], 0 offen
	buffer_load_dword v11, v4, s[0:3], 0 offen offset:4
	buffer_load_dword v15, v4, s[0:3], 0 offen offset:8
	;; [unrolled: 1-line block ×51, first 2 shown]
	v_add_nc_u32_e32 v4, s16, v12
	s_addk_i32 s16, 0xd0
	s_waitcnt vmcnt(48)
	ds_write2_b64 v4, v[10:11], v[15:16] offset1:1
	s_waitcnt vmcnt(44)
	ds_write2_b64 v4, v[17:18], v[19:20] offset0:2 offset1:3
	s_waitcnt vmcnt(40)
	ds_write2_b64 v4, v[21:22], v[23:24] offset0:4 offset1:5
	;; [unrolled: 2-line block ×4, first 2 shown]
	ds_write2_b64 v4, v[33:34], v[31:32] offset0:10 offset1:11
	s_waitcnt vmcnt(20)
	ds_write2_b64 v4, v[43:44], v[37:38] offset0:12 offset1:13
	ds_write2_b64 v4, v[41:42], v[39:40] offset0:14 offset1:15
	s_waitcnt vmcnt(16)
	ds_write2_b64 v4, v[45:46], v[47:48] offset0:16 offset1:17
	s_waitcnt vmcnt(12)
	;; [unrolled: 2-line block ×5, first 2 shown]
	ds_write2_b64 v4, v[61:62], v[63:64] offset0:24 offset1:25
	s_cmpk_eq_i32 s16, 0x3f0
	s_cbranch_scc0 .LBB124_270
; %bb.271:
	v_mov_b32_e32 v11, 10
.LBB124_272:
	s_or_b32 exec_lo, exec_lo, s4
	s_mov_b32 s4, exec_lo
	s_waitcnt lgkmcnt(0)
	s_waitcnt_vscnt null, 0x0
	s_barrier
	buffer_gl0_inv
	v_cmpx_lt_i32_e32 10, v11
	s_cbranch_execz .LBB124_275
; %bb.273:
	s_clause 0x3
	buffer_load_dword v15, off, s[0:3], 0 offset:168
	buffer_load_dword v16, off, s[0:3], 0 offset:172
	;; [unrolled: 1-line block ×4, first 2 shown]
	s_movk_i32 s82, 0xb0
	s_waitcnt vmcnt(2)
	v_mul_f64 v[19:20], v[2:3], v[15:16]
	v_mul_f64 v[15:16], v[0:1], v[15:16]
	s_waitcnt vmcnt(0)
	v_fma_f64 v[0:1], v[0:1], v[17:18], -v[19:20]
	v_fma_f64 v[2:3], v[2:3], v[17:18], v[15:16]
	buffer_store_dword v0, off, s[0:3], 0 offset:160
	buffer_store_dword v1, off, s[0:3], 0 offset:164
	;; [unrolled: 1-line block ×4, first 2 shown]
.LBB124_274:                            ; =>This Inner Loop Header: Depth=1
	s_clause 0x3
	buffer_load_dword v19, off, s[0:3], 0 offset:168
	buffer_load_dword v20, off, s[0:3], 0 offset:172
	;; [unrolled: 1-line block ×4, first 2 shown]
	v_mov_b32_e32 v4, s82
	v_add_nc_u32_e32 v10, s82, v12
	s_add_i32 s82, s82, 64
	s_clause 0x3
	buffer_load_dword v23, v4, s[0:3], 0 offen
	buffer_load_dword v24, v4, s[0:3], 0 offen offset:4
	buffer_load_dword v25, v4, s[0:3], 0 offen offset:8
	;; [unrolled: 1-line block ×3, first 2 shown]
	ds_read2_b64 v[0:3], v10 offset1:1
	ds_read2_b64 v[15:18], v10 offset0:2 offset1:3
	s_cmpk_lg_i32 s82, 0x3f0
	s_waitcnt vmcnt(6) lgkmcnt(1)
	v_mul_f64 v[27:28], v[2:3], v[19:20]
	v_mul_f64 v[19:20], v[0:1], v[19:20]
	s_waitcnt vmcnt(4)
	v_fma_f64 v[0:1], v[0:1], v[21:22], -v[27:28]
	v_fma_f64 v[2:3], v[2:3], v[21:22], v[19:20]
	s_clause 0x3
	buffer_load_dword v19, v4, s[0:3], 0 offen offset:16
	buffer_load_dword v20, v4, s[0:3], 0 offen offset:20
	;; [unrolled: 1-line block ×4, first 2 shown]
	s_waitcnt vmcnt(6)
	v_add_f64 v[0:1], v[23:24], -v[0:1]
	s_waitcnt vmcnt(4)
	v_add_f64 v[2:3], v[25:26], -v[2:3]
	buffer_store_dword v1, v4, s[0:3], 0 offen offset:4
	buffer_store_dword v0, v4, s[0:3], 0 offen
	buffer_store_dword v3, v4, s[0:3], 0 offen offset:12
	buffer_store_dword v2, v4, s[0:3], 0 offen offset:8
	s_clause 0x3
	buffer_load_dword v1, off, s[0:3], 0 offset:172
	buffer_load_dword v0, off, s[0:3], 0 offset:168
	;; [unrolled: 1-line block ×4, first 2 shown]
	s_waitcnt vmcnt(2) lgkmcnt(0)
	v_mul_f64 v[23:24], v[17:18], v[0:1]
	v_mul_f64 v[0:1], v[15:16], v[0:1]
	s_waitcnt vmcnt(0)
	v_fma_f64 v[15:16], v[15:16], v[2:3], -v[23:24]
	v_fma_f64 v[0:1], v[17:18], v[2:3], v[0:1]
	v_add_f64 v[2:3], v[19:20], -v[15:16]
	v_add_f64 v[0:1], v[21:22], -v[0:1]
	s_clause 0x3
	buffer_load_dword v19, v4, s[0:3], 0 offen offset:32
	buffer_load_dword v20, v4, s[0:3], 0 offen offset:36
	;; [unrolled: 1-line block ×4, first 2 shown]
	buffer_store_dword v3, v4, s[0:3], 0 offen offset:20
	buffer_store_dword v2, v4, s[0:3], 0 offen offset:16
	;; [unrolled: 1-line block ×4, first 2 shown]
	s_clause 0x3
	buffer_load_dword v23, off, s[0:3], 0 offset:168
	buffer_load_dword v24, off, s[0:3], 0 offset:172
	buffer_load_dword v25, off, s[0:3], 0 offset:160
	buffer_load_dword v26, off, s[0:3], 0 offset:164
	ds_read2_b64 v[0:3], v10 offset0:4 offset1:5
	ds_read2_b64 v[15:18], v10 offset0:6 offset1:7
	s_waitcnt vmcnt(2) lgkmcnt(1)
	v_mul_f64 v[27:28], v[2:3], v[23:24]
	v_mul_f64 v[23:24], v[0:1], v[23:24]
	s_waitcnt vmcnt(0)
	v_fma_f64 v[0:1], v[0:1], v[25:26], -v[27:28]
	v_fma_f64 v[2:3], v[2:3], v[25:26], v[23:24]
	v_add_f64 v[0:1], v[19:20], -v[0:1]
	v_add_f64 v[2:3], v[21:22], -v[2:3]
	buffer_store_dword v1, v4, s[0:3], 0 offen offset:36
	buffer_store_dword v0, v4, s[0:3], 0 offen offset:32
	;; [unrolled: 1-line block ×4, first 2 shown]
	s_clause 0x7
	buffer_load_dword v0, off, s[0:3], 0 offset:168
	buffer_load_dword v1, off, s[0:3], 0 offset:172
	;; [unrolled: 1-line block ×4, first 2 shown]
	buffer_load_dword v19, v4, s[0:3], 0 offen offset:48
	buffer_load_dword v20, v4, s[0:3], 0 offen offset:52
	;; [unrolled: 1-line block ×4, first 2 shown]
	s_waitcnt vmcnt(6) lgkmcnt(0)
	v_mul_f64 v[23:24], v[17:18], v[0:1]
	v_mul_f64 v[0:1], v[15:16], v[0:1]
	s_waitcnt vmcnt(4)
	v_fma_f64 v[15:16], v[15:16], v[2:3], -v[23:24]
	v_fma_f64 v[0:1], v[17:18], v[2:3], v[0:1]
	s_waitcnt vmcnt(2)
	v_add_f64 v[2:3], v[19:20], -v[15:16]
	s_waitcnt vmcnt(0)
	v_add_f64 v[0:1], v[21:22], -v[0:1]
	buffer_store_dword v3, v4, s[0:3], 0 offen offset:52
	buffer_store_dword v2, v4, s[0:3], 0 offen offset:48
	;; [unrolled: 1-line block ×4, first 2 shown]
	s_cbranch_scc1 .LBB124_274
.LBB124_275:
	s_or_b32 exec_lo, exec_lo, s4
	v_mov_b32_e32 v3, s72
	s_waitcnt_vscnt null, 0x0
	s_barrier
	buffer_gl0_inv
	v_lshl_add_u32 v4, v11, 4, v12
	s_clause 0x3
	buffer_load_dword v0, v3, s[0:3], 0 offen
	buffer_load_dword v1, v3, s[0:3], 0 offen offset:4
	buffer_load_dword v2, v3, s[0:3], 0 offen offset:8
	buffer_load_dword v3, v3, s[0:3], 0 offen offset:12
	s_cmp_lt_i32 s57, 13
	s_waitcnt vmcnt(0)
	ds_write2_b64 v4, v[0:1], v[2:3] offset1:1
	s_waitcnt lgkmcnt(0)
	s_barrier
	buffer_gl0_inv
	ds_read2_b64 v[0:3], v12 offset0:22 offset1:23
	v_mov_b32_e32 v4, 11
	s_cbranch_scc1 .LBB124_278
; %bb.276:
	v_add3_u32 v10, v14, 0, 0xc0
	v_mov_b32_e32 v4, 11
	s_mov_b32 s16, 12
	s_inst_prefetch 0x1
	.p2align	6
.LBB124_277:                            ; =>This Inner Loop Header: Depth=1
	s_waitcnt lgkmcnt(0)
	v_cmp_gt_f64_e32 vcc_lo, 0, v[2:3]
	v_cmp_gt_f64_e64 s4, 0, v[0:1]
	ds_read2_b64 v[15:18], v10 offset1:1
	v_xor_b32_e32 v20, 0x80000000, v1
	v_xor_b32_e32 v22, 0x80000000, v3
	v_mov_b32_e32 v19, v0
	v_mov_b32_e32 v21, v2
	v_add_nc_u32_e32 v10, 16, v10
	s_waitcnt lgkmcnt(0)
	v_xor_b32_e32 v24, 0x80000000, v18
	v_cndmask_b32_e64 v20, v1, v20, s4
	v_cndmask_b32_e32 v22, v3, v22, vcc_lo
	v_cmp_gt_f64_e32 vcc_lo, 0, v[17:18]
	v_cmp_gt_f64_e64 s4, 0, v[15:16]
	v_mov_b32_e32 v23, v17
	v_add_f64 v[19:20], v[19:20], v[21:22]
	v_xor_b32_e32 v22, 0x80000000, v16
	v_mov_b32_e32 v21, v15
	v_cndmask_b32_e32 v24, v18, v24, vcc_lo
	v_cndmask_b32_e64 v22, v16, v22, s4
	v_add_f64 v[21:22], v[21:22], v[23:24]
	v_cmp_lt_f64_e32 vcc_lo, v[19:20], v[21:22]
	v_cndmask_b32_e32 v1, v1, v16, vcc_lo
	v_cndmask_b32_e32 v0, v0, v15, vcc_lo
	;; [unrolled: 1-line block ×4, first 2 shown]
	v_cndmask_b32_e64 v4, v4, s16, vcc_lo
	s_add_i32 s16, s16, 1
	s_cmp_lg_u32 s57, s16
	s_cbranch_scc1 .LBB124_277
.LBB124_278:
	s_inst_prefetch 0x2
	s_waitcnt lgkmcnt(0)
	v_cmp_eq_f64_e32 vcc_lo, 0, v[0:1]
	v_cmp_eq_f64_e64 s4, 0, v[2:3]
	s_and_b32 s4, vcc_lo, s4
	s_and_saveexec_b32 s16, s4
	s_xor_b32 s4, exec_lo, s16
; %bb.279:
	v_cmp_ne_u32_e32 vcc_lo, 0, v13
	v_cndmask_b32_e32 v13, 12, v13, vcc_lo
; %bb.280:
	s_andn2_saveexec_b32 s4, s4
	s_cbranch_execz .LBB124_286
; %bb.281:
	v_cmp_ngt_f64_e64 s16, |v[0:1]|, |v[2:3]|
	s_and_saveexec_b32 s17, s16
	s_xor_b32 s16, exec_lo, s17
	s_cbranch_execz .LBB124_283
; %bb.282:
	v_div_scale_f64 v[15:16], null, v[2:3], v[2:3], v[0:1]
	v_div_scale_f64 v[21:22], vcc_lo, v[0:1], v[2:3], v[0:1]
	v_rcp_f64_e32 v[17:18], v[15:16]
	v_fma_f64 v[19:20], -v[15:16], v[17:18], 1.0
	v_fma_f64 v[17:18], v[17:18], v[19:20], v[17:18]
	v_fma_f64 v[19:20], -v[15:16], v[17:18], 1.0
	v_fma_f64 v[17:18], v[17:18], v[19:20], v[17:18]
	v_mul_f64 v[19:20], v[21:22], v[17:18]
	v_fma_f64 v[15:16], -v[15:16], v[19:20], v[21:22]
	v_div_fmas_f64 v[15:16], v[15:16], v[17:18], v[19:20]
	v_div_fixup_f64 v[15:16], v[15:16], v[2:3], v[0:1]
	v_fma_f64 v[0:1], v[0:1], v[15:16], v[2:3]
	v_div_scale_f64 v[2:3], null, v[0:1], v[0:1], 1.0
	v_rcp_f64_e32 v[17:18], v[2:3]
	v_fma_f64 v[19:20], -v[2:3], v[17:18], 1.0
	v_fma_f64 v[17:18], v[17:18], v[19:20], v[17:18]
	v_fma_f64 v[19:20], -v[2:3], v[17:18], 1.0
	v_fma_f64 v[17:18], v[17:18], v[19:20], v[17:18]
	v_div_scale_f64 v[19:20], vcc_lo, 1.0, v[0:1], 1.0
	v_mul_f64 v[21:22], v[19:20], v[17:18]
	v_fma_f64 v[2:3], -v[2:3], v[21:22], v[19:20]
	v_div_fmas_f64 v[2:3], v[2:3], v[17:18], v[21:22]
	v_div_fixup_f64 v[2:3], v[2:3], v[0:1], 1.0
	v_mul_f64 v[0:1], v[15:16], v[2:3]
	v_xor_b32_e32 v3, 0x80000000, v3
.LBB124_283:
	s_andn2_saveexec_b32 s16, s16
	s_cbranch_execz .LBB124_285
; %bb.284:
	v_div_scale_f64 v[15:16], null, v[0:1], v[0:1], v[2:3]
	v_div_scale_f64 v[21:22], vcc_lo, v[2:3], v[0:1], v[2:3]
	v_rcp_f64_e32 v[17:18], v[15:16]
	v_fma_f64 v[19:20], -v[15:16], v[17:18], 1.0
	v_fma_f64 v[17:18], v[17:18], v[19:20], v[17:18]
	v_fma_f64 v[19:20], -v[15:16], v[17:18], 1.0
	v_fma_f64 v[17:18], v[17:18], v[19:20], v[17:18]
	v_mul_f64 v[19:20], v[21:22], v[17:18]
	v_fma_f64 v[15:16], -v[15:16], v[19:20], v[21:22]
	v_div_fmas_f64 v[15:16], v[15:16], v[17:18], v[19:20]
	v_div_fixup_f64 v[15:16], v[15:16], v[0:1], v[2:3]
	v_fma_f64 v[0:1], v[2:3], v[15:16], v[0:1]
	v_div_scale_f64 v[2:3], null, v[0:1], v[0:1], 1.0
	v_rcp_f64_e32 v[17:18], v[2:3]
	v_fma_f64 v[19:20], -v[2:3], v[17:18], 1.0
	v_fma_f64 v[17:18], v[17:18], v[19:20], v[17:18]
	v_fma_f64 v[19:20], -v[2:3], v[17:18], 1.0
	v_fma_f64 v[17:18], v[17:18], v[19:20], v[17:18]
	v_div_scale_f64 v[19:20], vcc_lo, 1.0, v[0:1], 1.0
	v_mul_f64 v[21:22], v[19:20], v[17:18]
	v_fma_f64 v[2:3], -v[2:3], v[21:22], v[19:20]
	v_div_fmas_f64 v[2:3], v[2:3], v[17:18], v[21:22]
	v_div_fixup_f64 v[0:1], v[2:3], v[0:1], 1.0
	v_mul_f64 v[2:3], v[15:16], -v[0:1]
.LBB124_285:
	s_or_b32 exec_lo, exec_lo, s16
.LBB124_286:
	s_or_b32 exec_lo, exec_lo, s4
	s_mov_b32 s4, exec_lo
	v_cmpx_ne_u32_e64 v11, v4
	s_xor_b32 s4, exec_lo, s4
	s_cbranch_execz .LBB124_292
; %bb.287:
	s_mov_b32 s16, exec_lo
	v_cmpx_eq_u32_e32 11, v11
	s_cbranch_execz .LBB124_291
; %bb.288:
	v_cmp_ne_u32_e32 vcc_lo, 11, v4
	s_xor_b32 s17, s20, -1
	s_and_b32 s56, s17, vcc_lo
	s_and_saveexec_b32 s17, s56
	s_cbranch_execz .LBB124_290
; %bb.289:
	v_ashrrev_i32_e32 v5, 31, v4
	v_lshlrev_b64 v[10:11], 2, v[4:5]
	v_add_co_u32 v10, vcc_lo, v8, v10
	v_add_co_ci_u32_e64 v11, null, v9, v11, vcc_lo
	s_clause 0x1
	global_load_dword v5, v[10:11], off
	global_load_dword v15, v[8:9], off offset:44
	s_waitcnt vmcnt(1)
	global_store_dword v[8:9], v5, off offset:44
	s_waitcnt vmcnt(0)
	global_store_dword v[10:11], v15, off
.LBB124_290:
	s_or_b32 exec_lo, exec_lo, s17
	v_mov_b32_e32 v11, v4
	v_mov_b32_e32 v5, v4
.LBB124_291:
	s_or_b32 exec_lo, exec_lo, s16
.LBB124_292:
	s_andn2_saveexec_b32 s4, s4
	s_cbranch_execz .LBB124_296
; %bb.293:
	s_movk_i32 s82, 0xc0
.LBB124_294:                            ; =>This Inner Loop Header: Depth=1
	v_mov_b32_e32 v4, s82
	s_clause 0x3e
	buffer_load_dword v10, v4, s[0:3], 0 offen
	buffer_load_dword v11, v4, s[0:3], 0 offen offset:4
	buffer_load_dword v15, v4, s[0:3], 0 offen offset:8
	buffer_load_dword v16, v4, s[0:3], 0 offen offset:12
	buffer_load_dword v17, v4, s[0:3], 0 offen offset:16
	buffer_load_dword v18, v4, s[0:3], 0 offen offset:20
	buffer_load_dword v19, v4, s[0:3], 0 offen offset:24
	buffer_load_dword v20, v4, s[0:3], 0 offen offset:28
	buffer_load_dword v21, v4, s[0:3], 0 offen offset:32
	buffer_load_dword v22, v4, s[0:3], 0 offen offset:36
	buffer_load_dword v23, v4, s[0:3], 0 offen offset:40
	buffer_load_dword v24, v4, s[0:3], 0 offen offset:44
	buffer_load_dword v25, v4, s[0:3], 0 offen offset:48
	buffer_load_dword v26, v4, s[0:3], 0 offen offset:52
	buffer_load_dword v27, v4, s[0:3], 0 offen offset:56
	buffer_load_dword v28, v4, s[0:3], 0 offen offset:60
	buffer_load_dword v30, v4, s[0:3], 0 offen offset:76
	buffer_load_dword v32, v4, s[0:3], 0 offen offset:92
	buffer_load_dword v31, v4, s[0:3], 0 offen offset:88
	buffer_load_dword v34, v4, s[0:3], 0 offen offset:84
	buffer_load_dword v33, v4, s[0:3], 0 offen offset:80
	buffer_load_dword v29, v4, s[0:3], 0 offen offset:72
	buffer_load_dword v36, v4, s[0:3], 0 offen offset:68
	buffer_load_dword v35, v4, s[0:3], 0 offen offset:64
	buffer_load_dword v38, v4, s[0:3], 0 offen offset:108
	buffer_load_dword v40, v4, s[0:3], 0 offen offset:124
	buffer_load_dword v39, v4, s[0:3], 0 offen offset:120
	buffer_load_dword v42, v4, s[0:3], 0 offen offset:116
	buffer_load_dword v41, v4, s[0:3], 0 offen offset:112
	buffer_load_dword v37, v4, s[0:3], 0 offen offset:104
	buffer_load_dword v44, v4, s[0:3], 0 offen offset:100
	buffer_load_dword v43, v4, s[0:3], 0 offen offset:96
	buffer_load_dword v45, v4, s[0:3], 0 offen offset:128
	buffer_load_dword v46, v4, s[0:3], 0 offen offset:132
	buffer_load_dword v47, v4, s[0:3], 0 offen offset:136
	buffer_load_dword v48, v4, s[0:3], 0 offen offset:140
	buffer_load_dword v49, v4, s[0:3], 0 offen offset:144
	buffer_load_dword v50, v4, s[0:3], 0 offen offset:148
	buffer_load_dword v51, v4, s[0:3], 0 offen offset:152
	buffer_load_dword v52, v4, s[0:3], 0 offen offset:156
	buffer_load_dword v53, v4, s[0:3], 0 offen offset:160
	buffer_load_dword v54, v4, s[0:3], 0 offen offset:164
	buffer_load_dword v55, v4, s[0:3], 0 offen offset:168
	buffer_load_dword v56, v4, s[0:3], 0 offen offset:172
	buffer_load_dword v57, v4, s[0:3], 0 offen offset:176
	buffer_load_dword v58, v4, s[0:3], 0 offen offset:180
	buffer_load_dword v59, v4, s[0:3], 0 offen offset:184
	buffer_load_dword v60, v4, s[0:3], 0 offen offset:188
	buffer_load_dword v61, v4, s[0:3], 0 offen offset:192
	buffer_load_dword v62, v4, s[0:3], 0 offen offset:196
	buffer_load_dword v63, v4, s[0:3], 0 offen offset:200
	buffer_load_dword v64, v4, s[0:3], 0 offen offset:204
	buffer_load_dword v65, v4, s[0:3], 0 offen offset:208
	buffer_load_dword v66, v4, s[0:3], 0 offen offset:212
	buffer_load_dword v67, v4, s[0:3], 0 offen offset:216
	buffer_load_dword v68, v4, s[0:3], 0 offen offset:220
	buffer_load_dword v69, v4, s[0:3], 0 offen offset:224
	buffer_load_dword v70, v4, s[0:3], 0 offen offset:228
	buffer_load_dword v71, v4, s[0:3], 0 offen offset:232
	buffer_load_dword v72, v4, s[0:3], 0 offen offset:236
	buffer_load_dword v73, v4, s[0:3], 0 offen offset:240
	buffer_load_dword v74, v4, s[0:3], 0 offen offset:244
	buffer_load_dword v75, v4, s[0:3], 0 offen offset:248
	s_clause 0x4
	buffer_load_dword v76, v4, s[0:3], 0 offen offset:252
	buffer_load_dword v77, v4, s[0:3], 0 offen offset:256
	;; [unrolled: 1-line block ×5, first 2 shown]
	v_add_nc_u32_e32 v4, s82, v12
	s_addk_i32 s82, 0x110
	s_waitcnt vmcnt(62)
	ds_write2_b64 v4, v[10:11], v[15:16] offset1:1
	s_waitcnt vmcnt(60)
	ds_write2_b64 v4, v[17:18], v[19:20] offset0:2 offset1:3
	s_waitcnt vmcnt(56)
	ds_write2_b64 v4, v[21:22], v[23:24] offset0:4 offset1:5
	;; [unrolled: 2-line block ×4, first 2 shown]
	ds_write2_b64 v4, v[33:34], v[31:32] offset0:10 offset1:11
	s_waitcnt vmcnt(36)
	ds_write2_b64 v4, v[43:44], v[37:38] offset0:12 offset1:13
	ds_write2_b64 v4, v[41:42], v[39:40] offset0:14 offset1:15
	s_waitcnt vmcnt(32)
	ds_write2_b64 v4, v[45:46], v[47:48] offset0:16 offset1:17
	s_waitcnt vmcnt(28)
	;; [unrolled: 2-line block ×9, first 2 shown]
	ds_write2_b64 v4, v[77:78], v[79:80] offset0:32 offset1:33
	s_cmpk_eq_i32 s82, 0x3f0
	s_cbranch_scc0 .LBB124_294
; %bb.295:
	v_mov_b32_e32 v11, 11
.LBB124_296:
	s_or_b32 exec_lo, exec_lo, s4
	s_mov_b32 s4, exec_lo
	s_waitcnt lgkmcnt(0)
	s_waitcnt_vscnt null, 0x0
	s_barrier
	buffer_gl0_inv
	v_cmpx_lt_i32_e32 11, v11
	s_cbranch_execz .LBB124_299
; %bb.297:
	s_clause 0x3
	buffer_load_dword v15, off, s[0:3], 0 offset:184
	buffer_load_dword v16, off, s[0:3], 0 offset:188
	;; [unrolled: 1-line block ×4, first 2 shown]
	s_movk_i32 s16, 0xc0
	s_waitcnt vmcnt(2)
	v_mul_f64 v[19:20], v[2:3], v[15:16]
	v_mul_f64 v[15:16], v[0:1], v[15:16]
	s_waitcnt vmcnt(0)
	v_fma_f64 v[0:1], v[0:1], v[17:18], -v[19:20]
	v_fma_f64 v[2:3], v[2:3], v[17:18], v[15:16]
	buffer_store_dword v0, off, s[0:3], 0 offset:176
	buffer_store_dword v1, off, s[0:3], 0 offset:180
	buffer_store_dword v2, off, s[0:3], 0 offset:184
	buffer_store_dword v3, off, s[0:3], 0 offset:188
.LBB124_298:                            ; =>This Inner Loop Header: Depth=1
	s_clause 0x3
	buffer_load_dword v19, off, s[0:3], 0 offset:184
	buffer_load_dword v20, off, s[0:3], 0 offset:188
	;; [unrolled: 1-line block ×4, first 2 shown]
	v_mov_b32_e32 v4, s16
	v_add_nc_u32_e32 v10, s16, v12
	s_add_i32 s16, s16, 48
	s_clause 0x3
	buffer_load_dword v23, v4, s[0:3], 0 offen
	buffer_load_dword v24, v4, s[0:3], 0 offen offset:4
	buffer_load_dword v25, v4, s[0:3], 0 offen offset:8
	;; [unrolled: 1-line block ×3, first 2 shown]
	ds_read2_b64 v[0:3], v10 offset1:1
	ds_read2_b64 v[15:18], v10 offset0:2 offset1:3
	s_cmpk_lg_i32 s16, 0x3f0
	s_waitcnt vmcnt(6) lgkmcnt(1)
	v_mul_f64 v[27:28], v[2:3], v[19:20]
	v_mul_f64 v[19:20], v[0:1], v[19:20]
	s_waitcnt vmcnt(4)
	v_fma_f64 v[0:1], v[0:1], v[21:22], -v[27:28]
	v_fma_f64 v[2:3], v[2:3], v[21:22], v[19:20]
	s_clause 0x3
	buffer_load_dword v19, v4, s[0:3], 0 offen offset:16
	buffer_load_dword v20, v4, s[0:3], 0 offen offset:20
	;; [unrolled: 1-line block ×4, first 2 shown]
	s_waitcnt vmcnt(6)
	v_add_f64 v[0:1], v[23:24], -v[0:1]
	s_waitcnt vmcnt(4)
	v_add_f64 v[2:3], v[25:26], -v[2:3]
	buffer_store_dword v1, v4, s[0:3], 0 offen offset:4
	buffer_store_dword v0, v4, s[0:3], 0 offen
	buffer_store_dword v3, v4, s[0:3], 0 offen offset:12
	buffer_store_dword v2, v4, s[0:3], 0 offen offset:8
	s_clause 0x3
	buffer_load_dword v1, off, s[0:3], 0 offset:188
	buffer_load_dword v0, off, s[0:3], 0 offset:184
	;; [unrolled: 1-line block ×4, first 2 shown]
	s_waitcnt vmcnt(2) lgkmcnt(0)
	v_mul_f64 v[23:24], v[17:18], v[0:1]
	v_mul_f64 v[0:1], v[15:16], v[0:1]
	s_waitcnt vmcnt(0)
	v_fma_f64 v[15:16], v[15:16], v[2:3], -v[23:24]
	v_fma_f64 v[0:1], v[17:18], v[2:3], v[0:1]
	v_add_f64 v[2:3], v[19:20], -v[15:16]
	v_add_f64 v[0:1], v[21:22], -v[0:1]
	s_clause 0x3
	buffer_load_dword v15, v4, s[0:3], 0 offen offset:32
	buffer_load_dword v16, v4, s[0:3], 0 offen offset:36
	;; [unrolled: 1-line block ×4, first 2 shown]
	buffer_store_dword v3, v4, s[0:3], 0 offen offset:20
	buffer_store_dword v2, v4, s[0:3], 0 offen offset:16
	;; [unrolled: 1-line block ×4, first 2 shown]
	s_clause 0x3
	buffer_load_dword v19, off, s[0:3], 0 offset:184
	buffer_load_dword v20, off, s[0:3], 0 offset:188
	;; [unrolled: 1-line block ×4, first 2 shown]
	ds_read2_b64 v[0:3], v10 offset0:4 offset1:5
	s_waitcnt vmcnt(2) lgkmcnt(0)
	v_mul_f64 v[23:24], v[2:3], v[19:20]
	v_mul_f64 v[19:20], v[0:1], v[19:20]
	s_waitcnt vmcnt(0)
	v_fma_f64 v[0:1], v[0:1], v[21:22], -v[23:24]
	v_fma_f64 v[2:3], v[2:3], v[21:22], v[19:20]
	v_add_f64 v[0:1], v[15:16], -v[0:1]
	v_add_f64 v[2:3], v[17:18], -v[2:3]
	buffer_store_dword v1, v4, s[0:3], 0 offen offset:36
	buffer_store_dword v0, v4, s[0:3], 0 offen offset:32
	;; [unrolled: 1-line block ×4, first 2 shown]
	s_cbranch_scc1 .LBB124_298
.LBB124_299:
	s_or_b32 exec_lo, exec_lo, s4
	v_mov_b32_e32 v3, s71
	s_waitcnt_vscnt null, 0x0
	s_barrier
	buffer_gl0_inv
	v_lshl_add_u32 v4, v11, 4, v12
	s_clause 0x3
	buffer_load_dword v0, v3, s[0:3], 0 offen
	buffer_load_dword v1, v3, s[0:3], 0 offen offset:4
	buffer_load_dword v2, v3, s[0:3], 0 offen offset:8
	;; [unrolled: 1-line block ×3, first 2 shown]
	s_cmp_lt_i32 s57, 14
	s_waitcnt vmcnt(0)
	ds_write2_b64 v4, v[0:1], v[2:3] offset1:1
	s_waitcnt lgkmcnt(0)
	s_barrier
	buffer_gl0_inv
	ds_read2_b64 v[0:3], v12 offset0:24 offset1:25
	v_mov_b32_e32 v4, 12
	s_cbranch_scc1 .LBB124_302
; %bb.300:
	v_add3_u32 v10, v14, 0, 0xd0
	v_mov_b32_e32 v4, 12
	s_mov_b32 s16, 13
	s_inst_prefetch 0x1
	.p2align	6
.LBB124_301:                            ; =>This Inner Loop Header: Depth=1
	s_waitcnt lgkmcnt(0)
	v_cmp_gt_f64_e32 vcc_lo, 0, v[2:3]
	v_cmp_gt_f64_e64 s4, 0, v[0:1]
	ds_read2_b64 v[15:18], v10 offset1:1
	v_xor_b32_e32 v20, 0x80000000, v1
	v_xor_b32_e32 v22, 0x80000000, v3
	v_mov_b32_e32 v19, v0
	v_mov_b32_e32 v21, v2
	v_add_nc_u32_e32 v10, 16, v10
	s_waitcnt lgkmcnt(0)
	v_xor_b32_e32 v24, 0x80000000, v18
	v_cndmask_b32_e64 v20, v1, v20, s4
	v_cndmask_b32_e32 v22, v3, v22, vcc_lo
	v_cmp_gt_f64_e32 vcc_lo, 0, v[17:18]
	v_cmp_gt_f64_e64 s4, 0, v[15:16]
	v_mov_b32_e32 v23, v17
	v_add_f64 v[19:20], v[19:20], v[21:22]
	v_xor_b32_e32 v22, 0x80000000, v16
	v_mov_b32_e32 v21, v15
	v_cndmask_b32_e32 v24, v18, v24, vcc_lo
	v_cndmask_b32_e64 v22, v16, v22, s4
	v_add_f64 v[21:22], v[21:22], v[23:24]
	v_cmp_lt_f64_e32 vcc_lo, v[19:20], v[21:22]
	v_cndmask_b32_e32 v1, v1, v16, vcc_lo
	v_cndmask_b32_e32 v0, v0, v15, vcc_lo
	;; [unrolled: 1-line block ×4, first 2 shown]
	v_cndmask_b32_e64 v4, v4, s16, vcc_lo
	s_add_i32 s16, s16, 1
	s_cmp_lg_u32 s57, s16
	s_cbranch_scc1 .LBB124_301
.LBB124_302:
	s_inst_prefetch 0x2
	s_waitcnt lgkmcnt(0)
	v_cmp_eq_f64_e32 vcc_lo, 0, v[0:1]
	v_cmp_eq_f64_e64 s4, 0, v[2:3]
	s_and_b32 s4, vcc_lo, s4
	s_and_saveexec_b32 s16, s4
	s_xor_b32 s4, exec_lo, s16
; %bb.303:
	v_cmp_ne_u32_e32 vcc_lo, 0, v13
	v_cndmask_b32_e32 v13, 13, v13, vcc_lo
; %bb.304:
	s_andn2_saveexec_b32 s4, s4
	s_cbranch_execz .LBB124_310
; %bb.305:
	v_cmp_ngt_f64_e64 s16, |v[0:1]|, |v[2:3]|
	s_and_saveexec_b32 s17, s16
	s_xor_b32 s16, exec_lo, s17
	s_cbranch_execz .LBB124_307
; %bb.306:
	v_div_scale_f64 v[15:16], null, v[2:3], v[2:3], v[0:1]
	v_div_scale_f64 v[21:22], vcc_lo, v[0:1], v[2:3], v[0:1]
	v_rcp_f64_e32 v[17:18], v[15:16]
	v_fma_f64 v[19:20], -v[15:16], v[17:18], 1.0
	v_fma_f64 v[17:18], v[17:18], v[19:20], v[17:18]
	v_fma_f64 v[19:20], -v[15:16], v[17:18], 1.0
	v_fma_f64 v[17:18], v[17:18], v[19:20], v[17:18]
	v_mul_f64 v[19:20], v[21:22], v[17:18]
	v_fma_f64 v[15:16], -v[15:16], v[19:20], v[21:22]
	v_div_fmas_f64 v[15:16], v[15:16], v[17:18], v[19:20]
	v_div_fixup_f64 v[15:16], v[15:16], v[2:3], v[0:1]
	v_fma_f64 v[0:1], v[0:1], v[15:16], v[2:3]
	v_div_scale_f64 v[2:3], null, v[0:1], v[0:1], 1.0
	v_rcp_f64_e32 v[17:18], v[2:3]
	v_fma_f64 v[19:20], -v[2:3], v[17:18], 1.0
	v_fma_f64 v[17:18], v[17:18], v[19:20], v[17:18]
	v_fma_f64 v[19:20], -v[2:3], v[17:18], 1.0
	v_fma_f64 v[17:18], v[17:18], v[19:20], v[17:18]
	v_div_scale_f64 v[19:20], vcc_lo, 1.0, v[0:1], 1.0
	v_mul_f64 v[21:22], v[19:20], v[17:18]
	v_fma_f64 v[2:3], -v[2:3], v[21:22], v[19:20]
	v_div_fmas_f64 v[2:3], v[2:3], v[17:18], v[21:22]
	v_div_fixup_f64 v[2:3], v[2:3], v[0:1], 1.0
	v_mul_f64 v[0:1], v[15:16], v[2:3]
	v_xor_b32_e32 v3, 0x80000000, v3
.LBB124_307:
	s_andn2_saveexec_b32 s16, s16
	s_cbranch_execz .LBB124_309
; %bb.308:
	v_div_scale_f64 v[15:16], null, v[0:1], v[0:1], v[2:3]
	v_div_scale_f64 v[21:22], vcc_lo, v[2:3], v[0:1], v[2:3]
	v_rcp_f64_e32 v[17:18], v[15:16]
	v_fma_f64 v[19:20], -v[15:16], v[17:18], 1.0
	v_fma_f64 v[17:18], v[17:18], v[19:20], v[17:18]
	v_fma_f64 v[19:20], -v[15:16], v[17:18], 1.0
	v_fma_f64 v[17:18], v[17:18], v[19:20], v[17:18]
	v_mul_f64 v[19:20], v[21:22], v[17:18]
	v_fma_f64 v[15:16], -v[15:16], v[19:20], v[21:22]
	v_div_fmas_f64 v[15:16], v[15:16], v[17:18], v[19:20]
	v_div_fixup_f64 v[15:16], v[15:16], v[0:1], v[2:3]
	v_fma_f64 v[0:1], v[2:3], v[15:16], v[0:1]
	v_div_scale_f64 v[2:3], null, v[0:1], v[0:1], 1.0
	v_rcp_f64_e32 v[17:18], v[2:3]
	v_fma_f64 v[19:20], -v[2:3], v[17:18], 1.0
	v_fma_f64 v[17:18], v[17:18], v[19:20], v[17:18]
	v_fma_f64 v[19:20], -v[2:3], v[17:18], 1.0
	v_fma_f64 v[17:18], v[17:18], v[19:20], v[17:18]
	v_div_scale_f64 v[19:20], vcc_lo, 1.0, v[0:1], 1.0
	v_mul_f64 v[21:22], v[19:20], v[17:18]
	v_fma_f64 v[2:3], -v[2:3], v[21:22], v[19:20]
	v_div_fmas_f64 v[2:3], v[2:3], v[17:18], v[21:22]
	v_div_fixup_f64 v[0:1], v[2:3], v[0:1], 1.0
	v_mul_f64 v[2:3], v[15:16], -v[0:1]
.LBB124_309:
	s_or_b32 exec_lo, exec_lo, s16
.LBB124_310:
	s_or_b32 exec_lo, exec_lo, s4
	s_mov_b32 s4, exec_lo
	v_cmpx_ne_u32_e64 v11, v4
	s_xor_b32 s4, exec_lo, s4
	s_cbranch_execz .LBB124_316
; %bb.311:
	s_mov_b32 s16, exec_lo
	v_cmpx_eq_u32_e32 12, v11
	s_cbranch_execz .LBB124_315
; %bb.312:
	v_cmp_ne_u32_e32 vcc_lo, 12, v4
	s_xor_b32 s17, s20, -1
	s_and_b32 s56, s17, vcc_lo
	s_and_saveexec_b32 s17, s56
	s_cbranch_execz .LBB124_314
; %bb.313:
	v_ashrrev_i32_e32 v5, 31, v4
	v_lshlrev_b64 v[10:11], 2, v[4:5]
	v_add_co_u32 v10, vcc_lo, v8, v10
	v_add_co_ci_u32_e64 v11, null, v9, v11, vcc_lo
	s_clause 0x1
	global_load_dword v5, v[10:11], off
	global_load_dword v15, v[8:9], off offset:48
	s_waitcnt vmcnt(1)
	global_store_dword v[8:9], v5, off offset:48
	s_waitcnt vmcnt(0)
	global_store_dword v[10:11], v15, off
.LBB124_314:
	s_or_b32 exec_lo, exec_lo, s17
	v_mov_b32_e32 v11, v4
	v_mov_b32_e32 v5, v4
.LBB124_315:
	s_or_b32 exec_lo, exec_lo, s16
.LBB124_316:
	s_andn2_saveexec_b32 s4, s4
	s_cbranch_execz .LBB124_320
; %bb.317:
	s_movk_i32 s16, 0xd0
.LBB124_318:                            ; =>This Inner Loop Header: Depth=1
	v_mov_b32_e32 v4, s16
	s_clause 0x27
	buffer_load_dword v10, v4, s[0:3], 0 offen
	buffer_load_dword v11, v4, s[0:3], 0 offen offset:4
	buffer_load_dword v15, v4, s[0:3], 0 offen offset:8
	;; [unrolled: 1-line block ×39, first 2 shown]
	v_add_nc_u32_e32 v4, s16, v12
	s_addk_i32 s16, 0xa0
	s_waitcnt vmcnt(36)
	ds_write2_b64 v4, v[10:11], v[15:16] offset1:1
	s_waitcnt vmcnt(32)
	ds_write2_b64 v4, v[17:18], v[19:20] offset0:2 offset1:3
	s_waitcnt vmcnt(28)
	ds_write2_b64 v4, v[21:22], v[23:24] offset0:4 offset1:5
	;; [unrolled: 2-line block ×4, first 2 shown]
	ds_write2_b64 v4, v[33:34], v[31:32] offset0:10 offset1:11
	s_waitcnt vmcnt(8)
	ds_write2_b64 v4, v[43:44], v[37:38] offset0:12 offset1:13
	ds_write2_b64 v4, v[41:42], v[39:40] offset0:14 offset1:15
	s_waitcnt vmcnt(4)
	ds_write2_b64 v4, v[45:46], v[47:48] offset0:16 offset1:17
	s_waitcnt vmcnt(0)
	ds_write2_b64 v4, v[49:50], v[51:52] offset0:18 offset1:19
	s_cmpk_eq_i32 s16, 0x3f0
	s_cbranch_scc0 .LBB124_318
; %bb.319:
	v_mov_b32_e32 v11, 12
.LBB124_320:
	s_or_b32 exec_lo, exec_lo, s4
	s_mov_b32 s4, exec_lo
	s_waitcnt lgkmcnt(0)
	s_waitcnt_vscnt null, 0x0
	s_barrier
	buffer_gl0_inv
	v_cmpx_lt_i32_e32 12, v11
	s_cbranch_execz .LBB124_323
; %bb.321:
	s_clause 0x3
	buffer_load_dword v15, off, s[0:3], 0 offset:200
	buffer_load_dword v16, off, s[0:3], 0 offset:204
	;; [unrolled: 1-line block ×4, first 2 shown]
	s_movk_i32 s82, 0xd0
	s_waitcnt vmcnt(2)
	v_mul_f64 v[19:20], v[2:3], v[15:16]
	v_mul_f64 v[15:16], v[0:1], v[15:16]
	s_waitcnt vmcnt(0)
	v_fma_f64 v[0:1], v[0:1], v[17:18], -v[19:20]
	v_fma_f64 v[2:3], v[2:3], v[17:18], v[15:16]
	buffer_store_dword v0, off, s[0:3], 0 offset:192
	buffer_store_dword v1, off, s[0:3], 0 offset:196
	;; [unrolled: 1-line block ×4, first 2 shown]
.LBB124_322:                            ; =>This Inner Loop Header: Depth=1
	s_clause 0x3
	buffer_load_dword v19, off, s[0:3], 0 offset:200
	buffer_load_dword v20, off, s[0:3], 0 offset:204
	buffer_load_dword v21, off, s[0:3], 0 offset:192
	buffer_load_dword v22, off, s[0:3], 0 offset:196
	v_mov_b32_e32 v4, s82
	v_add_nc_u32_e32 v10, s82, v12
	s_addk_i32 s82, 0x50
	s_clause 0x3
	buffer_load_dword v23, v4, s[0:3], 0 offen
	buffer_load_dword v24, v4, s[0:3], 0 offen offset:4
	buffer_load_dword v25, v4, s[0:3], 0 offen offset:8
	;; [unrolled: 1-line block ×3, first 2 shown]
	ds_read2_b64 v[0:3], v10 offset1:1
	ds_read2_b64 v[15:18], v10 offset0:2 offset1:3
	s_cmpk_lg_i32 s82, 0x3f0
	s_waitcnt vmcnt(6) lgkmcnt(1)
	v_mul_f64 v[27:28], v[2:3], v[19:20]
	v_mul_f64 v[19:20], v[0:1], v[19:20]
	s_waitcnt vmcnt(4)
	v_fma_f64 v[0:1], v[0:1], v[21:22], -v[27:28]
	v_fma_f64 v[2:3], v[2:3], v[21:22], v[19:20]
	s_clause 0x3
	buffer_load_dword v19, v4, s[0:3], 0 offen offset:16
	buffer_load_dword v20, v4, s[0:3], 0 offen offset:20
	;; [unrolled: 1-line block ×4, first 2 shown]
	s_waitcnt vmcnt(6)
	v_add_f64 v[0:1], v[23:24], -v[0:1]
	s_waitcnt vmcnt(4)
	v_add_f64 v[2:3], v[25:26], -v[2:3]
	buffer_store_dword v1, v4, s[0:3], 0 offen offset:4
	buffer_store_dword v0, v4, s[0:3], 0 offen
	buffer_store_dword v3, v4, s[0:3], 0 offen offset:12
	buffer_store_dword v2, v4, s[0:3], 0 offen offset:8
	s_clause 0x3
	buffer_load_dword v1, off, s[0:3], 0 offset:204
	buffer_load_dword v0, off, s[0:3], 0 offset:200
	;; [unrolled: 1-line block ×4, first 2 shown]
	s_waitcnt vmcnt(2) lgkmcnt(0)
	v_mul_f64 v[23:24], v[17:18], v[0:1]
	v_mul_f64 v[0:1], v[15:16], v[0:1]
	s_waitcnt vmcnt(0)
	v_fma_f64 v[15:16], v[15:16], v[2:3], -v[23:24]
	v_fma_f64 v[0:1], v[17:18], v[2:3], v[0:1]
	v_add_f64 v[2:3], v[19:20], -v[15:16]
	v_add_f64 v[0:1], v[21:22], -v[0:1]
	s_clause 0x3
	buffer_load_dword v19, v4, s[0:3], 0 offen offset:32
	buffer_load_dword v20, v4, s[0:3], 0 offen offset:36
	;; [unrolled: 1-line block ×4, first 2 shown]
	buffer_store_dword v3, v4, s[0:3], 0 offen offset:20
	buffer_store_dword v2, v4, s[0:3], 0 offen offset:16
	;; [unrolled: 1-line block ×4, first 2 shown]
	s_clause 0x3
	buffer_load_dword v23, off, s[0:3], 0 offset:200
	buffer_load_dword v24, off, s[0:3], 0 offset:204
	;; [unrolled: 1-line block ×4, first 2 shown]
	ds_read2_b64 v[0:3], v10 offset0:4 offset1:5
	ds_read2_b64 v[15:18], v10 offset0:6 offset1:7
	s_waitcnt vmcnt(2) lgkmcnt(1)
	v_mul_f64 v[27:28], v[2:3], v[23:24]
	v_mul_f64 v[23:24], v[0:1], v[23:24]
	s_waitcnt vmcnt(0)
	v_fma_f64 v[0:1], v[0:1], v[25:26], -v[27:28]
	v_fma_f64 v[2:3], v[2:3], v[25:26], v[23:24]
	v_add_f64 v[0:1], v[19:20], -v[0:1]
	v_add_f64 v[2:3], v[21:22], -v[2:3]
	buffer_store_dword v1, v4, s[0:3], 0 offen offset:36
	buffer_store_dword v0, v4, s[0:3], 0 offen offset:32
	;; [unrolled: 1-line block ×4, first 2 shown]
	s_clause 0x7
	buffer_load_dword v0, off, s[0:3], 0 offset:200
	buffer_load_dword v1, off, s[0:3], 0 offset:204
	;; [unrolled: 1-line block ×4, first 2 shown]
	buffer_load_dword v19, v4, s[0:3], 0 offen offset:48
	buffer_load_dword v20, v4, s[0:3], 0 offen offset:52
	;; [unrolled: 1-line block ×4, first 2 shown]
	s_waitcnt vmcnt(6) lgkmcnt(0)
	v_mul_f64 v[23:24], v[17:18], v[0:1]
	v_mul_f64 v[0:1], v[15:16], v[0:1]
	s_waitcnt vmcnt(4)
	v_fma_f64 v[15:16], v[15:16], v[2:3], -v[23:24]
	v_fma_f64 v[0:1], v[17:18], v[2:3], v[0:1]
	s_waitcnt vmcnt(2)
	v_add_f64 v[2:3], v[19:20], -v[15:16]
	s_waitcnt vmcnt(0)
	v_add_f64 v[0:1], v[21:22], -v[0:1]
	buffer_store_dword v3, v4, s[0:3], 0 offen offset:52
	buffer_store_dword v2, v4, s[0:3], 0 offen offset:48
	;; [unrolled: 1-line block ×4, first 2 shown]
	s_clause 0x7
	buffer_load_dword v15, off, s[0:3], 0 offset:200
	buffer_load_dword v16, off, s[0:3], 0 offset:204
	;; [unrolled: 1-line block ×4, first 2 shown]
	buffer_load_dword v19, v4, s[0:3], 0 offen offset:64
	buffer_load_dword v20, v4, s[0:3], 0 offen offset:68
	;; [unrolled: 1-line block ×4, first 2 shown]
	ds_read2_b64 v[0:3], v10 offset0:8 offset1:9
	s_waitcnt vmcnt(6) lgkmcnt(0)
	v_mul_f64 v[23:24], v[2:3], v[15:16]
	v_mul_f64 v[15:16], v[0:1], v[15:16]
	s_waitcnt vmcnt(4)
	v_fma_f64 v[0:1], v[0:1], v[17:18], -v[23:24]
	v_fma_f64 v[2:3], v[2:3], v[17:18], v[15:16]
	s_waitcnt vmcnt(2)
	v_add_f64 v[0:1], v[19:20], -v[0:1]
	s_waitcnt vmcnt(0)
	v_add_f64 v[2:3], v[21:22], -v[2:3]
	buffer_store_dword v1, v4, s[0:3], 0 offen offset:68
	buffer_store_dword v0, v4, s[0:3], 0 offen offset:64
	buffer_store_dword v3, v4, s[0:3], 0 offen offset:76
	buffer_store_dword v2, v4, s[0:3], 0 offen offset:72
	s_cbranch_scc1 .LBB124_322
.LBB124_323:
	s_or_b32 exec_lo, exec_lo, s4
	v_mov_b32_e32 v3, s70
	s_waitcnt_vscnt null, 0x0
	s_barrier
	buffer_gl0_inv
	v_lshl_add_u32 v4, v11, 4, v12
	s_clause 0x3
	buffer_load_dword v0, v3, s[0:3], 0 offen
	buffer_load_dword v1, v3, s[0:3], 0 offen offset:4
	buffer_load_dword v2, v3, s[0:3], 0 offen offset:8
	;; [unrolled: 1-line block ×3, first 2 shown]
	s_cmp_lt_i32 s57, 15
	s_waitcnt vmcnt(0)
	ds_write2_b64 v4, v[0:1], v[2:3] offset1:1
	s_waitcnt lgkmcnt(0)
	s_barrier
	buffer_gl0_inv
	ds_read2_b64 v[0:3], v12 offset0:26 offset1:27
	v_mov_b32_e32 v4, 13
	s_cbranch_scc1 .LBB124_326
; %bb.324:
	v_add3_u32 v10, v14, 0, 0xe0
	v_mov_b32_e32 v4, 13
	s_mov_b32 s16, 14
	s_inst_prefetch 0x1
	.p2align	6
.LBB124_325:                            ; =>This Inner Loop Header: Depth=1
	s_waitcnt lgkmcnt(0)
	v_cmp_gt_f64_e32 vcc_lo, 0, v[2:3]
	v_cmp_gt_f64_e64 s4, 0, v[0:1]
	ds_read2_b64 v[15:18], v10 offset1:1
	v_xor_b32_e32 v20, 0x80000000, v1
	v_xor_b32_e32 v22, 0x80000000, v3
	v_mov_b32_e32 v19, v0
	v_mov_b32_e32 v21, v2
	v_add_nc_u32_e32 v10, 16, v10
	s_waitcnt lgkmcnt(0)
	v_xor_b32_e32 v24, 0x80000000, v18
	v_cndmask_b32_e64 v20, v1, v20, s4
	v_cndmask_b32_e32 v22, v3, v22, vcc_lo
	v_cmp_gt_f64_e32 vcc_lo, 0, v[17:18]
	v_cmp_gt_f64_e64 s4, 0, v[15:16]
	v_mov_b32_e32 v23, v17
	v_add_f64 v[19:20], v[19:20], v[21:22]
	v_xor_b32_e32 v22, 0x80000000, v16
	v_mov_b32_e32 v21, v15
	v_cndmask_b32_e32 v24, v18, v24, vcc_lo
	v_cndmask_b32_e64 v22, v16, v22, s4
	v_add_f64 v[21:22], v[21:22], v[23:24]
	v_cmp_lt_f64_e32 vcc_lo, v[19:20], v[21:22]
	v_cndmask_b32_e32 v1, v1, v16, vcc_lo
	v_cndmask_b32_e32 v0, v0, v15, vcc_lo
	;; [unrolled: 1-line block ×4, first 2 shown]
	v_cndmask_b32_e64 v4, v4, s16, vcc_lo
	s_add_i32 s16, s16, 1
	s_cmp_lg_u32 s57, s16
	s_cbranch_scc1 .LBB124_325
.LBB124_326:
	s_inst_prefetch 0x2
	s_waitcnt lgkmcnt(0)
	v_cmp_eq_f64_e32 vcc_lo, 0, v[0:1]
	v_cmp_eq_f64_e64 s4, 0, v[2:3]
	s_and_b32 s4, vcc_lo, s4
	s_and_saveexec_b32 s16, s4
	s_xor_b32 s4, exec_lo, s16
; %bb.327:
	v_cmp_ne_u32_e32 vcc_lo, 0, v13
	v_cndmask_b32_e32 v13, 14, v13, vcc_lo
; %bb.328:
	s_andn2_saveexec_b32 s4, s4
	s_cbranch_execz .LBB124_334
; %bb.329:
	v_cmp_ngt_f64_e64 s16, |v[0:1]|, |v[2:3]|
	s_and_saveexec_b32 s17, s16
	s_xor_b32 s16, exec_lo, s17
	s_cbranch_execz .LBB124_331
; %bb.330:
	v_div_scale_f64 v[15:16], null, v[2:3], v[2:3], v[0:1]
	v_div_scale_f64 v[21:22], vcc_lo, v[0:1], v[2:3], v[0:1]
	v_rcp_f64_e32 v[17:18], v[15:16]
	v_fma_f64 v[19:20], -v[15:16], v[17:18], 1.0
	v_fma_f64 v[17:18], v[17:18], v[19:20], v[17:18]
	v_fma_f64 v[19:20], -v[15:16], v[17:18], 1.0
	v_fma_f64 v[17:18], v[17:18], v[19:20], v[17:18]
	v_mul_f64 v[19:20], v[21:22], v[17:18]
	v_fma_f64 v[15:16], -v[15:16], v[19:20], v[21:22]
	v_div_fmas_f64 v[15:16], v[15:16], v[17:18], v[19:20]
	v_div_fixup_f64 v[15:16], v[15:16], v[2:3], v[0:1]
	v_fma_f64 v[0:1], v[0:1], v[15:16], v[2:3]
	v_div_scale_f64 v[2:3], null, v[0:1], v[0:1], 1.0
	v_rcp_f64_e32 v[17:18], v[2:3]
	v_fma_f64 v[19:20], -v[2:3], v[17:18], 1.0
	v_fma_f64 v[17:18], v[17:18], v[19:20], v[17:18]
	v_fma_f64 v[19:20], -v[2:3], v[17:18], 1.0
	v_fma_f64 v[17:18], v[17:18], v[19:20], v[17:18]
	v_div_scale_f64 v[19:20], vcc_lo, 1.0, v[0:1], 1.0
	v_mul_f64 v[21:22], v[19:20], v[17:18]
	v_fma_f64 v[2:3], -v[2:3], v[21:22], v[19:20]
	v_div_fmas_f64 v[2:3], v[2:3], v[17:18], v[21:22]
	v_div_fixup_f64 v[2:3], v[2:3], v[0:1], 1.0
	v_mul_f64 v[0:1], v[15:16], v[2:3]
	v_xor_b32_e32 v3, 0x80000000, v3
.LBB124_331:
	s_andn2_saveexec_b32 s16, s16
	s_cbranch_execz .LBB124_333
; %bb.332:
	v_div_scale_f64 v[15:16], null, v[0:1], v[0:1], v[2:3]
	v_div_scale_f64 v[21:22], vcc_lo, v[2:3], v[0:1], v[2:3]
	v_rcp_f64_e32 v[17:18], v[15:16]
	v_fma_f64 v[19:20], -v[15:16], v[17:18], 1.0
	v_fma_f64 v[17:18], v[17:18], v[19:20], v[17:18]
	v_fma_f64 v[19:20], -v[15:16], v[17:18], 1.0
	v_fma_f64 v[17:18], v[17:18], v[19:20], v[17:18]
	v_mul_f64 v[19:20], v[21:22], v[17:18]
	v_fma_f64 v[15:16], -v[15:16], v[19:20], v[21:22]
	v_div_fmas_f64 v[15:16], v[15:16], v[17:18], v[19:20]
	v_div_fixup_f64 v[15:16], v[15:16], v[0:1], v[2:3]
	v_fma_f64 v[0:1], v[2:3], v[15:16], v[0:1]
	v_div_scale_f64 v[2:3], null, v[0:1], v[0:1], 1.0
	v_rcp_f64_e32 v[17:18], v[2:3]
	v_fma_f64 v[19:20], -v[2:3], v[17:18], 1.0
	v_fma_f64 v[17:18], v[17:18], v[19:20], v[17:18]
	v_fma_f64 v[19:20], -v[2:3], v[17:18], 1.0
	v_fma_f64 v[17:18], v[17:18], v[19:20], v[17:18]
	v_div_scale_f64 v[19:20], vcc_lo, 1.0, v[0:1], 1.0
	v_mul_f64 v[21:22], v[19:20], v[17:18]
	v_fma_f64 v[2:3], -v[2:3], v[21:22], v[19:20]
	v_div_fmas_f64 v[2:3], v[2:3], v[17:18], v[21:22]
	v_div_fixup_f64 v[0:1], v[2:3], v[0:1], 1.0
	v_mul_f64 v[2:3], v[15:16], -v[0:1]
.LBB124_333:
	s_or_b32 exec_lo, exec_lo, s16
.LBB124_334:
	s_or_b32 exec_lo, exec_lo, s4
	s_mov_b32 s4, exec_lo
	v_cmpx_ne_u32_e64 v11, v4
	s_xor_b32 s4, exec_lo, s4
	s_cbranch_execz .LBB124_340
; %bb.335:
	s_mov_b32 s16, exec_lo
	v_cmpx_eq_u32_e32 13, v11
	s_cbranch_execz .LBB124_339
; %bb.336:
	v_cmp_ne_u32_e32 vcc_lo, 13, v4
	s_xor_b32 s17, s20, -1
	s_and_b32 s56, s17, vcc_lo
	s_and_saveexec_b32 s17, s56
	s_cbranch_execz .LBB124_338
; %bb.337:
	v_ashrrev_i32_e32 v5, 31, v4
	v_lshlrev_b64 v[10:11], 2, v[4:5]
	v_add_co_u32 v10, vcc_lo, v8, v10
	v_add_co_ci_u32_e64 v11, null, v9, v11, vcc_lo
	s_clause 0x1
	global_load_dword v5, v[10:11], off
	global_load_dword v15, v[8:9], off offset:52
	s_waitcnt vmcnt(1)
	global_store_dword v[8:9], v5, off offset:52
	s_waitcnt vmcnt(0)
	global_store_dword v[10:11], v15, off
.LBB124_338:
	s_or_b32 exec_lo, exec_lo, s17
	v_mov_b32_e32 v11, v4
	v_mov_b32_e32 v5, v4
.LBB124_339:
	s_or_b32 exec_lo, exec_lo, s16
.LBB124_340:
	s_andn2_saveexec_b32 s4, s4
	s_cbranch_execz .LBB124_344
; %bb.341:
	s_movk_i32 s16, 0xe0
.LBB124_342:                            ; =>This Inner Loop Header: Depth=1
	v_mov_b32_e32 v4, s16
	s_clause 0x1b
	buffer_load_dword v10, v4, s[0:3], 0 offen
	buffer_load_dword v11, v4, s[0:3], 0 offen offset:4
	buffer_load_dword v15, v4, s[0:3], 0 offen offset:8
	buffer_load_dword v16, v4, s[0:3], 0 offen offset:12
	buffer_load_dword v17, v4, s[0:3], 0 offen offset:16
	buffer_load_dword v18, v4, s[0:3], 0 offen offset:20
	buffer_load_dword v19, v4, s[0:3], 0 offen offset:24
	buffer_load_dword v20, v4, s[0:3], 0 offen offset:28
	buffer_load_dword v21, v4, s[0:3], 0 offen offset:32
	buffer_load_dword v22, v4, s[0:3], 0 offen offset:36
	buffer_load_dword v23, v4, s[0:3], 0 offen offset:40
	buffer_load_dword v24, v4, s[0:3], 0 offen offset:44
	buffer_load_dword v25, v4, s[0:3], 0 offen offset:48
	buffer_load_dword v26, v4, s[0:3], 0 offen offset:52
	buffer_load_dword v27, v4, s[0:3], 0 offen offset:56
	buffer_load_dword v28, v4, s[0:3], 0 offen offset:60
	buffer_load_dword v30, v4, s[0:3], 0 offen offset:76
	buffer_load_dword v32, v4, s[0:3], 0 offen offset:92
	buffer_load_dword v31, v4, s[0:3], 0 offen offset:88
	buffer_load_dword v34, v4, s[0:3], 0 offen offset:84
	buffer_load_dword v33, v4, s[0:3], 0 offen offset:80
	buffer_load_dword v29, v4, s[0:3], 0 offen offset:72
	buffer_load_dword v36, v4, s[0:3], 0 offen offset:68
	buffer_load_dword v35, v4, s[0:3], 0 offen offset:64
	buffer_load_dword v38, v4, s[0:3], 0 offen offset:108
	buffer_load_dword v37, v4, s[0:3], 0 offen offset:104
	buffer_load_dword v40, v4, s[0:3], 0 offen offset:100
	buffer_load_dword v39, v4, s[0:3], 0 offen offset:96
	v_add_nc_u32_e32 v4, s16, v12
	s_addk_i32 s16, 0x70
	s_waitcnt vmcnt(24)
	ds_write2_b64 v4, v[10:11], v[15:16] offset1:1
	s_waitcnt vmcnt(20)
	ds_write2_b64 v4, v[17:18], v[19:20] offset0:2 offset1:3
	s_waitcnt vmcnt(16)
	ds_write2_b64 v4, v[21:22], v[23:24] offset0:4 offset1:5
	;; [unrolled: 2-line block ×4, first 2 shown]
	ds_write2_b64 v4, v[33:34], v[31:32] offset0:10 offset1:11
	s_waitcnt vmcnt(0)
	ds_write2_b64 v4, v[39:40], v[37:38] offset0:12 offset1:13
	s_cmpk_eq_i32 s16, 0x3f0
	s_cbranch_scc0 .LBB124_342
; %bb.343:
	v_mov_b32_e32 v11, 13
.LBB124_344:
	s_or_b32 exec_lo, exec_lo, s4
	s_mov_b32 s4, exec_lo
	s_waitcnt lgkmcnt(0)
	s_waitcnt_vscnt null, 0x0
	s_barrier
	buffer_gl0_inv
	v_cmpx_lt_i32_e32 13, v11
	s_cbranch_execz .LBB124_347
; %bb.345:
	s_clause 0x3
	buffer_load_dword v15, off, s[0:3], 0 offset:216
	buffer_load_dword v16, off, s[0:3], 0 offset:220
	;; [unrolled: 1-line block ×4, first 2 shown]
	s_movk_i32 s82, 0xe0
	s_waitcnt vmcnt(2)
	v_mul_f64 v[19:20], v[2:3], v[15:16]
	v_mul_f64 v[15:16], v[0:1], v[15:16]
	s_waitcnt vmcnt(0)
	v_fma_f64 v[0:1], v[0:1], v[17:18], -v[19:20]
	v_fma_f64 v[2:3], v[2:3], v[17:18], v[15:16]
	buffer_store_dword v0, off, s[0:3], 0 offset:208
	buffer_store_dword v1, off, s[0:3], 0 offset:212
	;; [unrolled: 1-line block ×4, first 2 shown]
.LBB124_346:                            ; =>This Inner Loop Header: Depth=1
	s_clause 0x3
	buffer_load_dword v19, off, s[0:3], 0 offset:216
	buffer_load_dword v20, off, s[0:3], 0 offset:220
	;; [unrolled: 1-line block ×4, first 2 shown]
	v_mov_b32_e32 v4, s82
	v_add_nc_u32_e32 v10, s82, v12
	s_addk_i32 s82, 0x70
	s_clause 0x3
	buffer_load_dword v23, v4, s[0:3], 0 offen
	buffer_load_dword v24, v4, s[0:3], 0 offen offset:4
	buffer_load_dword v25, v4, s[0:3], 0 offen offset:8
	;; [unrolled: 1-line block ×3, first 2 shown]
	ds_read2_b64 v[0:3], v10 offset1:1
	s_clause 0x3
	buffer_load_dword v27, v4, s[0:3], 0 offen offset:16
	buffer_load_dword v28, v4, s[0:3], 0 offen offset:20
	;; [unrolled: 1-line block ×4, first 2 shown]
	ds_read2_b64 v[15:18], v10 offset0:2 offset1:3
	s_cmpk_lg_i32 s82, 0x3f0
	s_waitcnt vmcnt(10) lgkmcnt(1)
	v_mul_f64 v[31:32], v[2:3], v[19:20]
	v_mul_f64 v[19:20], v[0:1], v[19:20]
	s_waitcnt vmcnt(8)
	v_fma_f64 v[0:1], v[0:1], v[21:22], -v[31:32]
	v_fma_f64 v[2:3], v[2:3], v[21:22], v[19:20]
	s_waitcnt vmcnt(6)
	v_add_f64 v[0:1], v[23:24], -v[0:1]
	s_waitcnt vmcnt(4)
	v_add_f64 v[2:3], v[25:26], -v[2:3]
	buffer_store_dword v1, v4, s[0:3], 0 offen offset:4
	buffer_store_dword v0, v4, s[0:3], 0 offen
	buffer_store_dword v3, v4, s[0:3], 0 offen offset:12
	buffer_store_dword v2, v4, s[0:3], 0 offen offset:8
	s_clause 0x7
	buffer_load_dword v1, off, s[0:3], 0 offset:220
	buffer_load_dword v0, off, s[0:3], 0 offset:216
	;; [unrolled: 1-line block ×4, first 2 shown]
	buffer_load_dword v19, v4, s[0:3], 0 offen offset:32
	buffer_load_dword v20, v4, s[0:3], 0 offen offset:36
	;; [unrolled: 1-line block ×4, first 2 shown]
	s_waitcnt vmcnt(6) lgkmcnt(0)
	v_mul_f64 v[23:24], v[17:18], v[0:1]
	v_mul_f64 v[0:1], v[15:16], v[0:1]
	s_waitcnt vmcnt(4)
	v_fma_f64 v[15:16], v[15:16], v[2:3], -v[23:24]
	v_fma_f64 v[0:1], v[17:18], v[2:3], v[0:1]
	v_add_f64 v[2:3], v[27:28], -v[15:16]
	v_add_f64 v[0:1], v[29:30], -v[0:1]
	buffer_store_dword v3, v4, s[0:3], 0 offen offset:20
	buffer_store_dword v2, v4, s[0:3], 0 offen offset:16
	;; [unrolled: 1-line block ×4, first 2 shown]
	s_clause 0x3
	buffer_load_dword v23, off, s[0:3], 0 offset:216
	buffer_load_dword v24, off, s[0:3], 0 offset:220
	buffer_load_dword v25, off, s[0:3], 0 offset:208
	buffer_load_dword v26, off, s[0:3], 0 offset:212
	ds_read2_b64 v[0:3], v10 offset0:4 offset1:5
	ds_read2_b64 v[15:18], v10 offset0:6 offset1:7
	s_waitcnt vmcnt(2) lgkmcnt(1)
	v_mul_f64 v[27:28], v[2:3], v[23:24]
	v_mul_f64 v[23:24], v[0:1], v[23:24]
	s_waitcnt vmcnt(0)
	v_fma_f64 v[0:1], v[0:1], v[25:26], -v[27:28]
	v_fma_f64 v[2:3], v[2:3], v[25:26], v[23:24]
	v_add_f64 v[0:1], v[19:20], -v[0:1]
	v_add_f64 v[2:3], v[21:22], -v[2:3]
	buffer_store_dword v1, v4, s[0:3], 0 offen offset:36
	buffer_store_dword v0, v4, s[0:3], 0 offen offset:32
	;; [unrolled: 1-line block ×4, first 2 shown]
	s_clause 0x7
	buffer_load_dword v0, off, s[0:3], 0 offset:216
	buffer_load_dword v1, off, s[0:3], 0 offset:220
	;; [unrolled: 1-line block ×4, first 2 shown]
	buffer_load_dword v19, v4, s[0:3], 0 offen offset:48
	buffer_load_dword v20, v4, s[0:3], 0 offen offset:52
	;; [unrolled: 1-line block ×4, first 2 shown]
	s_waitcnt vmcnt(6) lgkmcnt(0)
	v_mul_f64 v[23:24], v[17:18], v[0:1]
	v_mul_f64 v[0:1], v[15:16], v[0:1]
	s_waitcnt vmcnt(4)
	v_fma_f64 v[15:16], v[15:16], v[2:3], -v[23:24]
	v_fma_f64 v[0:1], v[17:18], v[2:3], v[0:1]
	s_waitcnt vmcnt(2)
	v_add_f64 v[2:3], v[19:20], -v[15:16]
	s_waitcnt vmcnt(0)
	v_add_f64 v[0:1], v[21:22], -v[0:1]
	buffer_store_dword v3, v4, s[0:3], 0 offen offset:52
	buffer_store_dword v2, v4, s[0:3], 0 offen offset:48
	;; [unrolled: 1-line block ×4, first 2 shown]
	s_clause 0x7
	buffer_load_dword v19, off, s[0:3], 0 offset:216
	buffer_load_dword v20, off, s[0:3], 0 offset:220
	;; [unrolled: 1-line block ×4, first 2 shown]
	buffer_load_dword v23, v4, s[0:3], 0 offen offset:64
	buffer_load_dword v24, v4, s[0:3], 0 offen offset:68
	;; [unrolled: 1-line block ×4, first 2 shown]
	ds_read2_b64 v[0:3], v10 offset0:8 offset1:9
	ds_read2_b64 v[15:18], v10 offset0:10 offset1:11
	s_waitcnt vmcnt(6) lgkmcnt(1)
	v_mul_f64 v[27:28], v[2:3], v[19:20]
	v_mul_f64 v[19:20], v[0:1], v[19:20]
	s_waitcnt vmcnt(4)
	v_fma_f64 v[0:1], v[0:1], v[21:22], -v[27:28]
	v_fma_f64 v[2:3], v[2:3], v[21:22], v[19:20]
	s_waitcnt vmcnt(2)
	v_add_f64 v[0:1], v[23:24], -v[0:1]
	s_waitcnt vmcnt(0)
	v_add_f64 v[2:3], v[25:26], -v[2:3]
	buffer_store_dword v1, v4, s[0:3], 0 offen offset:68
	buffer_store_dword v0, v4, s[0:3], 0 offen offset:64
	;; [unrolled: 1-line block ×4, first 2 shown]
	s_clause 0x7
	buffer_load_dword v0, off, s[0:3], 0 offset:216
	buffer_load_dword v1, off, s[0:3], 0 offset:220
	;; [unrolled: 1-line block ×4, first 2 shown]
	buffer_load_dword v19, v4, s[0:3], 0 offen offset:80
	buffer_load_dword v20, v4, s[0:3], 0 offen offset:84
	buffer_load_dword v21, v4, s[0:3], 0 offen offset:88
	buffer_load_dword v22, v4, s[0:3], 0 offen offset:92
	s_waitcnt vmcnt(6) lgkmcnt(0)
	v_mul_f64 v[23:24], v[17:18], v[0:1]
	v_mul_f64 v[0:1], v[15:16], v[0:1]
	s_waitcnt vmcnt(4)
	v_fma_f64 v[15:16], v[15:16], v[2:3], -v[23:24]
	v_fma_f64 v[0:1], v[17:18], v[2:3], v[0:1]
	s_waitcnt vmcnt(2)
	v_add_f64 v[2:3], v[19:20], -v[15:16]
	s_waitcnt vmcnt(0)
	v_add_f64 v[0:1], v[21:22], -v[0:1]
	buffer_store_dword v3, v4, s[0:3], 0 offen offset:84
	buffer_store_dword v2, v4, s[0:3], 0 offen offset:80
	;; [unrolled: 1-line block ×4, first 2 shown]
	s_clause 0x7
	buffer_load_dword v15, off, s[0:3], 0 offset:216
	buffer_load_dword v16, off, s[0:3], 0 offset:220
	;; [unrolled: 1-line block ×4, first 2 shown]
	buffer_load_dword v19, v4, s[0:3], 0 offen offset:96
	buffer_load_dword v20, v4, s[0:3], 0 offen offset:100
	buffer_load_dword v21, v4, s[0:3], 0 offen offset:104
	buffer_load_dword v22, v4, s[0:3], 0 offen offset:108
	ds_read2_b64 v[0:3], v10 offset0:12 offset1:13
	s_waitcnt vmcnt(6) lgkmcnt(0)
	v_mul_f64 v[23:24], v[2:3], v[15:16]
	v_mul_f64 v[15:16], v[0:1], v[15:16]
	s_waitcnt vmcnt(4)
	v_fma_f64 v[0:1], v[0:1], v[17:18], -v[23:24]
	v_fma_f64 v[2:3], v[2:3], v[17:18], v[15:16]
	s_waitcnt vmcnt(2)
	v_add_f64 v[0:1], v[19:20], -v[0:1]
	s_waitcnt vmcnt(0)
	v_add_f64 v[2:3], v[21:22], -v[2:3]
	buffer_store_dword v1, v4, s[0:3], 0 offen offset:100
	buffer_store_dword v0, v4, s[0:3], 0 offen offset:96
	;; [unrolled: 1-line block ×4, first 2 shown]
	s_cbranch_scc1 .LBB124_346
.LBB124_347:
	s_or_b32 exec_lo, exec_lo, s4
	v_mov_b32_e32 v3, s69
	s_waitcnt_vscnt null, 0x0
	s_barrier
	buffer_gl0_inv
	v_lshl_add_u32 v4, v11, 4, v12
	s_clause 0x3
	buffer_load_dword v0, v3, s[0:3], 0 offen
	buffer_load_dword v1, v3, s[0:3], 0 offen offset:4
	buffer_load_dword v2, v3, s[0:3], 0 offen offset:8
	;; [unrolled: 1-line block ×3, first 2 shown]
	s_cmp_lt_i32 s57, 16
	s_waitcnt vmcnt(0)
	ds_write2_b64 v4, v[0:1], v[2:3] offset1:1
	s_waitcnt lgkmcnt(0)
	s_barrier
	buffer_gl0_inv
	ds_read2_b64 v[0:3], v12 offset0:28 offset1:29
	v_mov_b32_e32 v4, 14
	s_cbranch_scc1 .LBB124_350
; %bb.348:
	v_add3_u32 v10, v14, 0, 0xf0
	v_mov_b32_e32 v4, 14
	s_mov_b32 s16, 15
	s_inst_prefetch 0x1
	.p2align	6
.LBB124_349:                            ; =>This Inner Loop Header: Depth=1
	s_waitcnt lgkmcnt(0)
	v_cmp_gt_f64_e32 vcc_lo, 0, v[2:3]
	v_cmp_gt_f64_e64 s4, 0, v[0:1]
	ds_read2_b64 v[15:18], v10 offset1:1
	v_xor_b32_e32 v20, 0x80000000, v1
	v_xor_b32_e32 v22, 0x80000000, v3
	v_mov_b32_e32 v19, v0
	v_mov_b32_e32 v21, v2
	v_add_nc_u32_e32 v10, 16, v10
	s_waitcnt lgkmcnt(0)
	v_xor_b32_e32 v24, 0x80000000, v18
	v_cndmask_b32_e64 v20, v1, v20, s4
	v_cndmask_b32_e32 v22, v3, v22, vcc_lo
	v_cmp_gt_f64_e32 vcc_lo, 0, v[17:18]
	v_cmp_gt_f64_e64 s4, 0, v[15:16]
	v_mov_b32_e32 v23, v17
	v_add_f64 v[19:20], v[19:20], v[21:22]
	v_xor_b32_e32 v22, 0x80000000, v16
	v_mov_b32_e32 v21, v15
	v_cndmask_b32_e32 v24, v18, v24, vcc_lo
	v_cndmask_b32_e64 v22, v16, v22, s4
	v_add_f64 v[21:22], v[21:22], v[23:24]
	v_cmp_lt_f64_e32 vcc_lo, v[19:20], v[21:22]
	v_cndmask_b32_e32 v1, v1, v16, vcc_lo
	v_cndmask_b32_e32 v0, v0, v15, vcc_lo
	;; [unrolled: 1-line block ×4, first 2 shown]
	v_cndmask_b32_e64 v4, v4, s16, vcc_lo
	s_add_i32 s16, s16, 1
	s_cmp_lg_u32 s57, s16
	s_cbranch_scc1 .LBB124_349
.LBB124_350:
	s_inst_prefetch 0x2
	s_waitcnt lgkmcnt(0)
	v_cmp_eq_f64_e32 vcc_lo, 0, v[0:1]
	v_cmp_eq_f64_e64 s4, 0, v[2:3]
	s_and_b32 s4, vcc_lo, s4
	s_and_saveexec_b32 s16, s4
	s_xor_b32 s4, exec_lo, s16
; %bb.351:
	v_cmp_ne_u32_e32 vcc_lo, 0, v13
	v_cndmask_b32_e32 v13, 15, v13, vcc_lo
; %bb.352:
	s_andn2_saveexec_b32 s4, s4
	s_cbranch_execz .LBB124_358
; %bb.353:
	v_cmp_ngt_f64_e64 s16, |v[0:1]|, |v[2:3]|
	s_and_saveexec_b32 s17, s16
	s_xor_b32 s16, exec_lo, s17
	s_cbranch_execz .LBB124_355
; %bb.354:
	v_div_scale_f64 v[15:16], null, v[2:3], v[2:3], v[0:1]
	v_div_scale_f64 v[21:22], vcc_lo, v[0:1], v[2:3], v[0:1]
	v_rcp_f64_e32 v[17:18], v[15:16]
	v_fma_f64 v[19:20], -v[15:16], v[17:18], 1.0
	v_fma_f64 v[17:18], v[17:18], v[19:20], v[17:18]
	v_fma_f64 v[19:20], -v[15:16], v[17:18], 1.0
	v_fma_f64 v[17:18], v[17:18], v[19:20], v[17:18]
	v_mul_f64 v[19:20], v[21:22], v[17:18]
	v_fma_f64 v[15:16], -v[15:16], v[19:20], v[21:22]
	v_div_fmas_f64 v[15:16], v[15:16], v[17:18], v[19:20]
	v_div_fixup_f64 v[15:16], v[15:16], v[2:3], v[0:1]
	v_fma_f64 v[0:1], v[0:1], v[15:16], v[2:3]
	v_div_scale_f64 v[2:3], null, v[0:1], v[0:1], 1.0
	v_rcp_f64_e32 v[17:18], v[2:3]
	v_fma_f64 v[19:20], -v[2:3], v[17:18], 1.0
	v_fma_f64 v[17:18], v[17:18], v[19:20], v[17:18]
	v_fma_f64 v[19:20], -v[2:3], v[17:18], 1.0
	v_fma_f64 v[17:18], v[17:18], v[19:20], v[17:18]
	v_div_scale_f64 v[19:20], vcc_lo, 1.0, v[0:1], 1.0
	v_mul_f64 v[21:22], v[19:20], v[17:18]
	v_fma_f64 v[2:3], -v[2:3], v[21:22], v[19:20]
	v_div_fmas_f64 v[2:3], v[2:3], v[17:18], v[21:22]
	v_div_fixup_f64 v[2:3], v[2:3], v[0:1], 1.0
	v_mul_f64 v[0:1], v[15:16], v[2:3]
	v_xor_b32_e32 v3, 0x80000000, v3
.LBB124_355:
	s_andn2_saveexec_b32 s16, s16
	s_cbranch_execz .LBB124_357
; %bb.356:
	v_div_scale_f64 v[15:16], null, v[0:1], v[0:1], v[2:3]
	v_div_scale_f64 v[21:22], vcc_lo, v[2:3], v[0:1], v[2:3]
	v_rcp_f64_e32 v[17:18], v[15:16]
	v_fma_f64 v[19:20], -v[15:16], v[17:18], 1.0
	v_fma_f64 v[17:18], v[17:18], v[19:20], v[17:18]
	v_fma_f64 v[19:20], -v[15:16], v[17:18], 1.0
	v_fma_f64 v[17:18], v[17:18], v[19:20], v[17:18]
	v_mul_f64 v[19:20], v[21:22], v[17:18]
	v_fma_f64 v[15:16], -v[15:16], v[19:20], v[21:22]
	v_div_fmas_f64 v[15:16], v[15:16], v[17:18], v[19:20]
	v_div_fixup_f64 v[15:16], v[15:16], v[0:1], v[2:3]
	v_fma_f64 v[0:1], v[2:3], v[15:16], v[0:1]
	v_div_scale_f64 v[2:3], null, v[0:1], v[0:1], 1.0
	v_rcp_f64_e32 v[17:18], v[2:3]
	v_fma_f64 v[19:20], -v[2:3], v[17:18], 1.0
	v_fma_f64 v[17:18], v[17:18], v[19:20], v[17:18]
	v_fma_f64 v[19:20], -v[2:3], v[17:18], 1.0
	v_fma_f64 v[17:18], v[17:18], v[19:20], v[17:18]
	v_div_scale_f64 v[19:20], vcc_lo, 1.0, v[0:1], 1.0
	v_mul_f64 v[21:22], v[19:20], v[17:18]
	v_fma_f64 v[2:3], -v[2:3], v[21:22], v[19:20]
	v_div_fmas_f64 v[2:3], v[2:3], v[17:18], v[21:22]
	v_div_fixup_f64 v[0:1], v[2:3], v[0:1], 1.0
	v_mul_f64 v[2:3], v[15:16], -v[0:1]
.LBB124_357:
	s_or_b32 exec_lo, exec_lo, s16
.LBB124_358:
	s_or_b32 exec_lo, exec_lo, s4
	s_mov_b32 s4, exec_lo
	v_cmpx_ne_u32_e64 v11, v4
	s_xor_b32 s4, exec_lo, s4
	s_cbranch_execz .LBB124_364
; %bb.359:
	s_mov_b32 s16, exec_lo
	v_cmpx_eq_u32_e32 14, v11
	s_cbranch_execz .LBB124_363
; %bb.360:
	v_cmp_ne_u32_e32 vcc_lo, 14, v4
	s_xor_b32 s17, s20, -1
	s_and_b32 s56, s17, vcc_lo
	s_and_saveexec_b32 s17, s56
	s_cbranch_execz .LBB124_362
; %bb.361:
	v_ashrrev_i32_e32 v5, 31, v4
	v_lshlrev_b64 v[10:11], 2, v[4:5]
	v_add_co_u32 v10, vcc_lo, v8, v10
	v_add_co_ci_u32_e64 v11, null, v9, v11, vcc_lo
	s_clause 0x1
	global_load_dword v5, v[10:11], off
	global_load_dword v15, v[8:9], off offset:56
	s_waitcnt vmcnt(1)
	global_store_dword v[8:9], v5, off offset:56
	s_waitcnt vmcnt(0)
	global_store_dword v[10:11], v15, off
.LBB124_362:
	s_or_b32 exec_lo, exec_lo, s17
	v_mov_b32_e32 v11, v4
	v_mov_b32_e32 v5, v4
.LBB124_363:
	s_or_b32 exec_lo, exec_lo, s16
.LBB124_364:
	s_andn2_saveexec_b32 s4, s4
	s_cbranch_execz .LBB124_368
; %bb.365:
	s_movk_i32 s82, 0xf0
.LBB124_366:                            ; =>This Inner Loop Header: Depth=1
	v_mov_b32_e32 v4, s82
	s_clause 0x3e
	buffer_load_dword v10, v4, s[0:3], 0 offen
	buffer_load_dword v11, v4, s[0:3], 0 offen offset:4
	buffer_load_dword v15, v4, s[0:3], 0 offen offset:8
	;; [unrolled: 1-line block ×63, first 2 shown]
	v_add_nc_u32_e32 v4, s82, v12
	s_addk_i32 s82, 0x100
	s_waitcnt vmcnt(60)
	ds_write2_b64 v4, v[10:11], v[15:16] offset1:1
	s_waitcnt vmcnt(56)
	ds_write2_b64 v4, v[17:18], v[19:20] offset0:2 offset1:3
	s_waitcnt vmcnt(52)
	ds_write2_b64 v4, v[21:22], v[23:24] offset0:4 offset1:5
	;; [unrolled: 2-line block ×4, first 2 shown]
	ds_write2_b64 v4, v[33:34], v[31:32] offset0:10 offset1:11
	s_waitcnt vmcnt(32)
	ds_write2_b64 v4, v[43:44], v[37:38] offset0:12 offset1:13
	ds_write2_b64 v4, v[41:42], v[39:40] offset0:14 offset1:15
	s_waitcnt vmcnt(28)
	ds_write2_b64 v4, v[45:46], v[47:48] offset0:16 offset1:17
	s_waitcnt vmcnt(24)
	;; [unrolled: 2-line block ×8, first 2 shown]
	ds_write2_b64 v4, v[73:74], v[75:76] offset0:30 offset1:31
	s_cmpk_eq_i32 s82, 0x3f0
	s_cbranch_scc0 .LBB124_366
; %bb.367:
	v_mov_b32_e32 v11, 14
.LBB124_368:
	s_or_b32 exec_lo, exec_lo, s4
	s_mov_b32 s4, exec_lo
	s_waitcnt lgkmcnt(0)
	s_waitcnt_vscnt null, 0x0
	s_barrier
	buffer_gl0_inv
	v_cmpx_lt_i32_e32 14, v11
	s_cbranch_execz .LBB124_371
; %bb.369:
	s_clause 0x3
	buffer_load_dword v15, off, s[0:3], 0 offset:232
	buffer_load_dword v16, off, s[0:3], 0 offset:236
	;; [unrolled: 1-line block ×4, first 2 shown]
	s_movk_i32 s82, 0xf0
	s_waitcnt vmcnt(2)
	v_mul_f64 v[19:20], v[2:3], v[15:16]
	v_mul_f64 v[15:16], v[0:1], v[15:16]
	s_waitcnt vmcnt(0)
	v_fma_f64 v[0:1], v[0:1], v[17:18], -v[19:20]
	v_fma_f64 v[2:3], v[2:3], v[17:18], v[15:16]
	buffer_store_dword v0, off, s[0:3], 0 offset:224
	buffer_store_dword v1, off, s[0:3], 0 offset:228
	;; [unrolled: 1-line block ×4, first 2 shown]
.LBB124_370:                            ; =>This Inner Loop Header: Depth=1
	s_clause 0x3
	buffer_load_dword v19, off, s[0:3], 0 offset:232
	buffer_load_dword v20, off, s[0:3], 0 offset:236
	;; [unrolled: 1-line block ×4, first 2 shown]
	v_mov_b32_e32 v4, s82
	v_add_nc_u32_e32 v10, s82, v12
	s_addk_i32 s82, 0x60
	s_clause 0x3
	buffer_load_dword v23, v4, s[0:3], 0 offen
	buffer_load_dword v24, v4, s[0:3], 0 offen offset:4
	buffer_load_dword v25, v4, s[0:3], 0 offen offset:8
	;; [unrolled: 1-line block ×3, first 2 shown]
	ds_read2_b64 v[0:3], v10 offset1:1
	s_clause 0x3
	buffer_load_dword v27, v4, s[0:3], 0 offen offset:16
	buffer_load_dword v28, v4, s[0:3], 0 offen offset:20
	;; [unrolled: 1-line block ×4, first 2 shown]
	ds_read2_b64 v[15:18], v10 offset0:2 offset1:3
	s_cmpk_lg_i32 s82, 0x3f0
	s_waitcnt vmcnt(10) lgkmcnt(1)
	v_mul_f64 v[31:32], v[2:3], v[19:20]
	v_mul_f64 v[19:20], v[0:1], v[19:20]
	s_waitcnt vmcnt(8)
	v_fma_f64 v[0:1], v[0:1], v[21:22], -v[31:32]
	v_fma_f64 v[2:3], v[2:3], v[21:22], v[19:20]
	s_waitcnt vmcnt(6)
	v_add_f64 v[0:1], v[23:24], -v[0:1]
	s_waitcnt vmcnt(4)
	v_add_f64 v[2:3], v[25:26], -v[2:3]
	buffer_store_dword v1, v4, s[0:3], 0 offen offset:4
	buffer_store_dword v0, v4, s[0:3], 0 offen
	buffer_store_dword v3, v4, s[0:3], 0 offen offset:12
	buffer_store_dword v2, v4, s[0:3], 0 offen offset:8
	s_clause 0x3
	buffer_load_dword v1, off, s[0:3], 0 offset:236
	buffer_load_dword v0, off, s[0:3], 0 offset:232
	;; [unrolled: 1-line block ×4, first 2 shown]
	s_waitcnt vmcnt(2) lgkmcnt(0)
	v_mul_f64 v[19:20], v[17:18], v[0:1]
	v_mul_f64 v[0:1], v[15:16], v[0:1]
	s_waitcnt vmcnt(0)
	v_fma_f64 v[15:16], v[15:16], v[2:3], -v[19:20]
	v_fma_f64 v[0:1], v[17:18], v[2:3], v[0:1]
	s_clause 0x3
	buffer_load_dword v19, v4, s[0:3], 0 offen offset:32
	buffer_load_dword v20, v4, s[0:3], 0 offen offset:36
	;; [unrolled: 1-line block ×4, first 2 shown]
	v_add_f64 v[2:3], v[27:28], -v[15:16]
	v_add_f64 v[0:1], v[29:30], -v[0:1]
	buffer_store_dword v3, v4, s[0:3], 0 offen offset:20
	buffer_store_dword v2, v4, s[0:3], 0 offen offset:16
	;; [unrolled: 1-line block ×4, first 2 shown]
	s_clause 0x3
	buffer_load_dword v23, off, s[0:3], 0 offset:232
	buffer_load_dword v24, off, s[0:3], 0 offset:236
	;; [unrolled: 1-line block ×4, first 2 shown]
	ds_read2_b64 v[0:3], v10 offset0:4 offset1:5
	ds_read2_b64 v[15:18], v10 offset0:6 offset1:7
	s_waitcnt vmcnt(2) lgkmcnt(1)
	v_mul_f64 v[27:28], v[2:3], v[23:24]
	v_mul_f64 v[23:24], v[0:1], v[23:24]
	s_waitcnt vmcnt(0)
	v_fma_f64 v[0:1], v[0:1], v[25:26], -v[27:28]
	v_fma_f64 v[2:3], v[2:3], v[25:26], v[23:24]
	v_add_f64 v[0:1], v[19:20], -v[0:1]
	v_add_f64 v[2:3], v[21:22], -v[2:3]
	buffer_store_dword v1, v4, s[0:3], 0 offen offset:36
	buffer_store_dword v0, v4, s[0:3], 0 offen offset:32
	;; [unrolled: 1-line block ×4, first 2 shown]
	s_clause 0x7
	buffer_load_dword v0, off, s[0:3], 0 offset:232
	buffer_load_dword v1, off, s[0:3], 0 offset:236
	;; [unrolled: 1-line block ×4, first 2 shown]
	buffer_load_dword v19, v4, s[0:3], 0 offen offset:48
	buffer_load_dword v20, v4, s[0:3], 0 offen offset:52
	;; [unrolled: 1-line block ×4, first 2 shown]
	s_waitcnt vmcnt(6) lgkmcnt(0)
	v_mul_f64 v[23:24], v[17:18], v[0:1]
	v_mul_f64 v[0:1], v[15:16], v[0:1]
	s_waitcnt vmcnt(4)
	v_fma_f64 v[15:16], v[15:16], v[2:3], -v[23:24]
	v_fma_f64 v[0:1], v[17:18], v[2:3], v[0:1]
	s_waitcnt vmcnt(2)
	v_add_f64 v[2:3], v[19:20], -v[15:16]
	s_waitcnt vmcnt(0)
	v_add_f64 v[0:1], v[21:22], -v[0:1]
	buffer_store_dword v3, v4, s[0:3], 0 offen offset:52
	buffer_store_dword v2, v4, s[0:3], 0 offen offset:48
	;; [unrolled: 1-line block ×4, first 2 shown]
	s_clause 0x7
	buffer_load_dword v19, off, s[0:3], 0 offset:232
	buffer_load_dword v20, off, s[0:3], 0 offset:236
	buffer_load_dword v21, off, s[0:3], 0 offset:224
	buffer_load_dword v22, off, s[0:3], 0 offset:228
	buffer_load_dword v23, v4, s[0:3], 0 offen offset:64
	buffer_load_dword v24, v4, s[0:3], 0 offen offset:68
	;; [unrolled: 1-line block ×4, first 2 shown]
	ds_read2_b64 v[0:3], v10 offset0:8 offset1:9
	ds_read2_b64 v[15:18], v10 offset0:10 offset1:11
	s_waitcnt vmcnt(6) lgkmcnt(1)
	v_mul_f64 v[27:28], v[2:3], v[19:20]
	v_mul_f64 v[19:20], v[0:1], v[19:20]
	s_waitcnt vmcnt(4)
	v_fma_f64 v[0:1], v[0:1], v[21:22], -v[27:28]
	v_fma_f64 v[2:3], v[2:3], v[21:22], v[19:20]
	s_waitcnt vmcnt(2)
	v_add_f64 v[0:1], v[23:24], -v[0:1]
	s_waitcnt vmcnt(0)
	v_add_f64 v[2:3], v[25:26], -v[2:3]
	buffer_store_dword v1, v4, s[0:3], 0 offen offset:68
	buffer_store_dword v0, v4, s[0:3], 0 offen offset:64
	;; [unrolled: 1-line block ×4, first 2 shown]
	s_clause 0x7
	buffer_load_dword v0, off, s[0:3], 0 offset:232
	buffer_load_dword v1, off, s[0:3], 0 offset:236
	buffer_load_dword v2, off, s[0:3], 0 offset:224
	buffer_load_dword v3, off, s[0:3], 0 offset:228
	buffer_load_dword v19, v4, s[0:3], 0 offen offset:80
	buffer_load_dword v20, v4, s[0:3], 0 offen offset:84
	;; [unrolled: 1-line block ×4, first 2 shown]
	s_waitcnt vmcnt(6) lgkmcnt(0)
	v_mul_f64 v[23:24], v[17:18], v[0:1]
	v_mul_f64 v[0:1], v[15:16], v[0:1]
	s_waitcnt vmcnt(4)
	v_fma_f64 v[15:16], v[15:16], v[2:3], -v[23:24]
	v_fma_f64 v[0:1], v[17:18], v[2:3], v[0:1]
	s_waitcnt vmcnt(2)
	v_add_f64 v[2:3], v[19:20], -v[15:16]
	s_waitcnt vmcnt(0)
	v_add_f64 v[0:1], v[21:22], -v[0:1]
	buffer_store_dword v3, v4, s[0:3], 0 offen offset:84
	buffer_store_dword v2, v4, s[0:3], 0 offen offset:80
	;; [unrolled: 1-line block ×4, first 2 shown]
	s_cbranch_scc1 .LBB124_370
.LBB124_371:
	s_or_b32 exec_lo, exec_lo, s4
	v_mov_b32_e32 v3, s68
	s_waitcnt_vscnt null, 0x0
	s_barrier
	buffer_gl0_inv
	v_lshl_add_u32 v4, v11, 4, v12
	s_clause 0x3
	buffer_load_dword v0, v3, s[0:3], 0 offen
	buffer_load_dword v1, v3, s[0:3], 0 offen offset:4
	buffer_load_dword v2, v3, s[0:3], 0 offen offset:8
	;; [unrolled: 1-line block ×3, first 2 shown]
	s_cmp_lt_i32 s57, 17
	s_waitcnt vmcnt(0)
	ds_write2_b64 v4, v[0:1], v[2:3] offset1:1
	s_waitcnt lgkmcnt(0)
	s_barrier
	buffer_gl0_inv
	ds_read2_b64 v[0:3], v12 offset0:30 offset1:31
	v_mov_b32_e32 v4, 15
	s_cbranch_scc1 .LBB124_374
; %bb.372:
	v_add3_u32 v10, v14, 0, 0x100
	v_mov_b32_e32 v4, 15
	s_mov_b32 s16, 16
	s_inst_prefetch 0x1
	.p2align	6
.LBB124_373:                            ; =>This Inner Loop Header: Depth=1
	s_waitcnt lgkmcnt(0)
	v_cmp_gt_f64_e32 vcc_lo, 0, v[2:3]
	v_cmp_gt_f64_e64 s4, 0, v[0:1]
	ds_read2_b64 v[15:18], v10 offset1:1
	v_xor_b32_e32 v20, 0x80000000, v1
	v_xor_b32_e32 v22, 0x80000000, v3
	v_mov_b32_e32 v19, v0
	v_mov_b32_e32 v21, v2
	v_add_nc_u32_e32 v10, 16, v10
	s_waitcnt lgkmcnt(0)
	v_xor_b32_e32 v24, 0x80000000, v18
	v_cndmask_b32_e64 v20, v1, v20, s4
	v_cndmask_b32_e32 v22, v3, v22, vcc_lo
	v_cmp_gt_f64_e32 vcc_lo, 0, v[17:18]
	v_cmp_gt_f64_e64 s4, 0, v[15:16]
	v_mov_b32_e32 v23, v17
	v_add_f64 v[19:20], v[19:20], v[21:22]
	v_xor_b32_e32 v22, 0x80000000, v16
	v_mov_b32_e32 v21, v15
	v_cndmask_b32_e32 v24, v18, v24, vcc_lo
	v_cndmask_b32_e64 v22, v16, v22, s4
	v_add_f64 v[21:22], v[21:22], v[23:24]
	v_cmp_lt_f64_e32 vcc_lo, v[19:20], v[21:22]
	v_cndmask_b32_e32 v1, v1, v16, vcc_lo
	v_cndmask_b32_e32 v0, v0, v15, vcc_lo
	;; [unrolled: 1-line block ×4, first 2 shown]
	v_cndmask_b32_e64 v4, v4, s16, vcc_lo
	s_add_i32 s16, s16, 1
	s_cmp_lg_u32 s57, s16
	s_cbranch_scc1 .LBB124_373
.LBB124_374:
	s_inst_prefetch 0x2
	s_waitcnt lgkmcnt(0)
	v_cmp_eq_f64_e32 vcc_lo, 0, v[0:1]
	v_cmp_eq_f64_e64 s4, 0, v[2:3]
	s_and_b32 s4, vcc_lo, s4
	s_and_saveexec_b32 s16, s4
	s_xor_b32 s4, exec_lo, s16
; %bb.375:
	v_cmp_ne_u32_e32 vcc_lo, 0, v13
	v_cndmask_b32_e32 v13, 16, v13, vcc_lo
; %bb.376:
	s_andn2_saveexec_b32 s4, s4
	s_cbranch_execz .LBB124_382
; %bb.377:
	v_cmp_ngt_f64_e64 s16, |v[0:1]|, |v[2:3]|
	s_and_saveexec_b32 s17, s16
	s_xor_b32 s16, exec_lo, s17
	s_cbranch_execz .LBB124_379
; %bb.378:
	v_div_scale_f64 v[15:16], null, v[2:3], v[2:3], v[0:1]
	v_div_scale_f64 v[21:22], vcc_lo, v[0:1], v[2:3], v[0:1]
	v_rcp_f64_e32 v[17:18], v[15:16]
	v_fma_f64 v[19:20], -v[15:16], v[17:18], 1.0
	v_fma_f64 v[17:18], v[17:18], v[19:20], v[17:18]
	v_fma_f64 v[19:20], -v[15:16], v[17:18], 1.0
	v_fma_f64 v[17:18], v[17:18], v[19:20], v[17:18]
	v_mul_f64 v[19:20], v[21:22], v[17:18]
	v_fma_f64 v[15:16], -v[15:16], v[19:20], v[21:22]
	v_div_fmas_f64 v[15:16], v[15:16], v[17:18], v[19:20]
	v_div_fixup_f64 v[15:16], v[15:16], v[2:3], v[0:1]
	v_fma_f64 v[0:1], v[0:1], v[15:16], v[2:3]
	v_div_scale_f64 v[2:3], null, v[0:1], v[0:1], 1.0
	v_rcp_f64_e32 v[17:18], v[2:3]
	v_fma_f64 v[19:20], -v[2:3], v[17:18], 1.0
	v_fma_f64 v[17:18], v[17:18], v[19:20], v[17:18]
	v_fma_f64 v[19:20], -v[2:3], v[17:18], 1.0
	v_fma_f64 v[17:18], v[17:18], v[19:20], v[17:18]
	v_div_scale_f64 v[19:20], vcc_lo, 1.0, v[0:1], 1.0
	v_mul_f64 v[21:22], v[19:20], v[17:18]
	v_fma_f64 v[2:3], -v[2:3], v[21:22], v[19:20]
	v_div_fmas_f64 v[2:3], v[2:3], v[17:18], v[21:22]
	v_div_fixup_f64 v[2:3], v[2:3], v[0:1], 1.0
	v_mul_f64 v[0:1], v[15:16], v[2:3]
	v_xor_b32_e32 v3, 0x80000000, v3
.LBB124_379:
	s_andn2_saveexec_b32 s16, s16
	s_cbranch_execz .LBB124_381
; %bb.380:
	v_div_scale_f64 v[15:16], null, v[0:1], v[0:1], v[2:3]
	v_div_scale_f64 v[21:22], vcc_lo, v[2:3], v[0:1], v[2:3]
	v_rcp_f64_e32 v[17:18], v[15:16]
	v_fma_f64 v[19:20], -v[15:16], v[17:18], 1.0
	v_fma_f64 v[17:18], v[17:18], v[19:20], v[17:18]
	v_fma_f64 v[19:20], -v[15:16], v[17:18], 1.0
	v_fma_f64 v[17:18], v[17:18], v[19:20], v[17:18]
	v_mul_f64 v[19:20], v[21:22], v[17:18]
	v_fma_f64 v[15:16], -v[15:16], v[19:20], v[21:22]
	v_div_fmas_f64 v[15:16], v[15:16], v[17:18], v[19:20]
	v_div_fixup_f64 v[15:16], v[15:16], v[0:1], v[2:3]
	v_fma_f64 v[0:1], v[2:3], v[15:16], v[0:1]
	v_div_scale_f64 v[2:3], null, v[0:1], v[0:1], 1.0
	v_rcp_f64_e32 v[17:18], v[2:3]
	v_fma_f64 v[19:20], -v[2:3], v[17:18], 1.0
	v_fma_f64 v[17:18], v[17:18], v[19:20], v[17:18]
	v_fma_f64 v[19:20], -v[2:3], v[17:18], 1.0
	v_fma_f64 v[17:18], v[17:18], v[19:20], v[17:18]
	v_div_scale_f64 v[19:20], vcc_lo, 1.0, v[0:1], 1.0
	v_mul_f64 v[21:22], v[19:20], v[17:18]
	v_fma_f64 v[2:3], -v[2:3], v[21:22], v[19:20]
	v_div_fmas_f64 v[2:3], v[2:3], v[17:18], v[21:22]
	v_div_fixup_f64 v[0:1], v[2:3], v[0:1], 1.0
	v_mul_f64 v[2:3], v[15:16], -v[0:1]
.LBB124_381:
	s_or_b32 exec_lo, exec_lo, s16
.LBB124_382:
	s_or_b32 exec_lo, exec_lo, s4
	s_mov_b32 s4, exec_lo
	v_cmpx_ne_u32_e64 v11, v4
	s_xor_b32 s4, exec_lo, s4
	s_cbranch_execz .LBB124_388
; %bb.383:
	s_mov_b32 s16, exec_lo
	v_cmpx_eq_u32_e32 15, v11
	s_cbranch_execz .LBB124_387
; %bb.384:
	v_cmp_ne_u32_e32 vcc_lo, 15, v4
	s_xor_b32 s17, s20, -1
	s_and_b32 s56, s17, vcc_lo
	s_and_saveexec_b32 s17, s56
	s_cbranch_execz .LBB124_386
; %bb.385:
	v_ashrrev_i32_e32 v5, 31, v4
	v_lshlrev_b64 v[10:11], 2, v[4:5]
	v_add_co_u32 v10, vcc_lo, v8, v10
	v_add_co_ci_u32_e64 v11, null, v9, v11, vcc_lo
	s_clause 0x1
	global_load_dword v5, v[10:11], off
	global_load_dword v15, v[8:9], off offset:60
	s_waitcnt vmcnt(1)
	global_store_dword v[8:9], v5, off offset:60
	s_waitcnt vmcnt(0)
	global_store_dword v[10:11], v15, off
.LBB124_386:
	s_or_b32 exec_lo, exec_lo, s17
	v_mov_b32_e32 v11, v4
	v_mov_b32_e32 v5, v4
.LBB124_387:
	s_or_b32 exec_lo, exec_lo, s16
.LBB124_388:
	s_andn2_saveexec_b32 s4, s4
	s_cbranch_execz .LBB124_394
; %bb.389:
	s_movk_i32 s16, 0x100
	s_branch .LBB124_391
.LBB124_390:                            ;   in Loop: Header=BB124_391 Depth=1
	s_andn2_b32 vcc_lo, exec_lo, s56
	s_cbranch_vccz .LBB124_393
.LBB124_391:                            ; =>This Inner Loop Header: Depth=1
	v_mov_b32_e32 v4, s16
	s_mov_b32 s17, s16
	s_mov_b32 s56, -1
	s_cmpk_eq_i32 s16, 0x380
	s_clause 0x1b
	buffer_load_dword v10, v4, s[0:3], 0 offen
	buffer_load_dword v11, v4, s[0:3], 0 offen offset:4
	buffer_load_dword v15, v4, s[0:3], 0 offen offset:8
	;; [unrolled: 1-line block ×27, first 2 shown]
	v_add_nc_u32_e32 v4, s16, v12
	s_waitcnt vmcnt(24)
	ds_write2_b64 v4, v[10:11], v[15:16] offset1:1
	s_waitcnt vmcnt(20)
	ds_write2_b64 v4, v[17:18], v[19:20] offset0:2 offset1:3
	s_waitcnt vmcnt(16)
	ds_write2_b64 v4, v[21:22], v[23:24] offset0:4 offset1:5
	;; [unrolled: 2-line block ×4, first 2 shown]
	ds_write2_b64 v4, v[33:34], v[31:32] offset0:10 offset1:11
	s_waitcnt vmcnt(0)
	ds_write2_b64 v4, v[39:40], v[37:38] offset0:12 offset1:13
	s_cbranch_scc1 .LBB124_390
; %bb.392:                              ;   in Loop: Header=BB124_391 Depth=1
	v_mov_b32_e32 v16, s17
	s_addk_i32 s16, 0x80
	s_mov_b32 s56, 0
	s_clause 0x3
	buffer_load_dword v10, v16, s[0:3], 0 offen offset:112
	buffer_load_dword v11, v16, s[0:3], 0 offen offset:116
	;; [unrolled: 1-line block ×4, first 2 shown]
	s_waitcnt vmcnt(0)
	ds_write2_b64 v4, v[10:11], v[15:16] offset0:14 offset1:15
	s_branch .LBB124_390
.LBB124_393:
	v_mov_b32_e32 v11, 15
.LBB124_394:
	s_or_b32 exec_lo, exec_lo, s4
	s_mov_b32 s4, exec_lo
	s_waitcnt lgkmcnt(0)
	s_waitcnt_vscnt null, 0x0
	s_barrier
	buffer_gl0_inv
	v_cmpx_lt_i32_e32 15, v11
	s_cbranch_execz .LBB124_399
; %bb.395:
	s_clause 0x3
	buffer_load_dword v15, off, s[0:3], 0 offset:248
	buffer_load_dword v16, off, s[0:3], 0 offset:252
	;; [unrolled: 1-line block ×4, first 2 shown]
	s_movk_i32 s82, 0x100
	s_waitcnt vmcnt(2)
	v_mul_f64 v[19:20], v[2:3], v[15:16]
	v_mul_f64 v[15:16], v[0:1], v[15:16]
	s_waitcnt vmcnt(0)
	v_fma_f64 v[0:1], v[0:1], v[17:18], -v[19:20]
	v_fma_f64 v[2:3], v[2:3], v[17:18], v[15:16]
	buffer_store_dword v0, off, s[0:3], 0 offset:240
	buffer_store_dword v1, off, s[0:3], 0 offset:244
	;; [unrolled: 1-line block ×4, first 2 shown]
	s_branch .LBB124_397
.LBB124_396:                            ;   in Loop: Header=BB124_397 Depth=1
	s_andn2_b32 vcc_lo, exec_lo, s17
	s_cbranch_vccz .LBB124_399
.LBB124_397:                            ; =>This Inner Loop Header: Depth=1
	v_mov_b32_e32 v10, s82
	v_add_nc_u32_e32 v4, s82, v12
	s_mov_b32 s16, s82
	s_mov_b32 s17, -1
	s_cmpk_eq_i32 s82, 0x3c0
	s_clause 0x3
	buffer_load_dword v23, v10, s[0:3], 0 offen
	buffer_load_dword v24, v10, s[0:3], 0 offen offset:4
	buffer_load_dword v25, v10, s[0:3], 0 offen offset:8
	;; [unrolled: 1-line block ×3, first 2 shown]
	ds_read2_b64 v[15:18], v4 offset1:1
	ds_read2_b64 v[19:22], v4 offset0:2 offset1:3
	s_waitcnt vmcnt(5) lgkmcnt(1)
	v_mul_f64 v[27:28], v[17:18], v[2:3]
	v_mul_f64 v[2:3], v[15:16], v[2:3]
	s_waitcnt vmcnt(4)
	v_fma_f64 v[15:16], v[15:16], v[0:1], -v[27:28]
	v_fma_f64 v[0:1], v[17:18], v[0:1], v[2:3]
	s_clause 0x2
	buffer_load_dword v2, v10, s[0:3], 0 offen offset:20
	buffer_load_dword v17, v10, s[0:3], 0 offen offset:28
	;; [unrolled: 1-line block ×3, first 2 shown]
	s_waitcnt vmcnt(5)
	v_add_f64 v[15:16], v[23:24], -v[15:16]
	s_waitcnt vmcnt(3)
	v_add_f64 v[0:1], v[25:26], -v[0:1]
	buffer_store_dword v16, v10, s[0:3], 0 offen offset:4
	buffer_store_dword v15, v10, s[0:3], 0 offen
	buffer_store_dword v1, v10, s[0:3], 0 offen offset:12
	buffer_store_dword v0, v10, s[0:3], 0 offen offset:8
	s_clause 0x6
	buffer_load_dword v16, v10, s[0:3], 0 offen offset:24
	buffer_load_dword v23, v10, s[0:3], 0 offen offset:36
	buffer_load_dword v25, off, s[0:3], 0 offset:252
	buffer_load_dword v24, off, s[0:3], 0 offset:248
	;; [unrolled: 1-line block ×4, first 2 shown]
	buffer_load_dword v1, v10, s[0:3], 0 offen offset:16
	s_waitcnt vmcnt(3) lgkmcnt(0)
	v_mul_f64 v[28:29], v[21:22], v[24:25]
	v_mul_f64 v[24:25], v[19:20], v[24:25]
	s_waitcnt vmcnt(1)
	v_fma_f64 v[19:20], v[19:20], v[26:27], -v[28:29]
	v_fma_f64 v[21:22], v[21:22], v[26:27], v[24:25]
	s_waitcnt vmcnt(0)
	v_add_f64 v[0:1], v[1:2], -v[19:20]
	v_add_f64 v[2:3], v[16:17], -v[21:22]
	buffer_store_dword v1, v10, s[0:3], 0 offen offset:20
	buffer_store_dword v0, v10, s[0:3], 0 offen offset:16
	;; [unrolled: 1-line block ×4, first 2 shown]
	s_clause 0x5
	buffer_load_dword v19, v10, s[0:3], 0 offen offset:44
	buffer_load_dword v15, off, s[0:3], 0 offset:248
	buffer_load_dword v16, off, s[0:3], 0 offset:252
	;; [unrolled: 1-line block ×4, first 2 shown]
	buffer_load_dword v22, v10, s[0:3], 0 offen offset:32
	ds_read2_b64 v[0:3], v4 offset0:4 offset1:5
	s_waitcnt vmcnt(3) lgkmcnt(0)
	v_mul_f64 v[24:25], v[2:3], v[15:16]
	v_mul_f64 v[15:16], v[0:1], v[15:16]
	s_waitcnt vmcnt(1)
	v_fma_f64 v[0:1], v[0:1], v[20:21], -v[24:25]
	v_fma_f64 v[2:3], v[2:3], v[20:21], v[15:16]
	s_waitcnt vmcnt(0)
	v_add_f64 v[0:1], v[22:23], -v[0:1]
	v_add_f64 v[2:3], v[18:19], -v[2:3]
	buffer_store_dword v1, v10, s[0:3], 0 offen offset:36
	buffer_store_dword v0, v10, s[0:3], 0 offen offset:32
	;; [unrolled: 1-line block ×4, first 2 shown]
                                        ; implicit-def: $vgpr0_vgpr1
                                        ; implicit-def: $vgpr2_vgpr3
	s_cbranch_scc1 .LBB124_396
; %bb.398:                              ;   in Loop: Header=BB124_397 Depth=1
	s_clause 0x3
	buffer_load_dword v15, off, s[0:3], 0 offset:248
	buffer_load_dword v16, off, s[0:3], 0 offset:252
	;; [unrolled: 1-line block ×4, first 2 shown]
	v_mov_b32_e32 v10, s16
	s_add_i32 s82, s82, 64
	s_mov_b32 s17, 0
	s_clause 0x3
	buffer_load_dword v19, v10, s[0:3], 0 offen offset:48
	buffer_load_dword v20, v10, s[0:3], 0 offen offset:52
	;; [unrolled: 1-line block ×4, first 2 shown]
	ds_read2_b64 v[0:3], v4 offset0:6 offset1:7
	s_waitcnt vmcnt(6) lgkmcnt(0)
	v_mul_f64 v[23:24], v[2:3], v[15:16]
	v_mul_f64 v[15:16], v[0:1], v[15:16]
	s_waitcnt vmcnt(4)
	v_fma_f64 v[0:1], v[0:1], v[17:18], -v[23:24]
	v_fma_f64 v[2:3], v[2:3], v[17:18], v[15:16]
	s_waitcnt vmcnt(2)
	v_add_f64 v[0:1], v[19:20], -v[0:1]
	s_waitcnt vmcnt(0)
	v_add_f64 v[2:3], v[21:22], -v[2:3]
	buffer_store_dword v1, v10, s[0:3], 0 offen offset:52
	buffer_store_dword v0, v10, s[0:3], 0 offen offset:48
	;; [unrolled: 1-line block ×4, first 2 shown]
	s_clause 0x3
	buffer_load_dword v1, off, s[0:3], 0 offset:244
	buffer_load_dword v3, off, s[0:3], 0 offset:252
	;; [unrolled: 1-line block ×4, first 2 shown]
	s_branch .LBB124_396
.LBB124_399:
	s_or_b32 exec_lo, exec_lo, s4
	s_waitcnt vmcnt(2)
	v_mov_b32_e32 v3, s67
	s_waitcnt vmcnt(0)
	s_waitcnt_vscnt null, 0x0
	s_barrier
	buffer_gl0_inv
	v_lshl_add_u32 v4, v11, 4, v12
	s_clause 0x3
	buffer_load_dword v0, v3, s[0:3], 0 offen
	buffer_load_dword v1, v3, s[0:3], 0 offen offset:4
	buffer_load_dword v2, v3, s[0:3], 0 offen offset:8
	;; [unrolled: 1-line block ×3, first 2 shown]
	s_cmp_lt_i32 s57, 18
	s_waitcnt vmcnt(0)
	ds_write2_b64 v4, v[0:1], v[2:3] offset1:1
	s_waitcnt lgkmcnt(0)
	s_barrier
	buffer_gl0_inv
	ds_read2_b64 v[0:3], v12 offset0:32 offset1:33
	v_mov_b32_e32 v4, 16
	s_cbranch_scc1 .LBB124_402
; %bb.400:
	v_add3_u32 v10, v14, 0, 0x110
	v_mov_b32_e32 v4, 16
	s_mov_b32 s16, 17
	s_inst_prefetch 0x1
	.p2align	6
.LBB124_401:                            ; =>This Inner Loop Header: Depth=1
	s_waitcnt lgkmcnt(0)
	v_cmp_gt_f64_e32 vcc_lo, 0, v[2:3]
	v_cmp_gt_f64_e64 s4, 0, v[0:1]
	ds_read2_b64 v[15:18], v10 offset1:1
	v_xor_b32_e32 v20, 0x80000000, v1
	v_xor_b32_e32 v22, 0x80000000, v3
	v_mov_b32_e32 v19, v0
	v_mov_b32_e32 v21, v2
	v_add_nc_u32_e32 v10, 16, v10
	s_waitcnt lgkmcnt(0)
	v_xor_b32_e32 v24, 0x80000000, v18
	v_cndmask_b32_e64 v20, v1, v20, s4
	v_cndmask_b32_e32 v22, v3, v22, vcc_lo
	v_cmp_gt_f64_e32 vcc_lo, 0, v[17:18]
	v_cmp_gt_f64_e64 s4, 0, v[15:16]
	v_mov_b32_e32 v23, v17
	v_add_f64 v[19:20], v[19:20], v[21:22]
	v_xor_b32_e32 v22, 0x80000000, v16
	v_mov_b32_e32 v21, v15
	v_cndmask_b32_e32 v24, v18, v24, vcc_lo
	v_cndmask_b32_e64 v22, v16, v22, s4
	v_add_f64 v[21:22], v[21:22], v[23:24]
	v_cmp_lt_f64_e32 vcc_lo, v[19:20], v[21:22]
	v_cndmask_b32_e32 v1, v1, v16, vcc_lo
	v_cndmask_b32_e32 v0, v0, v15, vcc_lo
	;; [unrolled: 1-line block ×4, first 2 shown]
	v_cndmask_b32_e64 v4, v4, s16, vcc_lo
	s_add_i32 s16, s16, 1
	s_cmp_lg_u32 s57, s16
	s_cbranch_scc1 .LBB124_401
.LBB124_402:
	s_inst_prefetch 0x2
	s_waitcnt lgkmcnt(0)
	v_cmp_eq_f64_e32 vcc_lo, 0, v[0:1]
	v_cmp_eq_f64_e64 s4, 0, v[2:3]
	s_and_b32 s4, vcc_lo, s4
	s_and_saveexec_b32 s16, s4
	s_xor_b32 s4, exec_lo, s16
; %bb.403:
	v_cmp_ne_u32_e32 vcc_lo, 0, v13
	v_cndmask_b32_e32 v13, 17, v13, vcc_lo
; %bb.404:
	s_andn2_saveexec_b32 s4, s4
	s_cbranch_execz .LBB124_410
; %bb.405:
	v_cmp_ngt_f64_e64 s16, |v[0:1]|, |v[2:3]|
	s_and_saveexec_b32 s17, s16
	s_xor_b32 s16, exec_lo, s17
	s_cbranch_execz .LBB124_407
; %bb.406:
	v_div_scale_f64 v[15:16], null, v[2:3], v[2:3], v[0:1]
	v_div_scale_f64 v[21:22], vcc_lo, v[0:1], v[2:3], v[0:1]
	v_rcp_f64_e32 v[17:18], v[15:16]
	v_fma_f64 v[19:20], -v[15:16], v[17:18], 1.0
	v_fma_f64 v[17:18], v[17:18], v[19:20], v[17:18]
	v_fma_f64 v[19:20], -v[15:16], v[17:18], 1.0
	v_fma_f64 v[17:18], v[17:18], v[19:20], v[17:18]
	v_mul_f64 v[19:20], v[21:22], v[17:18]
	v_fma_f64 v[15:16], -v[15:16], v[19:20], v[21:22]
	v_div_fmas_f64 v[15:16], v[15:16], v[17:18], v[19:20]
	v_div_fixup_f64 v[15:16], v[15:16], v[2:3], v[0:1]
	v_fma_f64 v[0:1], v[0:1], v[15:16], v[2:3]
	v_div_scale_f64 v[2:3], null, v[0:1], v[0:1], 1.0
	v_rcp_f64_e32 v[17:18], v[2:3]
	v_fma_f64 v[19:20], -v[2:3], v[17:18], 1.0
	v_fma_f64 v[17:18], v[17:18], v[19:20], v[17:18]
	v_fma_f64 v[19:20], -v[2:3], v[17:18], 1.0
	v_fma_f64 v[17:18], v[17:18], v[19:20], v[17:18]
	v_div_scale_f64 v[19:20], vcc_lo, 1.0, v[0:1], 1.0
	v_mul_f64 v[21:22], v[19:20], v[17:18]
	v_fma_f64 v[2:3], -v[2:3], v[21:22], v[19:20]
	v_div_fmas_f64 v[2:3], v[2:3], v[17:18], v[21:22]
	v_div_fixup_f64 v[2:3], v[2:3], v[0:1], 1.0
	v_mul_f64 v[0:1], v[15:16], v[2:3]
	v_xor_b32_e32 v3, 0x80000000, v3
.LBB124_407:
	s_andn2_saveexec_b32 s16, s16
	s_cbranch_execz .LBB124_409
; %bb.408:
	v_div_scale_f64 v[15:16], null, v[0:1], v[0:1], v[2:3]
	v_div_scale_f64 v[21:22], vcc_lo, v[2:3], v[0:1], v[2:3]
	v_rcp_f64_e32 v[17:18], v[15:16]
	v_fma_f64 v[19:20], -v[15:16], v[17:18], 1.0
	v_fma_f64 v[17:18], v[17:18], v[19:20], v[17:18]
	v_fma_f64 v[19:20], -v[15:16], v[17:18], 1.0
	v_fma_f64 v[17:18], v[17:18], v[19:20], v[17:18]
	v_mul_f64 v[19:20], v[21:22], v[17:18]
	v_fma_f64 v[15:16], -v[15:16], v[19:20], v[21:22]
	v_div_fmas_f64 v[15:16], v[15:16], v[17:18], v[19:20]
	v_div_fixup_f64 v[15:16], v[15:16], v[0:1], v[2:3]
	v_fma_f64 v[0:1], v[2:3], v[15:16], v[0:1]
	v_div_scale_f64 v[2:3], null, v[0:1], v[0:1], 1.0
	v_rcp_f64_e32 v[17:18], v[2:3]
	v_fma_f64 v[19:20], -v[2:3], v[17:18], 1.0
	v_fma_f64 v[17:18], v[17:18], v[19:20], v[17:18]
	v_fma_f64 v[19:20], -v[2:3], v[17:18], 1.0
	v_fma_f64 v[17:18], v[17:18], v[19:20], v[17:18]
	v_div_scale_f64 v[19:20], vcc_lo, 1.0, v[0:1], 1.0
	v_mul_f64 v[21:22], v[19:20], v[17:18]
	v_fma_f64 v[2:3], -v[2:3], v[21:22], v[19:20]
	v_div_fmas_f64 v[2:3], v[2:3], v[17:18], v[21:22]
	v_div_fixup_f64 v[0:1], v[2:3], v[0:1], 1.0
	v_mul_f64 v[2:3], v[15:16], -v[0:1]
.LBB124_409:
	s_or_b32 exec_lo, exec_lo, s16
.LBB124_410:
	s_or_b32 exec_lo, exec_lo, s4
	s_mov_b32 s4, exec_lo
	v_cmpx_ne_u32_e64 v11, v4
	s_xor_b32 s4, exec_lo, s4
	s_cbranch_execz .LBB124_416
; %bb.411:
	s_mov_b32 s16, exec_lo
	v_cmpx_eq_u32_e32 16, v11
	s_cbranch_execz .LBB124_415
; %bb.412:
	v_cmp_ne_u32_e32 vcc_lo, 16, v4
	s_xor_b32 s17, s20, -1
	s_and_b32 s56, s17, vcc_lo
	s_and_saveexec_b32 s17, s56
	s_cbranch_execz .LBB124_414
; %bb.413:
	v_ashrrev_i32_e32 v5, 31, v4
	v_lshlrev_b64 v[10:11], 2, v[4:5]
	v_add_co_u32 v10, vcc_lo, v8, v10
	v_add_co_ci_u32_e64 v11, null, v9, v11, vcc_lo
	s_clause 0x1
	global_load_dword v5, v[10:11], off
	global_load_dword v15, v[8:9], off offset:64
	s_waitcnt vmcnt(1)
	global_store_dword v[8:9], v5, off offset:64
	s_waitcnt vmcnt(0)
	global_store_dword v[10:11], v15, off
.LBB124_414:
	s_or_b32 exec_lo, exec_lo, s17
	v_mov_b32_e32 v11, v4
	v_mov_b32_e32 v5, v4
.LBB124_415:
	s_or_b32 exec_lo, exec_lo, s16
.LBB124_416:
	s_andn2_saveexec_b32 s4, s4
	s_cbranch_execz .LBB124_420
; %bb.417:
	s_movk_i32 s16, 0x110
	.p2align	6
.LBB124_418:                            ; =>This Inner Loop Header: Depth=1
	v_mov_b32_e32 v4, s16
	s_clause 0x7
	buffer_load_dword v10, v4, s[0:3], 0 offen
	buffer_load_dword v11, v4, s[0:3], 0 offen offset:4
	buffer_load_dword v15, v4, s[0:3], 0 offen offset:8
	;; [unrolled: 1-line block ×7, first 2 shown]
	v_add_nc_u32_e32 v4, s16, v12
	s_add_i32 s16, s16, 32
	s_waitcnt vmcnt(4)
	ds_write2_b64 v4, v[10:11], v[15:16] offset1:1
	s_waitcnt vmcnt(0)
	ds_write2_b64 v4, v[17:18], v[19:20] offset0:2 offset1:3
	s_cmpk_eq_i32 s16, 0x3f0
	s_cbranch_scc0 .LBB124_418
; %bb.419:
	v_mov_b32_e32 v11, 16
.LBB124_420:
	s_or_b32 exec_lo, exec_lo, s4
	s_mov_b32 s4, exec_lo
	s_waitcnt lgkmcnt(0)
	s_waitcnt_vscnt null, 0x0
	s_barrier
	buffer_gl0_inv
	v_cmpx_lt_i32_e32 16, v11
	s_cbranch_execz .LBB124_423
; %bb.421:
	s_clause 0x3
	buffer_load_dword v15, off, s[0:3], 0 offset:264
	buffer_load_dword v16, off, s[0:3], 0 offset:268
	;; [unrolled: 1-line block ×4, first 2 shown]
	s_movk_i32 s16, 0x110
	s_waitcnt vmcnt(2)
	v_mul_f64 v[19:20], v[2:3], v[15:16]
	v_mul_f64 v[15:16], v[0:1], v[15:16]
	s_waitcnt vmcnt(0)
	v_fma_f64 v[0:1], v[0:1], v[17:18], -v[19:20]
	v_fma_f64 v[2:3], v[2:3], v[17:18], v[15:16]
	buffer_store_dword v0, off, s[0:3], 0 offset:256
	buffer_store_dword v1, off, s[0:3], 0 offset:260
	buffer_store_dword v2, off, s[0:3], 0 offset:264
	buffer_store_dword v3, off, s[0:3], 0 offset:268
.LBB124_422:                            ; =>This Inner Loop Header: Depth=1
	s_clause 0x3
	buffer_load_dword v19, off, s[0:3], 0 offset:264
	buffer_load_dword v20, off, s[0:3], 0 offset:268
	;; [unrolled: 1-line block ×4, first 2 shown]
	v_mov_b32_e32 v4, s16
	v_add_nc_u32_e32 v10, s16, v12
	s_add_i32 s16, s16, 32
	s_clause 0x3
	buffer_load_dword v23, v4, s[0:3], 0 offen
	buffer_load_dword v24, v4, s[0:3], 0 offen offset:4
	buffer_load_dword v25, v4, s[0:3], 0 offen offset:8
	;; [unrolled: 1-line block ×3, first 2 shown]
	ds_read2_b64 v[0:3], v10 offset1:1
	ds_read2_b64 v[15:18], v10 offset0:2 offset1:3
	s_cmpk_lg_i32 s16, 0x3f0
	s_waitcnt vmcnt(6) lgkmcnt(1)
	v_mul_f64 v[27:28], v[2:3], v[19:20]
	v_mul_f64 v[19:20], v[0:1], v[19:20]
	s_waitcnt vmcnt(4)
	v_fma_f64 v[0:1], v[0:1], v[21:22], -v[27:28]
	v_fma_f64 v[2:3], v[2:3], v[21:22], v[19:20]
	s_clause 0x3
	buffer_load_dword v19, v4, s[0:3], 0 offen offset:16
	buffer_load_dword v20, v4, s[0:3], 0 offen offset:20
	;; [unrolled: 1-line block ×4, first 2 shown]
	s_waitcnt vmcnt(6)
	v_add_f64 v[0:1], v[23:24], -v[0:1]
	s_waitcnt vmcnt(4)
	v_add_f64 v[2:3], v[25:26], -v[2:3]
	buffer_store_dword v1, v4, s[0:3], 0 offen offset:4
	buffer_store_dword v0, v4, s[0:3], 0 offen
	buffer_store_dword v3, v4, s[0:3], 0 offen offset:12
	buffer_store_dword v2, v4, s[0:3], 0 offen offset:8
	s_clause 0x3
	buffer_load_dword v1, off, s[0:3], 0 offset:268
	buffer_load_dword v0, off, s[0:3], 0 offset:264
	;; [unrolled: 1-line block ×4, first 2 shown]
	s_waitcnt vmcnt(2) lgkmcnt(0)
	v_mul_f64 v[23:24], v[17:18], v[0:1]
	v_mul_f64 v[0:1], v[15:16], v[0:1]
	s_waitcnt vmcnt(0)
	v_fma_f64 v[15:16], v[15:16], v[2:3], -v[23:24]
	v_fma_f64 v[0:1], v[17:18], v[2:3], v[0:1]
	v_add_f64 v[2:3], v[19:20], -v[15:16]
	v_add_f64 v[0:1], v[21:22], -v[0:1]
	buffer_store_dword v3, v4, s[0:3], 0 offen offset:20
	buffer_store_dword v2, v4, s[0:3], 0 offen offset:16
	;; [unrolled: 1-line block ×4, first 2 shown]
	s_cbranch_scc1 .LBB124_422
.LBB124_423:
	s_or_b32 exec_lo, exec_lo, s4
	v_mov_b32_e32 v3, s66
	s_waitcnt_vscnt null, 0x0
	s_barrier
	buffer_gl0_inv
	v_lshl_add_u32 v4, v11, 4, v12
	s_clause 0x3
	buffer_load_dword v0, v3, s[0:3], 0 offen
	buffer_load_dword v1, v3, s[0:3], 0 offen offset:4
	buffer_load_dword v2, v3, s[0:3], 0 offen offset:8
	;; [unrolled: 1-line block ×3, first 2 shown]
	s_cmp_lt_i32 s57, 19
	s_waitcnt vmcnt(0)
	ds_write2_b64 v4, v[0:1], v[2:3] offset1:1
	s_waitcnt lgkmcnt(0)
	s_barrier
	buffer_gl0_inv
	ds_read2_b64 v[0:3], v12 offset0:34 offset1:35
	v_mov_b32_e32 v4, 17
	s_cbranch_scc1 .LBB124_426
; %bb.424:
	v_add3_u32 v10, v14, 0, 0x120
	v_mov_b32_e32 v4, 17
	s_mov_b32 s16, 18
	s_inst_prefetch 0x1
	.p2align	6
.LBB124_425:                            ; =>This Inner Loop Header: Depth=1
	s_waitcnt lgkmcnt(0)
	v_cmp_gt_f64_e32 vcc_lo, 0, v[2:3]
	v_cmp_gt_f64_e64 s4, 0, v[0:1]
	ds_read2_b64 v[15:18], v10 offset1:1
	v_xor_b32_e32 v20, 0x80000000, v1
	v_xor_b32_e32 v22, 0x80000000, v3
	v_mov_b32_e32 v19, v0
	v_mov_b32_e32 v21, v2
	v_add_nc_u32_e32 v10, 16, v10
	s_waitcnt lgkmcnt(0)
	v_xor_b32_e32 v24, 0x80000000, v18
	v_cndmask_b32_e64 v20, v1, v20, s4
	v_cndmask_b32_e32 v22, v3, v22, vcc_lo
	v_cmp_gt_f64_e32 vcc_lo, 0, v[17:18]
	v_cmp_gt_f64_e64 s4, 0, v[15:16]
	v_mov_b32_e32 v23, v17
	v_add_f64 v[19:20], v[19:20], v[21:22]
	v_xor_b32_e32 v22, 0x80000000, v16
	v_mov_b32_e32 v21, v15
	v_cndmask_b32_e32 v24, v18, v24, vcc_lo
	v_cndmask_b32_e64 v22, v16, v22, s4
	v_add_f64 v[21:22], v[21:22], v[23:24]
	v_cmp_lt_f64_e32 vcc_lo, v[19:20], v[21:22]
	v_cndmask_b32_e32 v1, v1, v16, vcc_lo
	v_cndmask_b32_e32 v0, v0, v15, vcc_lo
	;; [unrolled: 1-line block ×4, first 2 shown]
	v_cndmask_b32_e64 v4, v4, s16, vcc_lo
	s_add_i32 s16, s16, 1
	s_cmp_lg_u32 s57, s16
	s_cbranch_scc1 .LBB124_425
.LBB124_426:
	s_inst_prefetch 0x2
	s_waitcnt lgkmcnt(0)
	v_cmp_eq_f64_e32 vcc_lo, 0, v[0:1]
	v_cmp_eq_f64_e64 s4, 0, v[2:3]
	s_and_b32 s4, vcc_lo, s4
	s_and_saveexec_b32 s16, s4
	s_xor_b32 s4, exec_lo, s16
; %bb.427:
	v_cmp_ne_u32_e32 vcc_lo, 0, v13
	v_cndmask_b32_e32 v13, 18, v13, vcc_lo
; %bb.428:
	s_andn2_saveexec_b32 s4, s4
	s_cbranch_execz .LBB124_434
; %bb.429:
	v_cmp_ngt_f64_e64 s16, |v[0:1]|, |v[2:3]|
	s_and_saveexec_b32 s17, s16
	s_xor_b32 s16, exec_lo, s17
	s_cbranch_execz .LBB124_431
; %bb.430:
	v_div_scale_f64 v[15:16], null, v[2:3], v[2:3], v[0:1]
	v_div_scale_f64 v[21:22], vcc_lo, v[0:1], v[2:3], v[0:1]
	v_rcp_f64_e32 v[17:18], v[15:16]
	v_fma_f64 v[19:20], -v[15:16], v[17:18], 1.0
	v_fma_f64 v[17:18], v[17:18], v[19:20], v[17:18]
	v_fma_f64 v[19:20], -v[15:16], v[17:18], 1.0
	v_fma_f64 v[17:18], v[17:18], v[19:20], v[17:18]
	v_mul_f64 v[19:20], v[21:22], v[17:18]
	v_fma_f64 v[15:16], -v[15:16], v[19:20], v[21:22]
	v_div_fmas_f64 v[15:16], v[15:16], v[17:18], v[19:20]
	v_div_fixup_f64 v[15:16], v[15:16], v[2:3], v[0:1]
	v_fma_f64 v[0:1], v[0:1], v[15:16], v[2:3]
	v_div_scale_f64 v[2:3], null, v[0:1], v[0:1], 1.0
	v_rcp_f64_e32 v[17:18], v[2:3]
	v_fma_f64 v[19:20], -v[2:3], v[17:18], 1.0
	v_fma_f64 v[17:18], v[17:18], v[19:20], v[17:18]
	v_fma_f64 v[19:20], -v[2:3], v[17:18], 1.0
	v_fma_f64 v[17:18], v[17:18], v[19:20], v[17:18]
	v_div_scale_f64 v[19:20], vcc_lo, 1.0, v[0:1], 1.0
	v_mul_f64 v[21:22], v[19:20], v[17:18]
	v_fma_f64 v[2:3], -v[2:3], v[21:22], v[19:20]
	v_div_fmas_f64 v[2:3], v[2:3], v[17:18], v[21:22]
	v_div_fixup_f64 v[2:3], v[2:3], v[0:1], 1.0
	v_mul_f64 v[0:1], v[15:16], v[2:3]
	v_xor_b32_e32 v3, 0x80000000, v3
.LBB124_431:
	s_andn2_saveexec_b32 s16, s16
	s_cbranch_execz .LBB124_433
; %bb.432:
	v_div_scale_f64 v[15:16], null, v[0:1], v[0:1], v[2:3]
	v_div_scale_f64 v[21:22], vcc_lo, v[2:3], v[0:1], v[2:3]
	v_rcp_f64_e32 v[17:18], v[15:16]
	v_fma_f64 v[19:20], -v[15:16], v[17:18], 1.0
	v_fma_f64 v[17:18], v[17:18], v[19:20], v[17:18]
	v_fma_f64 v[19:20], -v[15:16], v[17:18], 1.0
	v_fma_f64 v[17:18], v[17:18], v[19:20], v[17:18]
	v_mul_f64 v[19:20], v[21:22], v[17:18]
	v_fma_f64 v[15:16], -v[15:16], v[19:20], v[21:22]
	v_div_fmas_f64 v[15:16], v[15:16], v[17:18], v[19:20]
	v_div_fixup_f64 v[15:16], v[15:16], v[0:1], v[2:3]
	v_fma_f64 v[0:1], v[2:3], v[15:16], v[0:1]
	v_div_scale_f64 v[2:3], null, v[0:1], v[0:1], 1.0
	v_rcp_f64_e32 v[17:18], v[2:3]
	v_fma_f64 v[19:20], -v[2:3], v[17:18], 1.0
	v_fma_f64 v[17:18], v[17:18], v[19:20], v[17:18]
	v_fma_f64 v[19:20], -v[2:3], v[17:18], 1.0
	v_fma_f64 v[17:18], v[17:18], v[19:20], v[17:18]
	v_div_scale_f64 v[19:20], vcc_lo, 1.0, v[0:1], 1.0
	v_mul_f64 v[21:22], v[19:20], v[17:18]
	v_fma_f64 v[2:3], -v[2:3], v[21:22], v[19:20]
	v_div_fmas_f64 v[2:3], v[2:3], v[17:18], v[21:22]
	v_div_fixup_f64 v[0:1], v[2:3], v[0:1], 1.0
	v_mul_f64 v[2:3], v[15:16], -v[0:1]
.LBB124_433:
	s_or_b32 exec_lo, exec_lo, s16
.LBB124_434:
	s_or_b32 exec_lo, exec_lo, s4
	s_mov_b32 s4, exec_lo
	v_cmpx_ne_u32_e64 v11, v4
	s_xor_b32 s4, exec_lo, s4
	s_cbranch_execz .LBB124_440
; %bb.435:
	s_mov_b32 s16, exec_lo
	v_cmpx_eq_u32_e32 17, v11
	s_cbranch_execz .LBB124_439
; %bb.436:
	v_cmp_ne_u32_e32 vcc_lo, 17, v4
	s_xor_b32 s17, s20, -1
	s_and_b32 s56, s17, vcc_lo
	s_and_saveexec_b32 s17, s56
	s_cbranch_execz .LBB124_438
; %bb.437:
	v_ashrrev_i32_e32 v5, 31, v4
	v_lshlrev_b64 v[10:11], 2, v[4:5]
	v_add_co_u32 v10, vcc_lo, v8, v10
	v_add_co_ci_u32_e64 v11, null, v9, v11, vcc_lo
	s_clause 0x1
	global_load_dword v5, v[10:11], off
	global_load_dword v15, v[8:9], off offset:68
	s_waitcnt vmcnt(1)
	global_store_dword v[8:9], v5, off offset:68
	s_waitcnt vmcnt(0)
	global_store_dword v[10:11], v15, off
.LBB124_438:
	s_or_b32 exec_lo, exec_lo, s17
	v_mov_b32_e32 v11, v4
	v_mov_b32_e32 v5, v4
.LBB124_439:
	s_or_b32 exec_lo, exec_lo, s16
.LBB124_440:
	s_andn2_saveexec_b32 s4, s4
	s_cbranch_execz .LBB124_444
; %bb.441:
	s_movk_i32 s16, 0x120
.LBB124_442:                            ; =>This Inner Loop Header: Depth=1
	v_mov_b32_e32 v4, s16
	s_clause 0x3b
	buffer_load_dword v10, v4, s[0:3], 0 offen
	buffer_load_dword v11, v4, s[0:3], 0 offen offset:4
	buffer_load_dword v15, v4, s[0:3], 0 offen offset:8
	;; [unrolled: 1-line block ×59, first 2 shown]
	v_add_nc_u32_e32 v4, s16, v12
	s_addk_i32 s16, 0xf0
	s_waitcnt vmcnt(56)
	ds_write2_b64 v4, v[10:11], v[15:16] offset1:1
	s_waitcnt vmcnt(52)
	ds_write2_b64 v4, v[17:18], v[19:20] offset0:2 offset1:3
	s_waitcnt vmcnt(48)
	ds_write2_b64 v4, v[21:22], v[23:24] offset0:4 offset1:5
	;; [unrolled: 2-line block ×4, first 2 shown]
	ds_write2_b64 v4, v[33:34], v[31:32] offset0:10 offset1:11
	s_waitcnt vmcnt(28)
	ds_write2_b64 v4, v[43:44], v[37:38] offset0:12 offset1:13
	ds_write2_b64 v4, v[41:42], v[39:40] offset0:14 offset1:15
	s_waitcnt vmcnt(24)
	ds_write2_b64 v4, v[45:46], v[47:48] offset0:16 offset1:17
	s_waitcnt vmcnt(20)
	;; [unrolled: 2-line block ×7, first 2 shown]
	ds_write2_b64 v4, v[69:70], v[71:72] offset0:28 offset1:29
	s_cmpk_eq_i32 s16, 0x3f0
	s_cbranch_scc0 .LBB124_442
; %bb.443:
	v_mov_b32_e32 v11, 17
.LBB124_444:
	s_or_b32 exec_lo, exec_lo, s4
	s_mov_b32 s4, exec_lo
	s_waitcnt lgkmcnt(0)
	s_waitcnt_vscnt null, 0x0
	s_barrier
	buffer_gl0_inv
	v_cmpx_lt_i32_e32 17, v11
	s_cbranch_execz .LBB124_447
; %bb.445:
	s_clause 0x3
	buffer_load_dword v15, off, s[0:3], 0 offset:280
	buffer_load_dword v16, off, s[0:3], 0 offset:284
	;; [unrolled: 1-line block ×4, first 2 shown]
	s_movk_i32 s82, 0x120
	s_waitcnt vmcnt(2)
	v_mul_f64 v[19:20], v[2:3], v[15:16]
	v_mul_f64 v[15:16], v[0:1], v[15:16]
	s_waitcnt vmcnt(0)
	v_fma_f64 v[0:1], v[0:1], v[17:18], -v[19:20]
	v_fma_f64 v[2:3], v[2:3], v[17:18], v[15:16]
	buffer_store_dword v0, off, s[0:3], 0 offset:272
	buffer_store_dword v1, off, s[0:3], 0 offset:276
	;; [unrolled: 1-line block ×4, first 2 shown]
.LBB124_446:                            ; =>This Inner Loop Header: Depth=1
	s_clause 0x3
	buffer_load_dword v19, off, s[0:3], 0 offset:280
	buffer_load_dword v20, off, s[0:3], 0 offset:284
	;; [unrolled: 1-line block ×4, first 2 shown]
	v_mov_b32_e32 v4, s82
	v_add_nc_u32_e32 v10, s82, v12
	s_addk_i32 s82, 0x50
	s_clause 0x3
	buffer_load_dword v23, v4, s[0:3], 0 offen
	buffer_load_dword v24, v4, s[0:3], 0 offen offset:4
	buffer_load_dword v25, v4, s[0:3], 0 offen offset:8
	;; [unrolled: 1-line block ×3, first 2 shown]
	ds_read2_b64 v[0:3], v10 offset1:1
	ds_read2_b64 v[15:18], v10 offset0:2 offset1:3
	s_cmpk_lg_i32 s82, 0x3f0
	s_waitcnt vmcnt(6) lgkmcnt(1)
	v_mul_f64 v[27:28], v[2:3], v[19:20]
	v_mul_f64 v[19:20], v[0:1], v[19:20]
	s_waitcnt vmcnt(4)
	v_fma_f64 v[0:1], v[0:1], v[21:22], -v[27:28]
	v_fma_f64 v[2:3], v[2:3], v[21:22], v[19:20]
	s_clause 0x3
	buffer_load_dword v19, v4, s[0:3], 0 offen offset:16
	buffer_load_dword v20, v4, s[0:3], 0 offen offset:20
	buffer_load_dword v21, v4, s[0:3], 0 offen offset:24
	buffer_load_dword v22, v4, s[0:3], 0 offen offset:28
	s_waitcnt vmcnt(6)
	v_add_f64 v[0:1], v[23:24], -v[0:1]
	s_waitcnt vmcnt(4)
	v_add_f64 v[2:3], v[25:26], -v[2:3]
	buffer_store_dword v1, v4, s[0:3], 0 offen offset:4
	buffer_store_dword v0, v4, s[0:3], 0 offen
	buffer_store_dword v3, v4, s[0:3], 0 offen offset:12
	buffer_store_dword v2, v4, s[0:3], 0 offen offset:8
	s_clause 0x3
	buffer_load_dword v1, off, s[0:3], 0 offset:284
	buffer_load_dword v0, off, s[0:3], 0 offset:280
	;; [unrolled: 1-line block ×4, first 2 shown]
	s_waitcnt vmcnt(2) lgkmcnt(0)
	v_mul_f64 v[23:24], v[17:18], v[0:1]
	v_mul_f64 v[0:1], v[15:16], v[0:1]
	s_waitcnt vmcnt(0)
	v_fma_f64 v[15:16], v[15:16], v[2:3], -v[23:24]
	v_fma_f64 v[0:1], v[17:18], v[2:3], v[0:1]
	v_add_f64 v[2:3], v[19:20], -v[15:16]
	v_add_f64 v[0:1], v[21:22], -v[0:1]
	s_clause 0x3
	buffer_load_dword v19, v4, s[0:3], 0 offen offset:32
	buffer_load_dword v20, v4, s[0:3], 0 offen offset:36
	;; [unrolled: 1-line block ×4, first 2 shown]
	buffer_store_dword v3, v4, s[0:3], 0 offen offset:20
	buffer_store_dword v2, v4, s[0:3], 0 offen offset:16
	;; [unrolled: 1-line block ×4, first 2 shown]
	s_clause 0x3
	buffer_load_dword v23, off, s[0:3], 0 offset:280
	buffer_load_dword v24, off, s[0:3], 0 offset:284
	;; [unrolled: 1-line block ×4, first 2 shown]
	ds_read2_b64 v[0:3], v10 offset0:4 offset1:5
	ds_read2_b64 v[15:18], v10 offset0:6 offset1:7
	s_waitcnt vmcnt(2) lgkmcnt(1)
	v_mul_f64 v[27:28], v[2:3], v[23:24]
	v_mul_f64 v[23:24], v[0:1], v[23:24]
	s_waitcnt vmcnt(0)
	v_fma_f64 v[0:1], v[0:1], v[25:26], -v[27:28]
	v_fma_f64 v[2:3], v[2:3], v[25:26], v[23:24]
	v_add_f64 v[0:1], v[19:20], -v[0:1]
	v_add_f64 v[2:3], v[21:22], -v[2:3]
	buffer_store_dword v1, v4, s[0:3], 0 offen offset:36
	buffer_store_dword v0, v4, s[0:3], 0 offen offset:32
	;; [unrolled: 1-line block ×4, first 2 shown]
	s_clause 0x7
	buffer_load_dword v0, off, s[0:3], 0 offset:280
	buffer_load_dword v1, off, s[0:3], 0 offset:284
	;; [unrolled: 1-line block ×4, first 2 shown]
	buffer_load_dword v19, v4, s[0:3], 0 offen offset:48
	buffer_load_dword v20, v4, s[0:3], 0 offen offset:52
	;; [unrolled: 1-line block ×4, first 2 shown]
	s_waitcnt vmcnt(6) lgkmcnt(0)
	v_mul_f64 v[23:24], v[17:18], v[0:1]
	v_mul_f64 v[0:1], v[15:16], v[0:1]
	s_waitcnt vmcnt(4)
	v_fma_f64 v[15:16], v[15:16], v[2:3], -v[23:24]
	v_fma_f64 v[0:1], v[17:18], v[2:3], v[0:1]
	s_waitcnt vmcnt(2)
	v_add_f64 v[2:3], v[19:20], -v[15:16]
	s_waitcnt vmcnt(0)
	v_add_f64 v[0:1], v[21:22], -v[0:1]
	buffer_store_dword v3, v4, s[0:3], 0 offen offset:52
	buffer_store_dword v2, v4, s[0:3], 0 offen offset:48
	;; [unrolled: 1-line block ×4, first 2 shown]
	s_clause 0x7
	buffer_load_dword v15, off, s[0:3], 0 offset:280
	buffer_load_dword v16, off, s[0:3], 0 offset:284
	;; [unrolled: 1-line block ×4, first 2 shown]
	buffer_load_dword v19, v4, s[0:3], 0 offen offset:64
	buffer_load_dword v20, v4, s[0:3], 0 offen offset:68
	;; [unrolled: 1-line block ×4, first 2 shown]
	ds_read2_b64 v[0:3], v10 offset0:8 offset1:9
	s_waitcnt vmcnt(6) lgkmcnt(0)
	v_mul_f64 v[23:24], v[2:3], v[15:16]
	v_mul_f64 v[15:16], v[0:1], v[15:16]
	s_waitcnt vmcnt(4)
	v_fma_f64 v[0:1], v[0:1], v[17:18], -v[23:24]
	v_fma_f64 v[2:3], v[2:3], v[17:18], v[15:16]
	s_waitcnt vmcnt(2)
	v_add_f64 v[0:1], v[19:20], -v[0:1]
	s_waitcnt vmcnt(0)
	v_add_f64 v[2:3], v[21:22], -v[2:3]
	buffer_store_dword v1, v4, s[0:3], 0 offen offset:68
	buffer_store_dword v0, v4, s[0:3], 0 offen offset:64
	;; [unrolled: 1-line block ×4, first 2 shown]
	s_cbranch_scc1 .LBB124_446
.LBB124_447:
	s_or_b32 exec_lo, exec_lo, s4
	v_mov_b32_e32 v3, s65
	s_waitcnt_vscnt null, 0x0
	s_barrier
	buffer_gl0_inv
	v_lshl_add_u32 v4, v11, 4, v12
	s_clause 0x3
	buffer_load_dword v0, v3, s[0:3], 0 offen
	buffer_load_dword v1, v3, s[0:3], 0 offen offset:4
	buffer_load_dword v2, v3, s[0:3], 0 offen offset:8
	;; [unrolled: 1-line block ×3, first 2 shown]
	s_cmp_lt_i32 s57, 20
	s_waitcnt vmcnt(0)
	ds_write2_b64 v4, v[0:1], v[2:3] offset1:1
	s_waitcnt lgkmcnt(0)
	s_barrier
	buffer_gl0_inv
	ds_read2_b64 v[0:3], v12 offset0:36 offset1:37
	v_mov_b32_e32 v4, 18
	s_cbranch_scc1 .LBB124_450
; %bb.448:
	v_add3_u32 v10, v14, 0, 0x130
	v_mov_b32_e32 v4, 18
	s_mov_b32 s16, 19
	s_inst_prefetch 0x1
	.p2align	6
.LBB124_449:                            ; =>This Inner Loop Header: Depth=1
	s_waitcnt lgkmcnt(0)
	v_cmp_gt_f64_e32 vcc_lo, 0, v[2:3]
	v_cmp_gt_f64_e64 s4, 0, v[0:1]
	ds_read2_b64 v[15:18], v10 offset1:1
	v_xor_b32_e32 v20, 0x80000000, v1
	v_xor_b32_e32 v22, 0x80000000, v3
	v_mov_b32_e32 v19, v0
	v_mov_b32_e32 v21, v2
	v_add_nc_u32_e32 v10, 16, v10
	s_waitcnt lgkmcnt(0)
	v_xor_b32_e32 v24, 0x80000000, v18
	v_cndmask_b32_e64 v20, v1, v20, s4
	v_cndmask_b32_e32 v22, v3, v22, vcc_lo
	v_cmp_gt_f64_e32 vcc_lo, 0, v[17:18]
	v_cmp_gt_f64_e64 s4, 0, v[15:16]
	v_mov_b32_e32 v23, v17
	v_add_f64 v[19:20], v[19:20], v[21:22]
	v_xor_b32_e32 v22, 0x80000000, v16
	v_mov_b32_e32 v21, v15
	v_cndmask_b32_e32 v24, v18, v24, vcc_lo
	v_cndmask_b32_e64 v22, v16, v22, s4
	v_add_f64 v[21:22], v[21:22], v[23:24]
	v_cmp_lt_f64_e32 vcc_lo, v[19:20], v[21:22]
	v_cndmask_b32_e32 v1, v1, v16, vcc_lo
	v_cndmask_b32_e32 v0, v0, v15, vcc_lo
	;; [unrolled: 1-line block ×4, first 2 shown]
	v_cndmask_b32_e64 v4, v4, s16, vcc_lo
	s_add_i32 s16, s16, 1
	s_cmp_lg_u32 s57, s16
	s_cbranch_scc1 .LBB124_449
.LBB124_450:
	s_inst_prefetch 0x2
	s_waitcnt lgkmcnt(0)
	v_cmp_eq_f64_e32 vcc_lo, 0, v[0:1]
	v_cmp_eq_f64_e64 s4, 0, v[2:3]
	s_and_b32 s4, vcc_lo, s4
	s_and_saveexec_b32 s16, s4
	s_xor_b32 s4, exec_lo, s16
; %bb.451:
	v_cmp_ne_u32_e32 vcc_lo, 0, v13
	v_cndmask_b32_e32 v13, 19, v13, vcc_lo
; %bb.452:
	s_andn2_saveexec_b32 s4, s4
	s_cbranch_execz .LBB124_458
; %bb.453:
	v_cmp_ngt_f64_e64 s16, |v[0:1]|, |v[2:3]|
	s_and_saveexec_b32 s17, s16
	s_xor_b32 s16, exec_lo, s17
	s_cbranch_execz .LBB124_455
; %bb.454:
	v_div_scale_f64 v[15:16], null, v[2:3], v[2:3], v[0:1]
	v_div_scale_f64 v[21:22], vcc_lo, v[0:1], v[2:3], v[0:1]
	v_rcp_f64_e32 v[17:18], v[15:16]
	v_fma_f64 v[19:20], -v[15:16], v[17:18], 1.0
	v_fma_f64 v[17:18], v[17:18], v[19:20], v[17:18]
	v_fma_f64 v[19:20], -v[15:16], v[17:18], 1.0
	v_fma_f64 v[17:18], v[17:18], v[19:20], v[17:18]
	v_mul_f64 v[19:20], v[21:22], v[17:18]
	v_fma_f64 v[15:16], -v[15:16], v[19:20], v[21:22]
	v_div_fmas_f64 v[15:16], v[15:16], v[17:18], v[19:20]
	v_div_fixup_f64 v[15:16], v[15:16], v[2:3], v[0:1]
	v_fma_f64 v[0:1], v[0:1], v[15:16], v[2:3]
	v_div_scale_f64 v[2:3], null, v[0:1], v[0:1], 1.0
	v_rcp_f64_e32 v[17:18], v[2:3]
	v_fma_f64 v[19:20], -v[2:3], v[17:18], 1.0
	v_fma_f64 v[17:18], v[17:18], v[19:20], v[17:18]
	v_fma_f64 v[19:20], -v[2:3], v[17:18], 1.0
	v_fma_f64 v[17:18], v[17:18], v[19:20], v[17:18]
	v_div_scale_f64 v[19:20], vcc_lo, 1.0, v[0:1], 1.0
	v_mul_f64 v[21:22], v[19:20], v[17:18]
	v_fma_f64 v[2:3], -v[2:3], v[21:22], v[19:20]
	v_div_fmas_f64 v[2:3], v[2:3], v[17:18], v[21:22]
	v_div_fixup_f64 v[2:3], v[2:3], v[0:1], 1.0
	v_mul_f64 v[0:1], v[15:16], v[2:3]
	v_xor_b32_e32 v3, 0x80000000, v3
.LBB124_455:
	s_andn2_saveexec_b32 s16, s16
	s_cbranch_execz .LBB124_457
; %bb.456:
	v_div_scale_f64 v[15:16], null, v[0:1], v[0:1], v[2:3]
	v_div_scale_f64 v[21:22], vcc_lo, v[2:3], v[0:1], v[2:3]
	v_rcp_f64_e32 v[17:18], v[15:16]
	v_fma_f64 v[19:20], -v[15:16], v[17:18], 1.0
	v_fma_f64 v[17:18], v[17:18], v[19:20], v[17:18]
	v_fma_f64 v[19:20], -v[15:16], v[17:18], 1.0
	v_fma_f64 v[17:18], v[17:18], v[19:20], v[17:18]
	v_mul_f64 v[19:20], v[21:22], v[17:18]
	v_fma_f64 v[15:16], -v[15:16], v[19:20], v[21:22]
	v_div_fmas_f64 v[15:16], v[15:16], v[17:18], v[19:20]
	v_div_fixup_f64 v[15:16], v[15:16], v[0:1], v[2:3]
	v_fma_f64 v[0:1], v[2:3], v[15:16], v[0:1]
	v_div_scale_f64 v[2:3], null, v[0:1], v[0:1], 1.0
	v_rcp_f64_e32 v[17:18], v[2:3]
	v_fma_f64 v[19:20], -v[2:3], v[17:18], 1.0
	v_fma_f64 v[17:18], v[17:18], v[19:20], v[17:18]
	v_fma_f64 v[19:20], -v[2:3], v[17:18], 1.0
	v_fma_f64 v[17:18], v[17:18], v[19:20], v[17:18]
	v_div_scale_f64 v[19:20], vcc_lo, 1.0, v[0:1], 1.0
	v_mul_f64 v[21:22], v[19:20], v[17:18]
	v_fma_f64 v[2:3], -v[2:3], v[21:22], v[19:20]
	v_div_fmas_f64 v[2:3], v[2:3], v[17:18], v[21:22]
	v_div_fixup_f64 v[0:1], v[2:3], v[0:1], 1.0
	v_mul_f64 v[2:3], v[15:16], -v[0:1]
.LBB124_457:
	s_or_b32 exec_lo, exec_lo, s16
.LBB124_458:
	s_or_b32 exec_lo, exec_lo, s4
	s_mov_b32 s4, exec_lo
	v_cmpx_ne_u32_e64 v11, v4
	s_xor_b32 s4, exec_lo, s4
	s_cbranch_execz .LBB124_464
; %bb.459:
	s_mov_b32 s16, exec_lo
	v_cmpx_eq_u32_e32 18, v11
	s_cbranch_execz .LBB124_463
; %bb.460:
	v_cmp_ne_u32_e32 vcc_lo, 18, v4
	s_xor_b32 s17, s20, -1
	s_and_b32 s56, s17, vcc_lo
	s_and_saveexec_b32 s17, s56
	s_cbranch_execz .LBB124_462
; %bb.461:
	v_ashrrev_i32_e32 v5, 31, v4
	v_lshlrev_b64 v[10:11], 2, v[4:5]
	v_add_co_u32 v10, vcc_lo, v8, v10
	v_add_co_ci_u32_e64 v11, null, v9, v11, vcc_lo
	s_clause 0x1
	global_load_dword v5, v[10:11], off
	global_load_dword v15, v[8:9], off offset:72
	s_waitcnt vmcnt(1)
	global_store_dword v[8:9], v5, off offset:72
	s_waitcnt vmcnt(0)
	global_store_dword v[10:11], v15, off
.LBB124_462:
	s_or_b32 exec_lo, exec_lo, s17
	v_mov_b32_e32 v11, v4
	v_mov_b32_e32 v5, v4
.LBB124_463:
	s_or_b32 exec_lo, exec_lo, s16
.LBB124_464:
	s_andn2_saveexec_b32 s4, s4
	s_cbranch_execz .LBB124_468
; %bb.465:
	s_movk_i32 s16, 0x130
.LBB124_466:                            ; =>This Inner Loop Header: Depth=1
	v_mov_b32_e32 v4, s16
	s_clause 0x2b
	buffer_load_dword v10, v4, s[0:3], 0 offen
	buffer_load_dword v11, v4, s[0:3], 0 offen offset:4
	buffer_load_dword v15, v4, s[0:3], 0 offen offset:8
	buffer_load_dword v16, v4, s[0:3], 0 offen offset:12
	buffer_load_dword v17, v4, s[0:3], 0 offen offset:16
	buffer_load_dword v18, v4, s[0:3], 0 offen offset:20
	buffer_load_dword v19, v4, s[0:3], 0 offen offset:24
	buffer_load_dword v20, v4, s[0:3], 0 offen offset:28
	buffer_load_dword v21, v4, s[0:3], 0 offen offset:32
	buffer_load_dword v22, v4, s[0:3], 0 offen offset:36
	buffer_load_dword v23, v4, s[0:3], 0 offen offset:40
	buffer_load_dword v24, v4, s[0:3], 0 offen offset:44
	buffer_load_dword v25, v4, s[0:3], 0 offen offset:48
	buffer_load_dword v26, v4, s[0:3], 0 offen offset:52
	buffer_load_dword v27, v4, s[0:3], 0 offen offset:56
	buffer_load_dword v28, v4, s[0:3], 0 offen offset:60
	buffer_load_dword v30, v4, s[0:3], 0 offen offset:76
	buffer_load_dword v32, v4, s[0:3], 0 offen offset:92
	buffer_load_dword v31, v4, s[0:3], 0 offen offset:88
	buffer_load_dword v34, v4, s[0:3], 0 offen offset:84
	buffer_load_dword v33, v4, s[0:3], 0 offen offset:80
	buffer_load_dword v29, v4, s[0:3], 0 offen offset:72
	buffer_load_dword v36, v4, s[0:3], 0 offen offset:68
	buffer_load_dword v35, v4, s[0:3], 0 offen offset:64
	buffer_load_dword v38, v4, s[0:3], 0 offen offset:108
	buffer_load_dword v40, v4, s[0:3], 0 offen offset:124
	buffer_load_dword v39, v4, s[0:3], 0 offen offset:120
	buffer_load_dword v42, v4, s[0:3], 0 offen offset:116
	buffer_load_dword v41, v4, s[0:3], 0 offen offset:112
	buffer_load_dword v37, v4, s[0:3], 0 offen offset:104
	buffer_load_dword v44, v4, s[0:3], 0 offen offset:100
	buffer_load_dword v43, v4, s[0:3], 0 offen offset:96
	buffer_load_dword v45, v4, s[0:3], 0 offen offset:128
	buffer_load_dword v46, v4, s[0:3], 0 offen offset:132
	buffer_load_dword v47, v4, s[0:3], 0 offen offset:136
	buffer_load_dword v48, v4, s[0:3], 0 offen offset:140
	buffer_load_dword v49, v4, s[0:3], 0 offen offset:144
	buffer_load_dword v50, v4, s[0:3], 0 offen offset:148
	buffer_load_dword v51, v4, s[0:3], 0 offen offset:152
	buffer_load_dword v52, v4, s[0:3], 0 offen offset:156
	buffer_load_dword v53, v4, s[0:3], 0 offen offset:160
	buffer_load_dword v54, v4, s[0:3], 0 offen offset:164
	buffer_load_dword v55, v4, s[0:3], 0 offen offset:168
	buffer_load_dword v56, v4, s[0:3], 0 offen offset:172
	v_add_nc_u32_e32 v4, s16, v12
	s_addk_i32 s16, 0xb0
	s_waitcnt vmcnt(40)
	ds_write2_b64 v4, v[10:11], v[15:16] offset1:1
	s_waitcnt vmcnt(36)
	ds_write2_b64 v4, v[17:18], v[19:20] offset0:2 offset1:3
	s_waitcnt vmcnt(32)
	ds_write2_b64 v4, v[21:22], v[23:24] offset0:4 offset1:5
	;; [unrolled: 2-line block ×4, first 2 shown]
	ds_write2_b64 v4, v[33:34], v[31:32] offset0:10 offset1:11
	s_waitcnt vmcnt(12)
	ds_write2_b64 v4, v[43:44], v[37:38] offset0:12 offset1:13
	ds_write2_b64 v4, v[41:42], v[39:40] offset0:14 offset1:15
	s_waitcnt vmcnt(8)
	ds_write2_b64 v4, v[45:46], v[47:48] offset0:16 offset1:17
	s_waitcnt vmcnt(4)
	;; [unrolled: 2-line block ×3, first 2 shown]
	ds_write2_b64 v4, v[53:54], v[55:56] offset0:20 offset1:21
	s_cmpk_eq_i32 s16, 0x3f0
	s_cbranch_scc0 .LBB124_466
; %bb.467:
	v_mov_b32_e32 v11, 18
.LBB124_468:
	s_or_b32 exec_lo, exec_lo, s4
	s_mov_b32 s4, exec_lo
	s_waitcnt lgkmcnt(0)
	s_waitcnt_vscnt null, 0x0
	s_barrier
	buffer_gl0_inv
	v_cmpx_lt_i32_e32 18, v11
	s_cbranch_execz .LBB124_471
; %bb.469:
	s_clause 0x3
	buffer_load_dword v15, off, s[0:3], 0 offset:296
	buffer_load_dword v16, off, s[0:3], 0 offset:300
	;; [unrolled: 1-line block ×4, first 2 shown]
	s_movk_i32 s82, 0x130
	s_waitcnt vmcnt(2)
	v_mul_f64 v[19:20], v[2:3], v[15:16]
	v_mul_f64 v[15:16], v[0:1], v[15:16]
	s_waitcnt vmcnt(0)
	v_fma_f64 v[0:1], v[0:1], v[17:18], -v[19:20]
	v_fma_f64 v[2:3], v[2:3], v[17:18], v[15:16]
	buffer_store_dword v0, off, s[0:3], 0 offset:288
	buffer_store_dword v1, off, s[0:3], 0 offset:292
	buffer_store_dword v2, off, s[0:3], 0 offset:296
	buffer_store_dword v3, off, s[0:3], 0 offset:300
.LBB124_470:                            ; =>This Inner Loop Header: Depth=1
	s_clause 0x3
	buffer_load_dword v19, off, s[0:3], 0 offset:296
	buffer_load_dword v20, off, s[0:3], 0 offset:300
	;; [unrolled: 1-line block ×4, first 2 shown]
	v_mov_b32_e32 v4, s82
	v_add_nc_u32_e32 v10, s82, v12
	s_add_i32 s82, s82, 64
	s_clause 0x3
	buffer_load_dword v23, v4, s[0:3], 0 offen
	buffer_load_dword v24, v4, s[0:3], 0 offen offset:4
	buffer_load_dword v25, v4, s[0:3], 0 offen offset:8
	;; [unrolled: 1-line block ×3, first 2 shown]
	ds_read2_b64 v[0:3], v10 offset1:1
	ds_read2_b64 v[15:18], v10 offset0:2 offset1:3
	s_cmpk_lg_i32 s82, 0x3f0
	s_waitcnt vmcnt(6) lgkmcnt(1)
	v_mul_f64 v[27:28], v[2:3], v[19:20]
	v_mul_f64 v[19:20], v[0:1], v[19:20]
	s_waitcnt vmcnt(4)
	v_fma_f64 v[0:1], v[0:1], v[21:22], -v[27:28]
	v_fma_f64 v[2:3], v[2:3], v[21:22], v[19:20]
	s_clause 0x3
	buffer_load_dword v19, v4, s[0:3], 0 offen offset:16
	buffer_load_dword v20, v4, s[0:3], 0 offen offset:20
	;; [unrolled: 1-line block ×4, first 2 shown]
	s_waitcnt vmcnt(6)
	v_add_f64 v[0:1], v[23:24], -v[0:1]
	s_waitcnt vmcnt(4)
	v_add_f64 v[2:3], v[25:26], -v[2:3]
	buffer_store_dword v1, v4, s[0:3], 0 offen offset:4
	buffer_store_dword v0, v4, s[0:3], 0 offen
	buffer_store_dword v3, v4, s[0:3], 0 offen offset:12
	buffer_store_dword v2, v4, s[0:3], 0 offen offset:8
	s_clause 0x3
	buffer_load_dword v1, off, s[0:3], 0 offset:300
	buffer_load_dword v0, off, s[0:3], 0 offset:296
	buffer_load_dword v3, off, s[0:3], 0 offset:292
	buffer_load_dword v2, off, s[0:3], 0 offset:288
	s_waitcnt vmcnt(2) lgkmcnt(0)
	v_mul_f64 v[23:24], v[17:18], v[0:1]
	v_mul_f64 v[0:1], v[15:16], v[0:1]
	s_waitcnt vmcnt(0)
	v_fma_f64 v[15:16], v[15:16], v[2:3], -v[23:24]
	v_fma_f64 v[0:1], v[17:18], v[2:3], v[0:1]
	v_add_f64 v[2:3], v[19:20], -v[15:16]
	v_add_f64 v[0:1], v[21:22], -v[0:1]
	s_clause 0x3
	buffer_load_dword v19, v4, s[0:3], 0 offen offset:32
	buffer_load_dword v20, v4, s[0:3], 0 offen offset:36
	;; [unrolled: 1-line block ×4, first 2 shown]
	buffer_store_dword v3, v4, s[0:3], 0 offen offset:20
	buffer_store_dword v2, v4, s[0:3], 0 offen offset:16
	;; [unrolled: 1-line block ×4, first 2 shown]
	s_clause 0x3
	buffer_load_dword v23, off, s[0:3], 0 offset:296
	buffer_load_dword v24, off, s[0:3], 0 offset:300
	;; [unrolled: 1-line block ×4, first 2 shown]
	ds_read2_b64 v[0:3], v10 offset0:4 offset1:5
	ds_read2_b64 v[15:18], v10 offset0:6 offset1:7
	s_waitcnt vmcnt(2) lgkmcnt(1)
	v_mul_f64 v[27:28], v[2:3], v[23:24]
	v_mul_f64 v[23:24], v[0:1], v[23:24]
	s_waitcnt vmcnt(0)
	v_fma_f64 v[0:1], v[0:1], v[25:26], -v[27:28]
	v_fma_f64 v[2:3], v[2:3], v[25:26], v[23:24]
	v_add_f64 v[0:1], v[19:20], -v[0:1]
	v_add_f64 v[2:3], v[21:22], -v[2:3]
	buffer_store_dword v1, v4, s[0:3], 0 offen offset:36
	buffer_store_dword v0, v4, s[0:3], 0 offen offset:32
	;; [unrolled: 1-line block ×4, first 2 shown]
	s_clause 0x7
	buffer_load_dword v0, off, s[0:3], 0 offset:296
	buffer_load_dword v1, off, s[0:3], 0 offset:300
	;; [unrolled: 1-line block ×4, first 2 shown]
	buffer_load_dword v19, v4, s[0:3], 0 offen offset:48
	buffer_load_dword v20, v4, s[0:3], 0 offen offset:52
	;; [unrolled: 1-line block ×4, first 2 shown]
	s_waitcnt vmcnt(6) lgkmcnt(0)
	v_mul_f64 v[23:24], v[17:18], v[0:1]
	v_mul_f64 v[0:1], v[15:16], v[0:1]
	s_waitcnt vmcnt(4)
	v_fma_f64 v[15:16], v[15:16], v[2:3], -v[23:24]
	v_fma_f64 v[0:1], v[17:18], v[2:3], v[0:1]
	s_waitcnt vmcnt(2)
	v_add_f64 v[2:3], v[19:20], -v[15:16]
	s_waitcnt vmcnt(0)
	v_add_f64 v[0:1], v[21:22], -v[0:1]
	buffer_store_dword v3, v4, s[0:3], 0 offen offset:52
	buffer_store_dword v2, v4, s[0:3], 0 offen offset:48
	buffer_store_dword v1, v4, s[0:3], 0 offen offset:60
	buffer_store_dword v0, v4, s[0:3], 0 offen offset:56
	s_cbranch_scc1 .LBB124_470
.LBB124_471:
	s_or_b32 exec_lo, exec_lo, s4
	v_mov_b32_e32 v3, s64
	s_waitcnt_vscnt null, 0x0
	s_barrier
	buffer_gl0_inv
	v_lshl_add_u32 v4, v11, 4, v12
	s_clause 0x3
	buffer_load_dword v0, v3, s[0:3], 0 offen
	buffer_load_dword v1, v3, s[0:3], 0 offen offset:4
	buffer_load_dword v2, v3, s[0:3], 0 offen offset:8
	;; [unrolled: 1-line block ×3, first 2 shown]
	s_cmp_lt_i32 s57, 21
	s_waitcnt vmcnt(0)
	ds_write2_b64 v4, v[0:1], v[2:3] offset1:1
	s_waitcnt lgkmcnt(0)
	s_barrier
	buffer_gl0_inv
	ds_read2_b64 v[0:3], v12 offset0:38 offset1:39
	v_mov_b32_e32 v4, 19
	s_cbranch_scc1 .LBB124_474
; %bb.472:
	v_add3_u32 v10, v14, 0, 0x140
	v_mov_b32_e32 v4, 19
	s_mov_b32 s16, 20
	s_inst_prefetch 0x1
	.p2align	6
.LBB124_473:                            ; =>This Inner Loop Header: Depth=1
	s_waitcnt lgkmcnt(0)
	v_cmp_gt_f64_e32 vcc_lo, 0, v[2:3]
	v_cmp_gt_f64_e64 s4, 0, v[0:1]
	ds_read2_b64 v[15:18], v10 offset1:1
	v_xor_b32_e32 v20, 0x80000000, v1
	v_xor_b32_e32 v22, 0x80000000, v3
	v_mov_b32_e32 v19, v0
	v_mov_b32_e32 v21, v2
	v_add_nc_u32_e32 v10, 16, v10
	s_waitcnt lgkmcnt(0)
	v_xor_b32_e32 v24, 0x80000000, v18
	v_cndmask_b32_e64 v20, v1, v20, s4
	v_cndmask_b32_e32 v22, v3, v22, vcc_lo
	v_cmp_gt_f64_e32 vcc_lo, 0, v[17:18]
	v_cmp_gt_f64_e64 s4, 0, v[15:16]
	v_mov_b32_e32 v23, v17
	v_add_f64 v[19:20], v[19:20], v[21:22]
	v_xor_b32_e32 v22, 0x80000000, v16
	v_mov_b32_e32 v21, v15
	v_cndmask_b32_e32 v24, v18, v24, vcc_lo
	v_cndmask_b32_e64 v22, v16, v22, s4
	v_add_f64 v[21:22], v[21:22], v[23:24]
	v_cmp_lt_f64_e32 vcc_lo, v[19:20], v[21:22]
	v_cndmask_b32_e32 v1, v1, v16, vcc_lo
	v_cndmask_b32_e32 v0, v0, v15, vcc_lo
	;; [unrolled: 1-line block ×4, first 2 shown]
	v_cndmask_b32_e64 v4, v4, s16, vcc_lo
	s_add_i32 s16, s16, 1
	s_cmp_lg_u32 s57, s16
	s_cbranch_scc1 .LBB124_473
.LBB124_474:
	s_inst_prefetch 0x2
	s_waitcnt lgkmcnt(0)
	v_cmp_eq_f64_e32 vcc_lo, 0, v[0:1]
	v_cmp_eq_f64_e64 s4, 0, v[2:3]
	s_and_b32 s4, vcc_lo, s4
	s_and_saveexec_b32 s16, s4
	s_xor_b32 s4, exec_lo, s16
; %bb.475:
	v_cmp_ne_u32_e32 vcc_lo, 0, v13
	v_cndmask_b32_e32 v13, 20, v13, vcc_lo
; %bb.476:
	s_andn2_saveexec_b32 s4, s4
	s_cbranch_execz .LBB124_482
; %bb.477:
	v_cmp_ngt_f64_e64 s16, |v[0:1]|, |v[2:3]|
	s_and_saveexec_b32 s17, s16
	s_xor_b32 s16, exec_lo, s17
	s_cbranch_execz .LBB124_479
; %bb.478:
	v_div_scale_f64 v[15:16], null, v[2:3], v[2:3], v[0:1]
	v_div_scale_f64 v[21:22], vcc_lo, v[0:1], v[2:3], v[0:1]
	v_rcp_f64_e32 v[17:18], v[15:16]
	v_fma_f64 v[19:20], -v[15:16], v[17:18], 1.0
	v_fma_f64 v[17:18], v[17:18], v[19:20], v[17:18]
	v_fma_f64 v[19:20], -v[15:16], v[17:18], 1.0
	v_fma_f64 v[17:18], v[17:18], v[19:20], v[17:18]
	v_mul_f64 v[19:20], v[21:22], v[17:18]
	v_fma_f64 v[15:16], -v[15:16], v[19:20], v[21:22]
	v_div_fmas_f64 v[15:16], v[15:16], v[17:18], v[19:20]
	v_div_fixup_f64 v[15:16], v[15:16], v[2:3], v[0:1]
	v_fma_f64 v[0:1], v[0:1], v[15:16], v[2:3]
	v_div_scale_f64 v[2:3], null, v[0:1], v[0:1], 1.0
	v_rcp_f64_e32 v[17:18], v[2:3]
	v_fma_f64 v[19:20], -v[2:3], v[17:18], 1.0
	v_fma_f64 v[17:18], v[17:18], v[19:20], v[17:18]
	v_fma_f64 v[19:20], -v[2:3], v[17:18], 1.0
	v_fma_f64 v[17:18], v[17:18], v[19:20], v[17:18]
	v_div_scale_f64 v[19:20], vcc_lo, 1.0, v[0:1], 1.0
	v_mul_f64 v[21:22], v[19:20], v[17:18]
	v_fma_f64 v[2:3], -v[2:3], v[21:22], v[19:20]
	v_div_fmas_f64 v[2:3], v[2:3], v[17:18], v[21:22]
	v_div_fixup_f64 v[2:3], v[2:3], v[0:1], 1.0
	v_mul_f64 v[0:1], v[15:16], v[2:3]
	v_xor_b32_e32 v3, 0x80000000, v3
.LBB124_479:
	s_andn2_saveexec_b32 s16, s16
	s_cbranch_execz .LBB124_481
; %bb.480:
	v_div_scale_f64 v[15:16], null, v[0:1], v[0:1], v[2:3]
	v_div_scale_f64 v[21:22], vcc_lo, v[2:3], v[0:1], v[2:3]
	v_rcp_f64_e32 v[17:18], v[15:16]
	v_fma_f64 v[19:20], -v[15:16], v[17:18], 1.0
	v_fma_f64 v[17:18], v[17:18], v[19:20], v[17:18]
	v_fma_f64 v[19:20], -v[15:16], v[17:18], 1.0
	v_fma_f64 v[17:18], v[17:18], v[19:20], v[17:18]
	v_mul_f64 v[19:20], v[21:22], v[17:18]
	v_fma_f64 v[15:16], -v[15:16], v[19:20], v[21:22]
	v_div_fmas_f64 v[15:16], v[15:16], v[17:18], v[19:20]
	v_div_fixup_f64 v[15:16], v[15:16], v[0:1], v[2:3]
	v_fma_f64 v[0:1], v[2:3], v[15:16], v[0:1]
	v_div_scale_f64 v[2:3], null, v[0:1], v[0:1], 1.0
	v_rcp_f64_e32 v[17:18], v[2:3]
	v_fma_f64 v[19:20], -v[2:3], v[17:18], 1.0
	v_fma_f64 v[17:18], v[17:18], v[19:20], v[17:18]
	v_fma_f64 v[19:20], -v[2:3], v[17:18], 1.0
	v_fma_f64 v[17:18], v[17:18], v[19:20], v[17:18]
	v_div_scale_f64 v[19:20], vcc_lo, 1.0, v[0:1], 1.0
	v_mul_f64 v[21:22], v[19:20], v[17:18]
	v_fma_f64 v[2:3], -v[2:3], v[21:22], v[19:20]
	v_div_fmas_f64 v[2:3], v[2:3], v[17:18], v[21:22]
	v_div_fixup_f64 v[0:1], v[2:3], v[0:1], 1.0
	v_mul_f64 v[2:3], v[15:16], -v[0:1]
.LBB124_481:
	s_or_b32 exec_lo, exec_lo, s16
.LBB124_482:
	s_or_b32 exec_lo, exec_lo, s4
	s_mov_b32 s4, exec_lo
	v_cmpx_ne_u32_e64 v11, v4
	s_xor_b32 s4, exec_lo, s4
	s_cbranch_execz .LBB124_488
; %bb.483:
	s_mov_b32 s16, exec_lo
	v_cmpx_eq_u32_e32 19, v11
	s_cbranch_execz .LBB124_487
; %bb.484:
	v_cmp_ne_u32_e32 vcc_lo, 19, v4
	s_xor_b32 s17, s20, -1
	s_and_b32 s56, s17, vcc_lo
	s_and_saveexec_b32 s17, s56
	s_cbranch_execz .LBB124_486
; %bb.485:
	v_ashrrev_i32_e32 v5, 31, v4
	v_lshlrev_b64 v[10:11], 2, v[4:5]
	v_add_co_u32 v10, vcc_lo, v8, v10
	v_add_co_ci_u32_e64 v11, null, v9, v11, vcc_lo
	s_clause 0x1
	global_load_dword v5, v[10:11], off
	global_load_dword v15, v[8:9], off offset:76
	s_waitcnt vmcnt(1)
	global_store_dword v[8:9], v5, off offset:76
	s_waitcnt vmcnt(0)
	global_store_dword v[10:11], v15, off
.LBB124_486:
	s_or_b32 exec_lo, exec_lo, s17
	v_mov_b32_e32 v11, v4
	v_mov_b32_e32 v5, v4
.LBB124_487:
	s_or_b32 exec_lo, exec_lo, s16
.LBB124_488:
	s_andn2_saveexec_b32 s4, s4
	s_cbranch_execz .LBB124_494
; %bb.489:
	s_movk_i32 s16, 0x140
	s_branch .LBB124_491
.LBB124_490:                            ;   in Loop: Header=BB124_491 Depth=1
	s_andn2_b32 vcc_lo, exec_lo, s56
	s_cbranch_vccz .LBB124_493
.LBB124_491:                            ; =>This Inner Loop Header: Depth=1
	v_mov_b32_e32 v4, s16
	s_mov_b32 s17, s16
	s_mov_b32 s56, -1
	s_cmpk_eq_i32 s16, 0x3c0
	s_clause 0xb
	buffer_load_dword v10, v4, s[0:3], 0 offen
	buffer_load_dword v11, v4, s[0:3], 0 offen offset:4
	buffer_load_dword v15, v4, s[0:3], 0 offen offset:8
	buffer_load_dword v16, v4, s[0:3], 0 offen offset:12
	buffer_load_dword v17, v4, s[0:3], 0 offen offset:16
	buffer_load_dword v18, v4, s[0:3], 0 offen offset:20
	buffer_load_dword v19, v4, s[0:3], 0 offen offset:24
	buffer_load_dword v20, v4, s[0:3], 0 offen offset:28
	buffer_load_dword v21, v4, s[0:3], 0 offen offset:32
	buffer_load_dword v22, v4, s[0:3], 0 offen offset:36
	buffer_load_dword v23, v4, s[0:3], 0 offen offset:40
	buffer_load_dword v24, v4, s[0:3], 0 offen offset:44
	v_add_nc_u32_e32 v4, s16, v12
	s_waitcnt vmcnt(8)
	ds_write2_b64 v4, v[10:11], v[15:16] offset1:1
	s_waitcnt vmcnt(4)
	ds_write2_b64 v4, v[17:18], v[19:20] offset0:2 offset1:3
	s_waitcnt vmcnt(0)
	ds_write2_b64 v4, v[21:22], v[23:24] offset0:4 offset1:5
	s_cbranch_scc1 .LBB124_490
; %bb.492:                              ;   in Loop: Header=BB124_491 Depth=1
	v_mov_b32_e32 v31, s17
	s_addk_i32 s16, 0x80
	s_mov_b32 s56, 0
	s_clause 0x13
	buffer_load_dword v10, v31, s[0:3], 0 offen offset:48
	buffer_load_dword v11, v31, s[0:3], 0 offen offset:52
	;; [unrolled: 1-line block ×20, first 2 shown]
	s_waitcnt vmcnt(16)
	ds_write2_b64 v4, v[10:11], v[15:16] offset0:6 offset1:7
	s_waitcnt vmcnt(12)
	ds_write2_b64 v4, v[17:18], v[19:20] offset0:8 offset1:9
	;; [unrolled: 2-line block ×5, first 2 shown]
	s_branch .LBB124_490
.LBB124_493:
	v_mov_b32_e32 v11, 19
.LBB124_494:
	s_or_b32 exec_lo, exec_lo, s4
	s_mov_b32 s4, exec_lo
	s_waitcnt lgkmcnt(0)
	s_waitcnt_vscnt null, 0x0
	s_barrier
	buffer_gl0_inv
	v_cmpx_lt_i32_e32 19, v11
	s_cbranch_execz .LBB124_499
; %bb.495:
	s_clause 0x3
	buffer_load_dword v15, off, s[0:3], 0 offset:312
	buffer_load_dword v16, off, s[0:3], 0 offset:316
	;; [unrolled: 1-line block ×4, first 2 shown]
	s_movk_i32 s82, 0x140
	s_waitcnt vmcnt(2)
	v_mul_f64 v[19:20], v[2:3], v[15:16]
	v_mul_f64 v[15:16], v[0:1], v[15:16]
	s_waitcnt vmcnt(0)
	v_fma_f64 v[0:1], v[0:1], v[17:18], -v[19:20]
	v_fma_f64 v[2:3], v[2:3], v[17:18], v[15:16]
	buffer_store_dword v0, off, s[0:3], 0 offset:304
	buffer_store_dword v1, off, s[0:3], 0 offset:308
	;; [unrolled: 1-line block ×4, first 2 shown]
	s_branch .LBB124_497
.LBB124_496:                            ;   in Loop: Header=BB124_497 Depth=1
	s_andn2_b32 vcc_lo, exec_lo, s17
	s_cbranch_vccz .LBB124_499
.LBB124_497:                            ; =>This Inner Loop Header: Depth=1
	v_mov_b32_e32 v10, s82
	v_add_nc_u32_e32 v4, s82, v12
	s_mov_b32 s16, s82
	s_mov_b32 s17, -1
	s_cmpk_eq_i32 s82, 0x3c0
	s_clause 0x3
	buffer_load_dword v23, v10, s[0:3], 0 offen
	buffer_load_dword v24, v10, s[0:3], 0 offen offset:4
	buffer_load_dword v25, v10, s[0:3], 0 offen offset:8
	;; [unrolled: 1-line block ×3, first 2 shown]
	ds_read2_b64 v[15:18], v4 offset1:1
	ds_read2_b64 v[19:22], v4 offset0:2 offset1:3
	s_waitcnt vmcnt(5) lgkmcnt(1)
	v_mul_f64 v[27:28], v[17:18], v[2:3]
	v_mul_f64 v[2:3], v[15:16], v[2:3]
	s_waitcnt vmcnt(4)
	v_fma_f64 v[15:16], v[15:16], v[0:1], -v[27:28]
	v_fma_f64 v[0:1], v[17:18], v[0:1], v[2:3]
	s_clause 0x2
	buffer_load_dword v2, v10, s[0:3], 0 offen offset:20
	buffer_load_dword v17, v10, s[0:3], 0 offen offset:28
	;; [unrolled: 1-line block ×3, first 2 shown]
	s_waitcnt vmcnt(5)
	v_add_f64 v[15:16], v[23:24], -v[15:16]
	s_waitcnt vmcnt(3)
	v_add_f64 v[0:1], v[25:26], -v[0:1]
	buffer_store_dword v16, v10, s[0:3], 0 offen offset:4
	buffer_store_dword v15, v10, s[0:3], 0 offen
	buffer_store_dword v1, v10, s[0:3], 0 offen offset:12
	buffer_store_dword v0, v10, s[0:3], 0 offen offset:8
	s_clause 0x6
	buffer_load_dword v16, v10, s[0:3], 0 offen offset:24
	buffer_load_dword v23, v10, s[0:3], 0 offen offset:36
	buffer_load_dword v25, off, s[0:3], 0 offset:316
	buffer_load_dword v24, off, s[0:3], 0 offset:312
	;; [unrolled: 1-line block ×4, first 2 shown]
	buffer_load_dword v1, v10, s[0:3], 0 offen offset:16
	s_waitcnt vmcnt(3) lgkmcnt(0)
	v_mul_f64 v[28:29], v[21:22], v[24:25]
	v_mul_f64 v[24:25], v[19:20], v[24:25]
	s_waitcnt vmcnt(1)
	v_fma_f64 v[19:20], v[19:20], v[26:27], -v[28:29]
	v_fma_f64 v[21:22], v[21:22], v[26:27], v[24:25]
	s_waitcnt vmcnt(0)
	v_add_f64 v[0:1], v[1:2], -v[19:20]
	v_add_f64 v[2:3], v[16:17], -v[21:22]
	buffer_store_dword v1, v10, s[0:3], 0 offen offset:20
	buffer_store_dword v0, v10, s[0:3], 0 offen offset:16
	;; [unrolled: 1-line block ×4, first 2 shown]
	s_clause 0x5
	buffer_load_dword v19, v10, s[0:3], 0 offen offset:44
	buffer_load_dword v15, off, s[0:3], 0 offset:312
	buffer_load_dword v16, off, s[0:3], 0 offset:316
	buffer_load_dword v20, off, s[0:3], 0 offset:304
	buffer_load_dword v21, off, s[0:3], 0 offset:308
	buffer_load_dword v22, v10, s[0:3], 0 offen offset:32
	ds_read2_b64 v[0:3], v4 offset0:4 offset1:5
	s_waitcnt vmcnt(3) lgkmcnt(0)
	v_mul_f64 v[24:25], v[2:3], v[15:16]
	v_mul_f64 v[15:16], v[0:1], v[15:16]
	s_waitcnt vmcnt(1)
	v_fma_f64 v[0:1], v[0:1], v[20:21], -v[24:25]
	v_fma_f64 v[2:3], v[2:3], v[20:21], v[15:16]
	s_waitcnt vmcnt(0)
	v_add_f64 v[0:1], v[22:23], -v[0:1]
	v_add_f64 v[2:3], v[18:19], -v[2:3]
	buffer_store_dword v1, v10, s[0:3], 0 offen offset:36
	buffer_store_dword v0, v10, s[0:3], 0 offen offset:32
	;; [unrolled: 1-line block ×4, first 2 shown]
                                        ; implicit-def: $vgpr0_vgpr1
                                        ; implicit-def: $vgpr2_vgpr3
	s_cbranch_scc1 .LBB124_496
; %bb.498:                              ;   in Loop: Header=BB124_497 Depth=1
	s_clause 0x3
	buffer_load_dword v15, off, s[0:3], 0 offset:312
	buffer_load_dword v16, off, s[0:3], 0 offset:316
	;; [unrolled: 1-line block ×4, first 2 shown]
	v_mov_b32_e32 v10, s16
	s_add_i32 s82, s82, 64
	s_mov_b32 s17, 0
	s_clause 0x3
	buffer_load_dword v19, v10, s[0:3], 0 offen offset:48
	buffer_load_dword v20, v10, s[0:3], 0 offen offset:52
	;; [unrolled: 1-line block ×4, first 2 shown]
	ds_read2_b64 v[0:3], v4 offset0:6 offset1:7
	s_waitcnt vmcnt(6) lgkmcnt(0)
	v_mul_f64 v[23:24], v[2:3], v[15:16]
	v_mul_f64 v[15:16], v[0:1], v[15:16]
	s_waitcnt vmcnt(4)
	v_fma_f64 v[0:1], v[0:1], v[17:18], -v[23:24]
	v_fma_f64 v[2:3], v[2:3], v[17:18], v[15:16]
	s_waitcnt vmcnt(2)
	v_add_f64 v[0:1], v[19:20], -v[0:1]
	s_waitcnt vmcnt(0)
	v_add_f64 v[2:3], v[21:22], -v[2:3]
	buffer_store_dword v1, v10, s[0:3], 0 offen offset:52
	buffer_store_dword v0, v10, s[0:3], 0 offen offset:48
	;; [unrolled: 1-line block ×4, first 2 shown]
	s_clause 0x3
	buffer_load_dword v1, off, s[0:3], 0 offset:308
	buffer_load_dword v3, off, s[0:3], 0 offset:316
	;; [unrolled: 1-line block ×4, first 2 shown]
	s_branch .LBB124_496
.LBB124_499:
	s_or_b32 exec_lo, exec_lo, s4
	s_waitcnt vmcnt(2)
	v_mov_b32_e32 v3, s63
	s_waitcnt vmcnt(0)
	s_waitcnt_vscnt null, 0x0
	s_barrier
	buffer_gl0_inv
	v_lshl_add_u32 v4, v11, 4, v12
	s_clause 0x3
	buffer_load_dword v0, v3, s[0:3], 0 offen
	buffer_load_dword v1, v3, s[0:3], 0 offen offset:4
	buffer_load_dword v2, v3, s[0:3], 0 offen offset:8
	buffer_load_dword v3, v3, s[0:3], 0 offen offset:12
	s_cmp_lt_i32 s57, 22
	s_waitcnt vmcnt(0)
	ds_write2_b64 v4, v[0:1], v[2:3] offset1:1
	s_waitcnt lgkmcnt(0)
	s_barrier
	buffer_gl0_inv
	ds_read2_b64 v[0:3], v12 offset0:40 offset1:41
	v_mov_b32_e32 v4, 20
	s_cbranch_scc1 .LBB124_502
; %bb.500:
	v_add3_u32 v10, v14, 0, 0x150
	v_mov_b32_e32 v4, 20
	s_mov_b32 s16, 21
	s_inst_prefetch 0x1
	.p2align	6
.LBB124_501:                            ; =>This Inner Loop Header: Depth=1
	s_waitcnt lgkmcnt(0)
	v_cmp_gt_f64_e32 vcc_lo, 0, v[2:3]
	v_cmp_gt_f64_e64 s4, 0, v[0:1]
	ds_read2_b64 v[15:18], v10 offset1:1
	v_xor_b32_e32 v20, 0x80000000, v1
	v_xor_b32_e32 v22, 0x80000000, v3
	v_mov_b32_e32 v19, v0
	v_mov_b32_e32 v21, v2
	v_add_nc_u32_e32 v10, 16, v10
	s_waitcnt lgkmcnt(0)
	v_xor_b32_e32 v24, 0x80000000, v18
	v_cndmask_b32_e64 v20, v1, v20, s4
	v_cndmask_b32_e32 v22, v3, v22, vcc_lo
	v_cmp_gt_f64_e32 vcc_lo, 0, v[17:18]
	v_cmp_gt_f64_e64 s4, 0, v[15:16]
	v_mov_b32_e32 v23, v17
	v_add_f64 v[19:20], v[19:20], v[21:22]
	v_xor_b32_e32 v22, 0x80000000, v16
	v_mov_b32_e32 v21, v15
	v_cndmask_b32_e32 v24, v18, v24, vcc_lo
	v_cndmask_b32_e64 v22, v16, v22, s4
	v_add_f64 v[21:22], v[21:22], v[23:24]
	v_cmp_lt_f64_e32 vcc_lo, v[19:20], v[21:22]
	v_cndmask_b32_e32 v1, v1, v16, vcc_lo
	v_cndmask_b32_e32 v0, v0, v15, vcc_lo
	;; [unrolled: 1-line block ×4, first 2 shown]
	v_cndmask_b32_e64 v4, v4, s16, vcc_lo
	s_add_i32 s16, s16, 1
	s_cmp_lg_u32 s57, s16
	s_cbranch_scc1 .LBB124_501
.LBB124_502:
	s_inst_prefetch 0x2
	s_waitcnt lgkmcnt(0)
	v_cmp_eq_f64_e32 vcc_lo, 0, v[0:1]
	v_cmp_eq_f64_e64 s4, 0, v[2:3]
	s_and_b32 s4, vcc_lo, s4
	s_and_saveexec_b32 s16, s4
	s_xor_b32 s4, exec_lo, s16
; %bb.503:
	v_cmp_ne_u32_e32 vcc_lo, 0, v13
	v_cndmask_b32_e32 v13, 21, v13, vcc_lo
; %bb.504:
	s_andn2_saveexec_b32 s4, s4
	s_cbranch_execz .LBB124_510
; %bb.505:
	v_cmp_ngt_f64_e64 s16, |v[0:1]|, |v[2:3]|
	s_and_saveexec_b32 s17, s16
	s_xor_b32 s16, exec_lo, s17
	s_cbranch_execz .LBB124_507
; %bb.506:
	v_div_scale_f64 v[15:16], null, v[2:3], v[2:3], v[0:1]
	v_div_scale_f64 v[21:22], vcc_lo, v[0:1], v[2:3], v[0:1]
	v_rcp_f64_e32 v[17:18], v[15:16]
	v_fma_f64 v[19:20], -v[15:16], v[17:18], 1.0
	v_fma_f64 v[17:18], v[17:18], v[19:20], v[17:18]
	v_fma_f64 v[19:20], -v[15:16], v[17:18], 1.0
	v_fma_f64 v[17:18], v[17:18], v[19:20], v[17:18]
	v_mul_f64 v[19:20], v[21:22], v[17:18]
	v_fma_f64 v[15:16], -v[15:16], v[19:20], v[21:22]
	v_div_fmas_f64 v[15:16], v[15:16], v[17:18], v[19:20]
	v_div_fixup_f64 v[15:16], v[15:16], v[2:3], v[0:1]
	v_fma_f64 v[0:1], v[0:1], v[15:16], v[2:3]
	v_div_scale_f64 v[2:3], null, v[0:1], v[0:1], 1.0
	v_rcp_f64_e32 v[17:18], v[2:3]
	v_fma_f64 v[19:20], -v[2:3], v[17:18], 1.0
	v_fma_f64 v[17:18], v[17:18], v[19:20], v[17:18]
	v_fma_f64 v[19:20], -v[2:3], v[17:18], 1.0
	v_fma_f64 v[17:18], v[17:18], v[19:20], v[17:18]
	v_div_scale_f64 v[19:20], vcc_lo, 1.0, v[0:1], 1.0
	v_mul_f64 v[21:22], v[19:20], v[17:18]
	v_fma_f64 v[2:3], -v[2:3], v[21:22], v[19:20]
	v_div_fmas_f64 v[2:3], v[2:3], v[17:18], v[21:22]
	v_div_fixup_f64 v[2:3], v[2:3], v[0:1], 1.0
	v_mul_f64 v[0:1], v[15:16], v[2:3]
	v_xor_b32_e32 v3, 0x80000000, v3
.LBB124_507:
	s_andn2_saveexec_b32 s16, s16
	s_cbranch_execz .LBB124_509
; %bb.508:
	v_div_scale_f64 v[15:16], null, v[0:1], v[0:1], v[2:3]
	v_div_scale_f64 v[21:22], vcc_lo, v[2:3], v[0:1], v[2:3]
	v_rcp_f64_e32 v[17:18], v[15:16]
	v_fma_f64 v[19:20], -v[15:16], v[17:18], 1.0
	v_fma_f64 v[17:18], v[17:18], v[19:20], v[17:18]
	v_fma_f64 v[19:20], -v[15:16], v[17:18], 1.0
	v_fma_f64 v[17:18], v[17:18], v[19:20], v[17:18]
	v_mul_f64 v[19:20], v[21:22], v[17:18]
	v_fma_f64 v[15:16], -v[15:16], v[19:20], v[21:22]
	v_div_fmas_f64 v[15:16], v[15:16], v[17:18], v[19:20]
	v_div_fixup_f64 v[15:16], v[15:16], v[0:1], v[2:3]
	v_fma_f64 v[0:1], v[2:3], v[15:16], v[0:1]
	v_div_scale_f64 v[2:3], null, v[0:1], v[0:1], 1.0
	v_rcp_f64_e32 v[17:18], v[2:3]
	v_fma_f64 v[19:20], -v[2:3], v[17:18], 1.0
	v_fma_f64 v[17:18], v[17:18], v[19:20], v[17:18]
	v_fma_f64 v[19:20], -v[2:3], v[17:18], 1.0
	v_fma_f64 v[17:18], v[17:18], v[19:20], v[17:18]
	v_div_scale_f64 v[19:20], vcc_lo, 1.0, v[0:1], 1.0
	v_mul_f64 v[21:22], v[19:20], v[17:18]
	v_fma_f64 v[2:3], -v[2:3], v[21:22], v[19:20]
	v_div_fmas_f64 v[2:3], v[2:3], v[17:18], v[21:22]
	v_div_fixup_f64 v[0:1], v[2:3], v[0:1], 1.0
	v_mul_f64 v[2:3], v[15:16], -v[0:1]
.LBB124_509:
	s_or_b32 exec_lo, exec_lo, s16
.LBB124_510:
	s_or_b32 exec_lo, exec_lo, s4
	s_mov_b32 s4, exec_lo
	v_cmpx_ne_u32_e64 v11, v4
	s_xor_b32 s4, exec_lo, s4
	s_cbranch_execz .LBB124_516
; %bb.511:
	s_mov_b32 s16, exec_lo
	v_cmpx_eq_u32_e32 20, v11
	s_cbranch_execz .LBB124_515
; %bb.512:
	v_cmp_ne_u32_e32 vcc_lo, 20, v4
	s_xor_b32 s17, s20, -1
	s_and_b32 s56, s17, vcc_lo
	s_and_saveexec_b32 s17, s56
	s_cbranch_execz .LBB124_514
; %bb.513:
	v_ashrrev_i32_e32 v5, 31, v4
	v_lshlrev_b64 v[10:11], 2, v[4:5]
	v_add_co_u32 v10, vcc_lo, v8, v10
	v_add_co_ci_u32_e64 v11, null, v9, v11, vcc_lo
	s_clause 0x1
	global_load_dword v5, v[10:11], off
	global_load_dword v15, v[8:9], off offset:80
	s_waitcnt vmcnt(1)
	global_store_dword v[8:9], v5, off offset:80
	s_waitcnt vmcnt(0)
	global_store_dword v[10:11], v15, off
.LBB124_514:
	s_or_b32 exec_lo, exec_lo, s17
	v_mov_b32_e32 v11, v4
	v_mov_b32_e32 v5, v4
.LBB124_515:
	s_or_b32 exec_lo, exec_lo, s16
.LBB124_516:
	s_andn2_saveexec_b32 s4, s4
	s_cbranch_execz .LBB124_520
; %bb.517:
	s_movk_i32 s16, 0x150
.LBB124_518:                            ; =>This Inner Loop Header: Depth=1
	v_mov_b32_e32 v4, s16
	s_clause 0x37
	buffer_load_dword v10, v4, s[0:3], 0 offen
	buffer_load_dword v11, v4, s[0:3], 0 offen offset:4
	buffer_load_dword v15, v4, s[0:3], 0 offen offset:8
	;; [unrolled: 1-line block ×55, first 2 shown]
	v_add_nc_u32_e32 v4, s16, v12
	s_addk_i32 s16, 0xe0
	s_waitcnt vmcnt(52)
	ds_write2_b64 v4, v[10:11], v[15:16] offset1:1
	s_waitcnt vmcnt(48)
	ds_write2_b64 v4, v[17:18], v[19:20] offset0:2 offset1:3
	s_waitcnt vmcnt(44)
	ds_write2_b64 v4, v[21:22], v[23:24] offset0:4 offset1:5
	;; [unrolled: 2-line block ×4, first 2 shown]
	ds_write2_b64 v4, v[33:34], v[31:32] offset0:10 offset1:11
	s_waitcnt vmcnt(24)
	ds_write2_b64 v4, v[43:44], v[37:38] offset0:12 offset1:13
	ds_write2_b64 v4, v[41:42], v[39:40] offset0:14 offset1:15
	s_waitcnt vmcnt(20)
	ds_write2_b64 v4, v[45:46], v[47:48] offset0:16 offset1:17
	s_waitcnt vmcnt(16)
	ds_write2_b64 v4, v[49:50], v[51:52] offset0:18 offset1:19
	s_waitcnt vmcnt(12)
	ds_write2_b64 v4, v[53:54], v[55:56] offset0:20 offset1:21
	s_waitcnt vmcnt(8)
	ds_write2_b64 v4, v[57:58], v[59:60] offset0:22 offset1:23
	s_waitcnt vmcnt(4)
	ds_write2_b64 v4, v[61:62], v[63:64] offset0:24 offset1:25
	s_waitcnt vmcnt(0)
	ds_write2_b64 v4, v[65:66], v[67:68] offset0:26 offset1:27
	s_cmpk_eq_i32 s16, 0x3f0
	s_cbranch_scc0 .LBB124_518
; %bb.519:
	v_mov_b32_e32 v11, 20
.LBB124_520:
	s_or_b32 exec_lo, exec_lo, s4
	s_mov_b32 s4, exec_lo
	s_waitcnt lgkmcnt(0)
	s_waitcnt_vscnt null, 0x0
	s_barrier
	buffer_gl0_inv
	v_cmpx_lt_i32_e32 20, v11
	s_cbranch_execz .LBB124_523
; %bb.521:
	s_clause 0x3
	buffer_load_dword v15, off, s[0:3], 0 offset:328
	buffer_load_dword v16, off, s[0:3], 0 offset:332
	;; [unrolled: 1-line block ×4, first 2 shown]
	s_movk_i32 s82, 0x150
	s_waitcnt vmcnt(2)
	v_mul_f64 v[19:20], v[2:3], v[15:16]
	v_mul_f64 v[15:16], v[0:1], v[15:16]
	s_waitcnt vmcnt(0)
	v_fma_f64 v[0:1], v[0:1], v[17:18], -v[19:20]
	v_fma_f64 v[2:3], v[2:3], v[17:18], v[15:16]
	buffer_store_dword v0, off, s[0:3], 0 offset:320
	buffer_store_dword v1, off, s[0:3], 0 offset:324
	;; [unrolled: 1-line block ×4, first 2 shown]
.LBB124_522:                            ; =>This Inner Loop Header: Depth=1
	s_clause 0x3
	buffer_load_dword v19, off, s[0:3], 0 offset:328
	buffer_load_dword v20, off, s[0:3], 0 offset:332
	;; [unrolled: 1-line block ×4, first 2 shown]
	v_mov_b32_e32 v4, s82
	v_add_nc_u32_e32 v10, s82, v12
	s_addk_i32 s82, 0x70
	s_clause 0x3
	buffer_load_dword v23, v4, s[0:3], 0 offen
	buffer_load_dword v24, v4, s[0:3], 0 offen offset:4
	buffer_load_dword v25, v4, s[0:3], 0 offen offset:8
	;; [unrolled: 1-line block ×3, first 2 shown]
	ds_read2_b64 v[0:3], v10 offset1:1
	s_clause 0x3
	buffer_load_dword v27, v4, s[0:3], 0 offen offset:16
	buffer_load_dword v28, v4, s[0:3], 0 offen offset:20
	;; [unrolled: 1-line block ×4, first 2 shown]
	ds_read2_b64 v[15:18], v10 offset0:2 offset1:3
	s_cmpk_lg_i32 s82, 0x3f0
	s_waitcnt vmcnt(10) lgkmcnt(1)
	v_mul_f64 v[31:32], v[2:3], v[19:20]
	v_mul_f64 v[19:20], v[0:1], v[19:20]
	s_waitcnt vmcnt(8)
	v_fma_f64 v[0:1], v[0:1], v[21:22], -v[31:32]
	v_fma_f64 v[2:3], v[2:3], v[21:22], v[19:20]
	s_waitcnt vmcnt(6)
	v_add_f64 v[0:1], v[23:24], -v[0:1]
	s_waitcnt vmcnt(4)
	v_add_f64 v[2:3], v[25:26], -v[2:3]
	buffer_store_dword v1, v4, s[0:3], 0 offen offset:4
	buffer_store_dword v0, v4, s[0:3], 0 offen
	buffer_store_dword v3, v4, s[0:3], 0 offen offset:12
	buffer_store_dword v2, v4, s[0:3], 0 offen offset:8
	s_clause 0x7
	buffer_load_dword v1, off, s[0:3], 0 offset:332
	buffer_load_dword v0, off, s[0:3], 0 offset:328
	;; [unrolled: 1-line block ×4, first 2 shown]
	buffer_load_dword v19, v4, s[0:3], 0 offen offset:32
	buffer_load_dword v20, v4, s[0:3], 0 offen offset:36
	;; [unrolled: 1-line block ×4, first 2 shown]
	s_waitcnt vmcnt(6) lgkmcnt(0)
	v_mul_f64 v[23:24], v[17:18], v[0:1]
	v_mul_f64 v[0:1], v[15:16], v[0:1]
	s_waitcnt vmcnt(4)
	v_fma_f64 v[15:16], v[15:16], v[2:3], -v[23:24]
	v_fma_f64 v[0:1], v[17:18], v[2:3], v[0:1]
	v_add_f64 v[2:3], v[27:28], -v[15:16]
	v_add_f64 v[0:1], v[29:30], -v[0:1]
	buffer_store_dword v3, v4, s[0:3], 0 offen offset:20
	buffer_store_dword v2, v4, s[0:3], 0 offen offset:16
	;; [unrolled: 1-line block ×4, first 2 shown]
	s_clause 0x3
	buffer_load_dword v23, off, s[0:3], 0 offset:328
	buffer_load_dword v24, off, s[0:3], 0 offset:332
	;; [unrolled: 1-line block ×4, first 2 shown]
	ds_read2_b64 v[0:3], v10 offset0:4 offset1:5
	ds_read2_b64 v[15:18], v10 offset0:6 offset1:7
	s_waitcnt vmcnt(2) lgkmcnt(1)
	v_mul_f64 v[27:28], v[2:3], v[23:24]
	v_mul_f64 v[23:24], v[0:1], v[23:24]
	s_waitcnt vmcnt(0)
	v_fma_f64 v[0:1], v[0:1], v[25:26], -v[27:28]
	v_fma_f64 v[2:3], v[2:3], v[25:26], v[23:24]
	v_add_f64 v[0:1], v[19:20], -v[0:1]
	v_add_f64 v[2:3], v[21:22], -v[2:3]
	buffer_store_dword v1, v4, s[0:3], 0 offen offset:36
	buffer_store_dword v0, v4, s[0:3], 0 offen offset:32
	;; [unrolled: 1-line block ×4, first 2 shown]
	s_clause 0x7
	buffer_load_dword v0, off, s[0:3], 0 offset:328
	buffer_load_dword v1, off, s[0:3], 0 offset:332
	;; [unrolled: 1-line block ×4, first 2 shown]
	buffer_load_dword v19, v4, s[0:3], 0 offen offset:48
	buffer_load_dword v20, v4, s[0:3], 0 offen offset:52
	;; [unrolled: 1-line block ×4, first 2 shown]
	s_waitcnt vmcnt(6) lgkmcnt(0)
	v_mul_f64 v[23:24], v[17:18], v[0:1]
	v_mul_f64 v[0:1], v[15:16], v[0:1]
	s_waitcnt vmcnt(4)
	v_fma_f64 v[15:16], v[15:16], v[2:3], -v[23:24]
	v_fma_f64 v[0:1], v[17:18], v[2:3], v[0:1]
	s_waitcnt vmcnt(2)
	v_add_f64 v[2:3], v[19:20], -v[15:16]
	s_waitcnt vmcnt(0)
	v_add_f64 v[0:1], v[21:22], -v[0:1]
	buffer_store_dword v3, v4, s[0:3], 0 offen offset:52
	buffer_store_dword v2, v4, s[0:3], 0 offen offset:48
	;; [unrolled: 1-line block ×4, first 2 shown]
	s_clause 0x7
	buffer_load_dword v19, off, s[0:3], 0 offset:328
	buffer_load_dword v20, off, s[0:3], 0 offset:332
	;; [unrolled: 1-line block ×4, first 2 shown]
	buffer_load_dword v23, v4, s[0:3], 0 offen offset:64
	buffer_load_dword v24, v4, s[0:3], 0 offen offset:68
	;; [unrolled: 1-line block ×4, first 2 shown]
	ds_read2_b64 v[0:3], v10 offset0:8 offset1:9
	ds_read2_b64 v[15:18], v10 offset0:10 offset1:11
	s_waitcnt vmcnt(6) lgkmcnt(1)
	v_mul_f64 v[27:28], v[2:3], v[19:20]
	v_mul_f64 v[19:20], v[0:1], v[19:20]
	s_waitcnt vmcnt(4)
	v_fma_f64 v[0:1], v[0:1], v[21:22], -v[27:28]
	v_fma_f64 v[2:3], v[2:3], v[21:22], v[19:20]
	s_waitcnt vmcnt(2)
	v_add_f64 v[0:1], v[23:24], -v[0:1]
	s_waitcnt vmcnt(0)
	v_add_f64 v[2:3], v[25:26], -v[2:3]
	buffer_store_dword v1, v4, s[0:3], 0 offen offset:68
	buffer_store_dword v0, v4, s[0:3], 0 offen offset:64
	buffer_store_dword v3, v4, s[0:3], 0 offen offset:76
	buffer_store_dword v2, v4, s[0:3], 0 offen offset:72
	s_clause 0x7
	buffer_load_dword v0, off, s[0:3], 0 offset:328
	buffer_load_dword v1, off, s[0:3], 0 offset:332
	;; [unrolled: 1-line block ×4, first 2 shown]
	buffer_load_dword v19, v4, s[0:3], 0 offen offset:80
	buffer_load_dword v20, v4, s[0:3], 0 offen offset:84
	buffer_load_dword v21, v4, s[0:3], 0 offen offset:88
	buffer_load_dword v22, v4, s[0:3], 0 offen offset:92
	s_waitcnt vmcnt(6) lgkmcnt(0)
	v_mul_f64 v[23:24], v[17:18], v[0:1]
	v_mul_f64 v[0:1], v[15:16], v[0:1]
	s_waitcnt vmcnt(4)
	v_fma_f64 v[15:16], v[15:16], v[2:3], -v[23:24]
	v_fma_f64 v[0:1], v[17:18], v[2:3], v[0:1]
	s_waitcnt vmcnt(2)
	v_add_f64 v[2:3], v[19:20], -v[15:16]
	s_waitcnt vmcnt(0)
	v_add_f64 v[0:1], v[21:22], -v[0:1]
	buffer_store_dword v3, v4, s[0:3], 0 offen offset:84
	buffer_store_dword v2, v4, s[0:3], 0 offen offset:80
	;; [unrolled: 1-line block ×4, first 2 shown]
	s_clause 0x7
	buffer_load_dword v15, off, s[0:3], 0 offset:328
	buffer_load_dword v16, off, s[0:3], 0 offset:332
	;; [unrolled: 1-line block ×4, first 2 shown]
	buffer_load_dword v19, v4, s[0:3], 0 offen offset:96
	buffer_load_dword v20, v4, s[0:3], 0 offen offset:100
	;; [unrolled: 1-line block ×4, first 2 shown]
	ds_read2_b64 v[0:3], v10 offset0:12 offset1:13
	s_waitcnt vmcnt(6) lgkmcnt(0)
	v_mul_f64 v[23:24], v[2:3], v[15:16]
	v_mul_f64 v[15:16], v[0:1], v[15:16]
	s_waitcnt vmcnt(4)
	v_fma_f64 v[0:1], v[0:1], v[17:18], -v[23:24]
	v_fma_f64 v[2:3], v[2:3], v[17:18], v[15:16]
	s_waitcnt vmcnt(2)
	v_add_f64 v[0:1], v[19:20], -v[0:1]
	s_waitcnt vmcnt(0)
	v_add_f64 v[2:3], v[21:22], -v[2:3]
	buffer_store_dword v1, v4, s[0:3], 0 offen offset:100
	buffer_store_dword v0, v4, s[0:3], 0 offen offset:96
	;; [unrolled: 1-line block ×4, first 2 shown]
	s_cbranch_scc1 .LBB124_522
.LBB124_523:
	s_or_b32 exec_lo, exec_lo, s4
	v_mov_b32_e32 v3, s62
	s_waitcnt_vscnt null, 0x0
	s_barrier
	buffer_gl0_inv
	v_lshl_add_u32 v4, v11, 4, v12
	s_clause 0x3
	buffer_load_dword v0, v3, s[0:3], 0 offen
	buffer_load_dword v1, v3, s[0:3], 0 offen offset:4
	buffer_load_dword v2, v3, s[0:3], 0 offen offset:8
	;; [unrolled: 1-line block ×3, first 2 shown]
	s_cmp_lt_i32 s57, 23
	s_waitcnt vmcnt(0)
	ds_write2_b64 v4, v[0:1], v[2:3] offset1:1
	s_waitcnt lgkmcnt(0)
	s_barrier
	buffer_gl0_inv
	ds_read2_b64 v[0:3], v12 offset0:42 offset1:43
	v_mov_b32_e32 v4, 21
	s_cbranch_scc1 .LBB124_526
; %bb.524:
	v_add3_u32 v10, v14, 0, 0x160
	v_mov_b32_e32 v4, 21
	s_mov_b32 s16, 22
	s_inst_prefetch 0x1
	.p2align	6
.LBB124_525:                            ; =>This Inner Loop Header: Depth=1
	s_waitcnt lgkmcnt(0)
	v_cmp_gt_f64_e32 vcc_lo, 0, v[2:3]
	v_cmp_gt_f64_e64 s4, 0, v[0:1]
	ds_read2_b64 v[15:18], v10 offset1:1
	v_xor_b32_e32 v20, 0x80000000, v1
	v_xor_b32_e32 v22, 0x80000000, v3
	v_mov_b32_e32 v19, v0
	v_mov_b32_e32 v21, v2
	v_add_nc_u32_e32 v10, 16, v10
	s_waitcnt lgkmcnt(0)
	v_xor_b32_e32 v24, 0x80000000, v18
	v_cndmask_b32_e64 v20, v1, v20, s4
	v_cndmask_b32_e32 v22, v3, v22, vcc_lo
	v_cmp_gt_f64_e32 vcc_lo, 0, v[17:18]
	v_cmp_gt_f64_e64 s4, 0, v[15:16]
	v_mov_b32_e32 v23, v17
	v_add_f64 v[19:20], v[19:20], v[21:22]
	v_xor_b32_e32 v22, 0x80000000, v16
	v_mov_b32_e32 v21, v15
	v_cndmask_b32_e32 v24, v18, v24, vcc_lo
	v_cndmask_b32_e64 v22, v16, v22, s4
	v_add_f64 v[21:22], v[21:22], v[23:24]
	v_cmp_lt_f64_e32 vcc_lo, v[19:20], v[21:22]
	v_cndmask_b32_e32 v1, v1, v16, vcc_lo
	v_cndmask_b32_e32 v0, v0, v15, vcc_lo
	;; [unrolled: 1-line block ×4, first 2 shown]
	v_cndmask_b32_e64 v4, v4, s16, vcc_lo
	s_add_i32 s16, s16, 1
	s_cmp_lg_u32 s57, s16
	s_cbranch_scc1 .LBB124_525
.LBB124_526:
	s_inst_prefetch 0x2
	s_waitcnt lgkmcnt(0)
	v_cmp_eq_f64_e32 vcc_lo, 0, v[0:1]
	v_cmp_eq_f64_e64 s4, 0, v[2:3]
	s_and_b32 s4, vcc_lo, s4
	s_and_saveexec_b32 s16, s4
	s_xor_b32 s4, exec_lo, s16
; %bb.527:
	v_cmp_ne_u32_e32 vcc_lo, 0, v13
	v_cndmask_b32_e32 v13, 22, v13, vcc_lo
; %bb.528:
	s_andn2_saveexec_b32 s4, s4
	s_cbranch_execz .LBB124_534
; %bb.529:
	v_cmp_ngt_f64_e64 s16, |v[0:1]|, |v[2:3]|
	s_and_saveexec_b32 s17, s16
	s_xor_b32 s16, exec_lo, s17
	s_cbranch_execz .LBB124_531
; %bb.530:
	v_div_scale_f64 v[15:16], null, v[2:3], v[2:3], v[0:1]
	v_div_scale_f64 v[21:22], vcc_lo, v[0:1], v[2:3], v[0:1]
	v_rcp_f64_e32 v[17:18], v[15:16]
	v_fma_f64 v[19:20], -v[15:16], v[17:18], 1.0
	v_fma_f64 v[17:18], v[17:18], v[19:20], v[17:18]
	v_fma_f64 v[19:20], -v[15:16], v[17:18], 1.0
	v_fma_f64 v[17:18], v[17:18], v[19:20], v[17:18]
	v_mul_f64 v[19:20], v[21:22], v[17:18]
	v_fma_f64 v[15:16], -v[15:16], v[19:20], v[21:22]
	v_div_fmas_f64 v[15:16], v[15:16], v[17:18], v[19:20]
	v_div_fixup_f64 v[15:16], v[15:16], v[2:3], v[0:1]
	v_fma_f64 v[0:1], v[0:1], v[15:16], v[2:3]
	v_div_scale_f64 v[2:3], null, v[0:1], v[0:1], 1.0
	v_rcp_f64_e32 v[17:18], v[2:3]
	v_fma_f64 v[19:20], -v[2:3], v[17:18], 1.0
	v_fma_f64 v[17:18], v[17:18], v[19:20], v[17:18]
	v_fma_f64 v[19:20], -v[2:3], v[17:18], 1.0
	v_fma_f64 v[17:18], v[17:18], v[19:20], v[17:18]
	v_div_scale_f64 v[19:20], vcc_lo, 1.0, v[0:1], 1.0
	v_mul_f64 v[21:22], v[19:20], v[17:18]
	v_fma_f64 v[2:3], -v[2:3], v[21:22], v[19:20]
	v_div_fmas_f64 v[2:3], v[2:3], v[17:18], v[21:22]
	v_div_fixup_f64 v[2:3], v[2:3], v[0:1], 1.0
	v_mul_f64 v[0:1], v[15:16], v[2:3]
	v_xor_b32_e32 v3, 0x80000000, v3
.LBB124_531:
	s_andn2_saveexec_b32 s16, s16
	s_cbranch_execz .LBB124_533
; %bb.532:
	v_div_scale_f64 v[15:16], null, v[0:1], v[0:1], v[2:3]
	v_div_scale_f64 v[21:22], vcc_lo, v[2:3], v[0:1], v[2:3]
	v_rcp_f64_e32 v[17:18], v[15:16]
	v_fma_f64 v[19:20], -v[15:16], v[17:18], 1.0
	v_fma_f64 v[17:18], v[17:18], v[19:20], v[17:18]
	v_fma_f64 v[19:20], -v[15:16], v[17:18], 1.0
	v_fma_f64 v[17:18], v[17:18], v[19:20], v[17:18]
	v_mul_f64 v[19:20], v[21:22], v[17:18]
	v_fma_f64 v[15:16], -v[15:16], v[19:20], v[21:22]
	v_div_fmas_f64 v[15:16], v[15:16], v[17:18], v[19:20]
	v_div_fixup_f64 v[15:16], v[15:16], v[0:1], v[2:3]
	v_fma_f64 v[0:1], v[2:3], v[15:16], v[0:1]
	v_div_scale_f64 v[2:3], null, v[0:1], v[0:1], 1.0
	v_rcp_f64_e32 v[17:18], v[2:3]
	v_fma_f64 v[19:20], -v[2:3], v[17:18], 1.0
	v_fma_f64 v[17:18], v[17:18], v[19:20], v[17:18]
	v_fma_f64 v[19:20], -v[2:3], v[17:18], 1.0
	v_fma_f64 v[17:18], v[17:18], v[19:20], v[17:18]
	v_div_scale_f64 v[19:20], vcc_lo, 1.0, v[0:1], 1.0
	v_mul_f64 v[21:22], v[19:20], v[17:18]
	v_fma_f64 v[2:3], -v[2:3], v[21:22], v[19:20]
	v_div_fmas_f64 v[2:3], v[2:3], v[17:18], v[21:22]
	v_div_fixup_f64 v[0:1], v[2:3], v[0:1], 1.0
	v_mul_f64 v[2:3], v[15:16], -v[0:1]
.LBB124_533:
	s_or_b32 exec_lo, exec_lo, s16
.LBB124_534:
	s_or_b32 exec_lo, exec_lo, s4
	s_mov_b32 s4, exec_lo
	v_cmpx_ne_u32_e64 v11, v4
	s_xor_b32 s4, exec_lo, s4
	s_cbranch_execz .LBB124_540
; %bb.535:
	s_mov_b32 s16, exec_lo
	v_cmpx_eq_u32_e32 21, v11
	s_cbranch_execz .LBB124_539
; %bb.536:
	v_cmp_ne_u32_e32 vcc_lo, 21, v4
	s_xor_b32 s17, s20, -1
	s_and_b32 s56, s17, vcc_lo
	s_and_saveexec_b32 s17, s56
	s_cbranch_execz .LBB124_538
; %bb.537:
	v_ashrrev_i32_e32 v5, 31, v4
	v_lshlrev_b64 v[10:11], 2, v[4:5]
	v_add_co_u32 v10, vcc_lo, v8, v10
	v_add_co_ci_u32_e64 v11, null, v9, v11, vcc_lo
	s_clause 0x1
	global_load_dword v5, v[10:11], off
	global_load_dword v15, v[8:9], off offset:84
	s_waitcnt vmcnt(1)
	global_store_dword v[8:9], v5, off offset:84
	s_waitcnt vmcnt(0)
	global_store_dword v[10:11], v15, off
.LBB124_538:
	s_or_b32 exec_lo, exec_lo, s17
	v_mov_b32_e32 v11, v4
	v_mov_b32_e32 v5, v4
.LBB124_539:
	s_or_b32 exec_lo, exec_lo, s16
.LBB124_540:
	s_andn2_saveexec_b32 s4, s4
	s_cbranch_execz .LBB124_546
; %bb.541:
	s_movk_i32 s16, 0x160
	s_branch .LBB124_543
.LBB124_542:                            ;   in Loop: Header=BB124_543 Depth=1
	s_andn2_b32 vcc_lo, exec_lo, s56
	s_cbranch_vccz .LBB124_545
.LBB124_543:                            ; =>This Inner Loop Header: Depth=1
	v_mov_b32_e32 v4, s16
	s_mov_b32 s17, s16
	s_cmpk_eq_i32 s16, 0x3e0
	s_mov_b32 s56, -1
	s_clause 0x3
	buffer_load_dword v10, v4, s[0:3], 0 offen
	buffer_load_dword v11, v4, s[0:3], 0 offen offset:4
	buffer_load_dword v15, v4, s[0:3], 0 offen offset:8
	;; [unrolled: 1-line block ×3, first 2 shown]
	v_add_nc_u32_e32 v4, s16, v12
	s_waitcnt vmcnt(0)
	ds_write2_b64 v4, v[10:11], v[15:16] offset1:1
	s_cbranch_scc1 .LBB124_542
; %bb.544:                              ;   in Loop: Header=BB124_543 Depth=1
	v_mov_b32_e32 v39, s17
	s_addk_i32 s16, 0x80
	s_mov_b32 s56, 0
	s_clause 0x1b
	buffer_load_dword v10, v39, s[0:3], 0 offen offset:16
	buffer_load_dword v11, v39, s[0:3], 0 offen offset:20
	;; [unrolled: 1-line block ×28, first 2 shown]
	s_waitcnt vmcnt(24)
	ds_write2_b64 v4, v[10:11], v[15:16] offset0:2 offset1:3
	s_waitcnt vmcnt(20)
	ds_write2_b64 v4, v[17:18], v[19:20] offset0:4 offset1:5
	;; [unrolled: 2-line block ×5, first 2 shown]
	ds_write2_b64 v4, v[33:34], v[31:32] offset0:12 offset1:13
	s_waitcnt vmcnt(0)
	ds_write2_b64 v4, v[39:40], v[37:38] offset0:14 offset1:15
	s_branch .LBB124_542
.LBB124_545:
	v_mov_b32_e32 v11, 21
.LBB124_546:
	s_or_b32 exec_lo, exec_lo, s4
	s_mov_b32 s4, exec_lo
	s_waitcnt lgkmcnt(0)
	s_waitcnt_vscnt null, 0x0
	s_barrier
	buffer_gl0_inv
	v_cmpx_lt_i32_e32 21, v11
	s_cbranch_execz .LBB124_551
; %bb.547:
	s_clause 0x3
	buffer_load_dword v15, off, s[0:3], 0 offset:344
	buffer_load_dword v16, off, s[0:3], 0 offset:348
	;; [unrolled: 1-line block ×4, first 2 shown]
	s_movk_i32 s82, 0x160
	s_waitcnt vmcnt(2)
	v_mul_f64 v[19:20], v[2:3], v[15:16]
	v_mul_f64 v[15:16], v[0:1], v[15:16]
	s_waitcnt vmcnt(0)
	v_fma_f64 v[0:1], v[0:1], v[17:18], -v[19:20]
	v_fma_f64 v[2:3], v[2:3], v[17:18], v[15:16]
	buffer_store_dword v0, off, s[0:3], 0 offset:336
	buffer_store_dword v1, off, s[0:3], 0 offset:340
	;; [unrolled: 1-line block ×4, first 2 shown]
	s_branch .LBB124_549
.LBB124_548:                            ;   in Loop: Header=BB124_549 Depth=1
	s_andn2_b32 vcc_lo, exec_lo, s17
	s_cbranch_vccz .LBB124_551
.LBB124_549:                            ; =>This Inner Loop Header: Depth=1
	v_mov_b32_e32 v10, s82
	v_add_nc_u32_e32 v4, s82, v12
	s_mov_b32 s16, s82
	s_mov_b32 s17, -1
	s_cmpk_eq_i32 s82, 0x3e0
	s_clause 0x3
	buffer_load_dword v19, v10, s[0:3], 0 offen
	buffer_load_dword v20, v10, s[0:3], 0 offen offset:4
	buffer_load_dword v21, v10, s[0:3], 0 offen offset:8
	;; [unrolled: 1-line block ×3, first 2 shown]
	ds_read2_b64 v[15:18], v4 offset1:1
	s_waitcnt vmcnt(4) lgkmcnt(0)
	v_mul_f64 v[23:24], v[17:18], v[2:3]
	v_mul_f64 v[2:3], v[15:16], v[2:3]
	v_fma_f64 v[15:16], v[15:16], v[0:1], -v[23:24]
	v_fma_f64 v[0:1], v[17:18], v[0:1], v[2:3]
	s_waitcnt vmcnt(2)
	v_add_f64 v[2:3], v[19:20], -v[15:16]
	s_waitcnt vmcnt(0)
	v_add_f64 v[0:1], v[21:22], -v[0:1]
	buffer_store_dword v2, v10, s[0:3], 0 offen
	buffer_store_dword v3, v10, s[0:3], 0 offen offset:4
	buffer_store_dword v0, v10, s[0:3], 0 offen offset:8
	;; [unrolled: 1-line block ×3, first 2 shown]
                                        ; implicit-def: $vgpr0_vgpr1
                                        ; implicit-def: $vgpr2_vgpr3
	s_cbranch_scc1 .LBB124_548
; %bb.550:                              ;   in Loop: Header=BB124_549 Depth=1
	s_clause 0x3
	buffer_load_dword v19, off, s[0:3], 0 offset:344
	buffer_load_dword v20, off, s[0:3], 0 offset:348
	;; [unrolled: 1-line block ×4, first 2 shown]
	v_mov_b32_e32 v10, s16
	s_add_i32 s82, s82, 64
	s_mov_b32 s17, 0
	s_clause 0x3
	buffer_load_dword v23, v10, s[0:3], 0 offen offset:16
	buffer_load_dword v24, v10, s[0:3], 0 offen offset:20
	;; [unrolled: 1-line block ×4, first 2 shown]
	ds_read2_b64 v[0:3], v4 offset0:2 offset1:3
	ds_read2_b64 v[15:18], v4 offset0:4 offset1:5
	s_waitcnt vmcnt(6) lgkmcnt(1)
	v_mul_f64 v[27:28], v[2:3], v[19:20]
	v_mul_f64 v[19:20], v[0:1], v[19:20]
	s_waitcnt vmcnt(4)
	v_fma_f64 v[0:1], v[0:1], v[21:22], -v[27:28]
	v_fma_f64 v[2:3], v[2:3], v[21:22], v[19:20]
	s_waitcnt vmcnt(2)
	v_add_f64 v[0:1], v[23:24], -v[0:1]
	s_waitcnt vmcnt(0)
	v_add_f64 v[2:3], v[25:26], -v[2:3]
	buffer_store_dword v1, v10, s[0:3], 0 offen offset:20
	buffer_store_dword v0, v10, s[0:3], 0 offen offset:16
	;; [unrolled: 1-line block ×4, first 2 shown]
	s_clause 0x7
	buffer_load_dword v1, v10, s[0:3], 0 offen offset:36
	buffer_load_dword v2, v10, s[0:3], 0 offen offset:40
	;; [unrolled: 1-line block ×3, first 2 shown]
	buffer_load_dword v20, off, s[0:3], 0 offset:348
	buffer_load_dword v19, off, s[0:3], 0 offset:344
	;; [unrolled: 1-line block ×4, first 2 shown]
	buffer_load_dword v0, v10, s[0:3], 0 offen offset:32
	s_waitcnt vmcnt(3) lgkmcnt(0)
	v_mul_f64 v[23:24], v[17:18], v[19:20]
	v_mul_f64 v[19:20], v[15:16], v[19:20]
	s_waitcnt vmcnt(1)
	v_fma_f64 v[15:16], v[15:16], v[21:22], -v[23:24]
	v_fma_f64 v[17:18], v[17:18], v[21:22], v[19:20]
	s_waitcnt vmcnt(0)
	v_add_f64 v[0:1], v[0:1], -v[15:16]
	v_add_f64 v[2:3], v[2:3], -v[17:18]
	buffer_store_dword v1, v10, s[0:3], 0 offen offset:36
	buffer_store_dword v0, v10, s[0:3], 0 offen offset:32
	;; [unrolled: 1-line block ×4, first 2 shown]
	s_clause 0x7
	buffer_load_dword v16, v10, s[0:3], 0 offen offset:52
	buffer_load_dword v17, v10, s[0:3], 0 offen offset:56
	;; [unrolled: 1-line block ×3, first 2 shown]
	buffer_load_dword v19, off, s[0:3], 0 offset:344
	buffer_load_dword v20, off, s[0:3], 0 offset:348
	;; [unrolled: 1-line block ×4, first 2 shown]
	buffer_load_dword v15, v10, s[0:3], 0 offen offset:48
	ds_read2_b64 v[0:3], v4 offset0:6 offset1:7
	s_waitcnt vmcnt(3) lgkmcnt(0)
	v_mul_f64 v[23:24], v[2:3], v[19:20]
	v_mul_f64 v[19:20], v[0:1], v[19:20]
	s_waitcnt vmcnt(1)
	v_fma_f64 v[0:1], v[0:1], v[21:22], -v[23:24]
	v_fma_f64 v[2:3], v[2:3], v[21:22], v[19:20]
	s_waitcnt vmcnt(0)
	v_add_f64 v[0:1], v[15:16], -v[0:1]
	v_add_f64 v[2:3], v[17:18], -v[2:3]
	buffer_store_dword v1, v10, s[0:3], 0 offen offset:52
	buffer_store_dword v0, v10, s[0:3], 0 offen offset:48
	;; [unrolled: 1-line block ×4, first 2 shown]
	s_clause 0x3
	buffer_load_dword v0, off, s[0:3], 0 offset:336
	buffer_load_dword v1, off, s[0:3], 0 offset:340
	;; [unrolled: 1-line block ×4, first 2 shown]
	s_branch .LBB124_548
.LBB124_551:
	s_or_b32 exec_lo, exec_lo, s4
	s_waitcnt vmcnt(0)
	v_mov_b32_e32 v3, s61
	s_waitcnt_vscnt null, 0x0
	s_barrier
	buffer_gl0_inv
	v_lshl_add_u32 v4, v11, 4, v12
	s_clause 0x3
	buffer_load_dword v0, v3, s[0:3], 0 offen
	buffer_load_dword v1, v3, s[0:3], 0 offen offset:4
	buffer_load_dword v2, v3, s[0:3], 0 offen offset:8
	;; [unrolled: 1-line block ×3, first 2 shown]
	s_cmp_lt_i32 s57, 24
	s_waitcnt vmcnt(0)
	ds_write2_b64 v4, v[0:1], v[2:3] offset1:1
	s_waitcnt lgkmcnt(0)
	s_barrier
	buffer_gl0_inv
	ds_read2_b64 v[0:3], v12 offset0:44 offset1:45
	v_mov_b32_e32 v4, 22
	s_cbranch_scc1 .LBB124_554
; %bb.552:
	v_add3_u32 v10, v14, 0, 0x170
	v_mov_b32_e32 v4, 22
	s_mov_b32 s16, 23
	s_inst_prefetch 0x1
	.p2align	6
.LBB124_553:                            ; =>This Inner Loop Header: Depth=1
	s_waitcnt lgkmcnt(0)
	v_cmp_gt_f64_e32 vcc_lo, 0, v[2:3]
	v_cmp_gt_f64_e64 s4, 0, v[0:1]
	ds_read2_b64 v[15:18], v10 offset1:1
	v_xor_b32_e32 v20, 0x80000000, v1
	v_xor_b32_e32 v22, 0x80000000, v3
	v_mov_b32_e32 v19, v0
	v_mov_b32_e32 v21, v2
	v_add_nc_u32_e32 v10, 16, v10
	s_waitcnt lgkmcnt(0)
	v_xor_b32_e32 v24, 0x80000000, v18
	v_cndmask_b32_e64 v20, v1, v20, s4
	v_cndmask_b32_e32 v22, v3, v22, vcc_lo
	v_cmp_gt_f64_e32 vcc_lo, 0, v[17:18]
	v_cmp_gt_f64_e64 s4, 0, v[15:16]
	v_mov_b32_e32 v23, v17
	v_add_f64 v[19:20], v[19:20], v[21:22]
	v_xor_b32_e32 v22, 0x80000000, v16
	v_mov_b32_e32 v21, v15
	v_cndmask_b32_e32 v24, v18, v24, vcc_lo
	v_cndmask_b32_e64 v22, v16, v22, s4
	v_add_f64 v[21:22], v[21:22], v[23:24]
	v_cmp_lt_f64_e32 vcc_lo, v[19:20], v[21:22]
	v_cndmask_b32_e32 v1, v1, v16, vcc_lo
	v_cndmask_b32_e32 v0, v0, v15, vcc_lo
	;; [unrolled: 1-line block ×4, first 2 shown]
	v_cndmask_b32_e64 v4, v4, s16, vcc_lo
	s_add_i32 s16, s16, 1
	s_cmp_lg_u32 s57, s16
	s_cbranch_scc1 .LBB124_553
.LBB124_554:
	s_inst_prefetch 0x2
	s_waitcnt lgkmcnt(0)
	v_cmp_eq_f64_e32 vcc_lo, 0, v[0:1]
	v_cmp_eq_f64_e64 s4, 0, v[2:3]
	s_and_b32 s4, vcc_lo, s4
	s_and_saveexec_b32 s16, s4
	s_xor_b32 s4, exec_lo, s16
; %bb.555:
	v_cmp_ne_u32_e32 vcc_lo, 0, v13
	v_cndmask_b32_e32 v13, 23, v13, vcc_lo
; %bb.556:
	s_andn2_saveexec_b32 s4, s4
	s_cbranch_execz .LBB124_562
; %bb.557:
	v_cmp_ngt_f64_e64 s16, |v[0:1]|, |v[2:3]|
	s_and_saveexec_b32 s17, s16
	s_xor_b32 s16, exec_lo, s17
	s_cbranch_execz .LBB124_559
; %bb.558:
	v_div_scale_f64 v[15:16], null, v[2:3], v[2:3], v[0:1]
	v_div_scale_f64 v[21:22], vcc_lo, v[0:1], v[2:3], v[0:1]
	v_rcp_f64_e32 v[17:18], v[15:16]
	v_fma_f64 v[19:20], -v[15:16], v[17:18], 1.0
	v_fma_f64 v[17:18], v[17:18], v[19:20], v[17:18]
	v_fma_f64 v[19:20], -v[15:16], v[17:18], 1.0
	v_fma_f64 v[17:18], v[17:18], v[19:20], v[17:18]
	v_mul_f64 v[19:20], v[21:22], v[17:18]
	v_fma_f64 v[15:16], -v[15:16], v[19:20], v[21:22]
	v_div_fmas_f64 v[15:16], v[15:16], v[17:18], v[19:20]
	v_div_fixup_f64 v[15:16], v[15:16], v[2:3], v[0:1]
	v_fma_f64 v[0:1], v[0:1], v[15:16], v[2:3]
	v_div_scale_f64 v[2:3], null, v[0:1], v[0:1], 1.0
	v_rcp_f64_e32 v[17:18], v[2:3]
	v_fma_f64 v[19:20], -v[2:3], v[17:18], 1.0
	v_fma_f64 v[17:18], v[17:18], v[19:20], v[17:18]
	v_fma_f64 v[19:20], -v[2:3], v[17:18], 1.0
	v_fma_f64 v[17:18], v[17:18], v[19:20], v[17:18]
	v_div_scale_f64 v[19:20], vcc_lo, 1.0, v[0:1], 1.0
	v_mul_f64 v[21:22], v[19:20], v[17:18]
	v_fma_f64 v[2:3], -v[2:3], v[21:22], v[19:20]
	v_div_fmas_f64 v[2:3], v[2:3], v[17:18], v[21:22]
	v_div_fixup_f64 v[2:3], v[2:3], v[0:1], 1.0
	v_mul_f64 v[0:1], v[15:16], v[2:3]
	v_xor_b32_e32 v3, 0x80000000, v3
.LBB124_559:
	s_andn2_saveexec_b32 s16, s16
	s_cbranch_execz .LBB124_561
; %bb.560:
	v_div_scale_f64 v[15:16], null, v[0:1], v[0:1], v[2:3]
	v_div_scale_f64 v[21:22], vcc_lo, v[2:3], v[0:1], v[2:3]
	v_rcp_f64_e32 v[17:18], v[15:16]
	v_fma_f64 v[19:20], -v[15:16], v[17:18], 1.0
	v_fma_f64 v[17:18], v[17:18], v[19:20], v[17:18]
	v_fma_f64 v[19:20], -v[15:16], v[17:18], 1.0
	v_fma_f64 v[17:18], v[17:18], v[19:20], v[17:18]
	v_mul_f64 v[19:20], v[21:22], v[17:18]
	v_fma_f64 v[15:16], -v[15:16], v[19:20], v[21:22]
	v_div_fmas_f64 v[15:16], v[15:16], v[17:18], v[19:20]
	v_div_fixup_f64 v[15:16], v[15:16], v[0:1], v[2:3]
	v_fma_f64 v[0:1], v[2:3], v[15:16], v[0:1]
	v_div_scale_f64 v[2:3], null, v[0:1], v[0:1], 1.0
	v_rcp_f64_e32 v[17:18], v[2:3]
	v_fma_f64 v[19:20], -v[2:3], v[17:18], 1.0
	v_fma_f64 v[17:18], v[17:18], v[19:20], v[17:18]
	v_fma_f64 v[19:20], -v[2:3], v[17:18], 1.0
	v_fma_f64 v[17:18], v[17:18], v[19:20], v[17:18]
	v_div_scale_f64 v[19:20], vcc_lo, 1.0, v[0:1], 1.0
	v_mul_f64 v[21:22], v[19:20], v[17:18]
	v_fma_f64 v[2:3], -v[2:3], v[21:22], v[19:20]
	v_div_fmas_f64 v[2:3], v[2:3], v[17:18], v[21:22]
	v_div_fixup_f64 v[0:1], v[2:3], v[0:1], 1.0
	v_mul_f64 v[2:3], v[15:16], -v[0:1]
.LBB124_561:
	s_or_b32 exec_lo, exec_lo, s16
.LBB124_562:
	s_or_b32 exec_lo, exec_lo, s4
	s_mov_b32 s4, exec_lo
	v_cmpx_ne_u32_e64 v11, v4
	s_xor_b32 s4, exec_lo, s4
	s_cbranch_execz .LBB124_568
; %bb.563:
	s_mov_b32 s16, exec_lo
	v_cmpx_eq_u32_e32 22, v11
	s_cbranch_execz .LBB124_567
; %bb.564:
	v_cmp_ne_u32_e32 vcc_lo, 22, v4
	s_xor_b32 s17, s20, -1
	s_and_b32 s56, s17, vcc_lo
	s_and_saveexec_b32 s17, s56
	s_cbranch_execz .LBB124_566
; %bb.565:
	v_ashrrev_i32_e32 v5, 31, v4
	v_lshlrev_b64 v[10:11], 2, v[4:5]
	v_add_co_u32 v10, vcc_lo, v8, v10
	v_add_co_ci_u32_e64 v11, null, v9, v11, vcc_lo
	s_clause 0x1
	global_load_dword v5, v[10:11], off
	global_load_dword v15, v[8:9], off offset:88
	s_waitcnt vmcnt(1)
	global_store_dword v[8:9], v5, off offset:88
	s_waitcnt vmcnt(0)
	global_store_dword v[10:11], v15, off
.LBB124_566:
	s_or_b32 exec_lo, exec_lo, s17
	v_mov_b32_e32 v11, v4
	v_mov_b32_e32 v5, v4
.LBB124_567:
	s_or_b32 exec_lo, exec_lo, s16
.LBB124_568:
	s_andn2_saveexec_b32 s4, s4
	s_cbranch_execz .LBB124_572
; %bb.569:
	s_movk_i32 s16, 0x170
.LBB124_570:                            ; =>This Inner Loop Header: Depth=1
	v_mov_b32_e32 v4, s16
	s_clause 0x27
	buffer_load_dword v10, v4, s[0:3], 0 offen
	buffer_load_dword v11, v4, s[0:3], 0 offen offset:4
	buffer_load_dword v15, v4, s[0:3], 0 offen offset:8
	;; [unrolled: 1-line block ×39, first 2 shown]
	v_add_nc_u32_e32 v4, s16, v12
	s_addk_i32 s16, 0xa0
	s_waitcnt vmcnt(36)
	ds_write2_b64 v4, v[10:11], v[15:16] offset1:1
	s_waitcnt vmcnt(32)
	ds_write2_b64 v4, v[17:18], v[19:20] offset0:2 offset1:3
	s_waitcnt vmcnt(28)
	ds_write2_b64 v4, v[21:22], v[23:24] offset0:4 offset1:5
	;; [unrolled: 2-line block ×4, first 2 shown]
	ds_write2_b64 v4, v[33:34], v[31:32] offset0:10 offset1:11
	s_waitcnt vmcnt(8)
	ds_write2_b64 v4, v[43:44], v[37:38] offset0:12 offset1:13
	ds_write2_b64 v4, v[41:42], v[39:40] offset0:14 offset1:15
	s_waitcnt vmcnt(4)
	ds_write2_b64 v4, v[45:46], v[47:48] offset0:16 offset1:17
	s_waitcnt vmcnt(0)
	ds_write2_b64 v4, v[49:50], v[51:52] offset0:18 offset1:19
	s_cmpk_eq_i32 s16, 0x3f0
	s_cbranch_scc0 .LBB124_570
; %bb.571:
	v_mov_b32_e32 v11, 22
.LBB124_572:
	s_or_b32 exec_lo, exec_lo, s4
	s_mov_b32 s4, exec_lo
	s_waitcnt lgkmcnt(0)
	s_waitcnt_vscnt null, 0x0
	s_barrier
	buffer_gl0_inv
	v_cmpx_lt_i32_e32 22, v11
	s_cbranch_execz .LBB124_575
; %bb.573:
	s_clause 0x3
	buffer_load_dword v15, off, s[0:3], 0 offset:360
	buffer_load_dword v16, off, s[0:3], 0 offset:364
	;; [unrolled: 1-line block ×4, first 2 shown]
	s_movk_i32 s82, 0x170
	s_waitcnt vmcnt(2)
	v_mul_f64 v[19:20], v[2:3], v[15:16]
	v_mul_f64 v[15:16], v[0:1], v[15:16]
	s_waitcnt vmcnt(0)
	v_fma_f64 v[0:1], v[0:1], v[17:18], -v[19:20]
	v_fma_f64 v[2:3], v[2:3], v[17:18], v[15:16]
	buffer_store_dword v0, off, s[0:3], 0 offset:352
	buffer_store_dword v1, off, s[0:3], 0 offset:356
	;; [unrolled: 1-line block ×4, first 2 shown]
.LBB124_574:                            ; =>This Inner Loop Header: Depth=1
	s_clause 0x3
	buffer_load_dword v19, off, s[0:3], 0 offset:360
	buffer_load_dword v20, off, s[0:3], 0 offset:364
	;; [unrolled: 1-line block ×4, first 2 shown]
	v_mov_b32_e32 v4, s82
	v_add_nc_u32_e32 v10, s82, v12
	s_addk_i32 s82, 0x50
	s_clause 0x3
	buffer_load_dword v23, v4, s[0:3], 0 offen
	buffer_load_dword v24, v4, s[0:3], 0 offen offset:4
	buffer_load_dword v25, v4, s[0:3], 0 offen offset:8
	;; [unrolled: 1-line block ×3, first 2 shown]
	ds_read2_b64 v[0:3], v10 offset1:1
	ds_read2_b64 v[15:18], v10 offset0:2 offset1:3
	s_cmpk_lg_i32 s82, 0x3f0
	s_waitcnt vmcnt(6) lgkmcnt(1)
	v_mul_f64 v[27:28], v[2:3], v[19:20]
	v_mul_f64 v[19:20], v[0:1], v[19:20]
	s_waitcnt vmcnt(4)
	v_fma_f64 v[0:1], v[0:1], v[21:22], -v[27:28]
	v_fma_f64 v[2:3], v[2:3], v[21:22], v[19:20]
	s_clause 0x3
	buffer_load_dword v19, v4, s[0:3], 0 offen offset:16
	buffer_load_dword v20, v4, s[0:3], 0 offen offset:20
	;; [unrolled: 1-line block ×4, first 2 shown]
	s_waitcnt vmcnt(6)
	v_add_f64 v[0:1], v[23:24], -v[0:1]
	s_waitcnt vmcnt(4)
	v_add_f64 v[2:3], v[25:26], -v[2:3]
	buffer_store_dword v1, v4, s[0:3], 0 offen offset:4
	buffer_store_dword v0, v4, s[0:3], 0 offen
	buffer_store_dword v3, v4, s[0:3], 0 offen offset:12
	buffer_store_dword v2, v4, s[0:3], 0 offen offset:8
	s_clause 0x3
	buffer_load_dword v1, off, s[0:3], 0 offset:364
	buffer_load_dword v0, off, s[0:3], 0 offset:360
	buffer_load_dword v3, off, s[0:3], 0 offset:356
	buffer_load_dword v2, off, s[0:3], 0 offset:352
	s_waitcnt vmcnt(2) lgkmcnt(0)
	v_mul_f64 v[23:24], v[17:18], v[0:1]
	v_mul_f64 v[0:1], v[15:16], v[0:1]
	s_waitcnt vmcnt(0)
	v_fma_f64 v[15:16], v[15:16], v[2:3], -v[23:24]
	v_fma_f64 v[0:1], v[17:18], v[2:3], v[0:1]
	v_add_f64 v[2:3], v[19:20], -v[15:16]
	v_add_f64 v[0:1], v[21:22], -v[0:1]
	s_clause 0x3
	buffer_load_dword v19, v4, s[0:3], 0 offen offset:32
	buffer_load_dword v20, v4, s[0:3], 0 offen offset:36
	;; [unrolled: 1-line block ×4, first 2 shown]
	buffer_store_dword v3, v4, s[0:3], 0 offen offset:20
	buffer_store_dword v2, v4, s[0:3], 0 offen offset:16
	;; [unrolled: 1-line block ×4, first 2 shown]
	s_clause 0x3
	buffer_load_dword v23, off, s[0:3], 0 offset:360
	buffer_load_dword v24, off, s[0:3], 0 offset:364
	;; [unrolled: 1-line block ×4, first 2 shown]
	ds_read2_b64 v[0:3], v10 offset0:4 offset1:5
	ds_read2_b64 v[15:18], v10 offset0:6 offset1:7
	s_waitcnt vmcnt(2) lgkmcnt(1)
	v_mul_f64 v[27:28], v[2:3], v[23:24]
	v_mul_f64 v[23:24], v[0:1], v[23:24]
	s_waitcnt vmcnt(0)
	v_fma_f64 v[0:1], v[0:1], v[25:26], -v[27:28]
	v_fma_f64 v[2:3], v[2:3], v[25:26], v[23:24]
	v_add_f64 v[0:1], v[19:20], -v[0:1]
	v_add_f64 v[2:3], v[21:22], -v[2:3]
	buffer_store_dword v1, v4, s[0:3], 0 offen offset:36
	buffer_store_dword v0, v4, s[0:3], 0 offen offset:32
	;; [unrolled: 1-line block ×4, first 2 shown]
	s_clause 0x7
	buffer_load_dword v0, off, s[0:3], 0 offset:360
	buffer_load_dword v1, off, s[0:3], 0 offset:364
	;; [unrolled: 1-line block ×4, first 2 shown]
	buffer_load_dword v19, v4, s[0:3], 0 offen offset:48
	buffer_load_dword v20, v4, s[0:3], 0 offen offset:52
	;; [unrolled: 1-line block ×4, first 2 shown]
	s_waitcnt vmcnt(6) lgkmcnt(0)
	v_mul_f64 v[23:24], v[17:18], v[0:1]
	v_mul_f64 v[0:1], v[15:16], v[0:1]
	s_waitcnt vmcnt(4)
	v_fma_f64 v[15:16], v[15:16], v[2:3], -v[23:24]
	v_fma_f64 v[0:1], v[17:18], v[2:3], v[0:1]
	s_waitcnt vmcnt(2)
	v_add_f64 v[2:3], v[19:20], -v[15:16]
	s_waitcnt vmcnt(0)
	v_add_f64 v[0:1], v[21:22], -v[0:1]
	buffer_store_dword v3, v4, s[0:3], 0 offen offset:52
	buffer_store_dword v2, v4, s[0:3], 0 offen offset:48
	;; [unrolled: 1-line block ×4, first 2 shown]
	s_clause 0x7
	buffer_load_dword v15, off, s[0:3], 0 offset:360
	buffer_load_dword v16, off, s[0:3], 0 offset:364
	;; [unrolled: 1-line block ×4, first 2 shown]
	buffer_load_dword v19, v4, s[0:3], 0 offen offset:64
	buffer_load_dword v20, v4, s[0:3], 0 offen offset:68
	;; [unrolled: 1-line block ×4, first 2 shown]
	ds_read2_b64 v[0:3], v10 offset0:8 offset1:9
	s_waitcnt vmcnt(6) lgkmcnt(0)
	v_mul_f64 v[23:24], v[2:3], v[15:16]
	v_mul_f64 v[15:16], v[0:1], v[15:16]
	s_waitcnt vmcnt(4)
	v_fma_f64 v[0:1], v[0:1], v[17:18], -v[23:24]
	v_fma_f64 v[2:3], v[2:3], v[17:18], v[15:16]
	s_waitcnt vmcnt(2)
	v_add_f64 v[0:1], v[19:20], -v[0:1]
	s_waitcnt vmcnt(0)
	v_add_f64 v[2:3], v[21:22], -v[2:3]
	buffer_store_dword v1, v4, s[0:3], 0 offen offset:68
	buffer_store_dword v0, v4, s[0:3], 0 offen offset:64
	;; [unrolled: 1-line block ×4, first 2 shown]
	s_cbranch_scc1 .LBB124_574
.LBB124_575:
	s_or_b32 exec_lo, exec_lo, s4
	v_mov_b32_e32 v3, s60
	s_waitcnt_vscnt null, 0x0
	s_barrier
	buffer_gl0_inv
	v_lshl_add_u32 v4, v11, 4, v12
	s_clause 0x3
	buffer_load_dword v0, v3, s[0:3], 0 offen
	buffer_load_dword v1, v3, s[0:3], 0 offen offset:4
	buffer_load_dword v2, v3, s[0:3], 0 offen offset:8
	;; [unrolled: 1-line block ×3, first 2 shown]
	s_cmp_lt_i32 s57, 25
	s_waitcnt vmcnt(0)
	ds_write2_b64 v4, v[0:1], v[2:3] offset1:1
	s_waitcnt lgkmcnt(0)
	s_barrier
	buffer_gl0_inv
	ds_read2_b64 v[0:3], v12 offset0:46 offset1:47
	v_mov_b32_e32 v4, 23
	s_cbranch_scc1 .LBB124_578
; %bb.576:
	v_add3_u32 v10, v14, 0, 0x180
	v_mov_b32_e32 v4, 23
	s_mov_b32 s16, 24
	s_inst_prefetch 0x1
	.p2align	6
.LBB124_577:                            ; =>This Inner Loop Header: Depth=1
	s_waitcnt lgkmcnt(0)
	v_cmp_gt_f64_e32 vcc_lo, 0, v[2:3]
	v_cmp_gt_f64_e64 s4, 0, v[0:1]
	ds_read2_b64 v[15:18], v10 offset1:1
	v_xor_b32_e32 v20, 0x80000000, v1
	v_xor_b32_e32 v22, 0x80000000, v3
	v_mov_b32_e32 v19, v0
	v_mov_b32_e32 v21, v2
	v_add_nc_u32_e32 v10, 16, v10
	s_waitcnt lgkmcnt(0)
	v_xor_b32_e32 v24, 0x80000000, v18
	v_cndmask_b32_e64 v20, v1, v20, s4
	v_cndmask_b32_e32 v22, v3, v22, vcc_lo
	v_cmp_gt_f64_e32 vcc_lo, 0, v[17:18]
	v_cmp_gt_f64_e64 s4, 0, v[15:16]
	v_mov_b32_e32 v23, v17
	v_add_f64 v[19:20], v[19:20], v[21:22]
	v_xor_b32_e32 v22, 0x80000000, v16
	v_mov_b32_e32 v21, v15
	v_cndmask_b32_e32 v24, v18, v24, vcc_lo
	v_cndmask_b32_e64 v22, v16, v22, s4
	v_add_f64 v[21:22], v[21:22], v[23:24]
	v_cmp_lt_f64_e32 vcc_lo, v[19:20], v[21:22]
	v_cndmask_b32_e32 v1, v1, v16, vcc_lo
	v_cndmask_b32_e32 v0, v0, v15, vcc_lo
	;; [unrolled: 1-line block ×4, first 2 shown]
	v_cndmask_b32_e64 v4, v4, s16, vcc_lo
	s_add_i32 s16, s16, 1
	s_cmp_lg_u32 s57, s16
	s_cbranch_scc1 .LBB124_577
.LBB124_578:
	s_inst_prefetch 0x2
	s_waitcnt lgkmcnt(0)
	v_cmp_eq_f64_e32 vcc_lo, 0, v[0:1]
	v_cmp_eq_f64_e64 s4, 0, v[2:3]
	s_and_b32 s4, vcc_lo, s4
	s_and_saveexec_b32 s16, s4
	s_xor_b32 s4, exec_lo, s16
; %bb.579:
	v_cmp_ne_u32_e32 vcc_lo, 0, v13
	v_cndmask_b32_e32 v13, 24, v13, vcc_lo
; %bb.580:
	s_andn2_saveexec_b32 s4, s4
	s_cbranch_execz .LBB124_586
; %bb.581:
	v_cmp_ngt_f64_e64 s16, |v[0:1]|, |v[2:3]|
	s_and_saveexec_b32 s17, s16
	s_xor_b32 s16, exec_lo, s17
	s_cbranch_execz .LBB124_583
; %bb.582:
	v_div_scale_f64 v[15:16], null, v[2:3], v[2:3], v[0:1]
	v_div_scale_f64 v[21:22], vcc_lo, v[0:1], v[2:3], v[0:1]
	v_rcp_f64_e32 v[17:18], v[15:16]
	v_fma_f64 v[19:20], -v[15:16], v[17:18], 1.0
	v_fma_f64 v[17:18], v[17:18], v[19:20], v[17:18]
	v_fma_f64 v[19:20], -v[15:16], v[17:18], 1.0
	v_fma_f64 v[17:18], v[17:18], v[19:20], v[17:18]
	v_mul_f64 v[19:20], v[21:22], v[17:18]
	v_fma_f64 v[15:16], -v[15:16], v[19:20], v[21:22]
	v_div_fmas_f64 v[15:16], v[15:16], v[17:18], v[19:20]
	v_div_fixup_f64 v[15:16], v[15:16], v[2:3], v[0:1]
	v_fma_f64 v[0:1], v[0:1], v[15:16], v[2:3]
	v_div_scale_f64 v[2:3], null, v[0:1], v[0:1], 1.0
	v_rcp_f64_e32 v[17:18], v[2:3]
	v_fma_f64 v[19:20], -v[2:3], v[17:18], 1.0
	v_fma_f64 v[17:18], v[17:18], v[19:20], v[17:18]
	v_fma_f64 v[19:20], -v[2:3], v[17:18], 1.0
	v_fma_f64 v[17:18], v[17:18], v[19:20], v[17:18]
	v_div_scale_f64 v[19:20], vcc_lo, 1.0, v[0:1], 1.0
	v_mul_f64 v[21:22], v[19:20], v[17:18]
	v_fma_f64 v[2:3], -v[2:3], v[21:22], v[19:20]
	v_div_fmas_f64 v[2:3], v[2:3], v[17:18], v[21:22]
	v_div_fixup_f64 v[2:3], v[2:3], v[0:1], 1.0
	v_mul_f64 v[0:1], v[15:16], v[2:3]
	v_xor_b32_e32 v3, 0x80000000, v3
.LBB124_583:
	s_andn2_saveexec_b32 s16, s16
	s_cbranch_execz .LBB124_585
; %bb.584:
	v_div_scale_f64 v[15:16], null, v[0:1], v[0:1], v[2:3]
	v_div_scale_f64 v[21:22], vcc_lo, v[2:3], v[0:1], v[2:3]
	v_rcp_f64_e32 v[17:18], v[15:16]
	v_fma_f64 v[19:20], -v[15:16], v[17:18], 1.0
	v_fma_f64 v[17:18], v[17:18], v[19:20], v[17:18]
	v_fma_f64 v[19:20], -v[15:16], v[17:18], 1.0
	v_fma_f64 v[17:18], v[17:18], v[19:20], v[17:18]
	v_mul_f64 v[19:20], v[21:22], v[17:18]
	v_fma_f64 v[15:16], -v[15:16], v[19:20], v[21:22]
	v_div_fmas_f64 v[15:16], v[15:16], v[17:18], v[19:20]
	v_div_fixup_f64 v[15:16], v[15:16], v[0:1], v[2:3]
	v_fma_f64 v[0:1], v[2:3], v[15:16], v[0:1]
	v_div_scale_f64 v[2:3], null, v[0:1], v[0:1], 1.0
	v_rcp_f64_e32 v[17:18], v[2:3]
	v_fma_f64 v[19:20], -v[2:3], v[17:18], 1.0
	v_fma_f64 v[17:18], v[17:18], v[19:20], v[17:18]
	v_fma_f64 v[19:20], -v[2:3], v[17:18], 1.0
	v_fma_f64 v[17:18], v[17:18], v[19:20], v[17:18]
	v_div_scale_f64 v[19:20], vcc_lo, 1.0, v[0:1], 1.0
	v_mul_f64 v[21:22], v[19:20], v[17:18]
	v_fma_f64 v[2:3], -v[2:3], v[21:22], v[19:20]
	v_div_fmas_f64 v[2:3], v[2:3], v[17:18], v[21:22]
	v_div_fixup_f64 v[0:1], v[2:3], v[0:1], 1.0
	v_mul_f64 v[2:3], v[15:16], -v[0:1]
.LBB124_585:
	s_or_b32 exec_lo, exec_lo, s16
.LBB124_586:
	s_or_b32 exec_lo, exec_lo, s4
	s_mov_b32 s4, exec_lo
	v_cmpx_ne_u32_e64 v11, v4
	s_xor_b32 s4, exec_lo, s4
	s_cbranch_execz .LBB124_592
; %bb.587:
	s_mov_b32 s16, exec_lo
	v_cmpx_eq_u32_e32 23, v11
	s_cbranch_execz .LBB124_591
; %bb.588:
	v_cmp_ne_u32_e32 vcc_lo, 23, v4
	s_xor_b32 s17, s20, -1
	s_and_b32 s56, s17, vcc_lo
	s_and_saveexec_b32 s17, s56
	s_cbranch_execz .LBB124_590
; %bb.589:
	v_ashrrev_i32_e32 v5, 31, v4
	v_lshlrev_b64 v[10:11], 2, v[4:5]
	v_add_co_u32 v10, vcc_lo, v8, v10
	v_add_co_ci_u32_e64 v11, null, v9, v11, vcc_lo
	s_clause 0x1
	global_load_dword v5, v[10:11], off
	global_load_dword v15, v[8:9], off offset:92
	s_waitcnt vmcnt(1)
	global_store_dword v[8:9], v5, off offset:92
	s_waitcnt vmcnt(0)
	global_store_dword v[10:11], v15, off
.LBB124_590:
	s_or_b32 exec_lo, exec_lo, s17
	v_mov_b32_e32 v11, v4
	v_mov_b32_e32 v5, v4
.LBB124_591:
	s_or_b32 exec_lo, exec_lo, s16
.LBB124_592:
	s_andn2_saveexec_b32 s4, s4
	s_cbranch_execz .LBB124_596
; %bb.593:
	s_movk_i32 s16, 0x180
.LBB124_594:                            ; =>This Inner Loop Header: Depth=1
	v_mov_b32_e32 v4, s16
	s_clause 0x33
	buffer_load_dword v10, v4, s[0:3], 0 offen
	buffer_load_dword v11, v4, s[0:3], 0 offen offset:4
	buffer_load_dword v15, v4, s[0:3], 0 offen offset:8
	;; [unrolled: 1-line block ×51, first 2 shown]
	v_add_nc_u32_e32 v4, s16, v12
	s_addk_i32 s16, 0xd0
	s_waitcnt vmcnt(48)
	ds_write2_b64 v4, v[10:11], v[15:16] offset1:1
	s_waitcnt vmcnt(44)
	ds_write2_b64 v4, v[17:18], v[19:20] offset0:2 offset1:3
	s_waitcnt vmcnt(40)
	ds_write2_b64 v4, v[21:22], v[23:24] offset0:4 offset1:5
	;; [unrolled: 2-line block ×4, first 2 shown]
	ds_write2_b64 v4, v[33:34], v[31:32] offset0:10 offset1:11
	s_waitcnt vmcnt(20)
	ds_write2_b64 v4, v[43:44], v[37:38] offset0:12 offset1:13
	ds_write2_b64 v4, v[41:42], v[39:40] offset0:14 offset1:15
	s_waitcnt vmcnt(16)
	ds_write2_b64 v4, v[45:46], v[47:48] offset0:16 offset1:17
	s_waitcnt vmcnt(12)
	;; [unrolled: 2-line block ×5, first 2 shown]
	ds_write2_b64 v4, v[61:62], v[63:64] offset0:24 offset1:25
	s_cmpk_eq_i32 s16, 0x3f0
	s_cbranch_scc0 .LBB124_594
; %bb.595:
	v_mov_b32_e32 v11, 23
.LBB124_596:
	s_or_b32 exec_lo, exec_lo, s4
	s_mov_b32 s4, exec_lo
	s_waitcnt lgkmcnt(0)
	s_waitcnt_vscnt null, 0x0
	s_barrier
	buffer_gl0_inv
	v_cmpx_lt_i32_e32 23, v11
	s_cbranch_execz .LBB124_599
; %bb.597:
	s_clause 0x3
	buffer_load_dword v15, off, s[0:3], 0 offset:376
	buffer_load_dword v16, off, s[0:3], 0 offset:380
	;; [unrolled: 1-line block ×4, first 2 shown]
	s_movk_i32 s16, 0x180
	s_waitcnt vmcnt(2)
	v_mul_f64 v[19:20], v[2:3], v[15:16]
	v_mul_f64 v[15:16], v[0:1], v[15:16]
	s_waitcnt vmcnt(0)
	v_fma_f64 v[0:1], v[0:1], v[17:18], -v[19:20]
	v_fma_f64 v[2:3], v[2:3], v[17:18], v[15:16]
	buffer_store_dword v0, off, s[0:3], 0 offset:368
	buffer_store_dword v1, off, s[0:3], 0 offset:372
	;; [unrolled: 1-line block ×4, first 2 shown]
.LBB124_598:                            ; =>This Inner Loop Header: Depth=1
	s_clause 0x3
	buffer_load_dword v19, off, s[0:3], 0 offset:376
	buffer_load_dword v20, off, s[0:3], 0 offset:380
	;; [unrolled: 1-line block ×4, first 2 shown]
	v_mov_b32_e32 v4, s16
	v_add_nc_u32_e32 v10, s16, v12
	s_add_i32 s16, s16, 48
	s_clause 0x3
	buffer_load_dword v23, v4, s[0:3], 0 offen
	buffer_load_dword v24, v4, s[0:3], 0 offen offset:4
	buffer_load_dword v25, v4, s[0:3], 0 offen offset:8
	;; [unrolled: 1-line block ×3, first 2 shown]
	ds_read2_b64 v[0:3], v10 offset1:1
	ds_read2_b64 v[15:18], v10 offset0:2 offset1:3
	s_cmpk_lg_i32 s16, 0x3f0
	s_waitcnt vmcnt(6) lgkmcnt(1)
	v_mul_f64 v[27:28], v[2:3], v[19:20]
	v_mul_f64 v[19:20], v[0:1], v[19:20]
	s_waitcnt vmcnt(4)
	v_fma_f64 v[0:1], v[0:1], v[21:22], -v[27:28]
	v_fma_f64 v[2:3], v[2:3], v[21:22], v[19:20]
	s_clause 0x3
	buffer_load_dword v19, v4, s[0:3], 0 offen offset:16
	buffer_load_dword v20, v4, s[0:3], 0 offen offset:20
	;; [unrolled: 1-line block ×4, first 2 shown]
	s_waitcnt vmcnt(6)
	v_add_f64 v[0:1], v[23:24], -v[0:1]
	s_waitcnt vmcnt(4)
	v_add_f64 v[2:3], v[25:26], -v[2:3]
	buffer_store_dword v1, v4, s[0:3], 0 offen offset:4
	buffer_store_dword v0, v4, s[0:3], 0 offen
	buffer_store_dword v3, v4, s[0:3], 0 offen offset:12
	buffer_store_dword v2, v4, s[0:3], 0 offen offset:8
	s_clause 0x3
	buffer_load_dword v1, off, s[0:3], 0 offset:380
	buffer_load_dword v0, off, s[0:3], 0 offset:376
	;; [unrolled: 1-line block ×4, first 2 shown]
	s_waitcnt vmcnt(2) lgkmcnt(0)
	v_mul_f64 v[23:24], v[17:18], v[0:1]
	v_mul_f64 v[0:1], v[15:16], v[0:1]
	s_waitcnt vmcnt(0)
	v_fma_f64 v[15:16], v[15:16], v[2:3], -v[23:24]
	v_fma_f64 v[0:1], v[17:18], v[2:3], v[0:1]
	v_add_f64 v[2:3], v[19:20], -v[15:16]
	v_add_f64 v[0:1], v[21:22], -v[0:1]
	s_clause 0x3
	buffer_load_dword v15, v4, s[0:3], 0 offen offset:32
	buffer_load_dword v16, v4, s[0:3], 0 offen offset:36
	;; [unrolled: 1-line block ×4, first 2 shown]
	buffer_store_dword v3, v4, s[0:3], 0 offen offset:20
	buffer_store_dword v2, v4, s[0:3], 0 offen offset:16
	;; [unrolled: 1-line block ×4, first 2 shown]
	s_clause 0x3
	buffer_load_dword v19, off, s[0:3], 0 offset:376
	buffer_load_dword v20, off, s[0:3], 0 offset:380
	;; [unrolled: 1-line block ×4, first 2 shown]
	ds_read2_b64 v[0:3], v10 offset0:4 offset1:5
	s_waitcnt vmcnt(2) lgkmcnt(0)
	v_mul_f64 v[23:24], v[2:3], v[19:20]
	v_mul_f64 v[19:20], v[0:1], v[19:20]
	s_waitcnt vmcnt(0)
	v_fma_f64 v[0:1], v[0:1], v[21:22], -v[23:24]
	v_fma_f64 v[2:3], v[2:3], v[21:22], v[19:20]
	v_add_f64 v[0:1], v[15:16], -v[0:1]
	v_add_f64 v[2:3], v[17:18], -v[2:3]
	buffer_store_dword v1, v4, s[0:3], 0 offen offset:36
	buffer_store_dword v0, v4, s[0:3], 0 offen offset:32
	;; [unrolled: 1-line block ×4, first 2 shown]
	s_cbranch_scc1 .LBB124_598
.LBB124_599:
	s_or_b32 exec_lo, exec_lo, s4
	v_mov_b32_e32 v3, s59
	s_waitcnt_vscnt null, 0x0
	s_barrier
	buffer_gl0_inv
	v_lshl_add_u32 v4, v11, 4, v12
	s_clause 0x3
	buffer_load_dword v0, v3, s[0:3], 0 offen
	buffer_load_dword v1, v3, s[0:3], 0 offen offset:4
	buffer_load_dword v2, v3, s[0:3], 0 offen offset:8
	;; [unrolled: 1-line block ×3, first 2 shown]
	s_cmp_lt_i32 s57, 26
	s_waitcnt vmcnt(0)
	ds_write2_b64 v4, v[0:1], v[2:3] offset1:1
	s_waitcnt lgkmcnt(0)
	s_barrier
	buffer_gl0_inv
	ds_read2_b64 v[0:3], v12 offset0:48 offset1:49
	v_mov_b32_e32 v4, 24
	s_cbranch_scc1 .LBB124_602
; %bb.600:
	v_add3_u32 v10, v14, 0, 0x190
	v_mov_b32_e32 v4, 24
	s_mov_b32 s16, 25
	s_inst_prefetch 0x1
	.p2align	6
.LBB124_601:                            ; =>This Inner Loop Header: Depth=1
	s_waitcnt lgkmcnt(0)
	v_cmp_gt_f64_e32 vcc_lo, 0, v[2:3]
	v_cmp_gt_f64_e64 s4, 0, v[0:1]
	ds_read2_b64 v[15:18], v10 offset1:1
	v_xor_b32_e32 v20, 0x80000000, v1
	v_xor_b32_e32 v22, 0x80000000, v3
	v_mov_b32_e32 v19, v0
	v_mov_b32_e32 v21, v2
	v_add_nc_u32_e32 v10, 16, v10
	s_waitcnt lgkmcnt(0)
	v_xor_b32_e32 v24, 0x80000000, v18
	v_cndmask_b32_e64 v20, v1, v20, s4
	v_cndmask_b32_e32 v22, v3, v22, vcc_lo
	v_cmp_gt_f64_e32 vcc_lo, 0, v[17:18]
	v_cmp_gt_f64_e64 s4, 0, v[15:16]
	v_mov_b32_e32 v23, v17
	v_add_f64 v[19:20], v[19:20], v[21:22]
	v_xor_b32_e32 v22, 0x80000000, v16
	v_mov_b32_e32 v21, v15
	v_cndmask_b32_e32 v24, v18, v24, vcc_lo
	v_cndmask_b32_e64 v22, v16, v22, s4
	v_add_f64 v[21:22], v[21:22], v[23:24]
	v_cmp_lt_f64_e32 vcc_lo, v[19:20], v[21:22]
	v_cndmask_b32_e32 v1, v1, v16, vcc_lo
	v_cndmask_b32_e32 v0, v0, v15, vcc_lo
	;; [unrolled: 1-line block ×4, first 2 shown]
	v_cndmask_b32_e64 v4, v4, s16, vcc_lo
	s_add_i32 s16, s16, 1
	s_cmp_lg_u32 s57, s16
	s_cbranch_scc1 .LBB124_601
.LBB124_602:
	s_inst_prefetch 0x2
	s_waitcnt lgkmcnt(0)
	v_cmp_eq_f64_e32 vcc_lo, 0, v[0:1]
	v_cmp_eq_f64_e64 s4, 0, v[2:3]
	s_and_b32 s4, vcc_lo, s4
	s_and_saveexec_b32 s16, s4
	s_xor_b32 s4, exec_lo, s16
; %bb.603:
	v_cmp_ne_u32_e32 vcc_lo, 0, v13
	v_cndmask_b32_e32 v13, 25, v13, vcc_lo
; %bb.604:
	s_andn2_saveexec_b32 s4, s4
	s_cbranch_execz .LBB124_610
; %bb.605:
	v_cmp_ngt_f64_e64 s16, |v[0:1]|, |v[2:3]|
	s_and_saveexec_b32 s17, s16
	s_xor_b32 s16, exec_lo, s17
	s_cbranch_execz .LBB124_607
; %bb.606:
	v_div_scale_f64 v[15:16], null, v[2:3], v[2:3], v[0:1]
	v_div_scale_f64 v[21:22], vcc_lo, v[0:1], v[2:3], v[0:1]
	v_rcp_f64_e32 v[17:18], v[15:16]
	v_fma_f64 v[19:20], -v[15:16], v[17:18], 1.0
	v_fma_f64 v[17:18], v[17:18], v[19:20], v[17:18]
	v_fma_f64 v[19:20], -v[15:16], v[17:18], 1.0
	v_fma_f64 v[17:18], v[17:18], v[19:20], v[17:18]
	v_mul_f64 v[19:20], v[21:22], v[17:18]
	v_fma_f64 v[15:16], -v[15:16], v[19:20], v[21:22]
	v_div_fmas_f64 v[15:16], v[15:16], v[17:18], v[19:20]
	v_div_fixup_f64 v[15:16], v[15:16], v[2:3], v[0:1]
	v_fma_f64 v[0:1], v[0:1], v[15:16], v[2:3]
	v_div_scale_f64 v[2:3], null, v[0:1], v[0:1], 1.0
	v_rcp_f64_e32 v[17:18], v[2:3]
	v_fma_f64 v[19:20], -v[2:3], v[17:18], 1.0
	v_fma_f64 v[17:18], v[17:18], v[19:20], v[17:18]
	v_fma_f64 v[19:20], -v[2:3], v[17:18], 1.0
	v_fma_f64 v[17:18], v[17:18], v[19:20], v[17:18]
	v_div_scale_f64 v[19:20], vcc_lo, 1.0, v[0:1], 1.0
	v_mul_f64 v[21:22], v[19:20], v[17:18]
	v_fma_f64 v[2:3], -v[2:3], v[21:22], v[19:20]
	v_div_fmas_f64 v[2:3], v[2:3], v[17:18], v[21:22]
	v_div_fixup_f64 v[2:3], v[2:3], v[0:1], 1.0
	v_mul_f64 v[0:1], v[15:16], v[2:3]
	v_xor_b32_e32 v3, 0x80000000, v3
.LBB124_607:
	s_andn2_saveexec_b32 s16, s16
	s_cbranch_execz .LBB124_609
; %bb.608:
	v_div_scale_f64 v[15:16], null, v[0:1], v[0:1], v[2:3]
	v_div_scale_f64 v[21:22], vcc_lo, v[2:3], v[0:1], v[2:3]
	v_rcp_f64_e32 v[17:18], v[15:16]
	v_fma_f64 v[19:20], -v[15:16], v[17:18], 1.0
	v_fma_f64 v[17:18], v[17:18], v[19:20], v[17:18]
	v_fma_f64 v[19:20], -v[15:16], v[17:18], 1.0
	v_fma_f64 v[17:18], v[17:18], v[19:20], v[17:18]
	v_mul_f64 v[19:20], v[21:22], v[17:18]
	v_fma_f64 v[15:16], -v[15:16], v[19:20], v[21:22]
	v_div_fmas_f64 v[15:16], v[15:16], v[17:18], v[19:20]
	v_div_fixup_f64 v[15:16], v[15:16], v[0:1], v[2:3]
	v_fma_f64 v[0:1], v[2:3], v[15:16], v[0:1]
	v_div_scale_f64 v[2:3], null, v[0:1], v[0:1], 1.0
	v_rcp_f64_e32 v[17:18], v[2:3]
	v_fma_f64 v[19:20], -v[2:3], v[17:18], 1.0
	v_fma_f64 v[17:18], v[17:18], v[19:20], v[17:18]
	v_fma_f64 v[19:20], -v[2:3], v[17:18], 1.0
	v_fma_f64 v[17:18], v[17:18], v[19:20], v[17:18]
	v_div_scale_f64 v[19:20], vcc_lo, 1.0, v[0:1], 1.0
	v_mul_f64 v[21:22], v[19:20], v[17:18]
	v_fma_f64 v[2:3], -v[2:3], v[21:22], v[19:20]
	v_div_fmas_f64 v[2:3], v[2:3], v[17:18], v[21:22]
	v_div_fixup_f64 v[0:1], v[2:3], v[0:1], 1.0
	v_mul_f64 v[2:3], v[15:16], -v[0:1]
.LBB124_609:
	s_or_b32 exec_lo, exec_lo, s16
.LBB124_610:
	s_or_b32 exec_lo, exec_lo, s4
	s_mov_b32 s4, exec_lo
	v_cmpx_ne_u32_e64 v11, v4
	s_xor_b32 s4, exec_lo, s4
	s_cbranch_execz .LBB124_616
; %bb.611:
	s_mov_b32 s16, exec_lo
	v_cmpx_eq_u32_e32 24, v11
	s_cbranch_execz .LBB124_615
; %bb.612:
	v_cmp_ne_u32_e32 vcc_lo, 24, v4
	s_xor_b32 s17, s20, -1
	s_and_b32 s56, s17, vcc_lo
	s_and_saveexec_b32 s17, s56
	s_cbranch_execz .LBB124_614
; %bb.613:
	v_ashrrev_i32_e32 v5, 31, v4
	v_lshlrev_b64 v[10:11], 2, v[4:5]
	v_add_co_u32 v10, vcc_lo, v8, v10
	v_add_co_ci_u32_e64 v11, null, v9, v11, vcc_lo
	s_clause 0x1
	global_load_dword v5, v[10:11], off
	global_load_dword v15, v[8:9], off offset:96
	s_waitcnt vmcnt(1)
	global_store_dword v[8:9], v5, off offset:96
	s_waitcnt vmcnt(0)
	global_store_dword v[10:11], v15, off
.LBB124_614:
	s_or_b32 exec_lo, exec_lo, s17
	v_mov_b32_e32 v11, v4
	v_mov_b32_e32 v5, v4
.LBB124_615:
	s_or_b32 exec_lo, exec_lo, s16
.LBB124_616:
	s_andn2_saveexec_b32 s4, s4
	s_cbranch_execz .LBB124_620
; %bb.617:
	s_movk_i32 s16, 0x190
	.p2align	6
.LBB124_618:                            ; =>This Inner Loop Header: Depth=1
	v_mov_b32_e32 v4, s16
	s_clause 0x7
	buffer_load_dword v10, v4, s[0:3], 0 offen
	buffer_load_dword v11, v4, s[0:3], 0 offen offset:4
	buffer_load_dword v15, v4, s[0:3], 0 offen offset:8
	buffer_load_dword v16, v4, s[0:3], 0 offen offset:12
	buffer_load_dword v17, v4, s[0:3], 0 offen offset:16
	buffer_load_dword v18, v4, s[0:3], 0 offen offset:20
	buffer_load_dword v19, v4, s[0:3], 0 offen offset:24
	buffer_load_dword v20, v4, s[0:3], 0 offen offset:28
	v_add_nc_u32_e32 v4, s16, v12
	s_add_i32 s16, s16, 32
	s_waitcnt vmcnt(4)
	ds_write2_b64 v4, v[10:11], v[15:16] offset1:1
	s_waitcnt vmcnt(0)
	ds_write2_b64 v4, v[17:18], v[19:20] offset0:2 offset1:3
	s_cmpk_eq_i32 s16, 0x3f0
	s_cbranch_scc0 .LBB124_618
; %bb.619:
	v_mov_b32_e32 v11, 24
.LBB124_620:
	s_or_b32 exec_lo, exec_lo, s4
	s_mov_b32 s4, exec_lo
	s_waitcnt lgkmcnt(0)
	s_waitcnt_vscnt null, 0x0
	s_barrier
	buffer_gl0_inv
	v_cmpx_lt_i32_e32 24, v11
	s_cbranch_execz .LBB124_623
; %bb.621:
	s_clause 0x3
	buffer_load_dword v15, off, s[0:3], 0 offset:392
	buffer_load_dword v16, off, s[0:3], 0 offset:396
	buffer_load_dword v17, off, s[0:3], 0 offset:384
	buffer_load_dword v18, off, s[0:3], 0 offset:388
	s_movk_i32 s16, 0x190
	s_waitcnt vmcnt(2)
	v_mul_f64 v[19:20], v[2:3], v[15:16]
	v_mul_f64 v[15:16], v[0:1], v[15:16]
	s_waitcnt vmcnt(0)
	v_fma_f64 v[0:1], v[0:1], v[17:18], -v[19:20]
	v_fma_f64 v[2:3], v[2:3], v[17:18], v[15:16]
	buffer_store_dword v0, off, s[0:3], 0 offset:384
	buffer_store_dword v1, off, s[0:3], 0 offset:388
	;; [unrolled: 1-line block ×4, first 2 shown]
.LBB124_622:                            ; =>This Inner Loop Header: Depth=1
	s_clause 0x3
	buffer_load_dword v19, off, s[0:3], 0 offset:392
	buffer_load_dword v20, off, s[0:3], 0 offset:396
	;; [unrolled: 1-line block ×4, first 2 shown]
	v_mov_b32_e32 v4, s16
	v_add_nc_u32_e32 v10, s16, v12
	s_add_i32 s16, s16, 32
	s_clause 0x3
	buffer_load_dword v23, v4, s[0:3], 0 offen
	buffer_load_dword v24, v4, s[0:3], 0 offen offset:4
	buffer_load_dword v25, v4, s[0:3], 0 offen offset:8
	;; [unrolled: 1-line block ×3, first 2 shown]
	ds_read2_b64 v[0:3], v10 offset1:1
	ds_read2_b64 v[15:18], v10 offset0:2 offset1:3
	s_cmpk_lg_i32 s16, 0x3f0
	s_waitcnt vmcnt(6) lgkmcnt(1)
	v_mul_f64 v[27:28], v[2:3], v[19:20]
	v_mul_f64 v[19:20], v[0:1], v[19:20]
	s_waitcnt vmcnt(4)
	v_fma_f64 v[0:1], v[0:1], v[21:22], -v[27:28]
	v_fma_f64 v[2:3], v[2:3], v[21:22], v[19:20]
	s_clause 0x3
	buffer_load_dword v19, v4, s[0:3], 0 offen offset:16
	buffer_load_dword v20, v4, s[0:3], 0 offen offset:20
	;; [unrolled: 1-line block ×4, first 2 shown]
	s_waitcnt vmcnt(6)
	v_add_f64 v[0:1], v[23:24], -v[0:1]
	s_waitcnt vmcnt(4)
	v_add_f64 v[2:3], v[25:26], -v[2:3]
	buffer_store_dword v1, v4, s[0:3], 0 offen offset:4
	buffer_store_dword v0, v4, s[0:3], 0 offen
	buffer_store_dword v3, v4, s[0:3], 0 offen offset:12
	buffer_store_dword v2, v4, s[0:3], 0 offen offset:8
	s_clause 0x3
	buffer_load_dword v1, off, s[0:3], 0 offset:396
	buffer_load_dword v0, off, s[0:3], 0 offset:392
	;; [unrolled: 1-line block ×4, first 2 shown]
	s_waitcnt vmcnt(2) lgkmcnt(0)
	v_mul_f64 v[23:24], v[17:18], v[0:1]
	v_mul_f64 v[0:1], v[15:16], v[0:1]
	s_waitcnt vmcnt(0)
	v_fma_f64 v[15:16], v[15:16], v[2:3], -v[23:24]
	v_fma_f64 v[0:1], v[17:18], v[2:3], v[0:1]
	v_add_f64 v[2:3], v[19:20], -v[15:16]
	v_add_f64 v[0:1], v[21:22], -v[0:1]
	buffer_store_dword v3, v4, s[0:3], 0 offen offset:20
	buffer_store_dword v2, v4, s[0:3], 0 offen offset:16
	;; [unrolled: 1-line block ×4, first 2 shown]
	s_cbranch_scc1 .LBB124_622
.LBB124_623:
	s_or_b32 exec_lo, exec_lo, s4
	v_mov_b32_e32 v3, s58
	s_waitcnt_vscnt null, 0x0
	s_barrier
	buffer_gl0_inv
	v_lshl_add_u32 v4, v11, 4, v12
	s_clause 0x3
	buffer_load_dword v0, v3, s[0:3], 0 offen
	buffer_load_dword v1, v3, s[0:3], 0 offen offset:4
	buffer_load_dword v2, v3, s[0:3], 0 offen offset:8
	;; [unrolled: 1-line block ×3, first 2 shown]
	s_cmp_lt_i32 s57, 27
	s_waitcnt vmcnt(0)
	ds_write2_b64 v4, v[0:1], v[2:3] offset1:1
	s_waitcnt lgkmcnt(0)
	s_barrier
	buffer_gl0_inv
	ds_read2_b64 v[0:3], v12 offset0:50 offset1:51
	v_mov_b32_e32 v4, 25
	s_cbranch_scc1 .LBB124_626
; %bb.624:
	v_add3_u32 v10, v14, 0, 0x1a0
	v_mov_b32_e32 v4, 25
	s_mov_b32 s16, 26
	s_inst_prefetch 0x1
	.p2align	6
.LBB124_625:                            ; =>This Inner Loop Header: Depth=1
	s_waitcnt lgkmcnt(0)
	v_cmp_gt_f64_e32 vcc_lo, 0, v[2:3]
	v_cmp_gt_f64_e64 s4, 0, v[0:1]
	ds_read2_b64 v[15:18], v10 offset1:1
	v_xor_b32_e32 v20, 0x80000000, v1
	v_xor_b32_e32 v22, 0x80000000, v3
	v_mov_b32_e32 v19, v0
	v_mov_b32_e32 v21, v2
	v_add_nc_u32_e32 v10, 16, v10
	s_waitcnt lgkmcnt(0)
	v_xor_b32_e32 v24, 0x80000000, v18
	v_cndmask_b32_e64 v20, v1, v20, s4
	v_cndmask_b32_e32 v22, v3, v22, vcc_lo
	v_cmp_gt_f64_e32 vcc_lo, 0, v[17:18]
	v_cmp_gt_f64_e64 s4, 0, v[15:16]
	v_mov_b32_e32 v23, v17
	v_add_f64 v[19:20], v[19:20], v[21:22]
	v_xor_b32_e32 v22, 0x80000000, v16
	v_mov_b32_e32 v21, v15
	v_cndmask_b32_e32 v24, v18, v24, vcc_lo
	v_cndmask_b32_e64 v22, v16, v22, s4
	v_add_f64 v[21:22], v[21:22], v[23:24]
	v_cmp_lt_f64_e32 vcc_lo, v[19:20], v[21:22]
	v_cndmask_b32_e32 v1, v1, v16, vcc_lo
	v_cndmask_b32_e32 v0, v0, v15, vcc_lo
	;; [unrolled: 1-line block ×4, first 2 shown]
	v_cndmask_b32_e64 v4, v4, s16, vcc_lo
	s_add_i32 s16, s16, 1
	s_cmp_lg_u32 s57, s16
	s_cbranch_scc1 .LBB124_625
.LBB124_626:
	s_inst_prefetch 0x2
	s_waitcnt lgkmcnt(0)
	v_cmp_eq_f64_e32 vcc_lo, 0, v[0:1]
	v_cmp_eq_f64_e64 s4, 0, v[2:3]
	s_and_b32 s4, vcc_lo, s4
	s_and_saveexec_b32 s16, s4
	s_xor_b32 s4, exec_lo, s16
; %bb.627:
	v_cmp_ne_u32_e32 vcc_lo, 0, v13
	v_cndmask_b32_e32 v13, 26, v13, vcc_lo
; %bb.628:
	s_andn2_saveexec_b32 s4, s4
	s_cbranch_execz .LBB124_634
; %bb.629:
	v_cmp_ngt_f64_e64 s16, |v[0:1]|, |v[2:3]|
	s_and_saveexec_b32 s17, s16
	s_xor_b32 s16, exec_lo, s17
	s_cbranch_execz .LBB124_631
; %bb.630:
	v_div_scale_f64 v[15:16], null, v[2:3], v[2:3], v[0:1]
	v_div_scale_f64 v[21:22], vcc_lo, v[0:1], v[2:3], v[0:1]
	v_rcp_f64_e32 v[17:18], v[15:16]
	v_fma_f64 v[19:20], -v[15:16], v[17:18], 1.0
	v_fma_f64 v[17:18], v[17:18], v[19:20], v[17:18]
	v_fma_f64 v[19:20], -v[15:16], v[17:18], 1.0
	v_fma_f64 v[17:18], v[17:18], v[19:20], v[17:18]
	v_mul_f64 v[19:20], v[21:22], v[17:18]
	v_fma_f64 v[15:16], -v[15:16], v[19:20], v[21:22]
	v_div_fmas_f64 v[15:16], v[15:16], v[17:18], v[19:20]
	v_div_fixup_f64 v[15:16], v[15:16], v[2:3], v[0:1]
	v_fma_f64 v[0:1], v[0:1], v[15:16], v[2:3]
	v_div_scale_f64 v[2:3], null, v[0:1], v[0:1], 1.0
	v_rcp_f64_e32 v[17:18], v[2:3]
	v_fma_f64 v[19:20], -v[2:3], v[17:18], 1.0
	v_fma_f64 v[17:18], v[17:18], v[19:20], v[17:18]
	v_fma_f64 v[19:20], -v[2:3], v[17:18], 1.0
	v_fma_f64 v[17:18], v[17:18], v[19:20], v[17:18]
	v_div_scale_f64 v[19:20], vcc_lo, 1.0, v[0:1], 1.0
	v_mul_f64 v[21:22], v[19:20], v[17:18]
	v_fma_f64 v[2:3], -v[2:3], v[21:22], v[19:20]
	v_div_fmas_f64 v[2:3], v[2:3], v[17:18], v[21:22]
	v_div_fixup_f64 v[2:3], v[2:3], v[0:1], 1.0
	v_mul_f64 v[0:1], v[15:16], v[2:3]
	v_xor_b32_e32 v3, 0x80000000, v3
.LBB124_631:
	s_andn2_saveexec_b32 s16, s16
	s_cbranch_execz .LBB124_633
; %bb.632:
	v_div_scale_f64 v[15:16], null, v[0:1], v[0:1], v[2:3]
	v_div_scale_f64 v[21:22], vcc_lo, v[2:3], v[0:1], v[2:3]
	v_rcp_f64_e32 v[17:18], v[15:16]
	v_fma_f64 v[19:20], -v[15:16], v[17:18], 1.0
	v_fma_f64 v[17:18], v[17:18], v[19:20], v[17:18]
	v_fma_f64 v[19:20], -v[15:16], v[17:18], 1.0
	v_fma_f64 v[17:18], v[17:18], v[19:20], v[17:18]
	v_mul_f64 v[19:20], v[21:22], v[17:18]
	v_fma_f64 v[15:16], -v[15:16], v[19:20], v[21:22]
	v_div_fmas_f64 v[15:16], v[15:16], v[17:18], v[19:20]
	v_div_fixup_f64 v[15:16], v[15:16], v[0:1], v[2:3]
	v_fma_f64 v[0:1], v[2:3], v[15:16], v[0:1]
	v_div_scale_f64 v[2:3], null, v[0:1], v[0:1], 1.0
	v_rcp_f64_e32 v[17:18], v[2:3]
	v_fma_f64 v[19:20], -v[2:3], v[17:18], 1.0
	v_fma_f64 v[17:18], v[17:18], v[19:20], v[17:18]
	v_fma_f64 v[19:20], -v[2:3], v[17:18], 1.0
	v_fma_f64 v[17:18], v[17:18], v[19:20], v[17:18]
	v_div_scale_f64 v[19:20], vcc_lo, 1.0, v[0:1], 1.0
	v_mul_f64 v[21:22], v[19:20], v[17:18]
	v_fma_f64 v[2:3], -v[2:3], v[21:22], v[19:20]
	v_div_fmas_f64 v[2:3], v[2:3], v[17:18], v[21:22]
	v_div_fixup_f64 v[0:1], v[2:3], v[0:1], 1.0
	v_mul_f64 v[2:3], v[15:16], -v[0:1]
.LBB124_633:
	s_or_b32 exec_lo, exec_lo, s16
.LBB124_634:
	s_or_b32 exec_lo, exec_lo, s4
	s_mov_b32 s4, exec_lo
	v_cmpx_ne_u32_e64 v11, v4
	s_xor_b32 s4, exec_lo, s4
	s_cbranch_execz .LBB124_640
; %bb.635:
	s_mov_b32 s16, exec_lo
	v_cmpx_eq_u32_e32 25, v11
	s_cbranch_execz .LBB124_639
; %bb.636:
	v_cmp_ne_u32_e32 vcc_lo, 25, v4
	s_xor_b32 s17, s20, -1
	s_and_b32 s56, s17, vcc_lo
	s_and_saveexec_b32 s17, s56
	s_cbranch_execz .LBB124_638
; %bb.637:
	v_ashrrev_i32_e32 v5, 31, v4
	v_lshlrev_b64 v[10:11], 2, v[4:5]
	v_add_co_u32 v10, vcc_lo, v8, v10
	v_add_co_ci_u32_e64 v11, null, v9, v11, vcc_lo
	s_clause 0x1
	global_load_dword v5, v[10:11], off
	global_load_dword v15, v[8:9], off offset:100
	s_waitcnt vmcnt(1)
	global_store_dword v[8:9], v5, off offset:100
	s_waitcnt vmcnt(0)
	global_store_dword v[10:11], v15, off
.LBB124_638:
	s_or_b32 exec_lo, exec_lo, s17
	v_mov_b32_e32 v11, v4
	v_mov_b32_e32 v5, v4
.LBB124_639:
	s_or_b32 exec_lo, exec_lo, s16
.LBB124_640:
	s_andn2_saveexec_b32 s4, s4
	s_cbranch_execz .LBB124_646
; %bb.641:
	v_add3_u32 v4, v14, 0, 0x1a0
	s_mov_b32 s16, 0
	s_branch .LBB124_643
.LBB124_642:                            ;   in Loop: Header=BB124_643 Depth=1
	s_andn2_b32 vcc_lo, exec_lo, s56
	s_cbranch_vccz .LBB124_645
.LBB124_643:                            ; =>This Inner Loop Header: Depth=1
	s_add_i32 s17, s55, s16
	s_mov_b32 s56, -1
	v_mov_b32_e32 v10, s17
	s_cmpk_eq_i32 s16, 0x200
	s_clause 0x13
	buffer_load_dword v15, v10, s[0:3], 0 offen
	buffer_load_dword v16, v10, s[0:3], 0 offen offset:4
	buffer_load_dword v17, v10, s[0:3], 0 offen offset:8
	;; [unrolled: 1-line block ×19, first 2 shown]
	v_add_nc_u32_e32 v10, s16, v4
	s_waitcnt vmcnt(16)
	ds_write2_b64 v10, v[15:16], v[17:18] offset1:1
	s_waitcnt vmcnt(12)
	ds_write2_b64 v10, v[19:20], v[21:22] offset0:2 offset1:3
	s_waitcnt vmcnt(8)
	ds_write2_b64 v10, v[23:24], v[25:26] offset0:4 offset1:5
	;; [unrolled: 2-line block ×4, first 2 shown]
	s_cbranch_scc1 .LBB124_642
; %bb.644:                              ;   in Loop: Header=BB124_643 Depth=1
	v_mov_b32_e32 v11, s17
	s_addk_i32 s16, 0x80
	s_mov_b32 s56, 0
	s_clause 0xb
	buffer_load_dword v15, v11, s[0:3], 0 offen offset:80
	buffer_load_dword v16, v11, s[0:3], 0 offen offset:84
	;; [unrolled: 1-line block ×12, first 2 shown]
	s_waitcnt vmcnt(8)
	ds_write2_b64 v10, v[15:16], v[17:18] offset0:10 offset1:11
	s_waitcnt vmcnt(4)
	ds_write2_b64 v10, v[19:20], v[21:22] offset0:12 offset1:13
	;; [unrolled: 2-line block ×3, first 2 shown]
	s_branch .LBB124_642
.LBB124_645:
	v_mov_b32_e32 v11, 25
.LBB124_646:
	s_or_b32 exec_lo, exec_lo, s4
	s_mov_b32 s4, exec_lo
	s_waitcnt lgkmcnt(0)
	s_waitcnt_vscnt null, 0x0
	s_barrier
	buffer_gl0_inv
	v_cmpx_lt_i32_e32 25, v11
	s_cbranch_execz .LBB124_651
; %bb.647:
	s_clause 0x3
	buffer_load_dword v15, off, s[0:3], 0 offset:408
	buffer_load_dword v16, off, s[0:3], 0 offset:412
	;; [unrolled: 1-line block ×4, first 2 shown]
	s_movk_i32 s82, 0x1a0
	s_waitcnt vmcnt(2)
	v_mul_f64 v[19:20], v[2:3], v[15:16]
	v_mul_f64 v[15:16], v[0:1], v[15:16]
	s_waitcnt vmcnt(0)
	v_fma_f64 v[0:1], v[0:1], v[17:18], -v[19:20]
	v_fma_f64 v[2:3], v[2:3], v[17:18], v[15:16]
	buffer_store_dword v0, off, s[0:3], 0 offset:400
	buffer_store_dword v1, off, s[0:3], 0 offset:404
	;; [unrolled: 1-line block ×4, first 2 shown]
	s_branch .LBB124_649
.LBB124_648:                            ;   in Loop: Header=BB124_649 Depth=1
	s_andn2_b32 vcc_lo, exec_lo, s17
	s_cbranch_vccz .LBB124_651
.LBB124_649:                            ; =>This Inner Loop Header: Depth=1
	v_mov_b32_e32 v10, s82
	v_add_nc_u32_e32 v4, s82, v12
	s_mov_b32 s16, s82
	s_mov_b32 s17, -1
	s_cmpk_eq_i32 s82, 0x3e0
	s_clause 0x3
	buffer_load_dword v19, v10, s[0:3], 0 offen
	buffer_load_dword v20, v10, s[0:3], 0 offen offset:4
	buffer_load_dword v21, v10, s[0:3], 0 offen offset:8
	;; [unrolled: 1-line block ×3, first 2 shown]
	ds_read2_b64 v[15:18], v4 offset1:1
	s_waitcnt vmcnt(4) lgkmcnt(0)
	v_mul_f64 v[23:24], v[17:18], v[2:3]
	v_mul_f64 v[2:3], v[15:16], v[2:3]
	v_fma_f64 v[15:16], v[15:16], v[0:1], -v[23:24]
	v_fma_f64 v[0:1], v[17:18], v[0:1], v[2:3]
	s_waitcnt vmcnt(2)
	v_add_f64 v[2:3], v[19:20], -v[15:16]
	s_waitcnt vmcnt(0)
	v_add_f64 v[0:1], v[21:22], -v[0:1]
	buffer_store_dword v2, v10, s[0:3], 0 offen
	buffer_store_dword v3, v10, s[0:3], 0 offen offset:4
	buffer_store_dword v0, v10, s[0:3], 0 offen offset:8
	;; [unrolled: 1-line block ×3, first 2 shown]
                                        ; implicit-def: $vgpr0_vgpr1
                                        ; implicit-def: $vgpr2_vgpr3
	s_cbranch_scc1 .LBB124_648
; %bb.650:                              ;   in Loop: Header=BB124_649 Depth=1
	s_clause 0x3
	buffer_load_dword v19, off, s[0:3], 0 offset:408
	buffer_load_dword v20, off, s[0:3], 0 offset:412
	;; [unrolled: 1-line block ×4, first 2 shown]
	v_mov_b32_e32 v10, s16
	s_add_i32 s82, s82, 64
	s_mov_b32 s17, 0
	s_clause 0x3
	buffer_load_dword v23, v10, s[0:3], 0 offen offset:16
	buffer_load_dword v24, v10, s[0:3], 0 offen offset:20
	;; [unrolled: 1-line block ×4, first 2 shown]
	ds_read2_b64 v[0:3], v4 offset0:2 offset1:3
	ds_read2_b64 v[15:18], v4 offset0:4 offset1:5
	s_waitcnt vmcnt(6) lgkmcnt(1)
	v_mul_f64 v[27:28], v[2:3], v[19:20]
	v_mul_f64 v[19:20], v[0:1], v[19:20]
	s_waitcnt vmcnt(4)
	v_fma_f64 v[0:1], v[0:1], v[21:22], -v[27:28]
	v_fma_f64 v[2:3], v[2:3], v[21:22], v[19:20]
	s_waitcnt vmcnt(2)
	v_add_f64 v[0:1], v[23:24], -v[0:1]
	s_waitcnt vmcnt(0)
	v_add_f64 v[2:3], v[25:26], -v[2:3]
	buffer_store_dword v1, v10, s[0:3], 0 offen offset:20
	buffer_store_dword v0, v10, s[0:3], 0 offen offset:16
	;; [unrolled: 1-line block ×4, first 2 shown]
	s_clause 0x7
	buffer_load_dword v1, v10, s[0:3], 0 offen offset:36
	buffer_load_dword v2, v10, s[0:3], 0 offen offset:40
	buffer_load_dword v3, v10, s[0:3], 0 offen offset:44
	buffer_load_dword v20, off, s[0:3], 0 offset:412
	buffer_load_dword v19, off, s[0:3], 0 offset:408
	;; [unrolled: 1-line block ×4, first 2 shown]
	buffer_load_dword v0, v10, s[0:3], 0 offen offset:32
	s_waitcnt vmcnt(3) lgkmcnt(0)
	v_mul_f64 v[23:24], v[17:18], v[19:20]
	v_mul_f64 v[19:20], v[15:16], v[19:20]
	s_waitcnt vmcnt(1)
	v_fma_f64 v[15:16], v[15:16], v[21:22], -v[23:24]
	v_fma_f64 v[17:18], v[17:18], v[21:22], v[19:20]
	s_waitcnt vmcnt(0)
	v_add_f64 v[0:1], v[0:1], -v[15:16]
	v_add_f64 v[2:3], v[2:3], -v[17:18]
	buffer_store_dword v1, v10, s[0:3], 0 offen offset:36
	buffer_store_dword v0, v10, s[0:3], 0 offen offset:32
	;; [unrolled: 1-line block ×4, first 2 shown]
	s_clause 0x7
	buffer_load_dword v16, v10, s[0:3], 0 offen offset:52
	buffer_load_dword v17, v10, s[0:3], 0 offen offset:56
	;; [unrolled: 1-line block ×3, first 2 shown]
	buffer_load_dword v19, off, s[0:3], 0 offset:408
	buffer_load_dword v20, off, s[0:3], 0 offset:412
	;; [unrolled: 1-line block ×4, first 2 shown]
	buffer_load_dword v15, v10, s[0:3], 0 offen offset:48
	ds_read2_b64 v[0:3], v4 offset0:6 offset1:7
	s_waitcnt vmcnt(3) lgkmcnt(0)
	v_mul_f64 v[23:24], v[2:3], v[19:20]
	v_mul_f64 v[19:20], v[0:1], v[19:20]
	s_waitcnt vmcnt(1)
	v_fma_f64 v[0:1], v[0:1], v[21:22], -v[23:24]
	v_fma_f64 v[2:3], v[2:3], v[21:22], v[19:20]
	s_waitcnt vmcnt(0)
	v_add_f64 v[0:1], v[15:16], -v[0:1]
	v_add_f64 v[2:3], v[17:18], -v[2:3]
	buffer_store_dword v1, v10, s[0:3], 0 offen offset:52
	buffer_store_dword v0, v10, s[0:3], 0 offen offset:48
	;; [unrolled: 1-line block ×4, first 2 shown]
	s_clause 0x3
	buffer_load_dword v0, off, s[0:3], 0 offset:400
	buffer_load_dword v1, off, s[0:3], 0 offset:404
	;; [unrolled: 1-line block ×4, first 2 shown]
	s_branch .LBB124_648
.LBB124_651:
	s_or_b32 exec_lo, exec_lo, s4
	s_waitcnt vmcnt(0)
	v_mov_b32_e32 v3, s55
	s_waitcnt_vscnt null, 0x0
	s_barrier
	buffer_gl0_inv
	v_lshl_add_u32 v4, v11, 4, v12
	s_clause 0x3
	buffer_load_dword v0, v3, s[0:3], 0 offen
	buffer_load_dword v1, v3, s[0:3], 0 offen offset:4
	buffer_load_dword v2, v3, s[0:3], 0 offen offset:8
	;; [unrolled: 1-line block ×3, first 2 shown]
	s_cmp_lt_i32 s57, 28
	s_waitcnt vmcnt(0)
	ds_write2_b64 v4, v[0:1], v[2:3] offset1:1
	s_waitcnt lgkmcnt(0)
	s_barrier
	buffer_gl0_inv
	ds_read2_b64 v[0:3], v12 offset0:52 offset1:53
	v_mov_b32_e32 v4, 26
	s_cbranch_scc1 .LBB124_654
; %bb.652:
	v_add3_u32 v10, v14, 0, 0x1b0
	v_mov_b32_e32 v4, 26
	s_mov_b32 s16, 27
	s_inst_prefetch 0x1
	.p2align	6
.LBB124_653:                            ; =>This Inner Loop Header: Depth=1
	s_waitcnt lgkmcnt(0)
	v_cmp_gt_f64_e32 vcc_lo, 0, v[2:3]
	v_cmp_gt_f64_e64 s4, 0, v[0:1]
	ds_read2_b64 v[15:18], v10 offset1:1
	v_xor_b32_e32 v20, 0x80000000, v1
	v_xor_b32_e32 v22, 0x80000000, v3
	v_mov_b32_e32 v19, v0
	v_mov_b32_e32 v21, v2
	v_add_nc_u32_e32 v10, 16, v10
	s_waitcnt lgkmcnt(0)
	v_xor_b32_e32 v24, 0x80000000, v18
	v_cndmask_b32_e64 v20, v1, v20, s4
	v_cndmask_b32_e32 v22, v3, v22, vcc_lo
	v_cmp_gt_f64_e32 vcc_lo, 0, v[17:18]
	v_cmp_gt_f64_e64 s4, 0, v[15:16]
	v_mov_b32_e32 v23, v17
	v_add_f64 v[19:20], v[19:20], v[21:22]
	v_xor_b32_e32 v22, 0x80000000, v16
	v_mov_b32_e32 v21, v15
	v_cndmask_b32_e32 v24, v18, v24, vcc_lo
	v_cndmask_b32_e64 v22, v16, v22, s4
	v_add_f64 v[21:22], v[21:22], v[23:24]
	v_cmp_lt_f64_e32 vcc_lo, v[19:20], v[21:22]
	v_cndmask_b32_e32 v1, v1, v16, vcc_lo
	v_cndmask_b32_e32 v0, v0, v15, vcc_lo
	;; [unrolled: 1-line block ×4, first 2 shown]
	v_cndmask_b32_e64 v4, v4, s16, vcc_lo
	s_add_i32 s16, s16, 1
	s_cmp_lg_u32 s57, s16
	s_cbranch_scc1 .LBB124_653
.LBB124_654:
	s_inst_prefetch 0x2
	s_waitcnt lgkmcnt(0)
	v_cmp_eq_f64_e32 vcc_lo, 0, v[0:1]
	v_cmp_eq_f64_e64 s4, 0, v[2:3]
	s_and_b32 s4, vcc_lo, s4
	s_and_saveexec_b32 s16, s4
	s_xor_b32 s4, exec_lo, s16
; %bb.655:
	v_cmp_ne_u32_e32 vcc_lo, 0, v13
	v_cndmask_b32_e32 v13, 27, v13, vcc_lo
; %bb.656:
	s_andn2_saveexec_b32 s4, s4
	s_cbranch_execz .LBB124_662
; %bb.657:
	v_cmp_ngt_f64_e64 s16, |v[0:1]|, |v[2:3]|
	s_and_saveexec_b32 s17, s16
	s_xor_b32 s16, exec_lo, s17
	s_cbranch_execz .LBB124_659
; %bb.658:
	v_div_scale_f64 v[15:16], null, v[2:3], v[2:3], v[0:1]
	v_div_scale_f64 v[21:22], vcc_lo, v[0:1], v[2:3], v[0:1]
	v_rcp_f64_e32 v[17:18], v[15:16]
	v_fma_f64 v[19:20], -v[15:16], v[17:18], 1.0
	v_fma_f64 v[17:18], v[17:18], v[19:20], v[17:18]
	v_fma_f64 v[19:20], -v[15:16], v[17:18], 1.0
	v_fma_f64 v[17:18], v[17:18], v[19:20], v[17:18]
	v_mul_f64 v[19:20], v[21:22], v[17:18]
	v_fma_f64 v[15:16], -v[15:16], v[19:20], v[21:22]
	v_div_fmas_f64 v[15:16], v[15:16], v[17:18], v[19:20]
	v_div_fixup_f64 v[15:16], v[15:16], v[2:3], v[0:1]
	v_fma_f64 v[0:1], v[0:1], v[15:16], v[2:3]
	v_div_scale_f64 v[2:3], null, v[0:1], v[0:1], 1.0
	v_rcp_f64_e32 v[17:18], v[2:3]
	v_fma_f64 v[19:20], -v[2:3], v[17:18], 1.0
	v_fma_f64 v[17:18], v[17:18], v[19:20], v[17:18]
	v_fma_f64 v[19:20], -v[2:3], v[17:18], 1.0
	v_fma_f64 v[17:18], v[17:18], v[19:20], v[17:18]
	v_div_scale_f64 v[19:20], vcc_lo, 1.0, v[0:1], 1.0
	v_mul_f64 v[21:22], v[19:20], v[17:18]
	v_fma_f64 v[2:3], -v[2:3], v[21:22], v[19:20]
	v_div_fmas_f64 v[2:3], v[2:3], v[17:18], v[21:22]
	v_div_fixup_f64 v[2:3], v[2:3], v[0:1], 1.0
	v_mul_f64 v[0:1], v[15:16], v[2:3]
	v_xor_b32_e32 v3, 0x80000000, v3
.LBB124_659:
	s_andn2_saveexec_b32 s16, s16
	s_cbranch_execz .LBB124_661
; %bb.660:
	v_div_scale_f64 v[15:16], null, v[0:1], v[0:1], v[2:3]
	v_div_scale_f64 v[21:22], vcc_lo, v[2:3], v[0:1], v[2:3]
	v_rcp_f64_e32 v[17:18], v[15:16]
	v_fma_f64 v[19:20], -v[15:16], v[17:18], 1.0
	v_fma_f64 v[17:18], v[17:18], v[19:20], v[17:18]
	v_fma_f64 v[19:20], -v[15:16], v[17:18], 1.0
	v_fma_f64 v[17:18], v[17:18], v[19:20], v[17:18]
	v_mul_f64 v[19:20], v[21:22], v[17:18]
	v_fma_f64 v[15:16], -v[15:16], v[19:20], v[21:22]
	v_div_fmas_f64 v[15:16], v[15:16], v[17:18], v[19:20]
	v_div_fixup_f64 v[15:16], v[15:16], v[0:1], v[2:3]
	v_fma_f64 v[0:1], v[2:3], v[15:16], v[0:1]
	v_div_scale_f64 v[2:3], null, v[0:1], v[0:1], 1.0
	v_rcp_f64_e32 v[17:18], v[2:3]
	v_fma_f64 v[19:20], -v[2:3], v[17:18], 1.0
	v_fma_f64 v[17:18], v[17:18], v[19:20], v[17:18]
	v_fma_f64 v[19:20], -v[2:3], v[17:18], 1.0
	v_fma_f64 v[17:18], v[17:18], v[19:20], v[17:18]
	v_div_scale_f64 v[19:20], vcc_lo, 1.0, v[0:1], 1.0
	v_mul_f64 v[21:22], v[19:20], v[17:18]
	v_fma_f64 v[2:3], -v[2:3], v[21:22], v[19:20]
	v_div_fmas_f64 v[2:3], v[2:3], v[17:18], v[21:22]
	v_div_fixup_f64 v[0:1], v[2:3], v[0:1], 1.0
	v_mul_f64 v[2:3], v[15:16], -v[0:1]
.LBB124_661:
	s_or_b32 exec_lo, exec_lo, s16
.LBB124_662:
	s_or_b32 exec_lo, exec_lo, s4
	s_mov_b32 s4, exec_lo
	v_cmpx_ne_u32_e64 v11, v4
	s_xor_b32 s4, exec_lo, s4
	s_cbranch_execz .LBB124_668
; %bb.663:
	s_mov_b32 s16, exec_lo
	v_cmpx_eq_u32_e32 26, v11
	s_cbranch_execz .LBB124_667
; %bb.664:
	v_cmp_ne_u32_e32 vcc_lo, 26, v4
	s_xor_b32 s17, s20, -1
	s_and_b32 s56, s17, vcc_lo
	s_and_saveexec_b32 s17, s56
	s_cbranch_execz .LBB124_666
; %bb.665:
	v_ashrrev_i32_e32 v5, 31, v4
	v_lshlrev_b64 v[10:11], 2, v[4:5]
	v_add_co_u32 v10, vcc_lo, v8, v10
	v_add_co_ci_u32_e64 v11, null, v9, v11, vcc_lo
	s_clause 0x1
	global_load_dword v5, v[10:11], off
	global_load_dword v15, v[8:9], off offset:104
	s_waitcnt vmcnt(1)
	global_store_dword v[8:9], v5, off offset:104
	s_waitcnt vmcnt(0)
	global_store_dword v[10:11], v15, off
.LBB124_666:
	s_or_b32 exec_lo, exec_lo, s17
	v_mov_b32_e32 v11, v4
	v_mov_b32_e32 v5, v4
.LBB124_667:
	s_or_b32 exec_lo, exec_lo, s16
.LBB124_668:
	s_andn2_saveexec_b32 s4, s4
	s_cbranch_execz .LBB124_670
; %bb.669:
	v_mov_b32_e32 v4, s54
	v_mov_b32_e32 v10, s53
	;; [unrolled: 1-line block ×5, first 2 shown]
	s_clause 0x7
	buffer_load_dword v15, v4, s[0:3], 0 offen
	buffer_load_dword v16, v4, s[0:3], 0 offen offset:4
	buffer_load_dword v17, v4, s[0:3], 0 offen offset:8
	buffer_load_dword v18, v4, s[0:3], 0 offen offset:12
	buffer_load_dword v19, v10, s[0:3], 0 offen
	buffer_load_dword v20, v10, s[0:3], 0 offen offset:4
	buffer_load_dword v21, v10, s[0:3], 0 offen offset:8
	buffer_load_dword v22, v10, s[0:3], 0 offen offset:12
	v_mov_b32_e32 v10, s50
	v_mov_b32_e32 v4, s8
	s_clause 0x7
	buffer_load_dword v23, v11, s[0:3], 0 offen
	buffer_load_dword v24, v11, s[0:3], 0 offen offset:4
	buffer_load_dword v25, v11, s[0:3], 0 offen offset:8
	buffer_load_dword v26, v11, s[0:3], 0 offen offset:12
	buffer_load_dword v27, v4, s[0:3], 0 offen
	buffer_load_dword v28, v4, s[0:3], 0 offen offset:4
	buffer_load_dword v29, v4, s[0:3], 0 offen offset:8
	buffer_load_dword v30, v4, s[0:3], 0 offen offset:12
	v_mov_b32_e32 v4, s49
	v_mov_b32_e32 v11, s48
	;; [unrolled: 11-line block ×5, first 2 shown]
	s_clause 0x7
	buffer_load_dword v55, v11, s[0:3], 0 offen
	buffer_load_dword v56, v11, s[0:3], 0 offen offset:4
	buffer_load_dword v57, v11, s[0:3], 0 offen offset:8
	buffer_load_dword v58, v11, s[0:3], 0 offen offset:12
	buffer_load_dword v59, v4, s[0:3], 0 offen
	buffer_load_dword v60, v4, s[0:3], 0 offen offset:4
	buffer_load_dword v61, v4, s[0:3], 0 offen offset:8
	;; [unrolled: 1-line block ×3, first 2 shown]
	v_mov_b32_e32 v4, s41
	s_clause 0x7
	buffer_load_dword v63, v10, s[0:3], 0 offen
	buffer_load_dword v64, v10, s[0:3], 0 offen offset:4
	buffer_load_dword v65, v10, s[0:3], 0 offen offset:8
	;; [unrolled: 1-line block ×3, first 2 shown]
	buffer_load_dword v67, v4, s[0:3], 0 offen
	buffer_load_dword v68, v4, s[0:3], 0 offen offset:4
	buffer_load_dword v69, v4, s[0:3], 0 offen offset:8
	;; [unrolled: 1-line block ×3, first 2 shown]
	v_mov_b32_e32 v4, s40
	v_mov_b32_e32 v10, s39
	;; [unrolled: 1-line block ×20, first 2 shown]
	s_clause 0x3e
	buffer_load_dword v71, v4, s[0:3], 0 offen
	buffer_load_dword v72, v4, s[0:3], 0 offen offset:4
	buffer_load_dword v73, v4, s[0:3], 0 offen offset:8
	buffer_load_dword v74, v4, s[0:3], 0 offen offset:12
	buffer_load_dword v75, v10, s[0:3], 0 offen
	buffer_load_dword v76, v10, s[0:3], 0 offen offset:4
	buffer_load_dword v77, v10, s[0:3], 0 offen offset:8
	buffer_load_dword v78, v10, s[0:3], 0 offen offset:12
	;; [unrolled: 4-line block ×15, first 2 shown]
	buffer_load_dword v131, v134, s[0:3], 0 offen
	buffer_load_dword v132, v134, s[0:3], 0 offen offset:4
	buffer_load_dword v133, v134, s[0:3], 0 offen offset:8
	s_clause 0x18
	buffer_load_dword v134, v134, s[0:3], 0 offen offset:12
	buffer_load_dword v135, v138, s[0:3], 0 offen
	buffer_load_dword v136, v138, s[0:3], 0 offen offset:4
	buffer_load_dword v137, v138, s[0:3], 0 offen offset:8
	buffer_load_dword v138, v138, s[0:3], 0 offen offset:12
	buffer_load_dword v139, v142, s[0:3], 0 offen
	buffer_load_dword v140, v142, s[0:3], 0 offen offset:4
	buffer_load_dword v141, v142, s[0:3], 0 offen offset:8
	;; [unrolled: 4-line block ×6, first 2 shown]
	buffer_load_dword v161, v161, s[0:3], 0 offen offset:12
	v_mov_b32_e32 v11, 26
	s_waitcnt vmcnt(62)
	ds_write2_b64 v12, v[15:16], v[17:18] offset0:54 offset1:55
	ds_write2_b64 v12, v[19:20], v[21:22] offset0:56 offset1:57
	;; [unrolled: 1-line block ×20, first 2 shown]
	s_waitcnt vmcnt(60)
	ds_write2_b64 v12, v[95:96], v[97:98] offset0:94 offset1:95
	s_waitcnt vmcnt(56)
	ds_write2_b64 v12, v[99:100], v[101:102] offset0:96 offset1:97
	;; [unrolled: 2-line block ×16, first 2 shown]
.LBB124_670:
	s_or_b32 exec_lo, exec_lo, s4
	s_mov_b32 s4, exec_lo
	s_waitcnt lgkmcnt(0)
	s_waitcnt_vscnt null, 0x0
	s_barrier
	buffer_gl0_inv
	v_cmpx_lt_i32_e32 26, v11
	s_cbranch_execz .LBB124_673
; %bb.671:
	s_clause 0x3
	buffer_load_dword v15, off, s[0:3], 0 offset:424
	buffer_load_dword v16, off, s[0:3], 0 offset:428
	;; [unrolled: 1-line block ×4, first 2 shown]
	s_movk_i32 s82, 0x1b0
	s_waitcnt vmcnt(2)
	v_mul_f64 v[19:20], v[2:3], v[15:16]
	v_mul_f64 v[15:16], v[0:1], v[15:16]
	s_waitcnt vmcnt(0)
	v_fma_f64 v[0:1], v[0:1], v[17:18], -v[19:20]
	v_fma_f64 v[2:3], v[2:3], v[17:18], v[15:16]
	buffer_store_dword v0, off, s[0:3], 0 offset:416
	buffer_store_dword v1, off, s[0:3], 0 offset:420
	;; [unrolled: 1-line block ×4, first 2 shown]
.LBB124_672:                            ; =>This Inner Loop Header: Depth=1
	s_clause 0x3
	buffer_load_dword v19, off, s[0:3], 0 offset:424
	buffer_load_dword v20, off, s[0:3], 0 offset:428
	;; [unrolled: 1-line block ×4, first 2 shown]
	v_mov_b32_e32 v4, s82
	v_add_nc_u32_e32 v10, s82, v12
	s_addk_i32 s82, 0x60
	s_clause 0x3
	buffer_load_dword v23, v4, s[0:3], 0 offen
	buffer_load_dword v24, v4, s[0:3], 0 offen offset:4
	buffer_load_dword v25, v4, s[0:3], 0 offen offset:8
	;; [unrolled: 1-line block ×3, first 2 shown]
	ds_read2_b64 v[0:3], v10 offset1:1
	s_clause 0x3
	buffer_load_dword v27, v4, s[0:3], 0 offen offset:16
	buffer_load_dword v28, v4, s[0:3], 0 offen offset:20
	;; [unrolled: 1-line block ×4, first 2 shown]
	ds_read2_b64 v[15:18], v10 offset0:2 offset1:3
	s_cmpk_lg_i32 s82, 0x3f0
	s_waitcnt vmcnt(10) lgkmcnt(1)
	v_mul_f64 v[31:32], v[2:3], v[19:20]
	v_mul_f64 v[19:20], v[0:1], v[19:20]
	s_waitcnt vmcnt(8)
	v_fma_f64 v[0:1], v[0:1], v[21:22], -v[31:32]
	v_fma_f64 v[2:3], v[2:3], v[21:22], v[19:20]
	s_waitcnt vmcnt(6)
	v_add_f64 v[0:1], v[23:24], -v[0:1]
	s_waitcnt vmcnt(4)
	v_add_f64 v[2:3], v[25:26], -v[2:3]
	buffer_store_dword v1, v4, s[0:3], 0 offen offset:4
	buffer_store_dword v0, v4, s[0:3], 0 offen
	buffer_store_dword v3, v4, s[0:3], 0 offen offset:12
	buffer_store_dword v2, v4, s[0:3], 0 offen offset:8
	s_clause 0x3
	buffer_load_dword v1, off, s[0:3], 0 offset:428
	buffer_load_dword v0, off, s[0:3], 0 offset:424
	;; [unrolled: 1-line block ×4, first 2 shown]
	s_waitcnt vmcnt(2) lgkmcnt(0)
	v_mul_f64 v[19:20], v[17:18], v[0:1]
	v_mul_f64 v[0:1], v[15:16], v[0:1]
	s_waitcnt vmcnt(0)
	v_fma_f64 v[15:16], v[15:16], v[2:3], -v[19:20]
	v_fma_f64 v[0:1], v[17:18], v[2:3], v[0:1]
	s_clause 0x3
	buffer_load_dword v19, v4, s[0:3], 0 offen offset:32
	buffer_load_dword v20, v4, s[0:3], 0 offen offset:36
	;; [unrolled: 1-line block ×4, first 2 shown]
	v_add_f64 v[2:3], v[27:28], -v[15:16]
	v_add_f64 v[0:1], v[29:30], -v[0:1]
	buffer_store_dword v3, v4, s[0:3], 0 offen offset:20
	buffer_store_dword v2, v4, s[0:3], 0 offen offset:16
	;; [unrolled: 1-line block ×4, first 2 shown]
	s_clause 0x3
	buffer_load_dword v23, off, s[0:3], 0 offset:424
	buffer_load_dword v24, off, s[0:3], 0 offset:428
	;; [unrolled: 1-line block ×4, first 2 shown]
	ds_read2_b64 v[0:3], v10 offset0:4 offset1:5
	ds_read2_b64 v[15:18], v10 offset0:6 offset1:7
	s_waitcnt vmcnt(2) lgkmcnt(1)
	v_mul_f64 v[27:28], v[2:3], v[23:24]
	v_mul_f64 v[23:24], v[0:1], v[23:24]
	s_waitcnt vmcnt(0)
	v_fma_f64 v[0:1], v[0:1], v[25:26], -v[27:28]
	v_fma_f64 v[2:3], v[2:3], v[25:26], v[23:24]
	v_add_f64 v[0:1], v[19:20], -v[0:1]
	v_add_f64 v[2:3], v[21:22], -v[2:3]
	buffer_store_dword v1, v4, s[0:3], 0 offen offset:36
	buffer_store_dword v0, v4, s[0:3], 0 offen offset:32
	;; [unrolled: 1-line block ×4, first 2 shown]
	s_clause 0x7
	buffer_load_dword v0, off, s[0:3], 0 offset:424
	buffer_load_dword v1, off, s[0:3], 0 offset:428
	;; [unrolled: 1-line block ×4, first 2 shown]
	buffer_load_dword v19, v4, s[0:3], 0 offen offset:48
	buffer_load_dword v20, v4, s[0:3], 0 offen offset:52
	buffer_load_dword v21, v4, s[0:3], 0 offen offset:56
	buffer_load_dword v22, v4, s[0:3], 0 offen offset:60
	s_waitcnt vmcnt(6) lgkmcnt(0)
	v_mul_f64 v[23:24], v[17:18], v[0:1]
	v_mul_f64 v[0:1], v[15:16], v[0:1]
	s_waitcnt vmcnt(4)
	v_fma_f64 v[15:16], v[15:16], v[2:3], -v[23:24]
	v_fma_f64 v[0:1], v[17:18], v[2:3], v[0:1]
	s_waitcnt vmcnt(2)
	v_add_f64 v[2:3], v[19:20], -v[15:16]
	s_waitcnt vmcnt(0)
	v_add_f64 v[0:1], v[21:22], -v[0:1]
	buffer_store_dword v3, v4, s[0:3], 0 offen offset:52
	buffer_store_dword v2, v4, s[0:3], 0 offen offset:48
	;; [unrolled: 1-line block ×4, first 2 shown]
	s_clause 0x7
	buffer_load_dword v19, off, s[0:3], 0 offset:424
	buffer_load_dword v20, off, s[0:3], 0 offset:428
	;; [unrolled: 1-line block ×4, first 2 shown]
	buffer_load_dword v23, v4, s[0:3], 0 offen offset:64
	buffer_load_dword v24, v4, s[0:3], 0 offen offset:68
	;; [unrolled: 1-line block ×4, first 2 shown]
	ds_read2_b64 v[0:3], v10 offset0:8 offset1:9
	ds_read2_b64 v[15:18], v10 offset0:10 offset1:11
	s_waitcnt vmcnt(6) lgkmcnt(1)
	v_mul_f64 v[27:28], v[2:3], v[19:20]
	v_mul_f64 v[19:20], v[0:1], v[19:20]
	s_waitcnt vmcnt(4)
	v_fma_f64 v[0:1], v[0:1], v[21:22], -v[27:28]
	v_fma_f64 v[2:3], v[2:3], v[21:22], v[19:20]
	s_waitcnt vmcnt(2)
	v_add_f64 v[0:1], v[23:24], -v[0:1]
	s_waitcnt vmcnt(0)
	v_add_f64 v[2:3], v[25:26], -v[2:3]
	buffer_store_dword v1, v4, s[0:3], 0 offen offset:68
	buffer_store_dword v0, v4, s[0:3], 0 offen offset:64
	;; [unrolled: 1-line block ×4, first 2 shown]
	s_clause 0x7
	buffer_load_dword v0, off, s[0:3], 0 offset:424
	buffer_load_dword v1, off, s[0:3], 0 offset:428
	;; [unrolled: 1-line block ×4, first 2 shown]
	buffer_load_dword v19, v4, s[0:3], 0 offen offset:80
	buffer_load_dword v20, v4, s[0:3], 0 offen offset:84
	;; [unrolled: 1-line block ×4, first 2 shown]
	s_waitcnt vmcnt(6) lgkmcnt(0)
	v_mul_f64 v[23:24], v[17:18], v[0:1]
	v_mul_f64 v[0:1], v[15:16], v[0:1]
	s_waitcnt vmcnt(4)
	v_fma_f64 v[15:16], v[15:16], v[2:3], -v[23:24]
	v_fma_f64 v[0:1], v[17:18], v[2:3], v[0:1]
	s_waitcnt vmcnt(2)
	v_add_f64 v[2:3], v[19:20], -v[15:16]
	s_waitcnt vmcnt(0)
	v_add_f64 v[0:1], v[21:22], -v[0:1]
	buffer_store_dword v3, v4, s[0:3], 0 offen offset:84
	buffer_store_dword v2, v4, s[0:3], 0 offen offset:80
	buffer_store_dword v1, v4, s[0:3], 0 offen offset:92
	buffer_store_dword v0, v4, s[0:3], 0 offen offset:88
	s_cbranch_scc1 .LBB124_672
.LBB124_673:
	s_or_b32 exec_lo, exec_lo, s4
	v_mov_b32_e32 v3, s54
	s_waitcnt_vscnt null, 0x0
	s_barrier
	buffer_gl0_inv
	v_lshl_add_u32 v4, v11, 4, v12
	s_clause 0x3
	buffer_load_dword v0, v3, s[0:3], 0 offen
	buffer_load_dword v1, v3, s[0:3], 0 offen offset:4
	buffer_load_dword v2, v3, s[0:3], 0 offen offset:8
	;; [unrolled: 1-line block ×3, first 2 shown]
	s_cmp_lt_i32 s57, 29
	s_waitcnt vmcnt(0)
	ds_write2_b64 v4, v[0:1], v[2:3] offset1:1
	s_waitcnt lgkmcnt(0)
	s_barrier
	buffer_gl0_inv
	ds_read2_b64 v[0:3], v12 offset0:54 offset1:55
	v_mov_b32_e32 v4, 27
	s_cbranch_scc1 .LBB124_676
; %bb.674:
	v_add3_u32 v10, v14, 0, 0x1c0
	v_mov_b32_e32 v4, 27
	s_mov_b32 s16, 28
	s_inst_prefetch 0x1
	.p2align	6
.LBB124_675:                            ; =>This Inner Loop Header: Depth=1
	s_waitcnt lgkmcnt(0)
	v_cmp_gt_f64_e32 vcc_lo, 0, v[2:3]
	v_cmp_gt_f64_e64 s4, 0, v[0:1]
	ds_read2_b64 v[15:18], v10 offset1:1
	v_xor_b32_e32 v20, 0x80000000, v1
	v_xor_b32_e32 v22, 0x80000000, v3
	v_mov_b32_e32 v19, v0
	v_mov_b32_e32 v21, v2
	v_add_nc_u32_e32 v10, 16, v10
	s_waitcnt lgkmcnt(0)
	v_xor_b32_e32 v24, 0x80000000, v18
	v_cndmask_b32_e64 v20, v1, v20, s4
	v_cndmask_b32_e32 v22, v3, v22, vcc_lo
	v_cmp_gt_f64_e32 vcc_lo, 0, v[17:18]
	v_cmp_gt_f64_e64 s4, 0, v[15:16]
	v_mov_b32_e32 v23, v17
	v_add_f64 v[19:20], v[19:20], v[21:22]
	v_xor_b32_e32 v22, 0x80000000, v16
	v_mov_b32_e32 v21, v15
	v_cndmask_b32_e32 v24, v18, v24, vcc_lo
	v_cndmask_b32_e64 v22, v16, v22, s4
	v_add_f64 v[21:22], v[21:22], v[23:24]
	v_cmp_lt_f64_e32 vcc_lo, v[19:20], v[21:22]
	v_cndmask_b32_e32 v1, v1, v16, vcc_lo
	v_cndmask_b32_e32 v0, v0, v15, vcc_lo
	;; [unrolled: 1-line block ×4, first 2 shown]
	v_cndmask_b32_e64 v4, v4, s16, vcc_lo
	s_add_i32 s16, s16, 1
	s_cmp_lg_u32 s57, s16
	s_cbranch_scc1 .LBB124_675
.LBB124_676:
	s_inst_prefetch 0x2
	s_waitcnt lgkmcnt(0)
	v_cmp_eq_f64_e32 vcc_lo, 0, v[0:1]
	v_cmp_eq_f64_e64 s4, 0, v[2:3]
	s_and_b32 s4, vcc_lo, s4
	s_and_saveexec_b32 s16, s4
	s_xor_b32 s4, exec_lo, s16
; %bb.677:
	v_cmp_ne_u32_e32 vcc_lo, 0, v13
	v_cndmask_b32_e32 v13, 28, v13, vcc_lo
; %bb.678:
	s_andn2_saveexec_b32 s4, s4
	s_cbranch_execz .LBB124_684
; %bb.679:
	v_cmp_ngt_f64_e64 s16, |v[0:1]|, |v[2:3]|
	s_and_saveexec_b32 s17, s16
	s_xor_b32 s16, exec_lo, s17
	s_cbranch_execz .LBB124_681
; %bb.680:
	v_div_scale_f64 v[15:16], null, v[2:3], v[2:3], v[0:1]
	v_div_scale_f64 v[21:22], vcc_lo, v[0:1], v[2:3], v[0:1]
	v_rcp_f64_e32 v[17:18], v[15:16]
	v_fma_f64 v[19:20], -v[15:16], v[17:18], 1.0
	v_fma_f64 v[17:18], v[17:18], v[19:20], v[17:18]
	v_fma_f64 v[19:20], -v[15:16], v[17:18], 1.0
	v_fma_f64 v[17:18], v[17:18], v[19:20], v[17:18]
	v_mul_f64 v[19:20], v[21:22], v[17:18]
	v_fma_f64 v[15:16], -v[15:16], v[19:20], v[21:22]
	v_div_fmas_f64 v[15:16], v[15:16], v[17:18], v[19:20]
	v_div_fixup_f64 v[15:16], v[15:16], v[2:3], v[0:1]
	v_fma_f64 v[0:1], v[0:1], v[15:16], v[2:3]
	v_div_scale_f64 v[2:3], null, v[0:1], v[0:1], 1.0
	v_rcp_f64_e32 v[17:18], v[2:3]
	v_fma_f64 v[19:20], -v[2:3], v[17:18], 1.0
	v_fma_f64 v[17:18], v[17:18], v[19:20], v[17:18]
	v_fma_f64 v[19:20], -v[2:3], v[17:18], 1.0
	v_fma_f64 v[17:18], v[17:18], v[19:20], v[17:18]
	v_div_scale_f64 v[19:20], vcc_lo, 1.0, v[0:1], 1.0
	v_mul_f64 v[21:22], v[19:20], v[17:18]
	v_fma_f64 v[2:3], -v[2:3], v[21:22], v[19:20]
	v_div_fmas_f64 v[2:3], v[2:3], v[17:18], v[21:22]
	v_div_fixup_f64 v[2:3], v[2:3], v[0:1], 1.0
	v_mul_f64 v[0:1], v[15:16], v[2:3]
	v_xor_b32_e32 v3, 0x80000000, v3
.LBB124_681:
	s_andn2_saveexec_b32 s16, s16
	s_cbranch_execz .LBB124_683
; %bb.682:
	v_div_scale_f64 v[15:16], null, v[0:1], v[0:1], v[2:3]
	v_div_scale_f64 v[21:22], vcc_lo, v[2:3], v[0:1], v[2:3]
	v_rcp_f64_e32 v[17:18], v[15:16]
	v_fma_f64 v[19:20], -v[15:16], v[17:18], 1.0
	v_fma_f64 v[17:18], v[17:18], v[19:20], v[17:18]
	v_fma_f64 v[19:20], -v[15:16], v[17:18], 1.0
	v_fma_f64 v[17:18], v[17:18], v[19:20], v[17:18]
	v_mul_f64 v[19:20], v[21:22], v[17:18]
	v_fma_f64 v[15:16], -v[15:16], v[19:20], v[21:22]
	v_div_fmas_f64 v[15:16], v[15:16], v[17:18], v[19:20]
	v_div_fixup_f64 v[15:16], v[15:16], v[0:1], v[2:3]
	v_fma_f64 v[0:1], v[2:3], v[15:16], v[0:1]
	v_div_scale_f64 v[2:3], null, v[0:1], v[0:1], 1.0
	v_rcp_f64_e32 v[17:18], v[2:3]
	v_fma_f64 v[19:20], -v[2:3], v[17:18], 1.0
	v_fma_f64 v[17:18], v[17:18], v[19:20], v[17:18]
	v_fma_f64 v[19:20], -v[2:3], v[17:18], 1.0
	v_fma_f64 v[17:18], v[17:18], v[19:20], v[17:18]
	v_div_scale_f64 v[19:20], vcc_lo, 1.0, v[0:1], 1.0
	v_mul_f64 v[21:22], v[19:20], v[17:18]
	v_fma_f64 v[2:3], -v[2:3], v[21:22], v[19:20]
	v_div_fmas_f64 v[2:3], v[2:3], v[17:18], v[21:22]
	v_div_fixup_f64 v[0:1], v[2:3], v[0:1], 1.0
	v_mul_f64 v[2:3], v[15:16], -v[0:1]
.LBB124_683:
	s_or_b32 exec_lo, exec_lo, s16
.LBB124_684:
	s_or_b32 exec_lo, exec_lo, s4
	s_mov_b32 s4, exec_lo
	v_cmpx_ne_u32_e64 v11, v4
	s_xor_b32 s4, exec_lo, s4
	s_cbranch_execz .LBB124_690
; %bb.685:
	s_mov_b32 s16, exec_lo
	v_cmpx_eq_u32_e32 27, v11
	s_cbranch_execz .LBB124_689
; %bb.686:
	v_cmp_ne_u32_e32 vcc_lo, 27, v4
	s_xor_b32 s17, s20, -1
	s_and_b32 s56, s17, vcc_lo
	s_and_saveexec_b32 s17, s56
	s_cbranch_execz .LBB124_688
; %bb.687:
	v_ashrrev_i32_e32 v5, 31, v4
	v_lshlrev_b64 v[10:11], 2, v[4:5]
	v_add_co_u32 v10, vcc_lo, v8, v10
	v_add_co_ci_u32_e64 v11, null, v9, v11, vcc_lo
	s_clause 0x1
	global_load_dword v5, v[10:11], off
	global_load_dword v15, v[8:9], off offset:108
	s_waitcnt vmcnt(1)
	global_store_dword v[8:9], v5, off offset:108
	s_waitcnt vmcnt(0)
	global_store_dword v[10:11], v15, off
.LBB124_688:
	s_or_b32 exec_lo, exec_lo, s17
	v_mov_b32_e32 v11, v4
	v_mov_b32_e32 v5, v4
.LBB124_689:
	s_or_b32 exec_lo, exec_lo, s16
.LBB124_690:
	s_andn2_saveexec_b32 s4, s4
	s_cbranch_execz .LBB124_692
; %bb.691:
	v_mov_b32_e32 v4, s53
	v_mov_b32_e32 v11, s8
	;; [unrolled: 1-line block ×5, first 2 shown]
	s_clause 0x7
	buffer_load_dword v15, v4, s[0:3], 0 offen
	buffer_load_dword v16, v4, s[0:3], 0 offen offset:4
	buffer_load_dword v17, v4, s[0:3], 0 offen offset:8
	;; [unrolled: 1-line block ×3, first 2 shown]
	buffer_load_dword v19, v10, s[0:3], 0 offen
	buffer_load_dword v20, v10, s[0:3], 0 offen offset:4
	buffer_load_dword v21, v10, s[0:3], 0 offen offset:8
	;; [unrolled: 1-line block ×3, first 2 shown]
	v_mov_b32_e32 v4, s50
	v_mov_b32_e32 v10, s49
	s_clause 0x7
	buffer_load_dword v23, v11, s[0:3], 0 offen
	buffer_load_dword v24, v11, s[0:3], 0 offen offset:4
	buffer_load_dword v25, v11, s[0:3], 0 offen offset:8
	;; [unrolled: 1-line block ×3, first 2 shown]
	buffer_load_dword v27, v4, s[0:3], 0 offen
	buffer_load_dword v28, v4, s[0:3], 0 offen offset:4
	buffer_load_dword v29, v4, s[0:3], 0 offen offset:8
	;; [unrolled: 1-line block ×3, first 2 shown]
	v_mov_b32_e32 v11, s47
	v_mov_b32_e32 v4, s48
	s_clause 0x7
	buffer_load_dword v31, v10, s[0:3], 0 offen
	buffer_load_dword v32, v10, s[0:3], 0 offen offset:4
	buffer_load_dword v33, v10, s[0:3], 0 offen offset:8
	;; [unrolled: 1-line block ×3, first 2 shown]
	buffer_load_dword v35, v4, s[0:3], 0 offen
	buffer_load_dword v36, v4, s[0:3], 0 offen offset:4
	buffer_load_dword v37, v4, s[0:3], 0 offen offset:8
	;; [unrolled: 1-line block ×3, first 2 shown]
	v_mov_b32_e32 v4, s46
	s_clause 0x7
	buffer_load_dword v39, v11, s[0:3], 0 offen
	buffer_load_dword v40, v11, s[0:3], 0 offen offset:4
	buffer_load_dword v41, v11, s[0:3], 0 offen offset:8
	;; [unrolled: 1-line block ×3, first 2 shown]
	buffer_load_dword v43, v4, s[0:3], 0 offen
	buffer_load_dword v44, v4, s[0:3], 0 offen offset:4
	buffer_load_dword v45, v4, s[0:3], 0 offen offset:8
	;; [unrolled: 1-line block ×3, first 2 shown]
	v_mov_b32_e32 v4, s45
	v_mov_b32_e32 v10, s44
	;; [unrolled: 1-line block ×24, first 2 shown]
	s_clause 0x3e
	buffer_load_dword v47, v4, s[0:3], 0 offen
	buffer_load_dword v48, v4, s[0:3], 0 offen offset:4
	buffer_load_dword v49, v4, s[0:3], 0 offen offset:8
	buffer_load_dword v50, v4, s[0:3], 0 offen offset:12
	buffer_load_dword v51, v10, s[0:3], 0 offen
	buffer_load_dword v52, v10, s[0:3], 0 offen offset:4
	buffer_load_dword v53, v10, s[0:3], 0 offen offset:8
	buffer_load_dword v54, v10, s[0:3], 0 offen offset:12
	;; [unrolled: 4-line block ×15, first 2 shown]
	buffer_load_dword v107, v110, s[0:3], 0 offen
	buffer_load_dword v108, v110, s[0:3], 0 offen offset:4
	buffer_load_dword v109, v110, s[0:3], 0 offen offset:8
	s_clause 0x20
	buffer_load_dword v110, v110, s[0:3], 0 offen offset:12
	buffer_load_dword v111, v114, s[0:3], 0 offen
	buffer_load_dword v112, v114, s[0:3], 0 offen offset:4
	buffer_load_dword v113, v114, s[0:3], 0 offen offset:8
	buffer_load_dword v114, v114, s[0:3], 0 offen offset:12
	buffer_load_dword v115, v118, s[0:3], 0 offen
	buffer_load_dword v116, v118, s[0:3], 0 offen offset:4
	buffer_load_dword v117, v118, s[0:3], 0 offen offset:8
	;; [unrolled: 4-line block ×8, first 2 shown]
	buffer_load_dword v142, v142, s[0:3], 0 offen offset:12
	v_mov_b32_e32 v4, s5
	s_clause 0xb
	buffer_load_dword v146, v143, s[0:3], 0 offen
	buffer_load_dword v147, v143, s[0:3], 0 offen offset:4
	buffer_load_dword v148, v143, s[0:3], 0 offen offset:8
	buffer_load_dword v149, v143, s[0:3], 0 offen offset:12
	buffer_load_dword v150, v153, s[0:3], 0 offen
	buffer_load_dword v151, v153, s[0:3], 0 offen offset:4
	buffer_load_dword v152, v153, s[0:3], 0 offen offset:8
	buffer_load_dword v153, v153, s[0:3], 0 offen offset:12
	;; [unrolled: 4-line block ×3, first 2 shown]
	v_mov_b32_e32 v11, 27
	s_waitcnt vmcnt(62)
	ds_write2_b64 v12, v[15:16], v[17:18] offset0:56 offset1:57
	ds_write2_b64 v12, v[19:20], v[21:22] offset0:58 offset1:59
	;; [unrolled: 1-line block ×19, first 2 shown]
	s_waitcnt vmcnt(60)
	ds_write2_b64 v12, v[91:92], v[93:94] offset0:94 offset1:95
	s_waitcnt vmcnt(56)
	ds_write2_b64 v12, v[95:96], v[97:98] offset0:96 offset1:97
	;; [unrolled: 2-line block ×16, first 2 shown]
.LBB124_692:
	s_or_b32 exec_lo, exec_lo, s4
	s_mov_b32 s4, exec_lo
	s_waitcnt lgkmcnt(0)
	s_waitcnt_vscnt null, 0x0
	s_barrier
	buffer_gl0_inv
	v_cmpx_lt_i32_e32 27, v11
	s_cbranch_execz .LBB124_695
; %bb.693:
	s_clause 0x3
	buffer_load_dword v15, off, s[0:3], 0 offset:440
	buffer_load_dword v16, off, s[0:3], 0 offset:444
	buffer_load_dword v17, off, s[0:3], 0 offset:432
	buffer_load_dword v18, off, s[0:3], 0 offset:436
	s_movk_i32 s82, 0x1c0
	s_waitcnt vmcnt(2)
	v_mul_f64 v[19:20], v[2:3], v[15:16]
	v_mul_f64 v[15:16], v[0:1], v[15:16]
	s_waitcnt vmcnt(0)
	v_fma_f64 v[0:1], v[0:1], v[17:18], -v[19:20]
	v_fma_f64 v[2:3], v[2:3], v[17:18], v[15:16]
	buffer_store_dword v0, off, s[0:3], 0 offset:432
	buffer_store_dword v1, off, s[0:3], 0 offset:436
	buffer_store_dword v2, off, s[0:3], 0 offset:440
	buffer_store_dword v3, off, s[0:3], 0 offset:444
.LBB124_694:                            ; =>This Inner Loop Header: Depth=1
	s_clause 0x3
	buffer_load_dword v19, off, s[0:3], 0 offset:440
	buffer_load_dword v20, off, s[0:3], 0 offset:444
	;; [unrolled: 1-line block ×4, first 2 shown]
	v_mov_b32_e32 v4, s82
	v_add_nc_u32_e32 v10, s82, v12
	s_addk_i32 s82, 0x70
	s_clause 0x3
	buffer_load_dword v23, v4, s[0:3], 0 offen
	buffer_load_dword v24, v4, s[0:3], 0 offen offset:4
	buffer_load_dword v25, v4, s[0:3], 0 offen offset:8
	;; [unrolled: 1-line block ×3, first 2 shown]
	ds_read2_b64 v[0:3], v10 offset1:1
	s_clause 0x3
	buffer_load_dword v27, v4, s[0:3], 0 offen offset:16
	buffer_load_dword v28, v4, s[0:3], 0 offen offset:20
	;; [unrolled: 1-line block ×4, first 2 shown]
	ds_read2_b64 v[15:18], v10 offset0:2 offset1:3
	s_cmpk_lg_i32 s82, 0x3f0
	s_waitcnt vmcnt(10) lgkmcnt(1)
	v_mul_f64 v[31:32], v[2:3], v[19:20]
	v_mul_f64 v[19:20], v[0:1], v[19:20]
	s_waitcnt vmcnt(8)
	v_fma_f64 v[0:1], v[0:1], v[21:22], -v[31:32]
	v_fma_f64 v[2:3], v[2:3], v[21:22], v[19:20]
	s_waitcnt vmcnt(6)
	v_add_f64 v[0:1], v[23:24], -v[0:1]
	s_waitcnt vmcnt(4)
	v_add_f64 v[2:3], v[25:26], -v[2:3]
	buffer_store_dword v1, v4, s[0:3], 0 offen offset:4
	buffer_store_dword v0, v4, s[0:3], 0 offen
	buffer_store_dword v3, v4, s[0:3], 0 offen offset:12
	buffer_store_dword v2, v4, s[0:3], 0 offen offset:8
	s_clause 0x7
	buffer_load_dword v1, off, s[0:3], 0 offset:444
	buffer_load_dword v0, off, s[0:3], 0 offset:440
	;; [unrolled: 1-line block ×4, first 2 shown]
	buffer_load_dword v19, v4, s[0:3], 0 offen offset:32
	buffer_load_dword v20, v4, s[0:3], 0 offen offset:36
	;; [unrolled: 1-line block ×4, first 2 shown]
	s_waitcnt vmcnt(6) lgkmcnt(0)
	v_mul_f64 v[23:24], v[17:18], v[0:1]
	v_mul_f64 v[0:1], v[15:16], v[0:1]
	s_waitcnt vmcnt(4)
	v_fma_f64 v[15:16], v[15:16], v[2:3], -v[23:24]
	v_fma_f64 v[0:1], v[17:18], v[2:3], v[0:1]
	v_add_f64 v[2:3], v[27:28], -v[15:16]
	v_add_f64 v[0:1], v[29:30], -v[0:1]
	buffer_store_dword v3, v4, s[0:3], 0 offen offset:20
	buffer_store_dword v2, v4, s[0:3], 0 offen offset:16
	;; [unrolled: 1-line block ×4, first 2 shown]
	s_clause 0x3
	buffer_load_dword v23, off, s[0:3], 0 offset:440
	buffer_load_dword v24, off, s[0:3], 0 offset:444
	;; [unrolled: 1-line block ×4, first 2 shown]
	ds_read2_b64 v[0:3], v10 offset0:4 offset1:5
	ds_read2_b64 v[15:18], v10 offset0:6 offset1:7
	s_waitcnt vmcnt(2) lgkmcnt(1)
	v_mul_f64 v[27:28], v[2:3], v[23:24]
	v_mul_f64 v[23:24], v[0:1], v[23:24]
	s_waitcnt vmcnt(0)
	v_fma_f64 v[0:1], v[0:1], v[25:26], -v[27:28]
	v_fma_f64 v[2:3], v[2:3], v[25:26], v[23:24]
	v_add_f64 v[0:1], v[19:20], -v[0:1]
	v_add_f64 v[2:3], v[21:22], -v[2:3]
	buffer_store_dword v1, v4, s[0:3], 0 offen offset:36
	buffer_store_dword v0, v4, s[0:3], 0 offen offset:32
	;; [unrolled: 1-line block ×4, first 2 shown]
	s_clause 0x7
	buffer_load_dword v0, off, s[0:3], 0 offset:440
	buffer_load_dword v1, off, s[0:3], 0 offset:444
	;; [unrolled: 1-line block ×4, first 2 shown]
	buffer_load_dword v19, v4, s[0:3], 0 offen offset:48
	buffer_load_dword v20, v4, s[0:3], 0 offen offset:52
	;; [unrolled: 1-line block ×4, first 2 shown]
	s_waitcnt vmcnt(6) lgkmcnt(0)
	v_mul_f64 v[23:24], v[17:18], v[0:1]
	v_mul_f64 v[0:1], v[15:16], v[0:1]
	s_waitcnt vmcnt(4)
	v_fma_f64 v[15:16], v[15:16], v[2:3], -v[23:24]
	v_fma_f64 v[0:1], v[17:18], v[2:3], v[0:1]
	s_waitcnt vmcnt(2)
	v_add_f64 v[2:3], v[19:20], -v[15:16]
	s_waitcnt vmcnt(0)
	v_add_f64 v[0:1], v[21:22], -v[0:1]
	buffer_store_dword v3, v4, s[0:3], 0 offen offset:52
	buffer_store_dword v2, v4, s[0:3], 0 offen offset:48
	buffer_store_dword v1, v4, s[0:3], 0 offen offset:60
	buffer_store_dword v0, v4, s[0:3], 0 offen offset:56
	s_clause 0x7
	buffer_load_dword v19, off, s[0:3], 0 offset:440
	buffer_load_dword v20, off, s[0:3], 0 offset:444
	;; [unrolled: 1-line block ×4, first 2 shown]
	buffer_load_dword v23, v4, s[0:3], 0 offen offset:64
	buffer_load_dword v24, v4, s[0:3], 0 offen offset:68
	;; [unrolled: 1-line block ×4, first 2 shown]
	ds_read2_b64 v[0:3], v10 offset0:8 offset1:9
	ds_read2_b64 v[15:18], v10 offset0:10 offset1:11
	s_waitcnt vmcnt(6) lgkmcnt(1)
	v_mul_f64 v[27:28], v[2:3], v[19:20]
	v_mul_f64 v[19:20], v[0:1], v[19:20]
	s_waitcnt vmcnt(4)
	v_fma_f64 v[0:1], v[0:1], v[21:22], -v[27:28]
	v_fma_f64 v[2:3], v[2:3], v[21:22], v[19:20]
	s_waitcnt vmcnt(2)
	v_add_f64 v[0:1], v[23:24], -v[0:1]
	s_waitcnt vmcnt(0)
	v_add_f64 v[2:3], v[25:26], -v[2:3]
	buffer_store_dword v1, v4, s[0:3], 0 offen offset:68
	buffer_store_dword v0, v4, s[0:3], 0 offen offset:64
	;; [unrolled: 1-line block ×4, first 2 shown]
	s_clause 0x7
	buffer_load_dword v0, off, s[0:3], 0 offset:440
	buffer_load_dword v1, off, s[0:3], 0 offset:444
	buffer_load_dword v2, off, s[0:3], 0 offset:432
	buffer_load_dword v3, off, s[0:3], 0 offset:436
	buffer_load_dword v19, v4, s[0:3], 0 offen offset:80
	buffer_load_dword v20, v4, s[0:3], 0 offen offset:84
	;; [unrolled: 1-line block ×4, first 2 shown]
	s_waitcnt vmcnt(6) lgkmcnt(0)
	v_mul_f64 v[23:24], v[17:18], v[0:1]
	v_mul_f64 v[0:1], v[15:16], v[0:1]
	s_waitcnt vmcnt(4)
	v_fma_f64 v[15:16], v[15:16], v[2:3], -v[23:24]
	v_fma_f64 v[0:1], v[17:18], v[2:3], v[0:1]
	s_waitcnt vmcnt(2)
	v_add_f64 v[2:3], v[19:20], -v[15:16]
	s_waitcnt vmcnt(0)
	v_add_f64 v[0:1], v[21:22], -v[0:1]
	buffer_store_dword v3, v4, s[0:3], 0 offen offset:84
	buffer_store_dword v2, v4, s[0:3], 0 offen offset:80
	;; [unrolled: 1-line block ×4, first 2 shown]
	s_clause 0x7
	buffer_load_dword v15, off, s[0:3], 0 offset:440
	buffer_load_dword v16, off, s[0:3], 0 offset:444
	;; [unrolled: 1-line block ×4, first 2 shown]
	buffer_load_dword v19, v4, s[0:3], 0 offen offset:96
	buffer_load_dword v20, v4, s[0:3], 0 offen offset:100
	;; [unrolled: 1-line block ×4, first 2 shown]
	ds_read2_b64 v[0:3], v10 offset0:12 offset1:13
	s_waitcnt vmcnt(6) lgkmcnt(0)
	v_mul_f64 v[23:24], v[2:3], v[15:16]
	v_mul_f64 v[15:16], v[0:1], v[15:16]
	s_waitcnt vmcnt(4)
	v_fma_f64 v[0:1], v[0:1], v[17:18], -v[23:24]
	v_fma_f64 v[2:3], v[2:3], v[17:18], v[15:16]
	s_waitcnt vmcnt(2)
	v_add_f64 v[0:1], v[19:20], -v[0:1]
	s_waitcnt vmcnt(0)
	v_add_f64 v[2:3], v[21:22], -v[2:3]
	buffer_store_dword v1, v4, s[0:3], 0 offen offset:100
	buffer_store_dword v0, v4, s[0:3], 0 offen offset:96
	;; [unrolled: 1-line block ×4, first 2 shown]
	s_cbranch_scc1 .LBB124_694
.LBB124_695:
	s_or_b32 exec_lo, exec_lo, s4
	v_mov_b32_e32 v3, s53
	s_waitcnt_vscnt null, 0x0
	s_barrier
	buffer_gl0_inv
	v_lshl_add_u32 v4, v11, 4, v12
	s_clause 0x3
	buffer_load_dword v0, v3, s[0:3], 0 offen
	buffer_load_dword v1, v3, s[0:3], 0 offen offset:4
	buffer_load_dword v2, v3, s[0:3], 0 offen offset:8
	buffer_load_dword v3, v3, s[0:3], 0 offen offset:12
	s_cmp_lt_i32 s57, 30
	s_waitcnt vmcnt(0)
	ds_write2_b64 v4, v[0:1], v[2:3] offset1:1
	s_waitcnt lgkmcnt(0)
	s_barrier
	buffer_gl0_inv
	ds_read2_b64 v[0:3], v12 offset0:56 offset1:57
	v_mov_b32_e32 v4, 28
	s_cbranch_scc1 .LBB124_698
; %bb.696:
	v_add3_u32 v10, v14, 0, 0x1d0
	v_mov_b32_e32 v4, 28
	s_mov_b32 s16, 29
	s_inst_prefetch 0x1
	.p2align	6
.LBB124_697:                            ; =>This Inner Loop Header: Depth=1
	s_waitcnt lgkmcnt(0)
	v_cmp_gt_f64_e32 vcc_lo, 0, v[2:3]
	v_cmp_gt_f64_e64 s4, 0, v[0:1]
	ds_read2_b64 v[15:18], v10 offset1:1
	v_xor_b32_e32 v20, 0x80000000, v1
	v_xor_b32_e32 v22, 0x80000000, v3
	v_mov_b32_e32 v19, v0
	v_mov_b32_e32 v21, v2
	v_add_nc_u32_e32 v10, 16, v10
	s_waitcnt lgkmcnt(0)
	v_xor_b32_e32 v24, 0x80000000, v18
	v_cndmask_b32_e64 v20, v1, v20, s4
	v_cndmask_b32_e32 v22, v3, v22, vcc_lo
	v_cmp_gt_f64_e32 vcc_lo, 0, v[17:18]
	v_cmp_gt_f64_e64 s4, 0, v[15:16]
	v_mov_b32_e32 v23, v17
	v_add_f64 v[19:20], v[19:20], v[21:22]
	v_xor_b32_e32 v22, 0x80000000, v16
	v_mov_b32_e32 v21, v15
	v_cndmask_b32_e32 v24, v18, v24, vcc_lo
	v_cndmask_b32_e64 v22, v16, v22, s4
	v_add_f64 v[21:22], v[21:22], v[23:24]
	v_cmp_lt_f64_e32 vcc_lo, v[19:20], v[21:22]
	v_cndmask_b32_e32 v1, v1, v16, vcc_lo
	v_cndmask_b32_e32 v0, v0, v15, vcc_lo
	;; [unrolled: 1-line block ×4, first 2 shown]
	v_cndmask_b32_e64 v4, v4, s16, vcc_lo
	s_add_i32 s16, s16, 1
	s_cmp_lg_u32 s57, s16
	s_cbranch_scc1 .LBB124_697
.LBB124_698:
	s_inst_prefetch 0x2
	s_waitcnt lgkmcnt(0)
	v_cmp_eq_f64_e32 vcc_lo, 0, v[0:1]
	v_cmp_eq_f64_e64 s4, 0, v[2:3]
	s_and_b32 s4, vcc_lo, s4
	s_and_saveexec_b32 s16, s4
	s_xor_b32 s4, exec_lo, s16
; %bb.699:
	v_cmp_ne_u32_e32 vcc_lo, 0, v13
	v_cndmask_b32_e32 v13, 29, v13, vcc_lo
; %bb.700:
	s_andn2_saveexec_b32 s4, s4
	s_cbranch_execz .LBB124_706
; %bb.701:
	v_cmp_ngt_f64_e64 s16, |v[0:1]|, |v[2:3]|
	s_and_saveexec_b32 s17, s16
	s_xor_b32 s16, exec_lo, s17
	s_cbranch_execz .LBB124_703
; %bb.702:
	v_div_scale_f64 v[15:16], null, v[2:3], v[2:3], v[0:1]
	v_div_scale_f64 v[21:22], vcc_lo, v[0:1], v[2:3], v[0:1]
	v_rcp_f64_e32 v[17:18], v[15:16]
	v_fma_f64 v[19:20], -v[15:16], v[17:18], 1.0
	v_fma_f64 v[17:18], v[17:18], v[19:20], v[17:18]
	v_fma_f64 v[19:20], -v[15:16], v[17:18], 1.0
	v_fma_f64 v[17:18], v[17:18], v[19:20], v[17:18]
	v_mul_f64 v[19:20], v[21:22], v[17:18]
	v_fma_f64 v[15:16], -v[15:16], v[19:20], v[21:22]
	v_div_fmas_f64 v[15:16], v[15:16], v[17:18], v[19:20]
	v_div_fixup_f64 v[15:16], v[15:16], v[2:3], v[0:1]
	v_fma_f64 v[0:1], v[0:1], v[15:16], v[2:3]
	v_div_scale_f64 v[2:3], null, v[0:1], v[0:1], 1.0
	v_rcp_f64_e32 v[17:18], v[2:3]
	v_fma_f64 v[19:20], -v[2:3], v[17:18], 1.0
	v_fma_f64 v[17:18], v[17:18], v[19:20], v[17:18]
	v_fma_f64 v[19:20], -v[2:3], v[17:18], 1.0
	v_fma_f64 v[17:18], v[17:18], v[19:20], v[17:18]
	v_div_scale_f64 v[19:20], vcc_lo, 1.0, v[0:1], 1.0
	v_mul_f64 v[21:22], v[19:20], v[17:18]
	v_fma_f64 v[2:3], -v[2:3], v[21:22], v[19:20]
	v_div_fmas_f64 v[2:3], v[2:3], v[17:18], v[21:22]
	v_div_fixup_f64 v[2:3], v[2:3], v[0:1], 1.0
	v_mul_f64 v[0:1], v[15:16], v[2:3]
	v_xor_b32_e32 v3, 0x80000000, v3
.LBB124_703:
	s_andn2_saveexec_b32 s16, s16
	s_cbranch_execz .LBB124_705
; %bb.704:
	v_div_scale_f64 v[15:16], null, v[0:1], v[0:1], v[2:3]
	v_div_scale_f64 v[21:22], vcc_lo, v[2:3], v[0:1], v[2:3]
	v_rcp_f64_e32 v[17:18], v[15:16]
	v_fma_f64 v[19:20], -v[15:16], v[17:18], 1.0
	v_fma_f64 v[17:18], v[17:18], v[19:20], v[17:18]
	v_fma_f64 v[19:20], -v[15:16], v[17:18], 1.0
	v_fma_f64 v[17:18], v[17:18], v[19:20], v[17:18]
	v_mul_f64 v[19:20], v[21:22], v[17:18]
	v_fma_f64 v[15:16], -v[15:16], v[19:20], v[21:22]
	v_div_fmas_f64 v[15:16], v[15:16], v[17:18], v[19:20]
	v_div_fixup_f64 v[15:16], v[15:16], v[0:1], v[2:3]
	v_fma_f64 v[0:1], v[2:3], v[15:16], v[0:1]
	v_div_scale_f64 v[2:3], null, v[0:1], v[0:1], 1.0
	v_rcp_f64_e32 v[17:18], v[2:3]
	v_fma_f64 v[19:20], -v[2:3], v[17:18], 1.0
	v_fma_f64 v[17:18], v[17:18], v[19:20], v[17:18]
	v_fma_f64 v[19:20], -v[2:3], v[17:18], 1.0
	v_fma_f64 v[17:18], v[17:18], v[19:20], v[17:18]
	v_div_scale_f64 v[19:20], vcc_lo, 1.0, v[0:1], 1.0
	v_mul_f64 v[21:22], v[19:20], v[17:18]
	v_fma_f64 v[2:3], -v[2:3], v[21:22], v[19:20]
	v_div_fmas_f64 v[2:3], v[2:3], v[17:18], v[21:22]
	v_div_fixup_f64 v[0:1], v[2:3], v[0:1], 1.0
	v_mul_f64 v[2:3], v[15:16], -v[0:1]
.LBB124_705:
	s_or_b32 exec_lo, exec_lo, s16
.LBB124_706:
	s_or_b32 exec_lo, exec_lo, s4
	s_mov_b32 s4, exec_lo
	v_cmpx_ne_u32_e64 v11, v4
	s_xor_b32 s4, exec_lo, s4
	s_cbranch_execz .LBB124_712
; %bb.707:
	s_mov_b32 s16, exec_lo
	v_cmpx_eq_u32_e32 28, v11
	s_cbranch_execz .LBB124_711
; %bb.708:
	v_cmp_ne_u32_e32 vcc_lo, 28, v4
	s_xor_b32 s17, s20, -1
	s_and_b32 s56, s17, vcc_lo
	s_and_saveexec_b32 s17, s56
	s_cbranch_execz .LBB124_710
; %bb.709:
	v_ashrrev_i32_e32 v5, 31, v4
	v_lshlrev_b64 v[10:11], 2, v[4:5]
	v_add_co_u32 v10, vcc_lo, v8, v10
	v_add_co_ci_u32_e64 v11, null, v9, v11, vcc_lo
	s_clause 0x1
	global_load_dword v5, v[10:11], off
	global_load_dword v15, v[8:9], off offset:112
	s_waitcnt vmcnt(1)
	global_store_dword v[8:9], v5, off offset:112
	s_waitcnt vmcnt(0)
	global_store_dword v[10:11], v15, off
.LBB124_710:
	s_or_b32 exec_lo, exec_lo, s17
	v_mov_b32_e32 v11, v4
	v_mov_b32_e32 v5, v4
.LBB124_711:
	s_or_b32 exec_lo, exec_lo, s16
.LBB124_712:
	s_andn2_saveexec_b32 s4, s4
	s_cbranch_execz .LBB124_714
; %bb.713:
	v_mov_b32_e32 v4, s52
	v_mov_b32_e32 v11, s50
	;; [unrolled: 1-line block ×5, first 2 shown]
	s_clause 0x7
	buffer_load_dword v15, v4, s[0:3], 0 offen
	buffer_load_dword v16, v4, s[0:3], 0 offen offset:4
	buffer_load_dword v17, v4, s[0:3], 0 offen offset:8
	;; [unrolled: 1-line block ×3, first 2 shown]
	buffer_load_dword v19, v10, s[0:3], 0 offen
	buffer_load_dword v20, v10, s[0:3], 0 offen offset:4
	buffer_load_dword v21, v10, s[0:3], 0 offen offset:8
	;; [unrolled: 1-line block ×3, first 2 shown]
	v_mov_b32_e32 v4, s49
	s_clause 0x7
	buffer_load_dword v23, v11, s[0:3], 0 offen
	buffer_load_dword v24, v11, s[0:3], 0 offen offset:4
	buffer_load_dword v25, v11, s[0:3], 0 offen offset:8
	;; [unrolled: 1-line block ×3, first 2 shown]
	buffer_load_dword v27, v4, s[0:3], 0 offen
	buffer_load_dword v28, v4, s[0:3], 0 offen offset:4
	buffer_load_dword v29, v4, s[0:3], 0 offen offset:8
	;; [unrolled: 1-line block ×3, first 2 shown]
	v_mov_b32_e32 v4, s48
	v_mov_b32_e32 v10, s47
	;; [unrolled: 1-line block ×28, first 2 shown]
	s_clause 0x3e
	buffer_load_dword v31, v4, s[0:3], 0 offen
	buffer_load_dword v32, v4, s[0:3], 0 offen offset:4
	buffer_load_dword v33, v4, s[0:3], 0 offen offset:8
	buffer_load_dword v34, v4, s[0:3], 0 offen offset:12
	buffer_load_dword v35, v10, s[0:3], 0 offen
	buffer_load_dword v36, v10, s[0:3], 0 offen offset:4
	buffer_load_dword v37, v10, s[0:3], 0 offen offset:8
	buffer_load_dword v38, v10, s[0:3], 0 offen offset:12
	;; [unrolled: 4-line block ×15, first 2 shown]
	buffer_load_dword v91, v94, s[0:3], 0 offen
	buffer_load_dword v92, v94, s[0:3], 0 offen offset:4
	buffer_load_dword v93, v94, s[0:3], 0 offen offset:8
	s_clause 0x38
	buffer_load_dword v94, v94, s[0:3], 0 offen offset:12
	buffer_load_dword v95, v98, s[0:3], 0 offen
	buffer_load_dword v96, v98, s[0:3], 0 offen offset:4
	buffer_load_dword v97, v98, s[0:3], 0 offen offset:8
	buffer_load_dword v98, v98, s[0:3], 0 offen offset:12
	buffer_load_dword v99, v102, s[0:3], 0 offen
	buffer_load_dword v100, v102, s[0:3], 0 offen offset:4
	buffer_load_dword v101, v102, s[0:3], 0 offen offset:8
	;; [unrolled: 4-line block ×14, first 2 shown]
	buffer_load_dword v153, v153, s[0:3], 0 offen offset:12
	v_mov_b32_e32 v11, 28
	s_waitcnt vmcnt(62)
	ds_write2_b64 v12, v[15:16], v[17:18] offset0:58 offset1:59
	ds_write2_b64 v12, v[19:20], v[21:22] offset0:60 offset1:61
	;; [unrolled: 1-line block ×18, first 2 shown]
	s_waitcnt vmcnt(60)
	ds_write2_b64 v12, v[87:88], v[89:90] offset0:94 offset1:95
	s_waitcnt vmcnt(56)
	ds_write2_b64 v12, v[91:92], v[93:94] offset0:96 offset1:97
	;; [unrolled: 2-line block ×16, first 2 shown]
.LBB124_714:
	s_or_b32 exec_lo, exec_lo, s4
	s_mov_b32 s4, exec_lo
	s_waitcnt lgkmcnt(0)
	s_waitcnt_vscnt null, 0x0
	s_barrier
	buffer_gl0_inv
	v_cmpx_lt_i32_e32 28, v11
	s_cbranch_execz .LBB124_717
; %bb.715:
	s_clause 0x3
	buffer_load_dword v15, off, s[0:3], 0 offset:456
	buffer_load_dword v16, off, s[0:3], 0 offset:460
	;; [unrolled: 1-line block ×4, first 2 shown]
	s_movk_i32 s16, 0x1d0
	s_waitcnt vmcnt(2)
	v_mul_f64 v[19:20], v[2:3], v[15:16]
	v_mul_f64 v[15:16], v[0:1], v[15:16]
	s_waitcnt vmcnt(0)
	v_fma_f64 v[0:1], v[0:1], v[17:18], -v[19:20]
	v_fma_f64 v[2:3], v[2:3], v[17:18], v[15:16]
	buffer_store_dword v0, off, s[0:3], 0 offset:448
	buffer_store_dword v1, off, s[0:3], 0 offset:452
	;; [unrolled: 1-line block ×4, first 2 shown]
.LBB124_716:                            ; =>This Inner Loop Header: Depth=1
	s_clause 0x3
	buffer_load_dword v19, off, s[0:3], 0 offset:456
	buffer_load_dword v20, off, s[0:3], 0 offset:460
	;; [unrolled: 1-line block ×4, first 2 shown]
	v_mov_b32_e32 v4, s16
	v_add_nc_u32_e32 v10, s16, v12
	s_add_i32 s16, s16, 32
	s_clause 0x3
	buffer_load_dword v23, v4, s[0:3], 0 offen
	buffer_load_dword v24, v4, s[0:3], 0 offen offset:4
	buffer_load_dword v25, v4, s[0:3], 0 offen offset:8
	;; [unrolled: 1-line block ×3, first 2 shown]
	ds_read2_b64 v[0:3], v10 offset1:1
	ds_read2_b64 v[15:18], v10 offset0:2 offset1:3
	s_cmpk_lg_i32 s16, 0x3f0
	s_waitcnt vmcnt(6) lgkmcnt(1)
	v_mul_f64 v[27:28], v[2:3], v[19:20]
	v_mul_f64 v[19:20], v[0:1], v[19:20]
	s_waitcnt vmcnt(4)
	v_fma_f64 v[0:1], v[0:1], v[21:22], -v[27:28]
	v_fma_f64 v[2:3], v[2:3], v[21:22], v[19:20]
	s_clause 0x3
	buffer_load_dword v19, v4, s[0:3], 0 offen offset:16
	buffer_load_dword v20, v4, s[0:3], 0 offen offset:20
	;; [unrolled: 1-line block ×4, first 2 shown]
	s_waitcnt vmcnt(6)
	v_add_f64 v[0:1], v[23:24], -v[0:1]
	s_waitcnt vmcnt(4)
	v_add_f64 v[2:3], v[25:26], -v[2:3]
	buffer_store_dword v1, v4, s[0:3], 0 offen offset:4
	buffer_store_dword v0, v4, s[0:3], 0 offen
	buffer_store_dword v3, v4, s[0:3], 0 offen offset:12
	buffer_store_dword v2, v4, s[0:3], 0 offen offset:8
	s_clause 0x3
	buffer_load_dword v1, off, s[0:3], 0 offset:460
	buffer_load_dword v0, off, s[0:3], 0 offset:456
	;; [unrolled: 1-line block ×4, first 2 shown]
	s_waitcnt vmcnt(2) lgkmcnt(0)
	v_mul_f64 v[23:24], v[17:18], v[0:1]
	v_mul_f64 v[0:1], v[15:16], v[0:1]
	s_waitcnt vmcnt(0)
	v_fma_f64 v[15:16], v[15:16], v[2:3], -v[23:24]
	v_fma_f64 v[0:1], v[17:18], v[2:3], v[0:1]
	v_add_f64 v[2:3], v[19:20], -v[15:16]
	v_add_f64 v[0:1], v[21:22], -v[0:1]
	buffer_store_dword v3, v4, s[0:3], 0 offen offset:20
	buffer_store_dword v2, v4, s[0:3], 0 offen offset:16
	;; [unrolled: 1-line block ×4, first 2 shown]
	s_cbranch_scc1 .LBB124_716
.LBB124_717:
	s_or_b32 exec_lo, exec_lo, s4
	v_mov_b32_e32 v3, s52
	s_waitcnt_vscnt null, 0x0
	s_barrier
	buffer_gl0_inv
	v_lshl_add_u32 v4, v11, 4, v12
	s_clause 0x3
	buffer_load_dword v0, v3, s[0:3], 0 offen
	buffer_load_dword v1, v3, s[0:3], 0 offen offset:4
	buffer_load_dword v2, v3, s[0:3], 0 offen offset:8
	buffer_load_dword v3, v3, s[0:3], 0 offen offset:12
	s_cmp_lt_i32 s57, 31
	s_waitcnt vmcnt(0)
	ds_write2_b64 v4, v[0:1], v[2:3] offset1:1
	s_waitcnt lgkmcnt(0)
	s_barrier
	buffer_gl0_inv
	ds_read2_b64 v[0:3], v12 offset0:58 offset1:59
	v_mov_b32_e32 v4, 29
	s_cbranch_scc1 .LBB124_720
; %bb.718:
	v_add3_u32 v10, v14, 0, 0x1e0
	v_mov_b32_e32 v4, 29
	s_mov_b32 s16, 30
	s_inst_prefetch 0x1
	.p2align	6
.LBB124_719:                            ; =>This Inner Loop Header: Depth=1
	s_waitcnt lgkmcnt(0)
	v_cmp_gt_f64_e32 vcc_lo, 0, v[2:3]
	v_cmp_gt_f64_e64 s4, 0, v[0:1]
	ds_read2_b64 v[15:18], v10 offset1:1
	v_xor_b32_e32 v20, 0x80000000, v1
	v_xor_b32_e32 v22, 0x80000000, v3
	v_mov_b32_e32 v19, v0
	v_mov_b32_e32 v21, v2
	v_add_nc_u32_e32 v10, 16, v10
	s_waitcnt lgkmcnt(0)
	v_xor_b32_e32 v24, 0x80000000, v18
	v_cndmask_b32_e64 v20, v1, v20, s4
	v_cndmask_b32_e32 v22, v3, v22, vcc_lo
	v_cmp_gt_f64_e32 vcc_lo, 0, v[17:18]
	v_cmp_gt_f64_e64 s4, 0, v[15:16]
	v_mov_b32_e32 v23, v17
	v_add_f64 v[19:20], v[19:20], v[21:22]
	v_xor_b32_e32 v22, 0x80000000, v16
	v_mov_b32_e32 v21, v15
	v_cndmask_b32_e32 v24, v18, v24, vcc_lo
	v_cndmask_b32_e64 v22, v16, v22, s4
	v_add_f64 v[21:22], v[21:22], v[23:24]
	v_cmp_lt_f64_e32 vcc_lo, v[19:20], v[21:22]
	v_cndmask_b32_e32 v1, v1, v16, vcc_lo
	v_cndmask_b32_e32 v0, v0, v15, vcc_lo
	;; [unrolled: 1-line block ×4, first 2 shown]
	v_cndmask_b32_e64 v4, v4, s16, vcc_lo
	s_add_i32 s16, s16, 1
	s_cmp_lg_u32 s57, s16
	s_cbranch_scc1 .LBB124_719
.LBB124_720:
	s_inst_prefetch 0x2
	s_waitcnt lgkmcnt(0)
	v_cmp_eq_f64_e32 vcc_lo, 0, v[0:1]
	v_cmp_eq_f64_e64 s4, 0, v[2:3]
	s_and_b32 s4, vcc_lo, s4
	s_and_saveexec_b32 s16, s4
	s_xor_b32 s4, exec_lo, s16
; %bb.721:
	v_cmp_ne_u32_e32 vcc_lo, 0, v13
	v_cndmask_b32_e32 v13, 30, v13, vcc_lo
; %bb.722:
	s_andn2_saveexec_b32 s4, s4
	s_cbranch_execz .LBB124_728
; %bb.723:
	v_cmp_ngt_f64_e64 s16, |v[0:1]|, |v[2:3]|
	s_and_saveexec_b32 s17, s16
	s_xor_b32 s16, exec_lo, s17
	s_cbranch_execz .LBB124_725
; %bb.724:
	v_div_scale_f64 v[15:16], null, v[2:3], v[2:3], v[0:1]
	v_div_scale_f64 v[21:22], vcc_lo, v[0:1], v[2:3], v[0:1]
	v_rcp_f64_e32 v[17:18], v[15:16]
	v_fma_f64 v[19:20], -v[15:16], v[17:18], 1.0
	v_fma_f64 v[17:18], v[17:18], v[19:20], v[17:18]
	v_fma_f64 v[19:20], -v[15:16], v[17:18], 1.0
	v_fma_f64 v[17:18], v[17:18], v[19:20], v[17:18]
	v_mul_f64 v[19:20], v[21:22], v[17:18]
	v_fma_f64 v[15:16], -v[15:16], v[19:20], v[21:22]
	v_div_fmas_f64 v[15:16], v[15:16], v[17:18], v[19:20]
	v_div_fixup_f64 v[15:16], v[15:16], v[2:3], v[0:1]
	v_fma_f64 v[0:1], v[0:1], v[15:16], v[2:3]
	v_div_scale_f64 v[2:3], null, v[0:1], v[0:1], 1.0
	v_rcp_f64_e32 v[17:18], v[2:3]
	v_fma_f64 v[19:20], -v[2:3], v[17:18], 1.0
	v_fma_f64 v[17:18], v[17:18], v[19:20], v[17:18]
	v_fma_f64 v[19:20], -v[2:3], v[17:18], 1.0
	v_fma_f64 v[17:18], v[17:18], v[19:20], v[17:18]
	v_div_scale_f64 v[19:20], vcc_lo, 1.0, v[0:1], 1.0
	v_mul_f64 v[21:22], v[19:20], v[17:18]
	v_fma_f64 v[2:3], -v[2:3], v[21:22], v[19:20]
	v_div_fmas_f64 v[2:3], v[2:3], v[17:18], v[21:22]
	v_div_fixup_f64 v[2:3], v[2:3], v[0:1], 1.0
	v_mul_f64 v[0:1], v[15:16], v[2:3]
	v_xor_b32_e32 v3, 0x80000000, v3
.LBB124_725:
	s_andn2_saveexec_b32 s16, s16
	s_cbranch_execz .LBB124_727
; %bb.726:
	v_div_scale_f64 v[15:16], null, v[0:1], v[0:1], v[2:3]
	v_div_scale_f64 v[21:22], vcc_lo, v[2:3], v[0:1], v[2:3]
	v_rcp_f64_e32 v[17:18], v[15:16]
	v_fma_f64 v[19:20], -v[15:16], v[17:18], 1.0
	v_fma_f64 v[17:18], v[17:18], v[19:20], v[17:18]
	v_fma_f64 v[19:20], -v[15:16], v[17:18], 1.0
	v_fma_f64 v[17:18], v[17:18], v[19:20], v[17:18]
	v_mul_f64 v[19:20], v[21:22], v[17:18]
	v_fma_f64 v[15:16], -v[15:16], v[19:20], v[21:22]
	v_div_fmas_f64 v[15:16], v[15:16], v[17:18], v[19:20]
	v_div_fixup_f64 v[15:16], v[15:16], v[0:1], v[2:3]
	v_fma_f64 v[0:1], v[2:3], v[15:16], v[0:1]
	v_div_scale_f64 v[2:3], null, v[0:1], v[0:1], 1.0
	v_rcp_f64_e32 v[17:18], v[2:3]
	v_fma_f64 v[19:20], -v[2:3], v[17:18], 1.0
	v_fma_f64 v[17:18], v[17:18], v[19:20], v[17:18]
	v_fma_f64 v[19:20], -v[2:3], v[17:18], 1.0
	v_fma_f64 v[17:18], v[17:18], v[19:20], v[17:18]
	v_div_scale_f64 v[19:20], vcc_lo, 1.0, v[0:1], 1.0
	v_mul_f64 v[21:22], v[19:20], v[17:18]
	v_fma_f64 v[2:3], -v[2:3], v[21:22], v[19:20]
	v_div_fmas_f64 v[2:3], v[2:3], v[17:18], v[21:22]
	v_div_fixup_f64 v[0:1], v[2:3], v[0:1], 1.0
	v_mul_f64 v[2:3], v[15:16], -v[0:1]
.LBB124_727:
	s_or_b32 exec_lo, exec_lo, s16
.LBB124_728:
	s_or_b32 exec_lo, exec_lo, s4
	s_mov_b32 s4, exec_lo
	v_cmpx_ne_u32_e64 v11, v4
	s_xor_b32 s4, exec_lo, s4
	s_cbranch_execz .LBB124_734
; %bb.729:
	s_mov_b32 s16, exec_lo
	v_cmpx_eq_u32_e32 29, v11
	s_cbranch_execz .LBB124_733
; %bb.730:
	v_cmp_ne_u32_e32 vcc_lo, 29, v4
	s_xor_b32 s17, s20, -1
	s_and_b32 s56, s17, vcc_lo
	s_and_saveexec_b32 s17, s56
	s_cbranch_execz .LBB124_732
; %bb.731:
	v_ashrrev_i32_e32 v5, 31, v4
	v_lshlrev_b64 v[10:11], 2, v[4:5]
	v_add_co_u32 v10, vcc_lo, v8, v10
	v_add_co_ci_u32_e64 v11, null, v9, v11, vcc_lo
	s_clause 0x1
	global_load_dword v5, v[10:11], off
	global_load_dword v15, v[8:9], off offset:116
	s_waitcnt vmcnt(1)
	global_store_dword v[8:9], v5, off offset:116
	s_waitcnt vmcnt(0)
	global_store_dword v[10:11], v15, off
.LBB124_732:
	s_or_b32 exec_lo, exec_lo, s17
	v_mov_b32_e32 v11, v4
	v_mov_b32_e32 v5, v4
.LBB124_733:
	s_or_b32 exec_lo, exec_lo, s16
.LBB124_734:
	s_andn2_saveexec_b32 s4, s4
	s_cbranch_execz .LBB124_736
; %bb.735:
	v_mov_b32_e32 v4, s8
	v_mov_b32_e32 v11, s49
	;; [unrolled: 1-line block ×3, first 2 shown]
	s_clause 0x7
	buffer_load_dword v15, v4, s[0:3], 0 offen
	buffer_load_dword v16, v4, s[0:3], 0 offen offset:4
	buffer_load_dword v17, v4, s[0:3], 0 offen offset:8
	buffer_load_dword v18, v4, s[0:3], 0 offen offset:12
	buffer_load_dword v19, v10, s[0:3], 0 offen
	buffer_load_dword v20, v10, s[0:3], 0 offen offset:4
	buffer_load_dword v21, v10, s[0:3], 0 offen offset:8
	buffer_load_dword v22, v10, s[0:3], 0 offen offset:12
	v_mov_b32_e32 v4, s48
	v_mov_b32_e32 v10, s47
	s_clause 0x7
	buffer_load_dword v23, v11, s[0:3], 0 offen
	buffer_load_dword v24, v11, s[0:3], 0 offen offset:4
	buffer_load_dword v25, v11, s[0:3], 0 offen offset:8
	buffer_load_dword v26, v11, s[0:3], 0 offen offset:12
	buffer_load_dword v27, v4, s[0:3], 0 offen
	buffer_load_dword v28, v4, s[0:3], 0 offen offset:4
	buffer_load_dword v29, v4, s[0:3], 0 offen offset:8
	buffer_load_dword v30, v4, s[0:3], 0 offen offset:12
	v_mov_b32_e32 v11, s45
	v_mov_b32_e32 v4, s46
	;; [unrolled: 11-line block ×15, first 2 shown]
	s_clause 0xb
	buffer_load_dword v135, v11, s[0:3], 0 offen
	buffer_load_dword v136, v11, s[0:3], 0 offen offset:4
	buffer_load_dword v137, v11, s[0:3], 0 offen offset:8
	buffer_load_dword v138, v11, s[0:3], 0 offen offset:12
	buffer_load_dword v139, v4, s[0:3], 0 offen
	buffer_load_dword v140, v4, s[0:3], 0 offen offset:4
	buffer_load_dword v141, v4, s[0:3], 0 offen offset:8
	buffer_load_dword v142, v4, s[0:3], 0 offen offset:12
	;; [unrolled: 4-line block ×3, first 2 shown]
	v_mov_b32_e32 v11, 29
	s_waitcnt vmcnt(62)
	ds_write2_b64 v12, v[15:16], v[17:18] offset0:60 offset1:61
	ds_write2_b64 v12, v[19:20], v[21:22] offset0:62 offset1:63
	;; [unrolled: 1-line block ×17, first 2 shown]
	s_waitcnt vmcnt(60)
	ds_write2_b64 v12, v[83:84], v[85:86] offset0:94 offset1:95
	s_waitcnt vmcnt(56)
	ds_write2_b64 v12, v[87:88], v[89:90] offset0:96 offset1:97
	s_waitcnt vmcnt(52)
	ds_write2_b64 v12, v[91:92], v[93:94] offset0:98 offset1:99
	s_waitcnt vmcnt(48)
	ds_write2_b64 v12, v[95:96], v[97:98] offset0:100 offset1:101
	s_waitcnt vmcnt(44)
	ds_write2_b64 v12, v[99:100], v[101:102] offset0:102 offset1:103
	s_waitcnt vmcnt(40)
	ds_write2_b64 v12, v[103:104], v[105:106] offset0:104 offset1:105
	s_waitcnt vmcnt(36)
	ds_write2_b64 v12, v[107:108], v[109:110] offset0:106 offset1:107
	s_waitcnt vmcnt(32)
	ds_write2_b64 v12, v[111:112], v[113:114] offset0:108 offset1:109
	s_waitcnt vmcnt(28)
	ds_write2_b64 v12, v[115:116], v[117:118] offset0:110 offset1:111
	s_waitcnt vmcnt(24)
	ds_write2_b64 v12, v[119:120], v[121:122] offset0:112 offset1:113
	s_waitcnt vmcnt(20)
	ds_write2_b64 v12, v[123:124], v[125:126] offset0:114 offset1:115
	s_waitcnt vmcnt(16)
	ds_write2_b64 v12, v[127:128], v[129:130] offset0:116 offset1:117
	s_waitcnt vmcnt(12)
	ds_write2_b64 v12, v[131:132], v[133:134] offset0:118 offset1:119
	s_waitcnt vmcnt(8)
	ds_write2_b64 v12, v[135:136], v[137:138] offset0:120 offset1:121
	s_waitcnt vmcnt(4)
	ds_write2_b64 v12, v[139:140], v[141:142] offset0:122 offset1:123
	s_waitcnt vmcnt(0)
	ds_write2_b64 v12, v[146:147], v[148:149] offset0:124 offset1:125
.LBB124_736:
	s_or_b32 exec_lo, exec_lo, s4
	s_mov_b32 s4, exec_lo
	s_waitcnt lgkmcnt(0)
	s_waitcnt_vscnt null, 0x0
	s_barrier
	buffer_gl0_inv
	v_cmpx_lt_i32_e32 29, v11
	s_cbranch_execz .LBB124_739
; %bb.737:
	s_clause 0x3
	buffer_load_dword v15, off, s[0:3], 0 offset:472
	buffer_load_dword v16, off, s[0:3], 0 offset:476
	;; [unrolled: 1-line block ×4, first 2 shown]
	s_movk_i32 s16, 0x1e0
	s_waitcnt vmcnt(2)
	v_mul_f64 v[19:20], v[2:3], v[15:16]
	v_mul_f64 v[15:16], v[0:1], v[15:16]
	s_waitcnt vmcnt(0)
	v_fma_f64 v[0:1], v[0:1], v[17:18], -v[19:20]
	v_fma_f64 v[2:3], v[2:3], v[17:18], v[15:16]
	buffer_store_dword v0, off, s[0:3], 0 offset:464
	buffer_store_dword v1, off, s[0:3], 0 offset:468
	buffer_store_dword v2, off, s[0:3], 0 offset:472
	buffer_store_dword v3, off, s[0:3], 0 offset:476
.LBB124_738:                            ; =>This Inner Loop Header: Depth=1
	s_clause 0x3
	buffer_load_dword v19, off, s[0:3], 0 offset:472
	buffer_load_dword v20, off, s[0:3], 0 offset:476
	;; [unrolled: 1-line block ×4, first 2 shown]
	v_mov_b32_e32 v4, s16
	v_add_nc_u32_e32 v10, s16, v12
	s_add_i32 s16, s16, 48
	s_clause 0x3
	buffer_load_dword v23, v4, s[0:3], 0 offen
	buffer_load_dword v24, v4, s[0:3], 0 offen offset:4
	buffer_load_dword v25, v4, s[0:3], 0 offen offset:8
	;; [unrolled: 1-line block ×3, first 2 shown]
	ds_read2_b64 v[0:3], v10 offset1:1
	ds_read2_b64 v[15:18], v10 offset0:2 offset1:3
	s_cmpk_lg_i32 s16, 0x3f0
	s_waitcnt vmcnt(6) lgkmcnt(1)
	v_mul_f64 v[27:28], v[2:3], v[19:20]
	v_mul_f64 v[19:20], v[0:1], v[19:20]
	s_waitcnt vmcnt(4)
	v_fma_f64 v[0:1], v[0:1], v[21:22], -v[27:28]
	v_fma_f64 v[2:3], v[2:3], v[21:22], v[19:20]
	s_clause 0x3
	buffer_load_dword v19, v4, s[0:3], 0 offen offset:16
	buffer_load_dword v20, v4, s[0:3], 0 offen offset:20
	;; [unrolled: 1-line block ×4, first 2 shown]
	s_waitcnt vmcnt(6)
	v_add_f64 v[0:1], v[23:24], -v[0:1]
	s_waitcnt vmcnt(4)
	v_add_f64 v[2:3], v[25:26], -v[2:3]
	buffer_store_dword v1, v4, s[0:3], 0 offen offset:4
	buffer_store_dword v0, v4, s[0:3], 0 offen
	buffer_store_dword v3, v4, s[0:3], 0 offen offset:12
	buffer_store_dword v2, v4, s[0:3], 0 offen offset:8
	s_clause 0x3
	buffer_load_dword v1, off, s[0:3], 0 offset:476
	buffer_load_dword v0, off, s[0:3], 0 offset:472
	;; [unrolled: 1-line block ×4, first 2 shown]
	s_waitcnt vmcnt(2) lgkmcnt(0)
	v_mul_f64 v[23:24], v[17:18], v[0:1]
	v_mul_f64 v[0:1], v[15:16], v[0:1]
	s_waitcnt vmcnt(0)
	v_fma_f64 v[15:16], v[15:16], v[2:3], -v[23:24]
	v_fma_f64 v[0:1], v[17:18], v[2:3], v[0:1]
	v_add_f64 v[2:3], v[19:20], -v[15:16]
	v_add_f64 v[0:1], v[21:22], -v[0:1]
	s_clause 0x3
	buffer_load_dword v15, v4, s[0:3], 0 offen offset:32
	buffer_load_dword v16, v4, s[0:3], 0 offen offset:36
	;; [unrolled: 1-line block ×4, first 2 shown]
	buffer_store_dword v3, v4, s[0:3], 0 offen offset:20
	buffer_store_dword v2, v4, s[0:3], 0 offen offset:16
	;; [unrolled: 1-line block ×4, first 2 shown]
	s_clause 0x3
	buffer_load_dword v19, off, s[0:3], 0 offset:472
	buffer_load_dword v20, off, s[0:3], 0 offset:476
	;; [unrolled: 1-line block ×4, first 2 shown]
	ds_read2_b64 v[0:3], v10 offset0:4 offset1:5
	s_waitcnt vmcnt(2) lgkmcnt(0)
	v_mul_f64 v[23:24], v[2:3], v[19:20]
	v_mul_f64 v[19:20], v[0:1], v[19:20]
	s_waitcnt vmcnt(0)
	v_fma_f64 v[0:1], v[0:1], v[21:22], -v[23:24]
	v_fma_f64 v[2:3], v[2:3], v[21:22], v[19:20]
	v_add_f64 v[0:1], v[15:16], -v[0:1]
	v_add_f64 v[2:3], v[17:18], -v[2:3]
	buffer_store_dword v1, v4, s[0:3], 0 offen offset:36
	buffer_store_dword v0, v4, s[0:3], 0 offen offset:32
	;; [unrolled: 1-line block ×4, first 2 shown]
	s_cbranch_scc1 .LBB124_738
.LBB124_739:
	s_or_b32 exec_lo, exec_lo, s4
	v_mov_b32_e32 v3, s8
	s_waitcnt_vscnt null, 0x0
	s_barrier
	buffer_gl0_inv
	v_lshl_add_u32 v4, v11, 4, v12
	s_clause 0x3
	buffer_load_dword v0, v3, s[0:3], 0 offen
	buffer_load_dword v1, v3, s[0:3], 0 offen offset:4
	buffer_load_dword v2, v3, s[0:3], 0 offen offset:8
	;; [unrolled: 1-line block ×3, first 2 shown]
	s_cmp_lt_i32 s57, 32
	s_waitcnt vmcnt(0)
	ds_write2_b64 v4, v[0:1], v[2:3] offset1:1
	s_waitcnt lgkmcnt(0)
	s_barrier
	buffer_gl0_inv
	ds_read2_b64 v[0:3], v12 offset0:60 offset1:61
	v_mov_b32_e32 v4, 30
	s_cbranch_scc1 .LBB124_742
; %bb.740:
	v_add3_u32 v10, v14, 0, 0x1f0
	v_mov_b32_e32 v4, 30
	s_mov_b32 s16, 31
	s_inst_prefetch 0x1
	.p2align	6
.LBB124_741:                            ; =>This Inner Loop Header: Depth=1
	s_waitcnt lgkmcnt(0)
	v_cmp_gt_f64_e32 vcc_lo, 0, v[2:3]
	v_cmp_gt_f64_e64 s4, 0, v[0:1]
	ds_read2_b64 v[15:18], v10 offset1:1
	v_xor_b32_e32 v20, 0x80000000, v1
	v_xor_b32_e32 v22, 0x80000000, v3
	v_mov_b32_e32 v19, v0
	v_mov_b32_e32 v21, v2
	v_add_nc_u32_e32 v10, 16, v10
	s_waitcnt lgkmcnt(0)
	v_xor_b32_e32 v24, 0x80000000, v18
	v_cndmask_b32_e64 v20, v1, v20, s4
	v_cndmask_b32_e32 v22, v3, v22, vcc_lo
	v_cmp_gt_f64_e32 vcc_lo, 0, v[17:18]
	v_cmp_gt_f64_e64 s4, 0, v[15:16]
	v_mov_b32_e32 v23, v17
	v_add_f64 v[19:20], v[19:20], v[21:22]
	v_xor_b32_e32 v22, 0x80000000, v16
	v_mov_b32_e32 v21, v15
	v_cndmask_b32_e32 v24, v18, v24, vcc_lo
	v_cndmask_b32_e64 v22, v16, v22, s4
	v_add_f64 v[21:22], v[21:22], v[23:24]
	v_cmp_lt_f64_e32 vcc_lo, v[19:20], v[21:22]
	v_cndmask_b32_e32 v1, v1, v16, vcc_lo
	v_cndmask_b32_e32 v0, v0, v15, vcc_lo
	v_cndmask_b32_e32 v3, v3, v18, vcc_lo
	v_cndmask_b32_e32 v2, v2, v17, vcc_lo
	v_cndmask_b32_e64 v4, v4, s16, vcc_lo
	s_add_i32 s16, s16, 1
	s_cmp_lg_u32 s57, s16
	s_cbranch_scc1 .LBB124_741
.LBB124_742:
	s_inst_prefetch 0x2
	s_waitcnt lgkmcnt(0)
	v_cmp_eq_f64_e32 vcc_lo, 0, v[0:1]
	v_cmp_eq_f64_e64 s4, 0, v[2:3]
	s_and_b32 s4, vcc_lo, s4
	s_and_saveexec_b32 s16, s4
	s_xor_b32 s4, exec_lo, s16
; %bb.743:
	v_cmp_ne_u32_e32 vcc_lo, 0, v13
	v_cndmask_b32_e32 v13, 31, v13, vcc_lo
; %bb.744:
	s_andn2_saveexec_b32 s4, s4
	s_cbranch_execz .LBB124_750
; %bb.745:
	v_cmp_ngt_f64_e64 s16, |v[0:1]|, |v[2:3]|
	s_and_saveexec_b32 s17, s16
	s_xor_b32 s16, exec_lo, s17
	s_cbranch_execz .LBB124_747
; %bb.746:
	v_div_scale_f64 v[15:16], null, v[2:3], v[2:3], v[0:1]
	v_div_scale_f64 v[21:22], vcc_lo, v[0:1], v[2:3], v[0:1]
	v_rcp_f64_e32 v[17:18], v[15:16]
	v_fma_f64 v[19:20], -v[15:16], v[17:18], 1.0
	v_fma_f64 v[17:18], v[17:18], v[19:20], v[17:18]
	v_fma_f64 v[19:20], -v[15:16], v[17:18], 1.0
	v_fma_f64 v[17:18], v[17:18], v[19:20], v[17:18]
	v_mul_f64 v[19:20], v[21:22], v[17:18]
	v_fma_f64 v[15:16], -v[15:16], v[19:20], v[21:22]
	v_div_fmas_f64 v[15:16], v[15:16], v[17:18], v[19:20]
	v_div_fixup_f64 v[15:16], v[15:16], v[2:3], v[0:1]
	v_fma_f64 v[0:1], v[0:1], v[15:16], v[2:3]
	v_div_scale_f64 v[2:3], null, v[0:1], v[0:1], 1.0
	v_rcp_f64_e32 v[17:18], v[2:3]
	v_fma_f64 v[19:20], -v[2:3], v[17:18], 1.0
	v_fma_f64 v[17:18], v[17:18], v[19:20], v[17:18]
	v_fma_f64 v[19:20], -v[2:3], v[17:18], 1.0
	v_fma_f64 v[17:18], v[17:18], v[19:20], v[17:18]
	v_div_scale_f64 v[19:20], vcc_lo, 1.0, v[0:1], 1.0
	v_mul_f64 v[21:22], v[19:20], v[17:18]
	v_fma_f64 v[2:3], -v[2:3], v[21:22], v[19:20]
	v_div_fmas_f64 v[2:3], v[2:3], v[17:18], v[21:22]
	v_div_fixup_f64 v[2:3], v[2:3], v[0:1], 1.0
	v_mul_f64 v[0:1], v[15:16], v[2:3]
	v_xor_b32_e32 v3, 0x80000000, v3
.LBB124_747:
	s_andn2_saveexec_b32 s16, s16
	s_cbranch_execz .LBB124_749
; %bb.748:
	v_div_scale_f64 v[15:16], null, v[0:1], v[0:1], v[2:3]
	v_div_scale_f64 v[21:22], vcc_lo, v[2:3], v[0:1], v[2:3]
	v_rcp_f64_e32 v[17:18], v[15:16]
	v_fma_f64 v[19:20], -v[15:16], v[17:18], 1.0
	v_fma_f64 v[17:18], v[17:18], v[19:20], v[17:18]
	v_fma_f64 v[19:20], -v[15:16], v[17:18], 1.0
	v_fma_f64 v[17:18], v[17:18], v[19:20], v[17:18]
	v_mul_f64 v[19:20], v[21:22], v[17:18]
	v_fma_f64 v[15:16], -v[15:16], v[19:20], v[21:22]
	v_div_fmas_f64 v[15:16], v[15:16], v[17:18], v[19:20]
	v_div_fixup_f64 v[15:16], v[15:16], v[0:1], v[2:3]
	v_fma_f64 v[0:1], v[2:3], v[15:16], v[0:1]
	v_div_scale_f64 v[2:3], null, v[0:1], v[0:1], 1.0
	v_rcp_f64_e32 v[17:18], v[2:3]
	v_fma_f64 v[19:20], -v[2:3], v[17:18], 1.0
	v_fma_f64 v[17:18], v[17:18], v[19:20], v[17:18]
	v_fma_f64 v[19:20], -v[2:3], v[17:18], 1.0
	v_fma_f64 v[17:18], v[17:18], v[19:20], v[17:18]
	v_div_scale_f64 v[19:20], vcc_lo, 1.0, v[0:1], 1.0
	v_mul_f64 v[21:22], v[19:20], v[17:18]
	v_fma_f64 v[2:3], -v[2:3], v[21:22], v[19:20]
	v_div_fmas_f64 v[2:3], v[2:3], v[17:18], v[21:22]
	v_div_fixup_f64 v[0:1], v[2:3], v[0:1], 1.0
	v_mul_f64 v[2:3], v[15:16], -v[0:1]
.LBB124_749:
	s_or_b32 exec_lo, exec_lo, s16
.LBB124_750:
	s_or_b32 exec_lo, exec_lo, s4
	s_mov_b32 s4, exec_lo
	v_cmpx_ne_u32_e64 v11, v4
	s_xor_b32 s4, exec_lo, s4
	s_cbranch_execz .LBB124_756
; %bb.751:
	s_mov_b32 s16, exec_lo
	v_cmpx_eq_u32_e32 30, v11
	s_cbranch_execz .LBB124_755
; %bb.752:
	v_cmp_ne_u32_e32 vcc_lo, 30, v4
	s_xor_b32 s17, s20, -1
	s_and_b32 s56, s17, vcc_lo
	s_and_saveexec_b32 s17, s56
	s_cbranch_execz .LBB124_754
; %bb.753:
	v_ashrrev_i32_e32 v5, 31, v4
	v_lshlrev_b64 v[10:11], 2, v[4:5]
	v_add_co_u32 v10, vcc_lo, v8, v10
	v_add_co_ci_u32_e64 v11, null, v9, v11, vcc_lo
	s_clause 0x1
	global_load_dword v5, v[10:11], off
	global_load_dword v15, v[8:9], off offset:120
	s_waitcnt vmcnt(1)
	global_store_dword v[8:9], v5, off offset:120
	s_waitcnt vmcnt(0)
	global_store_dword v[10:11], v15, off
.LBB124_754:
	s_or_b32 exec_lo, exec_lo, s17
	v_mov_b32_e32 v11, v4
	v_mov_b32_e32 v5, v4
.LBB124_755:
	s_or_b32 exec_lo, exec_lo, s16
.LBB124_756:
	s_andn2_saveexec_b32 s4, s4
	s_cbranch_execz .LBB124_758
; %bb.757:
	v_mov_b32_e32 v4, s50
	v_mov_b32_e32 v11, s48
	;; [unrolled: 1-line block ×3, first 2 shown]
	s_clause 0x7
	buffer_load_dword v15, v4, s[0:3], 0 offen
	buffer_load_dword v16, v4, s[0:3], 0 offen offset:4
	buffer_load_dword v17, v4, s[0:3], 0 offen offset:8
	buffer_load_dword v18, v4, s[0:3], 0 offen offset:12
	buffer_load_dword v19, v10, s[0:3], 0 offen
	buffer_load_dword v20, v10, s[0:3], 0 offen offset:4
	buffer_load_dword v21, v10, s[0:3], 0 offen offset:8
	buffer_load_dword v22, v10, s[0:3], 0 offen offset:12
	v_mov_b32_e32 v4, s47
	v_mov_b32_e32 v10, s46
	s_clause 0x7
	buffer_load_dword v23, v11, s[0:3], 0 offen
	buffer_load_dword v24, v11, s[0:3], 0 offen offset:4
	buffer_load_dword v25, v11, s[0:3], 0 offen offset:8
	buffer_load_dword v26, v11, s[0:3], 0 offen offset:12
	buffer_load_dword v27, v4, s[0:3], 0 offen
	buffer_load_dword v28, v4, s[0:3], 0 offen offset:4
	buffer_load_dword v29, v4, s[0:3], 0 offen offset:8
	buffer_load_dword v30, v4, s[0:3], 0 offen offset:12
	v_mov_b32_e32 v11, s44
	v_mov_b32_e32 v4, s45
	;; [unrolled: 11-line block ×14, first 2 shown]
	s_clause 0x7
	buffer_load_dword v127, v10, s[0:3], 0 offen
	buffer_load_dword v128, v10, s[0:3], 0 offen offset:4
	buffer_load_dword v129, v10, s[0:3], 0 offen offset:8
	;; [unrolled: 1-line block ×3, first 2 shown]
	buffer_load_dword v131, v4, s[0:3], 0 offen
	buffer_load_dword v132, v4, s[0:3], 0 offen offset:4
	buffer_load_dword v133, v4, s[0:3], 0 offen offset:8
	;; [unrolled: 1-line block ×3, first 2 shown]
	v_mov_b32_e32 v4, s5
	s_clause 0x7
	buffer_load_dword v135, v11, s[0:3], 0 offen
	buffer_load_dword v136, v11, s[0:3], 0 offen offset:4
	buffer_load_dword v137, v11, s[0:3], 0 offen offset:8
	;; [unrolled: 1-line block ×3, first 2 shown]
	buffer_load_dword v139, v4, s[0:3], 0 offen
	buffer_load_dword v140, v4, s[0:3], 0 offen offset:4
	buffer_load_dword v141, v4, s[0:3], 0 offen offset:8
	;; [unrolled: 1-line block ×3, first 2 shown]
	v_mov_b32_e32 v11, 30
	s_waitcnt vmcnt(62)
	ds_write2_b64 v12, v[15:16], v[17:18] offset0:62 offset1:63
	ds_write2_b64 v12, v[19:20], v[21:22] offset0:64 offset1:65
	;; [unrolled: 1-line block ×16, first 2 shown]
	s_waitcnt vmcnt(60)
	ds_write2_b64 v12, v[79:80], v[81:82] offset0:94 offset1:95
	s_waitcnt vmcnt(56)
	ds_write2_b64 v12, v[83:84], v[85:86] offset0:96 offset1:97
	;; [unrolled: 2-line block ×16, first 2 shown]
.LBB124_758:
	s_or_b32 exec_lo, exec_lo, s4
	s_mov_b32 s4, exec_lo
	s_waitcnt lgkmcnt(0)
	s_waitcnt_vscnt null, 0x0
	s_barrier
	buffer_gl0_inv
	v_cmpx_lt_i32_e32 30, v11
	s_cbranch_execz .LBB124_761
; %bb.759:
	s_clause 0x3
	buffer_load_dword v15, off, s[0:3], 0 offset:488
	buffer_load_dword v16, off, s[0:3], 0 offset:492
	;; [unrolled: 1-line block ×4, first 2 shown]
	v_add3_u32 v4, v14, 0, 0x1f0
	s_mov_b32 s16, 0
	s_waitcnt vmcnt(2)
	v_mul_f64 v[19:20], v[2:3], v[15:16]
	v_mul_f64 v[15:16], v[0:1], v[15:16]
	s_waitcnt vmcnt(0)
	v_fma_f64 v[0:1], v[0:1], v[17:18], -v[19:20]
	v_fma_f64 v[2:3], v[2:3], v[17:18], v[15:16]
	buffer_store_dword v0, off, s[0:3], 0 offset:480
	buffer_store_dword v1, off, s[0:3], 0 offset:484
	;; [unrolled: 1-line block ×4, first 2 shown]
.LBB124_760:                            ; =>This Inner Loop Header: Depth=1
	v_mov_b32_e32 v10, s16
	v_add_nc_u32_e32 v27, s16, v4
	s_add_i32 s16, s16, 64
	s_clause 0xf
	buffer_load_dword v31, v10, s[0:3], 0 offen offset:496
	buffer_load_dword v32, v10, s[0:3], 0 offen offset:500
	;; [unrolled: 1-line block ×16, first 2 shown]
	ds_read2_b64 v[15:18], v27 offset1:1
	ds_read2_b64 v[19:22], v27 offset0:2 offset1:3
	ds_read2_b64 v[23:26], v27 offset0:4 offset1:5
	;; [unrolled: 1-line block ×3, first 2 shown]
	s_cmpk_lg_i32 s16, 0x200
	s_waitcnt lgkmcnt(3)
	v_mul_f64 v[47:48], v[17:18], v[2:3]
	v_mul_f64 v[49:50], v[15:16], v[2:3]
	s_waitcnt lgkmcnt(2)
	v_mul_f64 v[51:52], v[21:22], v[2:3]
	v_mul_f64 v[53:54], v[19:20], v[2:3]
	;; [unrolled: 3-line block ×4, first 2 shown]
	v_fma_f64 v[15:16], v[15:16], v[0:1], -v[47:48]
	v_fma_f64 v[17:18], v[17:18], v[0:1], v[49:50]
	v_fma_f64 v[19:20], v[19:20], v[0:1], -v[51:52]
	v_fma_f64 v[21:22], v[21:22], v[0:1], v[53:54]
	;; [unrolled: 2-line block ×4, first 2 shown]
	s_waitcnt vmcnt(14)
	v_add_f64 v[15:16], v[31:32], -v[15:16]
	s_waitcnt vmcnt(12)
	v_add_f64 v[17:18], v[33:34], -v[17:18]
	;; [unrolled: 2-line block ×8, first 2 shown]
	buffer_store_dword v15, v10, s[0:3], 0 offen offset:496
	buffer_store_dword v16, v10, s[0:3], 0 offen offset:500
	;; [unrolled: 1-line block ×16, first 2 shown]
	s_cbranch_scc1 .LBB124_760
.LBB124_761:
	s_or_b32 exec_lo, exec_lo, s4
	v_mov_b32_e32 v3, s50
	s_waitcnt_vscnt null, 0x0
	s_barrier
	buffer_gl0_inv
	v_lshl_add_u32 v4, v11, 4, v12
	s_clause 0x3
	buffer_load_dword v0, v3, s[0:3], 0 offen
	buffer_load_dword v1, v3, s[0:3], 0 offen offset:4
	buffer_load_dword v2, v3, s[0:3], 0 offen offset:8
	buffer_load_dword v3, v3, s[0:3], 0 offen offset:12
	s_cmp_lt_i32 s57, 33
	s_waitcnt vmcnt(0)
	ds_write2_b64 v4, v[0:1], v[2:3] offset1:1
	s_waitcnt lgkmcnt(0)
	s_barrier
	buffer_gl0_inv
	ds_read2_b64 v[0:3], v12 offset0:62 offset1:63
	v_mov_b32_e32 v4, 31
	s_cbranch_scc1 .LBB124_764
; %bb.762:
	v_add3_u32 v10, v14, 0, 0x200
	v_mov_b32_e32 v4, 31
	s_mov_b32 s16, 32
	s_inst_prefetch 0x1
	.p2align	6
.LBB124_763:                            ; =>This Inner Loop Header: Depth=1
	s_waitcnt lgkmcnt(0)
	v_cmp_gt_f64_e32 vcc_lo, 0, v[2:3]
	v_cmp_gt_f64_e64 s4, 0, v[0:1]
	ds_read2_b64 v[15:18], v10 offset1:1
	v_xor_b32_e32 v20, 0x80000000, v1
	v_xor_b32_e32 v22, 0x80000000, v3
	v_mov_b32_e32 v19, v0
	v_mov_b32_e32 v21, v2
	v_add_nc_u32_e32 v10, 16, v10
	s_waitcnt lgkmcnt(0)
	v_xor_b32_e32 v24, 0x80000000, v18
	v_cndmask_b32_e64 v20, v1, v20, s4
	v_cndmask_b32_e32 v22, v3, v22, vcc_lo
	v_cmp_gt_f64_e32 vcc_lo, 0, v[17:18]
	v_cmp_gt_f64_e64 s4, 0, v[15:16]
	v_mov_b32_e32 v23, v17
	v_add_f64 v[19:20], v[19:20], v[21:22]
	v_xor_b32_e32 v22, 0x80000000, v16
	v_mov_b32_e32 v21, v15
	v_cndmask_b32_e32 v24, v18, v24, vcc_lo
	v_cndmask_b32_e64 v22, v16, v22, s4
	v_add_f64 v[21:22], v[21:22], v[23:24]
	v_cmp_lt_f64_e32 vcc_lo, v[19:20], v[21:22]
	v_cndmask_b32_e32 v1, v1, v16, vcc_lo
	v_cndmask_b32_e32 v0, v0, v15, vcc_lo
	;; [unrolled: 1-line block ×4, first 2 shown]
	v_cndmask_b32_e64 v4, v4, s16, vcc_lo
	s_add_i32 s16, s16, 1
	s_cmp_lg_u32 s57, s16
	s_cbranch_scc1 .LBB124_763
.LBB124_764:
	s_inst_prefetch 0x2
	s_waitcnt lgkmcnt(0)
	v_cmp_eq_f64_e32 vcc_lo, 0, v[0:1]
	v_cmp_eq_f64_e64 s4, 0, v[2:3]
	s_and_b32 s4, vcc_lo, s4
	s_and_saveexec_b32 s16, s4
	s_xor_b32 s4, exec_lo, s16
; %bb.765:
	v_cmp_ne_u32_e32 vcc_lo, 0, v13
	v_cndmask_b32_e32 v13, 32, v13, vcc_lo
; %bb.766:
	s_andn2_saveexec_b32 s4, s4
	s_cbranch_execz .LBB124_772
; %bb.767:
	v_cmp_ngt_f64_e64 s16, |v[0:1]|, |v[2:3]|
	s_and_saveexec_b32 s17, s16
	s_xor_b32 s16, exec_lo, s17
	s_cbranch_execz .LBB124_769
; %bb.768:
	v_div_scale_f64 v[15:16], null, v[2:3], v[2:3], v[0:1]
	v_div_scale_f64 v[21:22], vcc_lo, v[0:1], v[2:3], v[0:1]
	v_rcp_f64_e32 v[17:18], v[15:16]
	v_fma_f64 v[19:20], -v[15:16], v[17:18], 1.0
	v_fma_f64 v[17:18], v[17:18], v[19:20], v[17:18]
	v_fma_f64 v[19:20], -v[15:16], v[17:18], 1.0
	v_fma_f64 v[17:18], v[17:18], v[19:20], v[17:18]
	v_mul_f64 v[19:20], v[21:22], v[17:18]
	v_fma_f64 v[15:16], -v[15:16], v[19:20], v[21:22]
	v_div_fmas_f64 v[15:16], v[15:16], v[17:18], v[19:20]
	v_div_fixup_f64 v[15:16], v[15:16], v[2:3], v[0:1]
	v_fma_f64 v[0:1], v[0:1], v[15:16], v[2:3]
	v_div_scale_f64 v[2:3], null, v[0:1], v[0:1], 1.0
	v_rcp_f64_e32 v[17:18], v[2:3]
	v_fma_f64 v[19:20], -v[2:3], v[17:18], 1.0
	v_fma_f64 v[17:18], v[17:18], v[19:20], v[17:18]
	v_fma_f64 v[19:20], -v[2:3], v[17:18], 1.0
	v_fma_f64 v[17:18], v[17:18], v[19:20], v[17:18]
	v_div_scale_f64 v[19:20], vcc_lo, 1.0, v[0:1], 1.0
	v_mul_f64 v[21:22], v[19:20], v[17:18]
	v_fma_f64 v[2:3], -v[2:3], v[21:22], v[19:20]
	v_div_fmas_f64 v[2:3], v[2:3], v[17:18], v[21:22]
	v_div_fixup_f64 v[2:3], v[2:3], v[0:1], 1.0
	v_mul_f64 v[0:1], v[15:16], v[2:3]
	v_xor_b32_e32 v3, 0x80000000, v3
.LBB124_769:
	s_andn2_saveexec_b32 s16, s16
	s_cbranch_execz .LBB124_771
; %bb.770:
	v_div_scale_f64 v[15:16], null, v[0:1], v[0:1], v[2:3]
	v_div_scale_f64 v[21:22], vcc_lo, v[2:3], v[0:1], v[2:3]
	v_rcp_f64_e32 v[17:18], v[15:16]
	v_fma_f64 v[19:20], -v[15:16], v[17:18], 1.0
	v_fma_f64 v[17:18], v[17:18], v[19:20], v[17:18]
	v_fma_f64 v[19:20], -v[15:16], v[17:18], 1.0
	v_fma_f64 v[17:18], v[17:18], v[19:20], v[17:18]
	v_mul_f64 v[19:20], v[21:22], v[17:18]
	v_fma_f64 v[15:16], -v[15:16], v[19:20], v[21:22]
	v_div_fmas_f64 v[15:16], v[15:16], v[17:18], v[19:20]
	v_div_fixup_f64 v[15:16], v[15:16], v[0:1], v[2:3]
	v_fma_f64 v[0:1], v[2:3], v[15:16], v[0:1]
	v_div_scale_f64 v[2:3], null, v[0:1], v[0:1], 1.0
	v_rcp_f64_e32 v[17:18], v[2:3]
	v_fma_f64 v[19:20], -v[2:3], v[17:18], 1.0
	v_fma_f64 v[17:18], v[17:18], v[19:20], v[17:18]
	v_fma_f64 v[19:20], -v[2:3], v[17:18], 1.0
	v_fma_f64 v[17:18], v[17:18], v[19:20], v[17:18]
	v_div_scale_f64 v[19:20], vcc_lo, 1.0, v[0:1], 1.0
	v_mul_f64 v[21:22], v[19:20], v[17:18]
	v_fma_f64 v[2:3], -v[2:3], v[21:22], v[19:20]
	v_div_fmas_f64 v[2:3], v[2:3], v[17:18], v[21:22]
	v_div_fixup_f64 v[0:1], v[2:3], v[0:1], 1.0
	v_mul_f64 v[2:3], v[15:16], -v[0:1]
.LBB124_771:
	s_or_b32 exec_lo, exec_lo, s16
.LBB124_772:
	s_or_b32 exec_lo, exec_lo, s4
	s_mov_b32 s4, exec_lo
	v_cmpx_ne_u32_e64 v11, v4
	s_xor_b32 s4, exec_lo, s4
	s_cbranch_execz .LBB124_778
; %bb.773:
	s_mov_b32 s16, exec_lo
	v_cmpx_eq_u32_e32 31, v11
	s_cbranch_execz .LBB124_777
; %bb.774:
	v_cmp_ne_u32_e32 vcc_lo, 31, v4
	s_xor_b32 s17, s20, -1
	s_and_b32 s56, s17, vcc_lo
	s_and_saveexec_b32 s17, s56
	s_cbranch_execz .LBB124_776
; %bb.775:
	v_ashrrev_i32_e32 v5, 31, v4
	v_lshlrev_b64 v[10:11], 2, v[4:5]
	v_add_co_u32 v10, vcc_lo, v8, v10
	v_add_co_ci_u32_e64 v11, null, v9, v11, vcc_lo
	s_clause 0x1
	global_load_dword v5, v[10:11], off
	global_load_dword v15, v[8:9], off offset:124
	s_waitcnt vmcnt(1)
	global_store_dword v[8:9], v5, off offset:124
	s_waitcnt vmcnt(0)
	global_store_dword v[10:11], v15, off
.LBB124_776:
	s_or_b32 exec_lo, exec_lo, s17
	v_mov_b32_e32 v11, v4
	v_mov_b32_e32 v5, v4
.LBB124_777:
	s_or_b32 exec_lo, exec_lo, s16
.LBB124_778:
	s_andn2_saveexec_b32 s4, s4
	s_cbranch_execz .LBB124_780
; %bb.779:
	v_mov_b32_e32 v4, s49
	v_mov_b32_e32 v10, s48
	;; [unrolled: 1-line block ×3, first 2 shown]
	s_clause 0x7
	buffer_load_dword v15, v4, s[0:3], 0 offen
	buffer_load_dword v16, v4, s[0:3], 0 offen offset:4
	buffer_load_dword v17, v4, s[0:3], 0 offen offset:8
	buffer_load_dword v18, v4, s[0:3], 0 offen offset:12
	buffer_load_dword v19, v10, s[0:3], 0 offen
	buffer_load_dword v20, v10, s[0:3], 0 offen offset:4
	buffer_load_dword v21, v10, s[0:3], 0 offen offset:8
	buffer_load_dword v22, v10, s[0:3], 0 offen offset:12
	v_mov_b32_e32 v10, s45
	v_mov_b32_e32 v4, s46
	s_clause 0x7
	buffer_load_dword v23, v11, s[0:3], 0 offen
	buffer_load_dword v24, v11, s[0:3], 0 offen offset:4
	buffer_load_dword v25, v11, s[0:3], 0 offen offset:8
	buffer_load_dword v26, v11, s[0:3], 0 offen offset:12
	buffer_load_dword v27, v4, s[0:3], 0 offen
	buffer_load_dword v28, v4, s[0:3], 0 offen offset:4
	buffer_load_dword v29, v4, s[0:3], 0 offen offset:8
	buffer_load_dword v30, v4, s[0:3], 0 offen offset:12
	v_mov_b32_e32 v4, s44
	v_mov_b32_e32 v11, s43
	;; [unrolled: 11-line block ×14, first 2 shown]
	s_clause 0xb
	buffer_load_dword v127, v10, s[0:3], 0 offen
	buffer_load_dword v128, v10, s[0:3], 0 offen offset:4
	buffer_load_dword v129, v10, s[0:3], 0 offen offset:8
	buffer_load_dword v130, v10, s[0:3], 0 offen offset:12
	buffer_load_dword v131, v4, s[0:3], 0 offen
	buffer_load_dword v132, v4, s[0:3], 0 offen offset:4
	buffer_load_dword v133, v4, s[0:3], 0 offen offset:8
	buffer_load_dword v134, v4, s[0:3], 0 offen offset:12
	;; [unrolled: 4-line block ×3, first 2 shown]
	v_mov_b32_e32 v11, 31
	s_waitcnt vmcnt(62)
	ds_write2_b64 v12, v[15:16], v[17:18] offset0:64 offset1:65
	ds_write2_b64 v12, v[19:20], v[21:22] offset0:66 offset1:67
	;; [unrolled: 1-line block ×15, first 2 shown]
	s_waitcnt vmcnt(60)
	ds_write2_b64 v12, v[75:76], v[77:78] offset0:94 offset1:95
	s_waitcnt vmcnt(56)
	ds_write2_b64 v12, v[79:80], v[81:82] offset0:96 offset1:97
	;; [unrolled: 2-line block ×16, first 2 shown]
.LBB124_780:
	s_or_b32 exec_lo, exec_lo, s4
	s_mov_b32 s4, exec_lo
	s_waitcnt lgkmcnt(0)
	s_waitcnt_vscnt null, 0x0
	s_barrier
	buffer_gl0_inv
	v_cmpx_lt_i32_e32 31, v11
	s_cbranch_execz .LBB124_785
; %bb.781:
	s_clause 0x3
	buffer_load_dword v15, off, s[0:3], 0 offset:504
	buffer_load_dword v16, off, s[0:3], 0 offset:508
	;; [unrolled: 1-line block ×4, first 2 shown]
	v_add3_u32 v4, v14, 0, 0x200
	s_mov_b32 s16, 0
	s_waitcnt vmcnt(2)
	v_mul_f64 v[19:20], v[2:3], v[15:16]
	v_mul_f64 v[15:16], v[0:1], v[15:16]
	s_waitcnt vmcnt(0)
	v_fma_f64 v[0:1], v[0:1], v[17:18], -v[19:20]
	v_fma_f64 v[2:3], v[2:3], v[17:18], v[15:16]
	buffer_store_dword v0, off, s[0:3], 0 offset:496
	buffer_store_dword v1, off, s[0:3], 0 offset:500
	;; [unrolled: 1-line block ×4, first 2 shown]
	s_branch .LBB124_783
.LBB124_782:                            ;   in Loop: Header=BB124_783 Depth=1
	s_andn2_b32 vcc_lo, exec_lo, s56
	s_cbranch_vccz .LBB124_785
.LBB124_783:                            ; =>This Inner Loop Header: Depth=1
	v_mov_b32_e32 v51, s16
	v_add_nc_u32_e32 v10, s16, v4
	s_mov_b32 s17, s16
	s_mov_b32 s56, -1
	s_cmpk_eq_i32 s16, 0x1c0
	s_clause 0xb
	buffer_load_dword v27, v51, s[0:3], 0 offen offset:512
	buffer_load_dword v28, v51, s[0:3], 0 offen offset:516
	;; [unrolled: 1-line block ×12, first 2 shown]
	ds_read2_b64 v[15:18], v10 offset1:1
	ds_read2_b64 v[19:22], v10 offset0:2 offset1:3
	ds_read2_b64 v[23:26], v10 offset0:4 offset1:5
	s_waitcnt lgkmcnt(2)
	v_mul_f64 v[39:40], v[17:18], v[2:3]
	v_mul_f64 v[41:42], v[15:16], v[2:3]
	s_waitcnt lgkmcnt(1)
	v_mul_f64 v[43:44], v[21:22], v[2:3]
	v_mul_f64 v[45:46], v[19:20], v[2:3]
	;; [unrolled: 3-line block ×3, first 2 shown]
	v_fma_f64 v[15:16], v[15:16], v[0:1], -v[39:40]
	v_fma_f64 v[17:18], v[17:18], v[0:1], v[41:42]
	v_fma_f64 v[19:20], v[19:20], v[0:1], -v[43:44]
	v_fma_f64 v[21:22], v[21:22], v[0:1], v[45:46]
	;; [unrolled: 2-line block ×3, first 2 shown]
	s_waitcnt vmcnt(10)
	v_add_f64 v[15:16], v[27:28], -v[15:16]
	s_waitcnt vmcnt(8)
	v_add_f64 v[17:18], v[29:30], -v[17:18]
	;; [unrolled: 2-line block ×6, first 2 shown]
	buffer_store_dword v15, v51, s[0:3], 0 offen offset:512
	buffer_store_dword v16, v51, s[0:3], 0 offen offset:516
	;; [unrolled: 1-line block ×12, first 2 shown]
	s_cbranch_scc1 .LBB124_782
; %bb.784:                              ;   in Loop: Header=BB124_783 Depth=1
	v_mov_b32_e32 v27, s17
	s_add_i32 s16, s16, 64
	s_mov_b32 s56, 0
	s_clause 0x3
	buffer_load_dword v19, v27, s[0:3], 0 offen offset:560
	buffer_load_dword v20, v27, s[0:3], 0 offen offset:564
	;; [unrolled: 1-line block ×4, first 2 shown]
	ds_read2_b64 v[15:18], v10 offset0:6 offset1:7
	s_waitcnt lgkmcnt(0)
	v_mul_f64 v[23:24], v[17:18], v[2:3]
	v_mul_f64 v[25:26], v[15:16], v[2:3]
	v_fma_f64 v[15:16], v[15:16], v[0:1], -v[23:24]
	v_fma_f64 v[17:18], v[17:18], v[0:1], v[25:26]
	s_waitcnt vmcnt(2)
	v_add_f64 v[15:16], v[19:20], -v[15:16]
	s_waitcnt vmcnt(0)
	v_add_f64 v[17:18], v[21:22], -v[17:18]
	buffer_store_dword v15, v27, s[0:3], 0 offen offset:560
	buffer_store_dword v16, v27, s[0:3], 0 offen offset:564
	buffer_store_dword v17, v27, s[0:3], 0 offen offset:568
	buffer_store_dword v18, v27, s[0:3], 0 offen offset:572
	s_branch .LBB124_782
.LBB124_785:
	s_or_b32 exec_lo, exec_lo, s4
	v_mov_b32_e32 v3, s49
	s_waitcnt_vscnt null, 0x0
	s_barrier
	buffer_gl0_inv
	v_lshl_add_u32 v4, v11, 4, v12
	s_clause 0x3
	buffer_load_dword v0, v3, s[0:3], 0 offen
	buffer_load_dword v1, v3, s[0:3], 0 offen offset:4
	buffer_load_dword v2, v3, s[0:3], 0 offen offset:8
	;; [unrolled: 1-line block ×3, first 2 shown]
	s_cmp_lt_i32 s57, 34
	s_waitcnt vmcnt(0)
	ds_write2_b64 v4, v[0:1], v[2:3] offset1:1
	s_waitcnt lgkmcnt(0)
	s_barrier
	buffer_gl0_inv
	ds_read2_b64 v[0:3], v12 offset0:64 offset1:65
	v_mov_b32_e32 v4, 32
	s_cbranch_scc1 .LBB124_788
; %bb.786:
	v_add3_u32 v10, v14, 0, 0x210
	v_mov_b32_e32 v4, 32
	s_mov_b32 s16, 33
	s_inst_prefetch 0x1
	.p2align	6
.LBB124_787:                            ; =>This Inner Loop Header: Depth=1
	s_waitcnt lgkmcnt(0)
	v_cmp_gt_f64_e32 vcc_lo, 0, v[2:3]
	v_cmp_gt_f64_e64 s4, 0, v[0:1]
	ds_read2_b64 v[15:18], v10 offset1:1
	v_xor_b32_e32 v20, 0x80000000, v1
	v_xor_b32_e32 v22, 0x80000000, v3
	v_mov_b32_e32 v19, v0
	v_mov_b32_e32 v21, v2
	v_add_nc_u32_e32 v10, 16, v10
	s_waitcnt lgkmcnt(0)
	v_xor_b32_e32 v24, 0x80000000, v18
	v_cndmask_b32_e64 v20, v1, v20, s4
	v_cndmask_b32_e32 v22, v3, v22, vcc_lo
	v_cmp_gt_f64_e32 vcc_lo, 0, v[17:18]
	v_cmp_gt_f64_e64 s4, 0, v[15:16]
	v_mov_b32_e32 v23, v17
	v_add_f64 v[19:20], v[19:20], v[21:22]
	v_xor_b32_e32 v22, 0x80000000, v16
	v_mov_b32_e32 v21, v15
	v_cndmask_b32_e32 v24, v18, v24, vcc_lo
	v_cndmask_b32_e64 v22, v16, v22, s4
	v_add_f64 v[21:22], v[21:22], v[23:24]
	v_cmp_lt_f64_e32 vcc_lo, v[19:20], v[21:22]
	v_cndmask_b32_e32 v1, v1, v16, vcc_lo
	v_cndmask_b32_e32 v0, v0, v15, vcc_lo
	;; [unrolled: 1-line block ×4, first 2 shown]
	v_cndmask_b32_e64 v4, v4, s16, vcc_lo
	s_add_i32 s16, s16, 1
	s_cmp_lg_u32 s57, s16
	s_cbranch_scc1 .LBB124_787
.LBB124_788:
	s_inst_prefetch 0x2
	s_waitcnt lgkmcnt(0)
	v_cmp_eq_f64_e32 vcc_lo, 0, v[0:1]
	v_cmp_eq_f64_e64 s4, 0, v[2:3]
	s_and_b32 s4, vcc_lo, s4
	s_and_saveexec_b32 s16, s4
	s_xor_b32 s4, exec_lo, s16
; %bb.789:
	v_cmp_ne_u32_e32 vcc_lo, 0, v13
	v_cndmask_b32_e32 v13, 33, v13, vcc_lo
; %bb.790:
	s_andn2_saveexec_b32 s4, s4
	s_cbranch_execz .LBB124_796
; %bb.791:
	v_cmp_ngt_f64_e64 s16, |v[0:1]|, |v[2:3]|
	s_and_saveexec_b32 s17, s16
	s_xor_b32 s16, exec_lo, s17
	s_cbranch_execz .LBB124_793
; %bb.792:
	v_div_scale_f64 v[15:16], null, v[2:3], v[2:3], v[0:1]
	v_div_scale_f64 v[21:22], vcc_lo, v[0:1], v[2:3], v[0:1]
	v_rcp_f64_e32 v[17:18], v[15:16]
	v_fma_f64 v[19:20], -v[15:16], v[17:18], 1.0
	v_fma_f64 v[17:18], v[17:18], v[19:20], v[17:18]
	v_fma_f64 v[19:20], -v[15:16], v[17:18], 1.0
	v_fma_f64 v[17:18], v[17:18], v[19:20], v[17:18]
	v_mul_f64 v[19:20], v[21:22], v[17:18]
	v_fma_f64 v[15:16], -v[15:16], v[19:20], v[21:22]
	v_div_fmas_f64 v[15:16], v[15:16], v[17:18], v[19:20]
	v_div_fixup_f64 v[15:16], v[15:16], v[2:3], v[0:1]
	v_fma_f64 v[0:1], v[0:1], v[15:16], v[2:3]
	v_div_scale_f64 v[2:3], null, v[0:1], v[0:1], 1.0
	v_rcp_f64_e32 v[17:18], v[2:3]
	v_fma_f64 v[19:20], -v[2:3], v[17:18], 1.0
	v_fma_f64 v[17:18], v[17:18], v[19:20], v[17:18]
	v_fma_f64 v[19:20], -v[2:3], v[17:18], 1.0
	v_fma_f64 v[17:18], v[17:18], v[19:20], v[17:18]
	v_div_scale_f64 v[19:20], vcc_lo, 1.0, v[0:1], 1.0
	v_mul_f64 v[21:22], v[19:20], v[17:18]
	v_fma_f64 v[2:3], -v[2:3], v[21:22], v[19:20]
	v_div_fmas_f64 v[2:3], v[2:3], v[17:18], v[21:22]
	v_div_fixup_f64 v[2:3], v[2:3], v[0:1], 1.0
	v_mul_f64 v[0:1], v[15:16], v[2:3]
	v_xor_b32_e32 v3, 0x80000000, v3
.LBB124_793:
	s_andn2_saveexec_b32 s16, s16
	s_cbranch_execz .LBB124_795
; %bb.794:
	v_div_scale_f64 v[15:16], null, v[0:1], v[0:1], v[2:3]
	v_div_scale_f64 v[21:22], vcc_lo, v[2:3], v[0:1], v[2:3]
	v_rcp_f64_e32 v[17:18], v[15:16]
	v_fma_f64 v[19:20], -v[15:16], v[17:18], 1.0
	v_fma_f64 v[17:18], v[17:18], v[19:20], v[17:18]
	v_fma_f64 v[19:20], -v[15:16], v[17:18], 1.0
	v_fma_f64 v[17:18], v[17:18], v[19:20], v[17:18]
	v_mul_f64 v[19:20], v[21:22], v[17:18]
	v_fma_f64 v[15:16], -v[15:16], v[19:20], v[21:22]
	v_div_fmas_f64 v[15:16], v[15:16], v[17:18], v[19:20]
	v_div_fixup_f64 v[15:16], v[15:16], v[0:1], v[2:3]
	v_fma_f64 v[0:1], v[2:3], v[15:16], v[0:1]
	v_div_scale_f64 v[2:3], null, v[0:1], v[0:1], 1.0
	v_rcp_f64_e32 v[17:18], v[2:3]
	v_fma_f64 v[19:20], -v[2:3], v[17:18], 1.0
	v_fma_f64 v[17:18], v[17:18], v[19:20], v[17:18]
	v_fma_f64 v[19:20], -v[2:3], v[17:18], 1.0
	v_fma_f64 v[17:18], v[17:18], v[19:20], v[17:18]
	v_div_scale_f64 v[19:20], vcc_lo, 1.0, v[0:1], 1.0
	v_mul_f64 v[21:22], v[19:20], v[17:18]
	v_fma_f64 v[2:3], -v[2:3], v[21:22], v[19:20]
	v_div_fmas_f64 v[2:3], v[2:3], v[17:18], v[21:22]
	v_div_fixup_f64 v[0:1], v[2:3], v[0:1], 1.0
	v_mul_f64 v[2:3], v[15:16], -v[0:1]
.LBB124_795:
	s_or_b32 exec_lo, exec_lo, s16
.LBB124_796:
	s_or_b32 exec_lo, exec_lo, s4
	s_mov_b32 s4, exec_lo
	v_cmpx_ne_u32_e64 v11, v4
	s_xor_b32 s4, exec_lo, s4
	s_cbranch_execz .LBB124_802
; %bb.797:
	s_mov_b32 s16, exec_lo
	v_cmpx_eq_u32_e32 32, v11
	s_cbranch_execz .LBB124_801
; %bb.798:
	v_cmp_ne_u32_e32 vcc_lo, 32, v4
	s_xor_b32 s17, s20, -1
	s_and_b32 s56, s17, vcc_lo
	s_and_saveexec_b32 s17, s56
	s_cbranch_execz .LBB124_800
; %bb.799:
	v_ashrrev_i32_e32 v5, 31, v4
	v_lshlrev_b64 v[10:11], 2, v[4:5]
	v_add_co_u32 v10, vcc_lo, v8, v10
	v_add_co_ci_u32_e64 v11, null, v9, v11, vcc_lo
	s_clause 0x1
	global_load_dword v5, v[10:11], off
	global_load_dword v15, v[8:9], off offset:128
	s_waitcnt vmcnt(1)
	global_store_dword v[8:9], v5, off offset:128
	s_waitcnt vmcnt(0)
	global_store_dword v[10:11], v15, off
.LBB124_800:
	s_or_b32 exec_lo, exec_lo, s17
	v_mov_b32_e32 v11, v4
	v_mov_b32_e32 v5, v4
.LBB124_801:
	s_or_b32 exec_lo, exec_lo, s16
.LBB124_802:
	s_andn2_saveexec_b32 s4, s4
	s_cbranch_execz .LBB124_804
; %bb.803:
	v_mov_b32_e32 v4, s48
	v_mov_b32_e32 v10, s47
	;; [unrolled: 1-line block ×3, first 2 shown]
	s_clause 0x7
	buffer_load_dword v15, v4, s[0:3], 0 offen
	buffer_load_dword v16, v4, s[0:3], 0 offen offset:4
	buffer_load_dword v17, v4, s[0:3], 0 offen offset:8
	buffer_load_dword v18, v4, s[0:3], 0 offen offset:12
	buffer_load_dword v19, v10, s[0:3], 0 offen
	buffer_load_dword v20, v10, s[0:3], 0 offen offset:4
	buffer_load_dword v21, v10, s[0:3], 0 offen offset:8
	buffer_load_dword v22, v10, s[0:3], 0 offen offset:12
	v_mov_b32_e32 v10, s44
	v_mov_b32_e32 v4, s45
	s_clause 0x7
	buffer_load_dword v23, v11, s[0:3], 0 offen
	buffer_load_dword v24, v11, s[0:3], 0 offen offset:4
	buffer_load_dword v25, v11, s[0:3], 0 offen offset:8
	buffer_load_dword v26, v11, s[0:3], 0 offen offset:12
	buffer_load_dword v27, v4, s[0:3], 0 offen
	buffer_load_dword v28, v4, s[0:3], 0 offen offset:4
	buffer_load_dword v29, v4, s[0:3], 0 offen offset:8
	buffer_load_dword v30, v4, s[0:3], 0 offen offset:12
	v_mov_b32_e32 v4, s43
	v_mov_b32_e32 v11, s42
	;; [unrolled: 11-line block ×13, first 2 shown]
	s_clause 0x7
	buffer_load_dword v119, v11, s[0:3], 0 offen
	buffer_load_dword v120, v11, s[0:3], 0 offen offset:4
	buffer_load_dword v121, v11, s[0:3], 0 offen offset:8
	;; [unrolled: 1-line block ×3, first 2 shown]
	buffer_load_dword v123, v4, s[0:3], 0 offen
	buffer_load_dword v124, v4, s[0:3], 0 offen offset:4
	buffer_load_dword v125, v4, s[0:3], 0 offen offset:8
	;; [unrolled: 1-line block ×3, first 2 shown]
	v_mov_b32_e32 v4, s5
	s_clause 0x7
	buffer_load_dword v127, v10, s[0:3], 0 offen
	buffer_load_dword v128, v10, s[0:3], 0 offen offset:4
	buffer_load_dword v129, v10, s[0:3], 0 offen offset:8
	;; [unrolled: 1-line block ×3, first 2 shown]
	buffer_load_dword v131, v4, s[0:3], 0 offen
	buffer_load_dword v132, v4, s[0:3], 0 offen offset:4
	buffer_load_dword v133, v4, s[0:3], 0 offen offset:8
	;; [unrolled: 1-line block ×3, first 2 shown]
	v_mov_b32_e32 v11, 32
	s_waitcnt vmcnt(62)
	ds_write2_b64 v12, v[15:16], v[17:18] offset0:66 offset1:67
	ds_write2_b64 v12, v[19:20], v[21:22] offset0:68 offset1:69
	;; [unrolled: 1-line block ×14, first 2 shown]
	s_waitcnt vmcnt(60)
	ds_write2_b64 v12, v[71:72], v[73:74] offset0:94 offset1:95
	s_waitcnt vmcnt(56)
	ds_write2_b64 v12, v[75:76], v[77:78] offset0:96 offset1:97
	;; [unrolled: 2-line block ×16, first 2 shown]
.LBB124_804:
	s_or_b32 exec_lo, exec_lo, s4
	s_mov_b32 s4, exec_lo
	s_waitcnt lgkmcnt(0)
	s_waitcnt_vscnt null, 0x0
	s_barrier
	buffer_gl0_inv
	v_cmpx_lt_i32_e32 32, v11
	s_cbranch_execz .LBB124_807
; %bb.805:
	s_clause 0x3
	buffer_load_dword v15, off, s[0:3], 0 offset:520
	buffer_load_dword v16, off, s[0:3], 0 offset:524
	;; [unrolled: 1-line block ×4, first 2 shown]
	v_add3_u32 v4, v14, 0, 0x210
	s_mov_b32 s82, 0
	s_waitcnt vmcnt(2)
	v_mul_f64 v[19:20], v[2:3], v[15:16]
	v_mul_f64 v[15:16], v[0:1], v[15:16]
	s_waitcnt vmcnt(0)
	v_fma_f64 v[0:1], v[0:1], v[17:18], -v[19:20]
	v_fma_f64 v[2:3], v[2:3], v[17:18], v[15:16]
	buffer_store_dword v0, off, s[0:3], 0 offset:512
	buffer_store_dword v1, off, s[0:3], 0 offset:516
	;; [unrolled: 1-line block ×4, first 2 shown]
.LBB124_806:                            ; =>This Inner Loop Header: Depth=1
	v_mov_b32_e32 v10, s82
	v_add_nc_u32_e32 v35, s82, v4
	s_addk_i32 s82, 0x60
	s_clause 0x17
	buffer_load_dword v39, v10, s[0:3], 0 offen offset:528
	buffer_load_dword v40, v10, s[0:3], 0 offen offset:532
	buffer_load_dword v41, v10, s[0:3], 0 offen offset:536
	buffer_load_dword v42, v10, s[0:3], 0 offen offset:540
	buffer_load_dword v43, v10, s[0:3], 0 offen offset:544
	buffer_load_dword v44, v10, s[0:3], 0 offen offset:548
	buffer_load_dword v45, v10, s[0:3], 0 offen offset:552
	buffer_load_dword v46, v10, s[0:3], 0 offen offset:556
	buffer_load_dword v47, v10, s[0:3], 0 offen offset:560
	buffer_load_dword v48, v10, s[0:3], 0 offen offset:564
	buffer_load_dword v49, v10, s[0:3], 0 offen offset:568
	buffer_load_dword v50, v10, s[0:3], 0 offen offset:572
	buffer_load_dword v51, v10, s[0:3], 0 offen offset:576
	buffer_load_dword v52, v10, s[0:3], 0 offen offset:580
	buffer_load_dword v53, v10, s[0:3], 0 offen offset:584
	buffer_load_dword v54, v10, s[0:3], 0 offen offset:588
	buffer_load_dword v55, v10, s[0:3], 0 offen offset:592
	buffer_load_dword v56, v10, s[0:3], 0 offen offset:596
	buffer_load_dword v57, v10, s[0:3], 0 offen offset:600
	buffer_load_dword v58, v10, s[0:3], 0 offen offset:604
	buffer_load_dword v59, v10, s[0:3], 0 offen offset:608
	buffer_load_dword v60, v10, s[0:3], 0 offen offset:612
	buffer_load_dword v61, v10, s[0:3], 0 offen offset:616
	buffer_load_dword v62, v10, s[0:3], 0 offen offset:620
	ds_read2_b64 v[15:18], v35 offset1:1
	ds_read2_b64 v[19:22], v35 offset0:2 offset1:3
	ds_read2_b64 v[23:26], v35 offset0:4 offset1:5
	;; [unrolled: 1-line block ×5, first 2 shown]
	s_cmpk_lg_i32 s82, 0x1e0
	s_waitcnt lgkmcnt(5)
	v_mul_f64 v[63:64], v[17:18], v[2:3]
	v_mul_f64 v[65:66], v[15:16], v[2:3]
	s_waitcnt lgkmcnt(4)
	v_mul_f64 v[67:68], v[21:22], v[2:3]
	v_mul_f64 v[69:70], v[19:20], v[2:3]
	;; [unrolled: 3-line block ×6, first 2 shown]
	v_fma_f64 v[15:16], v[15:16], v[0:1], -v[63:64]
	v_fma_f64 v[17:18], v[17:18], v[0:1], v[65:66]
	v_fma_f64 v[19:20], v[19:20], v[0:1], -v[67:68]
	v_fma_f64 v[21:22], v[21:22], v[0:1], v[69:70]
	v_fma_f64 v[23:24], v[23:24], v[0:1], -v[71:72]
	v_fma_f64 v[25:26], v[25:26], v[0:1], v[73:74]
	v_fma_f64 v[27:28], v[27:28], v[0:1], -v[75:76]
	v_fma_f64 v[29:30], v[29:30], v[0:1], v[77:78]
	v_fma_f64 v[31:32], v[31:32], v[0:1], -v[79:80]
	v_fma_f64 v[33:34], v[33:34], v[0:1], v[81:82]
	v_fma_f64 v[35:36], v[35:36], v[0:1], -v[83:84]
	v_fma_f64 v[37:38], v[37:38], v[0:1], v[85:86]
	s_waitcnt vmcnt(22)
	v_add_f64 v[15:16], v[39:40], -v[15:16]
	s_waitcnt vmcnt(20)
	v_add_f64 v[17:18], v[41:42], -v[17:18]
	;; [unrolled: 2-line block ×12, first 2 shown]
	buffer_store_dword v15, v10, s[0:3], 0 offen offset:528
	buffer_store_dword v16, v10, s[0:3], 0 offen offset:532
	;; [unrolled: 1-line block ×24, first 2 shown]
	s_cbranch_scc1 .LBB124_806
.LBB124_807:
	s_or_b32 exec_lo, exec_lo, s4
	v_mov_b32_e32 v3, s48
	s_waitcnt_vscnt null, 0x0
	s_barrier
	buffer_gl0_inv
	v_lshl_add_u32 v4, v11, 4, v12
	s_clause 0x3
	buffer_load_dword v0, v3, s[0:3], 0 offen
	buffer_load_dword v1, v3, s[0:3], 0 offen offset:4
	buffer_load_dword v2, v3, s[0:3], 0 offen offset:8
	;; [unrolled: 1-line block ×3, first 2 shown]
	s_cmp_lt_i32 s57, 35
	s_waitcnt vmcnt(0)
	ds_write2_b64 v4, v[0:1], v[2:3] offset1:1
	s_waitcnt lgkmcnt(0)
	s_barrier
	buffer_gl0_inv
	ds_read2_b64 v[0:3], v12 offset0:66 offset1:67
	v_mov_b32_e32 v4, 33
	s_cbranch_scc1 .LBB124_810
; %bb.808:
	v_add3_u32 v10, v14, 0, 0x220
	v_mov_b32_e32 v4, 33
	s_mov_b32 s16, 34
	s_inst_prefetch 0x1
	.p2align	6
.LBB124_809:                            ; =>This Inner Loop Header: Depth=1
	s_waitcnt lgkmcnt(0)
	v_cmp_gt_f64_e32 vcc_lo, 0, v[2:3]
	v_cmp_gt_f64_e64 s4, 0, v[0:1]
	ds_read2_b64 v[15:18], v10 offset1:1
	v_xor_b32_e32 v20, 0x80000000, v1
	v_xor_b32_e32 v22, 0x80000000, v3
	v_mov_b32_e32 v19, v0
	v_mov_b32_e32 v21, v2
	v_add_nc_u32_e32 v10, 16, v10
	s_waitcnt lgkmcnt(0)
	v_xor_b32_e32 v24, 0x80000000, v18
	v_cndmask_b32_e64 v20, v1, v20, s4
	v_cndmask_b32_e32 v22, v3, v22, vcc_lo
	v_cmp_gt_f64_e32 vcc_lo, 0, v[17:18]
	v_cmp_gt_f64_e64 s4, 0, v[15:16]
	v_mov_b32_e32 v23, v17
	v_add_f64 v[19:20], v[19:20], v[21:22]
	v_xor_b32_e32 v22, 0x80000000, v16
	v_mov_b32_e32 v21, v15
	v_cndmask_b32_e32 v24, v18, v24, vcc_lo
	v_cndmask_b32_e64 v22, v16, v22, s4
	v_add_f64 v[21:22], v[21:22], v[23:24]
	v_cmp_lt_f64_e32 vcc_lo, v[19:20], v[21:22]
	v_cndmask_b32_e32 v1, v1, v16, vcc_lo
	v_cndmask_b32_e32 v0, v0, v15, vcc_lo
	;; [unrolled: 1-line block ×4, first 2 shown]
	v_cndmask_b32_e64 v4, v4, s16, vcc_lo
	s_add_i32 s16, s16, 1
	s_cmp_lg_u32 s57, s16
	s_cbranch_scc1 .LBB124_809
.LBB124_810:
	s_inst_prefetch 0x2
	s_waitcnt lgkmcnt(0)
	v_cmp_eq_f64_e32 vcc_lo, 0, v[0:1]
	v_cmp_eq_f64_e64 s4, 0, v[2:3]
	s_and_b32 s4, vcc_lo, s4
	s_and_saveexec_b32 s16, s4
	s_xor_b32 s4, exec_lo, s16
; %bb.811:
	v_cmp_ne_u32_e32 vcc_lo, 0, v13
	v_cndmask_b32_e32 v13, 34, v13, vcc_lo
; %bb.812:
	s_andn2_saveexec_b32 s4, s4
	s_cbranch_execz .LBB124_818
; %bb.813:
	v_cmp_ngt_f64_e64 s16, |v[0:1]|, |v[2:3]|
	s_and_saveexec_b32 s17, s16
	s_xor_b32 s16, exec_lo, s17
	s_cbranch_execz .LBB124_815
; %bb.814:
	v_div_scale_f64 v[15:16], null, v[2:3], v[2:3], v[0:1]
	v_div_scale_f64 v[21:22], vcc_lo, v[0:1], v[2:3], v[0:1]
	v_rcp_f64_e32 v[17:18], v[15:16]
	v_fma_f64 v[19:20], -v[15:16], v[17:18], 1.0
	v_fma_f64 v[17:18], v[17:18], v[19:20], v[17:18]
	v_fma_f64 v[19:20], -v[15:16], v[17:18], 1.0
	v_fma_f64 v[17:18], v[17:18], v[19:20], v[17:18]
	v_mul_f64 v[19:20], v[21:22], v[17:18]
	v_fma_f64 v[15:16], -v[15:16], v[19:20], v[21:22]
	v_div_fmas_f64 v[15:16], v[15:16], v[17:18], v[19:20]
	v_div_fixup_f64 v[15:16], v[15:16], v[2:3], v[0:1]
	v_fma_f64 v[0:1], v[0:1], v[15:16], v[2:3]
	v_div_scale_f64 v[2:3], null, v[0:1], v[0:1], 1.0
	v_rcp_f64_e32 v[17:18], v[2:3]
	v_fma_f64 v[19:20], -v[2:3], v[17:18], 1.0
	v_fma_f64 v[17:18], v[17:18], v[19:20], v[17:18]
	v_fma_f64 v[19:20], -v[2:3], v[17:18], 1.0
	v_fma_f64 v[17:18], v[17:18], v[19:20], v[17:18]
	v_div_scale_f64 v[19:20], vcc_lo, 1.0, v[0:1], 1.0
	v_mul_f64 v[21:22], v[19:20], v[17:18]
	v_fma_f64 v[2:3], -v[2:3], v[21:22], v[19:20]
	v_div_fmas_f64 v[2:3], v[2:3], v[17:18], v[21:22]
	v_div_fixup_f64 v[2:3], v[2:3], v[0:1], 1.0
	v_mul_f64 v[0:1], v[15:16], v[2:3]
	v_xor_b32_e32 v3, 0x80000000, v3
.LBB124_815:
	s_andn2_saveexec_b32 s16, s16
	s_cbranch_execz .LBB124_817
; %bb.816:
	v_div_scale_f64 v[15:16], null, v[0:1], v[0:1], v[2:3]
	v_div_scale_f64 v[21:22], vcc_lo, v[2:3], v[0:1], v[2:3]
	v_rcp_f64_e32 v[17:18], v[15:16]
	v_fma_f64 v[19:20], -v[15:16], v[17:18], 1.0
	v_fma_f64 v[17:18], v[17:18], v[19:20], v[17:18]
	v_fma_f64 v[19:20], -v[15:16], v[17:18], 1.0
	v_fma_f64 v[17:18], v[17:18], v[19:20], v[17:18]
	v_mul_f64 v[19:20], v[21:22], v[17:18]
	v_fma_f64 v[15:16], -v[15:16], v[19:20], v[21:22]
	v_div_fmas_f64 v[15:16], v[15:16], v[17:18], v[19:20]
	v_div_fixup_f64 v[15:16], v[15:16], v[0:1], v[2:3]
	v_fma_f64 v[0:1], v[2:3], v[15:16], v[0:1]
	v_div_scale_f64 v[2:3], null, v[0:1], v[0:1], 1.0
	v_rcp_f64_e32 v[17:18], v[2:3]
	v_fma_f64 v[19:20], -v[2:3], v[17:18], 1.0
	v_fma_f64 v[17:18], v[17:18], v[19:20], v[17:18]
	v_fma_f64 v[19:20], -v[2:3], v[17:18], 1.0
	v_fma_f64 v[17:18], v[17:18], v[19:20], v[17:18]
	v_div_scale_f64 v[19:20], vcc_lo, 1.0, v[0:1], 1.0
	v_mul_f64 v[21:22], v[19:20], v[17:18]
	v_fma_f64 v[2:3], -v[2:3], v[21:22], v[19:20]
	v_div_fmas_f64 v[2:3], v[2:3], v[17:18], v[21:22]
	v_div_fixup_f64 v[0:1], v[2:3], v[0:1], 1.0
	v_mul_f64 v[2:3], v[15:16], -v[0:1]
.LBB124_817:
	s_or_b32 exec_lo, exec_lo, s16
.LBB124_818:
	s_or_b32 exec_lo, exec_lo, s4
	s_mov_b32 s4, exec_lo
	v_cmpx_ne_u32_e64 v11, v4
	s_xor_b32 s4, exec_lo, s4
	s_cbranch_execz .LBB124_824
; %bb.819:
	s_mov_b32 s16, exec_lo
	v_cmpx_eq_u32_e32 33, v11
	s_cbranch_execz .LBB124_823
; %bb.820:
	v_cmp_ne_u32_e32 vcc_lo, 33, v4
	s_xor_b32 s17, s20, -1
	s_and_b32 s56, s17, vcc_lo
	s_and_saveexec_b32 s17, s56
	s_cbranch_execz .LBB124_822
; %bb.821:
	v_ashrrev_i32_e32 v5, 31, v4
	v_lshlrev_b64 v[10:11], 2, v[4:5]
	v_add_co_u32 v10, vcc_lo, v8, v10
	v_add_co_ci_u32_e64 v11, null, v9, v11, vcc_lo
	s_clause 0x1
	global_load_dword v5, v[10:11], off
	global_load_dword v15, v[8:9], off offset:132
	s_waitcnt vmcnt(1)
	global_store_dword v[8:9], v5, off offset:132
	s_waitcnt vmcnt(0)
	global_store_dword v[10:11], v15, off
.LBB124_822:
	s_or_b32 exec_lo, exec_lo, s17
	v_mov_b32_e32 v11, v4
	v_mov_b32_e32 v5, v4
.LBB124_823:
	s_or_b32 exec_lo, exec_lo, s16
.LBB124_824:
	s_andn2_saveexec_b32 s4, s4
	s_cbranch_execz .LBB124_826
; %bb.825:
	v_mov_b32_e32 v4, s47
	v_mov_b32_e32 v11, s45
	;; [unrolled: 1-line block ×3, first 2 shown]
	s_clause 0x7
	buffer_load_dword v15, v4, s[0:3], 0 offen
	buffer_load_dword v16, v4, s[0:3], 0 offen offset:4
	buffer_load_dword v17, v4, s[0:3], 0 offen offset:8
	buffer_load_dword v18, v4, s[0:3], 0 offen offset:12
	buffer_load_dword v19, v10, s[0:3], 0 offen
	buffer_load_dword v20, v10, s[0:3], 0 offen offset:4
	buffer_load_dword v21, v10, s[0:3], 0 offen offset:8
	buffer_load_dword v22, v10, s[0:3], 0 offen offset:12
	v_mov_b32_e32 v4, s44
	v_mov_b32_e32 v10, s43
	s_clause 0x7
	buffer_load_dword v23, v11, s[0:3], 0 offen
	buffer_load_dword v24, v11, s[0:3], 0 offen offset:4
	buffer_load_dword v25, v11, s[0:3], 0 offen offset:8
	buffer_load_dword v26, v11, s[0:3], 0 offen offset:12
	buffer_load_dword v27, v4, s[0:3], 0 offen
	buffer_load_dword v28, v4, s[0:3], 0 offen offset:4
	buffer_load_dword v29, v4, s[0:3], 0 offen offset:8
	buffer_load_dword v30, v4, s[0:3], 0 offen offset:12
	v_mov_b32_e32 v11, s41
	v_mov_b32_e32 v4, s42
	;; [unrolled: 11-line block ×13, first 2 shown]
	s_clause 0xb
	buffer_load_dword v119, v11, s[0:3], 0 offen
	buffer_load_dword v120, v11, s[0:3], 0 offen offset:4
	buffer_load_dword v121, v11, s[0:3], 0 offen offset:8
	buffer_load_dword v122, v11, s[0:3], 0 offen offset:12
	buffer_load_dword v123, v4, s[0:3], 0 offen
	buffer_load_dword v124, v4, s[0:3], 0 offen offset:4
	buffer_load_dword v125, v4, s[0:3], 0 offen offset:8
	buffer_load_dword v126, v4, s[0:3], 0 offen offset:12
	;; [unrolled: 4-line block ×3, first 2 shown]
	v_mov_b32_e32 v11, 33
	s_waitcnt vmcnt(62)
	ds_write2_b64 v12, v[15:16], v[17:18] offset0:68 offset1:69
	ds_write2_b64 v12, v[19:20], v[21:22] offset0:70 offset1:71
	;; [unrolled: 1-line block ×13, first 2 shown]
	s_waitcnt vmcnt(60)
	ds_write2_b64 v12, v[67:68], v[69:70] offset0:94 offset1:95
	s_waitcnt vmcnt(56)
	ds_write2_b64 v12, v[71:72], v[73:74] offset0:96 offset1:97
	;; [unrolled: 2-line block ×16, first 2 shown]
.LBB124_826:
	s_or_b32 exec_lo, exec_lo, s4
	s_mov_b32 s4, exec_lo
	s_waitcnt lgkmcnt(0)
	s_waitcnt_vscnt null, 0x0
	s_barrier
	buffer_gl0_inv
	v_cmpx_lt_i32_e32 33, v11
	s_cbranch_execz .LBB124_831
; %bb.827:
	s_clause 0x3
	buffer_load_dword v15, off, s[0:3], 0 offset:536
	buffer_load_dword v16, off, s[0:3], 0 offset:540
	;; [unrolled: 1-line block ×4, first 2 shown]
	v_add3_u32 v4, v14, 0, 0x220
	s_mov_b32 s16, 0
	s_waitcnt vmcnt(2)
	v_mul_f64 v[19:20], v[2:3], v[15:16]
	v_mul_f64 v[15:16], v[0:1], v[15:16]
	s_waitcnt vmcnt(0)
	v_fma_f64 v[0:1], v[0:1], v[17:18], -v[19:20]
	v_fma_f64 v[2:3], v[2:3], v[17:18], v[15:16]
	buffer_store_dword v0, off, s[0:3], 0 offset:528
	buffer_store_dword v1, off, s[0:3], 0 offset:532
	;; [unrolled: 1-line block ×4, first 2 shown]
	s_branch .LBB124_829
.LBB124_828:                            ;   in Loop: Header=BB124_829 Depth=1
	s_andn2_b32 vcc_lo, exec_lo, s56
	s_cbranch_vccz .LBB124_831
.LBB124_829:                            ; =>This Inner Loop Header: Depth=1
	v_mov_b32_e32 v27, s16
	v_add_nc_u32_e32 v10, s16, v4
	s_mov_b32 s17, s16
	s_mov_b32 s56, -1
	s_cmpk_eq_i32 s16, 0x1c0
	s_clause 0x3
	buffer_load_dword v19, v27, s[0:3], 0 offen offset:544
	buffer_load_dword v20, v27, s[0:3], 0 offen offset:548
	;; [unrolled: 1-line block ×4, first 2 shown]
	ds_read2_b64 v[15:18], v10 offset1:1
	s_waitcnt lgkmcnt(0)
	v_mul_f64 v[23:24], v[17:18], v[2:3]
	v_mul_f64 v[25:26], v[15:16], v[2:3]
	v_fma_f64 v[15:16], v[15:16], v[0:1], -v[23:24]
	v_fma_f64 v[17:18], v[17:18], v[0:1], v[25:26]
	s_waitcnt vmcnt(2)
	v_add_f64 v[15:16], v[19:20], -v[15:16]
	s_waitcnt vmcnt(0)
	v_add_f64 v[17:18], v[21:22], -v[17:18]
	buffer_store_dword v15, v27, s[0:3], 0 offen offset:544
	buffer_store_dword v16, v27, s[0:3], 0 offen offset:548
	;; [unrolled: 1-line block ×4, first 2 shown]
	s_cbranch_scc1 .LBB124_828
; %bb.830:                              ;   in Loop: Header=BB124_829 Depth=1
	v_mov_b32_e32 v51, s17
	s_add_i32 s16, s16, 64
	s_mov_b32 s56, 0
	s_clause 0xb
	buffer_load_dword v27, v51, s[0:3], 0 offen offset:560
	buffer_load_dword v28, v51, s[0:3], 0 offen offset:564
	;; [unrolled: 1-line block ×12, first 2 shown]
	ds_read2_b64 v[15:18], v10 offset0:2 offset1:3
	ds_read2_b64 v[19:22], v10 offset0:4 offset1:5
	;; [unrolled: 1-line block ×3, first 2 shown]
	s_waitcnt lgkmcnt(2)
	v_mul_f64 v[39:40], v[17:18], v[2:3]
	v_mul_f64 v[41:42], v[15:16], v[2:3]
	s_waitcnt lgkmcnt(1)
	v_mul_f64 v[43:44], v[21:22], v[2:3]
	v_mul_f64 v[45:46], v[19:20], v[2:3]
	;; [unrolled: 3-line block ×3, first 2 shown]
	v_fma_f64 v[15:16], v[15:16], v[0:1], -v[39:40]
	v_fma_f64 v[17:18], v[17:18], v[0:1], v[41:42]
	v_fma_f64 v[19:20], v[19:20], v[0:1], -v[43:44]
	v_fma_f64 v[21:22], v[21:22], v[0:1], v[45:46]
	;; [unrolled: 2-line block ×3, first 2 shown]
	s_waitcnt vmcnt(10)
	v_add_f64 v[15:16], v[27:28], -v[15:16]
	s_waitcnt vmcnt(8)
	v_add_f64 v[17:18], v[29:30], -v[17:18]
	s_waitcnt vmcnt(6)
	v_add_f64 v[19:20], v[31:32], -v[19:20]
	s_waitcnt vmcnt(4)
	v_add_f64 v[21:22], v[33:34], -v[21:22]
	s_waitcnt vmcnt(2)
	v_add_f64 v[23:24], v[35:36], -v[23:24]
	s_waitcnt vmcnt(0)
	v_add_f64 v[25:26], v[37:38], -v[25:26]
	buffer_store_dword v15, v51, s[0:3], 0 offen offset:560
	buffer_store_dword v16, v51, s[0:3], 0 offen offset:564
	;; [unrolled: 1-line block ×12, first 2 shown]
	s_branch .LBB124_828
.LBB124_831:
	s_or_b32 exec_lo, exec_lo, s4
	v_mov_b32_e32 v3, s47
	s_waitcnt_vscnt null, 0x0
	s_barrier
	buffer_gl0_inv
	v_lshl_add_u32 v4, v11, 4, v12
	s_clause 0x3
	buffer_load_dword v0, v3, s[0:3], 0 offen
	buffer_load_dword v1, v3, s[0:3], 0 offen offset:4
	buffer_load_dword v2, v3, s[0:3], 0 offen offset:8
	buffer_load_dword v3, v3, s[0:3], 0 offen offset:12
	s_cmp_lt_i32 s57, 36
	s_waitcnt vmcnt(0)
	ds_write2_b64 v4, v[0:1], v[2:3] offset1:1
	s_waitcnt lgkmcnt(0)
	s_barrier
	buffer_gl0_inv
	ds_read2_b64 v[0:3], v12 offset0:68 offset1:69
	v_mov_b32_e32 v4, 34
	s_cbranch_scc1 .LBB124_834
; %bb.832:
	v_add3_u32 v10, v14, 0, 0x230
	v_mov_b32_e32 v4, 34
	s_mov_b32 s16, 35
	s_inst_prefetch 0x1
	.p2align	6
.LBB124_833:                            ; =>This Inner Loop Header: Depth=1
	s_waitcnt lgkmcnt(0)
	v_cmp_gt_f64_e32 vcc_lo, 0, v[2:3]
	v_cmp_gt_f64_e64 s4, 0, v[0:1]
	ds_read2_b64 v[15:18], v10 offset1:1
	v_xor_b32_e32 v20, 0x80000000, v1
	v_xor_b32_e32 v22, 0x80000000, v3
	v_mov_b32_e32 v19, v0
	v_mov_b32_e32 v21, v2
	v_add_nc_u32_e32 v10, 16, v10
	s_waitcnt lgkmcnt(0)
	v_xor_b32_e32 v24, 0x80000000, v18
	v_cndmask_b32_e64 v20, v1, v20, s4
	v_cndmask_b32_e32 v22, v3, v22, vcc_lo
	v_cmp_gt_f64_e32 vcc_lo, 0, v[17:18]
	v_cmp_gt_f64_e64 s4, 0, v[15:16]
	v_mov_b32_e32 v23, v17
	v_add_f64 v[19:20], v[19:20], v[21:22]
	v_xor_b32_e32 v22, 0x80000000, v16
	v_mov_b32_e32 v21, v15
	v_cndmask_b32_e32 v24, v18, v24, vcc_lo
	v_cndmask_b32_e64 v22, v16, v22, s4
	v_add_f64 v[21:22], v[21:22], v[23:24]
	v_cmp_lt_f64_e32 vcc_lo, v[19:20], v[21:22]
	v_cndmask_b32_e32 v1, v1, v16, vcc_lo
	v_cndmask_b32_e32 v0, v0, v15, vcc_lo
	;; [unrolled: 1-line block ×4, first 2 shown]
	v_cndmask_b32_e64 v4, v4, s16, vcc_lo
	s_add_i32 s16, s16, 1
	s_cmp_lg_u32 s57, s16
	s_cbranch_scc1 .LBB124_833
.LBB124_834:
	s_inst_prefetch 0x2
	s_waitcnt lgkmcnt(0)
	v_cmp_eq_f64_e32 vcc_lo, 0, v[0:1]
	v_cmp_eq_f64_e64 s4, 0, v[2:3]
	s_and_b32 s4, vcc_lo, s4
	s_and_saveexec_b32 s16, s4
	s_xor_b32 s4, exec_lo, s16
; %bb.835:
	v_cmp_ne_u32_e32 vcc_lo, 0, v13
	v_cndmask_b32_e32 v13, 35, v13, vcc_lo
; %bb.836:
	s_andn2_saveexec_b32 s4, s4
	s_cbranch_execz .LBB124_842
; %bb.837:
	v_cmp_ngt_f64_e64 s16, |v[0:1]|, |v[2:3]|
	s_and_saveexec_b32 s17, s16
	s_xor_b32 s16, exec_lo, s17
	s_cbranch_execz .LBB124_839
; %bb.838:
	v_div_scale_f64 v[15:16], null, v[2:3], v[2:3], v[0:1]
	v_div_scale_f64 v[21:22], vcc_lo, v[0:1], v[2:3], v[0:1]
	v_rcp_f64_e32 v[17:18], v[15:16]
	v_fma_f64 v[19:20], -v[15:16], v[17:18], 1.0
	v_fma_f64 v[17:18], v[17:18], v[19:20], v[17:18]
	v_fma_f64 v[19:20], -v[15:16], v[17:18], 1.0
	v_fma_f64 v[17:18], v[17:18], v[19:20], v[17:18]
	v_mul_f64 v[19:20], v[21:22], v[17:18]
	v_fma_f64 v[15:16], -v[15:16], v[19:20], v[21:22]
	v_div_fmas_f64 v[15:16], v[15:16], v[17:18], v[19:20]
	v_div_fixup_f64 v[15:16], v[15:16], v[2:3], v[0:1]
	v_fma_f64 v[0:1], v[0:1], v[15:16], v[2:3]
	v_div_scale_f64 v[2:3], null, v[0:1], v[0:1], 1.0
	v_rcp_f64_e32 v[17:18], v[2:3]
	v_fma_f64 v[19:20], -v[2:3], v[17:18], 1.0
	v_fma_f64 v[17:18], v[17:18], v[19:20], v[17:18]
	v_fma_f64 v[19:20], -v[2:3], v[17:18], 1.0
	v_fma_f64 v[17:18], v[17:18], v[19:20], v[17:18]
	v_div_scale_f64 v[19:20], vcc_lo, 1.0, v[0:1], 1.0
	v_mul_f64 v[21:22], v[19:20], v[17:18]
	v_fma_f64 v[2:3], -v[2:3], v[21:22], v[19:20]
	v_div_fmas_f64 v[2:3], v[2:3], v[17:18], v[21:22]
	v_div_fixup_f64 v[2:3], v[2:3], v[0:1], 1.0
	v_mul_f64 v[0:1], v[15:16], v[2:3]
	v_xor_b32_e32 v3, 0x80000000, v3
.LBB124_839:
	s_andn2_saveexec_b32 s16, s16
	s_cbranch_execz .LBB124_841
; %bb.840:
	v_div_scale_f64 v[15:16], null, v[0:1], v[0:1], v[2:3]
	v_div_scale_f64 v[21:22], vcc_lo, v[2:3], v[0:1], v[2:3]
	v_rcp_f64_e32 v[17:18], v[15:16]
	v_fma_f64 v[19:20], -v[15:16], v[17:18], 1.0
	v_fma_f64 v[17:18], v[17:18], v[19:20], v[17:18]
	v_fma_f64 v[19:20], -v[15:16], v[17:18], 1.0
	v_fma_f64 v[17:18], v[17:18], v[19:20], v[17:18]
	v_mul_f64 v[19:20], v[21:22], v[17:18]
	v_fma_f64 v[15:16], -v[15:16], v[19:20], v[21:22]
	v_div_fmas_f64 v[15:16], v[15:16], v[17:18], v[19:20]
	v_div_fixup_f64 v[15:16], v[15:16], v[0:1], v[2:3]
	v_fma_f64 v[0:1], v[2:3], v[15:16], v[0:1]
	v_div_scale_f64 v[2:3], null, v[0:1], v[0:1], 1.0
	v_rcp_f64_e32 v[17:18], v[2:3]
	v_fma_f64 v[19:20], -v[2:3], v[17:18], 1.0
	v_fma_f64 v[17:18], v[17:18], v[19:20], v[17:18]
	v_fma_f64 v[19:20], -v[2:3], v[17:18], 1.0
	v_fma_f64 v[17:18], v[17:18], v[19:20], v[17:18]
	v_div_scale_f64 v[19:20], vcc_lo, 1.0, v[0:1], 1.0
	v_mul_f64 v[21:22], v[19:20], v[17:18]
	v_fma_f64 v[2:3], -v[2:3], v[21:22], v[19:20]
	v_div_fmas_f64 v[2:3], v[2:3], v[17:18], v[21:22]
	v_div_fixup_f64 v[0:1], v[2:3], v[0:1], 1.0
	v_mul_f64 v[2:3], v[15:16], -v[0:1]
.LBB124_841:
	s_or_b32 exec_lo, exec_lo, s16
.LBB124_842:
	s_or_b32 exec_lo, exec_lo, s4
	s_mov_b32 s4, exec_lo
	v_cmpx_ne_u32_e64 v11, v4
	s_xor_b32 s4, exec_lo, s4
	s_cbranch_execz .LBB124_848
; %bb.843:
	s_mov_b32 s16, exec_lo
	v_cmpx_eq_u32_e32 34, v11
	s_cbranch_execz .LBB124_847
; %bb.844:
	v_cmp_ne_u32_e32 vcc_lo, 34, v4
	s_xor_b32 s17, s20, -1
	s_and_b32 s56, s17, vcc_lo
	s_and_saveexec_b32 s17, s56
	s_cbranch_execz .LBB124_846
; %bb.845:
	v_ashrrev_i32_e32 v5, 31, v4
	v_lshlrev_b64 v[10:11], 2, v[4:5]
	v_add_co_u32 v10, vcc_lo, v8, v10
	v_add_co_ci_u32_e64 v11, null, v9, v11, vcc_lo
	s_clause 0x1
	global_load_dword v5, v[10:11], off
	global_load_dword v15, v[8:9], off offset:136
	s_waitcnt vmcnt(1)
	global_store_dword v[8:9], v5, off offset:136
	s_waitcnt vmcnt(0)
	global_store_dword v[10:11], v15, off
.LBB124_846:
	s_or_b32 exec_lo, exec_lo, s17
	v_mov_b32_e32 v11, v4
	v_mov_b32_e32 v5, v4
.LBB124_847:
	s_or_b32 exec_lo, exec_lo, s16
.LBB124_848:
	s_andn2_saveexec_b32 s4, s4
	s_cbranch_execz .LBB124_850
; %bb.849:
	v_mov_b32_e32 v4, s46
	v_mov_b32_e32 v11, s44
	;; [unrolled: 1-line block ×3, first 2 shown]
	s_clause 0x7
	buffer_load_dword v15, v4, s[0:3], 0 offen
	buffer_load_dword v16, v4, s[0:3], 0 offen offset:4
	buffer_load_dword v17, v4, s[0:3], 0 offen offset:8
	buffer_load_dword v18, v4, s[0:3], 0 offen offset:12
	buffer_load_dword v19, v10, s[0:3], 0 offen
	buffer_load_dword v20, v10, s[0:3], 0 offen offset:4
	buffer_load_dword v21, v10, s[0:3], 0 offen offset:8
	buffer_load_dword v22, v10, s[0:3], 0 offen offset:12
	v_mov_b32_e32 v4, s43
	v_mov_b32_e32 v10, s42
	s_clause 0x7
	buffer_load_dword v23, v11, s[0:3], 0 offen
	buffer_load_dword v24, v11, s[0:3], 0 offen offset:4
	buffer_load_dword v25, v11, s[0:3], 0 offen offset:8
	buffer_load_dword v26, v11, s[0:3], 0 offen offset:12
	buffer_load_dword v27, v4, s[0:3], 0 offen
	buffer_load_dword v28, v4, s[0:3], 0 offen offset:4
	buffer_load_dword v29, v4, s[0:3], 0 offen offset:8
	buffer_load_dword v30, v4, s[0:3], 0 offen offset:12
	v_mov_b32_e32 v11, s40
	v_mov_b32_e32 v4, s41
	;; [unrolled: 11-line block ×12, first 2 shown]
	s_clause 0x7
	buffer_load_dword v111, v10, s[0:3], 0 offen
	buffer_load_dword v112, v10, s[0:3], 0 offen offset:4
	buffer_load_dword v113, v10, s[0:3], 0 offen offset:8
	;; [unrolled: 1-line block ×3, first 2 shown]
	buffer_load_dword v115, v4, s[0:3], 0 offen
	buffer_load_dword v116, v4, s[0:3], 0 offen offset:4
	buffer_load_dword v117, v4, s[0:3], 0 offen offset:8
	;; [unrolled: 1-line block ×3, first 2 shown]
	v_mov_b32_e32 v4, s5
	s_clause 0x7
	buffer_load_dword v119, v11, s[0:3], 0 offen
	buffer_load_dword v120, v11, s[0:3], 0 offen offset:4
	buffer_load_dword v121, v11, s[0:3], 0 offen offset:8
	;; [unrolled: 1-line block ×3, first 2 shown]
	buffer_load_dword v123, v4, s[0:3], 0 offen
	buffer_load_dword v124, v4, s[0:3], 0 offen offset:4
	buffer_load_dword v125, v4, s[0:3], 0 offen offset:8
	;; [unrolled: 1-line block ×3, first 2 shown]
	v_mov_b32_e32 v11, 34
	s_waitcnt vmcnt(62)
	ds_write2_b64 v12, v[15:16], v[17:18] offset0:70 offset1:71
	ds_write2_b64 v12, v[19:20], v[21:22] offset0:72 offset1:73
	;; [unrolled: 1-line block ×12, first 2 shown]
	s_waitcnt vmcnt(60)
	ds_write2_b64 v12, v[63:64], v[65:66] offset0:94 offset1:95
	s_waitcnt vmcnt(56)
	ds_write2_b64 v12, v[67:68], v[69:70] offset0:96 offset1:97
	;; [unrolled: 2-line block ×16, first 2 shown]
.LBB124_850:
	s_or_b32 exec_lo, exec_lo, s4
	s_mov_b32 s4, exec_lo
	s_waitcnt lgkmcnt(0)
	s_waitcnt_vscnt null, 0x0
	s_barrier
	buffer_gl0_inv
	v_cmpx_lt_i32_e32 34, v11
	s_cbranch_execz .LBB124_853
; %bb.851:
	s_clause 0x3
	buffer_load_dword v15, off, s[0:3], 0 offset:552
	buffer_load_dword v16, off, s[0:3], 0 offset:556
	;; [unrolled: 1-line block ×4, first 2 shown]
	v_add3_u32 v4, v14, 0, 0x230
	s_mov_b32 s82, 0
	s_waitcnt vmcnt(2)
	v_mul_f64 v[19:20], v[2:3], v[15:16]
	v_mul_f64 v[15:16], v[0:1], v[15:16]
	s_waitcnt vmcnt(0)
	v_fma_f64 v[0:1], v[0:1], v[17:18], -v[19:20]
	v_fma_f64 v[2:3], v[2:3], v[17:18], v[15:16]
	buffer_store_dword v0, off, s[0:3], 0 offset:544
	buffer_store_dword v1, off, s[0:3], 0 offset:548
	;; [unrolled: 1-line block ×4, first 2 shown]
.LBB124_852:                            ; =>This Inner Loop Header: Depth=1
	v_add_nc_u32_e32 v10, s82, v4
	v_mov_b32_e32 v75, s82
	s_addk_i32 s82, 0x70
	ds_read2_b64 v[15:18], v10 offset1:1
	ds_read2_b64 v[19:22], v10 offset0:2 offset1:3
	ds_read2_b64 v[23:26], v10 offset0:4 offset1:5
	;; [unrolled: 1-line block ×5, first 2 shown]
	s_cmpk_lg_i32 s82, 0x1c0
	s_waitcnt lgkmcnt(5)
	v_mul_f64 v[39:40], v[17:18], v[2:3]
	v_mul_f64 v[41:42], v[15:16], v[2:3]
	s_waitcnt lgkmcnt(4)
	v_mul_f64 v[43:44], v[21:22], v[2:3]
	v_mul_f64 v[45:46], v[19:20], v[2:3]
	;; [unrolled: 3-line block ×6, first 2 shown]
	s_clause 0x5
	buffer_load_dword v63, v75, s[0:3], 0 offen offset:560
	buffer_load_dword v64, v75, s[0:3], 0 offen offset:564
	;; [unrolled: 1-line block ×4, first 2 shown]
	buffer_load_dword v2, off, s[0:3], 0 offset:552
	buffer_load_dword v3, off, s[0:3], 0 offset:556
	v_fma_f64 v[39:40], v[15:16], v[0:1], -v[39:40]
	v_fma_f64 v[41:42], v[17:18], v[0:1], v[41:42]
	v_fma_f64 v[19:20], v[19:20], v[0:1], -v[43:44]
	v_fma_f64 v[21:22], v[21:22], v[0:1], v[45:46]
	v_fma_f64 v[23:24], v[23:24], v[0:1], -v[47:48]
	v_fma_f64 v[25:26], v[25:26], v[0:1], v[49:50]
	v_fma_f64 v[27:28], v[27:28], v[0:1], -v[51:52]
	v_fma_f64 v[29:30], v[29:30], v[0:1], v[53:54]
	v_fma_f64 v[31:32], v[31:32], v[0:1], -v[55:56]
	v_fma_f64 v[33:34], v[33:34], v[0:1], v[57:58]
	v_fma_f64 v[35:36], v[35:36], v[0:1], -v[59:60]
	v_fma_f64 v[37:38], v[37:38], v[0:1], v[61:62]
	s_clause 0x19
	buffer_load_dword v0, off, s[0:3], 0 offset:544
	buffer_load_dword v1, off, s[0:3], 0 offset:548
	buffer_load_dword v43, v75, s[0:3], 0 offen offset:576
	buffer_load_dword v44, v75, s[0:3], 0 offen offset:580
	;; [unrolled: 1-line block ×24, first 2 shown]
	ds_read2_b64 v[15:18], v10 offset0:12 offset1:13
	s_waitcnt vmcnt(30)
	v_add_f64 v[39:40], v[63:64], -v[39:40]
	s_waitcnt vmcnt(28)
	v_add_f64 v[41:42], v[65:66], -v[41:42]
	s_waitcnt vmcnt(26) lgkmcnt(0)
	v_mul_f64 v[71:72], v[17:18], v[2:3]
	v_mul_f64 v[73:74], v[15:16], v[2:3]
	s_waitcnt vmcnt(20)
	v_add_f64 v[21:22], v[45:46], -v[21:22]
	v_add_f64 v[19:20], v[43:44], -v[19:20]
	s_waitcnt vmcnt(18)
	v_add_f64 v[23:24], v[47:48], -v[23:24]
	buffer_store_dword v39, v75, s[0:3], 0 offen offset:560
	buffer_store_dword v40, v75, s[0:3], 0 offen offset:564
	;; [unrolled: 1-line block ×6, first 2 shown]
	v_fma_f64 v[15:16], v[15:16], v[0:1], -v[71:72]
	v_fma_f64 v[17:18], v[17:18], v[0:1], v[73:74]
	s_waitcnt vmcnt(16)
	v_add_f64 v[25:26], v[49:50], -v[25:26]
	s_waitcnt vmcnt(14)
	v_add_f64 v[27:28], v[51:52], -v[27:28]
	;; [unrolled: 2-line block ×9, first 2 shown]
	buffer_store_dword v21, v75, s[0:3], 0 offen offset:584
	buffer_store_dword v22, v75, s[0:3], 0 offen offset:588
	;; [unrolled: 1-line block ×22, first 2 shown]
	s_cbranch_scc1 .LBB124_852
.LBB124_853:
	s_or_b32 exec_lo, exec_lo, s4
	v_mov_b32_e32 v3, s46
	s_waitcnt_vscnt null, 0x0
	s_barrier
	buffer_gl0_inv
	v_lshl_add_u32 v4, v11, 4, v12
	s_clause 0x3
	buffer_load_dword v0, v3, s[0:3], 0 offen
	buffer_load_dword v1, v3, s[0:3], 0 offen offset:4
	buffer_load_dword v2, v3, s[0:3], 0 offen offset:8
	;; [unrolled: 1-line block ×3, first 2 shown]
	s_cmp_lt_i32 s57, 37
	s_waitcnt vmcnt(0)
	ds_write2_b64 v4, v[0:1], v[2:3] offset1:1
	s_waitcnt lgkmcnt(0)
	s_barrier
	buffer_gl0_inv
	ds_read2_b64 v[0:3], v12 offset0:70 offset1:71
	v_mov_b32_e32 v4, 35
	s_cbranch_scc1 .LBB124_856
; %bb.854:
	v_add3_u32 v10, v14, 0, 0x240
	v_mov_b32_e32 v4, 35
	s_mov_b32 s16, 36
	s_inst_prefetch 0x1
	.p2align	6
.LBB124_855:                            ; =>This Inner Loop Header: Depth=1
	s_waitcnt lgkmcnt(0)
	v_cmp_gt_f64_e32 vcc_lo, 0, v[2:3]
	v_cmp_gt_f64_e64 s4, 0, v[0:1]
	ds_read2_b64 v[15:18], v10 offset1:1
	v_xor_b32_e32 v20, 0x80000000, v1
	v_xor_b32_e32 v22, 0x80000000, v3
	v_mov_b32_e32 v19, v0
	v_mov_b32_e32 v21, v2
	v_add_nc_u32_e32 v10, 16, v10
	s_waitcnt lgkmcnt(0)
	v_xor_b32_e32 v24, 0x80000000, v18
	v_cndmask_b32_e64 v20, v1, v20, s4
	v_cndmask_b32_e32 v22, v3, v22, vcc_lo
	v_cmp_gt_f64_e32 vcc_lo, 0, v[17:18]
	v_cmp_gt_f64_e64 s4, 0, v[15:16]
	v_mov_b32_e32 v23, v17
	v_add_f64 v[19:20], v[19:20], v[21:22]
	v_xor_b32_e32 v22, 0x80000000, v16
	v_mov_b32_e32 v21, v15
	v_cndmask_b32_e32 v24, v18, v24, vcc_lo
	v_cndmask_b32_e64 v22, v16, v22, s4
	v_add_f64 v[21:22], v[21:22], v[23:24]
	v_cmp_lt_f64_e32 vcc_lo, v[19:20], v[21:22]
	v_cndmask_b32_e32 v1, v1, v16, vcc_lo
	v_cndmask_b32_e32 v0, v0, v15, vcc_lo
	;; [unrolled: 1-line block ×4, first 2 shown]
	v_cndmask_b32_e64 v4, v4, s16, vcc_lo
	s_add_i32 s16, s16, 1
	s_cmp_lg_u32 s57, s16
	s_cbranch_scc1 .LBB124_855
.LBB124_856:
	s_inst_prefetch 0x2
	s_waitcnt lgkmcnt(0)
	v_cmp_eq_f64_e32 vcc_lo, 0, v[0:1]
	v_cmp_eq_f64_e64 s4, 0, v[2:3]
	s_and_b32 s4, vcc_lo, s4
	s_and_saveexec_b32 s16, s4
	s_xor_b32 s4, exec_lo, s16
; %bb.857:
	v_cmp_ne_u32_e32 vcc_lo, 0, v13
	v_cndmask_b32_e32 v13, 36, v13, vcc_lo
; %bb.858:
	s_andn2_saveexec_b32 s4, s4
	s_cbranch_execz .LBB124_864
; %bb.859:
	v_cmp_ngt_f64_e64 s16, |v[0:1]|, |v[2:3]|
	s_and_saveexec_b32 s17, s16
	s_xor_b32 s16, exec_lo, s17
	s_cbranch_execz .LBB124_861
; %bb.860:
	v_div_scale_f64 v[15:16], null, v[2:3], v[2:3], v[0:1]
	v_div_scale_f64 v[21:22], vcc_lo, v[0:1], v[2:3], v[0:1]
	v_rcp_f64_e32 v[17:18], v[15:16]
	v_fma_f64 v[19:20], -v[15:16], v[17:18], 1.0
	v_fma_f64 v[17:18], v[17:18], v[19:20], v[17:18]
	v_fma_f64 v[19:20], -v[15:16], v[17:18], 1.0
	v_fma_f64 v[17:18], v[17:18], v[19:20], v[17:18]
	v_mul_f64 v[19:20], v[21:22], v[17:18]
	v_fma_f64 v[15:16], -v[15:16], v[19:20], v[21:22]
	v_div_fmas_f64 v[15:16], v[15:16], v[17:18], v[19:20]
	v_div_fixup_f64 v[15:16], v[15:16], v[2:3], v[0:1]
	v_fma_f64 v[0:1], v[0:1], v[15:16], v[2:3]
	v_div_scale_f64 v[2:3], null, v[0:1], v[0:1], 1.0
	v_rcp_f64_e32 v[17:18], v[2:3]
	v_fma_f64 v[19:20], -v[2:3], v[17:18], 1.0
	v_fma_f64 v[17:18], v[17:18], v[19:20], v[17:18]
	v_fma_f64 v[19:20], -v[2:3], v[17:18], 1.0
	v_fma_f64 v[17:18], v[17:18], v[19:20], v[17:18]
	v_div_scale_f64 v[19:20], vcc_lo, 1.0, v[0:1], 1.0
	v_mul_f64 v[21:22], v[19:20], v[17:18]
	v_fma_f64 v[2:3], -v[2:3], v[21:22], v[19:20]
	v_div_fmas_f64 v[2:3], v[2:3], v[17:18], v[21:22]
	v_div_fixup_f64 v[2:3], v[2:3], v[0:1], 1.0
	v_mul_f64 v[0:1], v[15:16], v[2:3]
	v_xor_b32_e32 v3, 0x80000000, v3
.LBB124_861:
	s_andn2_saveexec_b32 s16, s16
	s_cbranch_execz .LBB124_863
; %bb.862:
	v_div_scale_f64 v[15:16], null, v[0:1], v[0:1], v[2:3]
	v_div_scale_f64 v[21:22], vcc_lo, v[2:3], v[0:1], v[2:3]
	v_rcp_f64_e32 v[17:18], v[15:16]
	v_fma_f64 v[19:20], -v[15:16], v[17:18], 1.0
	v_fma_f64 v[17:18], v[17:18], v[19:20], v[17:18]
	v_fma_f64 v[19:20], -v[15:16], v[17:18], 1.0
	v_fma_f64 v[17:18], v[17:18], v[19:20], v[17:18]
	v_mul_f64 v[19:20], v[21:22], v[17:18]
	v_fma_f64 v[15:16], -v[15:16], v[19:20], v[21:22]
	v_div_fmas_f64 v[15:16], v[15:16], v[17:18], v[19:20]
	v_div_fixup_f64 v[15:16], v[15:16], v[0:1], v[2:3]
	v_fma_f64 v[0:1], v[2:3], v[15:16], v[0:1]
	v_div_scale_f64 v[2:3], null, v[0:1], v[0:1], 1.0
	v_rcp_f64_e32 v[17:18], v[2:3]
	v_fma_f64 v[19:20], -v[2:3], v[17:18], 1.0
	v_fma_f64 v[17:18], v[17:18], v[19:20], v[17:18]
	v_fma_f64 v[19:20], -v[2:3], v[17:18], 1.0
	v_fma_f64 v[17:18], v[17:18], v[19:20], v[17:18]
	v_div_scale_f64 v[19:20], vcc_lo, 1.0, v[0:1], 1.0
	v_mul_f64 v[21:22], v[19:20], v[17:18]
	v_fma_f64 v[2:3], -v[2:3], v[21:22], v[19:20]
	v_div_fmas_f64 v[2:3], v[2:3], v[17:18], v[21:22]
	v_div_fixup_f64 v[0:1], v[2:3], v[0:1], 1.0
	v_mul_f64 v[2:3], v[15:16], -v[0:1]
.LBB124_863:
	s_or_b32 exec_lo, exec_lo, s16
.LBB124_864:
	s_or_b32 exec_lo, exec_lo, s4
	s_mov_b32 s4, exec_lo
	v_cmpx_ne_u32_e64 v11, v4
	s_xor_b32 s4, exec_lo, s4
	s_cbranch_execz .LBB124_870
; %bb.865:
	s_mov_b32 s16, exec_lo
	v_cmpx_eq_u32_e32 35, v11
	s_cbranch_execz .LBB124_869
; %bb.866:
	v_cmp_ne_u32_e32 vcc_lo, 35, v4
	s_xor_b32 s17, s20, -1
	s_and_b32 s56, s17, vcc_lo
	s_and_saveexec_b32 s17, s56
	s_cbranch_execz .LBB124_868
; %bb.867:
	v_ashrrev_i32_e32 v5, 31, v4
	v_lshlrev_b64 v[10:11], 2, v[4:5]
	v_add_co_u32 v10, vcc_lo, v8, v10
	v_add_co_ci_u32_e64 v11, null, v9, v11, vcc_lo
	s_clause 0x1
	global_load_dword v5, v[10:11], off
	global_load_dword v15, v[8:9], off offset:140
	s_waitcnt vmcnt(1)
	global_store_dword v[8:9], v5, off offset:140
	s_waitcnt vmcnt(0)
	global_store_dword v[10:11], v15, off
.LBB124_868:
	s_or_b32 exec_lo, exec_lo, s17
	v_mov_b32_e32 v11, v4
	v_mov_b32_e32 v5, v4
.LBB124_869:
	s_or_b32 exec_lo, exec_lo, s16
.LBB124_870:
	s_andn2_saveexec_b32 s4, s4
	s_cbranch_execz .LBB124_872
; %bb.871:
	v_mov_b32_e32 v4, s45
	v_mov_b32_e32 v10, s44
	;; [unrolled: 1-line block ×3, first 2 shown]
	s_clause 0x7
	buffer_load_dword v15, v4, s[0:3], 0 offen
	buffer_load_dword v16, v4, s[0:3], 0 offen offset:4
	buffer_load_dword v17, v4, s[0:3], 0 offen offset:8
	buffer_load_dword v18, v4, s[0:3], 0 offen offset:12
	buffer_load_dword v19, v10, s[0:3], 0 offen
	buffer_load_dword v20, v10, s[0:3], 0 offen offset:4
	buffer_load_dword v21, v10, s[0:3], 0 offen offset:8
	buffer_load_dword v22, v10, s[0:3], 0 offen offset:12
	v_mov_b32_e32 v10, s41
	v_mov_b32_e32 v4, s42
	s_clause 0x7
	buffer_load_dword v23, v11, s[0:3], 0 offen
	buffer_load_dword v24, v11, s[0:3], 0 offen offset:4
	buffer_load_dword v25, v11, s[0:3], 0 offen offset:8
	buffer_load_dword v26, v11, s[0:3], 0 offen offset:12
	buffer_load_dword v27, v4, s[0:3], 0 offen
	buffer_load_dword v28, v4, s[0:3], 0 offen offset:4
	buffer_load_dword v29, v4, s[0:3], 0 offen offset:8
	buffer_load_dword v30, v4, s[0:3], 0 offen offset:12
	v_mov_b32_e32 v4, s40
	v_mov_b32_e32 v11, s39
	;; [unrolled: 11-line block ×12, first 2 shown]
	s_clause 0xb
	buffer_load_dword v111, v10, s[0:3], 0 offen
	buffer_load_dword v112, v10, s[0:3], 0 offen offset:4
	buffer_load_dword v113, v10, s[0:3], 0 offen offset:8
	buffer_load_dword v114, v10, s[0:3], 0 offen offset:12
	buffer_load_dword v115, v4, s[0:3], 0 offen
	buffer_load_dword v116, v4, s[0:3], 0 offen offset:4
	buffer_load_dword v117, v4, s[0:3], 0 offen offset:8
	buffer_load_dword v118, v4, s[0:3], 0 offen offset:12
	;; [unrolled: 4-line block ×3, first 2 shown]
	v_mov_b32_e32 v11, 35
	s_waitcnt vmcnt(62)
	ds_write2_b64 v12, v[15:16], v[17:18] offset0:72 offset1:73
	ds_write2_b64 v12, v[19:20], v[21:22] offset0:74 offset1:75
	;; [unrolled: 1-line block ×11, first 2 shown]
	s_waitcnt vmcnt(60)
	ds_write2_b64 v12, v[59:60], v[61:62] offset0:94 offset1:95
	s_waitcnt vmcnt(56)
	ds_write2_b64 v12, v[63:64], v[65:66] offset0:96 offset1:97
	;; [unrolled: 2-line block ×16, first 2 shown]
.LBB124_872:
	s_or_b32 exec_lo, exec_lo, s4
	s_mov_b32 s4, exec_lo
	s_waitcnt lgkmcnt(0)
	s_waitcnt_vscnt null, 0x0
	s_barrier
	buffer_gl0_inv
	v_cmpx_lt_i32_e32 35, v11
	s_cbranch_execz .LBB124_875
; %bb.873:
	s_clause 0x3
	buffer_load_dword v15, off, s[0:3], 0 offset:568
	buffer_load_dword v16, off, s[0:3], 0 offset:572
	;; [unrolled: 1-line block ×4, first 2 shown]
	v_add3_u32 v4, v14, 0, 0x240
	s_mov_b32 s16, 0
	s_waitcnt vmcnt(2)
	v_mul_f64 v[19:20], v[2:3], v[15:16]
	v_mul_f64 v[15:16], v[0:1], v[15:16]
	s_waitcnt vmcnt(0)
	v_fma_f64 v[0:1], v[0:1], v[17:18], -v[19:20]
	v_fma_f64 v[2:3], v[2:3], v[17:18], v[15:16]
	buffer_store_dword v0, off, s[0:3], 0 offset:560
	buffer_store_dword v1, off, s[0:3], 0 offset:564
	;; [unrolled: 1-line block ×4, first 2 shown]
.LBB124_874:                            ; =>This Inner Loop Header: Depth=1
	v_mov_b32_e32 v10, s16
	v_add_nc_u32_e32 v23, s16, v4
	s_add_i32 s16, s16, 48
	s_clause 0xb
	buffer_load_dword v27, v10, s[0:3], 0 offen offset:576
	buffer_load_dword v28, v10, s[0:3], 0 offen offset:580
	;; [unrolled: 1-line block ×12, first 2 shown]
	ds_read2_b64 v[15:18], v23 offset1:1
	ds_read2_b64 v[19:22], v23 offset0:2 offset1:3
	ds_read2_b64 v[23:26], v23 offset0:4 offset1:5
	s_cmpk_lg_i32 s16, 0x1b0
	s_waitcnt lgkmcnt(2)
	v_mul_f64 v[39:40], v[17:18], v[2:3]
	v_mul_f64 v[41:42], v[15:16], v[2:3]
	s_waitcnt lgkmcnt(1)
	v_mul_f64 v[43:44], v[21:22], v[2:3]
	v_mul_f64 v[45:46], v[19:20], v[2:3]
	;; [unrolled: 3-line block ×3, first 2 shown]
	v_fma_f64 v[15:16], v[15:16], v[0:1], -v[39:40]
	v_fma_f64 v[17:18], v[17:18], v[0:1], v[41:42]
	v_fma_f64 v[19:20], v[19:20], v[0:1], -v[43:44]
	v_fma_f64 v[21:22], v[21:22], v[0:1], v[45:46]
	;; [unrolled: 2-line block ×3, first 2 shown]
	s_waitcnt vmcnt(10)
	v_add_f64 v[15:16], v[27:28], -v[15:16]
	s_waitcnt vmcnt(8)
	v_add_f64 v[17:18], v[29:30], -v[17:18]
	;; [unrolled: 2-line block ×6, first 2 shown]
	buffer_store_dword v15, v10, s[0:3], 0 offen offset:576
	buffer_store_dword v16, v10, s[0:3], 0 offen offset:580
	;; [unrolled: 1-line block ×12, first 2 shown]
	s_cbranch_scc1 .LBB124_874
.LBB124_875:
	s_or_b32 exec_lo, exec_lo, s4
	v_mov_b32_e32 v3, s45
	s_waitcnt_vscnt null, 0x0
	s_barrier
	buffer_gl0_inv
	v_lshl_add_u32 v4, v11, 4, v12
	s_clause 0x3
	buffer_load_dword v0, v3, s[0:3], 0 offen
	buffer_load_dword v1, v3, s[0:3], 0 offen offset:4
	buffer_load_dword v2, v3, s[0:3], 0 offen offset:8
	;; [unrolled: 1-line block ×3, first 2 shown]
	s_cmp_lt_i32 s57, 38
	s_waitcnt vmcnt(0)
	ds_write2_b64 v4, v[0:1], v[2:3] offset1:1
	s_waitcnt lgkmcnt(0)
	s_barrier
	buffer_gl0_inv
	ds_read2_b64 v[0:3], v12 offset0:72 offset1:73
	v_mov_b32_e32 v4, 36
	s_cbranch_scc1 .LBB124_878
; %bb.876:
	v_add3_u32 v10, v14, 0, 0x250
	v_mov_b32_e32 v4, 36
	s_mov_b32 s16, 37
	s_inst_prefetch 0x1
	.p2align	6
.LBB124_877:                            ; =>This Inner Loop Header: Depth=1
	s_waitcnt lgkmcnt(0)
	v_cmp_gt_f64_e32 vcc_lo, 0, v[2:3]
	v_cmp_gt_f64_e64 s4, 0, v[0:1]
	ds_read2_b64 v[15:18], v10 offset1:1
	v_xor_b32_e32 v20, 0x80000000, v1
	v_xor_b32_e32 v22, 0x80000000, v3
	v_mov_b32_e32 v19, v0
	v_mov_b32_e32 v21, v2
	v_add_nc_u32_e32 v10, 16, v10
	s_waitcnt lgkmcnt(0)
	v_xor_b32_e32 v24, 0x80000000, v18
	v_cndmask_b32_e64 v20, v1, v20, s4
	v_cndmask_b32_e32 v22, v3, v22, vcc_lo
	v_cmp_gt_f64_e32 vcc_lo, 0, v[17:18]
	v_cmp_gt_f64_e64 s4, 0, v[15:16]
	v_mov_b32_e32 v23, v17
	v_add_f64 v[19:20], v[19:20], v[21:22]
	v_xor_b32_e32 v22, 0x80000000, v16
	v_mov_b32_e32 v21, v15
	v_cndmask_b32_e32 v24, v18, v24, vcc_lo
	v_cndmask_b32_e64 v22, v16, v22, s4
	v_add_f64 v[21:22], v[21:22], v[23:24]
	v_cmp_lt_f64_e32 vcc_lo, v[19:20], v[21:22]
	v_cndmask_b32_e32 v1, v1, v16, vcc_lo
	v_cndmask_b32_e32 v0, v0, v15, vcc_lo
	;; [unrolled: 1-line block ×4, first 2 shown]
	v_cndmask_b32_e64 v4, v4, s16, vcc_lo
	s_add_i32 s16, s16, 1
	s_cmp_lg_u32 s57, s16
	s_cbranch_scc1 .LBB124_877
.LBB124_878:
	s_inst_prefetch 0x2
	s_waitcnt lgkmcnt(0)
	v_cmp_eq_f64_e32 vcc_lo, 0, v[0:1]
	v_cmp_eq_f64_e64 s4, 0, v[2:3]
	s_and_b32 s4, vcc_lo, s4
	s_and_saveexec_b32 s16, s4
	s_xor_b32 s4, exec_lo, s16
; %bb.879:
	v_cmp_ne_u32_e32 vcc_lo, 0, v13
	v_cndmask_b32_e32 v13, 37, v13, vcc_lo
; %bb.880:
	s_andn2_saveexec_b32 s4, s4
	s_cbranch_execz .LBB124_886
; %bb.881:
	v_cmp_ngt_f64_e64 s16, |v[0:1]|, |v[2:3]|
	s_and_saveexec_b32 s17, s16
	s_xor_b32 s16, exec_lo, s17
	s_cbranch_execz .LBB124_883
; %bb.882:
	v_div_scale_f64 v[15:16], null, v[2:3], v[2:3], v[0:1]
	v_div_scale_f64 v[21:22], vcc_lo, v[0:1], v[2:3], v[0:1]
	v_rcp_f64_e32 v[17:18], v[15:16]
	v_fma_f64 v[19:20], -v[15:16], v[17:18], 1.0
	v_fma_f64 v[17:18], v[17:18], v[19:20], v[17:18]
	v_fma_f64 v[19:20], -v[15:16], v[17:18], 1.0
	v_fma_f64 v[17:18], v[17:18], v[19:20], v[17:18]
	v_mul_f64 v[19:20], v[21:22], v[17:18]
	v_fma_f64 v[15:16], -v[15:16], v[19:20], v[21:22]
	v_div_fmas_f64 v[15:16], v[15:16], v[17:18], v[19:20]
	v_div_fixup_f64 v[15:16], v[15:16], v[2:3], v[0:1]
	v_fma_f64 v[0:1], v[0:1], v[15:16], v[2:3]
	v_div_scale_f64 v[2:3], null, v[0:1], v[0:1], 1.0
	v_rcp_f64_e32 v[17:18], v[2:3]
	v_fma_f64 v[19:20], -v[2:3], v[17:18], 1.0
	v_fma_f64 v[17:18], v[17:18], v[19:20], v[17:18]
	v_fma_f64 v[19:20], -v[2:3], v[17:18], 1.0
	v_fma_f64 v[17:18], v[17:18], v[19:20], v[17:18]
	v_div_scale_f64 v[19:20], vcc_lo, 1.0, v[0:1], 1.0
	v_mul_f64 v[21:22], v[19:20], v[17:18]
	v_fma_f64 v[2:3], -v[2:3], v[21:22], v[19:20]
	v_div_fmas_f64 v[2:3], v[2:3], v[17:18], v[21:22]
	v_div_fixup_f64 v[2:3], v[2:3], v[0:1], 1.0
	v_mul_f64 v[0:1], v[15:16], v[2:3]
	v_xor_b32_e32 v3, 0x80000000, v3
.LBB124_883:
	s_andn2_saveexec_b32 s16, s16
	s_cbranch_execz .LBB124_885
; %bb.884:
	v_div_scale_f64 v[15:16], null, v[0:1], v[0:1], v[2:3]
	v_div_scale_f64 v[21:22], vcc_lo, v[2:3], v[0:1], v[2:3]
	v_rcp_f64_e32 v[17:18], v[15:16]
	v_fma_f64 v[19:20], -v[15:16], v[17:18], 1.0
	v_fma_f64 v[17:18], v[17:18], v[19:20], v[17:18]
	v_fma_f64 v[19:20], -v[15:16], v[17:18], 1.0
	v_fma_f64 v[17:18], v[17:18], v[19:20], v[17:18]
	v_mul_f64 v[19:20], v[21:22], v[17:18]
	v_fma_f64 v[15:16], -v[15:16], v[19:20], v[21:22]
	v_div_fmas_f64 v[15:16], v[15:16], v[17:18], v[19:20]
	v_div_fixup_f64 v[15:16], v[15:16], v[0:1], v[2:3]
	v_fma_f64 v[0:1], v[2:3], v[15:16], v[0:1]
	v_div_scale_f64 v[2:3], null, v[0:1], v[0:1], 1.0
	v_rcp_f64_e32 v[17:18], v[2:3]
	v_fma_f64 v[19:20], -v[2:3], v[17:18], 1.0
	v_fma_f64 v[17:18], v[17:18], v[19:20], v[17:18]
	v_fma_f64 v[19:20], -v[2:3], v[17:18], 1.0
	v_fma_f64 v[17:18], v[17:18], v[19:20], v[17:18]
	v_div_scale_f64 v[19:20], vcc_lo, 1.0, v[0:1], 1.0
	v_mul_f64 v[21:22], v[19:20], v[17:18]
	v_fma_f64 v[2:3], -v[2:3], v[21:22], v[19:20]
	v_div_fmas_f64 v[2:3], v[2:3], v[17:18], v[21:22]
	v_div_fixup_f64 v[0:1], v[2:3], v[0:1], 1.0
	v_mul_f64 v[2:3], v[15:16], -v[0:1]
.LBB124_885:
	s_or_b32 exec_lo, exec_lo, s16
.LBB124_886:
	s_or_b32 exec_lo, exec_lo, s4
	s_mov_b32 s4, exec_lo
	v_cmpx_ne_u32_e64 v11, v4
	s_xor_b32 s4, exec_lo, s4
	s_cbranch_execz .LBB124_892
; %bb.887:
	s_mov_b32 s16, exec_lo
	v_cmpx_eq_u32_e32 36, v11
	s_cbranch_execz .LBB124_891
; %bb.888:
	v_cmp_ne_u32_e32 vcc_lo, 36, v4
	s_xor_b32 s17, s20, -1
	s_and_b32 s56, s17, vcc_lo
	s_and_saveexec_b32 s17, s56
	s_cbranch_execz .LBB124_890
; %bb.889:
	v_ashrrev_i32_e32 v5, 31, v4
	v_lshlrev_b64 v[10:11], 2, v[4:5]
	v_add_co_u32 v10, vcc_lo, v8, v10
	v_add_co_ci_u32_e64 v11, null, v9, v11, vcc_lo
	s_clause 0x1
	global_load_dword v5, v[10:11], off
	global_load_dword v15, v[8:9], off offset:144
	s_waitcnt vmcnt(1)
	global_store_dword v[8:9], v5, off offset:144
	s_waitcnt vmcnt(0)
	global_store_dword v[10:11], v15, off
.LBB124_890:
	s_or_b32 exec_lo, exec_lo, s17
	v_mov_b32_e32 v11, v4
	v_mov_b32_e32 v5, v4
.LBB124_891:
	s_or_b32 exec_lo, exec_lo, s16
.LBB124_892:
	s_andn2_saveexec_b32 s4, s4
	s_cbranch_execz .LBB124_894
; %bb.893:
	v_mov_b32_e32 v4, s44
	v_mov_b32_e32 v10, s43
	;; [unrolled: 1-line block ×3, first 2 shown]
	s_clause 0x7
	buffer_load_dword v15, v4, s[0:3], 0 offen
	buffer_load_dword v16, v4, s[0:3], 0 offen offset:4
	buffer_load_dword v17, v4, s[0:3], 0 offen offset:8
	buffer_load_dword v18, v4, s[0:3], 0 offen offset:12
	buffer_load_dword v19, v10, s[0:3], 0 offen
	buffer_load_dword v20, v10, s[0:3], 0 offen offset:4
	buffer_load_dword v21, v10, s[0:3], 0 offen offset:8
	buffer_load_dword v22, v10, s[0:3], 0 offen offset:12
	v_mov_b32_e32 v10, s40
	v_mov_b32_e32 v4, s41
	s_clause 0x7
	buffer_load_dword v23, v11, s[0:3], 0 offen
	buffer_load_dword v24, v11, s[0:3], 0 offen offset:4
	buffer_load_dword v25, v11, s[0:3], 0 offen offset:8
	buffer_load_dword v26, v11, s[0:3], 0 offen offset:12
	buffer_load_dword v27, v4, s[0:3], 0 offen
	buffer_load_dword v28, v4, s[0:3], 0 offen offset:4
	buffer_load_dword v29, v4, s[0:3], 0 offen offset:8
	buffer_load_dword v30, v4, s[0:3], 0 offen offset:12
	v_mov_b32_e32 v4, s39
	v_mov_b32_e32 v11, s38
	;; [unrolled: 11-line block ×11, first 2 shown]
	s_clause 0x7
	buffer_load_dword v103, v11, s[0:3], 0 offen
	buffer_load_dword v104, v11, s[0:3], 0 offen offset:4
	buffer_load_dword v105, v11, s[0:3], 0 offen offset:8
	;; [unrolled: 1-line block ×3, first 2 shown]
	buffer_load_dword v107, v4, s[0:3], 0 offen
	buffer_load_dword v108, v4, s[0:3], 0 offen offset:4
	buffer_load_dword v109, v4, s[0:3], 0 offen offset:8
	;; [unrolled: 1-line block ×3, first 2 shown]
	v_mov_b32_e32 v4, s5
	s_clause 0x7
	buffer_load_dword v111, v10, s[0:3], 0 offen
	buffer_load_dword v112, v10, s[0:3], 0 offen offset:4
	buffer_load_dword v113, v10, s[0:3], 0 offen offset:8
	;; [unrolled: 1-line block ×3, first 2 shown]
	buffer_load_dword v115, v4, s[0:3], 0 offen
	buffer_load_dword v116, v4, s[0:3], 0 offen offset:4
	buffer_load_dword v117, v4, s[0:3], 0 offen offset:8
	;; [unrolled: 1-line block ×3, first 2 shown]
	v_mov_b32_e32 v11, 36
	s_waitcnt vmcnt(62)
	ds_write2_b64 v12, v[15:16], v[17:18] offset0:74 offset1:75
	ds_write2_b64 v12, v[19:20], v[21:22] offset0:76 offset1:77
	;; [unrolled: 1-line block ×10, first 2 shown]
	s_waitcnt vmcnt(60)
	ds_write2_b64 v12, v[55:56], v[57:58] offset0:94 offset1:95
	s_waitcnt vmcnt(56)
	ds_write2_b64 v12, v[59:60], v[61:62] offset0:96 offset1:97
	;; [unrolled: 2-line block ×16, first 2 shown]
.LBB124_894:
	s_or_b32 exec_lo, exec_lo, s4
	s_mov_b32 s4, exec_lo
	s_waitcnt lgkmcnt(0)
	s_waitcnt_vscnt null, 0x0
	s_barrier
	buffer_gl0_inv
	v_cmpx_lt_i32_e32 36, v11
	s_cbranch_execz .LBB124_897
; %bb.895:
	s_clause 0x3
	buffer_load_dword v15, off, s[0:3], 0 offset:584
	buffer_load_dword v16, off, s[0:3], 0 offset:588
	;; [unrolled: 1-line block ×4, first 2 shown]
	v_add3_u32 v4, v14, 0, 0x250
	s_mov_b32 s16, 0
	s_waitcnt vmcnt(2)
	v_mul_f64 v[19:20], v[2:3], v[15:16]
	v_mul_f64 v[15:16], v[0:1], v[15:16]
	s_waitcnt vmcnt(0)
	v_fma_f64 v[0:1], v[0:1], v[17:18], -v[19:20]
	v_fma_f64 v[2:3], v[2:3], v[17:18], v[15:16]
	buffer_store_dword v0, off, s[0:3], 0 offset:576
	buffer_store_dword v1, off, s[0:3], 0 offset:580
	;; [unrolled: 1-line block ×4, first 2 shown]
.LBB124_896:                            ; =>This Inner Loop Header: Depth=1
	v_mov_b32_e32 v10, s16
	v_add_nc_u32_e32 v19, s16, v4
	s_add_i32 s16, s16, 32
	s_clause 0x7
	buffer_load_dword v23, v10, s[0:3], 0 offen offset:592
	buffer_load_dword v24, v10, s[0:3], 0 offen offset:596
	buffer_load_dword v25, v10, s[0:3], 0 offen offset:600
	buffer_load_dword v26, v10, s[0:3], 0 offen offset:604
	buffer_load_dword v27, v10, s[0:3], 0 offen offset:608
	buffer_load_dword v28, v10, s[0:3], 0 offen offset:612
	buffer_load_dword v29, v10, s[0:3], 0 offen offset:616
	buffer_load_dword v30, v10, s[0:3], 0 offen offset:620
	ds_read2_b64 v[15:18], v19 offset1:1
	ds_read2_b64 v[19:22], v19 offset0:2 offset1:3
	s_cmpk_lg_i32 s16, 0x1a0
	s_waitcnt lgkmcnt(1)
	v_mul_f64 v[31:32], v[17:18], v[2:3]
	v_mul_f64 v[33:34], v[15:16], v[2:3]
	s_waitcnt lgkmcnt(0)
	v_mul_f64 v[35:36], v[21:22], v[2:3]
	v_mul_f64 v[37:38], v[19:20], v[2:3]
	v_fma_f64 v[15:16], v[15:16], v[0:1], -v[31:32]
	v_fma_f64 v[17:18], v[17:18], v[0:1], v[33:34]
	v_fma_f64 v[19:20], v[19:20], v[0:1], -v[35:36]
	v_fma_f64 v[21:22], v[21:22], v[0:1], v[37:38]
	s_waitcnt vmcnt(6)
	v_add_f64 v[15:16], v[23:24], -v[15:16]
	s_waitcnt vmcnt(4)
	v_add_f64 v[17:18], v[25:26], -v[17:18]
	;; [unrolled: 2-line block ×4, first 2 shown]
	buffer_store_dword v15, v10, s[0:3], 0 offen offset:592
	buffer_store_dword v16, v10, s[0:3], 0 offen offset:596
	;; [unrolled: 1-line block ×8, first 2 shown]
	s_cbranch_scc1 .LBB124_896
.LBB124_897:
	s_or_b32 exec_lo, exec_lo, s4
	v_mov_b32_e32 v3, s44
	s_waitcnt_vscnt null, 0x0
	s_barrier
	buffer_gl0_inv
	v_lshl_add_u32 v4, v11, 4, v12
	s_clause 0x3
	buffer_load_dword v0, v3, s[0:3], 0 offen
	buffer_load_dword v1, v3, s[0:3], 0 offen offset:4
	buffer_load_dword v2, v3, s[0:3], 0 offen offset:8
	;; [unrolled: 1-line block ×3, first 2 shown]
	s_cmp_lt_i32 s57, 39
	s_waitcnt vmcnt(0)
	ds_write2_b64 v4, v[0:1], v[2:3] offset1:1
	s_waitcnt lgkmcnt(0)
	s_barrier
	buffer_gl0_inv
	ds_read2_b64 v[0:3], v12 offset0:74 offset1:75
	v_mov_b32_e32 v4, 37
	s_cbranch_scc1 .LBB124_900
; %bb.898:
	v_add3_u32 v10, v14, 0, 0x260
	v_mov_b32_e32 v4, 37
	s_mov_b32 s16, 38
	s_inst_prefetch 0x1
	.p2align	6
.LBB124_899:                            ; =>This Inner Loop Header: Depth=1
	s_waitcnt lgkmcnt(0)
	v_cmp_gt_f64_e32 vcc_lo, 0, v[2:3]
	v_cmp_gt_f64_e64 s4, 0, v[0:1]
	ds_read2_b64 v[15:18], v10 offset1:1
	v_xor_b32_e32 v20, 0x80000000, v1
	v_xor_b32_e32 v22, 0x80000000, v3
	v_mov_b32_e32 v19, v0
	v_mov_b32_e32 v21, v2
	v_add_nc_u32_e32 v10, 16, v10
	s_waitcnt lgkmcnt(0)
	v_xor_b32_e32 v24, 0x80000000, v18
	v_cndmask_b32_e64 v20, v1, v20, s4
	v_cndmask_b32_e32 v22, v3, v22, vcc_lo
	v_cmp_gt_f64_e32 vcc_lo, 0, v[17:18]
	v_cmp_gt_f64_e64 s4, 0, v[15:16]
	v_mov_b32_e32 v23, v17
	v_add_f64 v[19:20], v[19:20], v[21:22]
	v_xor_b32_e32 v22, 0x80000000, v16
	v_mov_b32_e32 v21, v15
	v_cndmask_b32_e32 v24, v18, v24, vcc_lo
	v_cndmask_b32_e64 v22, v16, v22, s4
	v_add_f64 v[21:22], v[21:22], v[23:24]
	v_cmp_lt_f64_e32 vcc_lo, v[19:20], v[21:22]
	v_cndmask_b32_e32 v1, v1, v16, vcc_lo
	v_cndmask_b32_e32 v0, v0, v15, vcc_lo
	;; [unrolled: 1-line block ×4, first 2 shown]
	v_cndmask_b32_e64 v4, v4, s16, vcc_lo
	s_add_i32 s16, s16, 1
	s_cmp_lg_u32 s57, s16
	s_cbranch_scc1 .LBB124_899
.LBB124_900:
	s_inst_prefetch 0x2
	s_waitcnt lgkmcnt(0)
	v_cmp_eq_f64_e32 vcc_lo, 0, v[0:1]
	v_cmp_eq_f64_e64 s4, 0, v[2:3]
	s_and_b32 s4, vcc_lo, s4
	s_and_saveexec_b32 s16, s4
	s_xor_b32 s4, exec_lo, s16
; %bb.901:
	v_cmp_ne_u32_e32 vcc_lo, 0, v13
	v_cndmask_b32_e32 v13, 38, v13, vcc_lo
; %bb.902:
	s_andn2_saveexec_b32 s4, s4
	s_cbranch_execz .LBB124_908
; %bb.903:
	v_cmp_ngt_f64_e64 s16, |v[0:1]|, |v[2:3]|
	s_and_saveexec_b32 s17, s16
	s_xor_b32 s16, exec_lo, s17
	s_cbranch_execz .LBB124_905
; %bb.904:
	v_div_scale_f64 v[15:16], null, v[2:3], v[2:3], v[0:1]
	v_div_scale_f64 v[21:22], vcc_lo, v[0:1], v[2:3], v[0:1]
	v_rcp_f64_e32 v[17:18], v[15:16]
	v_fma_f64 v[19:20], -v[15:16], v[17:18], 1.0
	v_fma_f64 v[17:18], v[17:18], v[19:20], v[17:18]
	v_fma_f64 v[19:20], -v[15:16], v[17:18], 1.0
	v_fma_f64 v[17:18], v[17:18], v[19:20], v[17:18]
	v_mul_f64 v[19:20], v[21:22], v[17:18]
	v_fma_f64 v[15:16], -v[15:16], v[19:20], v[21:22]
	v_div_fmas_f64 v[15:16], v[15:16], v[17:18], v[19:20]
	v_div_fixup_f64 v[15:16], v[15:16], v[2:3], v[0:1]
	v_fma_f64 v[0:1], v[0:1], v[15:16], v[2:3]
	v_div_scale_f64 v[2:3], null, v[0:1], v[0:1], 1.0
	v_rcp_f64_e32 v[17:18], v[2:3]
	v_fma_f64 v[19:20], -v[2:3], v[17:18], 1.0
	v_fma_f64 v[17:18], v[17:18], v[19:20], v[17:18]
	v_fma_f64 v[19:20], -v[2:3], v[17:18], 1.0
	v_fma_f64 v[17:18], v[17:18], v[19:20], v[17:18]
	v_div_scale_f64 v[19:20], vcc_lo, 1.0, v[0:1], 1.0
	v_mul_f64 v[21:22], v[19:20], v[17:18]
	v_fma_f64 v[2:3], -v[2:3], v[21:22], v[19:20]
	v_div_fmas_f64 v[2:3], v[2:3], v[17:18], v[21:22]
	v_div_fixup_f64 v[2:3], v[2:3], v[0:1], 1.0
	v_mul_f64 v[0:1], v[15:16], v[2:3]
	v_xor_b32_e32 v3, 0x80000000, v3
.LBB124_905:
	s_andn2_saveexec_b32 s16, s16
	s_cbranch_execz .LBB124_907
; %bb.906:
	v_div_scale_f64 v[15:16], null, v[0:1], v[0:1], v[2:3]
	v_div_scale_f64 v[21:22], vcc_lo, v[2:3], v[0:1], v[2:3]
	v_rcp_f64_e32 v[17:18], v[15:16]
	v_fma_f64 v[19:20], -v[15:16], v[17:18], 1.0
	v_fma_f64 v[17:18], v[17:18], v[19:20], v[17:18]
	v_fma_f64 v[19:20], -v[15:16], v[17:18], 1.0
	v_fma_f64 v[17:18], v[17:18], v[19:20], v[17:18]
	v_mul_f64 v[19:20], v[21:22], v[17:18]
	v_fma_f64 v[15:16], -v[15:16], v[19:20], v[21:22]
	v_div_fmas_f64 v[15:16], v[15:16], v[17:18], v[19:20]
	v_div_fixup_f64 v[15:16], v[15:16], v[0:1], v[2:3]
	v_fma_f64 v[0:1], v[2:3], v[15:16], v[0:1]
	v_div_scale_f64 v[2:3], null, v[0:1], v[0:1], 1.0
	v_rcp_f64_e32 v[17:18], v[2:3]
	v_fma_f64 v[19:20], -v[2:3], v[17:18], 1.0
	v_fma_f64 v[17:18], v[17:18], v[19:20], v[17:18]
	v_fma_f64 v[19:20], -v[2:3], v[17:18], 1.0
	v_fma_f64 v[17:18], v[17:18], v[19:20], v[17:18]
	v_div_scale_f64 v[19:20], vcc_lo, 1.0, v[0:1], 1.0
	v_mul_f64 v[21:22], v[19:20], v[17:18]
	v_fma_f64 v[2:3], -v[2:3], v[21:22], v[19:20]
	v_div_fmas_f64 v[2:3], v[2:3], v[17:18], v[21:22]
	v_div_fixup_f64 v[0:1], v[2:3], v[0:1], 1.0
	v_mul_f64 v[2:3], v[15:16], -v[0:1]
.LBB124_907:
	s_or_b32 exec_lo, exec_lo, s16
.LBB124_908:
	s_or_b32 exec_lo, exec_lo, s4
	s_mov_b32 s4, exec_lo
	v_cmpx_ne_u32_e64 v11, v4
	s_xor_b32 s4, exec_lo, s4
	s_cbranch_execz .LBB124_914
; %bb.909:
	s_mov_b32 s16, exec_lo
	v_cmpx_eq_u32_e32 37, v11
	s_cbranch_execz .LBB124_913
; %bb.910:
	v_cmp_ne_u32_e32 vcc_lo, 37, v4
	s_xor_b32 s17, s20, -1
	s_and_b32 s56, s17, vcc_lo
	s_and_saveexec_b32 s17, s56
	s_cbranch_execz .LBB124_912
; %bb.911:
	v_ashrrev_i32_e32 v5, 31, v4
	v_lshlrev_b64 v[10:11], 2, v[4:5]
	v_add_co_u32 v10, vcc_lo, v8, v10
	v_add_co_ci_u32_e64 v11, null, v9, v11, vcc_lo
	s_clause 0x1
	global_load_dword v5, v[10:11], off
	global_load_dword v15, v[8:9], off offset:148
	s_waitcnt vmcnt(1)
	global_store_dword v[8:9], v5, off offset:148
	s_waitcnt vmcnt(0)
	global_store_dword v[10:11], v15, off
.LBB124_912:
	s_or_b32 exec_lo, exec_lo, s17
	v_mov_b32_e32 v11, v4
	v_mov_b32_e32 v5, v4
.LBB124_913:
	s_or_b32 exec_lo, exec_lo, s16
.LBB124_914:
	s_andn2_saveexec_b32 s4, s4
	s_cbranch_execz .LBB124_916
; %bb.915:
	v_mov_b32_e32 v4, s43
	v_mov_b32_e32 v11, s41
	;; [unrolled: 1-line block ×3, first 2 shown]
	s_clause 0x7
	buffer_load_dword v15, v4, s[0:3], 0 offen
	buffer_load_dword v16, v4, s[0:3], 0 offen offset:4
	buffer_load_dword v17, v4, s[0:3], 0 offen offset:8
	buffer_load_dword v18, v4, s[0:3], 0 offen offset:12
	buffer_load_dword v19, v10, s[0:3], 0 offen
	buffer_load_dword v20, v10, s[0:3], 0 offen offset:4
	buffer_load_dword v21, v10, s[0:3], 0 offen offset:8
	buffer_load_dword v22, v10, s[0:3], 0 offen offset:12
	v_mov_b32_e32 v4, s40
	v_mov_b32_e32 v10, s39
	s_clause 0x7
	buffer_load_dword v23, v11, s[0:3], 0 offen
	buffer_load_dword v24, v11, s[0:3], 0 offen offset:4
	buffer_load_dword v25, v11, s[0:3], 0 offen offset:8
	buffer_load_dword v26, v11, s[0:3], 0 offen offset:12
	buffer_load_dword v27, v4, s[0:3], 0 offen
	buffer_load_dword v28, v4, s[0:3], 0 offen offset:4
	buffer_load_dword v29, v4, s[0:3], 0 offen offset:8
	buffer_load_dword v30, v4, s[0:3], 0 offen offset:12
	v_mov_b32_e32 v11, s37
	v_mov_b32_e32 v4, s38
	;; [unrolled: 11-line block ×11, first 2 shown]
	s_clause 0xb
	buffer_load_dword v103, v11, s[0:3], 0 offen
	buffer_load_dword v104, v11, s[0:3], 0 offen offset:4
	buffer_load_dword v105, v11, s[0:3], 0 offen offset:8
	buffer_load_dword v106, v11, s[0:3], 0 offen offset:12
	buffer_load_dword v107, v4, s[0:3], 0 offen
	buffer_load_dword v108, v4, s[0:3], 0 offen offset:4
	buffer_load_dword v109, v4, s[0:3], 0 offen offset:8
	buffer_load_dword v110, v4, s[0:3], 0 offen offset:12
	;; [unrolled: 4-line block ×3, first 2 shown]
	v_mov_b32_e32 v11, 37
	s_waitcnt vmcnt(62)
	ds_write2_b64 v12, v[15:16], v[17:18] offset0:76 offset1:77
	ds_write2_b64 v12, v[19:20], v[21:22] offset0:78 offset1:79
	;; [unrolled: 1-line block ×9, first 2 shown]
	s_waitcnt vmcnt(60)
	ds_write2_b64 v12, v[51:52], v[53:54] offset0:94 offset1:95
	s_waitcnt vmcnt(56)
	ds_write2_b64 v12, v[55:56], v[57:58] offset0:96 offset1:97
	;; [unrolled: 2-line block ×16, first 2 shown]
.LBB124_916:
	s_or_b32 exec_lo, exec_lo, s4
	s_mov_b32 s4, exec_lo
	s_waitcnt lgkmcnt(0)
	s_waitcnt_vscnt null, 0x0
	s_barrier
	buffer_gl0_inv
	v_cmpx_lt_i32_e32 37, v11
	s_cbranch_execz .LBB124_919
; %bb.917:
	s_clause 0x3
	buffer_load_dword v15, off, s[0:3], 0 offset:600
	buffer_load_dword v16, off, s[0:3], 0 offset:604
	;; [unrolled: 1-line block ×4, first 2 shown]
	v_add3_u32 v4, v14, 0, 0x260
	s_mov_b32 s82, 0
	s_waitcnt vmcnt(2)
	v_mul_f64 v[19:20], v[2:3], v[15:16]
	v_mul_f64 v[15:16], v[0:1], v[15:16]
	s_waitcnt vmcnt(0)
	v_fma_f64 v[0:1], v[0:1], v[17:18], -v[19:20]
	v_fma_f64 v[2:3], v[2:3], v[17:18], v[15:16]
	buffer_store_dword v0, off, s[0:3], 0 offset:592
	buffer_store_dword v1, off, s[0:3], 0 offset:596
	;; [unrolled: 1-line block ×4, first 2 shown]
.LBB124_918:                            ; =>This Inner Loop Header: Depth=1
	v_mov_b32_e32 v10, s82
	v_add_nc_u32_e32 v31, s82, v4
	s_addk_i32 s82, 0x50
	s_clause 0x13
	buffer_load_dword v35, v10, s[0:3], 0 offen offset:608
	buffer_load_dword v36, v10, s[0:3], 0 offen offset:612
	;; [unrolled: 1-line block ×20, first 2 shown]
	ds_read2_b64 v[15:18], v31 offset1:1
	ds_read2_b64 v[19:22], v31 offset0:2 offset1:3
	ds_read2_b64 v[23:26], v31 offset0:4 offset1:5
	;; [unrolled: 1-line block ×4, first 2 shown]
	s_cmpk_lg_i32 s82, 0x190
	s_waitcnt lgkmcnt(4)
	v_mul_f64 v[55:56], v[17:18], v[2:3]
	v_mul_f64 v[57:58], v[15:16], v[2:3]
	s_waitcnt lgkmcnt(3)
	v_mul_f64 v[59:60], v[21:22], v[2:3]
	v_mul_f64 v[61:62], v[19:20], v[2:3]
	;; [unrolled: 3-line block ×5, first 2 shown]
	v_fma_f64 v[15:16], v[15:16], v[0:1], -v[55:56]
	v_fma_f64 v[17:18], v[17:18], v[0:1], v[57:58]
	v_fma_f64 v[19:20], v[19:20], v[0:1], -v[59:60]
	v_fma_f64 v[21:22], v[21:22], v[0:1], v[61:62]
	;; [unrolled: 2-line block ×5, first 2 shown]
	s_waitcnt vmcnt(18)
	v_add_f64 v[15:16], v[35:36], -v[15:16]
	s_waitcnt vmcnt(16)
	v_add_f64 v[17:18], v[37:38], -v[17:18]
	;; [unrolled: 2-line block ×10, first 2 shown]
	buffer_store_dword v15, v10, s[0:3], 0 offen offset:608
	buffer_store_dword v16, v10, s[0:3], 0 offen offset:612
	;; [unrolled: 1-line block ×20, first 2 shown]
	s_cbranch_scc1 .LBB124_918
.LBB124_919:
	s_or_b32 exec_lo, exec_lo, s4
	v_mov_b32_e32 v3, s43
	s_waitcnt_vscnt null, 0x0
	s_barrier
	buffer_gl0_inv
	v_lshl_add_u32 v4, v11, 4, v12
	s_clause 0x3
	buffer_load_dword v0, v3, s[0:3], 0 offen
	buffer_load_dword v1, v3, s[0:3], 0 offen offset:4
	buffer_load_dword v2, v3, s[0:3], 0 offen offset:8
	buffer_load_dword v3, v3, s[0:3], 0 offen offset:12
	s_cmp_lt_i32 s57, 40
	s_waitcnt vmcnt(0)
	ds_write2_b64 v4, v[0:1], v[2:3] offset1:1
	s_waitcnt lgkmcnt(0)
	s_barrier
	buffer_gl0_inv
	ds_read2_b64 v[0:3], v12 offset0:76 offset1:77
	v_mov_b32_e32 v4, 38
	s_cbranch_scc1 .LBB124_922
; %bb.920:
	v_add3_u32 v10, v14, 0, 0x270
	v_mov_b32_e32 v4, 38
	s_mov_b32 s16, 39
	s_inst_prefetch 0x1
	.p2align	6
.LBB124_921:                            ; =>This Inner Loop Header: Depth=1
	s_waitcnt lgkmcnt(0)
	v_cmp_gt_f64_e32 vcc_lo, 0, v[2:3]
	v_cmp_gt_f64_e64 s4, 0, v[0:1]
	ds_read2_b64 v[15:18], v10 offset1:1
	v_xor_b32_e32 v20, 0x80000000, v1
	v_xor_b32_e32 v22, 0x80000000, v3
	v_mov_b32_e32 v19, v0
	v_mov_b32_e32 v21, v2
	v_add_nc_u32_e32 v10, 16, v10
	s_waitcnt lgkmcnt(0)
	v_xor_b32_e32 v24, 0x80000000, v18
	v_cndmask_b32_e64 v20, v1, v20, s4
	v_cndmask_b32_e32 v22, v3, v22, vcc_lo
	v_cmp_gt_f64_e32 vcc_lo, 0, v[17:18]
	v_cmp_gt_f64_e64 s4, 0, v[15:16]
	v_mov_b32_e32 v23, v17
	v_add_f64 v[19:20], v[19:20], v[21:22]
	v_xor_b32_e32 v22, 0x80000000, v16
	v_mov_b32_e32 v21, v15
	v_cndmask_b32_e32 v24, v18, v24, vcc_lo
	v_cndmask_b32_e64 v22, v16, v22, s4
	v_add_f64 v[21:22], v[21:22], v[23:24]
	v_cmp_lt_f64_e32 vcc_lo, v[19:20], v[21:22]
	v_cndmask_b32_e32 v1, v1, v16, vcc_lo
	v_cndmask_b32_e32 v0, v0, v15, vcc_lo
	;; [unrolled: 1-line block ×4, first 2 shown]
	v_cndmask_b32_e64 v4, v4, s16, vcc_lo
	s_add_i32 s16, s16, 1
	s_cmp_lg_u32 s57, s16
	s_cbranch_scc1 .LBB124_921
.LBB124_922:
	s_inst_prefetch 0x2
	s_waitcnt lgkmcnt(0)
	v_cmp_eq_f64_e32 vcc_lo, 0, v[0:1]
	v_cmp_eq_f64_e64 s4, 0, v[2:3]
	s_and_b32 s4, vcc_lo, s4
	s_and_saveexec_b32 s16, s4
	s_xor_b32 s4, exec_lo, s16
; %bb.923:
	v_cmp_ne_u32_e32 vcc_lo, 0, v13
	v_cndmask_b32_e32 v13, 39, v13, vcc_lo
; %bb.924:
	s_andn2_saveexec_b32 s4, s4
	s_cbranch_execz .LBB124_930
; %bb.925:
	v_cmp_ngt_f64_e64 s16, |v[0:1]|, |v[2:3]|
	s_and_saveexec_b32 s17, s16
	s_xor_b32 s16, exec_lo, s17
	s_cbranch_execz .LBB124_927
; %bb.926:
	v_div_scale_f64 v[15:16], null, v[2:3], v[2:3], v[0:1]
	v_div_scale_f64 v[21:22], vcc_lo, v[0:1], v[2:3], v[0:1]
	v_rcp_f64_e32 v[17:18], v[15:16]
	v_fma_f64 v[19:20], -v[15:16], v[17:18], 1.0
	v_fma_f64 v[17:18], v[17:18], v[19:20], v[17:18]
	v_fma_f64 v[19:20], -v[15:16], v[17:18], 1.0
	v_fma_f64 v[17:18], v[17:18], v[19:20], v[17:18]
	v_mul_f64 v[19:20], v[21:22], v[17:18]
	v_fma_f64 v[15:16], -v[15:16], v[19:20], v[21:22]
	v_div_fmas_f64 v[15:16], v[15:16], v[17:18], v[19:20]
	v_div_fixup_f64 v[15:16], v[15:16], v[2:3], v[0:1]
	v_fma_f64 v[0:1], v[0:1], v[15:16], v[2:3]
	v_div_scale_f64 v[2:3], null, v[0:1], v[0:1], 1.0
	v_rcp_f64_e32 v[17:18], v[2:3]
	v_fma_f64 v[19:20], -v[2:3], v[17:18], 1.0
	v_fma_f64 v[17:18], v[17:18], v[19:20], v[17:18]
	v_fma_f64 v[19:20], -v[2:3], v[17:18], 1.0
	v_fma_f64 v[17:18], v[17:18], v[19:20], v[17:18]
	v_div_scale_f64 v[19:20], vcc_lo, 1.0, v[0:1], 1.0
	v_mul_f64 v[21:22], v[19:20], v[17:18]
	v_fma_f64 v[2:3], -v[2:3], v[21:22], v[19:20]
	v_div_fmas_f64 v[2:3], v[2:3], v[17:18], v[21:22]
	v_div_fixup_f64 v[2:3], v[2:3], v[0:1], 1.0
	v_mul_f64 v[0:1], v[15:16], v[2:3]
	v_xor_b32_e32 v3, 0x80000000, v3
.LBB124_927:
	s_andn2_saveexec_b32 s16, s16
	s_cbranch_execz .LBB124_929
; %bb.928:
	v_div_scale_f64 v[15:16], null, v[0:1], v[0:1], v[2:3]
	v_div_scale_f64 v[21:22], vcc_lo, v[2:3], v[0:1], v[2:3]
	v_rcp_f64_e32 v[17:18], v[15:16]
	v_fma_f64 v[19:20], -v[15:16], v[17:18], 1.0
	v_fma_f64 v[17:18], v[17:18], v[19:20], v[17:18]
	v_fma_f64 v[19:20], -v[15:16], v[17:18], 1.0
	v_fma_f64 v[17:18], v[17:18], v[19:20], v[17:18]
	v_mul_f64 v[19:20], v[21:22], v[17:18]
	v_fma_f64 v[15:16], -v[15:16], v[19:20], v[21:22]
	v_div_fmas_f64 v[15:16], v[15:16], v[17:18], v[19:20]
	v_div_fixup_f64 v[15:16], v[15:16], v[0:1], v[2:3]
	v_fma_f64 v[0:1], v[2:3], v[15:16], v[0:1]
	v_div_scale_f64 v[2:3], null, v[0:1], v[0:1], 1.0
	v_rcp_f64_e32 v[17:18], v[2:3]
	v_fma_f64 v[19:20], -v[2:3], v[17:18], 1.0
	v_fma_f64 v[17:18], v[17:18], v[19:20], v[17:18]
	v_fma_f64 v[19:20], -v[2:3], v[17:18], 1.0
	v_fma_f64 v[17:18], v[17:18], v[19:20], v[17:18]
	v_div_scale_f64 v[19:20], vcc_lo, 1.0, v[0:1], 1.0
	v_mul_f64 v[21:22], v[19:20], v[17:18]
	v_fma_f64 v[2:3], -v[2:3], v[21:22], v[19:20]
	v_div_fmas_f64 v[2:3], v[2:3], v[17:18], v[21:22]
	v_div_fixup_f64 v[0:1], v[2:3], v[0:1], 1.0
	v_mul_f64 v[2:3], v[15:16], -v[0:1]
.LBB124_929:
	s_or_b32 exec_lo, exec_lo, s16
.LBB124_930:
	s_or_b32 exec_lo, exec_lo, s4
	s_mov_b32 s4, exec_lo
	v_cmpx_ne_u32_e64 v11, v4
	s_xor_b32 s4, exec_lo, s4
	s_cbranch_execz .LBB124_936
; %bb.931:
	s_mov_b32 s16, exec_lo
	v_cmpx_eq_u32_e32 38, v11
	s_cbranch_execz .LBB124_935
; %bb.932:
	v_cmp_ne_u32_e32 vcc_lo, 38, v4
	s_xor_b32 s17, s20, -1
	s_and_b32 s56, s17, vcc_lo
	s_and_saveexec_b32 s17, s56
	s_cbranch_execz .LBB124_934
; %bb.933:
	v_ashrrev_i32_e32 v5, 31, v4
	v_lshlrev_b64 v[10:11], 2, v[4:5]
	v_add_co_u32 v10, vcc_lo, v8, v10
	v_add_co_ci_u32_e64 v11, null, v9, v11, vcc_lo
	s_clause 0x1
	global_load_dword v5, v[10:11], off
	global_load_dword v15, v[8:9], off offset:152
	s_waitcnt vmcnt(1)
	global_store_dword v[8:9], v5, off offset:152
	s_waitcnt vmcnt(0)
	global_store_dword v[10:11], v15, off
.LBB124_934:
	s_or_b32 exec_lo, exec_lo, s17
	v_mov_b32_e32 v11, v4
	v_mov_b32_e32 v5, v4
.LBB124_935:
	s_or_b32 exec_lo, exec_lo, s16
.LBB124_936:
	s_andn2_saveexec_b32 s4, s4
	s_cbranch_execz .LBB124_938
; %bb.937:
	v_mov_b32_e32 v4, s42
	v_mov_b32_e32 v11, s40
	;; [unrolled: 1-line block ×3, first 2 shown]
	s_clause 0x7
	buffer_load_dword v15, v4, s[0:3], 0 offen
	buffer_load_dword v16, v4, s[0:3], 0 offen offset:4
	buffer_load_dword v17, v4, s[0:3], 0 offen offset:8
	buffer_load_dword v18, v4, s[0:3], 0 offen offset:12
	buffer_load_dword v19, v10, s[0:3], 0 offen
	buffer_load_dword v20, v10, s[0:3], 0 offen offset:4
	buffer_load_dword v21, v10, s[0:3], 0 offen offset:8
	buffer_load_dword v22, v10, s[0:3], 0 offen offset:12
	v_mov_b32_e32 v4, s39
	v_mov_b32_e32 v10, s38
	s_clause 0x7
	buffer_load_dword v23, v11, s[0:3], 0 offen
	buffer_load_dword v24, v11, s[0:3], 0 offen offset:4
	buffer_load_dword v25, v11, s[0:3], 0 offen offset:8
	buffer_load_dword v26, v11, s[0:3], 0 offen offset:12
	buffer_load_dword v27, v4, s[0:3], 0 offen
	buffer_load_dword v28, v4, s[0:3], 0 offen offset:4
	buffer_load_dword v29, v4, s[0:3], 0 offen offset:8
	buffer_load_dword v30, v4, s[0:3], 0 offen offset:12
	v_mov_b32_e32 v11, s36
	v_mov_b32_e32 v4, s37
	;; [unrolled: 11-line block ×10, first 2 shown]
	s_clause 0x7
	buffer_load_dword v95, v10, s[0:3], 0 offen
	buffer_load_dword v96, v10, s[0:3], 0 offen offset:4
	buffer_load_dword v97, v10, s[0:3], 0 offen offset:8
	;; [unrolled: 1-line block ×3, first 2 shown]
	buffer_load_dword v99, v4, s[0:3], 0 offen
	buffer_load_dword v100, v4, s[0:3], 0 offen offset:4
	buffer_load_dword v101, v4, s[0:3], 0 offen offset:8
	;; [unrolled: 1-line block ×3, first 2 shown]
	v_mov_b32_e32 v4, s5
	s_clause 0x7
	buffer_load_dword v103, v11, s[0:3], 0 offen
	buffer_load_dword v104, v11, s[0:3], 0 offen offset:4
	buffer_load_dword v105, v11, s[0:3], 0 offen offset:8
	buffer_load_dword v106, v11, s[0:3], 0 offen offset:12
	buffer_load_dword v107, v4, s[0:3], 0 offen
	buffer_load_dword v108, v4, s[0:3], 0 offen offset:4
	buffer_load_dword v109, v4, s[0:3], 0 offen offset:8
	;; [unrolled: 1-line block ×3, first 2 shown]
	v_mov_b32_e32 v11, 38
	s_waitcnt vmcnt(62)
	ds_write2_b64 v12, v[15:16], v[17:18] offset0:78 offset1:79
	ds_write2_b64 v12, v[19:20], v[21:22] offset0:80 offset1:81
	;; [unrolled: 1-line block ×8, first 2 shown]
	s_waitcnt vmcnt(60)
	ds_write2_b64 v12, v[47:48], v[49:50] offset0:94 offset1:95
	s_waitcnt vmcnt(56)
	ds_write2_b64 v12, v[51:52], v[53:54] offset0:96 offset1:97
	;; [unrolled: 2-line block ×16, first 2 shown]
.LBB124_938:
	s_or_b32 exec_lo, exec_lo, s4
	s_mov_b32 s4, exec_lo
	s_waitcnt lgkmcnt(0)
	s_waitcnt_vscnt null, 0x0
	s_barrier
	buffer_gl0_inv
	v_cmpx_lt_i32_e32 38, v11
	s_cbranch_execz .LBB124_941
; %bb.939:
	s_clause 0x3
	buffer_load_dword v15, off, s[0:3], 0 offset:616
	buffer_load_dword v16, off, s[0:3], 0 offset:620
	;; [unrolled: 1-line block ×4, first 2 shown]
	v_add3_u32 v4, v14, 0, 0x270
	s_mov_b32 s82, 0
	s_waitcnt vmcnt(2)
	v_mul_f64 v[19:20], v[2:3], v[15:16]
	v_mul_f64 v[15:16], v[0:1], v[15:16]
	s_waitcnt vmcnt(0)
	v_fma_f64 v[0:1], v[0:1], v[17:18], -v[19:20]
	v_fma_f64 v[2:3], v[2:3], v[17:18], v[15:16]
	buffer_store_dword v0, off, s[0:3], 0 offset:608
	buffer_store_dword v1, off, s[0:3], 0 offset:612
	;; [unrolled: 1-line block ×4, first 2 shown]
.LBB124_940:                            ; =>This Inner Loop Header: Depth=1
	v_mov_b32_e32 v10, s82
	v_add_nc_u32_e32 v35, s82, v4
	s_addk_i32 s82, 0x60
	s_clause 0x17
	buffer_load_dword v39, v10, s[0:3], 0 offen offset:624
	buffer_load_dword v40, v10, s[0:3], 0 offen offset:628
	;; [unrolled: 1-line block ×24, first 2 shown]
	ds_read2_b64 v[15:18], v35 offset1:1
	ds_read2_b64 v[19:22], v35 offset0:2 offset1:3
	ds_read2_b64 v[23:26], v35 offset0:4 offset1:5
	ds_read2_b64 v[27:30], v35 offset0:6 offset1:7
	ds_read2_b64 v[31:34], v35 offset0:8 offset1:9
	ds_read2_b64 v[35:38], v35 offset0:10 offset1:11
	s_cmpk_lg_i32 s82, 0x180
	s_waitcnt lgkmcnt(5)
	v_mul_f64 v[63:64], v[17:18], v[2:3]
	v_mul_f64 v[65:66], v[15:16], v[2:3]
	s_waitcnt lgkmcnt(4)
	v_mul_f64 v[67:68], v[21:22], v[2:3]
	v_mul_f64 v[69:70], v[19:20], v[2:3]
	s_waitcnt lgkmcnt(3)
	v_mul_f64 v[71:72], v[25:26], v[2:3]
	v_mul_f64 v[73:74], v[23:24], v[2:3]
	s_waitcnt lgkmcnt(2)
	v_mul_f64 v[75:76], v[29:30], v[2:3]
	v_mul_f64 v[77:78], v[27:28], v[2:3]
	s_waitcnt lgkmcnt(1)
	v_mul_f64 v[79:80], v[33:34], v[2:3]
	v_mul_f64 v[81:82], v[31:32], v[2:3]
	s_waitcnt lgkmcnt(0)
	v_mul_f64 v[83:84], v[37:38], v[2:3]
	v_mul_f64 v[85:86], v[35:36], v[2:3]
	v_fma_f64 v[15:16], v[15:16], v[0:1], -v[63:64]
	v_fma_f64 v[17:18], v[17:18], v[0:1], v[65:66]
	v_fma_f64 v[19:20], v[19:20], v[0:1], -v[67:68]
	v_fma_f64 v[21:22], v[21:22], v[0:1], v[69:70]
	;; [unrolled: 2-line block ×6, first 2 shown]
	s_waitcnt vmcnt(22)
	v_add_f64 v[15:16], v[39:40], -v[15:16]
	s_waitcnt vmcnt(20)
	v_add_f64 v[17:18], v[41:42], -v[17:18]
	;; [unrolled: 2-line block ×12, first 2 shown]
	buffer_store_dword v15, v10, s[0:3], 0 offen offset:624
	buffer_store_dword v16, v10, s[0:3], 0 offen offset:628
	;; [unrolled: 1-line block ×24, first 2 shown]
	s_cbranch_scc1 .LBB124_940
.LBB124_941:
	s_or_b32 exec_lo, exec_lo, s4
	v_mov_b32_e32 v3, s42
	s_waitcnt_vscnt null, 0x0
	s_barrier
	buffer_gl0_inv
	v_lshl_add_u32 v4, v11, 4, v12
	s_clause 0x3
	buffer_load_dword v0, v3, s[0:3], 0 offen
	buffer_load_dword v1, v3, s[0:3], 0 offen offset:4
	buffer_load_dword v2, v3, s[0:3], 0 offen offset:8
	;; [unrolled: 1-line block ×3, first 2 shown]
	s_cmp_lt_i32 s57, 41
	s_waitcnt vmcnt(0)
	ds_write2_b64 v4, v[0:1], v[2:3] offset1:1
	s_waitcnt lgkmcnt(0)
	s_barrier
	buffer_gl0_inv
	ds_read2_b64 v[0:3], v12 offset0:78 offset1:79
	v_mov_b32_e32 v4, 39
	s_cbranch_scc1 .LBB124_944
; %bb.942:
	v_add3_u32 v10, v14, 0, 0x280
	v_mov_b32_e32 v4, 39
	s_mov_b32 s16, 40
	s_inst_prefetch 0x1
	.p2align	6
.LBB124_943:                            ; =>This Inner Loop Header: Depth=1
	s_waitcnt lgkmcnt(0)
	v_cmp_gt_f64_e32 vcc_lo, 0, v[2:3]
	v_cmp_gt_f64_e64 s4, 0, v[0:1]
	ds_read2_b64 v[15:18], v10 offset1:1
	v_xor_b32_e32 v20, 0x80000000, v1
	v_xor_b32_e32 v22, 0x80000000, v3
	v_mov_b32_e32 v19, v0
	v_mov_b32_e32 v21, v2
	v_add_nc_u32_e32 v10, 16, v10
	s_waitcnt lgkmcnt(0)
	v_xor_b32_e32 v24, 0x80000000, v18
	v_cndmask_b32_e64 v20, v1, v20, s4
	v_cndmask_b32_e32 v22, v3, v22, vcc_lo
	v_cmp_gt_f64_e32 vcc_lo, 0, v[17:18]
	v_cmp_gt_f64_e64 s4, 0, v[15:16]
	v_mov_b32_e32 v23, v17
	v_add_f64 v[19:20], v[19:20], v[21:22]
	v_xor_b32_e32 v22, 0x80000000, v16
	v_mov_b32_e32 v21, v15
	v_cndmask_b32_e32 v24, v18, v24, vcc_lo
	v_cndmask_b32_e64 v22, v16, v22, s4
	v_add_f64 v[21:22], v[21:22], v[23:24]
	v_cmp_lt_f64_e32 vcc_lo, v[19:20], v[21:22]
	v_cndmask_b32_e32 v1, v1, v16, vcc_lo
	v_cndmask_b32_e32 v0, v0, v15, vcc_lo
	;; [unrolled: 1-line block ×4, first 2 shown]
	v_cndmask_b32_e64 v4, v4, s16, vcc_lo
	s_add_i32 s16, s16, 1
	s_cmp_lg_u32 s57, s16
	s_cbranch_scc1 .LBB124_943
.LBB124_944:
	s_inst_prefetch 0x2
	s_waitcnt lgkmcnt(0)
	v_cmp_eq_f64_e32 vcc_lo, 0, v[0:1]
	v_cmp_eq_f64_e64 s4, 0, v[2:3]
	s_and_b32 s4, vcc_lo, s4
	s_and_saveexec_b32 s16, s4
	s_xor_b32 s4, exec_lo, s16
; %bb.945:
	v_cmp_ne_u32_e32 vcc_lo, 0, v13
	v_cndmask_b32_e32 v13, 40, v13, vcc_lo
; %bb.946:
	s_andn2_saveexec_b32 s4, s4
	s_cbranch_execz .LBB124_952
; %bb.947:
	v_cmp_ngt_f64_e64 s16, |v[0:1]|, |v[2:3]|
	s_and_saveexec_b32 s17, s16
	s_xor_b32 s16, exec_lo, s17
	s_cbranch_execz .LBB124_949
; %bb.948:
	v_div_scale_f64 v[15:16], null, v[2:3], v[2:3], v[0:1]
	v_div_scale_f64 v[21:22], vcc_lo, v[0:1], v[2:3], v[0:1]
	v_rcp_f64_e32 v[17:18], v[15:16]
	v_fma_f64 v[19:20], -v[15:16], v[17:18], 1.0
	v_fma_f64 v[17:18], v[17:18], v[19:20], v[17:18]
	v_fma_f64 v[19:20], -v[15:16], v[17:18], 1.0
	v_fma_f64 v[17:18], v[17:18], v[19:20], v[17:18]
	v_mul_f64 v[19:20], v[21:22], v[17:18]
	v_fma_f64 v[15:16], -v[15:16], v[19:20], v[21:22]
	v_div_fmas_f64 v[15:16], v[15:16], v[17:18], v[19:20]
	v_div_fixup_f64 v[15:16], v[15:16], v[2:3], v[0:1]
	v_fma_f64 v[0:1], v[0:1], v[15:16], v[2:3]
	v_div_scale_f64 v[2:3], null, v[0:1], v[0:1], 1.0
	v_rcp_f64_e32 v[17:18], v[2:3]
	v_fma_f64 v[19:20], -v[2:3], v[17:18], 1.0
	v_fma_f64 v[17:18], v[17:18], v[19:20], v[17:18]
	v_fma_f64 v[19:20], -v[2:3], v[17:18], 1.0
	v_fma_f64 v[17:18], v[17:18], v[19:20], v[17:18]
	v_div_scale_f64 v[19:20], vcc_lo, 1.0, v[0:1], 1.0
	v_mul_f64 v[21:22], v[19:20], v[17:18]
	v_fma_f64 v[2:3], -v[2:3], v[21:22], v[19:20]
	v_div_fmas_f64 v[2:3], v[2:3], v[17:18], v[21:22]
	v_div_fixup_f64 v[2:3], v[2:3], v[0:1], 1.0
	v_mul_f64 v[0:1], v[15:16], v[2:3]
	v_xor_b32_e32 v3, 0x80000000, v3
.LBB124_949:
	s_andn2_saveexec_b32 s16, s16
	s_cbranch_execz .LBB124_951
; %bb.950:
	v_div_scale_f64 v[15:16], null, v[0:1], v[0:1], v[2:3]
	v_div_scale_f64 v[21:22], vcc_lo, v[2:3], v[0:1], v[2:3]
	v_rcp_f64_e32 v[17:18], v[15:16]
	v_fma_f64 v[19:20], -v[15:16], v[17:18], 1.0
	v_fma_f64 v[17:18], v[17:18], v[19:20], v[17:18]
	v_fma_f64 v[19:20], -v[15:16], v[17:18], 1.0
	v_fma_f64 v[17:18], v[17:18], v[19:20], v[17:18]
	v_mul_f64 v[19:20], v[21:22], v[17:18]
	v_fma_f64 v[15:16], -v[15:16], v[19:20], v[21:22]
	v_div_fmas_f64 v[15:16], v[15:16], v[17:18], v[19:20]
	v_div_fixup_f64 v[15:16], v[15:16], v[0:1], v[2:3]
	v_fma_f64 v[0:1], v[2:3], v[15:16], v[0:1]
	v_div_scale_f64 v[2:3], null, v[0:1], v[0:1], 1.0
	v_rcp_f64_e32 v[17:18], v[2:3]
	v_fma_f64 v[19:20], -v[2:3], v[17:18], 1.0
	v_fma_f64 v[17:18], v[17:18], v[19:20], v[17:18]
	v_fma_f64 v[19:20], -v[2:3], v[17:18], 1.0
	v_fma_f64 v[17:18], v[17:18], v[19:20], v[17:18]
	v_div_scale_f64 v[19:20], vcc_lo, 1.0, v[0:1], 1.0
	v_mul_f64 v[21:22], v[19:20], v[17:18]
	v_fma_f64 v[2:3], -v[2:3], v[21:22], v[19:20]
	v_div_fmas_f64 v[2:3], v[2:3], v[17:18], v[21:22]
	v_div_fixup_f64 v[0:1], v[2:3], v[0:1], 1.0
	v_mul_f64 v[2:3], v[15:16], -v[0:1]
.LBB124_951:
	s_or_b32 exec_lo, exec_lo, s16
.LBB124_952:
	s_or_b32 exec_lo, exec_lo, s4
	s_mov_b32 s4, exec_lo
	v_cmpx_ne_u32_e64 v11, v4
	s_xor_b32 s4, exec_lo, s4
	s_cbranch_execz .LBB124_958
; %bb.953:
	s_mov_b32 s16, exec_lo
	v_cmpx_eq_u32_e32 39, v11
	s_cbranch_execz .LBB124_957
; %bb.954:
	v_cmp_ne_u32_e32 vcc_lo, 39, v4
	s_xor_b32 s17, s20, -1
	s_and_b32 s56, s17, vcc_lo
	s_and_saveexec_b32 s17, s56
	s_cbranch_execz .LBB124_956
; %bb.955:
	v_ashrrev_i32_e32 v5, 31, v4
	v_lshlrev_b64 v[10:11], 2, v[4:5]
	v_add_co_u32 v10, vcc_lo, v8, v10
	v_add_co_ci_u32_e64 v11, null, v9, v11, vcc_lo
	s_clause 0x1
	global_load_dword v5, v[10:11], off
	global_load_dword v15, v[8:9], off offset:156
	s_waitcnt vmcnt(1)
	global_store_dword v[8:9], v5, off offset:156
	s_waitcnt vmcnt(0)
	global_store_dword v[10:11], v15, off
.LBB124_956:
	s_or_b32 exec_lo, exec_lo, s17
	v_mov_b32_e32 v11, v4
	v_mov_b32_e32 v5, v4
.LBB124_957:
	s_or_b32 exec_lo, exec_lo, s16
.LBB124_958:
	s_andn2_saveexec_b32 s4, s4
	s_cbranch_execz .LBB124_960
; %bb.959:
	v_mov_b32_e32 v4, s41
	v_mov_b32_e32 v10, s40
	;; [unrolled: 1-line block ×3, first 2 shown]
	s_clause 0x7
	buffer_load_dword v15, v4, s[0:3], 0 offen
	buffer_load_dword v16, v4, s[0:3], 0 offen offset:4
	buffer_load_dword v17, v4, s[0:3], 0 offen offset:8
	buffer_load_dword v18, v4, s[0:3], 0 offen offset:12
	buffer_load_dword v19, v10, s[0:3], 0 offen
	buffer_load_dword v20, v10, s[0:3], 0 offen offset:4
	buffer_load_dword v21, v10, s[0:3], 0 offen offset:8
	buffer_load_dword v22, v10, s[0:3], 0 offen offset:12
	v_mov_b32_e32 v10, s37
	v_mov_b32_e32 v4, s38
	s_clause 0x7
	buffer_load_dword v23, v11, s[0:3], 0 offen
	buffer_load_dword v24, v11, s[0:3], 0 offen offset:4
	buffer_load_dword v25, v11, s[0:3], 0 offen offset:8
	buffer_load_dword v26, v11, s[0:3], 0 offen offset:12
	buffer_load_dword v27, v4, s[0:3], 0 offen
	buffer_load_dword v28, v4, s[0:3], 0 offen offset:4
	buffer_load_dword v29, v4, s[0:3], 0 offen offset:8
	buffer_load_dword v30, v4, s[0:3], 0 offen offset:12
	v_mov_b32_e32 v4, s36
	v_mov_b32_e32 v11, s35
	;; [unrolled: 11-line block ×10, first 2 shown]
	s_clause 0xb
	buffer_load_dword v95, v10, s[0:3], 0 offen
	buffer_load_dword v96, v10, s[0:3], 0 offen offset:4
	buffer_load_dword v97, v10, s[0:3], 0 offen offset:8
	buffer_load_dword v98, v10, s[0:3], 0 offen offset:12
	buffer_load_dword v99, v4, s[0:3], 0 offen
	buffer_load_dword v100, v4, s[0:3], 0 offen offset:4
	buffer_load_dword v101, v4, s[0:3], 0 offen offset:8
	buffer_load_dword v102, v4, s[0:3], 0 offen offset:12
	;; [unrolled: 4-line block ×3, first 2 shown]
	v_mov_b32_e32 v11, 39
	s_waitcnt vmcnt(62)
	ds_write2_b64 v12, v[15:16], v[17:18] offset0:80 offset1:81
	ds_write2_b64 v12, v[19:20], v[21:22] offset0:82 offset1:83
	;; [unrolled: 1-line block ×7, first 2 shown]
	s_waitcnt vmcnt(60)
	ds_write2_b64 v12, v[43:44], v[45:46] offset0:94 offset1:95
	s_waitcnt vmcnt(56)
	ds_write2_b64 v12, v[47:48], v[49:50] offset0:96 offset1:97
	s_waitcnt vmcnt(52)
	ds_write2_b64 v12, v[51:52], v[53:54] offset0:98 offset1:99
	s_waitcnt vmcnt(48)
	ds_write2_b64 v12, v[55:56], v[57:58] offset0:100 offset1:101
	s_waitcnt vmcnt(44)
	ds_write2_b64 v12, v[59:60], v[61:62] offset0:102 offset1:103
	s_waitcnt vmcnt(40)
	ds_write2_b64 v12, v[63:64], v[65:66] offset0:104 offset1:105
	s_waitcnt vmcnt(36)
	ds_write2_b64 v12, v[67:68], v[69:70] offset0:106 offset1:107
	s_waitcnt vmcnt(32)
	ds_write2_b64 v12, v[71:72], v[73:74] offset0:108 offset1:109
	s_waitcnt vmcnt(28)
	ds_write2_b64 v12, v[75:76], v[77:78] offset0:110 offset1:111
	s_waitcnt vmcnt(24)
	ds_write2_b64 v12, v[79:80], v[81:82] offset0:112 offset1:113
	s_waitcnt vmcnt(20)
	ds_write2_b64 v12, v[83:84], v[85:86] offset0:114 offset1:115
	s_waitcnt vmcnt(16)
	ds_write2_b64 v12, v[87:88], v[89:90] offset0:116 offset1:117
	s_waitcnt vmcnt(12)
	ds_write2_b64 v12, v[91:92], v[93:94] offset0:118 offset1:119
	s_waitcnt vmcnt(8)
	ds_write2_b64 v12, v[95:96], v[97:98] offset0:120 offset1:121
	s_waitcnt vmcnt(4)
	ds_write2_b64 v12, v[99:100], v[101:102] offset0:122 offset1:123
	s_waitcnt vmcnt(0)
	ds_write2_b64 v12, v[103:104], v[105:106] offset0:124 offset1:125
.LBB124_960:
	s_or_b32 exec_lo, exec_lo, s4
	s_mov_b32 s4, exec_lo
	s_waitcnt lgkmcnt(0)
	s_waitcnt_vscnt null, 0x0
	s_barrier
	buffer_gl0_inv
	v_cmpx_lt_i32_e32 39, v11
	s_cbranch_execz .LBB124_965
; %bb.961:
	s_clause 0x3
	buffer_load_dword v15, off, s[0:3], 0 offset:632
	buffer_load_dword v16, off, s[0:3], 0 offset:636
	;; [unrolled: 1-line block ×4, first 2 shown]
	v_add3_u32 v4, v14, 0, 0x280
	s_mov_b32 s16, 0
	s_waitcnt vmcnt(2)
	v_mul_f64 v[19:20], v[2:3], v[15:16]
	v_mul_f64 v[15:16], v[0:1], v[15:16]
	s_waitcnt vmcnt(0)
	v_fma_f64 v[0:1], v[0:1], v[17:18], -v[19:20]
	v_fma_f64 v[2:3], v[2:3], v[17:18], v[15:16]
	buffer_store_dword v0, off, s[0:3], 0 offset:624
	buffer_store_dword v1, off, s[0:3], 0 offset:628
	;; [unrolled: 1-line block ×4, first 2 shown]
	s_branch .LBB124_963
.LBB124_962:                            ;   in Loop: Header=BB124_963 Depth=1
	s_andn2_b32 vcc_lo, exec_lo, s56
	s_cbranch_vccz .LBB124_965
.LBB124_963:                            ; =>This Inner Loop Header: Depth=1
	v_mov_b32_e32 v51, s16
	v_add_nc_u32_e32 v10, s16, v4
	s_mov_b32 s17, s16
	s_mov_b32 s56, -1
	s_cmpk_eq_i32 s16, 0x140
	s_clause 0xb
	buffer_load_dword v27, v51, s[0:3], 0 offen offset:640
	buffer_load_dword v28, v51, s[0:3], 0 offen offset:644
	;; [unrolled: 1-line block ×12, first 2 shown]
	ds_read2_b64 v[15:18], v10 offset1:1
	ds_read2_b64 v[19:22], v10 offset0:2 offset1:3
	ds_read2_b64 v[23:26], v10 offset0:4 offset1:5
	s_waitcnt lgkmcnt(2)
	v_mul_f64 v[39:40], v[17:18], v[2:3]
	v_mul_f64 v[41:42], v[15:16], v[2:3]
	s_waitcnt lgkmcnt(1)
	v_mul_f64 v[43:44], v[21:22], v[2:3]
	v_mul_f64 v[45:46], v[19:20], v[2:3]
	;; [unrolled: 3-line block ×3, first 2 shown]
	v_fma_f64 v[15:16], v[15:16], v[0:1], -v[39:40]
	v_fma_f64 v[17:18], v[17:18], v[0:1], v[41:42]
	v_fma_f64 v[19:20], v[19:20], v[0:1], -v[43:44]
	v_fma_f64 v[21:22], v[21:22], v[0:1], v[45:46]
	;; [unrolled: 2-line block ×3, first 2 shown]
	s_waitcnt vmcnt(10)
	v_add_f64 v[15:16], v[27:28], -v[15:16]
	s_waitcnt vmcnt(8)
	v_add_f64 v[17:18], v[29:30], -v[17:18]
	;; [unrolled: 2-line block ×6, first 2 shown]
	buffer_store_dword v15, v51, s[0:3], 0 offen offset:640
	buffer_store_dword v16, v51, s[0:3], 0 offen offset:644
	;; [unrolled: 1-line block ×12, first 2 shown]
	s_cbranch_scc1 .LBB124_962
; %bb.964:                              ;   in Loop: Header=BB124_963 Depth=1
	v_mov_b32_e32 v27, s17
	s_add_i32 s16, s16, 64
	s_mov_b32 s56, 0
	s_clause 0x3
	buffer_load_dword v19, v27, s[0:3], 0 offen offset:688
	buffer_load_dword v20, v27, s[0:3], 0 offen offset:692
	;; [unrolled: 1-line block ×4, first 2 shown]
	ds_read2_b64 v[15:18], v10 offset0:6 offset1:7
	s_waitcnt lgkmcnt(0)
	v_mul_f64 v[23:24], v[17:18], v[2:3]
	v_mul_f64 v[25:26], v[15:16], v[2:3]
	v_fma_f64 v[15:16], v[15:16], v[0:1], -v[23:24]
	v_fma_f64 v[17:18], v[17:18], v[0:1], v[25:26]
	s_waitcnt vmcnt(2)
	v_add_f64 v[15:16], v[19:20], -v[15:16]
	s_waitcnt vmcnt(0)
	v_add_f64 v[17:18], v[21:22], -v[17:18]
	buffer_store_dword v15, v27, s[0:3], 0 offen offset:688
	buffer_store_dword v16, v27, s[0:3], 0 offen offset:692
	buffer_store_dword v17, v27, s[0:3], 0 offen offset:696
	buffer_store_dword v18, v27, s[0:3], 0 offen offset:700
	s_branch .LBB124_962
.LBB124_965:
	s_or_b32 exec_lo, exec_lo, s4
	v_mov_b32_e32 v3, s41
	s_waitcnt_vscnt null, 0x0
	s_barrier
	buffer_gl0_inv
	v_lshl_add_u32 v4, v11, 4, v12
	s_clause 0x3
	buffer_load_dword v0, v3, s[0:3], 0 offen
	buffer_load_dword v1, v3, s[0:3], 0 offen offset:4
	buffer_load_dword v2, v3, s[0:3], 0 offen offset:8
	;; [unrolled: 1-line block ×3, first 2 shown]
	s_cmp_lt_i32 s57, 42
	s_waitcnt vmcnt(0)
	ds_write2_b64 v4, v[0:1], v[2:3] offset1:1
	s_waitcnt lgkmcnt(0)
	s_barrier
	buffer_gl0_inv
	ds_read2_b64 v[0:3], v12 offset0:80 offset1:81
	v_mov_b32_e32 v4, 40
	s_cbranch_scc1 .LBB124_968
; %bb.966:
	v_add3_u32 v10, v14, 0, 0x290
	v_mov_b32_e32 v4, 40
	s_mov_b32 s16, 41
	s_inst_prefetch 0x1
	.p2align	6
.LBB124_967:                            ; =>This Inner Loop Header: Depth=1
	s_waitcnt lgkmcnt(0)
	v_cmp_gt_f64_e32 vcc_lo, 0, v[2:3]
	v_cmp_gt_f64_e64 s4, 0, v[0:1]
	ds_read2_b64 v[15:18], v10 offset1:1
	v_xor_b32_e32 v20, 0x80000000, v1
	v_xor_b32_e32 v22, 0x80000000, v3
	v_mov_b32_e32 v19, v0
	v_mov_b32_e32 v21, v2
	v_add_nc_u32_e32 v10, 16, v10
	s_waitcnt lgkmcnt(0)
	v_xor_b32_e32 v24, 0x80000000, v18
	v_cndmask_b32_e64 v20, v1, v20, s4
	v_cndmask_b32_e32 v22, v3, v22, vcc_lo
	v_cmp_gt_f64_e32 vcc_lo, 0, v[17:18]
	v_cmp_gt_f64_e64 s4, 0, v[15:16]
	v_mov_b32_e32 v23, v17
	v_add_f64 v[19:20], v[19:20], v[21:22]
	v_xor_b32_e32 v22, 0x80000000, v16
	v_mov_b32_e32 v21, v15
	v_cndmask_b32_e32 v24, v18, v24, vcc_lo
	v_cndmask_b32_e64 v22, v16, v22, s4
	v_add_f64 v[21:22], v[21:22], v[23:24]
	v_cmp_lt_f64_e32 vcc_lo, v[19:20], v[21:22]
	v_cndmask_b32_e32 v1, v1, v16, vcc_lo
	v_cndmask_b32_e32 v0, v0, v15, vcc_lo
	;; [unrolled: 1-line block ×4, first 2 shown]
	v_cndmask_b32_e64 v4, v4, s16, vcc_lo
	s_add_i32 s16, s16, 1
	s_cmp_lg_u32 s57, s16
	s_cbranch_scc1 .LBB124_967
.LBB124_968:
	s_inst_prefetch 0x2
	s_waitcnt lgkmcnt(0)
	v_cmp_eq_f64_e32 vcc_lo, 0, v[0:1]
	v_cmp_eq_f64_e64 s4, 0, v[2:3]
	s_and_b32 s4, vcc_lo, s4
	s_and_saveexec_b32 s16, s4
	s_xor_b32 s4, exec_lo, s16
; %bb.969:
	v_cmp_ne_u32_e32 vcc_lo, 0, v13
	v_cndmask_b32_e32 v13, 41, v13, vcc_lo
; %bb.970:
	s_andn2_saveexec_b32 s4, s4
	s_cbranch_execz .LBB124_976
; %bb.971:
	v_cmp_ngt_f64_e64 s16, |v[0:1]|, |v[2:3]|
	s_and_saveexec_b32 s17, s16
	s_xor_b32 s16, exec_lo, s17
	s_cbranch_execz .LBB124_973
; %bb.972:
	v_div_scale_f64 v[15:16], null, v[2:3], v[2:3], v[0:1]
	v_div_scale_f64 v[21:22], vcc_lo, v[0:1], v[2:3], v[0:1]
	v_rcp_f64_e32 v[17:18], v[15:16]
	v_fma_f64 v[19:20], -v[15:16], v[17:18], 1.0
	v_fma_f64 v[17:18], v[17:18], v[19:20], v[17:18]
	v_fma_f64 v[19:20], -v[15:16], v[17:18], 1.0
	v_fma_f64 v[17:18], v[17:18], v[19:20], v[17:18]
	v_mul_f64 v[19:20], v[21:22], v[17:18]
	v_fma_f64 v[15:16], -v[15:16], v[19:20], v[21:22]
	v_div_fmas_f64 v[15:16], v[15:16], v[17:18], v[19:20]
	v_div_fixup_f64 v[15:16], v[15:16], v[2:3], v[0:1]
	v_fma_f64 v[0:1], v[0:1], v[15:16], v[2:3]
	v_div_scale_f64 v[2:3], null, v[0:1], v[0:1], 1.0
	v_rcp_f64_e32 v[17:18], v[2:3]
	v_fma_f64 v[19:20], -v[2:3], v[17:18], 1.0
	v_fma_f64 v[17:18], v[17:18], v[19:20], v[17:18]
	v_fma_f64 v[19:20], -v[2:3], v[17:18], 1.0
	v_fma_f64 v[17:18], v[17:18], v[19:20], v[17:18]
	v_div_scale_f64 v[19:20], vcc_lo, 1.0, v[0:1], 1.0
	v_mul_f64 v[21:22], v[19:20], v[17:18]
	v_fma_f64 v[2:3], -v[2:3], v[21:22], v[19:20]
	v_div_fmas_f64 v[2:3], v[2:3], v[17:18], v[21:22]
	v_div_fixup_f64 v[2:3], v[2:3], v[0:1], 1.0
	v_mul_f64 v[0:1], v[15:16], v[2:3]
	v_xor_b32_e32 v3, 0x80000000, v3
.LBB124_973:
	s_andn2_saveexec_b32 s16, s16
	s_cbranch_execz .LBB124_975
; %bb.974:
	v_div_scale_f64 v[15:16], null, v[0:1], v[0:1], v[2:3]
	v_div_scale_f64 v[21:22], vcc_lo, v[2:3], v[0:1], v[2:3]
	v_rcp_f64_e32 v[17:18], v[15:16]
	v_fma_f64 v[19:20], -v[15:16], v[17:18], 1.0
	v_fma_f64 v[17:18], v[17:18], v[19:20], v[17:18]
	v_fma_f64 v[19:20], -v[15:16], v[17:18], 1.0
	v_fma_f64 v[17:18], v[17:18], v[19:20], v[17:18]
	v_mul_f64 v[19:20], v[21:22], v[17:18]
	v_fma_f64 v[15:16], -v[15:16], v[19:20], v[21:22]
	v_div_fmas_f64 v[15:16], v[15:16], v[17:18], v[19:20]
	v_div_fixup_f64 v[15:16], v[15:16], v[0:1], v[2:3]
	v_fma_f64 v[0:1], v[2:3], v[15:16], v[0:1]
	v_div_scale_f64 v[2:3], null, v[0:1], v[0:1], 1.0
	v_rcp_f64_e32 v[17:18], v[2:3]
	v_fma_f64 v[19:20], -v[2:3], v[17:18], 1.0
	v_fma_f64 v[17:18], v[17:18], v[19:20], v[17:18]
	v_fma_f64 v[19:20], -v[2:3], v[17:18], 1.0
	v_fma_f64 v[17:18], v[17:18], v[19:20], v[17:18]
	v_div_scale_f64 v[19:20], vcc_lo, 1.0, v[0:1], 1.0
	v_mul_f64 v[21:22], v[19:20], v[17:18]
	v_fma_f64 v[2:3], -v[2:3], v[21:22], v[19:20]
	v_div_fmas_f64 v[2:3], v[2:3], v[17:18], v[21:22]
	v_div_fixup_f64 v[0:1], v[2:3], v[0:1], 1.0
	v_mul_f64 v[2:3], v[15:16], -v[0:1]
.LBB124_975:
	s_or_b32 exec_lo, exec_lo, s16
.LBB124_976:
	s_or_b32 exec_lo, exec_lo, s4
	s_mov_b32 s4, exec_lo
	v_cmpx_ne_u32_e64 v11, v4
	s_xor_b32 s4, exec_lo, s4
	s_cbranch_execz .LBB124_982
; %bb.977:
	s_mov_b32 s16, exec_lo
	v_cmpx_eq_u32_e32 40, v11
	s_cbranch_execz .LBB124_981
; %bb.978:
	v_cmp_ne_u32_e32 vcc_lo, 40, v4
	s_xor_b32 s17, s20, -1
	s_and_b32 s56, s17, vcc_lo
	s_and_saveexec_b32 s17, s56
	s_cbranch_execz .LBB124_980
; %bb.979:
	v_ashrrev_i32_e32 v5, 31, v4
	v_lshlrev_b64 v[10:11], 2, v[4:5]
	v_add_co_u32 v10, vcc_lo, v8, v10
	v_add_co_ci_u32_e64 v11, null, v9, v11, vcc_lo
	s_clause 0x1
	global_load_dword v5, v[10:11], off
	global_load_dword v15, v[8:9], off offset:160
	s_waitcnt vmcnt(1)
	global_store_dword v[8:9], v5, off offset:160
	s_waitcnt vmcnt(0)
	global_store_dword v[10:11], v15, off
.LBB124_980:
	s_or_b32 exec_lo, exec_lo, s17
	v_mov_b32_e32 v11, v4
	v_mov_b32_e32 v5, v4
.LBB124_981:
	s_or_b32 exec_lo, exec_lo, s16
.LBB124_982:
	s_andn2_saveexec_b32 s4, s4
	s_cbranch_execz .LBB124_984
; %bb.983:
	v_mov_b32_e32 v4, s40
	v_mov_b32_e32 v10, s39
	;; [unrolled: 1-line block ×3, first 2 shown]
	s_clause 0x7
	buffer_load_dword v15, v4, s[0:3], 0 offen
	buffer_load_dword v16, v4, s[0:3], 0 offen offset:4
	buffer_load_dword v17, v4, s[0:3], 0 offen offset:8
	buffer_load_dword v18, v4, s[0:3], 0 offen offset:12
	buffer_load_dword v19, v10, s[0:3], 0 offen
	buffer_load_dword v20, v10, s[0:3], 0 offen offset:4
	buffer_load_dword v21, v10, s[0:3], 0 offen offset:8
	buffer_load_dword v22, v10, s[0:3], 0 offen offset:12
	v_mov_b32_e32 v10, s36
	v_mov_b32_e32 v4, s37
	s_clause 0x7
	buffer_load_dword v23, v11, s[0:3], 0 offen
	buffer_load_dword v24, v11, s[0:3], 0 offen offset:4
	buffer_load_dword v25, v11, s[0:3], 0 offen offset:8
	buffer_load_dword v26, v11, s[0:3], 0 offen offset:12
	buffer_load_dword v27, v4, s[0:3], 0 offen
	buffer_load_dword v28, v4, s[0:3], 0 offen offset:4
	buffer_load_dword v29, v4, s[0:3], 0 offen offset:8
	buffer_load_dword v30, v4, s[0:3], 0 offen offset:12
	v_mov_b32_e32 v4, s35
	v_mov_b32_e32 v11, s34
	;; [unrolled: 11-line block ×9, first 2 shown]
	s_clause 0x7
	buffer_load_dword v87, v11, s[0:3], 0 offen
	buffer_load_dword v88, v11, s[0:3], 0 offen offset:4
	buffer_load_dword v89, v11, s[0:3], 0 offen offset:8
	;; [unrolled: 1-line block ×3, first 2 shown]
	buffer_load_dword v91, v4, s[0:3], 0 offen
	buffer_load_dword v92, v4, s[0:3], 0 offen offset:4
	buffer_load_dword v93, v4, s[0:3], 0 offen offset:8
	;; [unrolled: 1-line block ×3, first 2 shown]
	v_mov_b32_e32 v4, s5
	s_clause 0x7
	buffer_load_dword v95, v10, s[0:3], 0 offen
	buffer_load_dword v96, v10, s[0:3], 0 offen offset:4
	buffer_load_dword v97, v10, s[0:3], 0 offen offset:8
	;; [unrolled: 1-line block ×3, first 2 shown]
	buffer_load_dword v99, v4, s[0:3], 0 offen
	buffer_load_dword v100, v4, s[0:3], 0 offen offset:4
	buffer_load_dword v101, v4, s[0:3], 0 offen offset:8
	;; [unrolled: 1-line block ×3, first 2 shown]
	v_mov_b32_e32 v11, 40
	s_waitcnt vmcnt(62)
	ds_write2_b64 v12, v[15:16], v[17:18] offset0:82 offset1:83
	ds_write2_b64 v12, v[19:20], v[21:22] offset0:84 offset1:85
	;; [unrolled: 1-line block ×6, first 2 shown]
	s_waitcnt vmcnt(60)
	ds_write2_b64 v12, v[39:40], v[41:42] offset0:94 offset1:95
	s_waitcnt vmcnt(56)
	ds_write2_b64 v12, v[43:44], v[45:46] offset0:96 offset1:97
	;; [unrolled: 2-line block ×16, first 2 shown]
.LBB124_984:
	s_or_b32 exec_lo, exec_lo, s4
	s_mov_b32 s4, exec_lo
	s_waitcnt lgkmcnt(0)
	s_waitcnt_vscnt null, 0x0
	s_barrier
	buffer_gl0_inv
	v_cmpx_lt_i32_e32 40, v11
	s_cbranch_execz .LBB124_987
; %bb.985:
	s_clause 0x3
	buffer_load_dword v15, off, s[0:3], 0 offset:648
	buffer_load_dword v16, off, s[0:3], 0 offset:652
	;; [unrolled: 1-line block ×4, first 2 shown]
	v_add3_u32 v4, v14, 0, 0x290
	s_mov_b32 s16, 0
	s_waitcnt vmcnt(2)
	v_mul_f64 v[19:20], v[2:3], v[15:16]
	v_mul_f64 v[15:16], v[0:1], v[15:16]
	s_waitcnt vmcnt(0)
	v_fma_f64 v[0:1], v[0:1], v[17:18], -v[19:20]
	v_fma_f64 v[2:3], v[2:3], v[17:18], v[15:16]
	buffer_store_dword v0, off, s[0:3], 0 offset:640
	buffer_store_dword v1, off, s[0:3], 0 offset:644
	;; [unrolled: 1-line block ×4, first 2 shown]
.LBB124_986:                            ; =>This Inner Loop Header: Depth=1
	v_mov_b32_e32 v10, s16
	v_add_nc_u32_e32 v19, s16, v4
	s_add_i32 s16, s16, 32
	s_clause 0x7
	buffer_load_dword v23, v10, s[0:3], 0 offen offset:656
	buffer_load_dword v24, v10, s[0:3], 0 offen offset:660
	;; [unrolled: 1-line block ×8, first 2 shown]
	ds_read2_b64 v[15:18], v19 offset1:1
	ds_read2_b64 v[19:22], v19 offset0:2 offset1:3
	s_cmpk_lg_i32 s16, 0x160
	s_waitcnt lgkmcnt(1)
	v_mul_f64 v[31:32], v[17:18], v[2:3]
	v_mul_f64 v[33:34], v[15:16], v[2:3]
	s_waitcnt lgkmcnt(0)
	v_mul_f64 v[35:36], v[21:22], v[2:3]
	v_mul_f64 v[37:38], v[19:20], v[2:3]
	v_fma_f64 v[15:16], v[15:16], v[0:1], -v[31:32]
	v_fma_f64 v[17:18], v[17:18], v[0:1], v[33:34]
	v_fma_f64 v[19:20], v[19:20], v[0:1], -v[35:36]
	v_fma_f64 v[21:22], v[21:22], v[0:1], v[37:38]
	s_waitcnt vmcnt(6)
	v_add_f64 v[15:16], v[23:24], -v[15:16]
	s_waitcnt vmcnt(4)
	v_add_f64 v[17:18], v[25:26], -v[17:18]
	;; [unrolled: 2-line block ×4, first 2 shown]
	buffer_store_dword v15, v10, s[0:3], 0 offen offset:656
	buffer_store_dword v16, v10, s[0:3], 0 offen offset:660
	;; [unrolled: 1-line block ×8, first 2 shown]
	s_cbranch_scc1 .LBB124_986
.LBB124_987:
	s_or_b32 exec_lo, exec_lo, s4
	v_mov_b32_e32 v3, s40
	s_waitcnt_vscnt null, 0x0
	s_barrier
	buffer_gl0_inv
	v_lshl_add_u32 v4, v11, 4, v12
	s_clause 0x3
	buffer_load_dword v0, v3, s[0:3], 0 offen
	buffer_load_dword v1, v3, s[0:3], 0 offen offset:4
	buffer_load_dword v2, v3, s[0:3], 0 offen offset:8
	;; [unrolled: 1-line block ×3, first 2 shown]
	s_cmp_lt_i32 s57, 43
	s_waitcnt vmcnt(0)
	ds_write2_b64 v4, v[0:1], v[2:3] offset1:1
	s_waitcnt lgkmcnt(0)
	s_barrier
	buffer_gl0_inv
	ds_read2_b64 v[0:3], v12 offset0:82 offset1:83
	v_mov_b32_e32 v4, 41
	s_cbranch_scc1 .LBB124_990
; %bb.988:
	v_add3_u32 v10, v14, 0, 0x2a0
	v_mov_b32_e32 v4, 41
	s_mov_b32 s16, 42
	s_inst_prefetch 0x1
	.p2align	6
.LBB124_989:                            ; =>This Inner Loop Header: Depth=1
	s_waitcnt lgkmcnt(0)
	v_cmp_gt_f64_e32 vcc_lo, 0, v[2:3]
	v_cmp_gt_f64_e64 s4, 0, v[0:1]
	ds_read2_b64 v[15:18], v10 offset1:1
	v_xor_b32_e32 v20, 0x80000000, v1
	v_xor_b32_e32 v22, 0x80000000, v3
	v_mov_b32_e32 v19, v0
	v_mov_b32_e32 v21, v2
	v_add_nc_u32_e32 v10, 16, v10
	s_waitcnt lgkmcnt(0)
	v_xor_b32_e32 v24, 0x80000000, v18
	v_cndmask_b32_e64 v20, v1, v20, s4
	v_cndmask_b32_e32 v22, v3, v22, vcc_lo
	v_cmp_gt_f64_e32 vcc_lo, 0, v[17:18]
	v_cmp_gt_f64_e64 s4, 0, v[15:16]
	v_mov_b32_e32 v23, v17
	v_add_f64 v[19:20], v[19:20], v[21:22]
	v_xor_b32_e32 v22, 0x80000000, v16
	v_mov_b32_e32 v21, v15
	v_cndmask_b32_e32 v24, v18, v24, vcc_lo
	v_cndmask_b32_e64 v22, v16, v22, s4
	v_add_f64 v[21:22], v[21:22], v[23:24]
	v_cmp_lt_f64_e32 vcc_lo, v[19:20], v[21:22]
	v_cndmask_b32_e32 v1, v1, v16, vcc_lo
	v_cndmask_b32_e32 v0, v0, v15, vcc_lo
	;; [unrolled: 1-line block ×4, first 2 shown]
	v_cndmask_b32_e64 v4, v4, s16, vcc_lo
	s_add_i32 s16, s16, 1
	s_cmp_lg_u32 s57, s16
	s_cbranch_scc1 .LBB124_989
.LBB124_990:
	s_inst_prefetch 0x2
	s_waitcnt lgkmcnt(0)
	v_cmp_eq_f64_e32 vcc_lo, 0, v[0:1]
	v_cmp_eq_f64_e64 s4, 0, v[2:3]
	s_and_b32 s4, vcc_lo, s4
	s_and_saveexec_b32 s16, s4
	s_xor_b32 s4, exec_lo, s16
; %bb.991:
	v_cmp_ne_u32_e32 vcc_lo, 0, v13
	v_cndmask_b32_e32 v13, 42, v13, vcc_lo
; %bb.992:
	s_andn2_saveexec_b32 s4, s4
	s_cbranch_execz .LBB124_998
; %bb.993:
	v_cmp_ngt_f64_e64 s16, |v[0:1]|, |v[2:3]|
	s_and_saveexec_b32 s17, s16
	s_xor_b32 s16, exec_lo, s17
	s_cbranch_execz .LBB124_995
; %bb.994:
	v_div_scale_f64 v[15:16], null, v[2:3], v[2:3], v[0:1]
	v_div_scale_f64 v[21:22], vcc_lo, v[0:1], v[2:3], v[0:1]
	v_rcp_f64_e32 v[17:18], v[15:16]
	v_fma_f64 v[19:20], -v[15:16], v[17:18], 1.0
	v_fma_f64 v[17:18], v[17:18], v[19:20], v[17:18]
	v_fma_f64 v[19:20], -v[15:16], v[17:18], 1.0
	v_fma_f64 v[17:18], v[17:18], v[19:20], v[17:18]
	v_mul_f64 v[19:20], v[21:22], v[17:18]
	v_fma_f64 v[15:16], -v[15:16], v[19:20], v[21:22]
	v_div_fmas_f64 v[15:16], v[15:16], v[17:18], v[19:20]
	v_div_fixup_f64 v[15:16], v[15:16], v[2:3], v[0:1]
	v_fma_f64 v[0:1], v[0:1], v[15:16], v[2:3]
	v_div_scale_f64 v[2:3], null, v[0:1], v[0:1], 1.0
	v_rcp_f64_e32 v[17:18], v[2:3]
	v_fma_f64 v[19:20], -v[2:3], v[17:18], 1.0
	v_fma_f64 v[17:18], v[17:18], v[19:20], v[17:18]
	v_fma_f64 v[19:20], -v[2:3], v[17:18], 1.0
	v_fma_f64 v[17:18], v[17:18], v[19:20], v[17:18]
	v_div_scale_f64 v[19:20], vcc_lo, 1.0, v[0:1], 1.0
	v_mul_f64 v[21:22], v[19:20], v[17:18]
	v_fma_f64 v[2:3], -v[2:3], v[21:22], v[19:20]
	v_div_fmas_f64 v[2:3], v[2:3], v[17:18], v[21:22]
	v_div_fixup_f64 v[2:3], v[2:3], v[0:1], 1.0
	v_mul_f64 v[0:1], v[15:16], v[2:3]
	v_xor_b32_e32 v3, 0x80000000, v3
.LBB124_995:
	s_andn2_saveexec_b32 s16, s16
	s_cbranch_execz .LBB124_997
; %bb.996:
	v_div_scale_f64 v[15:16], null, v[0:1], v[0:1], v[2:3]
	v_div_scale_f64 v[21:22], vcc_lo, v[2:3], v[0:1], v[2:3]
	v_rcp_f64_e32 v[17:18], v[15:16]
	v_fma_f64 v[19:20], -v[15:16], v[17:18], 1.0
	v_fma_f64 v[17:18], v[17:18], v[19:20], v[17:18]
	v_fma_f64 v[19:20], -v[15:16], v[17:18], 1.0
	v_fma_f64 v[17:18], v[17:18], v[19:20], v[17:18]
	v_mul_f64 v[19:20], v[21:22], v[17:18]
	v_fma_f64 v[15:16], -v[15:16], v[19:20], v[21:22]
	v_div_fmas_f64 v[15:16], v[15:16], v[17:18], v[19:20]
	v_div_fixup_f64 v[15:16], v[15:16], v[0:1], v[2:3]
	v_fma_f64 v[0:1], v[2:3], v[15:16], v[0:1]
	v_div_scale_f64 v[2:3], null, v[0:1], v[0:1], 1.0
	v_rcp_f64_e32 v[17:18], v[2:3]
	v_fma_f64 v[19:20], -v[2:3], v[17:18], 1.0
	v_fma_f64 v[17:18], v[17:18], v[19:20], v[17:18]
	v_fma_f64 v[19:20], -v[2:3], v[17:18], 1.0
	v_fma_f64 v[17:18], v[17:18], v[19:20], v[17:18]
	v_div_scale_f64 v[19:20], vcc_lo, 1.0, v[0:1], 1.0
	v_mul_f64 v[21:22], v[19:20], v[17:18]
	v_fma_f64 v[2:3], -v[2:3], v[21:22], v[19:20]
	v_div_fmas_f64 v[2:3], v[2:3], v[17:18], v[21:22]
	v_div_fixup_f64 v[0:1], v[2:3], v[0:1], 1.0
	v_mul_f64 v[2:3], v[15:16], -v[0:1]
.LBB124_997:
	s_or_b32 exec_lo, exec_lo, s16
.LBB124_998:
	s_or_b32 exec_lo, exec_lo, s4
	s_mov_b32 s4, exec_lo
	v_cmpx_ne_u32_e64 v11, v4
	s_xor_b32 s4, exec_lo, s4
	s_cbranch_execz .LBB124_1004
; %bb.999:
	s_mov_b32 s16, exec_lo
	v_cmpx_eq_u32_e32 41, v11
	s_cbranch_execz .LBB124_1003
; %bb.1000:
	v_cmp_ne_u32_e32 vcc_lo, 41, v4
	s_xor_b32 s17, s20, -1
	s_and_b32 s56, s17, vcc_lo
	s_and_saveexec_b32 s17, s56
	s_cbranch_execz .LBB124_1002
; %bb.1001:
	v_ashrrev_i32_e32 v5, 31, v4
	v_lshlrev_b64 v[10:11], 2, v[4:5]
	v_add_co_u32 v10, vcc_lo, v8, v10
	v_add_co_ci_u32_e64 v11, null, v9, v11, vcc_lo
	s_clause 0x1
	global_load_dword v5, v[10:11], off
	global_load_dword v15, v[8:9], off offset:164
	s_waitcnt vmcnt(1)
	global_store_dword v[8:9], v5, off offset:164
	s_waitcnt vmcnt(0)
	global_store_dword v[10:11], v15, off
.LBB124_1002:
	s_or_b32 exec_lo, exec_lo, s17
	v_mov_b32_e32 v11, v4
	v_mov_b32_e32 v5, v4
.LBB124_1003:
	s_or_b32 exec_lo, exec_lo, s16
.LBB124_1004:
	s_andn2_saveexec_b32 s4, s4
	s_cbranch_execz .LBB124_1006
; %bb.1005:
	v_mov_b32_e32 v4, s39
	v_mov_b32_e32 v11, s37
	;; [unrolled: 1-line block ×3, first 2 shown]
	s_clause 0x7
	buffer_load_dword v15, v4, s[0:3], 0 offen
	buffer_load_dword v16, v4, s[0:3], 0 offen offset:4
	buffer_load_dword v17, v4, s[0:3], 0 offen offset:8
	buffer_load_dword v18, v4, s[0:3], 0 offen offset:12
	buffer_load_dword v19, v10, s[0:3], 0 offen
	buffer_load_dword v20, v10, s[0:3], 0 offen offset:4
	buffer_load_dword v21, v10, s[0:3], 0 offen offset:8
	buffer_load_dword v22, v10, s[0:3], 0 offen offset:12
	v_mov_b32_e32 v4, s36
	v_mov_b32_e32 v10, s35
	s_clause 0x7
	buffer_load_dword v23, v11, s[0:3], 0 offen
	buffer_load_dword v24, v11, s[0:3], 0 offen offset:4
	buffer_load_dword v25, v11, s[0:3], 0 offen offset:8
	buffer_load_dword v26, v11, s[0:3], 0 offen offset:12
	buffer_load_dword v27, v4, s[0:3], 0 offen
	buffer_load_dword v28, v4, s[0:3], 0 offen offset:4
	buffer_load_dword v29, v4, s[0:3], 0 offen offset:8
	buffer_load_dword v30, v4, s[0:3], 0 offen offset:12
	v_mov_b32_e32 v11, s33
	v_mov_b32_e32 v4, s34
	;; [unrolled: 11-line block ×9, first 2 shown]
	s_clause 0xb
	buffer_load_dword v87, v11, s[0:3], 0 offen
	buffer_load_dword v88, v11, s[0:3], 0 offen offset:4
	buffer_load_dword v89, v11, s[0:3], 0 offen offset:8
	buffer_load_dword v90, v11, s[0:3], 0 offen offset:12
	buffer_load_dword v91, v4, s[0:3], 0 offen
	buffer_load_dword v92, v4, s[0:3], 0 offen offset:4
	buffer_load_dword v93, v4, s[0:3], 0 offen offset:8
	buffer_load_dword v94, v4, s[0:3], 0 offen offset:12
	;; [unrolled: 4-line block ×3, first 2 shown]
	v_mov_b32_e32 v11, 41
	s_waitcnt vmcnt(62)
	ds_write2_b64 v12, v[15:16], v[17:18] offset0:84 offset1:85
	ds_write2_b64 v12, v[19:20], v[21:22] offset0:86 offset1:87
	;; [unrolled: 1-line block ×5, first 2 shown]
	s_waitcnt vmcnt(60)
	ds_write2_b64 v12, v[35:36], v[37:38] offset0:94 offset1:95
	s_waitcnt vmcnt(56)
	ds_write2_b64 v12, v[39:40], v[41:42] offset0:96 offset1:97
	;; [unrolled: 2-line block ×16, first 2 shown]
.LBB124_1006:
	s_or_b32 exec_lo, exec_lo, s4
	s_mov_b32 s4, exec_lo
	s_waitcnt lgkmcnt(0)
	s_waitcnt_vscnt null, 0x0
	s_barrier
	buffer_gl0_inv
	v_cmpx_lt_i32_e32 41, v11
	s_cbranch_execz .LBB124_1009
; %bb.1007:
	s_clause 0x3
	buffer_load_dword v15, off, s[0:3], 0 offset:664
	buffer_load_dword v16, off, s[0:3], 0 offset:668
	;; [unrolled: 1-line block ×4, first 2 shown]
	v_add3_u32 v4, v14, 0, 0x2a0
	s_mov_b32 s82, 0
	s_waitcnt vmcnt(2)
	v_mul_f64 v[19:20], v[2:3], v[15:16]
	v_mul_f64 v[15:16], v[0:1], v[15:16]
	s_waitcnt vmcnt(0)
	v_fma_f64 v[0:1], v[0:1], v[17:18], -v[19:20]
	v_fma_f64 v[2:3], v[2:3], v[17:18], v[15:16]
	buffer_store_dword v0, off, s[0:3], 0 offset:656
	buffer_store_dword v1, off, s[0:3], 0 offset:660
	;; [unrolled: 1-line block ×4, first 2 shown]
.LBB124_1008:                           ; =>This Inner Loop Header: Depth=1
	v_add_nc_u32_e32 v10, s82, v4
	v_mov_b32_e32 v75, s82
	s_addk_i32 s82, 0x70
	ds_read2_b64 v[15:18], v10 offset1:1
	ds_read2_b64 v[19:22], v10 offset0:2 offset1:3
	ds_read2_b64 v[23:26], v10 offset0:4 offset1:5
	ds_read2_b64 v[27:30], v10 offset0:6 offset1:7
	ds_read2_b64 v[31:34], v10 offset0:8 offset1:9
	ds_read2_b64 v[35:38], v10 offset0:10 offset1:11
	s_cmpk_lg_i32 s82, 0x150
	s_waitcnt lgkmcnt(5)
	v_mul_f64 v[39:40], v[17:18], v[2:3]
	v_mul_f64 v[41:42], v[15:16], v[2:3]
	s_waitcnt lgkmcnt(4)
	v_mul_f64 v[43:44], v[21:22], v[2:3]
	v_mul_f64 v[45:46], v[19:20], v[2:3]
	;; [unrolled: 3-line block ×6, first 2 shown]
	s_clause 0x5
	buffer_load_dword v63, v75, s[0:3], 0 offen offset:672
	buffer_load_dword v64, v75, s[0:3], 0 offen offset:676
	;; [unrolled: 1-line block ×4, first 2 shown]
	buffer_load_dword v2, off, s[0:3], 0 offset:664
	buffer_load_dword v3, off, s[0:3], 0 offset:668
	v_fma_f64 v[39:40], v[15:16], v[0:1], -v[39:40]
	v_fma_f64 v[41:42], v[17:18], v[0:1], v[41:42]
	v_fma_f64 v[19:20], v[19:20], v[0:1], -v[43:44]
	v_fma_f64 v[21:22], v[21:22], v[0:1], v[45:46]
	;; [unrolled: 2-line block ×6, first 2 shown]
	s_clause 0x19
	buffer_load_dword v0, off, s[0:3], 0 offset:656
	buffer_load_dword v1, off, s[0:3], 0 offset:660
	buffer_load_dword v43, v75, s[0:3], 0 offen offset:688
	buffer_load_dword v44, v75, s[0:3], 0 offen offset:692
	;; [unrolled: 1-line block ×24, first 2 shown]
	ds_read2_b64 v[15:18], v10 offset0:12 offset1:13
	s_waitcnt vmcnt(30)
	v_add_f64 v[39:40], v[63:64], -v[39:40]
	s_waitcnt vmcnt(28)
	v_add_f64 v[41:42], v[65:66], -v[41:42]
	s_waitcnt vmcnt(26) lgkmcnt(0)
	v_mul_f64 v[71:72], v[17:18], v[2:3]
	v_mul_f64 v[73:74], v[15:16], v[2:3]
	s_waitcnt vmcnt(20)
	v_add_f64 v[21:22], v[45:46], -v[21:22]
	v_add_f64 v[19:20], v[43:44], -v[19:20]
	s_waitcnt vmcnt(18)
	v_add_f64 v[23:24], v[47:48], -v[23:24]
	buffer_store_dword v39, v75, s[0:3], 0 offen offset:672
	buffer_store_dword v40, v75, s[0:3], 0 offen offset:676
	;; [unrolled: 1-line block ×6, first 2 shown]
	v_fma_f64 v[15:16], v[15:16], v[0:1], -v[71:72]
	v_fma_f64 v[17:18], v[17:18], v[0:1], v[73:74]
	s_waitcnt vmcnt(16)
	v_add_f64 v[25:26], v[49:50], -v[25:26]
	s_waitcnt vmcnt(14)
	v_add_f64 v[27:28], v[51:52], -v[27:28]
	;; [unrolled: 2-line block ×9, first 2 shown]
	buffer_store_dword v21, v75, s[0:3], 0 offen offset:696
	buffer_store_dword v22, v75, s[0:3], 0 offen offset:700
	;; [unrolled: 1-line block ×22, first 2 shown]
	s_cbranch_scc1 .LBB124_1008
.LBB124_1009:
	s_or_b32 exec_lo, exec_lo, s4
	v_mov_b32_e32 v3, s39
	s_waitcnt_vscnt null, 0x0
	s_barrier
	buffer_gl0_inv
	v_lshl_add_u32 v4, v11, 4, v12
	s_clause 0x3
	buffer_load_dword v0, v3, s[0:3], 0 offen
	buffer_load_dword v1, v3, s[0:3], 0 offen offset:4
	buffer_load_dword v2, v3, s[0:3], 0 offen offset:8
	;; [unrolled: 1-line block ×3, first 2 shown]
	s_cmp_lt_i32 s57, 44
	s_waitcnt vmcnt(0)
	ds_write2_b64 v4, v[0:1], v[2:3] offset1:1
	s_waitcnt lgkmcnt(0)
	s_barrier
	buffer_gl0_inv
	ds_read2_b64 v[0:3], v12 offset0:84 offset1:85
	v_mov_b32_e32 v4, 42
	s_cbranch_scc1 .LBB124_1012
; %bb.1010:
	v_add3_u32 v10, v14, 0, 0x2b0
	v_mov_b32_e32 v4, 42
	s_mov_b32 s16, 43
	s_inst_prefetch 0x1
	.p2align	6
.LBB124_1011:                           ; =>This Inner Loop Header: Depth=1
	s_waitcnt lgkmcnt(0)
	v_cmp_gt_f64_e32 vcc_lo, 0, v[2:3]
	v_cmp_gt_f64_e64 s4, 0, v[0:1]
	ds_read2_b64 v[15:18], v10 offset1:1
	v_xor_b32_e32 v20, 0x80000000, v1
	v_xor_b32_e32 v22, 0x80000000, v3
	v_mov_b32_e32 v19, v0
	v_mov_b32_e32 v21, v2
	v_add_nc_u32_e32 v10, 16, v10
	s_waitcnt lgkmcnt(0)
	v_xor_b32_e32 v24, 0x80000000, v18
	v_cndmask_b32_e64 v20, v1, v20, s4
	v_cndmask_b32_e32 v22, v3, v22, vcc_lo
	v_cmp_gt_f64_e32 vcc_lo, 0, v[17:18]
	v_cmp_gt_f64_e64 s4, 0, v[15:16]
	v_mov_b32_e32 v23, v17
	v_add_f64 v[19:20], v[19:20], v[21:22]
	v_xor_b32_e32 v22, 0x80000000, v16
	v_mov_b32_e32 v21, v15
	v_cndmask_b32_e32 v24, v18, v24, vcc_lo
	v_cndmask_b32_e64 v22, v16, v22, s4
	v_add_f64 v[21:22], v[21:22], v[23:24]
	v_cmp_lt_f64_e32 vcc_lo, v[19:20], v[21:22]
	v_cndmask_b32_e32 v1, v1, v16, vcc_lo
	v_cndmask_b32_e32 v0, v0, v15, vcc_lo
	;; [unrolled: 1-line block ×4, first 2 shown]
	v_cndmask_b32_e64 v4, v4, s16, vcc_lo
	s_add_i32 s16, s16, 1
	s_cmp_lg_u32 s57, s16
	s_cbranch_scc1 .LBB124_1011
.LBB124_1012:
	s_inst_prefetch 0x2
	s_waitcnt lgkmcnt(0)
	v_cmp_eq_f64_e32 vcc_lo, 0, v[0:1]
	v_cmp_eq_f64_e64 s4, 0, v[2:3]
	s_and_b32 s4, vcc_lo, s4
	s_and_saveexec_b32 s16, s4
	s_xor_b32 s4, exec_lo, s16
; %bb.1013:
	v_cmp_ne_u32_e32 vcc_lo, 0, v13
	v_cndmask_b32_e32 v13, 43, v13, vcc_lo
; %bb.1014:
	s_andn2_saveexec_b32 s4, s4
	s_cbranch_execz .LBB124_1020
; %bb.1015:
	v_cmp_ngt_f64_e64 s16, |v[0:1]|, |v[2:3]|
	s_and_saveexec_b32 s17, s16
	s_xor_b32 s16, exec_lo, s17
	s_cbranch_execz .LBB124_1017
; %bb.1016:
	v_div_scale_f64 v[15:16], null, v[2:3], v[2:3], v[0:1]
	v_div_scale_f64 v[21:22], vcc_lo, v[0:1], v[2:3], v[0:1]
	v_rcp_f64_e32 v[17:18], v[15:16]
	v_fma_f64 v[19:20], -v[15:16], v[17:18], 1.0
	v_fma_f64 v[17:18], v[17:18], v[19:20], v[17:18]
	v_fma_f64 v[19:20], -v[15:16], v[17:18], 1.0
	v_fma_f64 v[17:18], v[17:18], v[19:20], v[17:18]
	v_mul_f64 v[19:20], v[21:22], v[17:18]
	v_fma_f64 v[15:16], -v[15:16], v[19:20], v[21:22]
	v_div_fmas_f64 v[15:16], v[15:16], v[17:18], v[19:20]
	v_div_fixup_f64 v[15:16], v[15:16], v[2:3], v[0:1]
	v_fma_f64 v[0:1], v[0:1], v[15:16], v[2:3]
	v_div_scale_f64 v[2:3], null, v[0:1], v[0:1], 1.0
	v_rcp_f64_e32 v[17:18], v[2:3]
	v_fma_f64 v[19:20], -v[2:3], v[17:18], 1.0
	v_fma_f64 v[17:18], v[17:18], v[19:20], v[17:18]
	v_fma_f64 v[19:20], -v[2:3], v[17:18], 1.0
	v_fma_f64 v[17:18], v[17:18], v[19:20], v[17:18]
	v_div_scale_f64 v[19:20], vcc_lo, 1.0, v[0:1], 1.0
	v_mul_f64 v[21:22], v[19:20], v[17:18]
	v_fma_f64 v[2:3], -v[2:3], v[21:22], v[19:20]
	v_div_fmas_f64 v[2:3], v[2:3], v[17:18], v[21:22]
	v_div_fixup_f64 v[2:3], v[2:3], v[0:1], 1.0
	v_mul_f64 v[0:1], v[15:16], v[2:3]
	v_xor_b32_e32 v3, 0x80000000, v3
.LBB124_1017:
	s_andn2_saveexec_b32 s16, s16
	s_cbranch_execz .LBB124_1019
; %bb.1018:
	v_div_scale_f64 v[15:16], null, v[0:1], v[0:1], v[2:3]
	v_div_scale_f64 v[21:22], vcc_lo, v[2:3], v[0:1], v[2:3]
	v_rcp_f64_e32 v[17:18], v[15:16]
	v_fma_f64 v[19:20], -v[15:16], v[17:18], 1.0
	v_fma_f64 v[17:18], v[17:18], v[19:20], v[17:18]
	v_fma_f64 v[19:20], -v[15:16], v[17:18], 1.0
	v_fma_f64 v[17:18], v[17:18], v[19:20], v[17:18]
	v_mul_f64 v[19:20], v[21:22], v[17:18]
	v_fma_f64 v[15:16], -v[15:16], v[19:20], v[21:22]
	v_div_fmas_f64 v[15:16], v[15:16], v[17:18], v[19:20]
	v_div_fixup_f64 v[15:16], v[15:16], v[0:1], v[2:3]
	v_fma_f64 v[0:1], v[2:3], v[15:16], v[0:1]
	v_div_scale_f64 v[2:3], null, v[0:1], v[0:1], 1.0
	v_rcp_f64_e32 v[17:18], v[2:3]
	v_fma_f64 v[19:20], -v[2:3], v[17:18], 1.0
	v_fma_f64 v[17:18], v[17:18], v[19:20], v[17:18]
	v_fma_f64 v[19:20], -v[2:3], v[17:18], 1.0
	v_fma_f64 v[17:18], v[17:18], v[19:20], v[17:18]
	v_div_scale_f64 v[19:20], vcc_lo, 1.0, v[0:1], 1.0
	v_mul_f64 v[21:22], v[19:20], v[17:18]
	v_fma_f64 v[2:3], -v[2:3], v[21:22], v[19:20]
	v_div_fmas_f64 v[2:3], v[2:3], v[17:18], v[21:22]
	v_div_fixup_f64 v[0:1], v[2:3], v[0:1], 1.0
	v_mul_f64 v[2:3], v[15:16], -v[0:1]
.LBB124_1019:
	s_or_b32 exec_lo, exec_lo, s16
.LBB124_1020:
	s_or_b32 exec_lo, exec_lo, s4
	s_mov_b32 s4, exec_lo
	v_cmpx_ne_u32_e64 v11, v4
	s_xor_b32 s4, exec_lo, s4
	s_cbranch_execz .LBB124_1026
; %bb.1021:
	s_mov_b32 s16, exec_lo
	v_cmpx_eq_u32_e32 42, v11
	s_cbranch_execz .LBB124_1025
; %bb.1022:
	v_cmp_ne_u32_e32 vcc_lo, 42, v4
	s_xor_b32 s17, s20, -1
	s_and_b32 s56, s17, vcc_lo
	s_and_saveexec_b32 s17, s56
	s_cbranch_execz .LBB124_1024
; %bb.1023:
	v_ashrrev_i32_e32 v5, 31, v4
	v_lshlrev_b64 v[10:11], 2, v[4:5]
	v_add_co_u32 v10, vcc_lo, v8, v10
	v_add_co_ci_u32_e64 v11, null, v9, v11, vcc_lo
	s_clause 0x1
	global_load_dword v5, v[10:11], off
	global_load_dword v15, v[8:9], off offset:168
	s_waitcnt vmcnt(1)
	global_store_dword v[8:9], v5, off offset:168
	s_waitcnt vmcnt(0)
	global_store_dword v[10:11], v15, off
.LBB124_1024:
	s_or_b32 exec_lo, exec_lo, s17
	v_mov_b32_e32 v11, v4
	v_mov_b32_e32 v5, v4
.LBB124_1025:
	s_or_b32 exec_lo, exec_lo, s16
.LBB124_1026:
	s_andn2_saveexec_b32 s4, s4
	s_cbranch_execz .LBB124_1028
; %bb.1027:
	v_mov_b32_e32 v4, s38
	v_mov_b32_e32 v11, s36
	v_mov_b32_e32 v10, s37
	s_clause 0x7
	buffer_load_dword v15, v4, s[0:3], 0 offen
	buffer_load_dword v16, v4, s[0:3], 0 offen offset:4
	buffer_load_dword v17, v4, s[0:3], 0 offen offset:8
	buffer_load_dword v18, v4, s[0:3], 0 offen offset:12
	buffer_load_dword v19, v10, s[0:3], 0 offen
	buffer_load_dword v20, v10, s[0:3], 0 offen offset:4
	buffer_load_dword v21, v10, s[0:3], 0 offen offset:8
	buffer_load_dword v22, v10, s[0:3], 0 offen offset:12
	v_mov_b32_e32 v4, s35
	v_mov_b32_e32 v10, s34
	s_clause 0x7
	buffer_load_dword v23, v11, s[0:3], 0 offen
	buffer_load_dword v24, v11, s[0:3], 0 offen offset:4
	buffer_load_dword v25, v11, s[0:3], 0 offen offset:8
	buffer_load_dword v26, v11, s[0:3], 0 offen offset:12
	buffer_load_dword v27, v4, s[0:3], 0 offen
	buffer_load_dword v28, v4, s[0:3], 0 offen offset:4
	buffer_load_dword v29, v4, s[0:3], 0 offen offset:8
	buffer_load_dword v30, v4, s[0:3], 0 offen offset:12
	v_mov_b32_e32 v11, s31
	v_mov_b32_e32 v4, s33
	;; [unrolled: 11-line block ×8, first 2 shown]
	s_clause 0x7
	buffer_load_dword v79, v10, s[0:3], 0 offen
	buffer_load_dword v80, v10, s[0:3], 0 offen offset:4
	buffer_load_dword v81, v10, s[0:3], 0 offen offset:8
	;; [unrolled: 1-line block ×3, first 2 shown]
	buffer_load_dword v83, v4, s[0:3], 0 offen
	buffer_load_dword v84, v4, s[0:3], 0 offen offset:4
	buffer_load_dword v85, v4, s[0:3], 0 offen offset:8
	;; [unrolled: 1-line block ×3, first 2 shown]
	v_mov_b32_e32 v4, s5
	s_clause 0x7
	buffer_load_dword v87, v11, s[0:3], 0 offen
	buffer_load_dword v88, v11, s[0:3], 0 offen offset:4
	buffer_load_dword v89, v11, s[0:3], 0 offen offset:8
	buffer_load_dword v90, v11, s[0:3], 0 offen offset:12
	buffer_load_dword v91, v4, s[0:3], 0 offen
	buffer_load_dword v92, v4, s[0:3], 0 offen offset:4
	buffer_load_dword v93, v4, s[0:3], 0 offen offset:8
	buffer_load_dword v94, v4, s[0:3], 0 offen offset:12
	v_mov_b32_e32 v11, 42
	s_waitcnt vmcnt(62)
	ds_write2_b64 v12, v[15:16], v[17:18] offset0:86 offset1:87
	ds_write2_b64 v12, v[19:20], v[21:22] offset0:88 offset1:89
	;; [unrolled: 1-line block ×4, first 2 shown]
	s_waitcnt vmcnt(60)
	ds_write2_b64 v12, v[31:32], v[33:34] offset0:94 offset1:95
	s_waitcnt vmcnt(56)
	ds_write2_b64 v12, v[35:36], v[37:38] offset0:96 offset1:97
	;; [unrolled: 2-line block ×16, first 2 shown]
.LBB124_1028:
	s_or_b32 exec_lo, exec_lo, s4
	s_mov_b32 s4, exec_lo
	s_waitcnt lgkmcnt(0)
	s_waitcnt_vscnt null, 0x0
	s_barrier
	buffer_gl0_inv
	v_cmpx_lt_i32_e32 42, v11
	s_cbranch_execz .LBB124_1031
; %bb.1029:
	s_clause 0x3
	buffer_load_dword v15, off, s[0:3], 0 offset:680
	buffer_load_dword v16, off, s[0:3], 0 offset:684
	;; [unrolled: 1-line block ×4, first 2 shown]
	v_add3_u32 v4, v14, 0, 0x2b0
	s_mov_b32 s82, 0
	s_waitcnt vmcnt(2)
	v_mul_f64 v[19:20], v[2:3], v[15:16]
	v_mul_f64 v[15:16], v[0:1], v[15:16]
	s_waitcnt vmcnt(0)
	v_fma_f64 v[0:1], v[0:1], v[17:18], -v[19:20]
	v_fma_f64 v[2:3], v[2:3], v[17:18], v[15:16]
	buffer_store_dword v0, off, s[0:3], 0 offset:672
	buffer_store_dword v1, off, s[0:3], 0 offset:676
	;; [unrolled: 1-line block ×4, first 2 shown]
.LBB124_1030:                           ; =>This Inner Loop Header: Depth=1
	v_mov_b32_e32 v10, s82
	v_add_nc_u32_e32 v31, s82, v4
	s_addk_i32 s82, 0x50
	s_clause 0x13
	buffer_load_dword v35, v10, s[0:3], 0 offen offset:688
	buffer_load_dword v36, v10, s[0:3], 0 offen offset:692
	buffer_load_dword v37, v10, s[0:3], 0 offen offset:696
	buffer_load_dword v38, v10, s[0:3], 0 offen offset:700
	buffer_load_dword v39, v10, s[0:3], 0 offen offset:704
	buffer_load_dword v40, v10, s[0:3], 0 offen offset:708
	buffer_load_dword v41, v10, s[0:3], 0 offen offset:712
	buffer_load_dword v42, v10, s[0:3], 0 offen offset:716
	buffer_load_dword v43, v10, s[0:3], 0 offen offset:720
	buffer_load_dword v44, v10, s[0:3], 0 offen offset:724
	buffer_load_dword v45, v10, s[0:3], 0 offen offset:728
	buffer_load_dword v46, v10, s[0:3], 0 offen offset:732
	buffer_load_dword v47, v10, s[0:3], 0 offen offset:736
	buffer_load_dword v48, v10, s[0:3], 0 offen offset:740
	buffer_load_dword v49, v10, s[0:3], 0 offen offset:744
	buffer_load_dword v50, v10, s[0:3], 0 offen offset:748
	buffer_load_dword v51, v10, s[0:3], 0 offen offset:752
	buffer_load_dword v52, v10, s[0:3], 0 offen offset:756
	buffer_load_dword v53, v10, s[0:3], 0 offen offset:760
	buffer_load_dword v54, v10, s[0:3], 0 offen offset:764
	ds_read2_b64 v[15:18], v31 offset1:1
	ds_read2_b64 v[19:22], v31 offset0:2 offset1:3
	ds_read2_b64 v[23:26], v31 offset0:4 offset1:5
	;; [unrolled: 1-line block ×4, first 2 shown]
	s_cmpk_lg_i32 s82, 0x140
	s_waitcnt lgkmcnt(4)
	v_mul_f64 v[55:56], v[17:18], v[2:3]
	v_mul_f64 v[57:58], v[15:16], v[2:3]
	s_waitcnt lgkmcnt(3)
	v_mul_f64 v[59:60], v[21:22], v[2:3]
	v_mul_f64 v[61:62], v[19:20], v[2:3]
	;; [unrolled: 3-line block ×5, first 2 shown]
	v_fma_f64 v[15:16], v[15:16], v[0:1], -v[55:56]
	v_fma_f64 v[17:18], v[17:18], v[0:1], v[57:58]
	v_fma_f64 v[19:20], v[19:20], v[0:1], -v[59:60]
	v_fma_f64 v[21:22], v[21:22], v[0:1], v[61:62]
	v_fma_f64 v[23:24], v[23:24], v[0:1], -v[63:64]
	v_fma_f64 v[25:26], v[25:26], v[0:1], v[65:66]
	v_fma_f64 v[27:28], v[27:28], v[0:1], -v[67:68]
	v_fma_f64 v[29:30], v[29:30], v[0:1], v[69:70]
	v_fma_f64 v[31:32], v[31:32], v[0:1], -v[71:72]
	v_fma_f64 v[33:34], v[33:34], v[0:1], v[73:74]
	s_waitcnt vmcnt(18)
	v_add_f64 v[15:16], v[35:36], -v[15:16]
	s_waitcnt vmcnt(16)
	v_add_f64 v[17:18], v[37:38], -v[17:18]
	;; [unrolled: 2-line block ×10, first 2 shown]
	buffer_store_dword v15, v10, s[0:3], 0 offen offset:688
	buffer_store_dword v16, v10, s[0:3], 0 offen offset:692
	;; [unrolled: 1-line block ×20, first 2 shown]
	s_cbranch_scc1 .LBB124_1030
.LBB124_1031:
	s_or_b32 exec_lo, exec_lo, s4
	v_mov_b32_e32 v3, s38
	s_waitcnt_vscnt null, 0x0
	s_barrier
	buffer_gl0_inv
	v_lshl_add_u32 v4, v11, 4, v12
	s_clause 0x3
	buffer_load_dword v0, v3, s[0:3], 0 offen
	buffer_load_dword v1, v3, s[0:3], 0 offen offset:4
	buffer_load_dword v2, v3, s[0:3], 0 offen offset:8
	;; [unrolled: 1-line block ×3, first 2 shown]
	s_cmp_lt_i32 s57, 45
	s_waitcnt vmcnt(0)
	ds_write2_b64 v4, v[0:1], v[2:3] offset1:1
	s_waitcnt lgkmcnt(0)
	s_barrier
	buffer_gl0_inv
	ds_read2_b64 v[0:3], v12 offset0:86 offset1:87
	v_mov_b32_e32 v4, 43
	s_cbranch_scc1 .LBB124_1034
; %bb.1032:
	v_add3_u32 v10, v14, 0, 0x2c0
	v_mov_b32_e32 v4, 43
	s_mov_b32 s16, 44
	s_inst_prefetch 0x1
	.p2align	6
.LBB124_1033:                           ; =>This Inner Loop Header: Depth=1
	s_waitcnt lgkmcnt(0)
	v_cmp_gt_f64_e32 vcc_lo, 0, v[2:3]
	v_cmp_gt_f64_e64 s4, 0, v[0:1]
	ds_read2_b64 v[15:18], v10 offset1:1
	v_xor_b32_e32 v20, 0x80000000, v1
	v_xor_b32_e32 v22, 0x80000000, v3
	v_mov_b32_e32 v19, v0
	v_mov_b32_e32 v21, v2
	v_add_nc_u32_e32 v10, 16, v10
	s_waitcnt lgkmcnt(0)
	v_xor_b32_e32 v24, 0x80000000, v18
	v_cndmask_b32_e64 v20, v1, v20, s4
	v_cndmask_b32_e32 v22, v3, v22, vcc_lo
	v_cmp_gt_f64_e32 vcc_lo, 0, v[17:18]
	v_cmp_gt_f64_e64 s4, 0, v[15:16]
	v_mov_b32_e32 v23, v17
	v_add_f64 v[19:20], v[19:20], v[21:22]
	v_xor_b32_e32 v22, 0x80000000, v16
	v_mov_b32_e32 v21, v15
	v_cndmask_b32_e32 v24, v18, v24, vcc_lo
	v_cndmask_b32_e64 v22, v16, v22, s4
	v_add_f64 v[21:22], v[21:22], v[23:24]
	v_cmp_lt_f64_e32 vcc_lo, v[19:20], v[21:22]
	v_cndmask_b32_e32 v1, v1, v16, vcc_lo
	v_cndmask_b32_e32 v0, v0, v15, vcc_lo
	;; [unrolled: 1-line block ×4, first 2 shown]
	v_cndmask_b32_e64 v4, v4, s16, vcc_lo
	s_add_i32 s16, s16, 1
	s_cmp_lg_u32 s57, s16
	s_cbranch_scc1 .LBB124_1033
.LBB124_1034:
	s_inst_prefetch 0x2
	s_waitcnt lgkmcnt(0)
	v_cmp_eq_f64_e32 vcc_lo, 0, v[0:1]
	v_cmp_eq_f64_e64 s4, 0, v[2:3]
	s_and_b32 s4, vcc_lo, s4
	s_and_saveexec_b32 s16, s4
	s_xor_b32 s4, exec_lo, s16
; %bb.1035:
	v_cmp_ne_u32_e32 vcc_lo, 0, v13
	v_cndmask_b32_e32 v13, 44, v13, vcc_lo
; %bb.1036:
	s_andn2_saveexec_b32 s4, s4
	s_cbranch_execz .LBB124_1042
; %bb.1037:
	v_cmp_ngt_f64_e64 s16, |v[0:1]|, |v[2:3]|
	s_and_saveexec_b32 s17, s16
	s_xor_b32 s16, exec_lo, s17
	s_cbranch_execz .LBB124_1039
; %bb.1038:
	v_div_scale_f64 v[15:16], null, v[2:3], v[2:3], v[0:1]
	v_div_scale_f64 v[21:22], vcc_lo, v[0:1], v[2:3], v[0:1]
	v_rcp_f64_e32 v[17:18], v[15:16]
	v_fma_f64 v[19:20], -v[15:16], v[17:18], 1.0
	v_fma_f64 v[17:18], v[17:18], v[19:20], v[17:18]
	v_fma_f64 v[19:20], -v[15:16], v[17:18], 1.0
	v_fma_f64 v[17:18], v[17:18], v[19:20], v[17:18]
	v_mul_f64 v[19:20], v[21:22], v[17:18]
	v_fma_f64 v[15:16], -v[15:16], v[19:20], v[21:22]
	v_div_fmas_f64 v[15:16], v[15:16], v[17:18], v[19:20]
	v_div_fixup_f64 v[15:16], v[15:16], v[2:3], v[0:1]
	v_fma_f64 v[0:1], v[0:1], v[15:16], v[2:3]
	v_div_scale_f64 v[2:3], null, v[0:1], v[0:1], 1.0
	v_rcp_f64_e32 v[17:18], v[2:3]
	v_fma_f64 v[19:20], -v[2:3], v[17:18], 1.0
	v_fma_f64 v[17:18], v[17:18], v[19:20], v[17:18]
	v_fma_f64 v[19:20], -v[2:3], v[17:18], 1.0
	v_fma_f64 v[17:18], v[17:18], v[19:20], v[17:18]
	v_div_scale_f64 v[19:20], vcc_lo, 1.0, v[0:1], 1.0
	v_mul_f64 v[21:22], v[19:20], v[17:18]
	v_fma_f64 v[2:3], -v[2:3], v[21:22], v[19:20]
	v_div_fmas_f64 v[2:3], v[2:3], v[17:18], v[21:22]
	v_div_fixup_f64 v[2:3], v[2:3], v[0:1], 1.0
	v_mul_f64 v[0:1], v[15:16], v[2:3]
	v_xor_b32_e32 v3, 0x80000000, v3
.LBB124_1039:
	s_andn2_saveexec_b32 s16, s16
	s_cbranch_execz .LBB124_1041
; %bb.1040:
	v_div_scale_f64 v[15:16], null, v[0:1], v[0:1], v[2:3]
	v_div_scale_f64 v[21:22], vcc_lo, v[2:3], v[0:1], v[2:3]
	v_rcp_f64_e32 v[17:18], v[15:16]
	v_fma_f64 v[19:20], -v[15:16], v[17:18], 1.0
	v_fma_f64 v[17:18], v[17:18], v[19:20], v[17:18]
	v_fma_f64 v[19:20], -v[15:16], v[17:18], 1.0
	v_fma_f64 v[17:18], v[17:18], v[19:20], v[17:18]
	v_mul_f64 v[19:20], v[21:22], v[17:18]
	v_fma_f64 v[15:16], -v[15:16], v[19:20], v[21:22]
	v_div_fmas_f64 v[15:16], v[15:16], v[17:18], v[19:20]
	v_div_fixup_f64 v[15:16], v[15:16], v[0:1], v[2:3]
	v_fma_f64 v[0:1], v[2:3], v[15:16], v[0:1]
	v_div_scale_f64 v[2:3], null, v[0:1], v[0:1], 1.0
	v_rcp_f64_e32 v[17:18], v[2:3]
	v_fma_f64 v[19:20], -v[2:3], v[17:18], 1.0
	v_fma_f64 v[17:18], v[17:18], v[19:20], v[17:18]
	v_fma_f64 v[19:20], -v[2:3], v[17:18], 1.0
	v_fma_f64 v[17:18], v[17:18], v[19:20], v[17:18]
	v_div_scale_f64 v[19:20], vcc_lo, 1.0, v[0:1], 1.0
	v_mul_f64 v[21:22], v[19:20], v[17:18]
	v_fma_f64 v[2:3], -v[2:3], v[21:22], v[19:20]
	v_div_fmas_f64 v[2:3], v[2:3], v[17:18], v[21:22]
	v_div_fixup_f64 v[0:1], v[2:3], v[0:1], 1.0
	v_mul_f64 v[2:3], v[15:16], -v[0:1]
.LBB124_1041:
	s_or_b32 exec_lo, exec_lo, s16
.LBB124_1042:
	s_or_b32 exec_lo, exec_lo, s4
	s_mov_b32 s4, exec_lo
	v_cmpx_ne_u32_e64 v11, v4
	s_xor_b32 s4, exec_lo, s4
	s_cbranch_execz .LBB124_1048
; %bb.1043:
	s_mov_b32 s16, exec_lo
	v_cmpx_eq_u32_e32 43, v11
	s_cbranch_execz .LBB124_1047
; %bb.1044:
	v_cmp_ne_u32_e32 vcc_lo, 43, v4
	s_xor_b32 s17, s20, -1
	s_and_b32 s56, s17, vcc_lo
	s_and_saveexec_b32 s17, s56
	s_cbranch_execz .LBB124_1046
; %bb.1045:
	v_ashrrev_i32_e32 v5, 31, v4
	v_lshlrev_b64 v[10:11], 2, v[4:5]
	v_add_co_u32 v10, vcc_lo, v8, v10
	v_add_co_ci_u32_e64 v11, null, v9, v11, vcc_lo
	s_clause 0x1
	global_load_dword v5, v[10:11], off
	global_load_dword v15, v[8:9], off offset:172
	s_waitcnt vmcnt(1)
	global_store_dword v[8:9], v5, off offset:172
	s_waitcnt vmcnt(0)
	global_store_dword v[10:11], v15, off
.LBB124_1046:
	s_or_b32 exec_lo, exec_lo, s17
	v_mov_b32_e32 v11, v4
	v_mov_b32_e32 v5, v4
.LBB124_1047:
	s_or_b32 exec_lo, exec_lo, s16
.LBB124_1048:
	s_andn2_saveexec_b32 s4, s4
	s_cbranch_execz .LBB124_1050
; %bb.1049:
	v_mov_b32_e32 v4, s37
	v_mov_b32_e32 v10, s36
	;; [unrolled: 1-line block ×3, first 2 shown]
	s_clause 0x7
	buffer_load_dword v15, v4, s[0:3], 0 offen
	buffer_load_dword v16, v4, s[0:3], 0 offen offset:4
	buffer_load_dword v17, v4, s[0:3], 0 offen offset:8
	buffer_load_dword v18, v4, s[0:3], 0 offen offset:12
	buffer_load_dword v19, v10, s[0:3], 0 offen
	buffer_load_dword v20, v10, s[0:3], 0 offen offset:4
	buffer_load_dword v21, v10, s[0:3], 0 offen offset:8
	buffer_load_dword v22, v10, s[0:3], 0 offen offset:12
	v_mov_b32_e32 v10, s33
	v_mov_b32_e32 v4, s34
	s_clause 0x7
	buffer_load_dword v23, v11, s[0:3], 0 offen
	buffer_load_dword v24, v11, s[0:3], 0 offen offset:4
	buffer_load_dword v25, v11, s[0:3], 0 offen offset:8
	buffer_load_dword v26, v11, s[0:3], 0 offen offset:12
	buffer_load_dword v27, v4, s[0:3], 0 offen
	buffer_load_dword v28, v4, s[0:3], 0 offen offset:4
	buffer_load_dword v29, v4, s[0:3], 0 offen offset:8
	buffer_load_dword v30, v4, s[0:3], 0 offen offset:12
	v_mov_b32_e32 v4, s31
	v_mov_b32_e32 v11, s30
	;; [unrolled: 11-line block ×8, first 2 shown]
	s_clause 0xb
	buffer_load_dword v79, v10, s[0:3], 0 offen
	buffer_load_dword v80, v10, s[0:3], 0 offen offset:4
	buffer_load_dword v81, v10, s[0:3], 0 offen offset:8
	buffer_load_dword v82, v10, s[0:3], 0 offen offset:12
	buffer_load_dword v83, v4, s[0:3], 0 offen
	buffer_load_dword v84, v4, s[0:3], 0 offen offset:4
	buffer_load_dword v85, v4, s[0:3], 0 offen offset:8
	buffer_load_dword v86, v4, s[0:3], 0 offen offset:12
	buffer_load_dword v87, v11, s[0:3], 0 offen
	buffer_load_dword v88, v11, s[0:3], 0 offen offset:4
	buffer_load_dword v89, v11, s[0:3], 0 offen offset:8
	buffer_load_dword v90, v11, s[0:3], 0 offen offset:12
	v_mov_b32_e32 v11, 43
	s_waitcnt vmcnt(62)
	ds_write2_b64 v12, v[15:16], v[17:18] offset0:88 offset1:89
	ds_write2_b64 v12, v[19:20], v[21:22] offset0:90 offset1:91
	;; [unrolled: 1-line block ×3, first 2 shown]
	s_waitcnt vmcnt(60)
	ds_write2_b64 v12, v[27:28], v[29:30] offset0:94 offset1:95
	s_waitcnt vmcnt(56)
	ds_write2_b64 v12, v[31:32], v[33:34] offset0:96 offset1:97
	s_waitcnt vmcnt(52)
	ds_write2_b64 v12, v[35:36], v[37:38] offset0:98 offset1:99
	s_waitcnt vmcnt(48)
	ds_write2_b64 v12, v[39:40], v[41:42] offset0:100 offset1:101
	s_waitcnt vmcnt(44)
	ds_write2_b64 v12, v[43:44], v[45:46] offset0:102 offset1:103
	s_waitcnt vmcnt(40)
	ds_write2_b64 v12, v[47:48], v[49:50] offset0:104 offset1:105
	s_waitcnt vmcnt(36)
	ds_write2_b64 v12, v[51:52], v[53:54] offset0:106 offset1:107
	s_waitcnt vmcnt(32)
	ds_write2_b64 v12, v[55:56], v[57:58] offset0:108 offset1:109
	s_waitcnt vmcnt(28)
	ds_write2_b64 v12, v[59:60], v[61:62] offset0:110 offset1:111
	s_waitcnt vmcnt(24)
	ds_write2_b64 v12, v[63:64], v[65:66] offset0:112 offset1:113
	s_waitcnt vmcnt(20)
	ds_write2_b64 v12, v[67:68], v[69:70] offset0:114 offset1:115
	s_waitcnt vmcnt(16)
	ds_write2_b64 v12, v[71:72], v[73:74] offset0:116 offset1:117
	s_waitcnt vmcnt(12)
	ds_write2_b64 v12, v[75:76], v[77:78] offset0:118 offset1:119
	s_waitcnt vmcnt(8)
	ds_write2_b64 v12, v[79:80], v[81:82] offset0:120 offset1:121
	s_waitcnt vmcnt(4)
	ds_write2_b64 v12, v[83:84], v[85:86] offset0:122 offset1:123
	s_waitcnt vmcnt(0)
	ds_write2_b64 v12, v[87:88], v[89:90] offset0:124 offset1:125
.LBB124_1050:
	s_or_b32 exec_lo, exec_lo, s4
	s_mov_b32 s4, exec_lo
	s_waitcnt lgkmcnt(0)
	s_waitcnt_vscnt null, 0x0
	s_barrier
	buffer_gl0_inv
	v_cmpx_lt_i32_e32 43, v11
	s_cbranch_execz .LBB124_1055
; %bb.1051:
	s_clause 0x3
	buffer_load_dword v15, off, s[0:3], 0 offset:696
	buffer_load_dword v16, off, s[0:3], 0 offset:700
	;; [unrolled: 1-line block ×4, first 2 shown]
	v_add3_u32 v4, v14, 0, 0x2c0
	s_mov_b32 s16, 0
	s_waitcnt vmcnt(2)
	v_mul_f64 v[19:20], v[2:3], v[15:16]
	v_mul_f64 v[15:16], v[0:1], v[15:16]
	s_waitcnt vmcnt(0)
	v_fma_f64 v[0:1], v[0:1], v[17:18], -v[19:20]
	v_fma_f64 v[2:3], v[2:3], v[17:18], v[15:16]
	buffer_store_dword v0, off, s[0:3], 0 offset:688
	buffer_store_dword v1, off, s[0:3], 0 offset:692
	;; [unrolled: 1-line block ×4, first 2 shown]
	s_branch .LBB124_1053
.LBB124_1052:                           ;   in Loop: Header=BB124_1053 Depth=1
	s_andn2_b32 vcc_lo, exec_lo, s56
	s_cbranch_vccz .LBB124_1055
.LBB124_1053:                           ; =>This Inner Loop Header: Depth=1
	v_mov_b32_e32 v51, s16
	v_add_nc_u32_e32 v10, s16, v4
	s_mov_b32 s17, s16
	s_mov_b32 s56, -1
	s_cmpk_eq_i32 s16, 0x100
	s_clause 0xb
	buffer_load_dword v27, v51, s[0:3], 0 offen offset:704
	buffer_load_dword v28, v51, s[0:3], 0 offen offset:708
	;; [unrolled: 1-line block ×12, first 2 shown]
	ds_read2_b64 v[15:18], v10 offset1:1
	ds_read2_b64 v[19:22], v10 offset0:2 offset1:3
	ds_read2_b64 v[23:26], v10 offset0:4 offset1:5
	s_waitcnt lgkmcnt(2)
	v_mul_f64 v[39:40], v[17:18], v[2:3]
	v_mul_f64 v[41:42], v[15:16], v[2:3]
	s_waitcnt lgkmcnt(1)
	v_mul_f64 v[43:44], v[21:22], v[2:3]
	v_mul_f64 v[45:46], v[19:20], v[2:3]
	;; [unrolled: 3-line block ×3, first 2 shown]
	v_fma_f64 v[15:16], v[15:16], v[0:1], -v[39:40]
	v_fma_f64 v[17:18], v[17:18], v[0:1], v[41:42]
	v_fma_f64 v[19:20], v[19:20], v[0:1], -v[43:44]
	v_fma_f64 v[21:22], v[21:22], v[0:1], v[45:46]
	;; [unrolled: 2-line block ×3, first 2 shown]
	s_waitcnt vmcnt(10)
	v_add_f64 v[15:16], v[27:28], -v[15:16]
	s_waitcnt vmcnt(8)
	v_add_f64 v[17:18], v[29:30], -v[17:18]
	s_waitcnt vmcnt(6)
	v_add_f64 v[19:20], v[31:32], -v[19:20]
	s_waitcnt vmcnt(4)
	v_add_f64 v[21:22], v[33:34], -v[21:22]
	s_waitcnt vmcnt(2)
	v_add_f64 v[23:24], v[35:36], -v[23:24]
	s_waitcnt vmcnt(0)
	v_add_f64 v[25:26], v[37:38], -v[25:26]
	buffer_store_dword v15, v51, s[0:3], 0 offen offset:704
	buffer_store_dword v16, v51, s[0:3], 0 offen offset:708
	;; [unrolled: 1-line block ×12, first 2 shown]
	s_cbranch_scc1 .LBB124_1052
; %bb.1054:                             ;   in Loop: Header=BB124_1053 Depth=1
	v_mov_b32_e32 v27, s17
	s_add_i32 s16, s16, 64
	s_mov_b32 s56, 0
	s_clause 0x3
	buffer_load_dword v19, v27, s[0:3], 0 offen offset:752
	buffer_load_dword v20, v27, s[0:3], 0 offen offset:756
	;; [unrolled: 1-line block ×4, first 2 shown]
	ds_read2_b64 v[15:18], v10 offset0:6 offset1:7
	s_waitcnt lgkmcnt(0)
	v_mul_f64 v[23:24], v[17:18], v[2:3]
	v_mul_f64 v[25:26], v[15:16], v[2:3]
	v_fma_f64 v[15:16], v[15:16], v[0:1], -v[23:24]
	v_fma_f64 v[17:18], v[17:18], v[0:1], v[25:26]
	s_waitcnt vmcnt(2)
	v_add_f64 v[15:16], v[19:20], -v[15:16]
	s_waitcnt vmcnt(0)
	v_add_f64 v[17:18], v[21:22], -v[17:18]
	buffer_store_dword v15, v27, s[0:3], 0 offen offset:752
	buffer_store_dword v16, v27, s[0:3], 0 offen offset:756
	;; [unrolled: 1-line block ×4, first 2 shown]
	s_branch .LBB124_1052
.LBB124_1055:
	s_or_b32 exec_lo, exec_lo, s4
	v_mov_b32_e32 v3, s37
	s_waitcnt_vscnt null, 0x0
	s_barrier
	buffer_gl0_inv
	v_lshl_add_u32 v4, v11, 4, v12
	s_clause 0x3
	buffer_load_dword v0, v3, s[0:3], 0 offen
	buffer_load_dword v1, v3, s[0:3], 0 offen offset:4
	buffer_load_dword v2, v3, s[0:3], 0 offen offset:8
	;; [unrolled: 1-line block ×3, first 2 shown]
	s_cmp_lt_i32 s57, 46
	s_waitcnt vmcnt(0)
	ds_write2_b64 v4, v[0:1], v[2:3] offset1:1
	s_waitcnt lgkmcnt(0)
	s_barrier
	buffer_gl0_inv
	ds_read2_b64 v[0:3], v12 offset0:88 offset1:89
	v_mov_b32_e32 v4, 44
	s_cbranch_scc1 .LBB124_1058
; %bb.1056:
	v_add3_u32 v10, v14, 0, 0x2d0
	v_mov_b32_e32 v4, 44
	s_mov_b32 s16, 45
	s_inst_prefetch 0x1
	.p2align	6
.LBB124_1057:                           ; =>This Inner Loop Header: Depth=1
	s_waitcnt lgkmcnt(0)
	v_cmp_gt_f64_e32 vcc_lo, 0, v[2:3]
	v_cmp_gt_f64_e64 s4, 0, v[0:1]
	ds_read2_b64 v[15:18], v10 offset1:1
	v_xor_b32_e32 v20, 0x80000000, v1
	v_xor_b32_e32 v22, 0x80000000, v3
	v_mov_b32_e32 v19, v0
	v_mov_b32_e32 v21, v2
	v_add_nc_u32_e32 v10, 16, v10
	s_waitcnt lgkmcnt(0)
	v_xor_b32_e32 v24, 0x80000000, v18
	v_cndmask_b32_e64 v20, v1, v20, s4
	v_cndmask_b32_e32 v22, v3, v22, vcc_lo
	v_cmp_gt_f64_e32 vcc_lo, 0, v[17:18]
	v_cmp_gt_f64_e64 s4, 0, v[15:16]
	v_mov_b32_e32 v23, v17
	v_add_f64 v[19:20], v[19:20], v[21:22]
	v_xor_b32_e32 v22, 0x80000000, v16
	v_mov_b32_e32 v21, v15
	v_cndmask_b32_e32 v24, v18, v24, vcc_lo
	v_cndmask_b32_e64 v22, v16, v22, s4
	v_add_f64 v[21:22], v[21:22], v[23:24]
	v_cmp_lt_f64_e32 vcc_lo, v[19:20], v[21:22]
	v_cndmask_b32_e32 v1, v1, v16, vcc_lo
	v_cndmask_b32_e32 v0, v0, v15, vcc_lo
	;; [unrolled: 1-line block ×4, first 2 shown]
	v_cndmask_b32_e64 v4, v4, s16, vcc_lo
	s_add_i32 s16, s16, 1
	s_cmp_lg_u32 s57, s16
	s_cbranch_scc1 .LBB124_1057
.LBB124_1058:
	s_inst_prefetch 0x2
	s_waitcnt lgkmcnt(0)
	v_cmp_eq_f64_e32 vcc_lo, 0, v[0:1]
	v_cmp_eq_f64_e64 s4, 0, v[2:3]
	s_and_b32 s4, vcc_lo, s4
	s_and_saveexec_b32 s16, s4
	s_xor_b32 s4, exec_lo, s16
; %bb.1059:
	v_cmp_ne_u32_e32 vcc_lo, 0, v13
	v_cndmask_b32_e32 v13, 45, v13, vcc_lo
; %bb.1060:
	s_andn2_saveexec_b32 s4, s4
	s_cbranch_execz .LBB124_1066
; %bb.1061:
	v_cmp_ngt_f64_e64 s16, |v[0:1]|, |v[2:3]|
	s_and_saveexec_b32 s17, s16
	s_xor_b32 s16, exec_lo, s17
	s_cbranch_execz .LBB124_1063
; %bb.1062:
	v_div_scale_f64 v[15:16], null, v[2:3], v[2:3], v[0:1]
	v_div_scale_f64 v[21:22], vcc_lo, v[0:1], v[2:3], v[0:1]
	v_rcp_f64_e32 v[17:18], v[15:16]
	v_fma_f64 v[19:20], -v[15:16], v[17:18], 1.0
	v_fma_f64 v[17:18], v[17:18], v[19:20], v[17:18]
	v_fma_f64 v[19:20], -v[15:16], v[17:18], 1.0
	v_fma_f64 v[17:18], v[17:18], v[19:20], v[17:18]
	v_mul_f64 v[19:20], v[21:22], v[17:18]
	v_fma_f64 v[15:16], -v[15:16], v[19:20], v[21:22]
	v_div_fmas_f64 v[15:16], v[15:16], v[17:18], v[19:20]
	v_div_fixup_f64 v[15:16], v[15:16], v[2:3], v[0:1]
	v_fma_f64 v[0:1], v[0:1], v[15:16], v[2:3]
	v_div_scale_f64 v[2:3], null, v[0:1], v[0:1], 1.0
	v_rcp_f64_e32 v[17:18], v[2:3]
	v_fma_f64 v[19:20], -v[2:3], v[17:18], 1.0
	v_fma_f64 v[17:18], v[17:18], v[19:20], v[17:18]
	v_fma_f64 v[19:20], -v[2:3], v[17:18], 1.0
	v_fma_f64 v[17:18], v[17:18], v[19:20], v[17:18]
	v_div_scale_f64 v[19:20], vcc_lo, 1.0, v[0:1], 1.0
	v_mul_f64 v[21:22], v[19:20], v[17:18]
	v_fma_f64 v[2:3], -v[2:3], v[21:22], v[19:20]
	v_div_fmas_f64 v[2:3], v[2:3], v[17:18], v[21:22]
	v_div_fixup_f64 v[2:3], v[2:3], v[0:1], 1.0
	v_mul_f64 v[0:1], v[15:16], v[2:3]
	v_xor_b32_e32 v3, 0x80000000, v3
.LBB124_1063:
	s_andn2_saveexec_b32 s16, s16
	s_cbranch_execz .LBB124_1065
; %bb.1064:
	v_div_scale_f64 v[15:16], null, v[0:1], v[0:1], v[2:3]
	v_div_scale_f64 v[21:22], vcc_lo, v[2:3], v[0:1], v[2:3]
	v_rcp_f64_e32 v[17:18], v[15:16]
	v_fma_f64 v[19:20], -v[15:16], v[17:18], 1.0
	v_fma_f64 v[17:18], v[17:18], v[19:20], v[17:18]
	v_fma_f64 v[19:20], -v[15:16], v[17:18], 1.0
	v_fma_f64 v[17:18], v[17:18], v[19:20], v[17:18]
	v_mul_f64 v[19:20], v[21:22], v[17:18]
	v_fma_f64 v[15:16], -v[15:16], v[19:20], v[21:22]
	v_div_fmas_f64 v[15:16], v[15:16], v[17:18], v[19:20]
	v_div_fixup_f64 v[15:16], v[15:16], v[0:1], v[2:3]
	v_fma_f64 v[0:1], v[2:3], v[15:16], v[0:1]
	v_div_scale_f64 v[2:3], null, v[0:1], v[0:1], 1.0
	v_rcp_f64_e32 v[17:18], v[2:3]
	v_fma_f64 v[19:20], -v[2:3], v[17:18], 1.0
	v_fma_f64 v[17:18], v[17:18], v[19:20], v[17:18]
	v_fma_f64 v[19:20], -v[2:3], v[17:18], 1.0
	v_fma_f64 v[17:18], v[17:18], v[19:20], v[17:18]
	v_div_scale_f64 v[19:20], vcc_lo, 1.0, v[0:1], 1.0
	v_mul_f64 v[21:22], v[19:20], v[17:18]
	v_fma_f64 v[2:3], -v[2:3], v[21:22], v[19:20]
	v_div_fmas_f64 v[2:3], v[2:3], v[17:18], v[21:22]
	v_div_fixup_f64 v[0:1], v[2:3], v[0:1], 1.0
	v_mul_f64 v[2:3], v[15:16], -v[0:1]
.LBB124_1065:
	s_or_b32 exec_lo, exec_lo, s16
.LBB124_1066:
	s_or_b32 exec_lo, exec_lo, s4
	s_mov_b32 s4, exec_lo
	v_cmpx_ne_u32_e64 v11, v4
	s_xor_b32 s4, exec_lo, s4
	s_cbranch_execz .LBB124_1072
; %bb.1067:
	s_mov_b32 s16, exec_lo
	v_cmpx_eq_u32_e32 44, v11
	s_cbranch_execz .LBB124_1071
; %bb.1068:
	v_cmp_ne_u32_e32 vcc_lo, 44, v4
	s_xor_b32 s17, s20, -1
	s_and_b32 s56, s17, vcc_lo
	s_and_saveexec_b32 s17, s56
	s_cbranch_execz .LBB124_1070
; %bb.1069:
	v_ashrrev_i32_e32 v5, 31, v4
	v_lshlrev_b64 v[10:11], 2, v[4:5]
	v_add_co_u32 v10, vcc_lo, v8, v10
	v_add_co_ci_u32_e64 v11, null, v9, v11, vcc_lo
	s_clause 0x1
	global_load_dword v5, v[10:11], off
	global_load_dword v15, v[8:9], off offset:176
	s_waitcnt vmcnt(1)
	global_store_dword v[8:9], v5, off offset:176
	s_waitcnt vmcnt(0)
	global_store_dword v[10:11], v15, off
.LBB124_1070:
	s_or_b32 exec_lo, exec_lo, s17
	v_mov_b32_e32 v11, v4
	v_mov_b32_e32 v5, v4
.LBB124_1071:
	s_or_b32 exec_lo, exec_lo, s16
.LBB124_1072:
	s_andn2_saveexec_b32 s4, s4
	s_cbranch_execz .LBB124_1074
; %bb.1073:
	v_mov_b32_e32 v4, s36
	v_mov_b32_e32 v10, s35
	;; [unrolled: 1-line block ×3, first 2 shown]
	s_clause 0x7
	buffer_load_dword v15, v4, s[0:3], 0 offen
	buffer_load_dword v16, v4, s[0:3], 0 offen offset:4
	buffer_load_dword v17, v4, s[0:3], 0 offen offset:8
	buffer_load_dword v18, v4, s[0:3], 0 offen offset:12
	buffer_load_dword v19, v10, s[0:3], 0 offen
	buffer_load_dword v20, v10, s[0:3], 0 offen offset:4
	buffer_load_dword v21, v10, s[0:3], 0 offen offset:8
	buffer_load_dword v22, v10, s[0:3], 0 offen offset:12
	v_mov_b32_e32 v10, s31
	v_mov_b32_e32 v4, s33
	s_clause 0x7
	buffer_load_dword v23, v11, s[0:3], 0 offen
	buffer_load_dword v24, v11, s[0:3], 0 offen offset:4
	buffer_load_dword v25, v11, s[0:3], 0 offen offset:8
	buffer_load_dword v26, v11, s[0:3], 0 offen offset:12
	buffer_load_dword v27, v4, s[0:3], 0 offen
	buffer_load_dword v28, v4, s[0:3], 0 offen offset:4
	buffer_load_dword v29, v4, s[0:3], 0 offen offset:8
	buffer_load_dword v30, v4, s[0:3], 0 offen offset:12
	v_mov_b32_e32 v4, s30
	v_mov_b32_e32 v11, s29
	;; [unrolled: 11-line block ×7, first 2 shown]
	s_clause 0x7
	buffer_load_dword v71, v11, s[0:3], 0 offen
	buffer_load_dword v72, v11, s[0:3], 0 offen offset:4
	buffer_load_dword v73, v11, s[0:3], 0 offen offset:8
	;; [unrolled: 1-line block ×3, first 2 shown]
	buffer_load_dword v75, v4, s[0:3], 0 offen
	buffer_load_dword v76, v4, s[0:3], 0 offen offset:4
	buffer_load_dword v77, v4, s[0:3], 0 offen offset:8
	;; [unrolled: 1-line block ×3, first 2 shown]
	v_mov_b32_e32 v4, s5
	s_clause 0x7
	buffer_load_dword v79, v10, s[0:3], 0 offen
	buffer_load_dword v80, v10, s[0:3], 0 offen offset:4
	buffer_load_dword v81, v10, s[0:3], 0 offen offset:8
	;; [unrolled: 1-line block ×3, first 2 shown]
	buffer_load_dword v83, v4, s[0:3], 0 offen
	buffer_load_dword v84, v4, s[0:3], 0 offen offset:4
	buffer_load_dword v85, v4, s[0:3], 0 offen offset:8
	;; [unrolled: 1-line block ×3, first 2 shown]
	v_mov_b32_e32 v11, 44
	s_waitcnt vmcnt(62)
	ds_write2_b64 v12, v[15:16], v[17:18] offset0:90 offset1:91
	ds_write2_b64 v12, v[19:20], v[21:22] offset0:92 offset1:93
	s_waitcnt vmcnt(60)
	ds_write2_b64 v12, v[23:24], v[25:26] offset0:94 offset1:95
	s_waitcnt vmcnt(56)
	;; [unrolled: 2-line block ×16, first 2 shown]
	ds_write2_b64 v12, v[83:84], v[85:86] offset0:124 offset1:125
.LBB124_1074:
	s_or_b32 exec_lo, exec_lo, s4
	s_mov_b32 s4, exec_lo
	s_waitcnt lgkmcnt(0)
	s_waitcnt_vscnt null, 0x0
	s_barrier
	buffer_gl0_inv
	v_cmpx_lt_i32_e32 44, v11
	s_cbranch_execz .LBB124_1077
; %bb.1075:
	s_clause 0x3
	buffer_load_dword v15, off, s[0:3], 0 offset:712
	buffer_load_dword v16, off, s[0:3], 0 offset:716
	;; [unrolled: 1-line block ×4, first 2 shown]
	v_add3_u32 v4, v14, 0, 0x2d0
	s_mov_b32 s82, 0
	s_waitcnt vmcnt(2)
	v_mul_f64 v[19:20], v[2:3], v[15:16]
	v_mul_f64 v[15:16], v[0:1], v[15:16]
	s_waitcnt vmcnt(0)
	v_fma_f64 v[0:1], v[0:1], v[17:18], -v[19:20]
	v_fma_f64 v[2:3], v[2:3], v[17:18], v[15:16]
	buffer_store_dword v0, off, s[0:3], 0 offset:704
	buffer_store_dword v1, off, s[0:3], 0 offset:708
	;; [unrolled: 1-line block ×4, first 2 shown]
.LBB124_1076:                           ; =>This Inner Loop Header: Depth=1
	v_mov_b32_e32 v10, s82
	v_add_nc_u32_e32 v35, s82, v4
	s_addk_i32 s82, 0x60
	s_clause 0x17
	buffer_load_dword v39, v10, s[0:3], 0 offen offset:720
	buffer_load_dword v40, v10, s[0:3], 0 offen offset:724
	;; [unrolled: 1-line block ×24, first 2 shown]
	ds_read2_b64 v[15:18], v35 offset1:1
	ds_read2_b64 v[19:22], v35 offset0:2 offset1:3
	ds_read2_b64 v[23:26], v35 offset0:4 offset1:5
	;; [unrolled: 1-line block ×5, first 2 shown]
	s_cmpk_lg_i32 s82, 0x120
	s_waitcnt lgkmcnt(5)
	v_mul_f64 v[63:64], v[17:18], v[2:3]
	v_mul_f64 v[65:66], v[15:16], v[2:3]
	s_waitcnt lgkmcnt(4)
	v_mul_f64 v[67:68], v[21:22], v[2:3]
	v_mul_f64 v[69:70], v[19:20], v[2:3]
	;; [unrolled: 3-line block ×6, first 2 shown]
	v_fma_f64 v[15:16], v[15:16], v[0:1], -v[63:64]
	v_fma_f64 v[17:18], v[17:18], v[0:1], v[65:66]
	v_fma_f64 v[19:20], v[19:20], v[0:1], -v[67:68]
	v_fma_f64 v[21:22], v[21:22], v[0:1], v[69:70]
	;; [unrolled: 2-line block ×6, first 2 shown]
	s_waitcnt vmcnt(22)
	v_add_f64 v[15:16], v[39:40], -v[15:16]
	s_waitcnt vmcnt(20)
	v_add_f64 v[17:18], v[41:42], -v[17:18]
	;; [unrolled: 2-line block ×12, first 2 shown]
	buffer_store_dword v15, v10, s[0:3], 0 offen offset:720
	buffer_store_dword v16, v10, s[0:3], 0 offen offset:724
	;; [unrolled: 1-line block ×24, first 2 shown]
	s_cbranch_scc1 .LBB124_1076
.LBB124_1077:
	s_or_b32 exec_lo, exec_lo, s4
	v_mov_b32_e32 v3, s36
	s_waitcnt_vscnt null, 0x0
	s_barrier
	buffer_gl0_inv
	v_lshl_add_u32 v4, v11, 4, v12
	s_clause 0x3
	buffer_load_dword v0, v3, s[0:3], 0 offen
	buffer_load_dword v1, v3, s[0:3], 0 offen offset:4
	buffer_load_dword v2, v3, s[0:3], 0 offen offset:8
	;; [unrolled: 1-line block ×3, first 2 shown]
	s_cmp_lt_i32 s57, 47
	s_waitcnt vmcnt(0)
	ds_write2_b64 v4, v[0:1], v[2:3] offset1:1
	s_waitcnt lgkmcnt(0)
	s_barrier
	buffer_gl0_inv
	ds_read2_b64 v[0:3], v12 offset0:90 offset1:91
	v_mov_b32_e32 v4, 45
	s_cbranch_scc1 .LBB124_1080
; %bb.1078:
	v_add3_u32 v10, v14, 0, 0x2e0
	v_mov_b32_e32 v4, 45
	s_mov_b32 s16, 46
	s_inst_prefetch 0x1
	.p2align	6
.LBB124_1079:                           ; =>This Inner Loop Header: Depth=1
	s_waitcnt lgkmcnt(0)
	v_cmp_gt_f64_e32 vcc_lo, 0, v[2:3]
	v_cmp_gt_f64_e64 s4, 0, v[0:1]
	ds_read2_b64 v[15:18], v10 offset1:1
	v_xor_b32_e32 v20, 0x80000000, v1
	v_xor_b32_e32 v22, 0x80000000, v3
	v_mov_b32_e32 v19, v0
	v_mov_b32_e32 v21, v2
	v_add_nc_u32_e32 v10, 16, v10
	s_waitcnt lgkmcnt(0)
	v_xor_b32_e32 v24, 0x80000000, v18
	v_cndmask_b32_e64 v20, v1, v20, s4
	v_cndmask_b32_e32 v22, v3, v22, vcc_lo
	v_cmp_gt_f64_e32 vcc_lo, 0, v[17:18]
	v_cmp_gt_f64_e64 s4, 0, v[15:16]
	v_mov_b32_e32 v23, v17
	v_add_f64 v[19:20], v[19:20], v[21:22]
	v_xor_b32_e32 v22, 0x80000000, v16
	v_mov_b32_e32 v21, v15
	v_cndmask_b32_e32 v24, v18, v24, vcc_lo
	v_cndmask_b32_e64 v22, v16, v22, s4
	v_add_f64 v[21:22], v[21:22], v[23:24]
	v_cmp_lt_f64_e32 vcc_lo, v[19:20], v[21:22]
	v_cndmask_b32_e32 v1, v1, v16, vcc_lo
	v_cndmask_b32_e32 v0, v0, v15, vcc_lo
	;; [unrolled: 1-line block ×4, first 2 shown]
	v_cndmask_b32_e64 v4, v4, s16, vcc_lo
	s_add_i32 s16, s16, 1
	s_cmp_lg_u32 s57, s16
	s_cbranch_scc1 .LBB124_1079
.LBB124_1080:
	s_inst_prefetch 0x2
	s_waitcnt lgkmcnt(0)
	v_cmp_eq_f64_e32 vcc_lo, 0, v[0:1]
	v_cmp_eq_f64_e64 s4, 0, v[2:3]
	s_and_b32 s4, vcc_lo, s4
	s_and_saveexec_b32 s16, s4
	s_xor_b32 s4, exec_lo, s16
; %bb.1081:
	v_cmp_ne_u32_e32 vcc_lo, 0, v13
	v_cndmask_b32_e32 v13, 46, v13, vcc_lo
; %bb.1082:
	s_andn2_saveexec_b32 s4, s4
	s_cbranch_execz .LBB124_1088
; %bb.1083:
	v_cmp_ngt_f64_e64 s16, |v[0:1]|, |v[2:3]|
	s_and_saveexec_b32 s17, s16
	s_xor_b32 s16, exec_lo, s17
	s_cbranch_execz .LBB124_1085
; %bb.1084:
	v_div_scale_f64 v[15:16], null, v[2:3], v[2:3], v[0:1]
	v_div_scale_f64 v[21:22], vcc_lo, v[0:1], v[2:3], v[0:1]
	v_rcp_f64_e32 v[17:18], v[15:16]
	v_fma_f64 v[19:20], -v[15:16], v[17:18], 1.0
	v_fma_f64 v[17:18], v[17:18], v[19:20], v[17:18]
	v_fma_f64 v[19:20], -v[15:16], v[17:18], 1.0
	v_fma_f64 v[17:18], v[17:18], v[19:20], v[17:18]
	v_mul_f64 v[19:20], v[21:22], v[17:18]
	v_fma_f64 v[15:16], -v[15:16], v[19:20], v[21:22]
	v_div_fmas_f64 v[15:16], v[15:16], v[17:18], v[19:20]
	v_div_fixup_f64 v[15:16], v[15:16], v[2:3], v[0:1]
	v_fma_f64 v[0:1], v[0:1], v[15:16], v[2:3]
	v_div_scale_f64 v[2:3], null, v[0:1], v[0:1], 1.0
	v_rcp_f64_e32 v[17:18], v[2:3]
	v_fma_f64 v[19:20], -v[2:3], v[17:18], 1.0
	v_fma_f64 v[17:18], v[17:18], v[19:20], v[17:18]
	v_fma_f64 v[19:20], -v[2:3], v[17:18], 1.0
	v_fma_f64 v[17:18], v[17:18], v[19:20], v[17:18]
	v_div_scale_f64 v[19:20], vcc_lo, 1.0, v[0:1], 1.0
	v_mul_f64 v[21:22], v[19:20], v[17:18]
	v_fma_f64 v[2:3], -v[2:3], v[21:22], v[19:20]
	v_div_fmas_f64 v[2:3], v[2:3], v[17:18], v[21:22]
	v_div_fixup_f64 v[2:3], v[2:3], v[0:1], 1.0
	v_mul_f64 v[0:1], v[15:16], v[2:3]
	v_xor_b32_e32 v3, 0x80000000, v3
.LBB124_1085:
	s_andn2_saveexec_b32 s16, s16
	s_cbranch_execz .LBB124_1087
; %bb.1086:
	v_div_scale_f64 v[15:16], null, v[0:1], v[0:1], v[2:3]
	v_div_scale_f64 v[21:22], vcc_lo, v[2:3], v[0:1], v[2:3]
	v_rcp_f64_e32 v[17:18], v[15:16]
	v_fma_f64 v[19:20], -v[15:16], v[17:18], 1.0
	v_fma_f64 v[17:18], v[17:18], v[19:20], v[17:18]
	v_fma_f64 v[19:20], -v[15:16], v[17:18], 1.0
	v_fma_f64 v[17:18], v[17:18], v[19:20], v[17:18]
	v_mul_f64 v[19:20], v[21:22], v[17:18]
	v_fma_f64 v[15:16], -v[15:16], v[19:20], v[21:22]
	v_div_fmas_f64 v[15:16], v[15:16], v[17:18], v[19:20]
	v_div_fixup_f64 v[15:16], v[15:16], v[0:1], v[2:3]
	v_fma_f64 v[0:1], v[2:3], v[15:16], v[0:1]
	v_div_scale_f64 v[2:3], null, v[0:1], v[0:1], 1.0
	v_rcp_f64_e32 v[17:18], v[2:3]
	v_fma_f64 v[19:20], -v[2:3], v[17:18], 1.0
	v_fma_f64 v[17:18], v[17:18], v[19:20], v[17:18]
	v_fma_f64 v[19:20], -v[2:3], v[17:18], 1.0
	v_fma_f64 v[17:18], v[17:18], v[19:20], v[17:18]
	v_div_scale_f64 v[19:20], vcc_lo, 1.0, v[0:1], 1.0
	v_mul_f64 v[21:22], v[19:20], v[17:18]
	v_fma_f64 v[2:3], -v[2:3], v[21:22], v[19:20]
	v_div_fmas_f64 v[2:3], v[2:3], v[17:18], v[21:22]
	v_div_fixup_f64 v[0:1], v[2:3], v[0:1], 1.0
	v_mul_f64 v[2:3], v[15:16], -v[0:1]
.LBB124_1087:
	s_or_b32 exec_lo, exec_lo, s16
.LBB124_1088:
	s_or_b32 exec_lo, exec_lo, s4
	s_mov_b32 s4, exec_lo
	v_cmpx_ne_u32_e64 v11, v4
	s_xor_b32 s4, exec_lo, s4
	s_cbranch_execz .LBB124_1094
; %bb.1089:
	s_mov_b32 s16, exec_lo
	v_cmpx_eq_u32_e32 45, v11
	s_cbranch_execz .LBB124_1093
; %bb.1090:
	v_cmp_ne_u32_e32 vcc_lo, 45, v4
	s_xor_b32 s17, s20, -1
	s_and_b32 s56, s17, vcc_lo
	s_and_saveexec_b32 s17, s56
	s_cbranch_execz .LBB124_1092
; %bb.1091:
	v_ashrrev_i32_e32 v5, 31, v4
	v_lshlrev_b64 v[10:11], 2, v[4:5]
	v_add_co_u32 v10, vcc_lo, v8, v10
	v_add_co_ci_u32_e64 v11, null, v9, v11, vcc_lo
	s_clause 0x1
	global_load_dword v5, v[10:11], off
	global_load_dword v15, v[8:9], off offset:180
	s_waitcnt vmcnt(1)
	global_store_dword v[8:9], v5, off offset:180
	s_waitcnt vmcnt(0)
	global_store_dword v[10:11], v15, off
.LBB124_1092:
	s_or_b32 exec_lo, exec_lo, s17
	v_mov_b32_e32 v11, v4
	v_mov_b32_e32 v5, v4
.LBB124_1093:
	s_or_b32 exec_lo, exec_lo, s16
.LBB124_1094:
	s_andn2_saveexec_b32 s4, s4
	s_cbranch_execz .LBB124_1096
; %bb.1095:
	v_mov_b32_e32 v4, s35
	v_mov_b32_e32 v11, s33
	;; [unrolled: 1-line block ×3, first 2 shown]
	s_clause 0x7
	buffer_load_dword v15, v4, s[0:3], 0 offen
	buffer_load_dword v16, v4, s[0:3], 0 offen offset:4
	buffer_load_dword v17, v4, s[0:3], 0 offen offset:8
	buffer_load_dword v18, v4, s[0:3], 0 offen offset:12
	buffer_load_dword v19, v10, s[0:3], 0 offen
	buffer_load_dword v20, v10, s[0:3], 0 offen offset:4
	buffer_load_dword v21, v10, s[0:3], 0 offen offset:8
	buffer_load_dword v22, v10, s[0:3], 0 offen offset:12
	v_mov_b32_e32 v4, s31
	v_mov_b32_e32 v10, s30
	s_clause 0x7
	buffer_load_dword v23, v11, s[0:3], 0 offen
	buffer_load_dword v24, v11, s[0:3], 0 offen offset:4
	buffer_load_dword v25, v11, s[0:3], 0 offen offset:8
	buffer_load_dword v26, v11, s[0:3], 0 offen offset:12
	buffer_load_dword v27, v4, s[0:3], 0 offen
	buffer_load_dword v28, v4, s[0:3], 0 offen offset:4
	buffer_load_dword v29, v4, s[0:3], 0 offen offset:8
	buffer_load_dword v30, v4, s[0:3], 0 offen offset:12
	v_mov_b32_e32 v11, s28
	v_mov_b32_e32 v4, s29
	;; [unrolled: 11-line block ×7, first 2 shown]
	s_clause 0xb
	buffer_load_dword v71, v11, s[0:3], 0 offen
	buffer_load_dword v72, v11, s[0:3], 0 offen offset:4
	buffer_load_dword v73, v11, s[0:3], 0 offen offset:8
	buffer_load_dword v74, v11, s[0:3], 0 offen offset:12
	buffer_load_dword v75, v4, s[0:3], 0 offen
	buffer_load_dword v76, v4, s[0:3], 0 offen offset:4
	buffer_load_dword v77, v4, s[0:3], 0 offen offset:8
	buffer_load_dword v78, v4, s[0:3], 0 offen offset:12
	;; [unrolled: 4-line block ×3, first 2 shown]
	v_mov_b32_e32 v11, 45
	s_waitcnt vmcnt(62)
	ds_write2_b64 v12, v[15:16], v[17:18] offset0:92 offset1:93
	s_waitcnt vmcnt(60)
	ds_write2_b64 v12, v[19:20], v[21:22] offset0:94 offset1:95
	;; [unrolled: 2-line block ×17, first 2 shown]
.LBB124_1096:
	s_or_b32 exec_lo, exec_lo, s4
	s_mov_b32 s4, exec_lo
	s_waitcnt lgkmcnt(0)
	s_waitcnt_vscnt null, 0x0
	s_barrier
	buffer_gl0_inv
	v_cmpx_lt_i32_e32 45, v11
	s_cbranch_execz .LBB124_1098
; %bb.1097:
	s_clause 0x1b
	buffer_load_dword v15, off, s[0:3], 0 offset:728
	buffer_load_dword v16, off, s[0:3], 0 offset:732
	;; [unrolled: 1-line block ×28, first 2 shown]
	s_waitcnt vmcnt(26)
	v_mul_f64 v[19:20], v[0:1], v[15:16]
	v_mul_f64 v[15:16], v[2:3], v[15:16]
	s_waitcnt vmcnt(24)
	v_fma_f64 v[59:60], v[2:3], v[17:18], v[19:20]
	v_fma_f64 v[61:62], v[0:1], v[17:18], -v[15:16]
	buffer_store_dword v59, off, s[0:3], 0 offset:728
	buffer_store_dword v60, off, s[0:3], 0 offset:732
	s_clause 0x3
	buffer_load_dword v63, off, s[0:3], 0 offset:728
	buffer_load_dword v64, off, s[0:3], 0 offset:732
	;; [unrolled: 1-line block ×4, first 2 shown]
	buffer_store_dword v61, off, s[0:3], 0 offset:720
	buffer_store_dword v62, off, s[0:3], 0 offset:724
	s_clause 0x2f
	buffer_load_dword v67, off, s[0:3], 0 offset:720
	buffer_load_dword v68, off, s[0:3], 0 offset:724
	;; [unrolled: 1-line block ×48, first 2 shown]
	ds_read2_b64 v[0:3], v12 offset0:92 offset1:93
	ds_read2_b64 v[15:18], v12 offset0:94 offset1:95
	;; [unrolled: 1-line block ×6, first 2 shown]
	s_waitcnt lgkmcnt(5)
	v_mul_f64 v[115:116], v[2:3], v[59:60]
	v_mul_f64 v[117:118], v[0:1], v[59:60]
	s_waitcnt lgkmcnt(4)
	v_mul_f64 v[119:120], v[17:18], v[59:60]
	v_mul_f64 v[121:122], v[15:16], v[59:60]
	;; [unrolled: 3-line block ×6, first 2 shown]
	v_fma_f64 v[0:1], v[0:1], v[61:62], -v[115:116]
	v_fma_f64 v[115:116], v[2:3], v[61:62], v[117:118]
	v_fma_f64 v[117:118], v[15:16], v[61:62], -v[119:120]
	v_fma_f64 v[119:120], v[17:18], v[61:62], v[121:122]
	;; [unrolled: 2-line block ×6, first 2 shown]
	s_waitcnt vmcnt(62)
	v_add_f64 v[61:62], v[35:36], -v[0:1]
	v_add_f64 v[115:116], v[37:38], -v[115:116]
	ds_read2_b64 v[0:3], v12 offset0:104 offset1:105
	ds_read2_b64 v[15:18], v12 offset0:106 offset1:107
	v_add_f64 v[117:118], v[39:40], -v[117:118]
	v_add_f64 v[119:120], v[41:42], -v[119:120]
	;; [unrolled: 1-line block ×4, first 2 shown]
	ds_read2_b64 v[19:22], v12 offset0:108 offset1:109
	ds_read2_b64 v[23:26], v12 offset0:110 offset1:111
	v_add_f64 v[125:126], v[47:48], -v[125:126]
	s_waitcnt vmcnt(60)
	v_add_f64 v[127:128], v[49:50], -v[127:128]
	s_waitcnt vmcnt(58)
	;; [unrolled: 2-line block ×3, first 2 shown]
	v_add_f64 v[131:132], v[53:54], -v[131:132]
	ds_read2_b64 v[27:30], v12 offset0:112 offset1:113
	ds_read2_b64 v[31:34], v12 offset0:114 offset1:115
	s_waitcnt vmcnt(54)
	v_add_f64 v[55:56], v[55:56], -v[133:134]
	ds_read2_b64 v[35:38], v12 offset0:116 offset1:117
	ds_read2_b64 v[39:42], v12 offset0:118 offset1:119
	;; [unrolled: 1-line block ×5, first 2 shown]
	s_waitcnt vmcnt(52)
	v_add_f64 v[57:58], v[57:58], -v[59:60]
	buffer_store_dword v61, off, s[0:3], 0 offset:736
	buffer_store_dword v62, off, s[0:3], 0 offset:740
	;; [unrolled: 1-line block ×24, first 2 shown]
	s_waitcnt vmcnt(50) lgkmcnt(10)
	v_mul_f64 v[55:56], v[2:3], v[63:64]
	v_mul_f64 v[57:58], v[0:1], v[63:64]
	s_waitcnt lgkmcnt(9)
	v_mul_f64 v[59:60], v[17:18], v[63:64]
	v_mul_f64 v[61:62], v[15:16], v[63:64]
	s_waitcnt lgkmcnt(8)
	;; [unrolled: 3-line block ×5, first 2 shown]
	v_mul_f64 v[127:128], v[33:34], v[63:64]
	v_mul_f64 v[63:64], v[31:32], v[63:64]
	s_waitcnt vmcnt(48) lgkmcnt(4)
	v_mul_f64 v[129:130], v[37:38], v[65:66]
	v_mul_f64 v[131:132], v[35:36], v[65:66]
	s_waitcnt lgkmcnt(3)
	v_mul_f64 v[133:134], v[41:42], v[65:66]
	v_mul_f64 v[135:136], v[39:40], v[65:66]
	s_waitcnt lgkmcnt(2)
	;; [unrolled: 3-line block ×4, first 2 shown]
	v_mul_f64 v[148:149], v[53:54], v[65:66]
	v_mul_f64 v[65:66], v[51:52], v[65:66]
	s_waitcnt vmcnt(46)
	v_fma_f64 v[0:1], v[0:1], v[67:68], -v[55:56]
	v_fma_f64 v[2:3], v[2:3], v[67:68], v[57:58]
	v_fma_f64 v[15:16], v[15:16], v[67:68], -v[59:60]
	v_fma_f64 v[17:18], v[17:18], v[67:68], v[61:62]
	;; [unrolled: 2-line block ×6, first 2 shown]
	s_waitcnt vmcnt(32)
	v_fma_f64 v[35:36], v[35:36], v[81:82], -v[129:130]
	v_fma_f64 v[37:38], v[37:38], v[81:82], v[131:132]
	v_fma_f64 v[39:40], v[39:40], v[81:82], -v[133:134]
	v_fma_f64 v[41:42], v[41:42], v[81:82], v[135:136]
	;; [unrolled: 2-line block ×5, first 2 shown]
	v_add_f64 v[0:1], v[69:70], -v[0:1]
	v_add_f64 v[2:3], v[71:72], -v[2:3]
	;; [unrolled: 1-line block ×6, first 2 shown]
	s_waitcnt vmcnt(30)
	v_add_f64 v[23:24], v[83:84], -v[23:24]
	s_waitcnt vmcnt(28)
	v_add_f64 v[25:26], v[85:86], -v[25:26]
	;; [unrolled: 2-line block ×7, first 2 shown]
	v_add_f64 v[37:38], v[97:98], -v[37:38]
	s_waitcnt vmcnt(14)
	v_add_f64 v[39:40], v[99:100], -v[39:40]
	s_waitcnt vmcnt(12)
	;; [unrolled: 2-line block ×8, first 2 shown]
	v_add_f64 v[53:54], v[113:114], -v[53:54]
	buffer_store_dword v1, off, s[0:3], 0 offset:836
	buffer_store_dword v0, off, s[0:3], 0 offset:832
	;; [unrolled: 1-line block ×44, first 2 shown]
.LBB124_1098:
	s_or_b32 exec_lo, exec_lo, s4
	v_mov_b32_e32 v3, s35
	s_waitcnt_vscnt null, 0x0
	s_barrier
	buffer_gl0_inv
	v_lshl_add_u32 v4, v11, 4, v12
	s_clause 0x3
	buffer_load_dword v0, v3, s[0:3], 0 offen
	buffer_load_dword v1, v3, s[0:3], 0 offen offset:4
	buffer_load_dword v2, v3, s[0:3], 0 offen offset:8
	;; [unrolled: 1-line block ×3, first 2 shown]
	s_cmp_lt_i32 s57, 48
	s_waitcnt vmcnt(0)
	ds_write2_b64 v4, v[0:1], v[2:3] offset1:1
	s_waitcnt lgkmcnt(0)
	s_barrier
	buffer_gl0_inv
	ds_read2_b64 v[0:3], v12 offset0:92 offset1:93
	v_mov_b32_e32 v4, 46
	s_cbranch_scc1 .LBB124_1101
; %bb.1099:
	v_add3_u32 v10, v14, 0, 0x2f0
	v_mov_b32_e32 v4, 46
	s_mov_b32 s16, 47
	s_inst_prefetch 0x1
	.p2align	6
.LBB124_1100:                           ; =>This Inner Loop Header: Depth=1
	s_waitcnt lgkmcnt(0)
	v_cmp_gt_f64_e32 vcc_lo, 0, v[2:3]
	v_cmp_gt_f64_e64 s4, 0, v[0:1]
	ds_read2_b64 v[15:18], v10 offset1:1
	v_xor_b32_e32 v20, 0x80000000, v1
	v_xor_b32_e32 v22, 0x80000000, v3
	v_mov_b32_e32 v19, v0
	v_mov_b32_e32 v21, v2
	v_add_nc_u32_e32 v10, 16, v10
	s_waitcnt lgkmcnt(0)
	v_xor_b32_e32 v24, 0x80000000, v18
	v_cndmask_b32_e64 v20, v1, v20, s4
	v_cndmask_b32_e32 v22, v3, v22, vcc_lo
	v_cmp_gt_f64_e32 vcc_lo, 0, v[17:18]
	v_cmp_gt_f64_e64 s4, 0, v[15:16]
	v_mov_b32_e32 v23, v17
	v_add_f64 v[19:20], v[19:20], v[21:22]
	v_xor_b32_e32 v22, 0x80000000, v16
	v_mov_b32_e32 v21, v15
	v_cndmask_b32_e32 v24, v18, v24, vcc_lo
	v_cndmask_b32_e64 v22, v16, v22, s4
	v_add_f64 v[21:22], v[21:22], v[23:24]
	v_cmp_lt_f64_e32 vcc_lo, v[19:20], v[21:22]
	v_cndmask_b32_e32 v1, v1, v16, vcc_lo
	v_cndmask_b32_e32 v0, v0, v15, vcc_lo
	;; [unrolled: 1-line block ×4, first 2 shown]
	v_cndmask_b32_e64 v4, v4, s16, vcc_lo
	s_add_i32 s16, s16, 1
	s_cmp_lg_u32 s57, s16
	s_cbranch_scc1 .LBB124_1100
.LBB124_1101:
	s_inst_prefetch 0x2
	s_waitcnt lgkmcnt(0)
	v_cmp_eq_f64_e32 vcc_lo, 0, v[0:1]
	v_cmp_eq_f64_e64 s4, 0, v[2:3]
	s_and_b32 s4, vcc_lo, s4
	s_and_saveexec_b32 s16, s4
	s_xor_b32 s4, exec_lo, s16
; %bb.1102:
	v_cmp_ne_u32_e32 vcc_lo, 0, v13
	v_cndmask_b32_e32 v13, 47, v13, vcc_lo
; %bb.1103:
	s_andn2_saveexec_b32 s4, s4
	s_cbranch_execz .LBB124_1109
; %bb.1104:
	v_cmp_ngt_f64_e64 s16, |v[0:1]|, |v[2:3]|
	s_and_saveexec_b32 s17, s16
	s_xor_b32 s16, exec_lo, s17
	s_cbranch_execz .LBB124_1106
; %bb.1105:
	v_div_scale_f64 v[15:16], null, v[2:3], v[2:3], v[0:1]
	v_div_scale_f64 v[21:22], vcc_lo, v[0:1], v[2:3], v[0:1]
	v_rcp_f64_e32 v[17:18], v[15:16]
	v_fma_f64 v[19:20], -v[15:16], v[17:18], 1.0
	v_fma_f64 v[17:18], v[17:18], v[19:20], v[17:18]
	v_fma_f64 v[19:20], -v[15:16], v[17:18], 1.0
	v_fma_f64 v[17:18], v[17:18], v[19:20], v[17:18]
	v_mul_f64 v[19:20], v[21:22], v[17:18]
	v_fma_f64 v[15:16], -v[15:16], v[19:20], v[21:22]
	v_div_fmas_f64 v[15:16], v[15:16], v[17:18], v[19:20]
	v_div_fixup_f64 v[15:16], v[15:16], v[2:3], v[0:1]
	v_fma_f64 v[0:1], v[0:1], v[15:16], v[2:3]
	v_div_scale_f64 v[2:3], null, v[0:1], v[0:1], 1.0
	v_rcp_f64_e32 v[17:18], v[2:3]
	v_fma_f64 v[19:20], -v[2:3], v[17:18], 1.0
	v_fma_f64 v[17:18], v[17:18], v[19:20], v[17:18]
	v_fma_f64 v[19:20], -v[2:3], v[17:18], 1.0
	v_fma_f64 v[17:18], v[17:18], v[19:20], v[17:18]
	v_div_scale_f64 v[19:20], vcc_lo, 1.0, v[0:1], 1.0
	v_mul_f64 v[21:22], v[19:20], v[17:18]
	v_fma_f64 v[2:3], -v[2:3], v[21:22], v[19:20]
	v_div_fmas_f64 v[2:3], v[2:3], v[17:18], v[21:22]
	v_div_fixup_f64 v[2:3], v[2:3], v[0:1], 1.0
	v_mul_f64 v[0:1], v[15:16], v[2:3]
	v_xor_b32_e32 v3, 0x80000000, v3
.LBB124_1106:
	s_andn2_saveexec_b32 s16, s16
	s_cbranch_execz .LBB124_1108
; %bb.1107:
	v_div_scale_f64 v[15:16], null, v[0:1], v[0:1], v[2:3]
	v_div_scale_f64 v[21:22], vcc_lo, v[2:3], v[0:1], v[2:3]
	v_rcp_f64_e32 v[17:18], v[15:16]
	v_fma_f64 v[19:20], -v[15:16], v[17:18], 1.0
	v_fma_f64 v[17:18], v[17:18], v[19:20], v[17:18]
	v_fma_f64 v[19:20], -v[15:16], v[17:18], 1.0
	v_fma_f64 v[17:18], v[17:18], v[19:20], v[17:18]
	v_mul_f64 v[19:20], v[21:22], v[17:18]
	v_fma_f64 v[15:16], -v[15:16], v[19:20], v[21:22]
	v_div_fmas_f64 v[15:16], v[15:16], v[17:18], v[19:20]
	v_div_fixup_f64 v[15:16], v[15:16], v[0:1], v[2:3]
	v_fma_f64 v[0:1], v[2:3], v[15:16], v[0:1]
	v_div_scale_f64 v[2:3], null, v[0:1], v[0:1], 1.0
	v_rcp_f64_e32 v[17:18], v[2:3]
	v_fma_f64 v[19:20], -v[2:3], v[17:18], 1.0
	v_fma_f64 v[17:18], v[17:18], v[19:20], v[17:18]
	v_fma_f64 v[19:20], -v[2:3], v[17:18], 1.0
	v_fma_f64 v[17:18], v[17:18], v[19:20], v[17:18]
	v_div_scale_f64 v[19:20], vcc_lo, 1.0, v[0:1], 1.0
	v_mul_f64 v[21:22], v[19:20], v[17:18]
	v_fma_f64 v[2:3], -v[2:3], v[21:22], v[19:20]
	v_div_fmas_f64 v[2:3], v[2:3], v[17:18], v[21:22]
	v_div_fixup_f64 v[0:1], v[2:3], v[0:1], 1.0
	v_mul_f64 v[2:3], v[15:16], -v[0:1]
.LBB124_1108:
	s_or_b32 exec_lo, exec_lo, s16
.LBB124_1109:
	s_or_b32 exec_lo, exec_lo, s4
	s_mov_b32 s4, exec_lo
	v_cmpx_ne_u32_e64 v11, v4
	s_xor_b32 s4, exec_lo, s4
	s_cbranch_execz .LBB124_1115
; %bb.1110:
	s_mov_b32 s16, exec_lo
	v_cmpx_eq_u32_e32 46, v11
	s_cbranch_execz .LBB124_1114
; %bb.1111:
	v_cmp_ne_u32_e32 vcc_lo, 46, v4
	s_xor_b32 s17, s20, -1
	s_and_b32 s56, s17, vcc_lo
	s_and_saveexec_b32 s17, s56
	s_cbranch_execz .LBB124_1113
; %bb.1112:
	v_ashrrev_i32_e32 v5, 31, v4
	v_lshlrev_b64 v[10:11], 2, v[4:5]
	v_add_co_u32 v10, vcc_lo, v8, v10
	v_add_co_ci_u32_e64 v11, null, v9, v11, vcc_lo
	s_clause 0x1
	global_load_dword v5, v[10:11], off
	global_load_dword v15, v[8:9], off offset:184
	s_waitcnt vmcnt(1)
	global_store_dword v[8:9], v5, off offset:184
	s_waitcnt vmcnt(0)
	global_store_dword v[10:11], v15, off
.LBB124_1113:
	s_or_b32 exec_lo, exec_lo, s17
	v_mov_b32_e32 v11, v4
	v_mov_b32_e32 v5, v4
.LBB124_1114:
	s_or_b32 exec_lo, exec_lo, s16
.LBB124_1115:
	s_andn2_saveexec_b32 s4, s4
	s_cbranch_execz .LBB124_1117
; %bb.1116:
	v_mov_b32_e32 v4, s34
	v_mov_b32_e32 v11, s31
	;; [unrolled: 1-line block ×3, first 2 shown]
	s_clause 0x7
	buffer_load_dword v15, v4, s[0:3], 0 offen
	buffer_load_dword v16, v4, s[0:3], 0 offen offset:4
	buffer_load_dword v17, v4, s[0:3], 0 offen offset:8
	buffer_load_dword v18, v4, s[0:3], 0 offen offset:12
	buffer_load_dword v19, v10, s[0:3], 0 offen
	buffer_load_dword v20, v10, s[0:3], 0 offen offset:4
	buffer_load_dword v21, v10, s[0:3], 0 offen offset:8
	buffer_load_dword v22, v10, s[0:3], 0 offen offset:12
	v_mov_b32_e32 v4, s30
	v_mov_b32_e32 v10, s29
	s_clause 0x7
	buffer_load_dword v23, v11, s[0:3], 0 offen
	buffer_load_dword v24, v11, s[0:3], 0 offen offset:4
	buffer_load_dword v25, v11, s[0:3], 0 offen offset:8
	buffer_load_dword v26, v11, s[0:3], 0 offen offset:12
	buffer_load_dword v27, v4, s[0:3], 0 offen
	buffer_load_dword v28, v4, s[0:3], 0 offen offset:4
	buffer_load_dword v29, v4, s[0:3], 0 offen offset:8
	buffer_load_dword v30, v4, s[0:3], 0 offen offset:12
	v_mov_b32_e32 v11, s27
	v_mov_b32_e32 v4, s28
	;; [unrolled: 11-line block ×6, first 2 shown]
	s_clause 0x7
	buffer_load_dword v63, v10, s[0:3], 0 offen
	buffer_load_dword v64, v10, s[0:3], 0 offen offset:4
	buffer_load_dword v65, v10, s[0:3], 0 offen offset:8
	buffer_load_dword v66, v10, s[0:3], 0 offen offset:12
	buffer_load_dword v67, v4, s[0:3], 0 offen
	buffer_load_dword v68, v4, s[0:3], 0 offen offset:4
	buffer_load_dword v69, v4, s[0:3], 0 offen offset:8
	;; [unrolled: 1-line block ×3, first 2 shown]
	v_mov_b32_e32 v4, s5
	s_clause 0x7
	buffer_load_dword v71, v11, s[0:3], 0 offen
	buffer_load_dword v72, v11, s[0:3], 0 offen offset:4
	buffer_load_dword v73, v11, s[0:3], 0 offen offset:8
	;; [unrolled: 1-line block ×3, first 2 shown]
	buffer_load_dword v75, v4, s[0:3], 0 offen
	buffer_load_dword v76, v4, s[0:3], 0 offen offset:4
	buffer_load_dword v77, v4, s[0:3], 0 offen offset:8
	;; [unrolled: 1-line block ×3, first 2 shown]
	v_mov_b32_e32 v11, 46
	s_waitcnt vmcnt(60)
	ds_write2_b64 v12, v[15:16], v[17:18] offset0:94 offset1:95
	s_waitcnt vmcnt(56)
	ds_write2_b64 v12, v[19:20], v[21:22] offset0:96 offset1:97
	;; [unrolled: 2-line block ×16, first 2 shown]
.LBB124_1117:
	s_or_b32 exec_lo, exec_lo, s4
	s_mov_b32 s4, exec_lo
	s_waitcnt lgkmcnt(0)
	s_waitcnt_vscnt null, 0x0
	s_barrier
	buffer_gl0_inv
	v_cmpx_lt_i32_e32 46, v11
	s_cbranch_execz .LBB124_1119
; %bb.1118:
	s_clause 0x1b
	buffer_load_dword v15, off, s[0:3], 0 offset:744
	buffer_load_dword v16, off, s[0:3], 0 offset:748
	;; [unrolled: 1-line block ×28, first 2 shown]
	s_waitcnt vmcnt(26)
	v_mul_f64 v[19:20], v[0:1], v[15:16]
	v_mul_f64 v[15:16], v[2:3], v[15:16]
	s_waitcnt vmcnt(24)
	v_fma_f64 v[47:48], v[2:3], v[17:18], v[19:20]
	v_fma_f64 v[61:62], v[0:1], v[17:18], -v[15:16]
	buffer_store_dword v47, off, s[0:3], 0 offset:744
	buffer_store_dword v48, off, s[0:3], 0 offset:748
	s_clause 0x3
	buffer_load_dword v63, off, s[0:3], 0 offset:744
	buffer_load_dword v64, off, s[0:3], 0 offset:748
	;; [unrolled: 1-line block ×4, first 2 shown]
	buffer_store_dword v61, off, s[0:3], 0 offset:736
	buffer_store_dword v62, off, s[0:3], 0 offset:740
	s_clause 0x2b
	buffer_load_dword v67, off, s[0:3], 0 offset:736
	buffer_load_dword v68, off, s[0:3], 0 offset:740
	;; [unrolled: 1-line block ×44, first 2 shown]
	ds_read2_b64 v[0:3], v12 offset0:94 offset1:95
	ds_read2_b64 v[15:18], v12 offset0:96 offset1:97
	;; [unrolled: 1-line block ×6, first 2 shown]
	s_waitcnt lgkmcnt(5)
	v_mul_f64 v[111:112], v[2:3], v[47:48]
	v_mul_f64 v[113:114], v[0:1], v[47:48]
	s_waitcnt lgkmcnt(4)
	v_mul_f64 v[115:116], v[17:18], v[47:48]
	v_mul_f64 v[117:118], v[15:16], v[47:48]
	s_waitcnt lgkmcnt(3)
	v_mul_f64 v[121:122], v[19:20], v[47:48]
	s_waitcnt lgkmcnt(2)
	;; [unrolled: 2-line block ×3, first 2 shown]
	v_mul_f64 v[129:130], v[27:28], v[47:48]
	v_mul_f64 v[119:120], v[21:22], v[47:48]
	;; [unrolled: 1-line block ×4, first 2 shown]
	s_waitcnt lgkmcnt(0)
	v_mul_f64 v[131:132], v[33:34], v[47:48]
	v_mul_f64 v[47:48], v[31:32], v[47:48]
	v_fma_f64 v[0:1], v[0:1], v[61:62], -v[111:112]
	v_fma_f64 v[2:3], v[2:3], v[61:62], v[113:114]
	v_fma_f64 v[111:112], v[15:16], v[61:62], -v[115:116]
	v_fma_f64 v[113:114], v[17:18], v[61:62], v[117:118]
	v_fma_f64 v[117:118], v[21:22], v[61:62], v[121:122]
	;; [unrolled: 1-line block ×4, first 2 shown]
	v_fma_f64 v[115:116], v[19:20], v[61:62], -v[119:120]
	v_fma_f64 v[119:120], v[23:24], v[61:62], -v[123:124]
	;; [unrolled: 1-line block ×4, first 2 shown]
	v_fma_f64 v[61:62], v[33:34], v[61:62], v[47:48]
	s_waitcnt vmcnt(62)
	v_add_f64 v[129:130], v[35:36], -v[0:1]
	v_add_f64 v[131:132], v[37:38], -v[2:3]
	ds_read2_b64 v[0:3], v12 offset0:106 offset1:107
	ds_read2_b64 v[15:18], v12 offset0:108 offset1:109
	v_add_f64 v[111:112], v[39:40], -v[111:112]
	v_add_f64 v[113:114], v[41:42], -v[113:114]
	s_waitcnt vmcnt(60)
	v_add_f64 v[117:118], v[45:46], -v[117:118]
	s_waitcnt vmcnt(52)
	v_add_f64 v[55:56], v[55:56], -v[125:126]
	v_add_f64 v[115:116], v[43:44], -v[115:116]
	ds_read2_b64 v[19:22], v12 offset0:110 offset1:111
	ds_read2_b64 v[23:26], v12 offset0:112 offset1:113
	v_add_f64 v[119:120], v[49:50], -v[119:120]
	v_add_f64 v[51:52], v[51:52], -v[121:122]
	;; [unrolled: 1-line block ×3, first 2 shown]
	ds_read2_b64 v[27:30], v12 offset0:114 offset1:115
	ds_read2_b64 v[31:34], v12 offset0:116 offset1:117
	;; [unrolled: 1-line block ×6, first 2 shown]
	s_waitcnt vmcnt(48)
	v_add_f64 v[59:60], v[59:60], -v[61:62]
	v_add_f64 v[57:58], v[57:58], -v[127:128]
	buffer_store_dword v129, off, s[0:3], 0 offset:752
	buffer_store_dword v130, off, s[0:3], 0 offset:756
	;; [unrolled: 1-line block ×24, first 2 shown]
	s_waitcnt vmcnt(46) lgkmcnt(9)
	v_mul_f64 v[51:52], v[2:3], v[63:64]
	v_mul_f64 v[53:54], v[0:1], v[63:64]
	s_waitcnt lgkmcnt(8)
	v_mul_f64 v[55:56], v[17:18], v[63:64]
	v_mul_f64 v[61:62], v[15:16], v[63:64]
	s_waitcnt lgkmcnt(7)
	v_mul_f64 v[111:112], v[21:22], v[63:64]
	v_mul_f64 v[113:114], v[19:20], v[63:64]
	s_waitcnt lgkmcnt(6)
	v_mul_f64 v[115:116], v[25:26], v[63:64]
	v_mul_f64 v[117:118], v[23:24], v[63:64]
	s_waitcnt lgkmcnt(5)
	v_mul_f64 v[119:120], v[29:30], v[63:64]
	v_mul_f64 v[121:122], v[27:28], v[63:64]
	s_waitcnt lgkmcnt(4)
	v_mul_f64 v[123:124], v[33:34], v[63:64]
	v_mul_f64 v[63:64], v[31:32], v[63:64]
	s_waitcnt vmcnt(44) lgkmcnt(3)
	v_mul_f64 v[125:126], v[37:38], v[65:66]
	v_mul_f64 v[127:128], v[35:36], v[65:66]
	s_waitcnt lgkmcnt(2)
	v_mul_f64 v[129:130], v[41:42], v[65:66]
	v_mul_f64 v[131:132], v[39:40], v[65:66]
	s_waitcnt lgkmcnt(1)
	;; [unrolled: 3-line block ×3, first 2 shown]
	v_mul_f64 v[137:138], v[49:50], v[65:66]
	v_mul_f64 v[65:66], v[47:48], v[65:66]
	s_waitcnt vmcnt(42)
	v_fma_f64 v[0:1], v[0:1], v[67:68], -v[51:52]
	v_fma_f64 v[2:3], v[2:3], v[67:68], v[53:54]
	v_fma_f64 v[15:16], v[15:16], v[67:68], -v[55:56]
	v_fma_f64 v[17:18], v[17:18], v[67:68], v[61:62]
	;; [unrolled: 2-line block ×6, first 2 shown]
	s_waitcnt vmcnt(36)
	v_fma_f64 v[35:36], v[35:36], v[73:74], -v[125:126]
	v_fma_f64 v[37:38], v[37:38], v[73:74], v[127:128]
	v_fma_f64 v[39:40], v[39:40], v[73:74], -v[129:130]
	v_fma_f64 v[41:42], v[41:42], v[73:74], v[131:132]
	v_fma_f64 v[43:44], v[43:44], v[73:74], -v[133:134]
	v_fma_f64 v[45:46], v[45:46], v[73:74], v[135:136]
	v_fma_f64 v[47:48], v[47:48], v[73:74], -v[137:138]
	v_fma_f64 v[49:50], v[49:50], v[73:74], v[65:66]
	v_add_f64 v[0:1], v[69:70], -v[0:1]
	v_add_f64 v[2:3], v[71:72], -v[2:3]
	s_waitcnt vmcnt(34)
	v_add_f64 v[15:16], v[75:76], -v[15:16]
	s_waitcnt vmcnt(32)
	v_add_f64 v[17:18], v[77:78], -v[17:18]
	s_waitcnt vmcnt(30)
	v_add_f64 v[19:20], v[79:80], -v[19:20]
	s_waitcnt vmcnt(28)
	v_add_f64 v[21:22], v[81:82], -v[21:22]
	s_waitcnt vmcnt(26)
	v_add_f64 v[23:24], v[83:84], -v[23:24]
	s_waitcnt vmcnt(24)
	v_add_f64 v[25:26], v[85:86], -v[25:26]
	s_waitcnt vmcnt(22)
	v_add_f64 v[27:28], v[87:88], -v[27:28]
	s_waitcnt vmcnt(20)
	v_add_f64 v[29:30], v[89:90], -v[29:30]
	s_waitcnt vmcnt(18)
	v_add_f64 v[31:32], v[91:92], -v[31:32]
	s_waitcnt vmcnt(16)
	v_add_f64 v[33:34], v[93:94], -v[33:34]
	s_waitcnt vmcnt(12)
	v_add_f64 v[35:36], v[95:96], -v[35:36]
	v_add_f64 v[37:38], v[97:98], -v[37:38]
	s_waitcnt vmcnt(10)
	v_add_f64 v[39:40], v[99:100], -v[39:40]
	s_waitcnt vmcnt(8)
	;; [unrolled: 2-line block ×6, first 2 shown]
	v_add_f64 v[49:50], v[109:110], -v[49:50]
	buffer_store_dword v1, off, s[0:3], 0 offset:852
	buffer_store_dword v0, off, s[0:3], 0 offset:848
	;; [unrolled: 1-line block ×40, first 2 shown]
.LBB124_1119:
	s_or_b32 exec_lo, exec_lo, s4
	v_mov_b32_e32 v3, s34
	s_waitcnt_vscnt null, 0x0
	s_barrier
	buffer_gl0_inv
	v_lshl_add_u32 v4, v11, 4, v12
	s_clause 0x3
	buffer_load_dword v0, v3, s[0:3], 0 offen
	buffer_load_dword v1, v3, s[0:3], 0 offen offset:4
	buffer_load_dword v2, v3, s[0:3], 0 offen offset:8
	;; [unrolled: 1-line block ×3, first 2 shown]
	s_cmp_lt_i32 s57, 49
	s_waitcnt vmcnt(0)
	ds_write2_b64 v4, v[0:1], v[2:3] offset1:1
	s_waitcnt lgkmcnt(0)
	s_barrier
	buffer_gl0_inv
	ds_read2_b64 v[0:3], v12 offset0:94 offset1:95
	v_mov_b32_e32 v4, 47
	s_cbranch_scc1 .LBB124_1122
; %bb.1120:
	v_add3_u32 v10, v14, 0, 0x300
	v_mov_b32_e32 v4, 47
	s_mov_b32 s16, 48
	s_inst_prefetch 0x1
	.p2align	6
.LBB124_1121:                           ; =>This Inner Loop Header: Depth=1
	s_waitcnt lgkmcnt(0)
	v_cmp_gt_f64_e32 vcc_lo, 0, v[2:3]
	v_cmp_gt_f64_e64 s4, 0, v[0:1]
	ds_read2_b64 v[15:18], v10 offset1:1
	v_xor_b32_e32 v20, 0x80000000, v1
	v_xor_b32_e32 v22, 0x80000000, v3
	v_mov_b32_e32 v19, v0
	v_mov_b32_e32 v21, v2
	v_add_nc_u32_e32 v10, 16, v10
	s_waitcnt lgkmcnt(0)
	v_xor_b32_e32 v24, 0x80000000, v18
	v_cndmask_b32_e64 v20, v1, v20, s4
	v_cndmask_b32_e32 v22, v3, v22, vcc_lo
	v_cmp_gt_f64_e32 vcc_lo, 0, v[17:18]
	v_cmp_gt_f64_e64 s4, 0, v[15:16]
	v_mov_b32_e32 v23, v17
	v_add_f64 v[19:20], v[19:20], v[21:22]
	v_xor_b32_e32 v22, 0x80000000, v16
	v_mov_b32_e32 v21, v15
	v_cndmask_b32_e32 v24, v18, v24, vcc_lo
	v_cndmask_b32_e64 v22, v16, v22, s4
	v_add_f64 v[21:22], v[21:22], v[23:24]
	v_cmp_lt_f64_e32 vcc_lo, v[19:20], v[21:22]
	v_cndmask_b32_e32 v1, v1, v16, vcc_lo
	v_cndmask_b32_e32 v0, v0, v15, vcc_lo
	;; [unrolled: 1-line block ×4, first 2 shown]
	v_cndmask_b32_e64 v4, v4, s16, vcc_lo
	s_add_i32 s16, s16, 1
	s_cmp_lg_u32 s57, s16
	s_cbranch_scc1 .LBB124_1121
.LBB124_1122:
	s_inst_prefetch 0x2
	s_waitcnt lgkmcnt(0)
	v_cmp_eq_f64_e32 vcc_lo, 0, v[0:1]
	v_cmp_eq_f64_e64 s4, 0, v[2:3]
	s_and_b32 s4, vcc_lo, s4
	s_and_saveexec_b32 s16, s4
	s_xor_b32 s4, exec_lo, s16
; %bb.1123:
	v_cmp_ne_u32_e32 vcc_lo, 0, v13
	v_cndmask_b32_e32 v13, 48, v13, vcc_lo
; %bb.1124:
	s_andn2_saveexec_b32 s4, s4
	s_cbranch_execz .LBB124_1130
; %bb.1125:
	v_cmp_ngt_f64_e64 s16, |v[0:1]|, |v[2:3]|
	s_and_saveexec_b32 s17, s16
	s_xor_b32 s16, exec_lo, s17
	s_cbranch_execz .LBB124_1127
; %bb.1126:
	v_div_scale_f64 v[15:16], null, v[2:3], v[2:3], v[0:1]
	v_div_scale_f64 v[21:22], vcc_lo, v[0:1], v[2:3], v[0:1]
	v_rcp_f64_e32 v[17:18], v[15:16]
	v_fma_f64 v[19:20], -v[15:16], v[17:18], 1.0
	v_fma_f64 v[17:18], v[17:18], v[19:20], v[17:18]
	v_fma_f64 v[19:20], -v[15:16], v[17:18], 1.0
	v_fma_f64 v[17:18], v[17:18], v[19:20], v[17:18]
	v_mul_f64 v[19:20], v[21:22], v[17:18]
	v_fma_f64 v[15:16], -v[15:16], v[19:20], v[21:22]
	v_div_fmas_f64 v[15:16], v[15:16], v[17:18], v[19:20]
	v_div_fixup_f64 v[15:16], v[15:16], v[2:3], v[0:1]
	v_fma_f64 v[0:1], v[0:1], v[15:16], v[2:3]
	v_div_scale_f64 v[2:3], null, v[0:1], v[0:1], 1.0
	v_rcp_f64_e32 v[17:18], v[2:3]
	v_fma_f64 v[19:20], -v[2:3], v[17:18], 1.0
	v_fma_f64 v[17:18], v[17:18], v[19:20], v[17:18]
	v_fma_f64 v[19:20], -v[2:3], v[17:18], 1.0
	v_fma_f64 v[17:18], v[17:18], v[19:20], v[17:18]
	v_div_scale_f64 v[19:20], vcc_lo, 1.0, v[0:1], 1.0
	v_mul_f64 v[21:22], v[19:20], v[17:18]
	v_fma_f64 v[2:3], -v[2:3], v[21:22], v[19:20]
	v_div_fmas_f64 v[2:3], v[2:3], v[17:18], v[21:22]
	v_div_fixup_f64 v[2:3], v[2:3], v[0:1], 1.0
	v_mul_f64 v[0:1], v[15:16], v[2:3]
	v_xor_b32_e32 v3, 0x80000000, v3
.LBB124_1127:
	s_andn2_saveexec_b32 s16, s16
	s_cbranch_execz .LBB124_1129
; %bb.1128:
	v_div_scale_f64 v[15:16], null, v[0:1], v[0:1], v[2:3]
	v_div_scale_f64 v[21:22], vcc_lo, v[2:3], v[0:1], v[2:3]
	v_rcp_f64_e32 v[17:18], v[15:16]
	v_fma_f64 v[19:20], -v[15:16], v[17:18], 1.0
	v_fma_f64 v[17:18], v[17:18], v[19:20], v[17:18]
	v_fma_f64 v[19:20], -v[15:16], v[17:18], 1.0
	v_fma_f64 v[17:18], v[17:18], v[19:20], v[17:18]
	v_mul_f64 v[19:20], v[21:22], v[17:18]
	v_fma_f64 v[15:16], -v[15:16], v[19:20], v[21:22]
	v_div_fmas_f64 v[15:16], v[15:16], v[17:18], v[19:20]
	v_div_fixup_f64 v[15:16], v[15:16], v[0:1], v[2:3]
	v_fma_f64 v[0:1], v[2:3], v[15:16], v[0:1]
	v_div_scale_f64 v[2:3], null, v[0:1], v[0:1], 1.0
	v_rcp_f64_e32 v[17:18], v[2:3]
	v_fma_f64 v[19:20], -v[2:3], v[17:18], 1.0
	v_fma_f64 v[17:18], v[17:18], v[19:20], v[17:18]
	v_fma_f64 v[19:20], -v[2:3], v[17:18], 1.0
	v_fma_f64 v[17:18], v[17:18], v[19:20], v[17:18]
	v_div_scale_f64 v[19:20], vcc_lo, 1.0, v[0:1], 1.0
	v_mul_f64 v[21:22], v[19:20], v[17:18]
	v_fma_f64 v[2:3], -v[2:3], v[21:22], v[19:20]
	v_div_fmas_f64 v[2:3], v[2:3], v[17:18], v[21:22]
	v_div_fixup_f64 v[0:1], v[2:3], v[0:1], 1.0
	v_mul_f64 v[2:3], v[15:16], -v[0:1]
.LBB124_1129:
	s_or_b32 exec_lo, exec_lo, s16
.LBB124_1130:
	s_or_b32 exec_lo, exec_lo, s4
	s_mov_b32 s4, exec_lo
	v_cmpx_ne_u32_e64 v11, v4
	s_xor_b32 s4, exec_lo, s4
	s_cbranch_execz .LBB124_1136
; %bb.1131:
	s_mov_b32 s16, exec_lo
	v_cmpx_eq_u32_e32 47, v11
	s_cbranch_execz .LBB124_1135
; %bb.1132:
	v_cmp_ne_u32_e32 vcc_lo, 47, v4
	s_xor_b32 s17, s20, -1
	s_and_b32 s56, s17, vcc_lo
	s_and_saveexec_b32 s17, s56
	s_cbranch_execz .LBB124_1134
; %bb.1133:
	v_ashrrev_i32_e32 v5, 31, v4
	v_lshlrev_b64 v[10:11], 2, v[4:5]
	v_add_co_u32 v10, vcc_lo, v8, v10
	v_add_co_ci_u32_e64 v11, null, v9, v11, vcc_lo
	s_clause 0x1
	global_load_dword v5, v[10:11], off
	global_load_dword v15, v[8:9], off offset:188
	s_waitcnt vmcnt(1)
	global_store_dword v[8:9], v5, off offset:188
	s_waitcnt vmcnt(0)
	global_store_dword v[10:11], v15, off
.LBB124_1134:
	s_or_b32 exec_lo, exec_lo, s17
	v_mov_b32_e32 v11, v4
	v_mov_b32_e32 v5, v4
.LBB124_1135:
	s_or_b32 exec_lo, exec_lo, s16
.LBB124_1136:
	s_andn2_saveexec_b32 s4, s4
	s_cbranch_execz .LBB124_1138
; %bb.1137:
	v_mov_b32_e32 v4, s33
	v_mov_b32_e32 v10, s31
	v_mov_b32_e32 v11, s30
	s_clause 0x7
	buffer_load_dword v15, v4, s[0:3], 0 offen
	buffer_load_dword v16, v4, s[0:3], 0 offen offset:4
	buffer_load_dword v17, v4, s[0:3], 0 offen offset:8
	buffer_load_dword v18, v4, s[0:3], 0 offen offset:12
	buffer_load_dword v19, v10, s[0:3], 0 offen
	buffer_load_dword v20, v10, s[0:3], 0 offen offset:4
	buffer_load_dword v21, v10, s[0:3], 0 offen offset:8
	buffer_load_dword v22, v10, s[0:3], 0 offen offset:12
	v_mov_b32_e32 v10, s28
	v_mov_b32_e32 v4, s29
	s_clause 0x7
	buffer_load_dword v23, v11, s[0:3], 0 offen
	buffer_load_dword v24, v11, s[0:3], 0 offen offset:4
	buffer_load_dword v25, v11, s[0:3], 0 offen offset:8
	buffer_load_dword v26, v11, s[0:3], 0 offen offset:12
	buffer_load_dword v27, v4, s[0:3], 0 offen
	buffer_load_dword v28, v4, s[0:3], 0 offen offset:4
	buffer_load_dword v29, v4, s[0:3], 0 offen offset:8
	buffer_load_dword v30, v4, s[0:3], 0 offen offset:12
	v_mov_b32_e32 v4, s27
	v_mov_b32_e32 v11, s26
	;; [unrolled: 11-line block ×6, first 2 shown]
	s_clause 0xb
	buffer_load_dword v63, v10, s[0:3], 0 offen
	buffer_load_dword v64, v10, s[0:3], 0 offen offset:4
	buffer_load_dword v65, v10, s[0:3], 0 offen offset:8
	buffer_load_dword v66, v10, s[0:3], 0 offen offset:12
	buffer_load_dword v67, v4, s[0:3], 0 offen
	buffer_load_dword v68, v4, s[0:3], 0 offen offset:4
	buffer_load_dword v69, v4, s[0:3], 0 offen offset:8
	buffer_load_dword v70, v4, s[0:3], 0 offen offset:12
	;; [unrolled: 4-line block ×3, first 2 shown]
	v_mov_b32_e32 v11, 47
	s_waitcnt vmcnt(56)
	ds_write2_b64 v12, v[15:16], v[17:18] offset0:96 offset1:97
	s_waitcnt vmcnt(52)
	ds_write2_b64 v12, v[19:20], v[21:22] offset0:98 offset1:99
	;; [unrolled: 2-line block ×15, first 2 shown]
.LBB124_1138:
	s_or_b32 exec_lo, exec_lo, s4
	s_mov_b32 s4, exec_lo
	s_waitcnt lgkmcnt(0)
	s_waitcnt_vscnt null, 0x0
	s_barrier
	buffer_gl0_inv
	v_cmpx_lt_i32_e32 47, v11
	s_cbranch_execz .LBB124_1140
; %bb.1139:
	s_clause 0x1b
	buffer_load_dword v15, off, s[0:3], 0 offset:760
	buffer_load_dword v16, off, s[0:3], 0 offset:764
	;; [unrolled: 1-line block ×28, first 2 shown]
	s_waitcnt vmcnt(26)
	v_mul_f64 v[19:20], v[0:1], v[15:16]
	v_mul_f64 v[15:16], v[2:3], v[15:16]
	s_waitcnt vmcnt(24)
	v_fma_f64 v[47:48], v[2:3], v[17:18], v[19:20]
	v_fma_f64 v[61:62], v[0:1], v[17:18], -v[15:16]
	buffer_store_dword v47, off, s[0:3], 0 offset:760
	buffer_store_dword v48, off, s[0:3], 0 offset:764
	s_clause 0x3
	buffer_load_dword v63, off, s[0:3], 0 offset:760
	buffer_load_dword v64, off, s[0:3], 0 offset:764
	;; [unrolled: 1-line block ×4, first 2 shown]
	buffer_store_dword v61, off, s[0:3], 0 offset:752
	buffer_store_dword v62, off, s[0:3], 0 offset:756
	s_clause 0x27
	buffer_load_dword v67, off, s[0:3], 0 offset:752
	buffer_load_dword v68, off, s[0:3], 0 offset:756
	buffer_load_dword v70, off, s[0:3], 0 offset:868
	buffer_load_dword v72, off, s[0:3], 0 offset:876
	buffer_load_dword v71, off, s[0:3], 0 offset:872
	buffer_load_dword v69, off, s[0:3], 0 offset:864
	buffer_load_dword v74, off, s[0:3], 0 offset:756
	buffer_load_dword v73, off, s[0:3], 0 offset:752
	buffer_load_dword v75, off, s[0:3], 0 offset:880
	buffer_load_dword v76, off, s[0:3], 0 offset:884
	buffer_load_dword v77, off, s[0:3], 0 offset:888
	buffer_load_dword v78, off, s[0:3], 0 offset:892
	buffer_load_dword v79, off, s[0:3], 0 offset:896
	buffer_load_dword v80, off, s[0:3], 0 offset:900
	buffer_load_dword v81, off, s[0:3], 0 offset:904
	buffer_load_dword v82, off, s[0:3], 0 offset:908
	buffer_load_dword v83, off, s[0:3], 0 offset:912
	buffer_load_dword v84, off, s[0:3], 0 offset:916
	buffer_load_dword v85, off, s[0:3], 0 offset:920
	buffer_load_dword v86, off, s[0:3], 0 offset:924
	buffer_load_dword v87, off, s[0:3], 0 offset:928
	buffer_load_dword v88, off, s[0:3], 0 offset:932
	buffer_load_dword v89, off, s[0:3], 0 offset:936
	buffer_load_dword v90, off, s[0:3], 0 offset:940
	buffer_load_dword v91, off, s[0:3], 0 offset:944
	buffer_load_dword v92, off, s[0:3], 0 offset:948
	buffer_load_dword v93, off, s[0:3], 0 offset:952
	buffer_load_dword v94, off, s[0:3], 0 offset:956
	buffer_load_dword v96, off, s[0:3], 0 offset:964
	buffer_load_dword v98, off, s[0:3], 0 offset:972
	buffer_load_dword v97, off, s[0:3], 0 offset:968
	buffer_load_dword v95, off, s[0:3], 0 offset:960
	buffer_load_dword v99, off, s[0:3], 0 offset:976
	buffer_load_dword v100, off, s[0:3], 0 offset:980
	buffer_load_dword v101, off, s[0:3], 0 offset:984
	buffer_load_dword v102, off, s[0:3], 0 offset:988
	buffer_load_dword v103, off, s[0:3], 0 offset:992
	buffer_load_dword v104, off, s[0:3], 0 offset:996
	buffer_load_dword v105, off, s[0:3], 0 offset:1000
	buffer_load_dword v106, off, s[0:3], 0 offset:1004
	ds_read2_b64 v[0:3], v12 offset0:96 offset1:97
	ds_read2_b64 v[15:18], v12 offset0:98 offset1:99
	;; [unrolled: 1-line block ×6, first 2 shown]
	s_waitcnt lgkmcnt(5)
	v_mul_f64 v[107:108], v[2:3], v[47:48]
	v_mul_f64 v[109:110], v[0:1], v[47:48]
	s_waitcnt lgkmcnt(4)
	v_mul_f64 v[111:112], v[17:18], v[47:48]
	s_waitcnt lgkmcnt(2)
	v_mul_f64 v[119:120], v[25:26], v[47:48]
	v_mul_f64 v[113:114], v[15:16], v[47:48]
	;; [unrolled: 1-line block ×5, first 2 shown]
	s_waitcnt lgkmcnt(1)
	v_mul_f64 v[123:124], v[29:30], v[47:48]
	v_mul_f64 v[125:126], v[27:28], v[47:48]
	s_waitcnt lgkmcnt(0)
	v_mul_f64 v[127:128], v[33:34], v[47:48]
	v_mul_f64 v[47:48], v[31:32], v[47:48]
	v_fma_f64 v[0:1], v[0:1], v[61:62], -v[107:108]
	v_fma_f64 v[2:3], v[2:3], v[61:62], v[109:110]
	v_fma_f64 v[15:16], v[15:16], v[61:62], -v[111:112]
	v_fma_f64 v[111:112], v[23:24], v[61:62], -v[119:120]
	v_fma_f64 v[107:108], v[17:18], v[61:62], v[113:114]
	v_fma_f64 v[113:114], v[25:26], v[61:62], v[121:122]
	v_fma_f64 v[19:20], v[19:20], v[61:62], -v[115:116]
	v_fma_f64 v[109:110], v[21:22], v[61:62], v[117:118]
	v_fma_f64 v[115:116], v[27:28], v[61:62], -v[123:124]
	;; [unrolled: 2-line block ×3, first 2 shown]
	v_fma_f64 v[47:48], v[33:34], v[61:62], v[47:48]
	s_waitcnt vmcnt(62)
	v_add_f64 v[61:62], v[35:36], -v[0:1]
	v_add_f64 v[121:122], v[37:38], -v[2:3]
	;; [unrolled: 1-line block ×3, first 2 shown]
	ds_read2_b64 v[0:3], v12 offset0:108 offset1:109
	ds_read2_b64 v[15:18], v12 offset0:110 offset1:111
	s_waitcnt vmcnt(54)
	v_add_f64 v[49:50], v[49:50], -v[111:112]
	v_add_f64 v[107:108], v[41:42], -v[107:108]
	s_waitcnt vmcnt(52)
	v_add_f64 v[51:52], v[51:52], -v[113:114]
	v_add_f64 v[125:126], v[43:44], -v[19:20]
	ds_read2_b64 v[19:22], v12 offset0:112 offset1:113
	ds_read2_b64 v[23:26], v12 offset0:114 offset1:115
	v_add_f64 v[109:110], v[45:46], -v[109:110]
	ds_read2_b64 v[27:30], v12 offset0:116 offset1:117
	ds_read2_b64 v[31:34], v12 offset0:118 offset1:119
	s_waitcnt vmcnt(44)
	v_add_f64 v[47:48], v[59:60], -v[47:48]
	ds_read2_b64 v[35:38], v12 offset0:120 offset1:121
	ds_read2_b64 v[39:42], v12 offset0:122 offset1:123
	ds_read2_b64 v[43:46], v12 offset0:124 offset1:125
	v_add_f64 v[53:54], v[53:54], -v[115:116]
	v_add_f64 v[55:56], v[55:56], -v[117:118]
	;; [unrolled: 1-line block ×3, first 2 shown]
	buffer_store_dword v61, off, s[0:3], 0 offset:768
	buffer_store_dword v62, off, s[0:3], 0 offset:772
	;; [unrolled: 1-line block ×24, first 2 shown]
	s_waitcnt vmcnt(42) lgkmcnt(8)
	v_mul_f64 v[59:60], v[2:3], v[63:64]
	v_mul_f64 v[61:62], v[0:1], v[63:64]
	s_waitcnt lgkmcnt(7)
	v_mul_f64 v[49:50], v[17:18], v[63:64]
	v_mul_f64 v[107:108], v[15:16], v[63:64]
	s_waitcnt lgkmcnt(6)
	;; [unrolled: 3-line block ×5, first 2 shown]
	v_mul_f64 v[119:120], v[33:34], v[63:64]
	v_mul_f64 v[63:64], v[31:32], v[63:64]
	s_waitcnt vmcnt(40) lgkmcnt(2)
	v_mul_f64 v[121:122], v[37:38], v[65:66]
	v_mul_f64 v[123:124], v[35:36], v[65:66]
	s_waitcnt lgkmcnt(1)
	v_mul_f64 v[125:126], v[41:42], v[65:66]
	v_mul_f64 v[127:128], v[39:40], v[65:66]
	s_waitcnt lgkmcnt(0)
	v_mul_f64 v[129:130], v[45:46], v[65:66]
	v_mul_f64 v[65:66], v[43:44], v[65:66]
	s_waitcnt vmcnt(38)
	v_fma_f64 v[0:1], v[0:1], v[67:68], -v[59:60]
	v_fma_f64 v[2:3], v[2:3], v[67:68], v[61:62]
	v_fma_f64 v[15:16], v[15:16], v[67:68], -v[49:50]
	v_fma_f64 v[17:18], v[17:18], v[67:68], v[107:108]
	;; [unrolled: 2-line block ×6, first 2 shown]
	s_waitcnt vmcnt(32)
	v_fma_f64 v[35:36], v[35:36], v[73:74], -v[121:122]
	v_fma_f64 v[37:38], v[37:38], v[73:74], v[123:124]
	v_fma_f64 v[39:40], v[39:40], v[73:74], -v[125:126]
	v_fma_f64 v[41:42], v[41:42], v[73:74], v[127:128]
	;; [unrolled: 2-line block ×3, first 2 shown]
	v_add_f64 v[0:1], v[69:70], -v[0:1]
	v_add_f64 v[2:3], v[71:72], -v[2:3]
	s_waitcnt vmcnt(30)
	v_add_f64 v[15:16], v[75:76], -v[15:16]
	s_waitcnt vmcnt(28)
	;; [unrolled: 2-line block ×11, first 2 shown]
	v_add_f64 v[35:36], v[95:96], -v[35:36]
	v_add_f64 v[37:38], v[97:98], -v[37:38]
	s_waitcnt vmcnt(6)
	v_add_f64 v[39:40], v[99:100], -v[39:40]
	s_waitcnt vmcnt(4)
	v_add_f64 v[41:42], v[101:102], -v[41:42]
	s_waitcnt vmcnt(2)
	v_add_f64 v[43:44], v[103:104], -v[43:44]
	s_waitcnt vmcnt(0)
	v_add_f64 v[45:46], v[105:106], -v[45:46]
	buffer_store_dword v1, off, s[0:3], 0 offset:868
	buffer_store_dword v0, off, s[0:3], 0 offset:864
	;; [unrolled: 1-line block ×36, first 2 shown]
.LBB124_1140:
	s_or_b32 exec_lo, exec_lo, s4
	v_mov_b32_e32 v3, s33
	s_waitcnt_vscnt null, 0x0
	s_barrier
	buffer_gl0_inv
	v_lshl_add_u32 v4, v11, 4, v12
	s_clause 0x3
	buffer_load_dword v0, v3, s[0:3], 0 offen
	buffer_load_dword v1, v3, s[0:3], 0 offen offset:4
	buffer_load_dword v2, v3, s[0:3], 0 offen offset:8
	;; [unrolled: 1-line block ×3, first 2 shown]
	s_cmp_lt_i32 s57, 50
	s_waitcnt vmcnt(0)
	ds_write2_b64 v4, v[0:1], v[2:3] offset1:1
	s_waitcnt lgkmcnt(0)
	s_barrier
	buffer_gl0_inv
	ds_read2_b64 v[0:3], v12 offset0:96 offset1:97
	v_mov_b32_e32 v4, 48
	s_cbranch_scc1 .LBB124_1143
; %bb.1141:
	v_add3_u32 v10, v14, 0, 0x310
	v_mov_b32_e32 v4, 48
	s_mov_b32 s16, 49
	s_inst_prefetch 0x1
	.p2align	6
.LBB124_1142:                           ; =>This Inner Loop Header: Depth=1
	s_waitcnt lgkmcnt(0)
	v_cmp_gt_f64_e32 vcc_lo, 0, v[2:3]
	v_cmp_gt_f64_e64 s4, 0, v[0:1]
	ds_read2_b64 v[15:18], v10 offset1:1
	v_xor_b32_e32 v20, 0x80000000, v1
	v_xor_b32_e32 v22, 0x80000000, v3
	v_mov_b32_e32 v19, v0
	v_mov_b32_e32 v21, v2
	v_add_nc_u32_e32 v10, 16, v10
	s_waitcnt lgkmcnt(0)
	v_xor_b32_e32 v24, 0x80000000, v18
	v_cndmask_b32_e64 v20, v1, v20, s4
	v_cndmask_b32_e32 v22, v3, v22, vcc_lo
	v_cmp_gt_f64_e32 vcc_lo, 0, v[17:18]
	v_cmp_gt_f64_e64 s4, 0, v[15:16]
	v_mov_b32_e32 v23, v17
	v_add_f64 v[19:20], v[19:20], v[21:22]
	v_xor_b32_e32 v22, 0x80000000, v16
	v_mov_b32_e32 v21, v15
	v_cndmask_b32_e32 v24, v18, v24, vcc_lo
	v_cndmask_b32_e64 v22, v16, v22, s4
	v_add_f64 v[21:22], v[21:22], v[23:24]
	v_cmp_lt_f64_e32 vcc_lo, v[19:20], v[21:22]
	v_cndmask_b32_e32 v1, v1, v16, vcc_lo
	v_cndmask_b32_e32 v0, v0, v15, vcc_lo
	;; [unrolled: 1-line block ×4, first 2 shown]
	v_cndmask_b32_e64 v4, v4, s16, vcc_lo
	s_add_i32 s16, s16, 1
	s_cmp_lg_u32 s57, s16
	s_cbranch_scc1 .LBB124_1142
.LBB124_1143:
	s_inst_prefetch 0x2
	s_waitcnt lgkmcnt(0)
	v_cmp_eq_f64_e32 vcc_lo, 0, v[0:1]
	v_cmp_eq_f64_e64 s4, 0, v[2:3]
	s_and_b32 s4, vcc_lo, s4
	s_and_saveexec_b32 s16, s4
	s_xor_b32 s4, exec_lo, s16
; %bb.1144:
	v_cmp_ne_u32_e32 vcc_lo, 0, v13
	v_cndmask_b32_e32 v13, 49, v13, vcc_lo
; %bb.1145:
	s_andn2_saveexec_b32 s4, s4
	s_cbranch_execz .LBB124_1151
; %bb.1146:
	v_cmp_ngt_f64_e64 s16, |v[0:1]|, |v[2:3]|
	s_and_saveexec_b32 s17, s16
	s_xor_b32 s16, exec_lo, s17
	s_cbranch_execz .LBB124_1148
; %bb.1147:
	v_div_scale_f64 v[15:16], null, v[2:3], v[2:3], v[0:1]
	v_div_scale_f64 v[21:22], vcc_lo, v[0:1], v[2:3], v[0:1]
	v_rcp_f64_e32 v[17:18], v[15:16]
	v_fma_f64 v[19:20], -v[15:16], v[17:18], 1.0
	v_fma_f64 v[17:18], v[17:18], v[19:20], v[17:18]
	v_fma_f64 v[19:20], -v[15:16], v[17:18], 1.0
	v_fma_f64 v[17:18], v[17:18], v[19:20], v[17:18]
	v_mul_f64 v[19:20], v[21:22], v[17:18]
	v_fma_f64 v[15:16], -v[15:16], v[19:20], v[21:22]
	v_div_fmas_f64 v[15:16], v[15:16], v[17:18], v[19:20]
	v_div_fixup_f64 v[15:16], v[15:16], v[2:3], v[0:1]
	v_fma_f64 v[0:1], v[0:1], v[15:16], v[2:3]
	v_div_scale_f64 v[2:3], null, v[0:1], v[0:1], 1.0
	v_rcp_f64_e32 v[17:18], v[2:3]
	v_fma_f64 v[19:20], -v[2:3], v[17:18], 1.0
	v_fma_f64 v[17:18], v[17:18], v[19:20], v[17:18]
	v_fma_f64 v[19:20], -v[2:3], v[17:18], 1.0
	v_fma_f64 v[17:18], v[17:18], v[19:20], v[17:18]
	v_div_scale_f64 v[19:20], vcc_lo, 1.0, v[0:1], 1.0
	v_mul_f64 v[21:22], v[19:20], v[17:18]
	v_fma_f64 v[2:3], -v[2:3], v[21:22], v[19:20]
	v_div_fmas_f64 v[2:3], v[2:3], v[17:18], v[21:22]
	v_div_fixup_f64 v[2:3], v[2:3], v[0:1], 1.0
	v_mul_f64 v[0:1], v[15:16], v[2:3]
	v_xor_b32_e32 v3, 0x80000000, v3
.LBB124_1148:
	s_andn2_saveexec_b32 s16, s16
	s_cbranch_execz .LBB124_1150
; %bb.1149:
	v_div_scale_f64 v[15:16], null, v[0:1], v[0:1], v[2:3]
	v_div_scale_f64 v[21:22], vcc_lo, v[2:3], v[0:1], v[2:3]
	v_rcp_f64_e32 v[17:18], v[15:16]
	v_fma_f64 v[19:20], -v[15:16], v[17:18], 1.0
	v_fma_f64 v[17:18], v[17:18], v[19:20], v[17:18]
	v_fma_f64 v[19:20], -v[15:16], v[17:18], 1.0
	v_fma_f64 v[17:18], v[17:18], v[19:20], v[17:18]
	v_mul_f64 v[19:20], v[21:22], v[17:18]
	v_fma_f64 v[15:16], -v[15:16], v[19:20], v[21:22]
	v_div_fmas_f64 v[15:16], v[15:16], v[17:18], v[19:20]
	v_div_fixup_f64 v[15:16], v[15:16], v[0:1], v[2:3]
	v_fma_f64 v[0:1], v[2:3], v[15:16], v[0:1]
	v_div_scale_f64 v[2:3], null, v[0:1], v[0:1], 1.0
	v_rcp_f64_e32 v[17:18], v[2:3]
	v_fma_f64 v[19:20], -v[2:3], v[17:18], 1.0
	v_fma_f64 v[17:18], v[17:18], v[19:20], v[17:18]
	v_fma_f64 v[19:20], -v[2:3], v[17:18], 1.0
	v_fma_f64 v[17:18], v[17:18], v[19:20], v[17:18]
	v_div_scale_f64 v[19:20], vcc_lo, 1.0, v[0:1], 1.0
	v_mul_f64 v[21:22], v[19:20], v[17:18]
	v_fma_f64 v[2:3], -v[2:3], v[21:22], v[19:20]
	v_div_fmas_f64 v[2:3], v[2:3], v[17:18], v[21:22]
	v_div_fixup_f64 v[0:1], v[2:3], v[0:1], 1.0
	v_mul_f64 v[2:3], v[15:16], -v[0:1]
.LBB124_1150:
	s_or_b32 exec_lo, exec_lo, s16
.LBB124_1151:
	s_or_b32 exec_lo, exec_lo, s4
	s_mov_b32 s4, exec_lo
	v_cmpx_ne_u32_e64 v11, v4
	s_xor_b32 s4, exec_lo, s4
	s_cbranch_execz .LBB124_1157
; %bb.1152:
	s_mov_b32 s16, exec_lo
	v_cmpx_eq_u32_e32 48, v11
	s_cbranch_execz .LBB124_1156
; %bb.1153:
	v_cmp_ne_u32_e32 vcc_lo, 48, v4
	s_xor_b32 s17, s20, -1
	s_and_b32 s56, s17, vcc_lo
	s_and_saveexec_b32 s17, s56
	s_cbranch_execz .LBB124_1155
; %bb.1154:
	v_ashrrev_i32_e32 v5, 31, v4
	v_lshlrev_b64 v[10:11], 2, v[4:5]
	v_add_co_u32 v10, vcc_lo, v8, v10
	v_add_co_ci_u32_e64 v11, null, v9, v11, vcc_lo
	s_clause 0x1
	global_load_dword v5, v[10:11], off
	global_load_dword v15, v[8:9], off offset:192
	s_waitcnt vmcnt(1)
	global_store_dword v[8:9], v5, off offset:192
	s_waitcnt vmcnt(0)
	global_store_dword v[10:11], v15, off
.LBB124_1155:
	s_or_b32 exec_lo, exec_lo, s17
	v_mov_b32_e32 v11, v4
	v_mov_b32_e32 v5, v4
.LBB124_1156:
	s_or_b32 exec_lo, exec_lo, s16
.LBB124_1157:
	s_andn2_saveexec_b32 s4, s4
	s_cbranch_execz .LBB124_1159
; %bb.1158:
	v_mov_b32_e32 v4, s31
	v_mov_b32_e32 v10, s30
	;; [unrolled: 1-line block ×3, first 2 shown]
	s_clause 0x7
	buffer_load_dword v15, v4, s[0:3], 0 offen
	buffer_load_dword v16, v4, s[0:3], 0 offen offset:4
	buffer_load_dword v17, v4, s[0:3], 0 offen offset:8
	buffer_load_dword v18, v4, s[0:3], 0 offen offset:12
	buffer_load_dword v19, v10, s[0:3], 0 offen
	buffer_load_dword v20, v10, s[0:3], 0 offen offset:4
	buffer_load_dword v21, v10, s[0:3], 0 offen offset:8
	buffer_load_dword v22, v10, s[0:3], 0 offen offset:12
	v_mov_b32_e32 v10, s27
	v_mov_b32_e32 v4, s28
	s_clause 0x7
	buffer_load_dword v23, v11, s[0:3], 0 offen
	buffer_load_dword v24, v11, s[0:3], 0 offen offset:4
	buffer_load_dword v25, v11, s[0:3], 0 offen offset:8
	buffer_load_dword v26, v11, s[0:3], 0 offen offset:12
	buffer_load_dword v27, v4, s[0:3], 0 offen
	buffer_load_dword v28, v4, s[0:3], 0 offen offset:4
	buffer_load_dword v29, v4, s[0:3], 0 offen offset:8
	buffer_load_dword v30, v4, s[0:3], 0 offen offset:12
	v_mov_b32_e32 v4, s26
	v_mov_b32_e32 v11, s25
	;; [unrolled: 11-line block ×5, first 2 shown]
	s_clause 0x7
	buffer_load_dword v55, v11, s[0:3], 0 offen
	buffer_load_dword v56, v11, s[0:3], 0 offen offset:4
	buffer_load_dword v57, v11, s[0:3], 0 offen offset:8
	;; [unrolled: 1-line block ×3, first 2 shown]
	buffer_load_dword v59, v4, s[0:3], 0 offen
	buffer_load_dword v60, v4, s[0:3], 0 offen offset:4
	buffer_load_dword v61, v4, s[0:3], 0 offen offset:8
	;; [unrolled: 1-line block ×3, first 2 shown]
	v_mov_b32_e32 v4, s5
	s_clause 0x7
	buffer_load_dword v63, v10, s[0:3], 0 offen
	buffer_load_dword v64, v10, s[0:3], 0 offen offset:4
	buffer_load_dword v65, v10, s[0:3], 0 offen offset:8
	;; [unrolled: 1-line block ×3, first 2 shown]
	buffer_load_dword v67, v4, s[0:3], 0 offen
	buffer_load_dword v68, v4, s[0:3], 0 offen offset:4
	buffer_load_dword v69, v4, s[0:3], 0 offen offset:8
	;; [unrolled: 1-line block ×3, first 2 shown]
	v_mov_b32_e32 v11, 48
	s_waitcnt vmcnt(52)
	ds_write2_b64 v12, v[15:16], v[17:18] offset0:98 offset1:99
	s_waitcnt vmcnt(48)
	ds_write2_b64 v12, v[19:20], v[21:22] offset0:100 offset1:101
	;; [unrolled: 2-line block ×14, first 2 shown]
.LBB124_1159:
	s_or_b32 exec_lo, exec_lo, s4
	s_mov_b32 s4, exec_lo
	s_waitcnt lgkmcnt(0)
	s_waitcnt_vscnt null, 0x0
	s_barrier
	buffer_gl0_inv
	v_cmpx_lt_i32_e32 48, v11
	s_cbranch_execz .LBB124_1161
; %bb.1160:
	s_clause 0x1b
	buffer_load_dword v15, off, s[0:3], 0 offset:776
	buffer_load_dword v16, off, s[0:3], 0 offset:780
	;; [unrolled: 1-line block ×28, first 2 shown]
	s_waitcnt vmcnt(26)
	v_mul_f64 v[19:20], v[0:1], v[15:16]
	v_mul_f64 v[15:16], v[2:3], v[15:16]
	s_waitcnt vmcnt(24)
	v_fma_f64 v[39:40], v[2:3], v[17:18], v[19:20]
	v_fma_f64 v[61:62], v[0:1], v[17:18], -v[15:16]
	buffer_store_dword v39, off, s[0:3], 0 offset:776
	buffer_store_dword v40, off, s[0:3], 0 offset:780
	s_clause 0x3
	buffer_load_dword v63, off, s[0:3], 0 offset:776
	buffer_load_dword v64, off, s[0:3], 0 offset:780
	;; [unrolled: 1-line block ×4, first 2 shown]
	buffer_store_dword v61, off, s[0:3], 0 offset:768
	buffer_store_dword v62, off, s[0:3], 0 offset:772
	s_clause 0x23
	buffer_load_dword v67, off, s[0:3], 0 offset:768
	buffer_load_dword v68, off, s[0:3], 0 offset:772
	;; [unrolled: 1-line block ×36, first 2 shown]
	ds_read2_b64 v[0:3], v12 offset0:98 offset1:99
	ds_read2_b64 v[15:18], v12 offset0:100 offset1:101
	;; [unrolled: 1-line block ×6, first 2 shown]
	s_waitcnt lgkmcnt(5)
	v_mul_f64 v[103:104], v[2:3], v[39:40]
	v_mul_f64 v[105:106], v[0:1], v[39:40]
	s_waitcnt lgkmcnt(4)
	v_mul_f64 v[107:108], v[17:18], v[39:40]
	v_mul_f64 v[109:110], v[15:16], v[39:40]
	;; [unrolled: 3-line block ×6, first 2 shown]
	v_fma_f64 v[0:1], v[0:1], v[61:62], -v[103:104]
	v_fma_f64 v[2:3], v[2:3], v[61:62], v[105:106]
	v_fma_f64 v[15:16], v[15:16], v[61:62], -v[107:108]
	v_fma_f64 v[103:104], v[17:18], v[61:62], v[109:110]
	;; [unrolled: 2-line block ×6, first 2 shown]
	s_waitcnt vmcnt(62)
	v_add_f64 v[119:120], v[35:36], -v[0:1]
	s_waitcnt vmcnt(60)
	v_add_f64 v[121:122], v[37:38], -v[2:3]
	;; [unrolled: 2-line block ×3, first 2 shown]
	ds_read2_b64 v[0:3], v12 offset0:110 offset1:111
	ds_read2_b64 v[15:18], v12 offset0:112 offset1:113
	s_waitcnt vmcnt(56)
	v_add_f64 v[43:44], v[43:44], -v[103:104]
	s_waitcnt vmcnt(54)
	v_add_f64 v[45:46], v[45:46], -v[105:106]
	ds_read2_b64 v[19:22], v12 offset0:114 offset1:115
	ds_read2_b64 v[23:26], v12 offset0:116 offset1:117
	s_waitcnt vmcnt(52)
	v_add_f64 v[47:48], v[47:48], -v[107:108]
	ds_read2_b64 v[27:30], v12 offset0:118 offset1:119
	ds_read2_b64 v[31:34], v12 offset0:120 offset1:121
	;; [unrolled: 1-line block ×4, first 2 shown]
	s_waitcnt vmcnt(50)
	v_add_f64 v[49:50], v[49:50], -v[109:110]
	s_waitcnt vmcnt(48)
	v_add_f64 v[51:52], v[51:52], -v[111:112]
	;; [unrolled: 2-line block ×3, first 2 shown]
	v_add_f64 v[53:54], v[53:54], -v[113:114]
	v_add_f64 v[55:56], v[55:56], -v[115:116]
	;; [unrolled: 1-line block ×3, first 2 shown]
	buffer_store_dword v119, off, s[0:3], 0 offset:784
	buffer_store_dword v120, off, s[0:3], 0 offset:788
	;; [unrolled: 1-line block ×24, first 2 shown]
	s_waitcnt vmcnt(38) lgkmcnt(7)
	v_mul_f64 v[61:62], v[2:3], v[63:64]
	v_mul_f64 v[103:104], v[0:1], v[63:64]
	s_waitcnt lgkmcnt(6)
	v_mul_f64 v[43:44], v[17:18], v[63:64]
	v_mul_f64 v[105:106], v[15:16], v[63:64]
	s_waitcnt lgkmcnt(5)
	;; [unrolled: 3-line block ×5, first 2 shown]
	v_mul_f64 v[115:116], v[33:34], v[63:64]
	v_mul_f64 v[63:64], v[31:32], v[63:64]
	s_waitcnt vmcnt(36) lgkmcnt(1)
	v_mul_f64 v[117:118], v[37:38], v[65:66]
	v_mul_f64 v[119:120], v[35:36], v[65:66]
	s_waitcnt lgkmcnt(0)
	v_mul_f64 v[121:122], v[41:42], v[65:66]
	v_mul_f64 v[65:66], v[39:40], v[65:66]
	s_waitcnt vmcnt(34)
	v_fma_f64 v[0:1], v[0:1], v[67:68], -v[61:62]
	v_fma_f64 v[2:3], v[2:3], v[67:68], v[103:104]
	v_fma_f64 v[15:16], v[15:16], v[67:68], -v[43:44]
	v_fma_f64 v[17:18], v[17:18], v[67:68], v[105:106]
	;; [unrolled: 2-line block ×6, first 2 shown]
	s_waitcnt vmcnt(28)
	v_fma_f64 v[35:36], v[35:36], v[73:74], -v[117:118]
	v_fma_f64 v[37:38], v[37:38], v[73:74], v[119:120]
	v_fma_f64 v[39:40], v[39:40], v[73:74], -v[121:122]
	v_fma_f64 v[41:42], v[41:42], v[73:74], v[65:66]
	v_add_f64 v[0:1], v[69:70], -v[0:1]
	v_add_f64 v[2:3], v[71:72], -v[2:3]
	s_waitcnt vmcnt(26)
	v_add_f64 v[15:16], v[75:76], -v[15:16]
	s_waitcnt vmcnt(24)
	;; [unrolled: 2-line block ×11, first 2 shown]
	v_add_f64 v[35:36], v[95:96], -v[35:36]
	v_add_f64 v[37:38], v[97:98], -v[37:38]
	s_waitcnt vmcnt(2)
	v_add_f64 v[39:40], v[99:100], -v[39:40]
	s_waitcnt vmcnt(0)
	v_add_f64 v[41:42], v[101:102], -v[41:42]
	buffer_store_dword v1, off, s[0:3], 0 offset:884
	buffer_store_dword v0, off, s[0:3], 0 offset:880
	;; [unrolled: 1-line block ×32, first 2 shown]
.LBB124_1161:
	s_or_b32 exec_lo, exec_lo, s4
	v_mov_b32_e32 v3, s31
	s_waitcnt_vscnt null, 0x0
	s_barrier
	buffer_gl0_inv
	v_lshl_add_u32 v4, v11, 4, v12
	s_clause 0x3
	buffer_load_dword v0, v3, s[0:3], 0 offen
	buffer_load_dword v1, v3, s[0:3], 0 offen offset:4
	buffer_load_dword v2, v3, s[0:3], 0 offen offset:8
	;; [unrolled: 1-line block ×3, first 2 shown]
	s_cmp_lt_i32 s57, 51
	s_waitcnt vmcnt(0)
	ds_write2_b64 v4, v[0:1], v[2:3] offset1:1
	s_waitcnt lgkmcnt(0)
	s_barrier
	buffer_gl0_inv
	ds_read2_b64 v[0:3], v12 offset0:98 offset1:99
	v_mov_b32_e32 v4, 49
	s_cbranch_scc1 .LBB124_1164
; %bb.1162:
	v_add3_u32 v10, v14, 0, 0x320
	v_mov_b32_e32 v4, 49
	s_mov_b32 s16, 50
	s_inst_prefetch 0x1
	.p2align	6
.LBB124_1163:                           ; =>This Inner Loop Header: Depth=1
	s_waitcnt lgkmcnt(0)
	v_cmp_gt_f64_e32 vcc_lo, 0, v[2:3]
	v_cmp_gt_f64_e64 s4, 0, v[0:1]
	ds_read2_b64 v[15:18], v10 offset1:1
	v_xor_b32_e32 v20, 0x80000000, v1
	v_xor_b32_e32 v22, 0x80000000, v3
	v_mov_b32_e32 v19, v0
	v_mov_b32_e32 v21, v2
	v_add_nc_u32_e32 v10, 16, v10
	s_waitcnt lgkmcnt(0)
	v_xor_b32_e32 v24, 0x80000000, v18
	v_cndmask_b32_e64 v20, v1, v20, s4
	v_cndmask_b32_e32 v22, v3, v22, vcc_lo
	v_cmp_gt_f64_e32 vcc_lo, 0, v[17:18]
	v_cmp_gt_f64_e64 s4, 0, v[15:16]
	v_mov_b32_e32 v23, v17
	v_add_f64 v[19:20], v[19:20], v[21:22]
	v_xor_b32_e32 v22, 0x80000000, v16
	v_mov_b32_e32 v21, v15
	v_cndmask_b32_e32 v24, v18, v24, vcc_lo
	v_cndmask_b32_e64 v22, v16, v22, s4
	v_add_f64 v[21:22], v[21:22], v[23:24]
	v_cmp_lt_f64_e32 vcc_lo, v[19:20], v[21:22]
	v_cndmask_b32_e32 v1, v1, v16, vcc_lo
	v_cndmask_b32_e32 v0, v0, v15, vcc_lo
	;; [unrolled: 1-line block ×4, first 2 shown]
	v_cndmask_b32_e64 v4, v4, s16, vcc_lo
	s_add_i32 s16, s16, 1
	s_cmp_lg_u32 s57, s16
	s_cbranch_scc1 .LBB124_1163
.LBB124_1164:
	s_inst_prefetch 0x2
	s_waitcnt lgkmcnt(0)
	v_cmp_eq_f64_e32 vcc_lo, 0, v[0:1]
	v_cmp_eq_f64_e64 s4, 0, v[2:3]
	s_and_b32 s4, vcc_lo, s4
	s_and_saveexec_b32 s16, s4
	s_xor_b32 s4, exec_lo, s16
; %bb.1165:
	v_cmp_ne_u32_e32 vcc_lo, 0, v13
	v_cndmask_b32_e32 v13, 50, v13, vcc_lo
; %bb.1166:
	s_andn2_saveexec_b32 s4, s4
	s_cbranch_execz .LBB124_1172
; %bb.1167:
	v_cmp_ngt_f64_e64 s16, |v[0:1]|, |v[2:3]|
	s_and_saveexec_b32 s17, s16
	s_xor_b32 s16, exec_lo, s17
	s_cbranch_execz .LBB124_1169
; %bb.1168:
	v_div_scale_f64 v[15:16], null, v[2:3], v[2:3], v[0:1]
	v_div_scale_f64 v[21:22], vcc_lo, v[0:1], v[2:3], v[0:1]
	v_rcp_f64_e32 v[17:18], v[15:16]
	v_fma_f64 v[19:20], -v[15:16], v[17:18], 1.0
	v_fma_f64 v[17:18], v[17:18], v[19:20], v[17:18]
	v_fma_f64 v[19:20], -v[15:16], v[17:18], 1.0
	v_fma_f64 v[17:18], v[17:18], v[19:20], v[17:18]
	v_mul_f64 v[19:20], v[21:22], v[17:18]
	v_fma_f64 v[15:16], -v[15:16], v[19:20], v[21:22]
	v_div_fmas_f64 v[15:16], v[15:16], v[17:18], v[19:20]
	v_div_fixup_f64 v[15:16], v[15:16], v[2:3], v[0:1]
	v_fma_f64 v[0:1], v[0:1], v[15:16], v[2:3]
	v_div_scale_f64 v[2:3], null, v[0:1], v[0:1], 1.0
	v_rcp_f64_e32 v[17:18], v[2:3]
	v_fma_f64 v[19:20], -v[2:3], v[17:18], 1.0
	v_fma_f64 v[17:18], v[17:18], v[19:20], v[17:18]
	v_fma_f64 v[19:20], -v[2:3], v[17:18], 1.0
	v_fma_f64 v[17:18], v[17:18], v[19:20], v[17:18]
	v_div_scale_f64 v[19:20], vcc_lo, 1.0, v[0:1], 1.0
	v_mul_f64 v[21:22], v[19:20], v[17:18]
	v_fma_f64 v[2:3], -v[2:3], v[21:22], v[19:20]
	v_div_fmas_f64 v[2:3], v[2:3], v[17:18], v[21:22]
	v_div_fixup_f64 v[2:3], v[2:3], v[0:1], 1.0
	v_mul_f64 v[0:1], v[15:16], v[2:3]
	v_xor_b32_e32 v3, 0x80000000, v3
.LBB124_1169:
	s_andn2_saveexec_b32 s16, s16
	s_cbranch_execz .LBB124_1171
; %bb.1170:
	v_div_scale_f64 v[15:16], null, v[0:1], v[0:1], v[2:3]
	v_div_scale_f64 v[21:22], vcc_lo, v[2:3], v[0:1], v[2:3]
	v_rcp_f64_e32 v[17:18], v[15:16]
	v_fma_f64 v[19:20], -v[15:16], v[17:18], 1.0
	v_fma_f64 v[17:18], v[17:18], v[19:20], v[17:18]
	v_fma_f64 v[19:20], -v[15:16], v[17:18], 1.0
	v_fma_f64 v[17:18], v[17:18], v[19:20], v[17:18]
	v_mul_f64 v[19:20], v[21:22], v[17:18]
	v_fma_f64 v[15:16], -v[15:16], v[19:20], v[21:22]
	v_div_fmas_f64 v[15:16], v[15:16], v[17:18], v[19:20]
	v_div_fixup_f64 v[15:16], v[15:16], v[0:1], v[2:3]
	v_fma_f64 v[0:1], v[2:3], v[15:16], v[0:1]
	v_div_scale_f64 v[2:3], null, v[0:1], v[0:1], 1.0
	v_rcp_f64_e32 v[17:18], v[2:3]
	v_fma_f64 v[19:20], -v[2:3], v[17:18], 1.0
	v_fma_f64 v[17:18], v[17:18], v[19:20], v[17:18]
	v_fma_f64 v[19:20], -v[2:3], v[17:18], 1.0
	v_fma_f64 v[17:18], v[17:18], v[19:20], v[17:18]
	v_div_scale_f64 v[19:20], vcc_lo, 1.0, v[0:1], 1.0
	v_mul_f64 v[21:22], v[19:20], v[17:18]
	v_fma_f64 v[2:3], -v[2:3], v[21:22], v[19:20]
	v_div_fmas_f64 v[2:3], v[2:3], v[17:18], v[21:22]
	v_div_fixup_f64 v[0:1], v[2:3], v[0:1], 1.0
	v_mul_f64 v[2:3], v[15:16], -v[0:1]
.LBB124_1171:
	s_or_b32 exec_lo, exec_lo, s16
.LBB124_1172:
	s_or_b32 exec_lo, exec_lo, s4
	s_mov_b32 s4, exec_lo
	v_cmpx_ne_u32_e64 v11, v4
	s_xor_b32 s4, exec_lo, s4
	s_cbranch_execz .LBB124_1178
; %bb.1173:
	s_mov_b32 s16, exec_lo
	v_cmpx_eq_u32_e32 49, v11
	s_cbranch_execz .LBB124_1177
; %bb.1174:
	v_cmp_ne_u32_e32 vcc_lo, 49, v4
	s_xor_b32 s17, s20, -1
	s_and_b32 s56, s17, vcc_lo
	s_and_saveexec_b32 s17, s56
	s_cbranch_execz .LBB124_1176
; %bb.1175:
	v_ashrrev_i32_e32 v5, 31, v4
	v_lshlrev_b64 v[10:11], 2, v[4:5]
	v_add_co_u32 v10, vcc_lo, v8, v10
	v_add_co_ci_u32_e64 v11, null, v9, v11, vcc_lo
	s_clause 0x1
	global_load_dword v5, v[10:11], off
	global_load_dword v15, v[8:9], off offset:196
	s_waitcnt vmcnt(1)
	global_store_dword v[8:9], v5, off offset:196
	s_waitcnt vmcnt(0)
	global_store_dword v[10:11], v15, off
.LBB124_1176:
	s_or_b32 exec_lo, exec_lo, s17
	v_mov_b32_e32 v11, v4
	v_mov_b32_e32 v5, v4
.LBB124_1177:
	s_or_b32 exec_lo, exec_lo, s16
.LBB124_1178:
	s_andn2_saveexec_b32 s4, s4
	s_cbranch_execz .LBB124_1180
; %bb.1179:
	v_mov_b32_e32 v4, s30
	v_mov_b32_e32 v11, s28
	;; [unrolled: 1-line block ×3, first 2 shown]
	s_clause 0x7
	buffer_load_dword v15, v4, s[0:3], 0 offen
	buffer_load_dword v16, v4, s[0:3], 0 offen offset:4
	buffer_load_dword v17, v4, s[0:3], 0 offen offset:8
	buffer_load_dword v18, v4, s[0:3], 0 offen offset:12
	buffer_load_dword v19, v10, s[0:3], 0 offen
	buffer_load_dword v20, v10, s[0:3], 0 offen offset:4
	buffer_load_dword v21, v10, s[0:3], 0 offen offset:8
	buffer_load_dword v22, v10, s[0:3], 0 offen offset:12
	v_mov_b32_e32 v4, s27
	v_mov_b32_e32 v10, s26
	s_clause 0x7
	buffer_load_dword v23, v11, s[0:3], 0 offen
	buffer_load_dword v24, v11, s[0:3], 0 offen offset:4
	buffer_load_dword v25, v11, s[0:3], 0 offen offset:8
	buffer_load_dword v26, v11, s[0:3], 0 offen offset:12
	buffer_load_dword v27, v4, s[0:3], 0 offen
	buffer_load_dword v28, v4, s[0:3], 0 offen offset:4
	buffer_load_dword v29, v4, s[0:3], 0 offen offset:8
	buffer_load_dword v30, v4, s[0:3], 0 offen offset:12
	v_mov_b32_e32 v11, s24
	v_mov_b32_e32 v4, s25
	;; [unrolled: 11-line block ×5, first 2 shown]
	s_clause 0xb
	buffer_load_dword v55, v11, s[0:3], 0 offen
	buffer_load_dword v56, v11, s[0:3], 0 offen offset:4
	buffer_load_dword v57, v11, s[0:3], 0 offen offset:8
	buffer_load_dword v58, v11, s[0:3], 0 offen offset:12
	buffer_load_dword v59, v4, s[0:3], 0 offen
	buffer_load_dword v60, v4, s[0:3], 0 offen offset:4
	buffer_load_dword v61, v4, s[0:3], 0 offen offset:8
	buffer_load_dword v62, v4, s[0:3], 0 offen offset:12
	;; [unrolled: 4-line block ×3, first 2 shown]
	v_mov_b32_e32 v11, 49
	s_waitcnt vmcnt(48)
	ds_write2_b64 v12, v[15:16], v[17:18] offset0:100 offset1:101
	s_waitcnt vmcnt(44)
	ds_write2_b64 v12, v[19:20], v[21:22] offset0:102 offset1:103
	;; [unrolled: 2-line block ×13, first 2 shown]
.LBB124_1180:
	s_or_b32 exec_lo, exec_lo, s4
	s_mov_b32 s4, exec_lo
	s_waitcnt lgkmcnt(0)
	s_waitcnt_vscnt null, 0x0
	s_barrier
	buffer_gl0_inv
	v_cmpx_lt_i32_e32 49, v11
	s_cbranch_execz .LBB124_1182
; %bb.1181:
	s_clause 0x1b
	buffer_load_dword v15, off, s[0:3], 0 offset:792
	buffer_load_dword v16, off, s[0:3], 0 offset:796
	buffer_load_dword v17, off, s[0:3], 0 offset:784
	buffer_load_dword v18, off, s[0:3], 0 offset:788
	buffer_load_dword v35, off, s[0:3], 0 offset:800
	buffer_load_dword v36, off, s[0:3], 0 offset:804
	buffer_load_dword v37, off, s[0:3], 0 offset:808
	buffer_load_dword v38, off, s[0:3], 0 offset:812
	buffer_load_dword v41, off, s[0:3], 0 offset:816
	buffer_load_dword v42, off, s[0:3], 0 offset:820
	buffer_load_dword v43, off, s[0:3], 0 offset:824
	buffer_load_dword v44, off, s[0:3], 0 offset:828
	buffer_load_dword v45, off, s[0:3], 0 offset:832
	buffer_load_dword v46, off, s[0:3], 0 offset:836
	buffer_load_dword v47, off, s[0:3], 0 offset:840
	buffer_load_dword v48, off, s[0:3], 0 offset:844
	buffer_load_dword v49, off, s[0:3], 0 offset:848
	buffer_load_dword v50, off, s[0:3], 0 offset:852
	buffer_load_dword v51, off, s[0:3], 0 offset:856
	buffer_load_dword v52, off, s[0:3], 0 offset:860
	buffer_load_dword v53, off, s[0:3], 0 offset:864
	buffer_load_dword v54, off, s[0:3], 0 offset:868
	buffer_load_dword v55, off, s[0:3], 0 offset:872
	buffer_load_dword v56, off, s[0:3], 0 offset:876
	buffer_load_dword v59, off, s[0:3], 0 offset:880
	buffer_load_dword v60, off, s[0:3], 0 offset:884
	buffer_load_dword v61, off, s[0:3], 0 offset:888
	buffer_load_dword v62, off, s[0:3], 0 offset:892
	s_waitcnt vmcnt(26)
	v_mul_f64 v[19:20], v[0:1], v[15:16]
	v_mul_f64 v[15:16], v[2:3], v[15:16]
	s_waitcnt vmcnt(24)
	v_fma_f64 v[39:40], v[2:3], v[17:18], v[19:20]
	v_fma_f64 v[57:58], v[0:1], v[17:18], -v[15:16]
	buffer_store_dword v39, off, s[0:3], 0 offset:792
	buffer_store_dword v40, off, s[0:3], 0 offset:796
	s_clause 0x1
	buffer_load_dword v63, off, s[0:3], 0 offset:792
	buffer_load_dword v64, off, s[0:3], 0 offset:796
	buffer_store_dword v57, off, s[0:3], 0 offset:784
	buffer_store_dword v58, off, s[0:3], 0 offset:788
	s_clause 0x21
	buffer_load_dword v66, off, s[0:3], 0 offset:796
	buffer_load_dword v65, off, s[0:3], 0 offset:792
	;; [unrolled: 1-line block ×34, first 2 shown]
	ds_read2_b64 v[0:3], v12 offset0:100 offset1:101
	ds_read2_b64 v[15:18], v12 offset0:102 offset1:103
	;; [unrolled: 1-line block ×6, first 2 shown]
	s_waitcnt lgkmcnt(5)
	v_mul_f64 v[99:100], v[2:3], v[39:40]
	v_mul_f64 v[101:102], v[0:1], v[39:40]
	s_waitcnt lgkmcnt(4)
	v_mul_f64 v[103:104], v[17:18], v[39:40]
	v_mul_f64 v[105:106], v[15:16], v[39:40]
	;; [unrolled: 3-line block ×6, first 2 shown]
	v_fma_f64 v[0:1], v[0:1], v[57:58], -v[99:100]
	v_fma_f64 v[99:100], v[2:3], v[57:58], v[101:102]
	v_fma_f64 v[101:102], v[15:16], v[57:58], -v[103:104]
	v_fma_f64 v[103:104], v[17:18], v[57:58], v[105:106]
	;; [unrolled: 2-line block ×6, first 2 shown]
	s_waitcnt vmcnt(58)
	v_add_f64 v[57:58], v[35:36], -v[0:1]
	ds_read2_b64 v[0:3], v12 offset0:112 offset1:113
	s_waitcnt vmcnt(56)
	v_add_f64 v[99:100], v[37:38], -v[99:100]
	ds_read2_b64 v[15:18], v12 offset0:114 offset1:115
	ds_read2_b64 v[19:22], v12 offset0:116 offset1:117
	;; [unrolled: 1-line block ×3, first 2 shown]
	s_waitcnt vmcnt(54)
	v_add_f64 v[41:42], v[41:42], -v[101:102]
	s_waitcnt vmcnt(52)
	v_add_f64 v[43:44], v[43:44], -v[103:104]
	ds_read2_b64 v[27:30], v12 offset0:120 offset1:121
	ds_read2_b64 v[31:34], v12 offset0:122 offset1:123
	;; [unrolled: 1-line block ×3, first 2 shown]
	s_waitcnt vmcnt(50)
	v_add_f64 v[45:46], v[45:46], -v[105:106]
	s_waitcnt vmcnt(48)
	v_add_f64 v[47:48], v[47:48], -v[107:108]
	;; [unrolled: 2-line block ×5, first 2 shown]
	v_add_f64 v[53:54], v[53:54], -v[113:114]
	v_add_f64 v[55:56], v[55:56], -v[115:116]
	;; [unrolled: 1-line block ×3, first 2 shown]
	buffer_store_dword v57, off, s[0:3], 0 offset:800
	buffer_store_dword v58, off, s[0:3], 0 offset:804
	;; [unrolled: 1-line block ×24, first 2 shown]
	s_waitcnt vmcnt(32) lgkmcnt(0)
	v_mul_f64 v[113:114], v[37:38], v[65:66]
	v_mul_f64 v[65:66], v[35:36], v[65:66]
	s_waitcnt vmcnt(24)
	v_fma_f64 v[35:36], v[35:36], v[73:74], -v[113:114]
	v_fma_f64 v[37:38], v[37:38], v[73:74], v[65:66]
	v_mul_f64 v[61:62], v[2:3], v[63:64]
	v_mul_f64 v[101:102], v[0:1], v[63:64]
	;; [unrolled: 1-line block ×12, first 2 shown]
	s_waitcnt vmcnt(1)
	v_add_f64 v[35:36], v[95:96], -v[35:36]
	s_waitcnt vmcnt(0)
	v_add_f64 v[37:38], v[97:98], -v[37:38]
	v_fma_f64 v[0:1], v[0:1], v[67:68], -v[61:62]
	v_fma_f64 v[2:3], v[2:3], v[67:68], v[101:102]
	v_fma_f64 v[15:16], v[15:16], v[67:68], -v[57:58]
	v_fma_f64 v[17:18], v[17:18], v[67:68], v[103:104]
	;; [unrolled: 2-line block ×6, first 2 shown]
	v_add_f64 v[0:1], v[69:70], -v[0:1]
	v_add_f64 v[2:3], v[71:72], -v[2:3]
	;; [unrolled: 1-line block ×12, first 2 shown]
	buffer_store_dword v1, off, s[0:3], 0 offset:900
	buffer_store_dword v0, off, s[0:3], 0 offset:896
	;; [unrolled: 1-line block ×28, first 2 shown]
.LBB124_1182:
	s_or_b32 exec_lo, exec_lo, s4
	v_mov_b32_e32 v3, s30
	s_waitcnt_vscnt null, 0x0
	s_barrier
	buffer_gl0_inv
	v_lshl_add_u32 v4, v11, 4, v12
	s_clause 0x3
	buffer_load_dword v0, v3, s[0:3], 0 offen
	buffer_load_dword v1, v3, s[0:3], 0 offen offset:4
	buffer_load_dword v2, v3, s[0:3], 0 offen offset:8
	;; [unrolled: 1-line block ×3, first 2 shown]
	s_cmp_lt_i32 s57, 52
	s_waitcnt vmcnt(0)
	ds_write2_b64 v4, v[0:1], v[2:3] offset1:1
	s_waitcnt lgkmcnt(0)
	s_barrier
	buffer_gl0_inv
	ds_read2_b64 v[0:3], v12 offset0:100 offset1:101
	v_mov_b32_e32 v4, 50
	s_cbranch_scc1 .LBB124_1185
; %bb.1183:
	v_add3_u32 v10, v14, 0, 0x330
	v_mov_b32_e32 v4, 50
	s_mov_b32 s16, 51
	s_inst_prefetch 0x1
	.p2align	6
.LBB124_1184:                           ; =>This Inner Loop Header: Depth=1
	s_waitcnt lgkmcnt(0)
	v_cmp_gt_f64_e32 vcc_lo, 0, v[2:3]
	v_cmp_gt_f64_e64 s4, 0, v[0:1]
	ds_read2_b64 v[15:18], v10 offset1:1
	v_xor_b32_e32 v20, 0x80000000, v1
	v_xor_b32_e32 v22, 0x80000000, v3
	v_mov_b32_e32 v19, v0
	v_mov_b32_e32 v21, v2
	v_add_nc_u32_e32 v10, 16, v10
	s_waitcnt lgkmcnt(0)
	v_xor_b32_e32 v24, 0x80000000, v18
	v_cndmask_b32_e64 v20, v1, v20, s4
	v_cndmask_b32_e32 v22, v3, v22, vcc_lo
	v_cmp_gt_f64_e32 vcc_lo, 0, v[17:18]
	v_cmp_gt_f64_e64 s4, 0, v[15:16]
	v_mov_b32_e32 v23, v17
	v_add_f64 v[19:20], v[19:20], v[21:22]
	v_xor_b32_e32 v22, 0x80000000, v16
	v_mov_b32_e32 v21, v15
	v_cndmask_b32_e32 v24, v18, v24, vcc_lo
	v_cndmask_b32_e64 v22, v16, v22, s4
	v_add_f64 v[21:22], v[21:22], v[23:24]
	v_cmp_lt_f64_e32 vcc_lo, v[19:20], v[21:22]
	v_cndmask_b32_e32 v1, v1, v16, vcc_lo
	v_cndmask_b32_e32 v0, v0, v15, vcc_lo
	;; [unrolled: 1-line block ×4, first 2 shown]
	v_cndmask_b32_e64 v4, v4, s16, vcc_lo
	s_add_i32 s16, s16, 1
	s_cmp_lg_u32 s57, s16
	s_cbranch_scc1 .LBB124_1184
.LBB124_1185:
	s_inst_prefetch 0x2
	s_waitcnt lgkmcnt(0)
	v_cmp_eq_f64_e32 vcc_lo, 0, v[0:1]
	v_cmp_eq_f64_e64 s4, 0, v[2:3]
	s_and_b32 s4, vcc_lo, s4
	s_and_saveexec_b32 s16, s4
	s_xor_b32 s4, exec_lo, s16
; %bb.1186:
	v_cmp_ne_u32_e32 vcc_lo, 0, v13
	v_cndmask_b32_e32 v13, 51, v13, vcc_lo
; %bb.1187:
	s_andn2_saveexec_b32 s4, s4
	s_cbranch_execz .LBB124_1193
; %bb.1188:
	v_cmp_ngt_f64_e64 s16, |v[0:1]|, |v[2:3]|
	s_and_saveexec_b32 s17, s16
	s_xor_b32 s16, exec_lo, s17
	s_cbranch_execz .LBB124_1190
; %bb.1189:
	v_div_scale_f64 v[15:16], null, v[2:3], v[2:3], v[0:1]
	v_div_scale_f64 v[21:22], vcc_lo, v[0:1], v[2:3], v[0:1]
	v_rcp_f64_e32 v[17:18], v[15:16]
	v_fma_f64 v[19:20], -v[15:16], v[17:18], 1.0
	v_fma_f64 v[17:18], v[17:18], v[19:20], v[17:18]
	v_fma_f64 v[19:20], -v[15:16], v[17:18], 1.0
	v_fma_f64 v[17:18], v[17:18], v[19:20], v[17:18]
	v_mul_f64 v[19:20], v[21:22], v[17:18]
	v_fma_f64 v[15:16], -v[15:16], v[19:20], v[21:22]
	v_div_fmas_f64 v[15:16], v[15:16], v[17:18], v[19:20]
	v_div_fixup_f64 v[15:16], v[15:16], v[2:3], v[0:1]
	v_fma_f64 v[0:1], v[0:1], v[15:16], v[2:3]
	v_div_scale_f64 v[2:3], null, v[0:1], v[0:1], 1.0
	v_rcp_f64_e32 v[17:18], v[2:3]
	v_fma_f64 v[19:20], -v[2:3], v[17:18], 1.0
	v_fma_f64 v[17:18], v[17:18], v[19:20], v[17:18]
	v_fma_f64 v[19:20], -v[2:3], v[17:18], 1.0
	v_fma_f64 v[17:18], v[17:18], v[19:20], v[17:18]
	v_div_scale_f64 v[19:20], vcc_lo, 1.0, v[0:1], 1.0
	v_mul_f64 v[21:22], v[19:20], v[17:18]
	v_fma_f64 v[2:3], -v[2:3], v[21:22], v[19:20]
	v_div_fmas_f64 v[2:3], v[2:3], v[17:18], v[21:22]
	v_div_fixup_f64 v[2:3], v[2:3], v[0:1], 1.0
	v_mul_f64 v[0:1], v[15:16], v[2:3]
	v_xor_b32_e32 v3, 0x80000000, v3
.LBB124_1190:
	s_andn2_saveexec_b32 s16, s16
	s_cbranch_execz .LBB124_1192
; %bb.1191:
	v_div_scale_f64 v[15:16], null, v[0:1], v[0:1], v[2:3]
	v_div_scale_f64 v[21:22], vcc_lo, v[2:3], v[0:1], v[2:3]
	v_rcp_f64_e32 v[17:18], v[15:16]
	v_fma_f64 v[19:20], -v[15:16], v[17:18], 1.0
	v_fma_f64 v[17:18], v[17:18], v[19:20], v[17:18]
	v_fma_f64 v[19:20], -v[15:16], v[17:18], 1.0
	v_fma_f64 v[17:18], v[17:18], v[19:20], v[17:18]
	v_mul_f64 v[19:20], v[21:22], v[17:18]
	v_fma_f64 v[15:16], -v[15:16], v[19:20], v[21:22]
	v_div_fmas_f64 v[15:16], v[15:16], v[17:18], v[19:20]
	v_div_fixup_f64 v[15:16], v[15:16], v[0:1], v[2:3]
	v_fma_f64 v[0:1], v[2:3], v[15:16], v[0:1]
	v_div_scale_f64 v[2:3], null, v[0:1], v[0:1], 1.0
	v_rcp_f64_e32 v[17:18], v[2:3]
	v_fma_f64 v[19:20], -v[2:3], v[17:18], 1.0
	v_fma_f64 v[17:18], v[17:18], v[19:20], v[17:18]
	v_fma_f64 v[19:20], -v[2:3], v[17:18], 1.0
	v_fma_f64 v[17:18], v[17:18], v[19:20], v[17:18]
	v_div_scale_f64 v[19:20], vcc_lo, 1.0, v[0:1], 1.0
	v_mul_f64 v[21:22], v[19:20], v[17:18]
	v_fma_f64 v[2:3], -v[2:3], v[21:22], v[19:20]
	v_div_fmas_f64 v[2:3], v[2:3], v[17:18], v[21:22]
	v_div_fixup_f64 v[0:1], v[2:3], v[0:1], 1.0
	v_mul_f64 v[2:3], v[15:16], -v[0:1]
.LBB124_1192:
	s_or_b32 exec_lo, exec_lo, s16
.LBB124_1193:
	s_or_b32 exec_lo, exec_lo, s4
	s_mov_b32 s4, exec_lo
	v_cmpx_ne_u32_e64 v11, v4
	s_xor_b32 s4, exec_lo, s4
	s_cbranch_execz .LBB124_1199
; %bb.1194:
	s_mov_b32 s16, exec_lo
	v_cmpx_eq_u32_e32 50, v11
	s_cbranch_execz .LBB124_1198
; %bb.1195:
	v_cmp_ne_u32_e32 vcc_lo, 50, v4
	s_xor_b32 s17, s20, -1
	s_and_b32 s56, s17, vcc_lo
	s_and_saveexec_b32 s17, s56
	s_cbranch_execz .LBB124_1197
; %bb.1196:
	v_ashrrev_i32_e32 v5, 31, v4
	v_lshlrev_b64 v[10:11], 2, v[4:5]
	v_add_co_u32 v10, vcc_lo, v8, v10
	v_add_co_ci_u32_e64 v11, null, v9, v11, vcc_lo
	s_clause 0x1
	global_load_dword v5, v[10:11], off
	global_load_dword v15, v[8:9], off offset:200
	s_waitcnt vmcnt(1)
	global_store_dword v[8:9], v5, off offset:200
	s_waitcnt vmcnt(0)
	global_store_dword v[10:11], v15, off
.LBB124_1197:
	s_or_b32 exec_lo, exec_lo, s17
	v_mov_b32_e32 v11, v4
	v_mov_b32_e32 v5, v4
.LBB124_1198:
	s_or_b32 exec_lo, exec_lo, s16
.LBB124_1199:
	s_andn2_saveexec_b32 s4, s4
	s_cbranch_execz .LBB124_1201
; %bb.1200:
	v_mov_b32_e32 v4, s29
	v_mov_b32_e32 v11, s27
	;; [unrolled: 1-line block ×3, first 2 shown]
	s_clause 0x7
	buffer_load_dword v15, v4, s[0:3], 0 offen
	buffer_load_dword v16, v4, s[0:3], 0 offen offset:4
	buffer_load_dword v17, v4, s[0:3], 0 offen offset:8
	buffer_load_dword v18, v4, s[0:3], 0 offen offset:12
	buffer_load_dword v19, v10, s[0:3], 0 offen
	buffer_load_dword v20, v10, s[0:3], 0 offen offset:4
	buffer_load_dword v21, v10, s[0:3], 0 offen offset:8
	buffer_load_dword v22, v10, s[0:3], 0 offen offset:12
	v_mov_b32_e32 v4, s26
	v_mov_b32_e32 v10, s25
	s_clause 0x7
	buffer_load_dword v23, v11, s[0:3], 0 offen
	buffer_load_dword v24, v11, s[0:3], 0 offen offset:4
	buffer_load_dword v25, v11, s[0:3], 0 offen offset:8
	buffer_load_dword v26, v11, s[0:3], 0 offen offset:12
	buffer_load_dword v27, v4, s[0:3], 0 offen
	buffer_load_dword v28, v4, s[0:3], 0 offen offset:4
	buffer_load_dword v29, v4, s[0:3], 0 offen offset:8
	buffer_load_dword v30, v4, s[0:3], 0 offen offset:12
	v_mov_b32_e32 v11, s23
	v_mov_b32_e32 v4, s24
	;; [unrolled: 11-line block ×4, first 2 shown]
	s_clause 0x7
	buffer_load_dword v47, v10, s[0:3], 0 offen
	buffer_load_dword v48, v10, s[0:3], 0 offen offset:4
	buffer_load_dword v49, v10, s[0:3], 0 offen offset:8
	;; [unrolled: 1-line block ×3, first 2 shown]
	buffer_load_dword v51, v4, s[0:3], 0 offen
	buffer_load_dword v52, v4, s[0:3], 0 offen offset:4
	buffer_load_dword v53, v4, s[0:3], 0 offen offset:8
	;; [unrolled: 1-line block ×3, first 2 shown]
	v_mov_b32_e32 v4, s5
	s_clause 0x7
	buffer_load_dword v55, v11, s[0:3], 0 offen
	buffer_load_dword v56, v11, s[0:3], 0 offen offset:4
	buffer_load_dword v57, v11, s[0:3], 0 offen offset:8
	;; [unrolled: 1-line block ×3, first 2 shown]
	buffer_load_dword v59, v4, s[0:3], 0 offen
	buffer_load_dword v60, v4, s[0:3], 0 offen offset:4
	buffer_load_dword v61, v4, s[0:3], 0 offen offset:8
	;; [unrolled: 1-line block ×3, first 2 shown]
	v_mov_b32_e32 v11, 50
	s_waitcnt vmcnt(44)
	ds_write2_b64 v12, v[15:16], v[17:18] offset0:102 offset1:103
	s_waitcnt vmcnt(40)
	ds_write2_b64 v12, v[19:20], v[21:22] offset0:104 offset1:105
	;; [unrolled: 2-line block ×12, first 2 shown]
.LBB124_1201:
	s_or_b32 exec_lo, exec_lo, s4
	s_mov_b32 s4, exec_lo
	s_waitcnt lgkmcnt(0)
	s_waitcnt_vscnt null, 0x0
	s_barrier
	buffer_gl0_inv
	v_cmpx_lt_i32_e32 50, v11
	s_cbranch_execz .LBB124_1203
; %bb.1202:
	s_clause 0x7
	buffer_load_dword v15, off, s[0:3], 0 offset:808
	buffer_load_dword v16, off, s[0:3], 0 offset:812
	;; [unrolled: 1-line block ×8, first 2 shown]
	s_waitcnt vmcnt(6)
	v_mul_f64 v[19:20], v[0:1], v[15:16]
	v_mul_f64 v[15:16], v[2:3], v[15:16]
	s_waitcnt vmcnt(4)
	v_fma_f64 v[43:44], v[2:3], v[17:18], v[19:20]
	v_fma_f64 v[45:46], v[0:1], v[17:18], -v[15:16]
	buffer_store_dword v43, off, s[0:3], 0 offset:808
	buffer_store_dword v44, off, s[0:3], 0 offset:812
	s_clause 0x15
	buffer_load_dword v36, off, s[0:3], 0 offset:820
	buffer_load_dword v38, off, s[0:3], 0 offset:828
	;; [unrolled: 1-line block ×22, first 2 shown]
	buffer_store_dword v45, off, s[0:3], 0 offset:800
	buffer_store_dword v46, off, s[0:3], 0 offset:804
	s_clause 0x19
	buffer_load_dword v65, off, s[0:3], 0 offset:800
	buffer_load_dword v66, off, s[0:3], 0 offset:804
	;; [unrolled: 1-line block ×26, first 2 shown]
	ds_read2_b64 v[0:3], v12 offset0:102 offset1:103
	ds_read2_b64 v[15:18], v12 offset0:104 offset1:105
	;; [unrolled: 1-line block ×6, first 2 shown]
	s_waitcnt lgkmcnt(5)
	v_mul_f64 v[91:92], v[2:3], v[43:44]
	v_mul_f64 v[93:94], v[0:1], v[43:44]
	s_waitcnt lgkmcnt(3)
	v_mul_f64 v[99:100], v[21:22], v[43:44]
	v_mul_f64 v[101:102], v[19:20], v[43:44]
	;; [unrolled: 1-line block ×4, first 2 shown]
	s_waitcnt lgkmcnt(2)
	v_mul_f64 v[103:104], v[25:26], v[43:44]
	v_mul_f64 v[105:106], v[23:24], v[43:44]
	s_waitcnt lgkmcnt(1)
	v_mul_f64 v[107:108], v[29:30], v[43:44]
	v_mul_f64 v[109:110], v[27:28], v[43:44]
	;; [unrolled: 3-line block ×3, first 2 shown]
	v_fma_f64 v[91:92], v[0:1], v[45:46], -v[91:92]
	v_fma_f64 v[93:94], v[2:3], v[45:46], v[93:94]
	v_fma_f64 v[99:100], v[19:20], v[45:46], -v[99:100]
	v_fma_f64 v[101:102], v[21:22], v[45:46], v[101:102]
	ds_read2_b64 v[0:3], v12 offset0:114 offset1:115
	v_fma_f64 v[95:96], v[15:16], v[45:46], -v[95:96]
	v_fma_f64 v[97:98], v[17:18], v[45:46], v[97:98]
	ds_read2_b64 v[15:18], v12 offset0:116 offset1:117
	ds_read2_b64 v[19:22], v12 offset0:118 offset1:119
	v_fma_f64 v[103:104], v[23:24], v[45:46], -v[103:104]
	v_fma_f64 v[105:106], v[25:26], v[45:46], v[105:106]
	v_fma_f64 v[43:44], v[33:34], v[45:46], v[43:44]
	v_fma_f64 v[107:108], v[27:28], v[45:46], -v[107:108]
	v_fma_f64 v[109:110], v[29:30], v[45:46], v[109:110]
	v_fma_f64 v[111:112], v[31:32], v[45:46], -v[111:112]
	ds_read2_b64 v[23:26], v12 offset0:120 offset1:121
	ds_read2_b64 v[27:30], v12 offset0:122 offset1:123
	;; [unrolled: 1-line block ×3, first 2 shown]
	s_waitcnt vmcnt(47)
	v_add_f64 v[35:36], v[35:36], -v[91:92]
	s_waitcnt vmcnt(46)
	v_add_f64 v[37:38], v[37:38], -v[93:94]
	;; [unrolled: 2-line block ×4, first 2 shown]
	s_waitcnt vmcnt(42) lgkmcnt(5)
	v_mul_f64 v[91:92], v[0:1], v[47:48]
	s_waitcnt lgkmcnt(4)
	v_mul_f64 v[93:94], v[17:18], v[47:48]
	s_waitcnt vmcnt(40)
	v_add_f64 v[45:46], v[49:50], -v[99:100]
	v_mul_f64 v[95:96], v[15:16], v[47:48]
	s_waitcnt vmcnt(38)
	v_add_f64 v[49:50], v[51:52], -v[101:102]
	v_mul_f64 v[51:52], v[2:3], v[47:48]
	s_waitcnt lgkmcnt(3)
	v_mul_f64 v[97:98], v[21:22], v[47:48]
	v_mul_f64 v[99:100], v[19:20], v[47:48]
	s_waitcnt lgkmcnt(2)
	v_mul_f64 v[101:102], v[23:24], v[47:48]
	s_waitcnt vmcnt(36)
	v_add_f64 v[53:54], v[53:54], -v[103:104]
	s_waitcnt lgkmcnt(1)
	v_mul_f64 v[103:104], v[27:28], v[47:48]
	s_waitcnt vmcnt(34)
	v_add_f64 v[55:56], v[55:56], -v[105:106]
	s_waitcnt vmcnt(32)
	v_add_f64 v[57:58], v[57:58], -v[107:108]
	s_waitcnt vmcnt(30)
	v_add_f64 v[59:60], v[59:60], -v[109:110]
	s_waitcnt vmcnt(28)
	v_add_f64 v[61:62], v[61:62], -v[111:112]
	s_waitcnt vmcnt(26)
	v_add_f64 v[43:44], v[63:64], -v[43:44]
	v_mul_f64 v[63:64], v[25:26], v[47:48]
	buffer_store_dword v35, off, s[0:3], 0 offset:816
	buffer_store_dword v36, off, s[0:3], 0 offset:820
	v_mul_f64 v[35:36], v[29:30], v[47:48]
	buffer_store_dword v37, off, s[0:3], 0 offset:824
	buffer_store_dword v38, off, s[0:3], 0 offset:828
	s_waitcnt lgkmcnt(0)
	v_mul_f64 v[37:38], v[33:34], v[47:48]
	v_mul_f64 v[47:48], v[31:32], v[47:48]
	s_waitcnt vmcnt(24)
	v_fma_f64 v[2:3], v[2:3], v[65:66], v[91:92]
	v_fma_f64 v[15:16], v[15:16], v[65:66], -v[93:94]
	v_fma_f64 v[0:1], v[0:1], v[65:66], -v[51:52]
	v_fma_f64 v[17:18], v[17:18], v[65:66], v[95:96]
	v_fma_f64 v[19:20], v[19:20], v[65:66], -v[97:98]
	v_fma_f64 v[21:22], v[21:22], v[65:66], v[99:100]
	v_fma_f64 v[25:26], v[25:26], v[65:66], v[101:102]
	;; [unrolled: 1-line block ×3, first 2 shown]
	buffer_store_dword v39, off, s[0:3], 0 offset:832
	buffer_store_dword v40, off, s[0:3], 0 offset:836
	;; [unrolled: 1-line block ×6, first 2 shown]
	v_fma_f64 v[23:24], v[23:24], v[65:66], -v[63:64]
	buffer_store_dword v49, off, s[0:3], 0 offset:856
	buffer_store_dword v50, off, s[0:3], 0 offset:860
	v_fma_f64 v[27:28], v[27:28], v[65:66], -v[35:36]
	buffer_store_dword v54, off, s[0:3], 0 offset:868
	buffer_store_dword v53, off, s[0:3], 0 offset:864
	v_fma_f64 v[31:32], v[31:32], v[65:66], -v[37:38]
	v_fma_f64 v[33:34], v[33:34], v[65:66], v[47:48]
	s_waitcnt vmcnt(16)
	v_add_f64 v[2:3], v[73:74], -v[2:3]
	v_add_f64 v[15:16], v[69:70], -v[15:16]
	;; [unrolled: 1-line block ×4, first 2 shown]
	s_waitcnt vmcnt(14)
	v_add_f64 v[19:20], v[75:76], -v[19:20]
	s_waitcnt vmcnt(12)
	v_add_f64 v[21:22], v[77:78], -v[21:22]
	;; [unrolled: 2-line block ×4, first 2 shown]
	buffer_store_dword v56, off, s[0:3], 0 offset:876
	buffer_store_dword v55, off, s[0:3], 0 offset:872
	;; [unrolled: 1-line block ×6, first 2 shown]
	v_add_f64 v[23:24], v[79:80], -v[23:24]
	buffer_store_dword v62, off, s[0:3], 0 offset:900
	buffer_store_dword v61, off, s[0:3], 0 offset:896
	v_add_f64 v[27:28], v[83:84], -v[27:28]
	buffer_store_dword v44, off, s[0:3], 0 offset:908
	buffer_store_dword v43, off, s[0:3], 0 offset:904
	s_waitcnt vmcnt(2)
	v_add_f64 v[31:32], v[87:88], -v[31:32]
	s_waitcnt vmcnt(0)
	v_add_f64 v[33:34], v[89:90], -v[33:34]
	buffer_store_dword v1, off, s[0:3], 0 offset:916
	buffer_store_dword v0, off, s[0:3], 0 offset:912
	;; [unrolled: 1-line block ×24, first 2 shown]
.LBB124_1203:
	s_or_b32 exec_lo, exec_lo, s4
	v_mov_b32_e32 v3, s29
	s_waitcnt_vscnt null, 0x0
	s_barrier
	buffer_gl0_inv
	v_lshl_add_u32 v4, v11, 4, v12
	s_clause 0x3
	buffer_load_dword v0, v3, s[0:3], 0 offen
	buffer_load_dword v1, v3, s[0:3], 0 offen offset:4
	buffer_load_dword v2, v3, s[0:3], 0 offen offset:8
	;; [unrolled: 1-line block ×3, first 2 shown]
	s_cmp_lt_i32 s57, 53
	s_waitcnt vmcnt(0)
	ds_write2_b64 v4, v[0:1], v[2:3] offset1:1
	s_waitcnt lgkmcnt(0)
	s_barrier
	buffer_gl0_inv
	ds_read2_b64 v[0:3], v12 offset0:102 offset1:103
	v_mov_b32_e32 v4, 51
	s_cbranch_scc1 .LBB124_1206
; %bb.1204:
	v_add3_u32 v10, v14, 0, 0x340
	v_mov_b32_e32 v4, 51
	s_mov_b32 s16, 52
	s_inst_prefetch 0x1
	.p2align	6
.LBB124_1205:                           ; =>This Inner Loop Header: Depth=1
	s_waitcnt lgkmcnt(0)
	v_cmp_gt_f64_e32 vcc_lo, 0, v[2:3]
	v_cmp_gt_f64_e64 s4, 0, v[0:1]
	ds_read2_b64 v[15:18], v10 offset1:1
	v_xor_b32_e32 v20, 0x80000000, v1
	v_xor_b32_e32 v22, 0x80000000, v3
	v_mov_b32_e32 v19, v0
	v_mov_b32_e32 v21, v2
	v_add_nc_u32_e32 v10, 16, v10
	s_waitcnt lgkmcnt(0)
	v_xor_b32_e32 v24, 0x80000000, v18
	v_cndmask_b32_e64 v20, v1, v20, s4
	v_cndmask_b32_e32 v22, v3, v22, vcc_lo
	v_cmp_gt_f64_e32 vcc_lo, 0, v[17:18]
	v_cmp_gt_f64_e64 s4, 0, v[15:16]
	v_mov_b32_e32 v23, v17
	v_add_f64 v[19:20], v[19:20], v[21:22]
	v_xor_b32_e32 v22, 0x80000000, v16
	v_mov_b32_e32 v21, v15
	v_cndmask_b32_e32 v24, v18, v24, vcc_lo
	v_cndmask_b32_e64 v22, v16, v22, s4
	v_add_f64 v[21:22], v[21:22], v[23:24]
	v_cmp_lt_f64_e32 vcc_lo, v[19:20], v[21:22]
	v_cndmask_b32_e32 v1, v1, v16, vcc_lo
	v_cndmask_b32_e32 v0, v0, v15, vcc_lo
	;; [unrolled: 1-line block ×4, first 2 shown]
	v_cndmask_b32_e64 v4, v4, s16, vcc_lo
	s_add_i32 s16, s16, 1
	s_cmp_lg_u32 s57, s16
	s_cbranch_scc1 .LBB124_1205
.LBB124_1206:
	s_inst_prefetch 0x2
	s_waitcnt lgkmcnt(0)
	v_cmp_eq_f64_e32 vcc_lo, 0, v[0:1]
	v_cmp_eq_f64_e64 s4, 0, v[2:3]
	s_and_b32 s4, vcc_lo, s4
	s_and_saveexec_b32 s16, s4
	s_xor_b32 s4, exec_lo, s16
; %bb.1207:
	v_cmp_ne_u32_e32 vcc_lo, 0, v13
	v_cndmask_b32_e32 v13, 52, v13, vcc_lo
; %bb.1208:
	s_andn2_saveexec_b32 s4, s4
	s_cbranch_execz .LBB124_1214
; %bb.1209:
	v_cmp_ngt_f64_e64 s16, |v[0:1]|, |v[2:3]|
	s_and_saveexec_b32 s17, s16
	s_xor_b32 s16, exec_lo, s17
	s_cbranch_execz .LBB124_1211
; %bb.1210:
	v_div_scale_f64 v[15:16], null, v[2:3], v[2:3], v[0:1]
	v_div_scale_f64 v[21:22], vcc_lo, v[0:1], v[2:3], v[0:1]
	v_rcp_f64_e32 v[17:18], v[15:16]
	v_fma_f64 v[19:20], -v[15:16], v[17:18], 1.0
	v_fma_f64 v[17:18], v[17:18], v[19:20], v[17:18]
	v_fma_f64 v[19:20], -v[15:16], v[17:18], 1.0
	v_fma_f64 v[17:18], v[17:18], v[19:20], v[17:18]
	v_mul_f64 v[19:20], v[21:22], v[17:18]
	v_fma_f64 v[15:16], -v[15:16], v[19:20], v[21:22]
	v_div_fmas_f64 v[15:16], v[15:16], v[17:18], v[19:20]
	v_div_fixup_f64 v[15:16], v[15:16], v[2:3], v[0:1]
	v_fma_f64 v[0:1], v[0:1], v[15:16], v[2:3]
	v_div_scale_f64 v[2:3], null, v[0:1], v[0:1], 1.0
	v_rcp_f64_e32 v[17:18], v[2:3]
	v_fma_f64 v[19:20], -v[2:3], v[17:18], 1.0
	v_fma_f64 v[17:18], v[17:18], v[19:20], v[17:18]
	v_fma_f64 v[19:20], -v[2:3], v[17:18], 1.0
	v_fma_f64 v[17:18], v[17:18], v[19:20], v[17:18]
	v_div_scale_f64 v[19:20], vcc_lo, 1.0, v[0:1], 1.0
	v_mul_f64 v[21:22], v[19:20], v[17:18]
	v_fma_f64 v[2:3], -v[2:3], v[21:22], v[19:20]
	v_div_fmas_f64 v[2:3], v[2:3], v[17:18], v[21:22]
	v_div_fixup_f64 v[2:3], v[2:3], v[0:1], 1.0
	v_mul_f64 v[0:1], v[15:16], v[2:3]
	v_xor_b32_e32 v3, 0x80000000, v3
.LBB124_1211:
	s_andn2_saveexec_b32 s16, s16
	s_cbranch_execz .LBB124_1213
; %bb.1212:
	v_div_scale_f64 v[15:16], null, v[0:1], v[0:1], v[2:3]
	v_div_scale_f64 v[21:22], vcc_lo, v[2:3], v[0:1], v[2:3]
	v_rcp_f64_e32 v[17:18], v[15:16]
	v_fma_f64 v[19:20], -v[15:16], v[17:18], 1.0
	v_fma_f64 v[17:18], v[17:18], v[19:20], v[17:18]
	v_fma_f64 v[19:20], -v[15:16], v[17:18], 1.0
	v_fma_f64 v[17:18], v[17:18], v[19:20], v[17:18]
	v_mul_f64 v[19:20], v[21:22], v[17:18]
	v_fma_f64 v[15:16], -v[15:16], v[19:20], v[21:22]
	v_div_fmas_f64 v[15:16], v[15:16], v[17:18], v[19:20]
	v_div_fixup_f64 v[15:16], v[15:16], v[0:1], v[2:3]
	v_fma_f64 v[0:1], v[2:3], v[15:16], v[0:1]
	v_div_scale_f64 v[2:3], null, v[0:1], v[0:1], 1.0
	v_rcp_f64_e32 v[17:18], v[2:3]
	v_fma_f64 v[19:20], -v[2:3], v[17:18], 1.0
	v_fma_f64 v[17:18], v[17:18], v[19:20], v[17:18]
	v_fma_f64 v[19:20], -v[2:3], v[17:18], 1.0
	v_fma_f64 v[17:18], v[17:18], v[19:20], v[17:18]
	v_div_scale_f64 v[19:20], vcc_lo, 1.0, v[0:1], 1.0
	v_mul_f64 v[21:22], v[19:20], v[17:18]
	v_fma_f64 v[2:3], -v[2:3], v[21:22], v[19:20]
	v_div_fmas_f64 v[2:3], v[2:3], v[17:18], v[21:22]
	v_div_fixup_f64 v[0:1], v[2:3], v[0:1], 1.0
	v_mul_f64 v[2:3], v[15:16], -v[0:1]
.LBB124_1213:
	s_or_b32 exec_lo, exec_lo, s16
.LBB124_1214:
	s_or_b32 exec_lo, exec_lo, s4
	s_mov_b32 s4, exec_lo
	v_cmpx_ne_u32_e64 v11, v4
	s_xor_b32 s4, exec_lo, s4
	s_cbranch_execz .LBB124_1220
; %bb.1215:
	s_mov_b32 s16, exec_lo
	v_cmpx_eq_u32_e32 51, v11
	s_cbranch_execz .LBB124_1219
; %bb.1216:
	v_cmp_ne_u32_e32 vcc_lo, 51, v4
	s_xor_b32 s17, s20, -1
	s_and_b32 s56, s17, vcc_lo
	s_and_saveexec_b32 s17, s56
	s_cbranch_execz .LBB124_1218
; %bb.1217:
	v_ashrrev_i32_e32 v5, 31, v4
	v_lshlrev_b64 v[10:11], 2, v[4:5]
	v_add_co_u32 v10, vcc_lo, v8, v10
	v_add_co_ci_u32_e64 v11, null, v9, v11, vcc_lo
	s_clause 0x1
	global_load_dword v5, v[10:11], off
	global_load_dword v15, v[8:9], off offset:204
	s_waitcnt vmcnt(1)
	global_store_dword v[8:9], v5, off offset:204
	s_waitcnt vmcnt(0)
	global_store_dword v[10:11], v15, off
.LBB124_1218:
	s_or_b32 exec_lo, exec_lo, s17
	v_mov_b32_e32 v11, v4
	v_mov_b32_e32 v5, v4
.LBB124_1219:
	s_or_b32 exec_lo, exec_lo, s16
.LBB124_1220:
	s_andn2_saveexec_b32 s4, s4
	s_cbranch_execz .LBB124_1222
; %bb.1221:
	v_mov_b32_e32 v4, s28
	v_mov_b32_e32 v10, s27
	;; [unrolled: 1-line block ×3, first 2 shown]
	s_clause 0x7
	buffer_load_dword v15, v4, s[0:3], 0 offen
	buffer_load_dword v16, v4, s[0:3], 0 offen offset:4
	buffer_load_dword v17, v4, s[0:3], 0 offen offset:8
	buffer_load_dword v18, v4, s[0:3], 0 offen offset:12
	buffer_load_dword v19, v10, s[0:3], 0 offen
	buffer_load_dword v20, v10, s[0:3], 0 offen offset:4
	buffer_load_dword v21, v10, s[0:3], 0 offen offset:8
	buffer_load_dword v22, v10, s[0:3], 0 offen offset:12
	v_mov_b32_e32 v10, s24
	v_mov_b32_e32 v4, s25
	s_clause 0x7
	buffer_load_dword v23, v11, s[0:3], 0 offen
	buffer_load_dword v24, v11, s[0:3], 0 offen offset:4
	buffer_load_dword v25, v11, s[0:3], 0 offen offset:8
	buffer_load_dword v26, v11, s[0:3], 0 offen offset:12
	buffer_load_dword v27, v4, s[0:3], 0 offen
	buffer_load_dword v28, v4, s[0:3], 0 offen offset:4
	buffer_load_dword v29, v4, s[0:3], 0 offen offset:8
	buffer_load_dword v30, v4, s[0:3], 0 offen offset:12
	v_mov_b32_e32 v4, s23
	v_mov_b32_e32 v11, s22
	;; [unrolled: 11-line block ×4, first 2 shown]
	s_clause 0xb
	buffer_load_dword v47, v10, s[0:3], 0 offen
	buffer_load_dword v48, v10, s[0:3], 0 offen offset:4
	buffer_load_dword v49, v10, s[0:3], 0 offen offset:8
	buffer_load_dword v50, v10, s[0:3], 0 offen offset:12
	buffer_load_dword v51, v4, s[0:3], 0 offen
	buffer_load_dword v52, v4, s[0:3], 0 offen offset:4
	buffer_load_dword v53, v4, s[0:3], 0 offen offset:8
	buffer_load_dword v54, v4, s[0:3], 0 offen offset:12
	;; [unrolled: 4-line block ×3, first 2 shown]
	v_mov_b32_e32 v11, 51
	s_waitcnt vmcnt(40)
	ds_write2_b64 v12, v[15:16], v[17:18] offset0:104 offset1:105
	s_waitcnt vmcnt(36)
	ds_write2_b64 v12, v[19:20], v[21:22] offset0:106 offset1:107
	;; [unrolled: 2-line block ×11, first 2 shown]
.LBB124_1222:
	s_or_b32 exec_lo, exec_lo, s4
	s_mov_b32 s4, exec_lo
	s_waitcnt lgkmcnt(0)
	s_waitcnt_vscnt null, 0x0
	s_barrier
	buffer_gl0_inv
	v_cmpx_lt_i32_e32 51, v11
	s_cbranch_execz .LBB124_1224
; %bb.1223:
	s_clause 0x7
	buffer_load_dword v15, off, s[0:3], 0 offset:824
	buffer_load_dword v16, off, s[0:3], 0 offset:828
	;; [unrolled: 1-line block ×8, first 2 shown]
	s_waitcnt vmcnt(6)
	v_mul_f64 v[19:20], v[0:1], v[15:16]
	v_mul_f64 v[15:16], v[2:3], v[15:16]
	s_waitcnt vmcnt(4)
	v_fma_f64 v[35:36], v[2:3], v[17:18], v[19:20]
	v_fma_f64 v[47:48], v[0:1], v[17:18], -v[15:16]
	buffer_store_dword v35, off, s[0:3], 0 offset:824
	buffer_store_dword v36, off, s[0:3], 0 offset:828
	s_clause 0xd
	buffer_load_dword v42, off, s[0:3], 0 offset:844
	buffer_load_dword v44, off, s[0:3], 0 offset:852
	;; [unrolled: 1-line block ×14, first 2 shown]
	buffer_store_dword v47, off, s[0:3], 0 offset:816
	buffer_store_dword v48, off, s[0:3], 0 offset:820
	s_clause 0x1d
	buffer_load_dword v59, off, s[0:3], 0 offset:896
	buffer_load_dword v60, off, s[0:3], 0 offset:900
	;; [unrolled: 1-line block ×30, first 2 shown]
	ds_read2_b64 v[0:3], v12 offset0:104 offset1:105
	ds_read2_b64 v[15:18], v12 offset0:106 offset1:107
	;; [unrolled: 1-line block ×6, first 2 shown]
	s_waitcnt lgkmcnt(5)
	v_mul_f64 v[37:38], v[2:3], v[35:36]
	v_mul_f64 v[89:90], v[0:1], v[35:36]
	s_waitcnt lgkmcnt(4)
	v_mul_f64 v[91:92], v[17:18], v[35:36]
	v_mul_f64 v[93:94], v[15:16], v[35:36]
	;; [unrolled: 3-line block ×6, first 2 shown]
	v_fma_f64 v[111:112], v[0:1], v[47:48], -v[37:38]
	ds_read2_b64 v[35:38], v12 offset0:116 offset1:117
	v_fma_f64 v[89:90], v[2:3], v[47:48], v[89:90]
	v_fma_f64 v[91:92], v[15:16], v[47:48], -v[91:92]
	ds_read2_b64 v[0:3], v12 offset0:118 offset1:119
	v_fma_f64 v[93:94], v[17:18], v[47:48], v[93:94]
	;; [unrolled: 3-line block ×4, first 2 shown]
	ds_read2_b64 v[23:26], v12 offset0:124 offset1:125
	v_fma_f64 v[27:28], v[27:28], v[47:48], -v[103:104]
	v_fma_f64 v[29:30], v[29:30], v[47:48], v[105:106]
	v_fma_f64 v[31:32], v[31:32], v[47:48], -v[107:108]
	v_fma_f64 v[33:34], v[33:34], v[47:48], v[109:110]
	s_waitcnt vmcnt(28)
	v_add_f64 v[27:28], v[59:60], -v[27:28]
	s_waitcnt vmcnt(26)
	v_add_f64 v[29:30], v[61:62], -v[29:30]
	;; [unrolled: 2-line block ×4, first 2 shown]
	v_add_f64 v[41:42], v[41:42], -v[89:90]
	v_add_f64 v[43:44], v[43:44], -v[91:92]
	;; [unrolled: 1-line block ×3, first 2 shown]
	s_waitcnt lgkmcnt(4)
	v_mul_f64 v[47:48], v[37:38], v[49:50]
	v_mul_f64 v[103:104], v[35:36], v[49:50]
	s_waitcnt lgkmcnt(3)
	v_mul_f64 v[89:90], v[2:3], v[49:50]
	v_mul_f64 v[91:92], v[0:1], v[49:50]
	s_waitcnt lgkmcnt(2)
	v_mul_f64 v[93:94], v[17:18], v[49:50]
	v_add_f64 v[51:52], v[51:52], -v[95:96]
	v_mul_f64 v[95:96], v[15:16], v[49:50]
	v_add_f64 v[53:54], v[53:54], -v[97:98]
	s_waitcnt lgkmcnt(1)
	v_mul_f64 v[97:98], v[21:22], v[49:50]
	v_add_f64 v[55:56], v[55:56], -v[99:100]
	v_mul_f64 v[99:100], v[19:20], v[49:50]
	v_add_f64 v[57:58], v[57:58], -v[101:102]
	s_waitcnt lgkmcnt(0)
	v_mul_f64 v[101:102], v[25:26], v[49:50]
	v_mul_f64 v[49:50], v[23:24], v[49:50]
	v_add_f64 v[39:40], v[39:40], -v[111:112]
	buffer_store_dword v41, off, s[0:3], 0 offset:840
	buffer_store_dword v42, off, s[0:3], 0 offset:844
	;; [unrolled: 1-line block ×4, first 2 shown]
	s_waitcnt vmcnt(20)
	v_fma_f64 v[35:36], v[35:36], v[67:68], -v[47:48]
	v_fma_f64 v[37:38], v[37:38], v[67:68], v[103:104]
	v_fma_f64 v[0:1], v[0:1], v[67:68], -v[89:90]
	v_fma_f64 v[2:3], v[2:3], v[67:68], v[91:92]
	v_fma_f64 v[15:16], v[15:16], v[67:68], -v[93:94]
	buffer_store_dword v45, off, s[0:3], 0 offset:856
	v_fma_f64 v[17:18], v[17:18], v[67:68], v[95:96]
	buffer_store_dword v46, off, s[0:3], 0 offset:860
	v_fma_f64 v[19:20], v[19:20], v[67:68], -v[97:98]
	buffer_store_dword v52, off, s[0:3], 0 offset:868
	v_fma_f64 v[21:22], v[21:22], v[67:68], v[99:100]
	v_fma_f64 v[23:24], v[23:24], v[67:68], -v[101:102]
	v_fma_f64 v[25:26], v[25:26], v[67:68], v[49:50]
	buffer_store_dword v39, off, s[0:3], 0 offset:832
	buffer_store_dword v40, off, s[0:3], 0 offset:836
	;; [unrolled: 1-line block ×10, first 2 shown]
	s_waitcnt vmcnt(13)
	v_add_f64 v[35:36], v[69:70], -v[35:36]
	s_waitcnt vmcnt(12)
	v_add_f64 v[37:38], v[75:76], -v[37:38]
	v_add_f64 v[0:1], v[71:72], -v[0:1]
	;; [unrolled: 1-line block ×3, first 2 shown]
	s_waitcnt vmcnt(10)
	v_add_f64 v[15:16], v[77:78], -v[15:16]
	buffer_store_dword v27, off, s[0:3], 0 offset:896
	s_waitcnt vmcnt(8)
	v_add_f64 v[17:18], v[79:80], -v[17:18]
	buffer_store_dword v30, off, s[0:3], 0 offset:908
	s_waitcnt vmcnt(6)
	v_add_f64 v[19:20], v[81:82], -v[19:20]
	buffer_store_dword v29, off, s[0:3], 0 offset:904
	s_waitcnt vmcnt(4)
	v_add_f64 v[21:22], v[83:84], -v[21:22]
	buffer_store_dword v32, off, s[0:3], 0 offset:916
	s_waitcnt vmcnt(2)
	v_add_f64 v[23:24], v[85:86], -v[23:24]
	s_waitcnt vmcnt(0)
	v_add_f64 v[25:26], v[87:88], -v[25:26]
	buffer_store_dword v31, off, s[0:3], 0 offset:912
	buffer_store_dword v34, off, s[0:3], 0 offset:924
	;; [unrolled: 1-line block ×23, first 2 shown]
.LBB124_1224:
	s_or_b32 exec_lo, exec_lo, s4
	v_mov_b32_e32 v3, s28
	s_waitcnt_vscnt null, 0x0
	s_barrier
	buffer_gl0_inv
	v_lshl_add_u32 v4, v11, 4, v12
	s_clause 0x3
	buffer_load_dword v0, v3, s[0:3], 0 offen
	buffer_load_dword v1, v3, s[0:3], 0 offen offset:4
	buffer_load_dword v2, v3, s[0:3], 0 offen offset:8
	;; [unrolled: 1-line block ×3, first 2 shown]
	s_cmp_lt_i32 s57, 54
	s_waitcnt vmcnt(0)
	ds_write2_b64 v4, v[0:1], v[2:3] offset1:1
	s_waitcnt lgkmcnt(0)
	s_barrier
	buffer_gl0_inv
	ds_read2_b64 v[0:3], v12 offset0:104 offset1:105
	v_mov_b32_e32 v4, 52
	s_cbranch_scc1 .LBB124_1227
; %bb.1225:
	v_add3_u32 v10, v14, 0, 0x350
	v_mov_b32_e32 v4, 52
	s_mov_b32 s16, 53
	s_inst_prefetch 0x1
	.p2align	6
.LBB124_1226:                           ; =>This Inner Loop Header: Depth=1
	s_waitcnt lgkmcnt(0)
	v_cmp_gt_f64_e32 vcc_lo, 0, v[2:3]
	v_cmp_gt_f64_e64 s4, 0, v[0:1]
	ds_read2_b64 v[15:18], v10 offset1:1
	v_xor_b32_e32 v20, 0x80000000, v1
	v_xor_b32_e32 v22, 0x80000000, v3
	v_mov_b32_e32 v19, v0
	v_mov_b32_e32 v21, v2
	v_add_nc_u32_e32 v10, 16, v10
	s_waitcnt lgkmcnt(0)
	v_xor_b32_e32 v24, 0x80000000, v18
	v_cndmask_b32_e64 v20, v1, v20, s4
	v_cndmask_b32_e32 v22, v3, v22, vcc_lo
	v_cmp_gt_f64_e32 vcc_lo, 0, v[17:18]
	v_cmp_gt_f64_e64 s4, 0, v[15:16]
	v_mov_b32_e32 v23, v17
	v_add_f64 v[19:20], v[19:20], v[21:22]
	v_xor_b32_e32 v22, 0x80000000, v16
	v_mov_b32_e32 v21, v15
	v_cndmask_b32_e32 v24, v18, v24, vcc_lo
	v_cndmask_b32_e64 v22, v16, v22, s4
	v_add_f64 v[21:22], v[21:22], v[23:24]
	v_cmp_lt_f64_e32 vcc_lo, v[19:20], v[21:22]
	v_cndmask_b32_e32 v1, v1, v16, vcc_lo
	v_cndmask_b32_e32 v0, v0, v15, vcc_lo
	;; [unrolled: 1-line block ×4, first 2 shown]
	v_cndmask_b32_e64 v4, v4, s16, vcc_lo
	s_add_i32 s16, s16, 1
	s_cmp_lg_u32 s57, s16
	s_cbranch_scc1 .LBB124_1226
.LBB124_1227:
	s_inst_prefetch 0x2
	s_waitcnt lgkmcnt(0)
	v_cmp_eq_f64_e32 vcc_lo, 0, v[0:1]
	v_cmp_eq_f64_e64 s4, 0, v[2:3]
	s_and_b32 s4, vcc_lo, s4
	s_and_saveexec_b32 s16, s4
	s_xor_b32 s4, exec_lo, s16
; %bb.1228:
	v_cmp_ne_u32_e32 vcc_lo, 0, v13
	v_cndmask_b32_e32 v13, 53, v13, vcc_lo
; %bb.1229:
	s_andn2_saveexec_b32 s4, s4
	s_cbranch_execz .LBB124_1235
; %bb.1230:
	v_cmp_ngt_f64_e64 s16, |v[0:1]|, |v[2:3]|
	s_and_saveexec_b32 s17, s16
	s_xor_b32 s16, exec_lo, s17
	s_cbranch_execz .LBB124_1232
; %bb.1231:
	v_div_scale_f64 v[15:16], null, v[2:3], v[2:3], v[0:1]
	v_div_scale_f64 v[21:22], vcc_lo, v[0:1], v[2:3], v[0:1]
	v_rcp_f64_e32 v[17:18], v[15:16]
	v_fma_f64 v[19:20], -v[15:16], v[17:18], 1.0
	v_fma_f64 v[17:18], v[17:18], v[19:20], v[17:18]
	v_fma_f64 v[19:20], -v[15:16], v[17:18], 1.0
	v_fma_f64 v[17:18], v[17:18], v[19:20], v[17:18]
	v_mul_f64 v[19:20], v[21:22], v[17:18]
	v_fma_f64 v[15:16], -v[15:16], v[19:20], v[21:22]
	v_div_fmas_f64 v[15:16], v[15:16], v[17:18], v[19:20]
	v_div_fixup_f64 v[15:16], v[15:16], v[2:3], v[0:1]
	v_fma_f64 v[0:1], v[0:1], v[15:16], v[2:3]
	v_div_scale_f64 v[2:3], null, v[0:1], v[0:1], 1.0
	v_rcp_f64_e32 v[17:18], v[2:3]
	v_fma_f64 v[19:20], -v[2:3], v[17:18], 1.0
	v_fma_f64 v[17:18], v[17:18], v[19:20], v[17:18]
	v_fma_f64 v[19:20], -v[2:3], v[17:18], 1.0
	v_fma_f64 v[17:18], v[17:18], v[19:20], v[17:18]
	v_div_scale_f64 v[19:20], vcc_lo, 1.0, v[0:1], 1.0
	v_mul_f64 v[21:22], v[19:20], v[17:18]
	v_fma_f64 v[2:3], -v[2:3], v[21:22], v[19:20]
	v_div_fmas_f64 v[2:3], v[2:3], v[17:18], v[21:22]
	v_div_fixup_f64 v[2:3], v[2:3], v[0:1], 1.0
	v_mul_f64 v[0:1], v[15:16], v[2:3]
	v_xor_b32_e32 v3, 0x80000000, v3
.LBB124_1232:
	s_andn2_saveexec_b32 s16, s16
	s_cbranch_execz .LBB124_1234
; %bb.1233:
	v_div_scale_f64 v[15:16], null, v[0:1], v[0:1], v[2:3]
	v_div_scale_f64 v[21:22], vcc_lo, v[2:3], v[0:1], v[2:3]
	v_rcp_f64_e32 v[17:18], v[15:16]
	v_fma_f64 v[19:20], -v[15:16], v[17:18], 1.0
	v_fma_f64 v[17:18], v[17:18], v[19:20], v[17:18]
	v_fma_f64 v[19:20], -v[15:16], v[17:18], 1.0
	v_fma_f64 v[17:18], v[17:18], v[19:20], v[17:18]
	v_mul_f64 v[19:20], v[21:22], v[17:18]
	v_fma_f64 v[15:16], -v[15:16], v[19:20], v[21:22]
	v_div_fmas_f64 v[15:16], v[15:16], v[17:18], v[19:20]
	v_div_fixup_f64 v[15:16], v[15:16], v[0:1], v[2:3]
	v_fma_f64 v[0:1], v[2:3], v[15:16], v[0:1]
	v_div_scale_f64 v[2:3], null, v[0:1], v[0:1], 1.0
	v_rcp_f64_e32 v[17:18], v[2:3]
	v_fma_f64 v[19:20], -v[2:3], v[17:18], 1.0
	v_fma_f64 v[17:18], v[17:18], v[19:20], v[17:18]
	v_fma_f64 v[19:20], -v[2:3], v[17:18], 1.0
	v_fma_f64 v[17:18], v[17:18], v[19:20], v[17:18]
	v_div_scale_f64 v[19:20], vcc_lo, 1.0, v[0:1], 1.0
	v_mul_f64 v[21:22], v[19:20], v[17:18]
	v_fma_f64 v[2:3], -v[2:3], v[21:22], v[19:20]
	v_div_fmas_f64 v[2:3], v[2:3], v[17:18], v[21:22]
	v_div_fixup_f64 v[0:1], v[2:3], v[0:1], 1.0
	v_mul_f64 v[2:3], v[15:16], -v[0:1]
.LBB124_1234:
	s_or_b32 exec_lo, exec_lo, s16
.LBB124_1235:
	s_or_b32 exec_lo, exec_lo, s4
	s_mov_b32 s4, exec_lo
	v_cmpx_ne_u32_e64 v11, v4
	s_xor_b32 s4, exec_lo, s4
	s_cbranch_execz .LBB124_1241
; %bb.1236:
	s_mov_b32 s16, exec_lo
	v_cmpx_eq_u32_e32 52, v11
	s_cbranch_execz .LBB124_1240
; %bb.1237:
	v_cmp_ne_u32_e32 vcc_lo, 52, v4
	s_xor_b32 s17, s20, -1
	s_and_b32 s56, s17, vcc_lo
	s_and_saveexec_b32 s17, s56
	s_cbranch_execz .LBB124_1239
; %bb.1238:
	v_ashrrev_i32_e32 v5, 31, v4
	v_lshlrev_b64 v[10:11], 2, v[4:5]
	v_add_co_u32 v10, vcc_lo, v8, v10
	v_add_co_ci_u32_e64 v11, null, v9, v11, vcc_lo
	s_clause 0x1
	global_load_dword v5, v[10:11], off
	global_load_dword v15, v[8:9], off offset:208
	s_waitcnt vmcnt(1)
	global_store_dword v[8:9], v5, off offset:208
	s_waitcnt vmcnt(0)
	global_store_dword v[10:11], v15, off
.LBB124_1239:
	s_or_b32 exec_lo, exec_lo, s17
	v_mov_b32_e32 v11, v4
	v_mov_b32_e32 v5, v4
.LBB124_1240:
	s_or_b32 exec_lo, exec_lo, s16
.LBB124_1241:
	s_andn2_saveexec_b32 s4, s4
	s_cbranch_execz .LBB124_1243
; %bb.1242:
	v_mov_b32_e32 v4, s27
	v_mov_b32_e32 v10, s26
	;; [unrolled: 1-line block ×3, first 2 shown]
	s_clause 0x7
	buffer_load_dword v15, v4, s[0:3], 0 offen
	buffer_load_dword v16, v4, s[0:3], 0 offen offset:4
	buffer_load_dword v17, v4, s[0:3], 0 offen offset:8
	buffer_load_dword v18, v4, s[0:3], 0 offen offset:12
	buffer_load_dword v19, v10, s[0:3], 0 offen
	buffer_load_dword v20, v10, s[0:3], 0 offen offset:4
	buffer_load_dword v21, v10, s[0:3], 0 offen offset:8
	buffer_load_dword v22, v10, s[0:3], 0 offen offset:12
	v_mov_b32_e32 v10, s23
	v_mov_b32_e32 v4, s24
	s_clause 0x7
	buffer_load_dword v23, v11, s[0:3], 0 offen
	buffer_load_dword v24, v11, s[0:3], 0 offen offset:4
	buffer_load_dword v25, v11, s[0:3], 0 offen offset:8
	buffer_load_dword v26, v11, s[0:3], 0 offen offset:12
	buffer_load_dword v27, v4, s[0:3], 0 offen
	buffer_load_dword v28, v4, s[0:3], 0 offen offset:4
	buffer_load_dword v29, v4, s[0:3], 0 offen offset:8
	buffer_load_dword v30, v4, s[0:3], 0 offen offset:12
	v_mov_b32_e32 v4, s22
	v_mov_b32_e32 v11, s19
	;; [unrolled: 11-line block ×3, first 2 shown]
	s_clause 0x7
	buffer_load_dword v39, v11, s[0:3], 0 offen
	buffer_load_dword v40, v11, s[0:3], 0 offen offset:4
	buffer_load_dword v41, v11, s[0:3], 0 offen offset:8
	;; [unrolled: 1-line block ×3, first 2 shown]
	buffer_load_dword v43, v4, s[0:3], 0 offen
	buffer_load_dword v44, v4, s[0:3], 0 offen offset:4
	buffer_load_dword v45, v4, s[0:3], 0 offen offset:8
	;; [unrolled: 1-line block ×3, first 2 shown]
	v_mov_b32_e32 v4, s5
	s_clause 0x7
	buffer_load_dword v47, v10, s[0:3], 0 offen
	buffer_load_dword v48, v10, s[0:3], 0 offen offset:4
	buffer_load_dword v49, v10, s[0:3], 0 offen offset:8
	;; [unrolled: 1-line block ×3, first 2 shown]
	buffer_load_dword v51, v4, s[0:3], 0 offen
	buffer_load_dword v52, v4, s[0:3], 0 offen offset:4
	buffer_load_dword v53, v4, s[0:3], 0 offen offset:8
	;; [unrolled: 1-line block ×3, first 2 shown]
	v_mov_b32_e32 v11, 52
	s_waitcnt vmcnt(36)
	ds_write2_b64 v12, v[15:16], v[17:18] offset0:106 offset1:107
	s_waitcnt vmcnt(32)
	ds_write2_b64 v12, v[19:20], v[21:22] offset0:108 offset1:109
	;; [unrolled: 2-line block ×10, first 2 shown]
.LBB124_1243:
	s_or_b32 exec_lo, exec_lo, s4
	s_mov_b32 s4, exec_lo
	s_waitcnt lgkmcnt(0)
	s_waitcnt_vscnt null, 0x0
	s_barrier
	buffer_gl0_inv
	v_cmpx_lt_i32_e32 52, v11
	s_cbranch_execz .LBB124_1245
; %bb.1244:
	s_clause 0x7
	buffer_load_dword v15, off, s[0:3], 0 offset:840
	buffer_load_dword v16, off, s[0:3], 0 offset:844
	;; [unrolled: 1-line block ×8, first 2 shown]
	s_waitcnt vmcnt(6)
	v_mul_f64 v[19:20], v[0:1], v[15:16]
	v_mul_f64 v[15:16], v[2:3], v[15:16]
	s_waitcnt vmcnt(4)
	v_fma_f64 v[43:44], v[2:3], v[17:18], v[19:20]
	v_fma_f64 v[55:56], v[0:1], v[17:18], -v[15:16]
	buffer_store_dword v43, off, s[0:3], 0 offset:840
	buffer_store_dword v44, off, s[0:3], 0 offset:844
	s_clause 0x5
	buffer_load_dword v50, off, s[0:3], 0 offset:860
	buffer_load_dword v52, off, s[0:3], 0 offset:868
	;; [unrolled: 1-line block ×6, first 2 shown]
	buffer_store_dword v55, off, s[0:3], 0 offset:832
	buffer_store_dword v56, off, s[0:3], 0 offset:836
	s_clause 0x21
	buffer_load_dword v59, off, s[0:3], 0 offset:832
	buffer_load_dword v60, off, s[0:3], 0 offset:836
	;; [unrolled: 1-line block ×34, first 2 shown]
	ds_read2_b64 v[0:3], v12 offset0:106 offset1:107
	ds_read2_b64 v[15:18], v12 offset0:108 offset1:109
	;; [unrolled: 1-line block ×8, first 2 shown]
	s_waitcnt lgkmcnt(7)
	v_mul_f64 v[45:46], v[2:3], v[43:44]
	v_mul_f64 v[93:94], v[0:1], v[43:44]
	s_waitcnt lgkmcnt(6)
	v_mul_f64 v[95:96], v[17:18], v[43:44]
	v_mul_f64 v[97:98], v[15:16], v[43:44]
	;; [unrolled: 3-line block ×6, first 2 shown]
	v_fma_f64 v[115:116], v[0:1], v[55:56], -v[45:46]
	ds_read2_b64 v[43:46], v12 offset0:122 offset1:123
	v_fma_f64 v[93:94], v[2:3], v[55:56], v[93:94]
	ds_read2_b64 v[0:3], v12 offset0:124 offset1:125
	v_fma_f64 v[15:16], v[15:16], v[55:56], -v[95:96]
	v_fma_f64 v[17:18], v[17:18], v[55:56], v[97:98]
	v_fma_f64 v[19:20], v[19:20], v[55:56], -v[99:100]
	v_fma_f64 v[21:22], v[21:22], v[55:56], v[101:102]
	;; [unrolled: 2-line block ×5, first 2 shown]
	s_waitcnt vmcnt(30)
	v_add_f64 v[19:20], v[61:62], -v[19:20]
	s_waitcnt vmcnt(28)
	v_add_f64 v[21:22], v[63:64], -v[21:22]
	;; [unrolled: 2-line block ×8, first 2 shown]
	v_add_f64 v[49:50], v[49:50], -v[93:94]
	v_add_f64 v[15:16], v[51:52], -v[15:16]
	;; [unrolled: 1-line block ×3, first 2 shown]
	s_waitcnt lgkmcnt(3)
	v_mul_f64 v[95:96], v[37:38], v[57:58]
	v_mul_f64 v[97:98], v[35:36], v[57:58]
	s_waitcnt lgkmcnt(2)
	v_mul_f64 v[99:100], v[41:42], v[57:58]
	v_mul_f64 v[101:102], v[39:40], v[57:58]
	;; [unrolled: 3-line block ×4, first 2 shown]
	v_add_f64 v[47:48], v[47:48], -v[115:116]
	buffer_store_dword v49, off, s[0:3], 0 offset:856
	v_fma_f64 v[35:36], v[35:36], v[59:60], -v[95:96]
	v_fma_f64 v[37:38], v[37:38], v[59:60], v[97:98]
	v_fma_f64 v[39:40], v[39:40], v[59:60], -v[99:100]
	v_fma_f64 v[41:42], v[41:42], v[59:60], v[101:102]
	;; [unrolled: 2-line block ×4, first 2 shown]
	buffer_store_dword v47, off, s[0:3], 0 offset:848
	buffer_store_dword v48, off, s[0:3], 0 offset:852
	;; [unrolled: 1-line block ×16, first 2 shown]
	s_waitcnt vmcnt(9)
	v_add_f64 v[15:16], v[77:78], -v[35:36]
	s_waitcnt vmcnt(8)
	v_add_f64 v[17:18], v[83:84], -v[37:38]
	v_add_f64 v[19:20], v[79:80], -v[39:40]
	;; [unrolled: 1-line block ×3, first 2 shown]
	s_waitcnt vmcnt(6)
	v_add_f64 v[23:24], v[85:86], -v[43:44]
	s_waitcnt vmcnt(4)
	v_add_f64 v[35:36], v[87:88], -v[45:46]
	;; [unrolled: 2-line block ×4, first 2 shown]
	buffer_store_dword v27, off, s[0:3], 0 offset:912
	buffer_store_dword v30, off, s[0:3], 0 offset:924
	;; [unrolled: 1-line block ×23, first 2 shown]
.LBB124_1245:
	s_or_b32 exec_lo, exec_lo, s4
	v_mov_b32_e32 v3, s27
	s_waitcnt_vscnt null, 0x0
	s_barrier
	buffer_gl0_inv
	v_lshl_add_u32 v4, v11, 4, v12
	s_clause 0x3
	buffer_load_dword v0, v3, s[0:3], 0 offen
	buffer_load_dword v1, v3, s[0:3], 0 offen offset:4
	buffer_load_dword v2, v3, s[0:3], 0 offen offset:8
	;; [unrolled: 1-line block ×3, first 2 shown]
	s_cmp_lt_i32 s57, 55
	s_waitcnt vmcnt(0)
	ds_write2_b64 v4, v[0:1], v[2:3] offset1:1
	s_waitcnt lgkmcnt(0)
	s_barrier
	buffer_gl0_inv
	ds_read2_b64 v[0:3], v12 offset0:106 offset1:107
	v_mov_b32_e32 v4, 53
	s_cbranch_scc1 .LBB124_1248
; %bb.1246:
	v_add3_u32 v10, v14, 0, 0x360
	v_mov_b32_e32 v4, 53
	s_mov_b32 s16, 54
	s_inst_prefetch 0x1
	.p2align	6
.LBB124_1247:                           ; =>This Inner Loop Header: Depth=1
	s_waitcnt lgkmcnt(0)
	v_cmp_gt_f64_e32 vcc_lo, 0, v[2:3]
	v_cmp_gt_f64_e64 s4, 0, v[0:1]
	ds_read2_b64 v[15:18], v10 offset1:1
	v_xor_b32_e32 v20, 0x80000000, v1
	v_xor_b32_e32 v22, 0x80000000, v3
	v_mov_b32_e32 v19, v0
	v_mov_b32_e32 v21, v2
	v_add_nc_u32_e32 v10, 16, v10
	s_waitcnt lgkmcnt(0)
	v_xor_b32_e32 v24, 0x80000000, v18
	v_cndmask_b32_e64 v20, v1, v20, s4
	v_cndmask_b32_e32 v22, v3, v22, vcc_lo
	v_cmp_gt_f64_e32 vcc_lo, 0, v[17:18]
	v_cmp_gt_f64_e64 s4, 0, v[15:16]
	v_mov_b32_e32 v23, v17
	v_add_f64 v[19:20], v[19:20], v[21:22]
	v_xor_b32_e32 v22, 0x80000000, v16
	v_mov_b32_e32 v21, v15
	v_cndmask_b32_e32 v24, v18, v24, vcc_lo
	v_cndmask_b32_e64 v22, v16, v22, s4
	v_add_f64 v[21:22], v[21:22], v[23:24]
	v_cmp_lt_f64_e32 vcc_lo, v[19:20], v[21:22]
	v_cndmask_b32_e32 v1, v1, v16, vcc_lo
	v_cndmask_b32_e32 v0, v0, v15, vcc_lo
	v_cndmask_b32_e32 v3, v3, v18, vcc_lo
	v_cndmask_b32_e32 v2, v2, v17, vcc_lo
	v_cndmask_b32_e64 v4, v4, s16, vcc_lo
	s_add_i32 s16, s16, 1
	s_cmp_lg_u32 s57, s16
	s_cbranch_scc1 .LBB124_1247
.LBB124_1248:
	s_inst_prefetch 0x2
	s_waitcnt lgkmcnt(0)
	v_cmp_eq_f64_e32 vcc_lo, 0, v[0:1]
	v_cmp_eq_f64_e64 s4, 0, v[2:3]
	s_and_b32 s4, vcc_lo, s4
	s_and_saveexec_b32 s16, s4
	s_xor_b32 s4, exec_lo, s16
; %bb.1249:
	v_cmp_ne_u32_e32 vcc_lo, 0, v13
	v_cndmask_b32_e32 v13, 54, v13, vcc_lo
; %bb.1250:
	s_andn2_saveexec_b32 s4, s4
	s_cbranch_execz .LBB124_1256
; %bb.1251:
	v_cmp_ngt_f64_e64 s16, |v[0:1]|, |v[2:3]|
	s_and_saveexec_b32 s17, s16
	s_xor_b32 s16, exec_lo, s17
	s_cbranch_execz .LBB124_1253
; %bb.1252:
	v_div_scale_f64 v[15:16], null, v[2:3], v[2:3], v[0:1]
	v_div_scale_f64 v[21:22], vcc_lo, v[0:1], v[2:3], v[0:1]
	v_rcp_f64_e32 v[17:18], v[15:16]
	v_fma_f64 v[19:20], -v[15:16], v[17:18], 1.0
	v_fma_f64 v[17:18], v[17:18], v[19:20], v[17:18]
	v_fma_f64 v[19:20], -v[15:16], v[17:18], 1.0
	v_fma_f64 v[17:18], v[17:18], v[19:20], v[17:18]
	v_mul_f64 v[19:20], v[21:22], v[17:18]
	v_fma_f64 v[15:16], -v[15:16], v[19:20], v[21:22]
	v_div_fmas_f64 v[15:16], v[15:16], v[17:18], v[19:20]
	v_div_fixup_f64 v[15:16], v[15:16], v[2:3], v[0:1]
	v_fma_f64 v[0:1], v[0:1], v[15:16], v[2:3]
	v_div_scale_f64 v[2:3], null, v[0:1], v[0:1], 1.0
	v_rcp_f64_e32 v[17:18], v[2:3]
	v_fma_f64 v[19:20], -v[2:3], v[17:18], 1.0
	v_fma_f64 v[17:18], v[17:18], v[19:20], v[17:18]
	v_fma_f64 v[19:20], -v[2:3], v[17:18], 1.0
	v_fma_f64 v[17:18], v[17:18], v[19:20], v[17:18]
	v_div_scale_f64 v[19:20], vcc_lo, 1.0, v[0:1], 1.0
	v_mul_f64 v[21:22], v[19:20], v[17:18]
	v_fma_f64 v[2:3], -v[2:3], v[21:22], v[19:20]
	v_div_fmas_f64 v[2:3], v[2:3], v[17:18], v[21:22]
	v_div_fixup_f64 v[2:3], v[2:3], v[0:1], 1.0
	v_mul_f64 v[0:1], v[15:16], v[2:3]
	v_xor_b32_e32 v3, 0x80000000, v3
.LBB124_1253:
	s_andn2_saveexec_b32 s16, s16
	s_cbranch_execz .LBB124_1255
; %bb.1254:
	v_div_scale_f64 v[15:16], null, v[0:1], v[0:1], v[2:3]
	v_div_scale_f64 v[21:22], vcc_lo, v[2:3], v[0:1], v[2:3]
	v_rcp_f64_e32 v[17:18], v[15:16]
	v_fma_f64 v[19:20], -v[15:16], v[17:18], 1.0
	v_fma_f64 v[17:18], v[17:18], v[19:20], v[17:18]
	v_fma_f64 v[19:20], -v[15:16], v[17:18], 1.0
	v_fma_f64 v[17:18], v[17:18], v[19:20], v[17:18]
	v_mul_f64 v[19:20], v[21:22], v[17:18]
	v_fma_f64 v[15:16], -v[15:16], v[19:20], v[21:22]
	v_div_fmas_f64 v[15:16], v[15:16], v[17:18], v[19:20]
	v_div_fixup_f64 v[15:16], v[15:16], v[0:1], v[2:3]
	v_fma_f64 v[0:1], v[2:3], v[15:16], v[0:1]
	v_div_scale_f64 v[2:3], null, v[0:1], v[0:1], 1.0
	v_rcp_f64_e32 v[17:18], v[2:3]
	v_fma_f64 v[19:20], -v[2:3], v[17:18], 1.0
	v_fma_f64 v[17:18], v[17:18], v[19:20], v[17:18]
	v_fma_f64 v[19:20], -v[2:3], v[17:18], 1.0
	v_fma_f64 v[17:18], v[17:18], v[19:20], v[17:18]
	v_div_scale_f64 v[19:20], vcc_lo, 1.0, v[0:1], 1.0
	v_mul_f64 v[21:22], v[19:20], v[17:18]
	v_fma_f64 v[2:3], -v[2:3], v[21:22], v[19:20]
	v_div_fmas_f64 v[2:3], v[2:3], v[17:18], v[21:22]
	v_div_fixup_f64 v[0:1], v[2:3], v[0:1], 1.0
	v_mul_f64 v[2:3], v[15:16], -v[0:1]
.LBB124_1255:
	s_or_b32 exec_lo, exec_lo, s16
.LBB124_1256:
	s_or_b32 exec_lo, exec_lo, s4
	s_mov_b32 s4, exec_lo
	v_cmpx_ne_u32_e64 v11, v4
	s_xor_b32 s4, exec_lo, s4
	s_cbranch_execz .LBB124_1262
; %bb.1257:
	s_mov_b32 s16, exec_lo
	v_cmpx_eq_u32_e32 53, v11
	s_cbranch_execz .LBB124_1261
; %bb.1258:
	v_cmp_ne_u32_e32 vcc_lo, 53, v4
	s_xor_b32 s17, s20, -1
	s_and_b32 s56, s17, vcc_lo
	s_and_saveexec_b32 s17, s56
	s_cbranch_execz .LBB124_1260
; %bb.1259:
	v_ashrrev_i32_e32 v5, 31, v4
	v_lshlrev_b64 v[10:11], 2, v[4:5]
	v_add_co_u32 v10, vcc_lo, v8, v10
	v_add_co_ci_u32_e64 v11, null, v9, v11, vcc_lo
	s_clause 0x1
	global_load_dword v5, v[10:11], off
	global_load_dword v15, v[8:9], off offset:212
	s_waitcnt vmcnt(1)
	global_store_dword v[8:9], v5, off offset:212
	s_waitcnt vmcnt(0)
	global_store_dword v[10:11], v15, off
.LBB124_1260:
	s_or_b32 exec_lo, exec_lo, s17
	v_mov_b32_e32 v11, v4
	v_mov_b32_e32 v5, v4
.LBB124_1261:
	s_or_b32 exec_lo, exec_lo, s16
.LBB124_1262:
	s_andn2_saveexec_b32 s4, s4
	s_cbranch_execz .LBB124_1264
; %bb.1263:
	v_mov_b32_e32 v4, s26
	v_mov_b32_e32 v11, s24
	v_mov_b32_e32 v10, s25
	s_clause 0x7
	buffer_load_dword v15, v4, s[0:3], 0 offen
	buffer_load_dword v16, v4, s[0:3], 0 offen offset:4
	buffer_load_dword v17, v4, s[0:3], 0 offen offset:8
	buffer_load_dword v18, v4, s[0:3], 0 offen offset:12
	buffer_load_dword v19, v10, s[0:3], 0 offen
	buffer_load_dword v20, v10, s[0:3], 0 offen offset:4
	buffer_load_dword v21, v10, s[0:3], 0 offen offset:8
	buffer_load_dword v22, v10, s[0:3], 0 offen offset:12
	v_mov_b32_e32 v4, s23
	v_mov_b32_e32 v10, s22
	s_clause 0x7
	buffer_load_dword v23, v11, s[0:3], 0 offen
	buffer_load_dword v24, v11, s[0:3], 0 offen offset:4
	buffer_load_dword v25, v11, s[0:3], 0 offen offset:8
	buffer_load_dword v26, v11, s[0:3], 0 offen offset:12
	buffer_load_dword v27, v4, s[0:3], 0 offen
	buffer_load_dword v28, v4, s[0:3], 0 offen offset:4
	buffer_load_dword v29, v4, s[0:3], 0 offen offset:8
	buffer_load_dword v30, v4, s[0:3], 0 offen offset:12
	v_mov_b32_e32 v11, s18
	v_mov_b32_e32 v4, s19
	;; [unrolled: 11-line block ×3, first 2 shown]
	s_clause 0xb
	buffer_load_dword v39, v11, s[0:3], 0 offen
	buffer_load_dword v40, v11, s[0:3], 0 offen offset:4
	buffer_load_dword v41, v11, s[0:3], 0 offen offset:8
	buffer_load_dword v42, v11, s[0:3], 0 offen offset:12
	buffer_load_dword v43, v4, s[0:3], 0 offen
	buffer_load_dword v44, v4, s[0:3], 0 offen offset:4
	buffer_load_dword v45, v4, s[0:3], 0 offen offset:8
	buffer_load_dword v46, v4, s[0:3], 0 offen offset:12
	;; [unrolled: 4-line block ×3, first 2 shown]
	v_mov_b32_e32 v11, 53
	s_waitcnt vmcnt(32)
	ds_write2_b64 v12, v[15:16], v[17:18] offset0:108 offset1:109
	s_waitcnt vmcnt(28)
	ds_write2_b64 v12, v[19:20], v[21:22] offset0:110 offset1:111
	;; [unrolled: 2-line block ×9, first 2 shown]
.LBB124_1264:
	s_or_b32 exec_lo, exec_lo, s4
	s_mov_b32 s4, exec_lo
	s_waitcnt lgkmcnt(0)
	s_waitcnt_vscnt null, 0x0
	s_barrier
	buffer_gl0_inv
	v_cmpx_lt_i32_e32 53, v11
	s_cbranch_execz .LBB124_1266
; %bb.1265:
	s_clause 0x7
	buffer_load_dword v15, off, s[0:3], 0 offset:856
	buffer_load_dword v16, off, s[0:3], 0 offset:860
	buffer_load_dword v17, off, s[0:3], 0 offset:848
	buffer_load_dword v18, off, s[0:3], 0 offset:852
	buffer_load_dword v47, off, s[0:3], 0 offset:864
	buffer_load_dword v49, off, s[0:3], 0 offset:872
	buffer_load_dword v51, off, s[0:3], 0 offset:880
	buffer_load_dword v53, off, s[0:3], 0 offset:888
	s_waitcnt vmcnt(6)
	v_mul_f64 v[19:20], v[0:1], v[15:16]
	v_mul_f64 v[15:16], v[2:3], v[15:16]
	s_waitcnt vmcnt(4)
	v_fma_f64 v[55:56], v[2:3], v[17:18], v[19:20]
	v_fma_f64 v[57:58], v[0:1], v[17:18], -v[15:16]
	buffer_store_dword v55, off, s[0:3], 0 offset:856
	buffer_store_dword v56, off, s[0:3], 0 offset:860
	s_clause 0x5
	buffer_load_dword v50, off, s[0:3], 0 offset:876
	buffer_load_dword v52, off, s[0:3], 0 offset:884
	buffer_load_dword v54, off, s[0:3], 0 offset:892
	buffer_load_dword v59, off, s[0:3], 0 offset:856
	buffer_load_dword v60, off, s[0:3], 0 offset:860
	buffer_load_dword v48, off, s[0:3], 0 offset:868
	buffer_store_dword v57, off, s[0:3], 0 offset:848
	buffer_store_dword v58, off, s[0:3], 0 offset:852
	s_clause 0x1d
	buffer_load_dword v61, off, s[0:3], 0 offset:848
	buffer_load_dword v62, off, s[0:3], 0 offset:852
	;; [unrolled: 1-line block ×30, first 2 shown]
	ds_read2_b64 v[0:3], v12 offset0:108 offset1:109
	ds_read2_b64 v[15:18], v12 offset0:110 offset1:111
	;; [unrolled: 1-line block ×9, first 2 shown]
	s_waitcnt lgkmcnt(8)
	v_mul_f64 v[91:92], v[2:3], v[55:56]
	v_mul_f64 v[93:94], v[0:1], v[55:56]
	s_waitcnt lgkmcnt(7)
	v_mul_f64 v[95:96], v[17:18], v[55:56]
	v_mul_f64 v[97:98], v[15:16], v[55:56]
	;; [unrolled: 3-line block ×6, first 2 shown]
	v_fma_f64 v[0:1], v[0:1], v[57:58], -v[91:92]
	v_fma_f64 v[2:3], v[2:3], v[57:58], v[93:94]
	v_fma_f64 v[15:16], v[15:16], v[57:58], -v[95:96]
	v_fma_f64 v[17:18], v[17:18], v[57:58], v[97:98]
	;; [unrolled: 2-line block ×6, first 2 shown]
	s_waitcnt vmcnt(26)
	v_add_f64 v[19:20], v[63:64], -v[19:20]
	s_waitcnt vmcnt(24)
	v_add_f64 v[21:22], v[65:66], -v[21:22]
	;; [unrolled: 2-line block ×8, first 2 shown]
	v_add_f64 v[2:3], v[49:50], -v[2:3]
	v_add_f64 v[15:16], v[51:52], -v[15:16]
	;; [unrolled: 1-line block ×3, first 2 shown]
	s_waitcnt lgkmcnt(2)
	v_mul_f64 v[91:92], v[37:38], v[59:60]
	v_mul_f64 v[93:94], v[35:36], v[59:60]
	s_waitcnt lgkmcnt(1)
	v_mul_f64 v[95:96], v[41:42], v[59:60]
	v_mul_f64 v[97:98], v[39:40], v[59:60]
	;; [unrolled: 3-line block ×3, first 2 shown]
	v_add_f64 v[0:1], v[47:48], -v[0:1]
	buffer_store_dword v0, off, s[0:3], 0 offset:864
	buffer_store_dword v1, off, s[0:3], 0 offset:868
	;; [unrolled: 1-line block ×8, first 2 shown]
	v_fma_f64 v[35:36], v[35:36], v[61:62], -v[91:92]
	v_fma_f64 v[37:38], v[37:38], v[61:62], v[93:94]
	v_fma_f64 v[39:40], v[39:40], v[61:62], -v[95:96]
	v_fma_f64 v[41:42], v[41:42], v[61:62], v[97:98]
	;; [unrolled: 2-line block ×3, first 2 shown]
	buffer_store_dword v20, off, s[0:3], 0 offset:900
	buffer_store_dword v19, off, s[0:3], 0 offset:896
	;; [unrolled: 1-line block ×5, first 2 shown]
	s_waitcnt vmcnt(5)
	v_add_f64 v[0:1], v[79:80], -v[35:36]
	s_waitcnt vmcnt(4)
	v_add_f64 v[2:3], v[85:86], -v[37:38]
	v_add_f64 v[15:16], v[81:82], -v[39:40]
	;; [unrolled: 1-line block ×3, first 2 shown]
	s_waitcnt vmcnt(2)
	v_add_f64 v[19:20], v[87:88], -v[43:44]
	s_waitcnt vmcnt(0)
	v_add_f64 v[21:22], v[89:90], -v[45:46]
	buffer_store_dword v23, off, s[0:3], 0 offset:912
	buffer_store_dword v26, off, s[0:3], 0 offset:924
	;; [unrolled: 1-line block ×23, first 2 shown]
.LBB124_1266:
	s_or_b32 exec_lo, exec_lo, s4
	v_mov_b32_e32 v3, s26
	s_waitcnt_vscnt null, 0x0
	s_barrier
	buffer_gl0_inv
	v_lshl_add_u32 v4, v11, 4, v12
	s_clause 0x3
	buffer_load_dword v0, v3, s[0:3], 0 offen
	buffer_load_dword v1, v3, s[0:3], 0 offen offset:4
	buffer_load_dword v2, v3, s[0:3], 0 offen offset:8
	;; [unrolled: 1-line block ×3, first 2 shown]
	s_cmp_lt_i32 s57, 56
	s_waitcnt vmcnt(0)
	ds_write2_b64 v4, v[0:1], v[2:3] offset1:1
	s_waitcnt lgkmcnt(0)
	s_barrier
	buffer_gl0_inv
	ds_read2_b64 v[0:3], v12 offset0:108 offset1:109
	v_mov_b32_e32 v4, 54
	s_cbranch_scc1 .LBB124_1269
; %bb.1267:
	v_add3_u32 v10, v14, 0, 0x370
	v_mov_b32_e32 v4, 54
	s_mov_b32 s16, 55
	s_inst_prefetch 0x1
	.p2align	6
.LBB124_1268:                           ; =>This Inner Loop Header: Depth=1
	s_waitcnt lgkmcnt(0)
	v_cmp_gt_f64_e32 vcc_lo, 0, v[2:3]
	v_cmp_gt_f64_e64 s4, 0, v[0:1]
	ds_read2_b64 v[15:18], v10 offset1:1
	v_xor_b32_e32 v20, 0x80000000, v1
	v_xor_b32_e32 v22, 0x80000000, v3
	v_mov_b32_e32 v19, v0
	v_mov_b32_e32 v21, v2
	v_add_nc_u32_e32 v10, 16, v10
	s_waitcnt lgkmcnt(0)
	v_xor_b32_e32 v24, 0x80000000, v18
	v_cndmask_b32_e64 v20, v1, v20, s4
	v_cndmask_b32_e32 v22, v3, v22, vcc_lo
	v_cmp_gt_f64_e32 vcc_lo, 0, v[17:18]
	v_cmp_gt_f64_e64 s4, 0, v[15:16]
	v_mov_b32_e32 v23, v17
	v_add_f64 v[19:20], v[19:20], v[21:22]
	v_xor_b32_e32 v22, 0x80000000, v16
	v_mov_b32_e32 v21, v15
	v_cndmask_b32_e32 v24, v18, v24, vcc_lo
	v_cndmask_b32_e64 v22, v16, v22, s4
	v_add_f64 v[21:22], v[21:22], v[23:24]
	v_cmp_lt_f64_e32 vcc_lo, v[19:20], v[21:22]
	v_cndmask_b32_e32 v1, v1, v16, vcc_lo
	v_cndmask_b32_e32 v0, v0, v15, vcc_lo
	;; [unrolled: 1-line block ×4, first 2 shown]
	v_cndmask_b32_e64 v4, v4, s16, vcc_lo
	s_add_i32 s16, s16, 1
	s_cmp_lg_u32 s57, s16
	s_cbranch_scc1 .LBB124_1268
.LBB124_1269:
	s_inst_prefetch 0x2
	s_waitcnt lgkmcnt(0)
	v_cmp_eq_f64_e32 vcc_lo, 0, v[0:1]
	v_cmp_eq_f64_e64 s4, 0, v[2:3]
	s_and_b32 s4, vcc_lo, s4
	s_and_saveexec_b32 s16, s4
	s_xor_b32 s4, exec_lo, s16
; %bb.1270:
	v_cmp_ne_u32_e32 vcc_lo, 0, v13
	v_cndmask_b32_e32 v13, 55, v13, vcc_lo
; %bb.1271:
	s_andn2_saveexec_b32 s4, s4
	s_cbranch_execz .LBB124_1277
; %bb.1272:
	v_cmp_ngt_f64_e64 s16, |v[0:1]|, |v[2:3]|
	s_and_saveexec_b32 s17, s16
	s_xor_b32 s16, exec_lo, s17
	s_cbranch_execz .LBB124_1274
; %bb.1273:
	v_div_scale_f64 v[15:16], null, v[2:3], v[2:3], v[0:1]
	v_div_scale_f64 v[21:22], vcc_lo, v[0:1], v[2:3], v[0:1]
	v_rcp_f64_e32 v[17:18], v[15:16]
	v_fma_f64 v[19:20], -v[15:16], v[17:18], 1.0
	v_fma_f64 v[17:18], v[17:18], v[19:20], v[17:18]
	v_fma_f64 v[19:20], -v[15:16], v[17:18], 1.0
	v_fma_f64 v[17:18], v[17:18], v[19:20], v[17:18]
	v_mul_f64 v[19:20], v[21:22], v[17:18]
	v_fma_f64 v[15:16], -v[15:16], v[19:20], v[21:22]
	v_div_fmas_f64 v[15:16], v[15:16], v[17:18], v[19:20]
	v_div_fixup_f64 v[15:16], v[15:16], v[2:3], v[0:1]
	v_fma_f64 v[0:1], v[0:1], v[15:16], v[2:3]
	v_div_scale_f64 v[2:3], null, v[0:1], v[0:1], 1.0
	v_rcp_f64_e32 v[17:18], v[2:3]
	v_fma_f64 v[19:20], -v[2:3], v[17:18], 1.0
	v_fma_f64 v[17:18], v[17:18], v[19:20], v[17:18]
	v_fma_f64 v[19:20], -v[2:3], v[17:18], 1.0
	v_fma_f64 v[17:18], v[17:18], v[19:20], v[17:18]
	v_div_scale_f64 v[19:20], vcc_lo, 1.0, v[0:1], 1.0
	v_mul_f64 v[21:22], v[19:20], v[17:18]
	v_fma_f64 v[2:3], -v[2:3], v[21:22], v[19:20]
	v_div_fmas_f64 v[2:3], v[2:3], v[17:18], v[21:22]
	v_div_fixup_f64 v[2:3], v[2:3], v[0:1], 1.0
	v_mul_f64 v[0:1], v[15:16], v[2:3]
	v_xor_b32_e32 v3, 0x80000000, v3
.LBB124_1274:
	s_andn2_saveexec_b32 s16, s16
	s_cbranch_execz .LBB124_1276
; %bb.1275:
	v_div_scale_f64 v[15:16], null, v[0:1], v[0:1], v[2:3]
	v_div_scale_f64 v[21:22], vcc_lo, v[2:3], v[0:1], v[2:3]
	v_rcp_f64_e32 v[17:18], v[15:16]
	v_fma_f64 v[19:20], -v[15:16], v[17:18], 1.0
	v_fma_f64 v[17:18], v[17:18], v[19:20], v[17:18]
	v_fma_f64 v[19:20], -v[15:16], v[17:18], 1.0
	v_fma_f64 v[17:18], v[17:18], v[19:20], v[17:18]
	v_mul_f64 v[19:20], v[21:22], v[17:18]
	v_fma_f64 v[15:16], -v[15:16], v[19:20], v[21:22]
	v_div_fmas_f64 v[15:16], v[15:16], v[17:18], v[19:20]
	v_div_fixup_f64 v[15:16], v[15:16], v[0:1], v[2:3]
	v_fma_f64 v[0:1], v[2:3], v[15:16], v[0:1]
	v_div_scale_f64 v[2:3], null, v[0:1], v[0:1], 1.0
	v_rcp_f64_e32 v[17:18], v[2:3]
	v_fma_f64 v[19:20], -v[2:3], v[17:18], 1.0
	v_fma_f64 v[17:18], v[17:18], v[19:20], v[17:18]
	v_fma_f64 v[19:20], -v[2:3], v[17:18], 1.0
	v_fma_f64 v[17:18], v[17:18], v[19:20], v[17:18]
	v_div_scale_f64 v[19:20], vcc_lo, 1.0, v[0:1], 1.0
	v_mul_f64 v[21:22], v[19:20], v[17:18]
	v_fma_f64 v[2:3], -v[2:3], v[21:22], v[19:20]
	v_div_fmas_f64 v[2:3], v[2:3], v[17:18], v[21:22]
	v_div_fixup_f64 v[0:1], v[2:3], v[0:1], 1.0
	v_mul_f64 v[2:3], v[15:16], -v[0:1]
.LBB124_1276:
	s_or_b32 exec_lo, exec_lo, s16
.LBB124_1277:
	s_or_b32 exec_lo, exec_lo, s4
	s_mov_b32 s4, exec_lo
	v_cmpx_ne_u32_e64 v11, v4
	s_xor_b32 s4, exec_lo, s4
	s_cbranch_execz .LBB124_1283
; %bb.1278:
	s_mov_b32 s16, exec_lo
	v_cmpx_eq_u32_e32 54, v11
	s_cbranch_execz .LBB124_1282
; %bb.1279:
	v_cmp_ne_u32_e32 vcc_lo, 54, v4
	s_xor_b32 s17, s20, -1
	s_and_b32 s56, s17, vcc_lo
	s_and_saveexec_b32 s17, s56
	s_cbranch_execz .LBB124_1281
; %bb.1280:
	v_ashrrev_i32_e32 v5, 31, v4
	v_lshlrev_b64 v[10:11], 2, v[4:5]
	v_add_co_u32 v10, vcc_lo, v8, v10
	v_add_co_ci_u32_e64 v11, null, v9, v11, vcc_lo
	s_clause 0x1
	global_load_dword v5, v[10:11], off
	global_load_dword v15, v[8:9], off offset:216
	s_waitcnt vmcnt(1)
	global_store_dword v[8:9], v5, off offset:216
	s_waitcnt vmcnt(0)
	global_store_dword v[10:11], v15, off
.LBB124_1281:
	s_or_b32 exec_lo, exec_lo, s17
	v_mov_b32_e32 v11, v4
	v_mov_b32_e32 v5, v4
.LBB124_1282:
	s_or_b32 exec_lo, exec_lo, s16
.LBB124_1283:
	s_andn2_saveexec_b32 s4, s4
	s_cbranch_execz .LBB124_1285
; %bb.1284:
	v_mov_b32_e32 v4, s25
	v_mov_b32_e32 v11, s23
	;; [unrolled: 1-line block ×3, first 2 shown]
	s_clause 0x7
	buffer_load_dword v15, v4, s[0:3], 0 offen
	buffer_load_dword v16, v4, s[0:3], 0 offen offset:4
	buffer_load_dword v17, v4, s[0:3], 0 offen offset:8
	;; [unrolled: 1-line block ×3, first 2 shown]
	buffer_load_dword v19, v10, s[0:3], 0 offen
	buffer_load_dword v20, v10, s[0:3], 0 offen offset:4
	buffer_load_dword v21, v10, s[0:3], 0 offen offset:8
	;; [unrolled: 1-line block ×3, first 2 shown]
	v_mov_b32_e32 v4, s22
	v_mov_b32_e32 v10, s19
	s_clause 0x7
	buffer_load_dword v23, v11, s[0:3], 0 offen
	buffer_load_dword v24, v11, s[0:3], 0 offen offset:4
	buffer_load_dword v25, v11, s[0:3], 0 offen offset:8
	;; [unrolled: 1-line block ×3, first 2 shown]
	buffer_load_dword v27, v4, s[0:3], 0 offen
	buffer_load_dword v28, v4, s[0:3], 0 offen offset:4
	buffer_load_dword v29, v4, s[0:3], 0 offen offset:8
	;; [unrolled: 1-line block ×3, first 2 shown]
	v_mov_b32_e32 v11, s7
	v_mov_b32_e32 v4, s18
	s_clause 0x7
	buffer_load_dword v31, v10, s[0:3], 0 offen
	buffer_load_dword v32, v10, s[0:3], 0 offen offset:4
	buffer_load_dword v33, v10, s[0:3], 0 offen offset:8
	buffer_load_dword v34, v10, s[0:3], 0 offen offset:12
	buffer_load_dword v35, v4, s[0:3], 0 offen
	buffer_load_dword v36, v4, s[0:3], 0 offen offset:4
	buffer_load_dword v37, v4, s[0:3], 0 offen offset:8
	;; [unrolled: 1-line block ×3, first 2 shown]
	v_mov_b32_e32 v4, s5
	s_clause 0x7
	buffer_load_dword v39, v11, s[0:3], 0 offen
	buffer_load_dword v40, v11, s[0:3], 0 offen offset:4
	buffer_load_dword v41, v11, s[0:3], 0 offen offset:8
	;; [unrolled: 1-line block ×3, first 2 shown]
	buffer_load_dword v43, v4, s[0:3], 0 offen
	buffer_load_dword v44, v4, s[0:3], 0 offen offset:4
	buffer_load_dword v45, v4, s[0:3], 0 offen offset:8
	;; [unrolled: 1-line block ×3, first 2 shown]
	v_mov_b32_e32 v11, 54
	s_waitcnt vmcnt(28)
	ds_write2_b64 v12, v[15:16], v[17:18] offset0:110 offset1:111
	s_waitcnt vmcnt(24)
	ds_write2_b64 v12, v[19:20], v[21:22] offset0:112 offset1:113
	;; [unrolled: 2-line block ×8, first 2 shown]
.LBB124_1285:
	s_or_b32 exec_lo, exec_lo, s4
	s_mov_b32 s4, exec_lo
	s_waitcnt lgkmcnt(0)
	s_waitcnt_vscnt null, 0x0
	s_barrier
	buffer_gl0_inv
	v_cmpx_lt_i32_e32 54, v11
	s_cbranch_execz .LBB124_1287
; %bb.1286:
	s_clause 0x7
	buffer_load_dword v15, off, s[0:3], 0 offset:872
	buffer_load_dword v16, off, s[0:3], 0 offset:876
	;; [unrolled: 1-line block ×8, first 2 shown]
	s_waitcnt vmcnt(6)
	v_mul_f64 v[19:20], v[0:1], v[15:16]
	v_mul_f64 v[15:16], v[2:3], v[15:16]
	s_waitcnt vmcnt(4)
	v_fma_f64 v[51:52], v[2:3], v[17:18], v[19:20]
	v_fma_f64 v[53:54], v[0:1], v[17:18], -v[15:16]
	buffer_store_dword v51, off, s[0:3], 0 offset:872
	buffer_store_dword v52, off, s[0:3], 0 offset:876
	s_clause 0x5
	buffer_load_dword v46, off, s[0:3], 0 offset:892
	buffer_load_dword v48, off, s[0:3], 0 offset:900
	;; [unrolled: 1-line block ×6, first 2 shown]
	buffer_store_dword v53, off, s[0:3], 0 offset:864
	buffer_store_dword v54, off, s[0:3], 0 offset:868
	s_clause 0x19
	buffer_load_dword v57, off, s[0:3], 0 offset:864
	buffer_load_dword v58, off, s[0:3], 0 offset:868
	;; [unrolled: 1-line block ×26, first 2 shown]
	ds_read2_b64 v[0:3], v12 offset0:110 offset1:111
	ds_read2_b64 v[15:18], v12 offset0:112 offset1:113
	;; [unrolled: 1-line block ×8, first 2 shown]
	s_waitcnt lgkmcnt(7)
	v_mul_f64 v[83:84], v[2:3], v[51:52]
	v_mul_f64 v[85:86], v[0:1], v[51:52]
	s_waitcnt lgkmcnt(6)
	v_mul_f64 v[87:88], v[17:18], v[51:52]
	v_mul_f64 v[89:90], v[15:16], v[51:52]
	;; [unrolled: 3-line block ×6, first 2 shown]
	v_fma_f64 v[0:1], v[0:1], v[53:54], -v[83:84]
	v_fma_f64 v[2:3], v[2:3], v[53:54], v[85:86]
	v_fma_f64 v[15:16], v[15:16], v[53:54], -v[87:88]
	v_fma_f64 v[17:18], v[17:18], v[53:54], v[89:90]
	v_fma_f64 v[19:20], v[19:20], v[53:54], -v[91:92]
	v_fma_f64 v[21:22], v[21:22], v[53:54], v[93:94]
	v_fma_f64 v[23:24], v[23:24], v[53:54], -v[95:96]
	v_fma_f64 v[25:26], v[25:26], v[53:54], v[97:98]
	v_fma_f64 v[27:28], v[27:28], v[53:54], -v[99:100]
	v_fma_f64 v[29:30], v[29:30], v[53:54], v[101:102]
	v_fma_f64 v[31:32], v[31:32], v[53:54], -v[103:104]
	v_fma_f64 v[33:34], v[33:34], v[53:54], v[51:52]
	s_waitcnt vmcnt(22)
	v_add_f64 v[19:20], v[59:60], -v[19:20]
	s_waitcnt vmcnt(20)
	v_add_f64 v[21:22], v[61:62], -v[21:22]
	;; [unrolled: 2-line block ×8, first 2 shown]
	v_add_f64 v[2:3], v[45:46], -v[2:3]
	v_add_f64 v[15:16], v[47:48], -v[15:16]
	;; [unrolled: 1-line block ×3, first 2 shown]
	s_waitcnt lgkmcnt(1)
	v_mul_f64 v[83:84], v[37:38], v[55:56]
	v_mul_f64 v[85:86], v[35:36], v[55:56]
	s_waitcnt lgkmcnt(0)
	v_mul_f64 v[87:88], v[41:42], v[55:56]
	v_mul_f64 v[55:56], v[39:40], v[55:56]
	v_add_f64 v[0:1], v[43:44], -v[0:1]
	buffer_store_dword v0, off, s[0:3], 0 offset:880
	buffer_store_dword v1, off, s[0:3], 0 offset:884
	;; [unrolled: 1-line block ×6, first 2 shown]
	v_fma_f64 v[35:36], v[35:36], v[57:58], -v[83:84]
	v_fma_f64 v[37:38], v[37:38], v[57:58], v[85:86]
	v_fma_f64 v[39:40], v[39:40], v[57:58], -v[87:88]
	v_fma_f64 v[41:42], v[41:42], v[57:58], v[55:56]
	buffer_store_dword v17, off, s[0:3], 0 offset:904
	buffer_store_dword v18, off, s[0:3], 0 offset:908
	buffer_store_dword v20, off, s[0:3], 0 offset:916
	s_waitcnt vmcnt(1)
	v_add_f64 v[0:1], v[75:76], -v[35:36]
	s_waitcnt vmcnt(0)
	v_add_f64 v[2:3], v[81:82], -v[37:38]
	v_add_f64 v[15:16], v[77:78], -v[39:40]
	;; [unrolled: 1-line block ×3, first 2 shown]
	buffer_store_dword v19, off, s[0:3], 0 offset:912
	buffer_store_dword v21, off, s[0:3], 0 offset:920
	;; [unrolled: 1-line block ×23, first 2 shown]
.LBB124_1287:
	s_or_b32 exec_lo, exec_lo, s4
	v_mov_b32_e32 v3, s25
	s_waitcnt_vscnt null, 0x0
	s_barrier
	buffer_gl0_inv
	v_lshl_add_u32 v4, v11, 4, v12
	s_clause 0x3
	buffer_load_dword v0, v3, s[0:3], 0 offen
	buffer_load_dword v1, v3, s[0:3], 0 offen offset:4
	buffer_load_dword v2, v3, s[0:3], 0 offen offset:8
	;; [unrolled: 1-line block ×3, first 2 shown]
	s_cmp_lt_i32 s57, 57
	s_waitcnt vmcnt(0)
	ds_write2_b64 v4, v[0:1], v[2:3] offset1:1
	s_waitcnt lgkmcnt(0)
	s_barrier
	buffer_gl0_inv
	ds_read2_b64 v[0:3], v12 offset0:110 offset1:111
	v_mov_b32_e32 v4, 55
	s_cbranch_scc1 .LBB124_1290
; %bb.1288:
	v_add3_u32 v10, v14, 0, 0x380
	v_mov_b32_e32 v4, 55
	s_mov_b32 s16, 56
	s_inst_prefetch 0x1
	.p2align	6
.LBB124_1289:                           ; =>This Inner Loop Header: Depth=1
	s_waitcnt lgkmcnt(0)
	v_cmp_gt_f64_e32 vcc_lo, 0, v[2:3]
	v_cmp_gt_f64_e64 s4, 0, v[0:1]
	ds_read2_b64 v[15:18], v10 offset1:1
	v_xor_b32_e32 v20, 0x80000000, v1
	v_xor_b32_e32 v22, 0x80000000, v3
	v_mov_b32_e32 v19, v0
	v_mov_b32_e32 v21, v2
	v_add_nc_u32_e32 v10, 16, v10
	s_waitcnt lgkmcnt(0)
	v_xor_b32_e32 v24, 0x80000000, v18
	v_cndmask_b32_e64 v20, v1, v20, s4
	v_cndmask_b32_e32 v22, v3, v22, vcc_lo
	v_cmp_gt_f64_e32 vcc_lo, 0, v[17:18]
	v_cmp_gt_f64_e64 s4, 0, v[15:16]
	v_mov_b32_e32 v23, v17
	v_add_f64 v[19:20], v[19:20], v[21:22]
	v_xor_b32_e32 v22, 0x80000000, v16
	v_mov_b32_e32 v21, v15
	v_cndmask_b32_e32 v24, v18, v24, vcc_lo
	v_cndmask_b32_e64 v22, v16, v22, s4
	v_add_f64 v[21:22], v[21:22], v[23:24]
	v_cmp_lt_f64_e32 vcc_lo, v[19:20], v[21:22]
	v_cndmask_b32_e32 v1, v1, v16, vcc_lo
	v_cndmask_b32_e32 v0, v0, v15, vcc_lo
	;; [unrolled: 1-line block ×4, first 2 shown]
	v_cndmask_b32_e64 v4, v4, s16, vcc_lo
	s_add_i32 s16, s16, 1
	s_cmp_lg_u32 s57, s16
	s_cbranch_scc1 .LBB124_1289
.LBB124_1290:
	s_inst_prefetch 0x2
	s_waitcnt lgkmcnt(0)
	v_cmp_eq_f64_e32 vcc_lo, 0, v[0:1]
	v_cmp_eq_f64_e64 s4, 0, v[2:3]
	s_and_b32 s4, vcc_lo, s4
	s_and_saveexec_b32 s16, s4
	s_xor_b32 s4, exec_lo, s16
; %bb.1291:
	v_cmp_ne_u32_e32 vcc_lo, 0, v13
	v_cndmask_b32_e32 v13, 56, v13, vcc_lo
; %bb.1292:
	s_andn2_saveexec_b32 s4, s4
	s_cbranch_execz .LBB124_1298
; %bb.1293:
	v_cmp_ngt_f64_e64 s16, |v[0:1]|, |v[2:3]|
	s_and_saveexec_b32 s17, s16
	s_xor_b32 s16, exec_lo, s17
	s_cbranch_execz .LBB124_1295
; %bb.1294:
	v_div_scale_f64 v[15:16], null, v[2:3], v[2:3], v[0:1]
	v_div_scale_f64 v[21:22], vcc_lo, v[0:1], v[2:3], v[0:1]
	v_rcp_f64_e32 v[17:18], v[15:16]
	v_fma_f64 v[19:20], -v[15:16], v[17:18], 1.0
	v_fma_f64 v[17:18], v[17:18], v[19:20], v[17:18]
	v_fma_f64 v[19:20], -v[15:16], v[17:18], 1.0
	v_fma_f64 v[17:18], v[17:18], v[19:20], v[17:18]
	v_mul_f64 v[19:20], v[21:22], v[17:18]
	v_fma_f64 v[15:16], -v[15:16], v[19:20], v[21:22]
	v_div_fmas_f64 v[15:16], v[15:16], v[17:18], v[19:20]
	v_div_fixup_f64 v[15:16], v[15:16], v[2:3], v[0:1]
	v_fma_f64 v[0:1], v[0:1], v[15:16], v[2:3]
	v_div_scale_f64 v[2:3], null, v[0:1], v[0:1], 1.0
	v_rcp_f64_e32 v[17:18], v[2:3]
	v_fma_f64 v[19:20], -v[2:3], v[17:18], 1.0
	v_fma_f64 v[17:18], v[17:18], v[19:20], v[17:18]
	v_fma_f64 v[19:20], -v[2:3], v[17:18], 1.0
	v_fma_f64 v[17:18], v[17:18], v[19:20], v[17:18]
	v_div_scale_f64 v[19:20], vcc_lo, 1.0, v[0:1], 1.0
	v_mul_f64 v[21:22], v[19:20], v[17:18]
	v_fma_f64 v[2:3], -v[2:3], v[21:22], v[19:20]
	v_div_fmas_f64 v[2:3], v[2:3], v[17:18], v[21:22]
	v_div_fixup_f64 v[2:3], v[2:3], v[0:1], 1.0
	v_mul_f64 v[0:1], v[15:16], v[2:3]
	v_xor_b32_e32 v3, 0x80000000, v3
.LBB124_1295:
	s_andn2_saveexec_b32 s16, s16
	s_cbranch_execz .LBB124_1297
; %bb.1296:
	v_div_scale_f64 v[15:16], null, v[0:1], v[0:1], v[2:3]
	v_div_scale_f64 v[21:22], vcc_lo, v[2:3], v[0:1], v[2:3]
	v_rcp_f64_e32 v[17:18], v[15:16]
	v_fma_f64 v[19:20], -v[15:16], v[17:18], 1.0
	v_fma_f64 v[17:18], v[17:18], v[19:20], v[17:18]
	v_fma_f64 v[19:20], -v[15:16], v[17:18], 1.0
	v_fma_f64 v[17:18], v[17:18], v[19:20], v[17:18]
	v_mul_f64 v[19:20], v[21:22], v[17:18]
	v_fma_f64 v[15:16], -v[15:16], v[19:20], v[21:22]
	v_div_fmas_f64 v[15:16], v[15:16], v[17:18], v[19:20]
	v_div_fixup_f64 v[15:16], v[15:16], v[0:1], v[2:3]
	v_fma_f64 v[0:1], v[2:3], v[15:16], v[0:1]
	v_div_scale_f64 v[2:3], null, v[0:1], v[0:1], 1.0
	v_rcp_f64_e32 v[17:18], v[2:3]
	v_fma_f64 v[19:20], -v[2:3], v[17:18], 1.0
	v_fma_f64 v[17:18], v[17:18], v[19:20], v[17:18]
	v_fma_f64 v[19:20], -v[2:3], v[17:18], 1.0
	v_fma_f64 v[17:18], v[17:18], v[19:20], v[17:18]
	v_div_scale_f64 v[19:20], vcc_lo, 1.0, v[0:1], 1.0
	v_mul_f64 v[21:22], v[19:20], v[17:18]
	v_fma_f64 v[2:3], -v[2:3], v[21:22], v[19:20]
	v_div_fmas_f64 v[2:3], v[2:3], v[17:18], v[21:22]
	v_div_fixup_f64 v[0:1], v[2:3], v[0:1], 1.0
	v_mul_f64 v[2:3], v[15:16], -v[0:1]
.LBB124_1297:
	s_or_b32 exec_lo, exec_lo, s16
.LBB124_1298:
	s_or_b32 exec_lo, exec_lo, s4
	s_mov_b32 s4, exec_lo
	v_cmpx_ne_u32_e64 v11, v4
	s_xor_b32 s4, exec_lo, s4
	s_cbranch_execz .LBB124_1304
; %bb.1299:
	s_mov_b32 s16, exec_lo
	v_cmpx_eq_u32_e32 55, v11
	s_cbranch_execz .LBB124_1303
; %bb.1300:
	v_cmp_ne_u32_e32 vcc_lo, 55, v4
	s_xor_b32 s17, s20, -1
	s_and_b32 s56, s17, vcc_lo
	s_and_saveexec_b32 s17, s56
	s_cbranch_execz .LBB124_1302
; %bb.1301:
	v_ashrrev_i32_e32 v5, 31, v4
	v_lshlrev_b64 v[10:11], 2, v[4:5]
	v_add_co_u32 v10, vcc_lo, v8, v10
	v_add_co_ci_u32_e64 v11, null, v9, v11, vcc_lo
	s_clause 0x1
	global_load_dword v5, v[10:11], off
	global_load_dword v15, v[8:9], off offset:220
	s_waitcnt vmcnt(1)
	global_store_dword v[8:9], v5, off offset:220
	s_waitcnt vmcnt(0)
	global_store_dword v[10:11], v15, off
.LBB124_1302:
	s_or_b32 exec_lo, exec_lo, s17
	v_mov_b32_e32 v11, v4
	v_mov_b32_e32 v5, v4
.LBB124_1303:
	s_or_b32 exec_lo, exec_lo, s16
.LBB124_1304:
	s_andn2_saveexec_b32 s4, s4
	s_cbranch_execz .LBB124_1306
; %bb.1305:
	v_mov_b32_e32 v4, s24
	v_mov_b32_e32 v10, s23
	;; [unrolled: 1-line block ×3, first 2 shown]
	s_clause 0x7
	buffer_load_dword v15, v4, s[0:3], 0 offen
	buffer_load_dword v16, v4, s[0:3], 0 offen offset:4
	buffer_load_dword v17, v4, s[0:3], 0 offen offset:8
	buffer_load_dword v18, v4, s[0:3], 0 offen offset:12
	buffer_load_dword v19, v10, s[0:3], 0 offen
	buffer_load_dword v20, v10, s[0:3], 0 offen offset:4
	buffer_load_dword v21, v10, s[0:3], 0 offen offset:8
	buffer_load_dword v22, v10, s[0:3], 0 offen offset:12
	v_mov_b32_e32 v10, s18
	v_mov_b32_e32 v4, s19
	s_clause 0x7
	buffer_load_dword v23, v11, s[0:3], 0 offen
	buffer_load_dword v24, v11, s[0:3], 0 offen offset:4
	buffer_load_dword v25, v11, s[0:3], 0 offen offset:8
	;; [unrolled: 1-line block ×3, first 2 shown]
	buffer_load_dword v27, v4, s[0:3], 0 offen
	buffer_load_dword v28, v4, s[0:3], 0 offen offset:4
	buffer_load_dword v29, v4, s[0:3], 0 offen offset:8
	;; [unrolled: 1-line block ×3, first 2 shown]
	v_mov_b32_e32 v4, s7
	v_mov_b32_e32 v11, s5
	s_clause 0xb
	buffer_load_dword v31, v10, s[0:3], 0 offen
	buffer_load_dword v32, v10, s[0:3], 0 offen offset:4
	buffer_load_dword v33, v10, s[0:3], 0 offen offset:8
	buffer_load_dword v34, v10, s[0:3], 0 offen offset:12
	buffer_load_dword v35, v4, s[0:3], 0 offen
	buffer_load_dword v36, v4, s[0:3], 0 offen offset:4
	buffer_load_dword v37, v4, s[0:3], 0 offen offset:8
	buffer_load_dword v38, v4, s[0:3], 0 offen offset:12
	;; [unrolled: 4-line block ×3, first 2 shown]
	v_mov_b32_e32 v11, 55
	s_waitcnt vmcnt(24)
	ds_write2_b64 v12, v[15:16], v[17:18] offset0:112 offset1:113
	s_waitcnt vmcnt(20)
	ds_write2_b64 v12, v[19:20], v[21:22] offset0:114 offset1:115
	;; [unrolled: 2-line block ×7, first 2 shown]
.LBB124_1306:
	s_or_b32 exec_lo, exec_lo, s4
	s_mov_b32 s4, exec_lo
	s_waitcnt lgkmcnt(0)
	s_waitcnt_vscnt null, 0x0
	s_barrier
	buffer_gl0_inv
	v_cmpx_lt_i32_e32 55, v11
	s_cbranch_execz .LBB124_1308
; %bb.1307:
	s_clause 0x7
	buffer_load_dword v15, off, s[0:3], 0 offset:888
	buffer_load_dword v16, off, s[0:3], 0 offset:892
	;; [unrolled: 1-line block ×8, first 2 shown]
	s_waitcnt vmcnt(6)
	v_mul_f64 v[19:20], v[0:1], v[15:16]
	v_mul_f64 v[15:16], v[2:3], v[15:16]
	s_waitcnt vmcnt(4)
	v_fma_f64 v[47:48], v[2:3], v[17:18], v[19:20]
	v_fma_f64 v[49:50], v[0:1], v[17:18], -v[15:16]
	buffer_store_dword v47, off, s[0:3], 0 offset:888
	buffer_store_dword v48, off, s[0:3], 0 offset:892
	s_clause 0x5
	buffer_load_dword v42, off, s[0:3], 0 offset:908
	buffer_load_dword v44, off, s[0:3], 0 offset:916
	;; [unrolled: 1-line block ×6, first 2 shown]
	buffer_store_dword v49, off, s[0:3], 0 offset:880
	buffer_store_dword v50, off, s[0:3], 0 offset:884
	s_clause 0x15
	buffer_load_dword v53, off, s[0:3], 0 offset:880
	buffer_load_dword v54, off, s[0:3], 0 offset:884
	;; [unrolled: 1-line block ×22, first 2 shown]
	ds_read2_b64 v[0:3], v12 offset0:112 offset1:113
	ds_read2_b64 v[15:18], v12 offset0:114 offset1:115
	;; [unrolled: 1-line block ×7, first 2 shown]
	s_waitcnt lgkmcnt(6)
	v_mul_f64 v[75:76], v[2:3], v[47:48]
	v_mul_f64 v[77:78], v[0:1], v[47:48]
	s_waitcnt lgkmcnt(5)
	v_mul_f64 v[79:80], v[17:18], v[47:48]
	v_mul_f64 v[81:82], v[15:16], v[47:48]
	;; [unrolled: 3-line block ×6, first 2 shown]
	v_fma_f64 v[0:1], v[0:1], v[49:50], -v[75:76]
	v_fma_f64 v[2:3], v[2:3], v[49:50], v[77:78]
	v_fma_f64 v[15:16], v[15:16], v[49:50], -v[79:80]
	v_fma_f64 v[17:18], v[17:18], v[49:50], v[81:82]
	;; [unrolled: 2-line block ×6, first 2 shown]
	s_waitcnt vmcnt(18)
	v_add_f64 v[19:20], v[55:56], -v[19:20]
	s_waitcnt vmcnt(16)
	v_add_f64 v[21:22], v[57:58], -v[21:22]
	;; [unrolled: 2-line block ×6, first 2 shown]
	v_add_f64 v[2:3], v[41:42], -v[2:3]
	v_add_f64 v[15:16], v[43:44], -v[15:16]
	;; [unrolled: 1-line block ×3, first 2 shown]
	s_waitcnt vmcnt(6)
	v_add_f64 v[31:32], v[67:68], -v[31:32]
	s_waitcnt lgkmcnt(0)
	v_mul_f64 v[75:76], v[37:38], v[51:52]
	v_mul_f64 v[51:52], v[35:36], v[51:52]
	v_add_f64 v[0:1], v[39:40], -v[0:1]
	s_waitcnt vmcnt(4)
	v_add_f64 v[33:34], v[69:70], -v[33:34]
	buffer_store_dword v0, off, s[0:3], 0 offset:896
	buffer_store_dword v1, off, s[0:3], 0 offset:900
	;; [unrolled: 1-line block ×4, first 2 shown]
	v_fma_f64 v[35:36], v[35:36], v[53:54], -v[75:76]
	v_fma_f64 v[37:38], v[37:38], v[53:54], v[51:52]
	buffer_store_dword v15, off, s[0:3], 0 offset:912
	s_waitcnt vmcnt(1)
	v_add_f64 v[0:1], v[71:72], -v[35:36]
	s_waitcnt vmcnt(0)
	v_add_f64 v[2:3], v[73:74], -v[37:38]
	buffer_store_dword v16, off, s[0:3], 0 offset:916
	buffer_store_dword v17, off, s[0:3], 0 offset:920
	;; [unrolled: 1-line block ×23, first 2 shown]
.LBB124_1308:
	s_or_b32 exec_lo, exec_lo, s4
	v_mov_b32_e32 v3, s24
	s_waitcnt_vscnt null, 0x0
	s_barrier
	buffer_gl0_inv
	v_lshl_add_u32 v4, v11, 4, v12
	s_clause 0x3
	buffer_load_dword v0, v3, s[0:3], 0 offen
	buffer_load_dword v1, v3, s[0:3], 0 offen offset:4
	buffer_load_dword v2, v3, s[0:3], 0 offen offset:8
	;; [unrolled: 1-line block ×3, first 2 shown]
	s_cmp_lt_i32 s57, 58
	s_waitcnt vmcnt(0)
	ds_write2_b64 v4, v[0:1], v[2:3] offset1:1
	s_waitcnt lgkmcnt(0)
	s_barrier
	buffer_gl0_inv
	ds_read2_b64 v[0:3], v12 offset0:112 offset1:113
	v_mov_b32_e32 v4, 56
	s_cbranch_scc1 .LBB124_1311
; %bb.1309:
	v_add3_u32 v10, v14, 0, 0x390
	v_mov_b32_e32 v4, 56
	s_mov_b32 s16, 57
	s_inst_prefetch 0x1
	.p2align	6
.LBB124_1310:                           ; =>This Inner Loop Header: Depth=1
	s_waitcnt lgkmcnt(0)
	v_cmp_gt_f64_e32 vcc_lo, 0, v[2:3]
	v_cmp_gt_f64_e64 s4, 0, v[0:1]
	ds_read2_b64 v[15:18], v10 offset1:1
	v_xor_b32_e32 v20, 0x80000000, v1
	v_xor_b32_e32 v22, 0x80000000, v3
	v_mov_b32_e32 v19, v0
	v_mov_b32_e32 v21, v2
	v_add_nc_u32_e32 v10, 16, v10
	s_waitcnt lgkmcnt(0)
	v_xor_b32_e32 v24, 0x80000000, v18
	v_cndmask_b32_e64 v20, v1, v20, s4
	v_cndmask_b32_e32 v22, v3, v22, vcc_lo
	v_cmp_gt_f64_e32 vcc_lo, 0, v[17:18]
	v_cmp_gt_f64_e64 s4, 0, v[15:16]
	v_mov_b32_e32 v23, v17
	v_add_f64 v[19:20], v[19:20], v[21:22]
	v_xor_b32_e32 v22, 0x80000000, v16
	v_mov_b32_e32 v21, v15
	v_cndmask_b32_e32 v24, v18, v24, vcc_lo
	v_cndmask_b32_e64 v22, v16, v22, s4
	v_add_f64 v[21:22], v[21:22], v[23:24]
	v_cmp_lt_f64_e32 vcc_lo, v[19:20], v[21:22]
	v_cndmask_b32_e32 v1, v1, v16, vcc_lo
	v_cndmask_b32_e32 v0, v0, v15, vcc_lo
	;; [unrolled: 1-line block ×4, first 2 shown]
	v_cndmask_b32_e64 v4, v4, s16, vcc_lo
	s_add_i32 s16, s16, 1
	s_cmp_lg_u32 s57, s16
	s_cbranch_scc1 .LBB124_1310
.LBB124_1311:
	s_inst_prefetch 0x2
	s_waitcnt lgkmcnt(0)
	v_cmp_eq_f64_e32 vcc_lo, 0, v[0:1]
	v_cmp_eq_f64_e64 s4, 0, v[2:3]
	s_and_b32 s4, vcc_lo, s4
	s_and_saveexec_b32 s16, s4
	s_xor_b32 s4, exec_lo, s16
; %bb.1312:
	v_cmp_ne_u32_e32 vcc_lo, 0, v13
	v_cndmask_b32_e32 v13, 57, v13, vcc_lo
; %bb.1313:
	s_andn2_saveexec_b32 s4, s4
	s_cbranch_execz .LBB124_1319
; %bb.1314:
	v_cmp_ngt_f64_e64 s16, |v[0:1]|, |v[2:3]|
	s_and_saveexec_b32 s17, s16
	s_xor_b32 s16, exec_lo, s17
	s_cbranch_execz .LBB124_1316
; %bb.1315:
	v_div_scale_f64 v[15:16], null, v[2:3], v[2:3], v[0:1]
	v_div_scale_f64 v[21:22], vcc_lo, v[0:1], v[2:3], v[0:1]
	v_rcp_f64_e32 v[17:18], v[15:16]
	v_fma_f64 v[19:20], -v[15:16], v[17:18], 1.0
	v_fma_f64 v[17:18], v[17:18], v[19:20], v[17:18]
	v_fma_f64 v[19:20], -v[15:16], v[17:18], 1.0
	v_fma_f64 v[17:18], v[17:18], v[19:20], v[17:18]
	v_mul_f64 v[19:20], v[21:22], v[17:18]
	v_fma_f64 v[15:16], -v[15:16], v[19:20], v[21:22]
	v_div_fmas_f64 v[15:16], v[15:16], v[17:18], v[19:20]
	v_div_fixup_f64 v[15:16], v[15:16], v[2:3], v[0:1]
	v_fma_f64 v[0:1], v[0:1], v[15:16], v[2:3]
	v_div_scale_f64 v[2:3], null, v[0:1], v[0:1], 1.0
	v_rcp_f64_e32 v[17:18], v[2:3]
	v_fma_f64 v[19:20], -v[2:3], v[17:18], 1.0
	v_fma_f64 v[17:18], v[17:18], v[19:20], v[17:18]
	v_fma_f64 v[19:20], -v[2:3], v[17:18], 1.0
	v_fma_f64 v[17:18], v[17:18], v[19:20], v[17:18]
	v_div_scale_f64 v[19:20], vcc_lo, 1.0, v[0:1], 1.0
	v_mul_f64 v[21:22], v[19:20], v[17:18]
	v_fma_f64 v[2:3], -v[2:3], v[21:22], v[19:20]
	v_div_fmas_f64 v[2:3], v[2:3], v[17:18], v[21:22]
	v_div_fixup_f64 v[2:3], v[2:3], v[0:1], 1.0
	v_mul_f64 v[0:1], v[15:16], v[2:3]
	v_xor_b32_e32 v3, 0x80000000, v3
.LBB124_1316:
	s_andn2_saveexec_b32 s16, s16
	s_cbranch_execz .LBB124_1318
; %bb.1317:
	v_div_scale_f64 v[15:16], null, v[0:1], v[0:1], v[2:3]
	v_div_scale_f64 v[21:22], vcc_lo, v[2:3], v[0:1], v[2:3]
	v_rcp_f64_e32 v[17:18], v[15:16]
	v_fma_f64 v[19:20], -v[15:16], v[17:18], 1.0
	v_fma_f64 v[17:18], v[17:18], v[19:20], v[17:18]
	v_fma_f64 v[19:20], -v[15:16], v[17:18], 1.0
	v_fma_f64 v[17:18], v[17:18], v[19:20], v[17:18]
	v_mul_f64 v[19:20], v[21:22], v[17:18]
	v_fma_f64 v[15:16], -v[15:16], v[19:20], v[21:22]
	v_div_fmas_f64 v[15:16], v[15:16], v[17:18], v[19:20]
	v_div_fixup_f64 v[15:16], v[15:16], v[0:1], v[2:3]
	v_fma_f64 v[0:1], v[2:3], v[15:16], v[0:1]
	v_div_scale_f64 v[2:3], null, v[0:1], v[0:1], 1.0
	v_rcp_f64_e32 v[17:18], v[2:3]
	v_fma_f64 v[19:20], -v[2:3], v[17:18], 1.0
	v_fma_f64 v[17:18], v[17:18], v[19:20], v[17:18]
	v_fma_f64 v[19:20], -v[2:3], v[17:18], 1.0
	v_fma_f64 v[17:18], v[17:18], v[19:20], v[17:18]
	v_div_scale_f64 v[19:20], vcc_lo, 1.0, v[0:1], 1.0
	v_mul_f64 v[21:22], v[19:20], v[17:18]
	v_fma_f64 v[2:3], -v[2:3], v[21:22], v[19:20]
	v_div_fmas_f64 v[2:3], v[2:3], v[17:18], v[21:22]
	v_div_fixup_f64 v[0:1], v[2:3], v[0:1], 1.0
	v_mul_f64 v[2:3], v[15:16], -v[0:1]
.LBB124_1318:
	s_or_b32 exec_lo, exec_lo, s16
.LBB124_1319:
	s_or_b32 exec_lo, exec_lo, s4
	s_mov_b32 s4, exec_lo
	v_cmpx_ne_u32_e64 v11, v4
	s_xor_b32 s4, exec_lo, s4
	s_cbranch_execz .LBB124_1325
; %bb.1320:
	s_mov_b32 s16, exec_lo
	v_cmpx_eq_u32_e32 56, v11
	s_cbranch_execz .LBB124_1324
; %bb.1321:
	v_cmp_ne_u32_e32 vcc_lo, 56, v4
	s_xor_b32 s17, s20, -1
	s_and_b32 s56, s17, vcc_lo
	s_and_saveexec_b32 s17, s56
	s_cbranch_execz .LBB124_1323
; %bb.1322:
	v_ashrrev_i32_e32 v5, 31, v4
	v_lshlrev_b64 v[10:11], 2, v[4:5]
	v_add_co_u32 v10, vcc_lo, v8, v10
	v_add_co_ci_u32_e64 v11, null, v9, v11, vcc_lo
	s_clause 0x1
	global_load_dword v5, v[10:11], off
	global_load_dword v15, v[8:9], off offset:224
	s_waitcnt vmcnt(1)
	global_store_dword v[8:9], v5, off offset:224
	s_waitcnt vmcnt(0)
	global_store_dword v[10:11], v15, off
.LBB124_1323:
	s_or_b32 exec_lo, exec_lo, s17
	v_mov_b32_e32 v11, v4
	v_mov_b32_e32 v5, v4
.LBB124_1324:
	s_or_b32 exec_lo, exec_lo, s16
.LBB124_1325:
	s_andn2_saveexec_b32 s4, s4
	s_cbranch_execz .LBB124_1327
; %bb.1326:
	v_mov_b32_e32 v4, s23
	v_mov_b32_e32 v10, s22
	;; [unrolled: 1-line block ×3, first 2 shown]
	s_clause 0x7
	buffer_load_dword v15, v4, s[0:3], 0 offen
	buffer_load_dword v16, v4, s[0:3], 0 offen offset:4
	buffer_load_dword v17, v4, s[0:3], 0 offen offset:8
	;; [unrolled: 1-line block ×3, first 2 shown]
	buffer_load_dword v19, v10, s[0:3], 0 offen
	buffer_load_dword v20, v10, s[0:3], 0 offen offset:4
	buffer_load_dword v21, v10, s[0:3], 0 offen offset:8
	;; [unrolled: 1-line block ×3, first 2 shown]
	v_mov_b32_e32 v10, s7
	v_mov_b32_e32 v4, s18
	s_clause 0x7
	buffer_load_dword v23, v11, s[0:3], 0 offen
	buffer_load_dword v24, v11, s[0:3], 0 offen offset:4
	buffer_load_dword v25, v11, s[0:3], 0 offen offset:8
	;; [unrolled: 1-line block ×3, first 2 shown]
	buffer_load_dword v27, v4, s[0:3], 0 offen
	buffer_load_dword v28, v4, s[0:3], 0 offen offset:4
	buffer_load_dword v29, v4, s[0:3], 0 offen offset:8
	;; [unrolled: 1-line block ×3, first 2 shown]
	v_mov_b32_e32 v4, s5
	s_clause 0x7
	buffer_load_dword v31, v10, s[0:3], 0 offen
	buffer_load_dword v32, v10, s[0:3], 0 offen offset:4
	buffer_load_dword v33, v10, s[0:3], 0 offen offset:8
	;; [unrolled: 1-line block ×3, first 2 shown]
	buffer_load_dword v35, v4, s[0:3], 0 offen
	buffer_load_dword v36, v4, s[0:3], 0 offen offset:4
	buffer_load_dword v37, v4, s[0:3], 0 offen offset:8
	;; [unrolled: 1-line block ×3, first 2 shown]
	v_mov_b32_e32 v11, 56
	s_waitcnt vmcnt(20)
	ds_write2_b64 v12, v[15:16], v[17:18] offset0:114 offset1:115
	s_waitcnt vmcnt(16)
	ds_write2_b64 v12, v[19:20], v[21:22] offset0:116 offset1:117
	;; [unrolled: 2-line block ×6, first 2 shown]
.LBB124_1327:
	s_or_b32 exec_lo, exec_lo, s4
	s_mov_b32 s4, exec_lo
	s_waitcnt lgkmcnt(0)
	s_waitcnt_vscnt null, 0x0
	s_barrier
	buffer_gl0_inv
	v_cmpx_lt_i32_e32 56, v11
	s_cbranch_execz .LBB124_1329
; %bb.1328:
	s_clause 0x1b
	buffer_load_dword v15, off, s[0:3], 0 offset:904
	buffer_load_dword v16, off, s[0:3], 0 offset:908
	;; [unrolled: 1-line block ×28, first 2 shown]
	s_waitcnt vmcnt(26)
	v_mul_f64 v[17:18], v[0:1], v[15:16]
	v_mul_f64 v[65:66], v[2:3], v[15:16]
	s_waitcnt vmcnt(24)
	v_fma_f64 v[2:3], v[2:3], v[39:40], v[17:18]
	ds_read2_b64 v[15:18], v12 offset0:114 offset1:115
	ds_read2_b64 v[19:22], v12 offset0:116 offset1:117
	;; [unrolled: 1-line block ×6, first 2 shown]
	v_fma_f64 v[0:1], v[0:1], v[39:40], -v[65:66]
	s_waitcnt lgkmcnt(5)
	v_mul_f64 v[39:40], v[17:18], v[2:3]
	v_mul_f64 v[65:66], v[15:16], v[2:3]
	s_waitcnt lgkmcnt(4)
	v_mul_f64 v[67:68], v[21:22], v[2:3]
	v_mul_f64 v[69:70], v[19:20], v[2:3]
	;; [unrolled: 3-line block ×6, first 2 shown]
	buffer_store_dword v0, off, s[0:3], 0 offset:896
	buffer_store_dword v1, off, s[0:3], 0 offset:900
	;; [unrolled: 1-line block ×4, first 2 shown]
	v_fma_f64 v[15:16], v[15:16], v[0:1], -v[39:40]
	v_fma_f64 v[17:18], v[17:18], v[0:1], v[65:66]
	v_fma_f64 v[19:20], v[19:20], v[0:1], -v[67:68]
	v_fma_f64 v[21:22], v[21:22], v[0:1], v[69:70]
	;; [unrolled: 2-line block ×6, first 2 shown]
	s_waitcnt vmcnt(22)
	v_add_f64 v[15:16], v[41:42], -v[15:16]
	s_waitcnt vmcnt(20)
	v_add_f64 v[17:18], v[43:44], -v[17:18]
	;; [unrolled: 2-line block ×12, first 2 shown]
	buffer_store_dword v15, off, s[0:3], 0 offset:912
	buffer_store_dword v16, off, s[0:3], 0 offset:916
	;; [unrolled: 1-line block ×24, first 2 shown]
.LBB124_1329:
	s_or_b32 exec_lo, exec_lo, s4
	v_mov_b32_e32 v3, s23
	s_waitcnt_vscnt null, 0x0
	s_barrier
	buffer_gl0_inv
	v_lshl_add_u32 v4, v11, 4, v12
	s_clause 0x3
	buffer_load_dword v0, v3, s[0:3], 0 offen
	buffer_load_dword v1, v3, s[0:3], 0 offen offset:4
	buffer_load_dword v2, v3, s[0:3], 0 offen offset:8
	;; [unrolled: 1-line block ×3, first 2 shown]
	s_cmp_lt_i32 s57, 59
	s_waitcnt vmcnt(0)
	ds_write2_b64 v4, v[0:1], v[2:3] offset1:1
	s_waitcnt lgkmcnt(0)
	s_barrier
	buffer_gl0_inv
	ds_read2_b64 v[0:3], v12 offset0:114 offset1:115
	v_mov_b32_e32 v4, 57
	s_cbranch_scc1 .LBB124_1332
; %bb.1330:
	v_add3_u32 v10, v14, 0, 0x3a0
	v_mov_b32_e32 v4, 57
	s_mov_b32 s16, 58
	s_inst_prefetch 0x1
	.p2align	6
.LBB124_1331:                           ; =>This Inner Loop Header: Depth=1
	s_waitcnt lgkmcnt(0)
	v_cmp_gt_f64_e32 vcc_lo, 0, v[2:3]
	v_cmp_gt_f64_e64 s4, 0, v[0:1]
	ds_read2_b64 v[15:18], v10 offset1:1
	v_xor_b32_e32 v20, 0x80000000, v1
	v_xor_b32_e32 v22, 0x80000000, v3
	v_mov_b32_e32 v19, v0
	v_mov_b32_e32 v21, v2
	v_add_nc_u32_e32 v10, 16, v10
	s_waitcnt lgkmcnt(0)
	v_xor_b32_e32 v24, 0x80000000, v18
	v_cndmask_b32_e64 v20, v1, v20, s4
	v_cndmask_b32_e32 v22, v3, v22, vcc_lo
	v_cmp_gt_f64_e32 vcc_lo, 0, v[17:18]
	v_cmp_gt_f64_e64 s4, 0, v[15:16]
	v_mov_b32_e32 v23, v17
	v_add_f64 v[19:20], v[19:20], v[21:22]
	v_xor_b32_e32 v22, 0x80000000, v16
	v_mov_b32_e32 v21, v15
	v_cndmask_b32_e32 v24, v18, v24, vcc_lo
	v_cndmask_b32_e64 v22, v16, v22, s4
	v_add_f64 v[21:22], v[21:22], v[23:24]
	v_cmp_lt_f64_e32 vcc_lo, v[19:20], v[21:22]
	v_cndmask_b32_e32 v1, v1, v16, vcc_lo
	v_cndmask_b32_e32 v0, v0, v15, vcc_lo
	;; [unrolled: 1-line block ×4, first 2 shown]
	v_cndmask_b32_e64 v4, v4, s16, vcc_lo
	s_add_i32 s16, s16, 1
	s_cmp_lg_u32 s57, s16
	s_cbranch_scc1 .LBB124_1331
.LBB124_1332:
	s_inst_prefetch 0x2
	s_waitcnt lgkmcnt(0)
	v_cmp_eq_f64_e32 vcc_lo, 0, v[0:1]
	v_cmp_eq_f64_e64 s4, 0, v[2:3]
	s_and_b32 s4, vcc_lo, s4
	s_and_saveexec_b32 s16, s4
	s_xor_b32 s4, exec_lo, s16
; %bb.1333:
	v_cmp_ne_u32_e32 vcc_lo, 0, v13
	v_cndmask_b32_e32 v13, 58, v13, vcc_lo
; %bb.1334:
	s_andn2_saveexec_b32 s4, s4
	s_cbranch_execz .LBB124_1340
; %bb.1335:
	v_cmp_ngt_f64_e64 s16, |v[0:1]|, |v[2:3]|
	s_and_saveexec_b32 s17, s16
	s_xor_b32 s16, exec_lo, s17
	s_cbranch_execz .LBB124_1337
; %bb.1336:
	v_div_scale_f64 v[15:16], null, v[2:3], v[2:3], v[0:1]
	v_div_scale_f64 v[21:22], vcc_lo, v[0:1], v[2:3], v[0:1]
	v_rcp_f64_e32 v[17:18], v[15:16]
	v_fma_f64 v[19:20], -v[15:16], v[17:18], 1.0
	v_fma_f64 v[17:18], v[17:18], v[19:20], v[17:18]
	v_fma_f64 v[19:20], -v[15:16], v[17:18], 1.0
	v_fma_f64 v[17:18], v[17:18], v[19:20], v[17:18]
	v_mul_f64 v[19:20], v[21:22], v[17:18]
	v_fma_f64 v[15:16], -v[15:16], v[19:20], v[21:22]
	v_div_fmas_f64 v[15:16], v[15:16], v[17:18], v[19:20]
	v_div_fixup_f64 v[15:16], v[15:16], v[2:3], v[0:1]
	v_fma_f64 v[0:1], v[0:1], v[15:16], v[2:3]
	v_div_scale_f64 v[2:3], null, v[0:1], v[0:1], 1.0
	v_rcp_f64_e32 v[17:18], v[2:3]
	v_fma_f64 v[19:20], -v[2:3], v[17:18], 1.0
	v_fma_f64 v[17:18], v[17:18], v[19:20], v[17:18]
	v_fma_f64 v[19:20], -v[2:3], v[17:18], 1.0
	v_fma_f64 v[17:18], v[17:18], v[19:20], v[17:18]
	v_div_scale_f64 v[19:20], vcc_lo, 1.0, v[0:1], 1.0
	v_mul_f64 v[21:22], v[19:20], v[17:18]
	v_fma_f64 v[2:3], -v[2:3], v[21:22], v[19:20]
	v_div_fmas_f64 v[2:3], v[2:3], v[17:18], v[21:22]
	v_div_fixup_f64 v[2:3], v[2:3], v[0:1], 1.0
	v_mul_f64 v[0:1], v[15:16], v[2:3]
	v_xor_b32_e32 v3, 0x80000000, v3
.LBB124_1337:
	s_andn2_saveexec_b32 s16, s16
	s_cbranch_execz .LBB124_1339
; %bb.1338:
	v_div_scale_f64 v[15:16], null, v[0:1], v[0:1], v[2:3]
	v_div_scale_f64 v[21:22], vcc_lo, v[2:3], v[0:1], v[2:3]
	v_rcp_f64_e32 v[17:18], v[15:16]
	v_fma_f64 v[19:20], -v[15:16], v[17:18], 1.0
	v_fma_f64 v[17:18], v[17:18], v[19:20], v[17:18]
	v_fma_f64 v[19:20], -v[15:16], v[17:18], 1.0
	v_fma_f64 v[17:18], v[17:18], v[19:20], v[17:18]
	v_mul_f64 v[19:20], v[21:22], v[17:18]
	v_fma_f64 v[15:16], -v[15:16], v[19:20], v[21:22]
	v_div_fmas_f64 v[15:16], v[15:16], v[17:18], v[19:20]
	v_div_fixup_f64 v[15:16], v[15:16], v[0:1], v[2:3]
	v_fma_f64 v[0:1], v[2:3], v[15:16], v[0:1]
	v_div_scale_f64 v[2:3], null, v[0:1], v[0:1], 1.0
	v_rcp_f64_e32 v[17:18], v[2:3]
	v_fma_f64 v[19:20], -v[2:3], v[17:18], 1.0
	v_fma_f64 v[17:18], v[17:18], v[19:20], v[17:18]
	v_fma_f64 v[19:20], -v[2:3], v[17:18], 1.0
	v_fma_f64 v[17:18], v[17:18], v[19:20], v[17:18]
	v_div_scale_f64 v[19:20], vcc_lo, 1.0, v[0:1], 1.0
	v_mul_f64 v[21:22], v[19:20], v[17:18]
	v_fma_f64 v[2:3], -v[2:3], v[21:22], v[19:20]
	v_div_fmas_f64 v[2:3], v[2:3], v[17:18], v[21:22]
	v_div_fixup_f64 v[0:1], v[2:3], v[0:1], 1.0
	v_mul_f64 v[2:3], v[15:16], -v[0:1]
.LBB124_1339:
	s_or_b32 exec_lo, exec_lo, s16
.LBB124_1340:
	s_or_b32 exec_lo, exec_lo, s4
	s_mov_b32 s4, exec_lo
	v_cmpx_ne_u32_e64 v11, v4
	s_xor_b32 s4, exec_lo, s4
	s_cbranch_execz .LBB124_1346
; %bb.1341:
	s_mov_b32 s16, exec_lo
	v_cmpx_eq_u32_e32 57, v11
	s_cbranch_execz .LBB124_1345
; %bb.1342:
	v_cmp_ne_u32_e32 vcc_lo, 57, v4
	s_xor_b32 s17, s20, -1
	s_and_b32 s56, s17, vcc_lo
	s_and_saveexec_b32 s17, s56
	s_cbranch_execz .LBB124_1344
; %bb.1343:
	v_ashrrev_i32_e32 v5, 31, v4
	v_lshlrev_b64 v[10:11], 2, v[4:5]
	v_add_co_u32 v10, vcc_lo, v8, v10
	v_add_co_ci_u32_e64 v11, null, v9, v11, vcc_lo
	s_clause 0x1
	global_load_dword v5, v[10:11], off
	global_load_dword v15, v[8:9], off offset:228
	s_waitcnt vmcnt(1)
	global_store_dword v[8:9], v5, off offset:228
	s_waitcnt vmcnt(0)
	global_store_dword v[10:11], v15, off
.LBB124_1344:
	s_or_b32 exec_lo, exec_lo, s17
	v_mov_b32_e32 v11, v4
	v_mov_b32_e32 v5, v4
.LBB124_1345:
	s_or_b32 exec_lo, exec_lo, s16
.LBB124_1346:
	s_andn2_saveexec_b32 s4, s4
	s_cbranch_execz .LBB124_1348
; %bb.1347:
	v_mov_b32_e32 v4, s22
	v_mov_b32_e32 v11, s18
	;; [unrolled: 1-line block ×3, first 2 shown]
	s_clause 0x7
	buffer_load_dword v15, v4, s[0:3], 0 offen
	buffer_load_dword v16, v4, s[0:3], 0 offen offset:4
	buffer_load_dword v17, v4, s[0:3], 0 offen offset:8
	;; [unrolled: 1-line block ×3, first 2 shown]
	buffer_load_dword v19, v10, s[0:3], 0 offen
	buffer_load_dword v20, v10, s[0:3], 0 offen offset:4
	buffer_load_dword v21, v10, s[0:3], 0 offen offset:8
	;; [unrolled: 1-line block ×3, first 2 shown]
	v_mov_b32_e32 v4, s7
	v_mov_b32_e32 v10, s5
	s_clause 0xb
	buffer_load_dword v23, v11, s[0:3], 0 offen
	buffer_load_dword v24, v11, s[0:3], 0 offen offset:4
	buffer_load_dword v25, v11, s[0:3], 0 offen offset:8
	buffer_load_dword v26, v11, s[0:3], 0 offen offset:12
	buffer_load_dword v27, v4, s[0:3], 0 offen
	buffer_load_dword v28, v4, s[0:3], 0 offen offset:4
	buffer_load_dword v29, v4, s[0:3], 0 offen offset:8
	buffer_load_dword v30, v4, s[0:3], 0 offen offset:12
	;; [unrolled: 4-line block ×3, first 2 shown]
	v_mov_b32_e32 v11, 57
	s_waitcnt vmcnt(16)
	ds_write2_b64 v12, v[15:16], v[17:18] offset0:116 offset1:117
	s_waitcnt vmcnt(12)
	ds_write2_b64 v12, v[19:20], v[21:22] offset0:118 offset1:119
	;; [unrolled: 2-line block ×5, first 2 shown]
.LBB124_1348:
	s_or_b32 exec_lo, exec_lo, s4
	s_mov_b32 s4, exec_lo
	s_waitcnt lgkmcnt(0)
	s_waitcnt_vscnt null, 0x0
	s_barrier
	buffer_gl0_inv
	v_cmpx_lt_i32_e32 57, v11
	s_cbranch_execz .LBB124_1350
; %bb.1349:
	s_clause 0x17
	buffer_load_dword v15, off, s[0:3], 0 offset:920
	buffer_load_dword v16, off, s[0:3], 0 offset:924
	;; [unrolled: 1-line block ×24, first 2 shown]
	s_waitcnt vmcnt(22)
	v_mul_f64 v[17:18], v[0:1], v[15:16]
	v_mul_f64 v[57:58], v[2:3], v[15:16]
	s_waitcnt vmcnt(20)
	v_fma_f64 v[2:3], v[2:3], v[35:36], v[17:18]
	ds_read2_b64 v[15:18], v12 offset0:116 offset1:117
	ds_read2_b64 v[19:22], v12 offset0:118 offset1:119
	;; [unrolled: 1-line block ×5, first 2 shown]
	v_fma_f64 v[0:1], v[0:1], v[35:36], -v[57:58]
	s_waitcnt lgkmcnt(4)
	v_mul_f64 v[35:36], v[17:18], v[2:3]
	v_mul_f64 v[57:58], v[15:16], v[2:3]
	s_waitcnt lgkmcnt(3)
	v_mul_f64 v[59:60], v[21:22], v[2:3]
	v_mul_f64 v[61:62], v[19:20], v[2:3]
	;; [unrolled: 3-line block ×5, first 2 shown]
	buffer_store_dword v0, off, s[0:3], 0 offset:912
	v_fma_f64 v[15:16], v[15:16], v[0:1], -v[35:36]
	v_fma_f64 v[17:18], v[17:18], v[0:1], v[57:58]
	v_fma_f64 v[19:20], v[19:20], v[0:1], -v[59:60]
	v_fma_f64 v[21:22], v[21:22], v[0:1], v[61:62]
	;; [unrolled: 2-line block ×5, first 2 shown]
	s_waitcnt vmcnt(18)
	v_add_f64 v[15:16], v[37:38], -v[15:16]
	s_waitcnt vmcnt(16)
	v_add_f64 v[17:18], v[39:40], -v[17:18]
	;; [unrolled: 2-line block ×10, first 2 shown]
	buffer_store_dword v1, off, s[0:3], 0 offset:916
	buffer_store_dword v2, off, s[0:3], 0 offset:920
	buffer_store_dword v3, off, s[0:3], 0 offset:924
	buffer_store_dword v15, off, s[0:3], 0 offset:928
	buffer_store_dword v16, off, s[0:3], 0 offset:932
	buffer_store_dword v17, off, s[0:3], 0 offset:936
	buffer_store_dword v18, off, s[0:3], 0 offset:940
	buffer_store_dword v19, off, s[0:3], 0 offset:944
	buffer_store_dword v20, off, s[0:3], 0 offset:948
	buffer_store_dword v21, off, s[0:3], 0 offset:952
	buffer_store_dword v22, off, s[0:3], 0 offset:956
	buffer_store_dword v24, off, s[0:3], 0 offset:964
	buffer_store_dword v23, off, s[0:3], 0 offset:960
	buffer_store_dword v25, off, s[0:3], 0 offset:968
	buffer_store_dword v26, off, s[0:3], 0 offset:972
	buffer_store_dword v28, off, s[0:3], 0 offset:980
	buffer_store_dword v27, off, s[0:3], 0 offset:976
	buffer_store_dword v30, off, s[0:3], 0 offset:988
	buffer_store_dword v29, off, s[0:3], 0 offset:984
	buffer_store_dword v32, off, s[0:3], 0 offset:996
	buffer_store_dword v31, off, s[0:3], 0 offset:992
	buffer_store_dword v34, off, s[0:3], 0 offset:1004
	buffer_store_dword v33, off, s[0:3], 0 offset:1000
.LBB124_1350:
	s_or_b32 exec_lo, exec_lo, s4
	v_mov_b32_e32 v3, s22
	s_waitcnt_vscnt null, 0x0
	s_barrier
	buffer_gl0_inv
	v_lshl_add_u32 v4, v11, 4, v12
	s_clause 0x3
	buffer_load_dword v0, v3, s[0:3], 0 offen
	buffer_load_dword v1, v3, s[0:3], 0 offen offset:4
	buffer_load_dword v2, v3, s[0:3], 0 offen offset:8
	;; [unrolled: 1-line block ×3, first 2 shown]
	s_cmp_lt_i32 s57, 60
	s_waitcnt vmcnt(0)
	ds_write2_b64 v4, v[0:1], v[2:3] offset1:1
	s_waitcnt lgkmcnt(0)
	s_barrier
	buffer_gl0_inv
	ds_read2_b64 v[0:3], v12 offset0:116 offset1:117
	v_mov_b32_e32 v4, 58
	s_cbranch_scc1 .LBB124_1353
; %bb.1351:
	v_add3_u32 v10, v14, 0, 0x3b0
	v_mov_b32_e32 v4, 58
	s_mov_b32 s16, 59
	s_inst_prefetch 0x1
	.p2align	6
.LBB124_1352:                           ; =>This Inner Loop Header: Depth=1
	s_waitcnt lgkmcnt(0)
	v_cmp_gt_f64_e32 vcc_lo, 0, v[2:3]
	v_cmp_gt_f64_e64 s4, 0, v[0:1]
	ds_read2_b64 v[15:18], v10 offset1:1
	v_xor_b32_e32 v20, 0x80000000, v1
	v_xor_b32_e32 v22, 0x80000000, v3
	v_mov_b32_e32 v19, v0
	v_mov_b32_e32 v21, v2
	v_add_nc_u32_e32 v10, 16, v10
	s_waitcnt lgkmcnt(0)
	v_xor_b32_e32 v24, 0x80000000, v18
	v_cndmask_b32_e64 v20, v1, v20, s4
	v_cndmask_b32_e32 v22, v3, v22, vcc_lo
	v_cmp_gt_f64_e32 vcc_lo, 0, v[17:18]
	v_cmp_gt_f64_e64 s4, 0, v[15:16]
	v_mov_b32_e32 v23, v17
	v_add_f64 v[19:20], v[19:20], v[21:22]
	v_xor_b32_e32 v22, 0x80000000, v16
	v_mov_b32_e32 v21, v15
	v_cndmask_b32_e32 v24, v18, v24, vcc_lo
	v_cndmask_b32_e64 v22, v16, v22, s4
	v_add_f64 v[21:22], v[21:22], v[23:24]
	v_cmp_lt_f64_e32 vcc_lo, v[19:20], v[21:22]
	v_cndmask_b32_e32 v1, v1, v16, vcc_lo
	v_cndmask_b32_e32 v0, v0, v15, vcc_lo
	;; [unrolled: 1-line block ×4, first 2 shown]
	v_cndmask_b32_e64 v4, v4, s16, vcc_lo
	s_add_i32 s16, s16, 1
	s_cmp_lg_u32 s57, s16
	s_cbranch_scc1 .LBB124_1352
.LBB124_1353:
	s_inst_prefetch 0x2
	s_waitcnt lgkmcnt(0)
	v_cmp_eq_f64_e32 vcc_lo, 0, v[0:1]
	v_cmp_eq_f64_e64 s4, 0, v[2:3]
	s_and_b32 s4, vcc_lo, s4
	s_and_saveexec_b32 s16, s4
	s_xor_b32 s4, exec_lo, s16
; %bb.1354:
	v_cmp_ne_u32_e32 vcc_lo, 0, v13
	v_cndmask_b32_e32 v13, 59, v13, vcc_lo
; %bb.1355:
	s_andn2_saveexec_b32 s4, s4
	s_cbranch_execz .LBB124_1361
; %bb.1356:
	v_cmp_ngt_f64_e64 s16, |v[0:1]|, |v[2:3]|
	s_and_saveexec_b32 s17, s16
	s_xor_b32 s16, exec_lo, s17
	s_cbranch_execz .LBB124_1358
; %bb.1357:
	v_div_scale_f64 v[15:16], null, v[2:3], v[2:3], v[0:1]
	v_div_scale_f64 v[21:22], vcc_lo, v[0:1], v[2:3], v[0:1]
	v_rcp_f64_e32 v[17:18], v[15:16]
	v_fma_f64 v[19:20], -v[15:16], v[17:18], 1.0
	v_fma_f64 v[17:18], v[17:18], v[19:20], v[17:18]
	v_fma_f64 v[19:20], -v[15:16], v[17:18], 1.0
	v_fma_f64 v[17:18], v[17:18], v[19:20], v[17:18]
	v_mul_f64 v[19:20], v[21:22], v[17:18]
	v_fma_f64 v[15:16], -v[15:16], v[19:20], v[21:22]
	v_div_fmas_f64 v[15:16], v[15:16], v[17:18], v[19:20]
	v_div_fixup_f64 v[15:16], v[15:16], v[2:3], v[0:1]
	v_fma_f64 v[0:1], v[0:1], v[15:16], v[2:3]
	v_div_scale_f64 v[2:3], null, v[0:1], v[0:1], 1.0
	v_rcp_f64_e32 v[17:18], v[2:3]
	v_fma_f64 v[19:20], -v[2:3], v[17:18], 1.0
	v_fma_f64 v[17:18], v[17:18], v[19:20], v[17:18]
	v_fma_f64 v[19:20], -v[2:3], v[17:18], 1.0
	v_fma_f64 v[17:18], v[17:18], v[19:20], v[17:18]
	v_div_scale_f64 v[19:20], vcc_lo, 1.0, v[0:1], 1.0
	v_mul_f64 v[21:22], v[19:20], v[17:18]
	v_fma_f64 v[2:3], -v[2:3], v[21:22], v[19:20]
	v_div_fmas_f64 v[2:3], v[2:3], v[17:18], v[21:22]
	v_div_fixup_f64 v[2:3], v[2:3], v[0:1], 1.0
	v_mul_f64 v[0:1], v[15:16], v[2:3]
	v_xor_b32_e32 v3, 0x80000000, v3
.LBB124_1358:
	s_andn2_saveexec_b32 s16, s16
	s_cbranch_execz .LBB124_1360
; %bb.1359:
	v_div_scale_f64 v[15:16], null, v[0:1], v[0:1], v[2:3]
	v_div_scale_f64 v[21:22], vcc_lo, v[2:3], v[0:1], v[2:3]
	v_rcp_f64_e32 v[17:18], v[15:16]
	v_fma_f64 v[19:20], -v[15:16], v[17:18], 1.0
	v_fma_f64 v[17:18], v[17:18], v[19:20], v[17:18]
	v_fma_f64 v[19:20], -v[15:16], v[17:18], 1.0
	v_fma_f64 v[17:18], v[17:18], v[19:20], v[17:18]
	v_mul_f64 v[19:20], v[21:22], v[17:18]
	v_fma_f64 v[15:16], -v[15:16], v[19:20], v[21:22]
	v_div_fmas_f64 v[15:16], v[15:16], v[17:18], v[19:20]
	v_div_fixup_f64 v[15:16], v[15:16], v[0:1], v[2:3]
	v_fma_f64 v[0:1], v[2:3], v[15:16], v[0:1]
	v_div_scale_f64 v[2:3], null, v[0:1], v[0:1], 1.0
	v_rcp_f64_e32 v[17:18], v[2:3]
	v_fma_f64 v[19:20], -v[2:3], v[17:18], 1.0
	v_fma_f64 v[17:18], v[17:18], v[19:20], v[17:18]
	v_fma_f64 v[19:20], -v[2:3], v[17:18], 1.0
	v_fma_f64 v[17:18], v[17:18], v[19:20], v[17:18]
	v_div_scale_f64 v[19:20], vcc_lo, 1.0, v[0:1], 1.0
	v_mul_f64 v[21:22], v[19:20], v[17:18]
	v_fma_f64 v[2:3], -v[2:3], v[21:22], v[19:20]
	v_div_fmas_f64 v[2:3], v[2:3], v[17:18], v[21:22]
	v_div_fixup_f64 v[0:1], v[2:3], v[0:1], 1.0
	v_mul_f64 v[2:3], v[15:16], -v[0:1]
.LBB124_1360:
	s_or_b32 exec_lo, exec_lo, s16
.LBB124_1361:
	s_or_b32 exec_lo, exec_lo, s4
	s_mov_b32 s4, exec_lo
	v_cmpx_ne_u32_e64 v11, v4
	s_xor_b32 s4, exec_lo, s4
	s_cbranch_execz .LBB124_1367
; %bb.1362:
	s_mov_b32 s16, exec_lo
	v_cmpx_eq_u32_e32 58, v11
	s_cbranch_execz .LBB124_1366
; %bb.1363:
	v_cmp_ne_u32_e32 vcc_lo, 58, v4
	s_xor_b32 s17, s20, -1
	s_and_b32 s56, s17, vcc_lo
	s_and_saveexec_b32 s17, s56
	s_cbranch_execz .LBB124_1365
; %bb.1364:
	v_ashrrev_i32_e32 v5, 31, v4
	v_lshlrev_b64 v[10:11], 2, v[4:5]
	v_add_co_u32 v10, vcc_lo, v8, v10
	v_add_co_ci_u32_e64 v11, null, v9, v11, vcc_lo
	s_clause 0x1
	global_load_dword v5, v[10:11], off
	global_load_dword v15, v[8:9], off offset:232
	s_waitcnt vmcnt(1)
	global_store_dword v[8:9], v5, off offset:232
	s_waitcnt vmcnt(0)
	global_store_dword v[10:11], v15, off
.LBB124_1365:
	s_or_b32 exec_lo, exec_lo, s17
	v_mov_b32_e32 v11, v4
	v_mov_b32_e32 v5, v4
.LBB124_1366:
	s_or_b32 exec_lo, exec_lo, s16
.LBB124_1367:
	s_andn2_saveexec_b32 s4, s4
	s_cbranch_execz .LBB124_1369
; %bb.1368:
	v_mov_b32_e32 v4, s19
	v_mov_b32_e32 v11, s7
	;; [unrolled: 1-line block ×3, first 2 shown]
	s_clause 0x7
	buffer_load_dword v15, v4, s[0:3], 0 offen
	buffer_load_dword v16, v4, s[0:3], 0 offen offset:4
	buffer_load_dword v17, v4, s[0:3], 0 offen offset:8
	;; [unrolled: 1-line block ×3, first 2 shown]
	buffer_load_dword v19, v10, s[0:3], 0 offen
	buffer_load_dword v20, v10, s[0:3], 0 offen offset:4
	buffer_load_dword v21, v10, s[0:3], 0 offen offset:8
	;; [unrolled: 1-line block ×3, first 2 shown]
	v_mov_b32_e32 v4, s5
	s_clause 0x7
	buffer_load_dword v23, v11, s[0:3], 0 offen
	buffer_load_dword v24, v11, s[0:3], 0 offen offset:4
	buffer_load_dword v25, v11, s[0:3], 0 offen offset:8
	;; [unrolled: 1-line block ×3, first 2 shown]
	buffer_load_dword v27, v4, s[0:3], 0 offen
	buffer_load_dword v28, v4, s[0:3], 0 offen offset:4
	buffer_load_dword v29, v4, s[0:3], 0 offen offset:8
	;; [unrolled: 1-line block ×3, first 2 shown]
	v_mov_b32_e32 v11, 58
	s_waitcnt vmcnt(12)
	ds_write2_b64 v12, v[15:16], v[17:18] offset0:118 offset1:119
	s_waitcnt vmcnt(8)
	ds_write2_b64 v12, v[19:20], v[21:22] offset0:120 offset1:121
	;; [unrolled: 2-line block ×4, first 2 shown]
.LBB124_1369:
	s_or_b32 exec_lo, exec_lo, s4
	s_mov_b32 s4, exec_lo
	s_waitcnt lgkmcnt(0)
	s_waitcnt_vscnt null, 0x0
	s_barrier
	buffer_gl0_inv
	v_cmpx_lt_i32_e32 58, v11
	s_cbranch_execz .LBB124_1371
; %bb.1370:
	s_clause 0x13
	buffer_load_dword v15, off, s[0:3], 0 offset:936
	buffer_load_dword v16, off, s[0:3], 0 offset:940
	buffer_load_dword v31, off, s[0:3], 0 offset:928
	buffer_load_dword v32, off, s[0:3], 0 offset:932
	buffer_load_dword v33, off, s[0:3], 0 offset:944
	buffer_load_dword v34, off, s[0:3], 0 offset:948
	buffer_load_dword v35, off, s[0:3], 0 offset:952
	buffer_load_dword v36, off, s[0:3], 0 offset:956
	buffer_load_dword v37, off, s[0:3], 0 offset:960
	buffer_load_dword v38, off, s[0:3], 0 offset:964
	buffer_load_dword v39, off, s[0:3], 0 offset:968
	buffer_load_dword v40, off, s[0:3], 0 offset:972
	buffer_load_dword v41, off, s[0:3], 0 offset:976
	buffer_load_dword v42, off, s[0:3], 0 offset:980
	buffer_load_dword v43, off, s[0:3], 0 offset:984
	buffer_load_dword v44, off, s[0:3], 0 offset:988
	buffer_load_dword v45, off, s[0:3], 0 offset:992
	buffer_load_dword v46, off, s[0:3], 0 offset:996
	buffer_load_dword v47, off, s[0:3], 0 offset:1000
	buffer_load_dword v48, off, s[0:3], 0 offset:1004
	s_waitcnt vmcnt(18)
	v_mul_f64 v[17:18], v[0:1], v[15:16]
	v_mul_f64 v[49:50], v[2:3], v[15:16]
	s_waitcnt vmcnt(16)
	v_fma_f64 v[2:3], v[2:3], v[31:32], v[17:18]
	ds_read2_b64 v[15:18], v12 offset0:118 offset1:119
	ds_read2_b64 v[19:22], v12 offset0:120 offset1:121
	;; [unrolled: 1-line block ×4, first 2 shown]
	v_fma_f64 v[0:1], v[0:1], v[31:32], -v[49:50]
	s_waitcnt lgkmcnt(3)
	v_mul_f64 v[31:32], v[17:18], v[2:3]
	v_mul_f64 v[49:50], v[15:16], v[2:3]
	s_waitcnt lgkmcnt(2)
	v_mul_f64 v[51:52], v[21:22], v[2:3]
	v_mul_f64 v[53:54], v[19:20], v[2:3]
	s_waitcnt lgkmcnt(1)
	v_mul_f64 v[55:56], v[25:26], v[2:3]
	v_mul_f64 v[57:58], v[23:24], v[2:3]
	s_waitcnt lgkmcnt(0)
	v_mul_f64 v[59:60], v[29:30], v[2:3]
	v_mul_f64 v[61:62], v[27:28], v[2:3]
	v_fma_f64 v[15:16], v[15:16], v[0:1], -v[31:32]
	v_fma_f64 v[17:18], v[17:18], v[0:1], v[49:50]
	v_fma_f64 v[19:20], v[19:20], v[0:1], -v[51:52]
	v_fma_f64 v[21:22], v[21:22], v[0:1], v[53:54]
	;; [unrolled: 2-line block ×4, first 2 shown]
	s_waitcnt vmcnt(14)
	v_add_f64 v[15:16], v[33:34], -v[15:16]
	s_waitcnt vmcnt(12)
	v_add_f64 v[17:18], v[35:36], -v[17:18]
	;; [unrolled: 2-line block ×8, first 2 shown]
	buffer_store_dword v0, off, s[0:3], 0 offset:928
	buffer_store_dword v1, off, s[0:3], 0 offset:932
	;; [unrolled: 1-line block ×20, first 2 shown]
.LBB124_1371:
	s_or_b32 exec_lo, exec_lo, s4
	v_mov_b32_e32 v3, s19
	s_waitcnt_vscnt null, 0x0
	s_barrier
	buffer_gl0_inv
	v_lshl_add_u32 v4, v11, 4, v12
	s_clause 0x3
	buffer_load_dword v0, v3, s[0:3], 0 offen
	buffer_load_dword v1, v3, s[0:3], 0 offen offset:4
	buffer_load_dword v2, v3, s[0:3], 0 offen offset:8
	;; [unrolled: 1-line block ×3, first 2 shown]
	s_cmp_lt_i32 s57, 61
	s_waitcnt vmcnt(0)
	ds_write2_b64 v4, v[0:1], v[2:3] offset1:1
	s_waitcnt lgkmcnt(0)
	s_barrier
	buffer_gl0_inv
	ds_read2_b64 v[0:3], v12 offset0:118 offset1:119
	v_mov_b32_e32 v4, 59
	s_cbranch_scc1 .LBB124_1374
; %bb.1372:
	v_add3_u32 v10, v14, 0, 0x3c0
	v_mov_b32_e32 v4, 59
	s_mov_b32 s16, 60
	s_inst_prefetch 0x1
	.p2align	6
.LBB124_1373:                           ; =>This Inner Loop Header: Depth=1
	s_waitcnt lgkmcnt(0)
	v_cmp_gt_f64_e32 vcc_lo, 0, v[2:3]
	v_cmp_gt_f64_e64 s4, 0, v[0:1]
	ds_read2_b64 v[15:18], v10 offset1:1
	v_xor_b32_e32 v20, 0x80000000, v1
	v_xor_b32_e32 v22, 0x80000000, v3
	v_mov_b32_e32 v19, v0
	v_mov_b32_e32 v21, v2
	v_add_nc_u32_e32 v10, 16, v10
	s_waitcnt lgkmcnt(0)
	v_xor_b32_e32 v24, 0x80000000, v18
	v_cndmask_b32_e64 v20, v1, v20, s4
	v_cndmask_b32_e32 v22, v3, v22, vcc_lo
	v_cmp_gt_f64_e32 vcc_lo, 0, v[17:18]
	v_cmp_gt_f64_e64 s4, 0, v[15:16]
	v_mov_b32_e32 v23, v17
	v_add_f64 v[19:20], v[19:20], v[21:22]
	v_xor_b32_e32 v22, 0x80000000, v16
	v_mov_b32_e32 v21, v15
	v_cndmask_b32_e32 v24, v18, v24, vcc_lo
	v_cndmask_b32_e64 v22, v16, v22, s4
	v_add_f64 v[21:22], v[21:22], v[23:24]
	v_cmp_lt_f64_e32 vcc_lo, v[19:20], v[21:22]
	v_cndmask_b32_e32 v1, v1, v16, vcc_lo
	v_cndmask_b32_e32 v0, v0, v15, vcc_lo
	;; [unrolled: 1-line block ×4, first 2 shown]
	v_cndmask_b32_e64 v4, v4, s16, vcc_lo
	s_add_i32 s16, s16, 1
	s_cmp_lg_u32 s57, s16
	s_cbranch_scc1 .LBB124_1373
.LBB124_1374:
	s_inst_prefetch 0x2
	s_waitcnt lgkmcnt(0)
	v_cmp_eq_f64_e32 vcc_lo, 0, v[0:1]
	v_cmp_eq_f64_e64 s4, 0, v[2:3]
	s_and_b32 s4, vcc_lo, s4
	s_and_saveexec_b32 s16, s4
	s_xor_b32 s4, exec_lo, s16
; %bb.1375:
	v_cmp_ne_u32_e32 vcc_lo, 0, v13
	v_cndmask_b32_e32 v13, 60, v13, vcc_lo
; %bb.1376:
	s_andn2_saveexec_b32 s4, s4
	s_cbranch_execz .LBB124_1382
; %bb.1377:
	v_cmp_ngt_f64_e64 s16, |v[0:1]|, |v[2:3]|
	s_and_saveexec_b32 s17, s16
	s_xor_b32 s16, exec_lo, s17
	s_cbranch_execz .LBB124_1379
; %bb.1378:
	v_div_scale_f64 v[15:16], null, v[2:3], v[2:3], v[0:1]
	v_div_scale_f64 v[21:22], vcc_lo, v[0:1], v[2:3], v[0:1]
	v_rcp_f64_e32 v[17:18], v[15:16]
	v_fma_f64 v[19:20], -v[15:16], v[17:18], 1.0
	v_fma_f64 v[17:18], v[17:18], v[19:20], v[17:18]
	v_fma_f64 v[19:20], -v[15:16], v[17:18], 1.0
	v_fma_f64 v[17:18], v[17:18], v[19:20], v[17:18]
	v_mul_f64 v[19:20], v[21:22], v[17:18]
	v_fma_f64 v[15:16], -v[15:16], v[19:20], v[21:22]
	v_div_fmas_f64 v[15:16], v[15:16], v[17:18], v[19:20]
	v_div_fixup_f64 v[15:16], v[15:16], v[2:3], v[0:1]
	v_fma_f64 v[0:1], v[0:1], v[15:16], v[2:3]
	v_div_scale_f64 v[2:3], null, v[0:1], v[0:1], 1.0
	v_rcp_f64_e32 v[17:18], v[2:3]
	v_fma_f64 v[19:20], -v[2:3], v[17:18], 1.0
	v_fma_f64 v[17:18], v[17:18], v[19:20], v[17:18]
	v_fma_f64 v[19:20], -v[2:3], v[17:18], 1.0
	v_fma_f64 v[17:18], v[17:18], v[19:20], v[17:18]
	v_div_scale_f64 v[19:20], vcc_lo, 1.0, v[0:1], 1.0
	v_mul_f64 v[21:22], v[19:20], v[17:18]
	v_fma_f64 v[2:3], -v[2:3], v[21:22], v[19:20]
	v_div_fmas_f64 v[2:3], v[2:3], v[17:18], v[21:22]
	v_div_fixup_f64 v[2:3], v[2:3], v[0:1], 1.0
	v_mul_f64 v[0:1], v[15:16], v[2:3]
	v_xor_b32_e32 v3, 0x80000000, v3
.LBB124_1379:
	s_andn2_saveexec_b32 s16, s16
	s_cbranch_execz .LBB124_1381
; %bb.1380:
	v_div_scale_f64 v[15:16], null, v[0:1], v[0:1], v[2:3]
	v_div_scale_f64 v[21:22], vcc_lo, v[2:3], v[0:1], v[2:3]
	v_rcp_f64_e32 v[17:18], v[15:16]
	v_fma_f64 v[19:20], -v[15:16], v[17:18], 1.0
	v_fma_f64 v[17:18], v[17:18], v[19:20], v[17:18]
	v_fma_f64 v[19:20], -v[15:16], v[17:18], 1.0
	v_fma_f64 v[17:18], v[17:18], v[19:20], v[17:18]
	v_mul_f64 v[19:20], v[21:22], v[17:18]
	v_fma_f64 v[15:16], -v[15:16], v[19:20], v[21:22]
	v_div_fmas_f64 v[15:16], v[15:16], v[17:18], v[19:20]
	v_div_fixup_f64 v[15:16], v[15:16], v[0:1], v[2:3]
	v_fma_f64 v[0:1], v[2:3], v[15:16], v[0:1]
	v_div_scale_f64 v[2:3], null, v[0:1], v[0:1], 1.0
	v_rcp_f64_e32 v[17:18], v[2:3]
	v_fma_f64 v[19:20], -v[2:3], v[17:18], 1.0
	v_fma_f64 v[17:18], v[17:18], v[19:20], v[17:18]
	v_fma_f64 v[19:20], -v[2:3], v[17:18], 1.0
	v_fma_f64 v[17:18], v[17:18], v[19:20], v[17:18]
	v_div_scale_f64 v[19:20], vcc_lo, 1.0, v[0:1], 1.0
	v_mul_f64 v[21:22], v[19:20], v[17:18]
	v_fma_f64 v[2:3], -v[2:3], v[21:22], v[19:20]
	v_div_fmas_f64 v[2:3], v[2:3], v[17:18], v[21:22]
	v_div_fixup_f64 v[0:1], v[2:3], v[0:1], 1.0
	v_mul_f64 v[2:3], v[15:16], -v[0:1]
.LBB124_1381:
	s_or_b32 exec_lo, exec_lo, s16
.LBB124_1382:
	s_or_b32 exec_lo, exec_lo, s4
	s_mov_b32 s4, exec_lo
	v_cmpx_ne_u32_e64 v11, v4
	s_xor_b32 s4, exec_lo, s4
	s_cbranch_execz .LBB124_1388
; %bb.1383:
	s_mov_b32 s16, exec_lo
	v_cmpx_eq_u32_e32 59, v11
	s_cbranch_execz .LBB124_1387
; %bb.1384:
	v_cmp_ne_u32_e32 vcc_lo, 59, v4
	s_xor_b32 s17, s20, -1
	s_and_b32 s56, s17, vcc_lo
	s_and_saveexec_b32 s17, s56
	s_cbranch_execz .LBB124_1386
; %bb.1385:
	v_ashrrev_i32_e32 v5, 31, v4
	v_lshlrev_b64 v[10:11], 2, v[4:5]
	v_add_co_u32 v10, vcc_lo, v8, v10
	v_add_co_ci_u32_e64 v11, null, v9, v11, vcc_lo
	s_clause 0x1
	global_load_dword v5, v[10:11], off
	global_load_dword v15, v[8:9], off offset:236
	s_waitcnt vmcnt(1)
	global_store_dword v[8:9], v5, off offset:236
	s_waitcnt vmcnt(0)
	global_store_dword v[10:11], v15, off
.LBB124_1386:
	s_or_b32 exec_lo, exec_lo, s17
	v_mov_b32_e32 v11, v4
	v_mov_b32_e32 v5, v4
.LBB124_1387:
	s_or_b32 exec_lo, exec_lo, s16
.LBB124_1388:
	s_andn2_saveexec_b32 s4, s4
	s_cbranch_execz .LBB124_1390
; %bb.1389:
	v_mov_b32_e32 v4, s18
	v_mov_b32_e32 v10, s7
	;; [unrolled: 1-line block ×3, first 2 shown]
	s_clause 0xb
	buffer_load_dword v15, v4, s[0:3], 0 offen
	buffer_load_dword v16, v4, s[0:3], 0 offen offset:4
	buffer_load_dword v17, v4, s[0:3], 0 offen offset:8
	buffer_load_dword v18, v4, s[0:3], 0 offen offset:12
	buffer_load_dword v19, v10, s[0:3], 0 offen
	buffer_load_dword v20, v10, s[0:3], 0 offen offset:4
	buffer_load_dword v21, v10, s[0:3], 0 offen offset:8
	buffer_load_dword v22, v10, s[0:3], 0 offen offset:12
	;; [unrolled: 4-line block ×3, first 2 shown]
	v_mov_b32_e32 v11, 59
	s_waitcnt vmcnt(8)
	ds_write2_b64 v12, v[15:16], v[17:18] offset0:120 offset1:121
	s_waitcnt vmcnt(4)
	ds_write2_b64 v12, v[19:20], v[21:22] offset0:122 offset1:123
	;; [unrolled: 2-line block ×3, first 2 shown]
.LBB124_1390:
	s_or_b32 exec_lo, exec_lo, s4
	s_mov_b32 s4, exec_lo
	s_waitcnt lgkmcnt(0)
	s_waitcnt_vscnt null, 0x0
	s_barrier
	buffer_gl0_inv
	v_cmpx_lt_i32_e32 59, v11
	s_cbranch_execz .LBB124_1392
; %bb.1391:
	s_clause 0xf
	buffer_load_dword v15, off, s[0:3], 0 offset:952
	buffer_load_dword v16, off, s[0:3], 0 offset:956
	buffer_load_dword v27, off, s[0:3], 0 offset:944
	buffer_load_dword v28, off, s[0:3], 0 offset:948
	buffer_load_dword v29, off, s[0:3], 0 offset:960
	buffer_load_dword v30, off, s[0:3], 0 offset:964
	buffer_load_dword v31, off, s[0:3], 0 offset:968
	buffer_load_dword v32, off, s[0:3], 0 offset:972
	buffer_load_dword v33, off, s[0:3], 0 offset:976
	buffer_load_dword v34, off, s[0:3], 0 offset:980
	buffer_load_dword v35, off, s[0:3], 0 offset:984
	buffer_load_dword v36, off, s[0:3], 0 offset:988
	buffer_load_dword v37, off, s[0:3], 0 offset:992
	buffer_load_dword v38, off, s[0:3], 0 offset:996
	buffer_load_dword v39, off, s[0:3], 0 offset:1000
	buffer_load_dword v40, off, s[0:3], 0 offset:1004
	s_waitcnt vmcnt(14)
	v_mul_f64 v[17:18], v[0:1], v[15:16]
	v_mul_f64 v[41:42], v[2:3], v[15:16]
	s_waitcnt vmcnt(12)
	v_fma_f64 v[2:3], v[2:3], v[27:28], v[17:18]
	ds_read2_b64 v[15:18], v12 offset0:120 offset1:121
	ds_read2_b64 v[19:22], v12 offset0:122 offset1:123
	;; [unrolled: 1-line block ×3, first 2 shown]
	v_fma_f64 v[0:1], v[0:1], v[27:28], -v[41:42]
	s_waitcnt lgkmcnt(2)
	v_mul_f64 v[27:28], v[17:18], v[2:3]
	v_mul_f64 v[41:42], v[15:16], v[2:3]
	s_waitcnt lgkmcnt(1)
	v_mul_f64 v[43:44], v[21:22], v[2:3]
	v_mul_f64 v[45:46], v[19:20], v[2:3]
	;; [unrolled: 3-line block ×3, first 2 shown]
	v_fma_f64 v[15:16], v[15:16], v[0:1], -v[27:28]
	v_fma_f64 v[17:18], v[17:18], v[0:1], v[41:42]
	v_fma_f64 v[19:20], v[19:20], v[0:1], -v[43:44]
	v_fma_f64 v[21:22], v[21:22], v[0:1], v[45:46]
	;; [unrolled: 2-line block ×3, first 2 shown]
	s_waitcnt vmcnt(10)
	v_add_f64 v[15:16], v[29:30], -v[15:16]
	s_waitcnt vmcnt(8)
	v_add_f64 v[17:18], v[31:32], -v[17:18]
	s_waitcnt vmcnt(6)
	v_add_f64 v[19:20], v[33:34], -v[19:20]
	s_waitcnt vmcnt(4)
	v_add_f64 v[21:22], v[35:36], -v[21:22]
	s_waitcnt vmcnt(2)
	v_add_f64 v[23:24], v[37:38], -v[23:24]
	s_waitcnt vmcnt(0)
	v_add_f64 v[25:26], v[39:40], -v[25:26]
	buffer_store_dword v0, off, s[0:3], 0 offset:944
	buffer_store_dword v1, off, s[0:3], 0 offset:948
	;; [unrolled: 1-line block ×16, first 2 shown]
.LBB124_1392:
	s_or_b32 exec_lo, exec_lo, s4
	v_mov_b32_e32 v3, s18
	s_waitcnt_vscnt null, 0x0
	s_barrier
	buffer_gl0_inv
	v_lshl_add_u32 v4, v11, 4, v12
	s_clause 0x3
	buffer_load_dword v0, v3, s[0:3], 0 offen
	buffer_load_dword v1, v3, s[0:3], 0 offen offset:4
	buffer_load_dword v2, v3, s[0:3], 0 offen offset:8
	;; [unrolled: 1-line block ×3, first 2 shown]
	s_cmp_lt_i32 s57, 62
	s_waitcnt vmcnt(0)
	ds_write2_b64 v4, v[0:1], v[2:3] offset1:1
	s_waitcnt lgkmcnt(0)
	s_barrier
	buffer_gl0_inv
	ds_read2_b64 v[0:3], v12 offset0:120 offset1:121
	v_mov_b32_e32 v4, 60
	s_cbranch_scc1 .LBB124_1395
; %bb.1393:
	v_add3_u32 v10, v14, 0, 0x3d0
	v_mov_b32_e32 v4, 60
	s_mov_b32 s16, 61
	s_inst_prefetch 0x1
	.p2align	6
.LBB124_1394:                           ; =>This Inner Loop Header: Depth=1
	s_waitcnt lgkmcnt(0)
	v_cmp_gt_f64_e32 vcc_lo, 0, v[2:3]
	v_cmp_gt_f64_e64 s4, 0, v[0:1]
	ds_read2_b64 v[15:18], v10 offset1:1
	v_xor_b32_e32 v20, 0x80000000, v1
	v_xor_b32_e32 v22, 0x80000000, v3
	v_mov_b32_e32 v19, v0
	v_mov_b32_e32 v21, v2
	v_add_nc_u32_e32 v10, 16, v10
	s_waitcnt lgkmcnt(0)
	v_xor_b32_e32 v24, 0x80000000, v18
	v_cndmask_b32_e64 v20, v1, v20, s4
	v_cndmask_b32_e32 v22, v3, v22, vcc_lo
	v_cmp_gt_f64_e32 vcc_lo, 0, v[17:18]
	v_cmp_gt_f64_e64 s4, 0, v[15:16]
	v_mov_b32_e32 v23, v17
	v_add_f64 v[19:20], v[19:20], v[21:22]
	v_xor_b32_e32 v22, 0x80000000, v16
	v_mov_b32_e32 v21, v15
	v_cndmask_b32_e32 v24, v18, v24, vcc_lo
	v_cndmask_b32_e64 v22, v16, v22, s4
	v_add_f64 v[21:22], v[21:22], v[23:24]
	v_cmp_lt_f64_e32 vcc_lo, v[19:20], v[21:22]
	v_cndmask_b32_e32 v1, v1, v16, vcc_lo
	v_cndmask_b32_e32 v0, v0, v15, vcc_lo
	;; [unrolled: 1-line block ×4, first 2 shown]
	v_cndmask_b32_e64 v4, v4, s16, vcc_lo
	s_add_i32 s16, s16, 1
	s_cmp_lg_u32 s57, s16
	s_cbranch_scc1 .LBB124_1394
.LBB124_1395:
	s_inst_prefetch 0x2
	s_waitcnt lgkmcnt(0)
	v_cmp_eq_f64_e32 vcc_lo, 0, v[0:1]
	v_cmp_eq_f64_e64 s4, 0, v[2:3]
	s_and_b32 s4, vcc_lo, s4
	s_and_saveexec_b32 s16, s4
	s_xor_b32 s4, exec_lo, s16
; %bb.1396:
	v_cmp_ne_u32_e32 vcc_lo, 0, v13
	v_cndmask_b32_e32 v13, 61, v13, vcc_lo
; %bb.1397:
	s_andn2_saveexec_b32 s4, s4
	s_cbranch_execz .LBB124_1403
; %bb.1398:
	v_cmp_ngt_f64_e64 s16, |v[0:1]|, |v[2:3]|
	s_and_saveexec_b32 s17, s16
	s_xor_b32 s16, exec_lo, s17
	s_cbranch_execz .LBB124_1400
; %bb.1399:
	v_div_scale_f64 v[15:16], null, v[2:3], v[2:3], v[0:1]
	v_div_scale_f64 v[21:22], vcc_lo, v[0:1], v[2:3], v[0:1]
	v_rcp_f64_e32 v[17:18], v[15:16]
	v_fma_f64 v[19:20], -v[15:16], v[17:18], 1.0
	v_fma_f64 v[17:18], v[17:18], v[19:20], v[17:18]
	v_fma_f64 v[19:20], -v[15:16], v[17:18], 1.0
	v_fma_f64 v[17:18], v[17:18], v[19:20], v[17:18]
	v_mul_f64 v[19:20], v[21:22], v[17:18]
	v_fma_f64 v[15:16], -v[15:16], v[19:20], v[21:22]
	v_div_fmas_f64 v[15:16], v[15:16], v[17:18], v[19:20]
	v_div_fixup_f64 v[15:16], v[15:16], v[2:3], v[0:1]
	v_fma_f64 v[0:1], v[0:1], v[15:16], v[2:3]
	v_div_scale_f64 v[2:3], null, v[0:1], v[0:1], 1.0
	v_rcp_f64_e32 v[17:18], v[2:3]
	v_fma_f64 v[19:20], -v[2:3], v[17:18], 1.0
	v_fma_f64 v[17:18], v[17:18], v[19:20], v[17:18]
	v_fma_f64 v[19:20], -v[2:3], v[17:18], 1.0
	v_fma_f64 v[17:18], v[17:18], v[19:20], v[17:18]
	v_div_scale_f64 v[19:20], vcc_lo, 1.0, v[0:1], 1.0
	v_mul_f64 v[21:22], v[19:20], v[17:18]
	v_fma_f64 v[2:3], -v[2:3], v[21:22], v[19:20]
	v_div_fmas_f64 v[2:3], v[2:3], v[17:18], v[21:22]
	v_div_fixup_f64 v[2:3], v[2:3], v[0:1], 1.0
	v_mul_f64 v[0:1], v[15:16], v[2:3]
	v_xor_b32_e32 v3, 0x80000000, v3
.LBB124_1400:
	s_andn2_saveexec_b32 s16, s16
	s_cbranch_execz .LBB124_1402
; %bb.1401:
	v_div_scale_f64 v[15:16], null, v[0:1], v[0:1], v[2:3]
	v_div_scale_f64 v[21:22], vcc_lo, v[2:3], v[0:1], v[2:3]
	v_rcp_f64_e32 v[17:18], v[15:16]
	v_fma_f64 v[19:20], -v[15:16], v[17:18], 1.0
	v_fma_f64 v[17:18], v[17:18], v[19:20], v[17:18]
	v_fma_f64 v[19:20], -v[15:16], v[17:18], 1.0
	v_fma_f64 v[17:18], v[17:18], v[19:20], v[17:18]
	v_mul_f64 v[19:20], v[21:22], v[17:18]
	v_fma_f64 v[15:16], -v[15:16], v[19:20], v[21:22]
	v_div_fmas_f64 v[15:16], v[15:16], v[17:18], v[19:20]
	v_div_fixup_f64 v[15:16], v[15:16], v[0:1], v[2:3]
	v_fma_f64 v[0:1], v[2:3], v[15:16], v[0:1]
	v_div_scale_f64 v[2:3], null, v[0:1], v[0:1], 1.0
	v_rcp_f64_e32 v[17:18], v[2:3]
	v_fma_f64 v[19:20], -v[2:3], v[17:18], 1.0
	v_fma_f64 v[17:18], v[17:18], v[19:20], v[17:18]
	v_fma_f64 v[19:20], -v[2:3], v[17:18], 1.0
	v_fma_f64 v[17:18], v[17:18], v[19:20], v[17:18]
	v_div_scale_f64 v[19:20], vcc_lo, 1.0, v[0:1], 1.0
	v_mul_f64 v[21:22], v[19:20], v[17:18]
	v_fma_f64 v[2:3], -v[2:3], v[21:22], v[19:20]
	v_div_fmas_f64 v[2:3], v[2:3], v[17:18], v[21:22]
	v_div_fixup_f64 v[0:1], v[2:3], v[0:1], 1.0
	v_mul_f64 v[2:3], v[15:16], -v[0:1]
.LBB124_1402:
	s_or_b32 exec_lo, exec_lo, s16
.LBB124_1403:
	s_or_b32 exec_lo, exec_lo, s4
	s_mov_b32 s4, exec_lo
	v_cmpx_ne_u32_e64 v11, v4
	s_xor_b32 s4, exec_lo, s4
	s_cbranch_execz .LBB124_1409
; %bb.1404:
	s_mov_b32 s16, exec_lo
	v_cmpx_eq_u32_e32 60, v11
	s_cbranch_execz .LBB124_1408
; %bb.1405:
	v_cmp_ne_u32_e32 vcc_lo, 60, v4
	s_xor_b32 s17, s20, -1
	s_and_b32 s56, s17, vcc_lo
	s_and_saveexec_b32 s17, s56
	s_cbranch_execz .LBB124_1407
; %bb.1406:
	v_ashrrev_i32_e32 v5, 31, v4
	v_lshlrev_b64 v[10:11], 2, v[4:5]
	v_add_co_u32 v10, vcc_lo, v8, v10
	v_add_co_ci_u32_e64 v11, null, v9, v11, vcc_lo
	s_clause 0x1
	global_load_dword v5, v[10:11], off
	global_load_dword v15, v[8:9], off offset:240
	s_waitcnt vmcnt(1)
	global_store_dword v[8:9], v5, off offset:240
	s_waitcnt vmcnt(0)
	global_store_dword v[10:11], v15, off
.LBB124_1407:
	s_or_b32 exec_lo, exec_lo, s17
	v_mov_b32_e32 v11, v4
	v_mov_b32_e32 v5, v4
.LBB124_1408:
	s_or_b32 exec_lo, exec_lo, s16
.LBB124_1409:
	s_andn2_saveexec_b32 s4, s4
	s_cbranch_execz .LBB124_1411
; %bb.1410:
	v_mov_b32_e32 v4, s7
	v_mov_b32_e32 v10, s5
	;; [unrolled: 1-line block ×3, first 2 shown]
	s_clause 0x7
	buffer_load_dword v15, v4, s[0:3], 0 offen
	buffer_load_dword v16, v4, s[0:3], 0 offen offset:4
	buffer_load_dword v17, v4, s[0:3], 0 offen offset:8
	;; [unrolled: 1-line block ×3, first 2 shown]
	buffer_load_dword v19, v10, s[0:3], 0 offen
	buffer_load_dword v20, v10, s[0:3], 0 offen offset:4
	buffer_load_dword v21, v10, s[0:3], 0 offen offset:8
	;; [unrolled: 1-line block ×3, first 2 shown]
	s_waitcnt vmcnt(4)
	ds_write2_b64 v12, v[15:16], v[17:18] offset0:122 offset1:123
	s_waitcnt vmcnt(0)
	ds_write2_b64 v12, v[19:20], v[21:22] offset0:124 offset1:125
.LBB124_1411:
	s_or_b32 exec_lo, exec_lo, s4
	s_mov_b32 s4, exec_lo
	s_waitcnt lgkmcnt(0)
	s_waitcnt_vscnt null, 0x0
	s_barrier
	buffer_gl0_inv
	v_cmpx_lt_i32_e32 60, v11
	s_cbranch_execz .LBB124_1413
; %bb.1412:
	s_clause 0xb
	buffer_load_dword v15, off, s[0:3], 0 offset:968
	buffer_load_dword v16, off, s[0:3], 0 offset:972
	;; [unrolled: 1-line block ×12, first 2 shown]
	s_waitcnt vmcnt(10)
	v_mul_f64 v[17:18], v[0:1], v[15:16]
	v_mul_f64 v[33:34], v[2:3], v[15:16]
	s_waitcnt vmcnt(8)
	v_fma_f64 v[2:3], v[2:3], v[23:24], v[17:18]
	ds_read2_b64 v[15:18], v12 offset0:122 offset1:123
	ds_read2_b64 v[19:22], v12 offset0:124 offset1:125
	v_fma_f64 v[0:1], v[0:1], v[23:24], -v[33:34]
	s_waitcnt lgkmcnt(1)
	v_mul_f64 v[23:24], v[17:18], v[2:3]
	v_mul_f64 v[33:34], v[15:16], v[2:3]
	s_waitcnt lgkmcnt(0)
	v_mul_f64 v[35:36], v[21:22], v[2:3]
	v_mul_f64 v[37:38], v[19:20], v[2:3]
	v_fma_f64 v[15:16], v[15:16], v[0:1], -v[23:24]
	v_fma_f64 v[17:18], v[17:18], v[0:1], v[33:34]
	v_fma_f64 v[19:20], v[19:20], v[0:1], -v[35:36]
	v_fma_f64 v[21:22], v[21:22], v[0:1], v[37:38]
	s_waitcnt vmcnt(6)
	v_add_f64 v[15:16], v[25:26], -v[15:16]
	s_waitcnt vmcnt(4)
	v_add_f64 v[17:18], v[27:28], -v[17:18]
	;; [unrolled: 2-line block ×4, first 2 shown]
	buffer_store_dword v0, off, s[0:3], 0 offset:960
	buffer_store_dword v1, off, s[0:3], 0 offset:964
	;; [unrolled: 1-line block ×12, first 2 shown]
.LBB124_1413:
	s_or_b32 exec_lo, exec_lo, s4
	v_mov_b32_e32 v3, s7
	s_waitcnt_vscnt null, 0x0
	s_barrier
	buffer_gl0_inv
	v_lshl_add_u32 v4, v11, 4, v12
	s_clause 0x3
	buffer_load_dword v0, v3, s[0:3], 0 offen
	buffer_load_dword v1, v3, s[0:3], 0 offen offset:4
	buffer_load_dword v2, v3, s[0:3], 0 offen offset:8
	;; [unrolled: 1-line block ×3, first 2 shown]
	s_cmp_lt_i32 s57, 63
	s_waitcnt vmcnt(0)
	ds_write2_b64 v4, v[0:1], v[2:3] offset1:1
	s_waitcnt lgkmcnt(0)
	s_barrier
	buffer_gl0_inv
	ds_read2_b64 v[0:3], v12 offset0:122 offset1:123
	v_mov_b32_e32 v4, 61
	s_cbranch_scc1 .LBB124_1416
; %bb.1414:
	v_add3_u32 v10, v14, 0, 0x3e0
	v_mov_b32_e32 v4, 61
	s_mov_b32 s16, 62
	s_inst_prefetch 0x1
	.p2align	6
.LBB124_1415:                           ; =>This Inner Loop Header: Depth=1
	s_waitcnt lgkmcnt(0)
	v_cmp_gt_f64_e32 vcc_lo, 0, v[2:3]
	v_cmp_gt_f64_e64 s4, 0, v[0:1]
	ds_read2_b64 v[15:18], v10 offset1:1
	v_xor_b32_e32 v20, 0x80000000, v1
	v_xor_b32_e32 v22, 0x80000000, v3
	v_mov_b32_e32 v19, v0
	v_mov_b32_e32 v21, v2
	v_add_nc_u32_e32 v10, 16, v10
	s_waitcnt lgkmcnt(0)
	v_xor_b32_e32 v24, 0x80000000, v18
	v_cndmask_b32_e64 v20, v1, v20, s4
	v_cndmask_b32_e32 v22, v3, v22, vcc_lo
	v_cmp_gt_f64_e32 vcc_lo, 0, v[17:18]
	v_cmp_gt_f64_e64 s4, 0, v[15:16]
	v_mov_b32_e32 v23, v17
	v_add_f64 v[19:20], v[19:20], v[21:22]
	v_xor_b32_e32 v22, 0x80000000, v16
	v_mov_b32_e32 v21, v15
	v_cndmask_b32_e32 v24, v18, v24, vcc_lo
	v_cndmask_b32_e64 v22, v16, v22, s4
	v_add_f64 v[21:22], v[21:22], v[23:24]
	v_cmp_lt_f64_e32 vcc_lo, v[19:20], v[21:22]
	v_cndmask_b32_e32 v1, v1, v16, vcc_lo
	v_cndmask_b32_e32 v0, v0, v15, vcc_lo
	;; [unrolled: 1-line block ×4, first 2 shown]
	v_cndmask_b32_e64 v4, v4, s16, vcc_lo
	s_add_i32 s16, s16, 1
	s_cmp_lg_u32 s57, s16
	s_cbranch_scc1 .LBB124_1415
.LBB124_1416:
	s_inst_prefetch 0x2
	s_waitcnt lgkmcnt(0)
	v_cmp_eq_f64_e32 vcc_lo, 0, v[0:1]
	v_cmp_eq_f64_e64 s4, 0, v[2:3]
	s_and_b32 s4, vcc_lo, s4
	s_and_saveexec_b32 s16, s4
	s_xor_b32 s4, exec_lo, s16
; %bb.1417:
	v_cmp_ne_u32_e32 vcc_lo, 0, v13
	v_cndmask_b32_e32 v13, 62, v13, vcc_lo
; %bb.1418:
	s_andn2_saveexec_b32 s4, s4
	s_cbranch_execz .LBB124_1424
; %bb.1419:
	v_cmp_ngt_f64_e64 s16, |v[0:1]|, |v[2:3]|
	s_and_saveexec_b32 s17, s16
	s_xor_b32 s16, exec_lo, s17
	s_cbranch_execz .LBB124_1421
; %bb.1420:
	v_div_scale_f64 v[15:16], null, v[2:3], v[2:3], v[0:1]
	v_div_scale_f64 v[21:22], vcc_lo, v[0:1], v[2:3], v[0:1]
	v_rcp_f64_e32 v[17:18], v[15:16]
	v_fma_f64 v[19:20], -v[15:16], v[17:18], 1.0
	v_fma_f64 v[17:18], v[17:18], v[19:20], v[17:18]
	v_fma_f64 v[19:20], -v[15:16], v[17:18], 1.0
	v_fma_f64 v[17:18], v[17:18], v[19:20], v[17:18]
	v_mul_f64 v[19:20], v[21:22], v[17:18]
	v_fma_f64 v[15:16], -v[15:16], v[19:20], v[21:22]
	v_div_fmas_f64 v[15:16], v[15:16], v[17:18], v[19:20]
	v_div_fixup_f64 v[15:16], v[15:16], v[2:3], v[0:1]
	v_fma_f64 v[0:1], v[0:1], v[15:16], v[2:3]
	v_div_scale_f64 v[2:3], null, v[0:1], v[0:1], 1.0
	v_rcp_f64_e32 v[17:18], v[2:3]
	v_fma_f64 v[19:20], -v[2:3], v[17:18], 1.0
	v_fma_f64 v[17:18], v[17:18], v[19:20], v[17:18]
	v_fma_f64 v[19:20], -v[2:3], v[17:18], 1.0
	v_fma_f64 v[17:18], v[17:18], v[19:20], v[17:18]
	v_div_scale_f64 v[19:20], vcc_lo, 1.0, v[0:1], 1.0
	v_mul_f64 v[21:22], v[19:20], v[17:18]
	v_fma_f64 v[2:3], -v[2:3], v[21:22], v[19:20]
	v_div_fmas_f64 v[2:3], v[2:3], v[17:18], v[21:22]
	v_div_fixup_f64 v[2:3], v[2:3], v[0:1], 1.0
	v_mul_f64 v[0:1], v[15:16], v[2:3]
	v_xor_b32_e32 v3, 0x80000000, v3
.LBB124_1421:
	s_andn2_saveexec_b32 s16, s16
	s_cbranch_execz .LBB124_1423
; %bb.1422:
	v_div_scale_f64 v[15:16], null, v[0:1], v[0:1], v[2:3]
	v_div_scale_f64 v[21:22], vcc_lo, v[2:3], v[0:1], v[2:3]
	v_rcp_f64_e32 v[17:18], v[15:16]
	v_fma_f64 v[19:20], -v[15:16], v[17:18], 1.0
	v_fma_f64 v[17:18], v[17:18], v[19:20], v[17:18]
	v_fma_f64 v[19:20], -v[15:16], v[17:18], 1.0
	v_fma_f64 v[17:18], v[17:18], v[19:20], v[17:18]
	v_mul_f64 v[19:20], v[21:22], v[17:18]
	v_fma_f64 v[15:16], -v[15:16], v[19:20], v[21:22]
	v_div_fmas_f64 v[15:16], v[15:16], v[17:18], v[19:20]
	v_div_fixup_f64 v[15:16], v[15:16], v[0:1], v[2:3]
	v_fma_f64 v[0:1], v[2:3], v[15:16], v[0:1]
	v_div_scale_f64 v[2:3], null, v[0:1], v[0:1], 1.0
	v_rcp_f64_e32 v[17:18], v[2:3]
	v_fma_f64 v[19:20], -v[2:3], v[17:18], 1.0
	v_fma_f64 v[17:18], v[17:18], v[19:20], v[17:18]
	v_fma_f64 v[19:20], -v[2:3], v[17:18], 1.0
	v_fma_f64 v[17:18], v[17:18], v[19:20], v[17:18]
	v_div_scale_f64 v[19:20], vcc_lo, 1.0, v[0:1], 1.0
	v_mul_f64 v[21:22], v[19:20], v[17:18]
	v_fma_f64 v[2:3], -v[2:3], v[21:22], v[19:20]
	v_div_fmas_f64 v[2:3], v[2:3], v[17:18], v[21:22]
	v_div_fixup_f64 v[0:1], v[2:3], v[0:1], 1.0
	v_mul_f64 v[2:3], v[15:16], -v[0:1]
.LBB124_1423:
	s_or_b32 exec_lo, exec_lo, s16
.LBB124_1424:
	s_or_b32 exec_lo, exec_lo, s4
	s_mov_b32 s4, exec_lo
	v_cmpx_ne_u32_e64 v11, v4
	s_xor_b32 s4, exec_lo, s4
	s_cbranch_execz .LBB124_1430
; %bb.1425:
	s_mov_b32 s16, exec_lo
	v_cmpx_eq_u32_e32 61, v11
	s_cbranch_execz .LBB124_1429
; %bb.1426:
	v_cmp_ne_u32_e32 vcc_lo, 61, v4
	s_xor_b32 s17, s20, -1
	s_and_b32 s56, s17, vcc_lo
	s_and_saveexec_b32 s17, s56
	s_cbranch_execz .LBB124_1428
; %bb.1427:
	v_ashrrev_i32_e32 v5, 31, v4
	v_lshlrev_b64 v[10:11], 2, v[4:5]
	v_add_co_u32 v10, vcc_lo, v8, v10
	v_add_co_ci_u32_e64 v11, null, v9, v11, vcc_lo
	s_clause 0x1
	global_load_dword v5, v[10:11], off
	global_load_dword v15, v[8:9], off offset:244
	s_waitcnt vmcnt(1)
	global_store_dword v[8:9], v5, off offset:244
	s_waitcnt vmcnt(0)
	global_store_dword v[10:11], v15, off
.LBB124_1428:
	s_or_b32 exec_lo, exec_lo, s17
	v_mov_b32_e32 v11, v4
	v_mov_b32_e32 v5, v4
.LBB124_1429:
	s_or_b32 exec_lo, exec_lo, s16
.LBB124_1430:
	s_andn2_saveexec_b32 s4, s4
	s_cbranch_execz .LBB124_1432
; %bb.1431:
	v_mov_b32_e32 v4, s5
	v_mov_b32_e32 v11, 61
	s_clause 0x3
	buffer_load_dword v15, v4, s[0:3], 0 offen
	buffer_load_dword v16, v4, s[0:3], 0 offen offset:4
	buffer_load_dword v17, v4, s[0:3], 0 offen offset:8
	;; [unrolled: 1-line block ×3, first 2 shown]
	s_waitcnt vmcnt(0)
	ds_write2_b64 v12, v[15:16], v[17:18] offset0:124 offset1:125
.LBB124_1432:
	s_or_b32 exec_lo, exec_lo, s4
	s_mov_b32 s4, exec_lo
	s_waitcnt lgkmcnt(0)
	s_waitcnt_vscnt null, 0x0
	s_barrier
	buffer_gl0_inv
	v_cmpx_lt_i32_e32 61, v11
	s_cbranch_execz .LBB124_1434
; %bb.1433:
	s_clause 0x7
	buffer_load_dword v15, off, s[0:3], 0 offset:984
	buffer_load_dword v16, off, s[0:3], 0 offset:988
	;; [unrolled: 1-line block ×8, first 2 shown]
	s_waitcnt vmcnt(6)
	v_mul_f64 v[17:18], v[0:1], v[15:16]
	v_mul_f64 v[25:26], v[2:3], v[15:16]
	s_waitcnt vmcnt(4)
	v_fma_f64 v[2:3], v[2:3], v[19:20], v[17:18]
	ds_read2_b64 v[15:18], v12 offset0:124 offset1:125
	v_fma_f64 v[0:1], v[0:1], v[19:20], -v[25:26]
	s_waitcnt lgkmcnt(0)
	v_mul_f64 v[19:20], v[17:18], v[2:3]
	v_mul_f64 v[25:26], v[15:16], v[2:3]
	v_fma_f64 v[15:16], v[15:16], v[0:1], -v[19:20]
	v_fma_f64 v[17:18], v[17:18], v[0:1], v[25:26]
	s_waitcnt vmcnt(2)
	v_add_f64 v[15:16], v[21:22], -v[15:16]
	s_waitcnt vmcnt(0)
	v_add_f64 v[17:18], v[23:24], -v[17:18]
	buffer_store_dword v0, off, s[0:3], 0 offset:976
	buffer_store_dword v1, off, s[0:3], 0 offset:980
	;; [unrolled: 1-line block ×8, first 2 shown]
.LBB124_1434:
	s_or_b32 exec_lo, exec_lo, s4
	v_mov_b32_e32 v3, s5
	s_waitcnt_vscnt null, 0x0
	s_barrier
	buffer_gl0_inv
	v_lshl_add_u32 v4, v11, 4, v12
	s_clause 0x3
	buffer_load_dword v0, v3, s[0:3], 0 offen
	buffer_load_dword v1, v3, s[0:3], 0 offen offset:4
	buffer_load_dword v2, v3, s[0:3], 0 offen offset:8
	buffer_load_dword v3, v3, s[0:3], 0 offen offset:12
	s_cmp_lt_i32 s57, 64
	s_waitcnt vmcnt(0)
	ds_write2_b64 v4, v[0:1], v[2:3] offset1:1
	s_waitcnt lgkmcnt(0)
	s_barrier
	buffer_gl0_inv
	ds_read2_b64 v[0:3], v12 offset0:124 offset1:125
	v_mov_b32_e32 v4, 62
	s_cbranch_scc1 .LBB124_1437
; %bb.1435:
	v_add3_u32 v10, v14, 0, 0x3f0
	v_mov_b32_e32 v4, 62
	s_mov_b32 s16, 63
	s_inst_prefetch 0x1
	.p2align	6
.LBB124_1436:                           ; =>This Inner Loop Header: Depth=1
	s_waitcnt lgkmcnt(0)
	v_cmp_gt_f64_e32 vcc_lo, 0, v[2:3]
	v_cmp_gt_f64_e64 s4, 0, v[0:1]
	ds_read2_b64 v[14:17], v10 offset1:1
	v_xor_b32_e32 v12, 0x80000000, v1
	v_xor_b32_e32 v21, 0x80000000, v3
	v_mov_b32_e32 v18, v0
	v_mov_b32_e32 v20, v2
	v_add_nc_u32_e32 v10, 16, v10
	s_waitcnt lgkmcnt(0)
	v_xor_b32_e32 v23, 0x80000000, v17
	v_cndmask_b32_e64 v19, v1, v12, s4
	v_cndmask_b32_e32 v21, v3, v21, vcc_lo
	v_cmp_gt_f64_e32 vcc_lo, 0, v[16:17]
	v_cmp_gt_f64_e64 s4, 0, v[14:15]
	v_xor_b32_e32 v12, 0x80000000, v15
	v_mov_b32_e32 v22, v16
	v_add_f64 v[18:19], v[18:19], v[20:21]
	v_mov_b32_e32 v20, v14
	v_cndmask_b32_e32 v23, v17, v23, vcc_lo
	v_cndmask_b32_e64 v21, v15, v12, s4
	v_add_f64 v[20:21], v[20:21], v[22:23]
	v_cmp_lt_f64_e32 vcc_lo, v[18:19], v[20:21]
	v_cndmask_b32_e32 v1, v1, v15, vcc_lo
	v_cndmask_b32_e32 v0, v0, v14, vcc_lo
	;; [unrolled: 1-line block ×4, first 2 shown]
	v_cndmask_b32_e64 v4, v4, s16, vcc_lo
	s_add_i32 s16, s16, 1
	s_cmp_lg_u32 s57, s16
	s_cbranch_scc1 .LBB124_1436
.LBB124_1437:
	s_inst_prefetch 0x2
	s_waitcnt lgkmcnt(0)
	v_cmp_eq_f64_e32 vcc_lo, 0, v[0:1]
	v_cmp_eq_f64_e64 s4, 0, v[2:3]
	s_and_b32 s4, vcc_lo, s4
	s_and_saveexec_b32 s16, s4
	s_xor_b32 s4, exec_lo, s16
; %bb.1438:
	v_cmp_ne_u32_e32 vcc_lo, 0, v13
	v_cndmask_b32_e32 v13, 63, v13, vcc_lo
; %bb.1439:
	s_andn2_saveexec_b32 s4, s4
	s_cbranch_execz .LBB124_1445
; %bb.1440:
	v_cmp_ngt_f64_e64 s16, |v[0:1]|, |v[2:3]|
	s_and_saveexec_b32 s17, s16
	s_xor_b32 s16, exec_lo, s17
	s_cbranch_execz .LBB124_1442
; %bb.1441:
	v_div_scale_f64 v[14:15], null, v[2:3], v[2:3], v[0:1]
	v_div_scale_f64 v[20:21], vcc_lo, v[0:1], v[2:3], v[0:1]
	v_rcp_f64_e32 v[16:17], v[14:15]
	v_fma_f64 v[18:19], -v[14:15], v[16:17], 1.0
	v_fma_f64 v[16:17], v[16:17], v[18:19], v[16:17]
	v_fma_f64 v[18:19], -v[14:15], v[16:17], 1.0
	v_fma_f64 v[16:17], v[16:17], v[18:19], v[16:17]
	v_mul_f64 v[18:19], v[20:21], v[16:17]
	v_fma_f64 v[14:15], -v[14:15], v[18:19], v[20:21]
	v_div_fmas_f64 v[14:15], v[14:15], v[16:17], v[18:19]
	v_div_fixup_f64 v[14:15], v[14:15], v[2:3], v[0:1]
	v_fma_f64 v[0:1], v[0:1], v[14:15], v[2:3]
	v_div_scale_f64 v[2:3], null, v[0:1], v[0:1], 1.0
	v_rcp_f64_e32 v[16:17], v[2:3]
	v_fma_f64 v[18:19], -v[2:3], v[16:17], 1.0
	v_fma_f64 v[16:17], v[16:17], v[18:19], v[16:17]
	v_fma_f64 v[18:19], -v[2:3], v[16:17], 1.0
	v_fma_f64 v[16:17], v[16:17], v[18:19], v[16:17]
	v_div_scale_f64 v[18:19], vcc_lo, 1.0, v[0:1], 1.0
	v_mul_f64 v[20:21], v[18:19], v[16:17]
	v_fma_f64 v[2:3], -v[2:3], v[20:21], v[18:19]
	v_div_fmas_f64 v[2:3], v[2:3], v[16:17], v[20:21]
	v_div_fixup_f64 v[2:3], v[2:3], v[0:1], 1.0
	v_mul_f64 v[0:1], v[14:15], v[2:3]
	v_xor_b32_e32 v3, 0x80000000, v3
.LBB124_1442:
	s_andn2_saveexec_b32 s16, s16
	s_cbranch_execz .LBB124_1444
; %bb.1443:
	v_div_scale_f64 v[14:15], null, v[0:1], v[0:1], v[2:3]
	v_div_scale_f64 v[20:21], vcc_lo, v[2:3], v[0:1], v[2:3]
	v_rcp_f64_e32 v[16:17], v[14:15]
	v_fma_f64 v[18:19], -v[14:15], v[16:17], 1.0
	v_fma_f64 v[16:17], v[16:17], v[18:19], v[16:17]
	v_fma_f64 v[18:19], -v[14:15], v[16:17], 1.0
	v_fma_f64 v[16:17], v[16:17], v[18:19], v[16:17]
	v_mul_f64 v[18:19], v[20:21], v[16:17]
	v_fma_f64 v[14:15], -v[14:15], v[18:19], v[20:21]
	v_div_fmas_f64 v[14:15], v[14:15], v[16:17], v[18:19]
	v_div_fixup_f64 v[14:15], v[14:15], v[0:1], v[2:3]
	v_fma_f64 v[0:1], v[2:3], v[14:15], v[0:1]
	v_div_scale_f64 v[2:3], null, v[0:1], v[0:1], 1.0
	v_rcp_f64_e32 v[16:17], v[2:3]
	v_fma_f64 v[18:19], -v[2:3], v[16:17], 1.0
	v_fma_f64 v[16:17], v[16:17], v[18:19], v[16:17]
	v_fma_f64 v[18:19], -v[2:3], v[16:17], 1.0
	v_fma_f64 v[16:17], v[16:17], v[18:19], v[16:17]
	v_div_scale_f64 v[18:19], vcc_lo, 1.0, v[0:1], 1.0
	v_mul_f64 v[20:21], v[18:19], v[16:17]
	v_fma_f64 v[2:3], -v[2:3], v[20:21], v[18:19]
	v_div_fmas_f64 v[2:3], v[2:3], v[16:17], v[20:21]
	v_div_fixup_f64 v[0:1], v[2:3], v[0:1], 1.0
	v_mul_f64 v[2:3], v[14:15], -v[0:1]
.LBB124_1444:
	s_or_b32 exec_lo, exec_lo, s16
.LBB124_1445:
	s_or_b32 exec_lo, exec_lo, s4
	v_mov_b32_e32 v20, 62
	s_mov_b32 s4, exec_lo
	v_cmpx_ne_u32_e64 v11, v4
	s_cbranch_execz .LBB124_1451
; %bb.1446:
	s_mov_b32 s16, exec_lo
	v_cmpx_eq_u32_e32 62, v11
	s_cbranch_execz .LBB124_1450
; %bb.1447:
	v_cmp_ne_u32_e32 vcc_lo, 62, v4
	s_xor_b32 s17, s20, -1
	s_and_b32 s20, s17, vcc_lo
	s_and_saveexec_b32 s17, s20
	s_cbranch_execz .LBB124_1449
; %bb.1448:
	v_ashrrev_i32_e32 v5, 31, v4
	v_lshlrev_b64 v[10:11], 2, v[4:5]
	v_add_co_u32 v10, vcc_lo, v8, v10
	v_add_co_ci_u32_e64 v11, null, v9, v11, vcc_lo
	s_clause 0x1
	global_load_dword v5, v[10:11], off
	global_load_dword v12, v[8:9], off offset:248
	s_waitcnt vmcnt(1)
	global_store_dword v[8:9], v5, off offset:248
	s_waitcnt vmcnt(0)
	global_store_dword v[10:11], v12, off
.LBB124_1449:
	s_or_b32 exec_lo, exec_lo, s17
	v_mov_b32_e32 v11, v4
	v_mov_b32_e32 v5, v4
.LBB124_1450:
	s_or_b32 exec_lo, exec_lo, s16
	v_mov_b32_e32 v20, v11
.LBB124_1451:
	s_or_b32 exec_lo, exec_lo, s4
	s_mov_b32 s4, exec_lo
	s_waitcnt_vscnt null, 0x0
	s_barrier
	buffer_gl0_inv
	v_cmpx_lt_i32_e32 62, v20
	s_cbranch_execz .LBB124_1453
; %bb.1452:
	s_clause 0x3
	buffer_load_dword v8, off, s[0:3], 0 offset:1000
	buffer_load_dword v9, off, s[0:3], 0 offset:1004
	;; [unrolled: 1-line block ×4, first 2 shown]
	s_waitcnt vmcnt(2)
	v_mul_f64 v[14:15], v[2:3], v[8:9]
	v_mul_f64 v[8:9], v[0:1], v[8:9]
	s_waitcnt vmcnt(0)
	v_fma_f64 v[0:1], v[0:1], v[10:11], -v[14:15]
	v_fma_f64 v[2:3], v[2:3], v[10:11], v[8:9]
	buffer_store_dword v0, off, s[0:3], 0 offset:992
	buffer_store_dword v1, off, s[0:3], 0 offset:996
	;; [unrolled: 1-line block ×4, first 2 shown]
.LBB124_1453:
	s_or_b32 exec_lo, exec_lo, s4
	v_ashrrev_i32_e32 v21, 31, v20
	s_mov_b32 s4, exec_lo
	s_waitcnt_vscnt null, 0x0
	s_barrier
	buffer_gl0_inv
	v_cmpx_gt_i32_e32 63, v20
	s_cbranch_execz .LBB124_1455
; %bb.1454:
	v_readlane_b32 s80, v162, 0
	v_readlane_b32 s84, v162, 4
	;; [unrolled: 1-line block ×7, first 2 shown]
	s_mov_b64 s[12:13], s[84:85]
	v_readlane_b32 s81, v162, 1
	s_mov_b64 s[14:15], s[86:87]
	s_lshl_b64 s[12:13], s[12:13], 2
	v_mul_lo_u32 v2, s15, v6
	v_mul_lo_u32 v3, s14, v7
	v_mad_u64_u32 v[0:1], null, s14, v6, 0
	s_mov_b64 s[10:11], s[82:83]
	v_add3_u32 v1, v1, v3, v2
	v_lshlrev_b64 v[0:1], 2, v[0:1]
	v_add_co_u32 v2, vcc_lo, s10, v0
	v_add_co_ci_u32_e64 v3, null, s11, v1, vcc_lo
	v_lshlrev_b64 v[0:1], 2, v[20:21]
	v_add_co_u32 v2, vcc_lo, v2, s12
	v_add_co_ci_u32_e64 v3, null, s13, v3, vcc_lo
	v_add_co_u32 v0, vcc_lo, v2, v0
	v_add_co_ci_u32_e64 v1, null, v3, v1, vcc_lo
	v_add3_u32 v2, v5, s21, 1
	global_store_dword v[0:1], v2, off
.LBB124_1455:
	s_or_b32 exec_lo, exec_lo, s4
	s_mov_b32 s10, exec_lo
	v_cmpx_eq_u32_e32 0, v20
	s_cbranch_execz .LBB124_1458
; %bb.1456:
	v_lshlrev_b64 v[0:1], 2, v[6:7]
	v_readlane_b32 s12, v162, 10
	v_readlane_b32 s13, v162, 11
	v_cmp_ne_u32_e64 s4, 0, v13
	v_add_co_u32 v0, vcc_lo, s12, v0
	v_add_co_ci_u32_e64 v1, null, s13, v1, vcc_lo
	global_load_dword v2, v[0:1], off
	s_waitcnt vmcnt(0)
	v_cmp_eq_u32_e32 vcc_lo, 0, v2
	s_and_b32 s4, vcc_lo, s4
	s_and_b32 exec_lo, exec_lo, s4
	s_cbranch_execz .LBB124_1458
; %bb.1457:
	v_add_nc_u32_e32 v2, s21, v13
	global_store_dword v[0:1], v2, off
.LBB124_1458:
	s_or_b32 exec_lo, exec_lo, s10
	v_mov_b32_e32 v0, s88
	s_clause 0x7
	buffer_load_dword v4, off, s[0:3], 0
	buffer_load_dword v5, off, s[0:3], 0 offset:4
	buffer_load_dword v6, off, s[0:3], 0 offset:8
	;; [unrolled: 1-line block ×3, first 2 shown]
	buffer_load_dword v8, v0, s[0:3], 0 offen
	buffer_load_dword v9, v0, s[0:3], 0 offen offset:4
	buffer_load_dword v10, v0, s[0:3], 0 offen offset:8
	;; [unrolled: 1-line block ×3, first 2 shown]
	v_mov_b32_e32 v3, s79
	v_mov_b32_e32 v15, s51
	;; [unrolled: 1-line block ×3, first 2 shown]
	s_clause 0xb
	buffer_load_dword v0, v3, s[0:3], 0 offen
	buffer_load_dword v1, v3, s[0:3], 0 offen offset:4
	buffer_load_dword v2, v3, s[0:3], 0 offen offset:8
	buffer_load_dword v3, v3, s[0:3], 0 offen offset:12
	buffer_load_dword v12, v15, s[0:3], 0 offen
	buffer_load_dword v13, v15, s[0:3], 0 offen offset:4
	buffer_load_dword v14, v15, s[0:3], 0 offen offset:8
	buffer_load_dword v15, v15, s[0:3], 0 offen offset:12
	;; [unrolled: 4-line block ×3, first 2 shown]
	v_mov_b32_e32 v22, s78
	v_mov_b32_e32 v23, s77
	;; [unrolled: 1-line block ×12, first 2 shown]
	s_clause 0x2f
	buffer_load_dword v120, v22, s[0:3], 0 offen
	buffer_load_dword v121, v22, s[0:3], 0 offen offset:4
	buffer_load_dword v122, v22, s[0:3], 0 offen offset:8
	buffer_load_dword v123, v22, s[0:3], 0 offen offset:12
	buffer_load_dword v96, v23, s[0:3], 0 offen
	buffer_load_dword v97, v23, s[0:3], 0 offen offset:4
	buffer_load_dword v98, v23, s[0:3], 0 offen offset:8
	buffer_load_dword v99, v23, s[0:3], 0 offen offset:12
	;; [unrolled: 4-line block ×12, first 2 shown]
	v_mov_b32_e32 v22, s66
	v_mov_b32_e32 v23, s65
	s_clause 0x7
	buffer_load_dword v88, v22, s[0:3], 0 offen
	buffer_load_dword v89, v22, s[0:3], 0 offen offset:4
	buffer_load_dword v90, v22, s[0:3], 0 offen offset:8
	;; [unrolled: 1-line block ×3, first 2 shown]
	buffer_load_dword v92, v23, s[0:3], 0 offen
	buffer_load_dword v93, v23, s[0:3], 0 offen offset:4
	buffer_load_dword v94, v23, s[0:3], 0 offen offset:8
	;; [unrolled: 1-line block ×3, first 2 shown]
	v_mov_b32_e32 v22, s64
	v_mov_b32_e32 v23, s63
	;; [unrolled: 1-line block ×3, first 2 shown]
	s_clause 0xb
	buffer_load_dword v60, v22, s[0:3], 0 offen
	buffer_load_dword v61, v22, s[0:3], 0 offen offset:4
	buffer_load_dword v62, v22, s[0:3], 0 offen offset:8
	buffer_load_dword v63, v22, s[0:3], 0 offen offset:12
	buffer_load_dword v64, v23, s[0:3], 0 offen
	buffer_load_dword v65, v23, s[0:3], 0 offen offset:4
	buffer_load_dword v66, v23, s[0:3], 0 offen offset:8
	buffer_load_dword v67, v23, s[0:3], 0 offen offset:12
	;; [unrolled: 4-line block ×3, first 2 shown]
	v_lshlrev_b64 v[24:25], 4, v[20:21]
	v_add3_u32 v146, s6, s6, v20
	v_mov_b32_e32 v20, s61
	v_mov_b32_e32 v21, s60
	;; [unrolled: 1-line block ×12, first 2 shown]
	s_clause 0x2f
	buffer_load_dword v80, v20, s[0:3], 0 offen
	buffer_load_dword v81, v20, s[0:3], 0 offen offset:4
	buffer_load_dword v82, v20, s[0:3], 0 offen offset:8
	buffer_load_dword v83, v20, s[0:3], 0 offen offset:12
	buffer_load_dword v84, v21, s[0:3], 0 offen
	buffer_load_dword v85, v21, s[0:3], 0 offen offset:4
	buffer_load_dword v86, v21, s[0:3], 0 offen offset:8
	buffer_load_dword v87, v21, s[0:3], 0 offen offset:12
	;; [unrolled: 4-line block ×12, first 2 shown]
	v_mov_b32_e32 v152, s47
	v_add_co_u32 v150, vcc_lo, v144, v24
	v_readlane_b32 s8, v162, 8
	v_add_nc_u32_e32 v148, s6, v146
	v_add_co_ci_u32_e64 v151, null, v145, v25, vcc_lo
	v_readlane_b32 s9, v162, 9
	v_mov_b32_e32 v153, s46
	v_ashrrev_i32_e32 v147, 31, v146
	s_clause 0x7
	buffer_load_dword v24, v152, s[0:3], 0 offen
	buffer_load_dword v25, v152, s[0:3], 0 offen offset:4
	buffer_load_dword v26, v152, s[0:3], 0 offen offset:8
	;; [unrolled: 1-line block ×3, first 2 shown]
	buffer_load_dword v28, v153, s[0:3], 0 offen
	buffer_load_dword v29, v153, s[0:3], 0 offen offset:4
	buffer_load_dword v30, v153, s[0:3], 0 offen offset:8
	buffer_load_dword v31, v153, s[0:3], 0 offen offset:12
	v_add_co_u32 v152, vcc_lo, v150, s8
	v_add_co_ci_u32_e64 v153, null, s9, v151, vcc_lo
	v_lshlrev_b64 v[146:147], 4, v[146:147]
	v_mov_b32_e32 v154, s45
	v_ashrrev_i32_e32 v149, 31, v148
	v_mov_b32_e32 v155, s44
	v_add_co_u32 v146, vcc_lo, v144, v146
	v_add_co_ci_u32_e64 v147, null, v145, v147, vcc_lo
	s_waitcnt vmcnt(62)
	global_store_dwordx4 v[150:151], v[4:7], off
	v_add_nc_u32_e32 v150, s6, v148
	v_lshlrev_b64 v[148:149], 4, v[148:149]
	global_store_dwordx4 v[152:153], v[8:11], off
	s_clause 0x7
	buffer_load_dword v4, v154, s[0:3], 0 offen
	buffer_load_dword v5, v154, s[0:3], 0 offen offset:4
	buffer_load_dword v6, v154, s[0:3], 0 offen offset:8
	;; [unrolled: 1-line block ×3, first 2 shown]
	buffer_load_dword v8, v155, s[0:3], 0 offen
	buffer_load_dword v9, v155, s[0:3], 0 offen offset:4
	buffer_load_dword v10, v155, s[0:3], 0 offen offset:8
	buffer_load_dword v11, v155, s[0:3], 0 offen offset:12
	v_add_nc_u32_e32 v152, s6, v150
	v_ashrrev_i32_e32 v151, 31, v150
	v_add_co_u32 v148, vcc_lo, v144, v148
	global_store_dwordx4 v[146:147], v[0:3], off
	v_add_nc_u32_e32 v154, s6, v152
	v_lshlrev_b64 v[150:151], 4, v[150:151]
	v_add_co_ci_u32_e64 v149, null, v145, v149, vcc_lo
	v_ashrrev_i32_e32 v153, 31, v152
	v_add_nc_u32_e32 v0, s6, v154
	v_ashrrev_i32_e32 v155, 31, v154
	v_add_co_u32 v2, vcc_lo, v144, v150
	global_store_dwordx4 v[148:149], v[12:15], off
	v_add_nc_u32_e32 v150, s6, v0
	v_lshlrev_b64 v[146:147], 4, v[154:155]
	v_add_co_ci_u32_e64 v3, null, v145, v151, vcc_lo
	v_lshlrev_b64 v[152:153], 4, v[152:153]
	v_add_nc_u32_e32 v154, s6, v150
	v_ashrrev_i32_e32 v1, 31, v0
	global_store_dwordx4 v[2:3], v[16:19], off
	v_ashrrev_i32_e32 v151, 31, v150
	v_add_nc_u32_e32 v12, s6, v154
	v_ashrrev_i32_e32 v155, 31, v154
	v_lshlrev_b64 v[0:1], 4, v[0:1]
	v_add_co_u32 v152, vcc_lo, v144, v152
	v_add_nc_u32_e32 v148, s6, v12
	v_lshlrev_b64 v[14:15], 4, v[154:155]
	v_ashrrev_i32_e32 v13, 31, v12
	v_lshlrev_b64 v[150:151], 4, v[150:151]
	v_add_co_ci_u32_e64 v153, null, v145, v153, vcc_lo
	v_add_nc_u32_e32 v154, s6, v148
	v_ashrrev_i32_e32 v149, 31, v148
	v_add_co_u32 v146, vcc_lo, v144, v146
	v_add_co_ci_u32_e64 v147, null, v145, v147, vcc_lo
	v_add_nc_u32_e32 v2, s6, v154
	v_ashrrev_i32_e32 v155, 31, v154
	v_add_co_u32 v0, vcc_lo, v144, v0
	v_lshlrev_b64 v[12:13], 4, v[12:13]
	v_add_nc_u32_e32 v18, s6, v2
	v_lshlrev_b64 v[16:17], 4, v[154:155]
	v_ashrrev_i32_e32 v3, 31, v2
	v_add_co_ci_u32_e64 v1, null, v145, v1, vcc_lo
	v_add_nc_u32_e32 v154, s6, v18
	v_add_co_u32 v150, vcc_lo, v144, v150
	v_lshlrev_b64 v[148:149], 4, v[148:149]
	global_store_dwordx4 v[152:153], v[120:123], off
	v_add_nc_u32_e32 v120, s6, v154
	v_ashrrev_i32_e32 v19, 31, v18
	v_add_co_ci_u32_e64 v151, null, v145, v151, vcc_lo
	v_add_co_u32 v14, vcc_lo, v144, v14
	v_ashrrev_i32_e32 v155, 31, v154
	v_add_co_ci_u32_e64 v15, null, v145, v15, vcc_lo
	v_add_co_u32 v12, vcc_lo, v144, v12
	v_lshlrev_b64 v[2:3], 4, v[2:3]
	v_ashrrev_i32_e32 v121, 31, v120
	v_add_co_ci_u32_e64 v13, null, v145, v13, vcc_lo
	v_add_co_u32 v148, vcc_lo, v144, v148
	v_lshlrev_b64 v[18:19], 4, v[18:19]
	v_add_co_ci_u32_e64 v149, null, v145, v149, vcc_lo
	v_add_co_u32 v16, vcc_lo, v144, v16
	v_lshlrev_b64 v[122:123], 4, v[154:155]
	v_add_co_ci_u32_e64 v17, null, v145, v17, vcc_lo
	v_add_co_u32 v2, vcc_lo, v144, v2
	v_add_nc_u32_e32 v152, s6, v120
	v_lshlrev_b64 v[120:121], 4, v[120:121]
	v_add_co_ci_u32_e64 v3, null, v145, v3, vcc_lo
	v_add_co_u32 v18, vcc_lo, v144, v18
	v_add_co_ci_u32_e64 v19, null, v145, v19, vcc_lo
	v_add_co_u32 v122, vcc_lo, v144, v122
	;; [unrolled: 2-line block ×3, first 2 shown]
	v_add_nc_u32_e32 v154, s6, v152
	v_add_co_ci_u32_e64 v121, null, v145, v121, vcc_lo
	v_ashrrev_i32_e32 v153, 31, v152
	global_store_dwordx4 v[146:147], v[96:99], off
	global_store_dwordx4 v[0:1], v[100:103], off
	;; [unrolled: 1-line block ×11, first 2 shown]
	v_mov_b32_e32 v3, s43
	v_ashrrev_i32_e32 v155, 31, v154
	v_mov_b32_e32 v15, s42
	v_mov_b32_e32 v19, s41
	v_lshlrev_b64 v[152:153], 4, v[152:153]
	s_clause 0xb
	buffer_load_dword v0, v3, s[0:3], 0 offen
	buffer_load_dword v1, v3, s[0:3], 0 offen offset:4
	buffer_load_dword v2, v3, s[0:3], 0 offen offset:8
	buffer_load_dword v3, v3, s[0:3], 0 offen offset:12
	buffer_load_dword v12, v15, s[0:3], 0 offen
	buffer_load_dword v13, v15, s[0:3], 0 offen offset:4
	buffer_load_dword v14, v15, s[0:3], 0 offen offset:8
	buffer_load_dword v15, v15, s[0:3], 0 offen offset:12
	;; [unrolled: 4-line block ×3, first 2 shown]
	v_lshlrev_b64 v[96:97], 4, v[154:155]
	v_add_nc_u32_e32 v100, s6, v154
	v_mov_b32_e32 v107, s36
	v_mov_b32_e32 v115, s34
	v_add_co_u32 v98, vcc_lo, v144, v152
	v_add_co_ci_u32_e64 v99, null, v145, v153, vcc_lo
	v_add_co_u32 v96, vcc_lo, v144, v96
	v_add_co_ci_u32_e64 v97, null, v145, v97, vcc_lo
	global_store_dwordx4 v[98:99], v[88:91], off
	v_mov_b32_e32 v91, s40
	v_add_nc_u32_e32 v102, s6, v100
	global_store_dwordx4 v[96:97], v[92:95], off
	v_mov_b32_e32 v95, s39
	s_clause 0x7
	buffer_load_dword v88, v91, s[0:3], 0 offen
	buffer_load_dword v89, v91, s[0:3], 0 offen offset:4
	buffer_load_dword v90, v91, s[0:3], 0 offen offset:8
	;; [unrolled: 1-line block ×3, first 2 shown]
	buffer_load_dword v92, v95, s[0:3], 0 offen
	buffer_load_dword v93, v95, s[0:3], 0 offen offset:4
	buffer_load_dword v94, v95, s[0:3], 0 offen offset:8
	;; [unrolled: 1-line block ×3, first 2 shown]
	v_ashrrev_i32_e32 v101, 31, v100
	v_ashrrev_i32_e32 v103, 31, v102
	v_mov_b32_e32 v99, s38
	v_add_nc_u32_e32 v108, s6, v102
	v_mov_b32_e32 v128, s27
	v_lshlrev_b64 v[96:97], 4, v[100:101]
	v_lshlrev_b64 v[110:111], 4, v[102:103]
	v_mov_b32_e32 v103, s37
	v_ashrrev_i32_e32 v109, 31, v108
	v_add_nc_u32_e32 v122, s6, v108
	v_mov_b32_e32 v131, s26
	v_add_co_u32 v116, vcc_lo, v144, v96
	v_add_co_ci_u32_e64 v117, null, v145, v97, vcc_lo
	s_clause 0xb
	buffer_load_dword v96, v99, s[0:3], 0 offen
	buffer_load_dword v97, v99, s[0:3], 0 offen offset:4
	buffer_load_dword v98, v99, s[0:3], 0 offen offset:8
	buffer_load_dword v99, v99, s[0:3], 0 offen offset:12
	buffer_load_dword v100, v103, s[0:3], 0 offen
	buffer_load_dword v101, v103, s[0:3], 0 offen offset:4
	buffer_load_dword v102, v103, s[0:3], 0 offen offset:8
	buffer_load_dword v103, v103, s[0:3], 0 offen offset:12
	;; [unrolled: 4-line block ×3, first 2 shown]
	v_lshlrev_b64 v[112:113], 4, v[108:109]
	v_add_co_u32 v118, vcc_lo, v144, v110
	v_add_co_ci_u32_e64 v119, null, v145, v111, vcc_lo
	v_mov_b32_e32 v111, s35
	v_add_co_u32 v120, vcc_lo, v144, v112
	v_add_co_ci_u32_e64 v121, null, v145, v113, vcc_lo
	s_clause 0x7
	buffer_load_dword v108, v111, s[0:3], 0 offen
	buffer_load_dword v109, v111, s[0:3], 0 offen offset:4
	buffer_load_dword v110, v111, s[0:3], 0 offen offset:8
	;; [unrolled: 1-line block ×3, first 2 shown]
	buffer_load_dword v112, v115, s[0:3], 0 offen
	buffer_load_dword v113, v115, s[0:3], 0 offen offset:4
	buffer_load_dword v114, v115, s[0:3], 0 offen offset:8
	;; [unrolled: 1-line block ×3, first 2 shown]
	global_store_dwordx4 v[116:117], v[60:63], off
	v_mov_b32_e32 v63, s33
	s_waitcnt vmcnt(62)
	global_store_dwordx4 v[118:119], v[64:67], off
	global_store_dwordx4 v[120:121], v[68:71], off
	v_mov_b32_e32 v67, s31
	v_mov_b32_e32 v71, s30
	v_ashrrev_i32_e32 v123, 31, v122
	s_clause 0xb
	buffer_load_dword v60, v63, s[0:3], 0 offen
	buffer_load_dword v61, v63, s[0:3], 0 offen offset:4
	buffer_load_dword v62, v63, s[0:3], 0 offen offset:8
	buffer_load_dword v63, v63, s[0:3], 0 offen offset:12
	buffer_load_dword v64, v67, s[0:3], 0 offen
	buffer_load_dword v65, v67, s[0:3], 0 offen offset:4
	buffer_load_dword v66, v67, s[0:3], 0 offen offset:8
	buffer_load_dword v67, v67, s[0:3], 0 offen offset:12
	;; [unrolled: 4-line block ×3, first 2 shown]
	v_add_nc_u32_e32 v116, s6, v122
	v_mov_b32_e32 v135, s25
	v_mov_b32_e32 v140, s24
	v_lshlrev_b64 v[118:119], 4, v[122:123]
	v_mov_b32_e32 v123, s28
	v_ashrrev_i32_e32 v117, 31, v116
	v_add_nc_u32_e32 v124, s6, v116
	v_mov_b32_e32 v143, s23
	v_add_co_u32 v146, vcc_lo, v144, v118
	v_add_co_ci_u32_e64 v147, null, v145, v119, vcc_lo
	v_mov_b32_e32 v119, s29
	v_lshlrev_b64 v[126:127], 4, v[116:117]
	s_clause 0x7
	buffer_load_dword v116, v119, s[0:3], 0 offen
	buffer_load_dword v117, v119, s[0:3], 0 offen offset:4
	buffer_load_dword v118, v119, s[0:3], 0 offen offset:8
	;; [unrolled: 1-line block ×3, first 2 shown]
	buffer_load_dword v120, v123, s[0:3], 0 offen
	buffer_load_dword v121, v123, s[0:3], 0 offen offset:4
	buffer_load_dword v122, v123, s[0:3], 0 offen offset:8
	;; [unrolled: 1-line block ×3, first 2 shown]
	v_ashrrev_i32_e32 v125, 31, v124
	v_add_co_u32 v148, vcc_lo, v144, v126
	v_add_nc_u32_e32 v150, s6, v124
	v_add_co_ci_u32_e64 v149, null, v145, v127, vcc_lo
	v_lshlrev_b64 v[136:137], 4, v[124:125]
	s_clause 0xb
	buffer_load_dword v124, v128, s[0:3], 0 offen
	buffer_load_dword v125, v128, s[0:3], 0 offen offset:4
	buffer_load_dword v126, v128, s[0:3], 0 offen offset:8
	buffer_load_dword v127, v128, s[0:3], 0 offen offset:12
	buffer_load_dword v128, v131, s[0:3], 0 offen
	buffer_load_dword v129, v131, s[0:3], 0 offen offset:4
	buffer_load_dword v130, v131, s[0:3], 0 offen offset:8
	buffer_load_dword v131, v131, s[0:3], 0 offen offset:12
	;; [unrolled: 4-line block ×3, first 2 shown]
	v_ashrrev_i32_e32 v151, 31, v150
	v_lshlrev_b64 v[138:139], 4, v[150:151]
	v_add_co_u32 v151, vcc_lo, v144, v136
	v_add_co_ci_u32_e64 v152, null, v145, v137, vcc_lo
	v_add_nc_u32_e32 v150, s6, v150
	v_add_co_u32 v153, vcc_lo, v144, v138
	v_add_co_ci_u32_e64 v154, null, v145, v139, vcc_lo
	s_clause 0x7
	buffer_load_dword v136, v140, s[0:3], 0 offen
	buffer_load_dword v137, v140, s[0:3], 0 offen offset:4
	buffer_load_dword v138, v140, s[0:3], 0 offen offset:8
	;; [unrolled: 1-line block ×3, first 2 shown]
	buffer_load_dword v140, v143, s[0:3], 0 offen
	buffer_load_dword v141, v143, s[0:3], 0 offen offset:4
	buffer_load_dword v142, v143, s[0:3], 0 offen offset:8
	;; [unrolled: 1-line block ×3, first 2 shown]
	global_store_dwordx4 v[146:147], v[80:83], off
	global_store_dwordx4 v[148:149], v[84:87], off
	v_mov_b32_e32 v80, s22
	v_mov_b32_e32 v83, s18
	global_store_dwordx4 v[151:152], v[72:75], off
	global_store_dwordx4 v[153:154], v[76:79], off
	v_mov_b32_e32 v79, s19
	v_mov_b32_e32 v87, s7
	;; [unrolled: 1-line block ×3, first 2 shown]
	s_clause 0x13
	buffer_load_dword v72, v80, s[0:3], 0 offen
	buffer_load_dword v73, v80, s[0:3], 0 offen offset:4
	buffer_load_dword v74, v80, s[0:3], 0 offen offset:8
	buffer_load_dword v75, v80, s[0:3], 0 offen offset:12
	buffer_load_dword v76, v79, s[0:3], 0 offen
	buffer_load_dword v77, v79, s[0:3], 0 offen offset:4
	buffer_load_dword v78, v79, s[0:3], 0 offen offset:8
	buffer_load_dword v79, v79, s[0:3], 0 offen offset:12
	;; [unrolled: 4-line block ×5, first 2 shown]
	v_ashrrev_i32_e32 v151, 31, v150
	v_add_nc_u32_e32 v152, s6, v150
	v_lshlrev_b64 v[150:151], 4, v[150:151]
	v_ashrrev_i32_e32 v153, 31, v152
	v_add_nc_u32_e32 v154, s6, v152
	v_add_co_u32 v150, vcc_lo, v144, v150
	v_add_co_ci_u32_e64 v151, null, v145, v151, vcc_lo
	v_lshlrev_b64 v[152:153], 4, v[152:153]
	v_ashrrev_i32_e32 v155, 31, v154
	global_store_dwordx4 v[150:151], v[56:59], off
	v_add_nc_u32_e32 v56, s6, v154
	v_add_co_u32 v58, vcc_lo, v144, v152
	v_add_co_ci_u32_e64 v59, null, v145, v153, vcc_lo
	v_add_nc_u32_e32 v150, s6, v56
	v_ashrrev_i32_e32 v57, 31, v56
	v_lshlrev_b64 v[152:153], 4, v[154:155]
	global_store_dwordx4 v[58:59], v[52:55], off
	v_ashrrev_i32_e32 v151, 31, v150
	v_lshlrev_b64 v[52:53], 4, v[56:57]
	v_add_nc_u32_e32 v58, s6, v150
	v_add_co_u32 v54, vcc_lo, v144, v152
	v_lshlrev_b64 v[56:57], 4, v[150:151]
	v_add_co_ci_u32_e64 v55, null, v145, v153, vcc_lo
	v_add_co_u32 v52, vcc_lo, v144, v52
	v_add_co_ci_u32_e64 v53, null, v145, v53, vcc_lo
	v_add_co_u32 v56, vcc_lo, v144, v56
	v_add_nc_u32_e32 v150, s6, v58
	v_add_co_ci_u32_e64 v57, null, v145, v57, vcc_lo
	v_ashrrev_i32_e32 v59, 31, v58
	global_store_dwordx4 v[54:55], v[40:43], off
	global_store_dwordx4 v[52:53], v[44:47], off
	;; [unrolled: 1-line block ×3, first 2 shown]
	v_add_nc_u32_e32 v44, s6, v150
	v_ashrrev_i32_e32 v151, 31, v150
	v_lshlrev_b64 v[40:41], 4, v[58:59]
	v_add_nc_u32_e32 v46, s6, v44
	v_lshlrev_b64 v[42:43], 4, v[150:151]
	v_ashrrev_i32_e32 v45, 31, v44
	v_add_co_u32 v40, vcc_lo, v144, v40
	v_add_nc_u32_e32 v48, s6, v46
	v_add_co_ci_u32_e64 v41, null, v145, v41, vcc_lo
	v_add_co_u32 v42, vcc_lo, v144, v42
	v_ashrrev_i32_e32 v47, 31, v46
	v_add_co_ci_u32_e64 v43, null, v145, v43, vcc_lo
	v_ashrrev_i32_e32 v49, 31, v48
	v_lshlrev_b64 v[44:45], 4, v[44:45]
	global_store_dwordx4 v[40:41], v[32:35], off
	s_waitcnt vmcnt(62)
	global_store_dwordx4 v[42:43], v[36:39], off
	v_lshlrev_b64 v[32:33], 4, v[46:47]
	v_add_nc_u32_e32 v38, s6, v48
	v_lshlrev_b64 v[36:37], 4, v[48:49]
	v_add_co_u32 v34, vcc_lo, v144, v44
	v_add_co_ci_u32_e64 v35, null, v145, v45, vcc_lo
	v_add_co_u32 v32, vcc_lo, v144, v32
	v_add_co_ci_u32_e64 v33, null, v145, v33, vcc_lo
	v_add_co_u32 v36, vcc_lo, v144, v36
	v_add_nc_u32_e32 v40, s6, v38
	v_add_co_ci_u32_e64 v37, null, v145, v37, vcc_lo
	v_ashrrev_i32_e32 v39, 31, v38
	global_store_dwordx4 v[34:35], v[20:23], off
	global_store_dwordx4 v[32:33], v[24:27], off
	global_store_dwordx4 v[36:37], v[28:31], off
	v_add_nc_u32_e32 v24, s6, v40
	v_ashrrev_i32_e32 v41, 31, v40
	v_lshlrev_b64 v[20:21], 4, v[38:39]
	v_add_nc_u32_e32 v26, s6, v24
	v_lshlrev_b64 v[22:23], 4, v[40:41]
	v_ashrrev_i32_e32 v25, 31, v24
	v_add_co_u32 v20, vcc_lo, v144, v20
	v_add_nc_u32_e32 v28, s6, v26
	v_add_co_ci_u32_e64 v21, null, v145, v21, vcc_lo
	v_add_co_u32 v22, vcc_lo, v144, v22
	v_ashrrev_i32_e32 v27, 31, v26
	v_add_co_ci_u32_e64 v23, null, v145, v23, vcc_lo
	v_ashrrev_i32_e32 v29, 31, v28
	v_lshlrev_b64 v[24:25], 4, v[24:25]
	global_store_dwordx4 v[20:21], v[4:7], off
	global_store_dwordx4 v[22:23], v[8:11], off
	v_lshlrev_b64 v[4:5], 4, v[26:27]
	v_add_nc_u32_e32 v10, s6, v28
	v_lshlrev_b64 v[8:9], 4, v[28:29]
	v_add_co_u32 v6, vcc_lo, v144, v24
	v_add_co_ci_u32_e64 v7, null, v145, v25, vcc_lo
	v_add_co_u32 v4, vcc_lo, v144, v4
	v_add_co_ci_u32_e64 v5, null, v145, v5, vcc_lo
	v_add_co_u32 v8, vcc_lo, v144, v8
	v_add_nc_u32_e32 v20, s6, v10
	v_add_co_ci_u32_e64 v9, null, v145, v9, vcc_lo
	v_ashrrev_i32_e32 v11, 31, v10
	v_ashrrev_i32_e32 v21, 31, v20
	global_store_dwordx4 v[6:7], v[0:3], off
	global_store_dwordx4 v[4:5], v[12:15], off
	;; [unrolled: 1-line block ×3, first 2 shown]
	v_add_nc_u32_e32 v4, s6, v20
	v_lshlrev_b64 v[0:1], 4, v[10:11]
	v_lshlrev_b64 v[2:3], 4, v[20:21]
	v_add_nc_u32_e32 v6, s6, v4
	v_ashrrev_i32_e32 v5, 31, v4
	v_add_co_u32 v0, vcc_lo, v144, v0
	v_add_co_ci_u32_e64 v1, null, v145, v1, vcc_lo
	v_add_nc_u32_e32 v8, s6, v6
	v_add_co_u32 v2, vcc_lo, v144, v2
	v_lshlrev_b64 v[4:5], 4, v[4:5]
	v_ashrrev_i32_e32 v7, 31, v6
	v_add_co_ci_u32_e64 v3, null, v145, v3, vcc_lo
	v_ashrrev_i32_e32 v9, 31, v8
	global_store_dwordx4 v[0:1], v[88:91], off
	global_store_dwordx4 v[2:3], v[92:95], off
	v_lshlrev_b64 v[0:1], 4, v[6:7]
	v_add_co_u32 v2, vcc_lo, v144, v4
	v_add_co_ci_u32_e64 v3, null, v145, v5, vcc_lo
	v_lshlrev_b64 v[4:5], 4, v[8:9]
	v_add_nc_u32_e32 v6, s6, v8
	v_add_co_u32 v0, vcc_lo, v144, v0
	v_add_co_ci_u32_e64 v1, null, v145, v1, vcc_lo
	v_add_co_u32 v4, vcc_lo, v144, v4
	v_add_nc_u32_e32 v8, s6, v6
	v_add_co_ci_u32_e64 v5, null, v145, v5, vcc_lo
	v_ashrrev_i32_e32 v7, 31, v6
	global_store_dwordx4 v[2:3], v[96:99], off
	global_store_dwordx4 v[0:1], v[100:103], off
	;; [unrolled: 1-line block ×3, first 2 shown]
	v_add_nc_u32_e32 v4, s6, v8
	v_ashrrev_i32_e32 v9, 31, v8
	v_lshlrev_b64 v[2:3], 4, v[6:7]
	v_add_nc_u32_e32 v6, s6, v4
	v_lshlrev_b64 v[0:1], 4, v[8:9]
	v_ashrrev_i32_e32 v5, 31, v4
	v_add_co_u32 v2, vcc_lo, v144, v2
	v_add_nc_u32_e32 v8, s6, v6
	v_add_co_ci_u32_e64 v3, null, v145, v3, vcc_lo
	v_add_co_u32 v0, vcc_lo, v144, v0
	v_lshlrev_b64 v[4:5], 4, v[4:5]
	v_ashrrev_i32_e32 v7, 31, v6
	v_add_co_ci_u32_e64 v1, null, v145, v1, vcc_lo
	v_ashrrev_i32_e32 v9, 31, v8
	global_store_dwordx4 v[2:3], v[108:111], off
	s_waitcnt vmcnt(60)
	global_store_dwordx4 v[0:1], v[112:115], off
	v_lshlrev_b64 v[0:1], 4, v[6:7]
	v_add_co_u32 v2, vcc_lo, v144, v4
	v_add_co_ci_u32_e64 v3, null, v145, v5, vcc_lo
	v_lshlrev_b64 v[4:5], 4, v[8:9]
	v_add_nc_u32_e32 v6, s6, v8
	v_add_co_u32 v0, vcc_lo, v144, v0
	v_add_co_ci_u32_e64 v1, null, v145, v1, vcc_lo
	v_add_co_u32 v4, vcc_lo, v144, v4
	v_add_nc_u32_e32 v8, s6, v6
	v_add_co_ci_u32_e64 v5, null, v145, v5, vcc_lo
	v_ashrrev_i32_e32 v7, 31, v6
	s_waitcnt vmcnt(56)
	global_store_dwordx4 v[2:3], v[60:63], off
	s_waitcnt vmcnt(52)
	global_store_dwordx4 v[0:1], v[64:67], off
	;; [unrolled: 2-line block ×3, first 2 shown]
	v_add_nc_u32_e32 v4, s6, v8
	v_ashrrev_i32_e32 v9, 31, v8
	v_lshlrev_b64 v[2:3], 4, v[6:7]
	v_add_nc_u32_e32 v6, s6, v4
	v_lshlrev_b64 v[0:1], 4, v[8:9]
	v_ashrrev_i32_e32 v5, 31, v4
	v_add_co_u32 v2, vcc_lo, v144, v2
	v_add_nc_u32_e32 v8, s6, v6
	v_add_co_ci_u32_e64 v3, null, v145, v3, vcc_lo
	v_add_co_u32 v0, vcc_lo, v144, v0
	v_lshlrev_b64 v[4:5], 4, v[4:5]
	v_ashrrev_i32_e32 v7, 31, v6
	v_add_co_ci_u32_e64 v1, null, v145, v1, vcc_lo
	v_ashrrev_i32_e32 v9, 31, v8
	s_waitcnt vmcnt(44)
	global_store_dwordx4 v[2:3], v[116:119], off
	s_waitcnt vmcnt(40)
	global_store_dwordx4 v[0:1], v[120:123], off
	v_lshlrev_b64 v[0:1], 4, v[6:7]
	v_add_co_u32 v2, vcc_lo, v144, v4
	v_add_co_ci_u32_e64 v3, null, v145, v5, vcc_lo
	v_lshlrev_b64 v[4:5], 4, v[8:9]
	v_add_nc_u32_e32 v6, s6, v8
	v_add_co_u32 v0, vcc_lo, v144, v0
	v_add_co_ci_u32_e64 v1, null, v145, v1, vcc_lo
	v_add_co_u32 v4, vcc_lo, v144, v4
	v_add_nc_u32_e32 v8, s6, v6
	v_add_co_ci_u32_e64 v5, null, v145, v5, vcc_lo
	v_ashrrev_i32_e32 v7, 31, v6
	s_waitcnt vmcnt(36)
	global_store_dwordx4 v[2:3], v[124:127], off
	s_waitcnt vmcnt(32)
	global_store_dwordx4 v[0:1], v[128:131], off
	;; [unrolled: 2-line block ×3, first 2 shown]
	v_add_nc_u32_e32 v4, s6, v8
	v_ashrrev_i32_e32 v9, 31, v8
	v_lshlrev_b64 v[2:3], 4, v[6:7]
	v_add_nc_u32_e32 v6, s6, v4
	v_lshlrev_b64 v[0:1], 4, v[8:9]
	v_ashrrev_i32_e32 v5, 31, v4
	v_add_co_u32 v2, vcc_lo, v144, v2
	v_add_co_ci_u32_e64 v3, null, v145, v3, vcc_lo
	v_add_nc_u32_e32 v8, s6, v6
	v_add_co_u32 v0, vcc_lo, v144, v0
	v_add_co_ci_u32_e64 v1, null, v145, v1, vcc_lo
	v_ashrrev_i32_e32 v7, 31, v6
	s_waitcnt vmcnt(24)
	global_store_dwordx4 v[2:3], v[136:139], off
	v_lshlrev_b64 v[2:3], 4, v[4:5]
	v_ashrrev_i32_e32 v9, 31, v8
	v_add_nc_u32_e32 v4, s6, v8
	s_waitcnt vmcnt(20)
	global_store_dwordx4 v[0:1], v[140:143], off
	v_lshlrev_b64 v[0:1], 4, v[6:7]
	v_lshlrev_b64 v[6:7], 4, v[8:9]
	v_add_nc_u32_e32 v8, s6, v4
	v_ashrrev_i32_e32 v5, 31, v4
	v_add_co_u32 v2, vcc_lo, v144, v2
	v_add_co_ci_u32_e64 v3, null, v145, v3, vcc_lo
	v_ashrrev_i32_e32 v9, 31, v8
	v_lshlrev_b64 v[4:5], 4, v[4:5]
	v_add_co_u32 v0, vcc_lo, v144, v0
	v_add_co_ci_u32_e64 v1, null, v145, v1, vcc_lo
	v_lshlrev_b64 v[8:9], 4, v[8:9]
	v_add_co_u32 v6, vcc_lo, v144, v6
	v_add_co_ci_u32_e64 v7, null, v145, v7, vcc_lo
	v_add_co_u32 v4, vcc_lo, v144, v4
	v_add_co_ci_u32_e64 v5, null, v145, v5, vcc_lo
	;; [unrolled: 2-line block ×3, first 2 shown]
	s_waitcnt vmcnt(16)
	global_store_dwordx4 v[2:3], v[72:75], off
	s_waitcnt vmcnt(12)
	global_store_dwordx4 v[0:1], v[76:79], off
	;; [unrolled: 2-line block ×5, first 2 shown]
.LBB124_1459:
	s_endpgm
	.section	.rodata,"a",@progbits
	.p2align	6, 0x0
	.amdhsa_kernel _ZN9rocsolver6v33100L18getf2_small_kernelILi63E19rocblas_complex_numIdEiiPS3_EEvT1_T3_lS5_lPS5_llPT2_S5_S5_S7_l
		.amdhsa_group_segment_fixed_size 0
		.amdhsa_private_segment_fixed_size 1024
		.amdhsa_kernarg_size 352
		.amdhsa_user_sgpr_count 6
		.amdhsa_user_sgpr_private_segment_buffer 1
		.amdhsa_user_sgpr_dispatch_ptr 0
		.amdhsa_user_sgpr_queue_ptr 0
		.amdhsa_user_sgpr_kernarg_segment_ptr 1
		.amdhsa_user_sgpr_dispatch_id 0
		.amdhsa_user_sgpr_flat_scratch_init 0
		.amdhsa_user_sgpr_private_segment_size 0
		.amdhsa_wavefront_size32 1
		.amdhsa_uses_dynamic_stack 0
		.amdhsa_system_sgpr_private_segment_wavefront_offset 1
		.amdhsa_system_sgpr_workgroup_id_x 1
		.amdhsa_system_sgpr_workgroup_id_y 1
		.amdhsa_system_sgpr_workgroup_id_z 0
		.amdhsa_system_sgpr_workgroup_info 0
		.amdhsa_system_vgpr_workitem_id 1
		.amdhsa_next_free_vgpr 163
		.amdhsa_next_free_sgpr 105
		.amdhsa_reserve_vcc 1
		.amdhsa_reserve_flat_scratch 0
		.amdhsa_float_round_mode_32 0
		.amdhsa_float_round_mode_16_64 0
		.amdhsa_float_denorm_mode_32 3
		.amdhsa_float_denorm_mode_16_64 3
		.amdhsa_dx10_clamp 1
		.amdhsa_ieee_mode 1
		.amdhsa_fp16_overflow 0
		.amdhsa_workgroup_processor_mode 1
		.amdhsa_memory_ordered 1
		.amdhsa_forward_progress 1
		.amdhsa_shared_vgpr_count 0
		.amdhsa_exception_fp_ieee_invalid_op 0
		.amdhsa_exception_fp_denorm_src 0
		.amdhsa_exception_fp_ieee_div_zero 0
		.amdhsa_exception_fp_ieee_overflow 0
		.amdhsa_exception_fp_ieee_underflow 0
		.amdhsa_exception_fp_ieee_inexact 0
		.amdhsa_exception_int_div_zero 0
	.end_amdhsa_kernel
	.section	.text._ZN9rocsolver6v33100L18getf2_small_kernelILi63E19rocblas_complex_numIdEiiPS3_EEvT1_T3_lS5_lPS5_llPT2_S5_S5_S7_l,"axG",@progbits,_ZN9rocsolver6v33100L18getf2_small_kernelILi63E19rocblas_complex_numIdEiiPS3_EEvT1_T3_lS5_lPS5_llPT2_S5_S5_S7_l,comdat
.Lfunc_end124:
	.size	_ZN9rocsolver6v33100L18getf2_small_kernelILi63E19rocblas_complex_numIdEiiPS3_EEvT1_T3_lS5_lPS5_llPT2_S5_S5_S7_l, .Lfunc_end124-_ZN9rocsolver6v33100L18getf2_small_kernelILi63E19rocblas_complex_numIdEiiPS3_EEvT1_T3_lS5_lPS5_llPT2_S5_S5_S7_l
                                        ; -- End function
	.set _ZN9rocsolver6v33100L18getf2_small_kernelILi63E19rocblas_complex_numIdEiiPS3_EEvT1_T3_lS5_lPS5_llPT2_S5_S5_S7_l.num_vgpr, 163
	.set _ZN9rocsolver6v33100L18getf2_small_kernelILi63E19rocblas_complex_numIdEiiPS3_EEvT1_T3_lS5_lPS5_llPT2_S5_S5_S7_l.num_agpr, 0
	.set _ZN9rocsolver6v33100L18getf2_small_kernelILi63E19rocblas_complex_numIdEiiPS3_EEvT1_T3_lS5_lPS5_llPT2_S5_S5_S7_l.numbered_sgpr, 105
	.set _ZN9rocsolver6v33100L18getf2_small_kernelILi63E19rocblas_complex_numIdEiiPS3_EEvT1_T3_lS5_lPS5_llPT2_S5_S5_S7_l.num_named_barrier, 0
	.set _ZN9rocsolver6v33100L18getf2_small_kernelILi63E19rocblas_complex_numIdEiiPS3_EEvT1_T3_lS5_lPS5_llPT2_S5_S5_S7_l.private_seg_size, 1024
	.set _ZN9rocsolver6v33100L18getf2_small_kernelILi63E19rocblas_complex_numIdEiiPS3_EEvT1_T3_lS5_lPS5_llPT2_S5_S5_S7_l.uses_vcc, 1
	.set _ZN9rocsolver6v33100L18getf2_small_kernelILi63E19rocblas_complex_numIdEiiPS3_EEvT1_T3_lS5_lPS5_llPT2_S5_S5_S7_l.uses_flat_scratch, 0
	.set _ZN9rocsolver6v33100L18getf2_small_kernelILi63E19rocblas_complex_numIdEiiPS3_EEvT1_T3_lS5_lPS5_llPT2_S5_S5_S7_l.has_dyn_sized_stack, 0
	.set _ZN9rocsolver6v33100L18getf2_small_kernelILi63E19rocblas_complex_numIdEiiPS3_EEvT1_T3_lS5_lPS5_llPT2_S5_S5_S7_l.has_recursion, 0
	.set _ZN9rocsolver6v33100L18getf2_small_kernelILi63E19rocblas_complex_numIdEiiPS3_EEvT1_T3_lS5_lPS5_llPT2_S5_S5_S7_l.has_indirect_call, 0
	.section	.AMDGPU.csdata,"",@progbits
; Kernel info:
; codeLenInByte = 177508
; TotalNumSgprs: 107
; NumVgprs: 163
; ScratchSize: 1024
; MemoryBound: 0
; FloatMode: 240
; IeeeMode: 1
; LDSByteSize: 0 bytes/workgroup (compile time only)
; SGPRBlocks: 0
; VGPRBlocks: 20
; NumSGPRsForWavesPerEU: 107
; NumVGPRsForWavesPerEU: 163
; Occupancy: 5
; WaveLimiterHint : 1
; COMPUTE_PGM_RSRC2:SCRATCH_EN: 1
; COMPUTE_PGM_RSRC2:USER_SGPR: 6
; COMPUTE_PGM_RSRC2:TRAP_HANDLER: 0
; COMPUTE_PGM_RSRC2:TGID_X_EN: 1
; COMPUTE_PGM_RSRC2:TGID_Y_EN: 1
; COMPUTE_PGM_RSRC2:TGID_Z_EN: 0
; COMPUTE_PGM_RSRC2:TIDIG_COMP_CNT: 1
	.section	.text._ZN9rocsolver6v33100L23getf2_npvt_small_kernelILi63E19rocblas_complex_numIdEiiPS3_EEvT1_T3_lS5_lPT2_S5_S5_,"axG",@progbits,_ZN9rocsolver6v33100L23getf2_npvt_small_kernelILi63E19rocblas_complex_numIdEiiPS3_EEvT1_T3_lS5_lPT2_S5_S5_,comdat
	.globl	_ZN9rocsolver6v33100L23getf2_npvt_small_kernelILi63E19rocblas_complex_numIdEiiPS3_EEvT1_T3_lS5_lPT2_S5_S5_ ; -- Begin function _ZN9rocsolver6v33100L23getf2_npvt_small_kernelILi63E19rocblas_complex_numIdEiiPS3_EEvT1_T3_lS5_lPT2_S5_S5_
	.p2align	8
	.type	_ZN9rocsolver6v33100L23getf2_npvt_small_kernelILi63E19rocblas_complex_numIdEiiPS3_EEvT1_T3_lS5_lPT2_S5_S5_,@function
_ZN9rocsolver6v33100L23getf2_npvt_small_kernelILi63E19rocblas_complex_numIdEiiPS3_EEvT1_T3_lS5_lPT2_S5_S5_: ; @_ZN9rocsolver6v33100L23getf2_npvt_small_kernelILi63E19rocblas_complex_numIdEiiPS3_EEvT1_T3_lS5_lPT2_S5_S5_
; %bb.0:
	s_clause 0x1
	s_load_dword s6, s[4:5], 0x44
	s_load_dwordx2 s[16:17], s[4:5], 0x30
	s_add_u32 s0, s0, s8
	s_addc_u32 s1, s1, 0
	s_waitcnt lgkmcnt(0)
	s_lshr_b32 s10, s6, 16
	s_mov_b32 s6, exec_lo
	v_mad_u64_u32 v[253:254], null, s7, s10, v[1:2]
	v_cmpx_gt_i32_e64 s16, v253
	s_cbranch_execnz .LBB125_1
; %bb.706:
	s_getpc_b64 s[104:105]
.Lpost_getpc27:
	s_add_u32 s104, s104, (.LBB125_705-.Lpost_getpc27)&4294967295
	s_addc_u32 s105, s105, (.LBB125_705-.Lpost_getpc27)>>32
	s_setpc_b64 s[104:105]
.LBB125_1:
	s_clause 0x2
	s_load_dwordx4 s[12:15], s[4:5], 0x20
	s_load_dword s8, s[4:5], 0x18
	s_load_dwordx4 s[4:7], s[4:5], 0x8
	v_ashrrev_i32_e32 v254, 31, v253
	v_lshlrev_b32_e32 v12, 4, v0
	v_mad_u32_u24 v249, 0x3f0, v1, 0
	s_movk_i32 s11, 0x80
	s_movk_i32 s16, 0xb0
	;; [unrolled: 1-line block ×14, first 2 shown]
	s_waitcnt lgkmcnt(0)
	v_mul_lo_u32 v5, s13, v253
	v_mul_lo_u32 v7, s12, v254
	v_mad_u64_u32 v[2:3], null, s12, v253, 0
	v_add3_u32 v4, s8, s8, v0
	s_lshl_b64 s[6:7], s[6:7], 4
	s_ashr_i32 s9, s8, 31
	s_movk_i32 s30, 0x180
	s_lshl_b64 s[12:13], s[8:9], 4
	v_add_nc_u32_e32 v6, s8, v4
	v_add3_u32 v3, v3, v7, v5
	v_ashrrev_i32_e32 v5, 31, v4
	s_movk_i32 s9, 0x370
	s_movk_i32 s31, 0x190
	v_add_nc_u32_e32 v8, s8, v6
	v_lshlrev_b64 v[2:3], 4, v[2:3]
	v_lshlrev_b64 v[4:5], 4, v[4:5]
	v_ashrrev_i32_e32 v7, 31, v6
	s_movk_i32 s33, 0x1a0
	v_ashrrev_i32_e32 v9, 31, v8
	v_add_nc_u32_e32 v10, s8, v8
	v_add_co_u32 v13, vcc_lo, s4, v2
	v_add_co_ci_u32_e64 v14, null, s5, v3, vcc_lo
	v_lshlrev_b64 v[2:3], 4, v[8:9]
	v_add_co_u32 v126, vcc_lo, v13, s6
	v_add_co_ci_u32_e64 v127, null, s7, v14, vcc_lo
	v_lshlrev_b64 v[6:7], 4, v[6:7]
	v_add_co_u32 v166, vcc_lo, v126, v12
	v_add_co_ci_u32_e64 v167, null, 0, v127, vcc_lo
	v_add_co_u32 v8, vcc_lo, v126, v4
	v_add_co_ci_u32_e64 v9, null, v127, v5, vcc_lo
	buffer_store_dword v8, off, s[0:3], 0 offset:1032 ; 4-byte Folded Spill
	buffer_store_dword v9, off, s[0:3], 0 offset:1036 ; 4-byte Folded Spill
	v_add_co_u32 v6, vcc_lo, v126, v6
	v_add_co_ci_u32_e64 v7, null, v127, v7, vcc_lo
	v_add_co_u32 v4, vcc_lo, v126, v2
	v_add_co_ci_u32_e64 v5, null, v127, v3, vcc_lo
	v_ashrrev_i32_e32 v11, 31, v10
	v_add_nc_u32_e32 v22, s8, v10
	s_mul_i32 s4, s10, 0x3f0
	v_cmp_ne_u32_e64 s5, 0, v0
	s_movk_i32 s7, 0x3d0
	v_lshlrev_b64 v[10:11], 4, v[10:11]
	v_ashrrev_i32_e32 v23, 31, v22
	v_add_nc_u32_e32 v26, s8, v22
	s_movk_i32 s10, 0x70
	s_movk_i32 s34, 0x1b0
	;; [unrolled: 1-line block ×3, first 2 shown]
	v_add_co_u32 v2, vcc_lo, v126, v10
	v_add_co_ci_u32_e64 v3, null, v127, v11, vcc_lo
	v_add_co_u32 v32, vcc_lo, v166, s12
	v_add_co_ci_u32_e64 v33, null, s13, v167, vcc_lo
	v_lshlrev_b64 v[30:31], 4, v[22:23]
	v_ashrrev_i32_e32 v27, 31, v26
	v_add_nc_u32_e32 v28, s8, v26
	s_movk_i32 s12, 0x90
	s_movk_i32 s13, 0xa0
	;; [unrolled: 1-line block ×3, first 2 shown]
	v_add_co_u32 v34, vcc_lo, v126, v30
	v_add_co_ci_u32_e64 v35, null, v127, v31, vcc_lo
	v_lshlrev_b64 v[26:27], 4, v[26:27]
	v_ashrrev_i32_e32 v29, 31, v28
	s_movk_i32 s37, 0x1e0
	s_movk_i32 s38, 0x1f0
	;; [unrolled: 1-line block ×4, first 2 shown]
	v_add_co_u32 v38, vcc_lo, v126, v26
	v_add_co_ci_u32_e64 v39, null, v127, v27, vcc_lo
	s_movk_i32 s41, 0x220
	s_movk_i32 s42, 0x230
	;; [unrolled: 1-line block ×28, first 2 shown]
	global_load_dwordx4 v[18:21], v[8:9], off
	buffer_store_dword v6, off, s[0:3], 0 offset:1024 ; 4-byte Folded Spill
	buffer_store_dword v7, off, s[0:3], 0 offset:1028 ; 4-byte Folded Spill
	global_load_dwordx4 v[6:9], v[6:7], off
	buffer_store_dword v4, off, s[0:3], 0 offset:1016 ; 4-byte Folded Spill
	buffer_store_dword v5, off, s[0:3], 0 offset:1020 ; 4-byte Folded Spill
	;; [unrolled: 3-line block ×3, first 2 shown]
	s_clause 0x1
	global_load_dwordx4 v[22:25], v[166:167], off
	global_load_dwordx4 v[10:13], v[2:3], off
	buffer_store_dword v32, off, s[0:3], 0 offset:1056 ; 4-byte Folded Spill
	buffer_store_dword v33, off, s[0:3], 0 offset:1060 ; 4-byte Folded Spill
	global_load_dwordx4 v[2:5], v[32:33], off
	buffer_store_dword v34, off, s[0:3], 0 offset:1048 ; 4-byte Folded Spill
	buffer_store_dword v35, off, s[0:3], 0 offset:1052 ; 4-byte Folded Spill
	v_add_nc_u32_e32 v32, s8, v28
	v_lshlrev_b64 v[28:29], 4, v[28:29]
	v_ashrrev_i32_e32 v33, 31, v32
	v_add_nc_u32_e32 v30, s8, v32
	v_add_co_u32 v42, vcc_lo, v126, v28
	v_add_co_ci_u32_e64 v43, null, v127, v29, vcc_lo
	v_lshlrev_b64 v[26:27], 4, v[32:33]
	v_ashrrev_i32_e32 v31, 31, v30
	v_add_nc_u32_e32 v32, s8, v30
	v_add_co_u32 v44, vcc_lo, v126, v26
	v_add_co_ci_u32_e64 v45, null, v127, v27, vcc_lo
	;; [unrolled: 5-line block ×11, first 2 shown]
	v_lshlrev_b64 v[26:27], 4, v[32:33]
	v_ashrrev_i32_e32 v31, 31, v30
	v_add_co_u32 v68, vcc_lo, v126, v26
	v_add_co_ci_u32_e64 v69, null, v127, v27, vcc_lo
	v_lshlrev_b64 v[28:29], 4, v[30:31]
	v_add_nc_u32_e32 v26, s8, v30
	v_add_co_u32 v32, vcc_lo, v126, v28
	v_add_co_ci_u32_e64 v33, null, v127, v29, vcc_lo
	v_ashrrev_i32_e32 v27, 31, v26
	v_add_nc_u32_e32 v28, s8, v26
	v_lshlrev_b64 v[26:27], 4, v[26:27]
	v_ashrrev_i32_e32 v29, 31, v28
	v_add_nc_u32_e32 v30, s8, v28
	v_ashrrev_i32_e32 v31, 31, v30
	global_load_dwordx4 v[34:37], v[34:35], off
	buffer_store_dword v38, off, s[0:3], 0 offset:1064 ; 4-byte Folded Spill
	buffer_store_dword v39, off, s[0:3], 0 offset:1068 ; 4-byte Folded Spill
	global_load_dwordx4 v[38:41], v[38:39], off
	buffer_store_dword v42, off, s[0:3], 0 offset:1072 ; 4-byte Folded Spill
	buffer_store_dword v43, off, s[0:3], 0 offset:1076 ; 4-byte Folded Spill
	;; [unrolled: 3-line block ×3, first 2 shown]
	v_add_co_u32 v42, vcc_lo, v126, v26
	v_add_co_ci_u32_e64 v43, null, v127, v27, vcc_lo
	v_lshlrev_b64 v[26:27], 4, v[28:29]
	v_lshlrev_b64 v[28:29], 4, v[30:31]
	v_add_nc_u32_e32 v30, s8, v30
	v_ashrrev_i32_e32 v31, 31, v30
	global_load_dwordx4 v[74:77], v[44:45], off
	buffer_store_dword v46, off, s[0:3], 0 offset:1088 ; 4-byte Folded Spill
	buffer_store_dword v47, off, s[0:3], 0 offset:1092 ; 4-byte Folded Spill
	global_load_dwordx4 v[70:73], v[46:47], off
	buffer_store_dword v48, off, s[0:3], 0 offset:1096 ; 4-byte Folded Spill
	buffer_store_dword v49, off, s[0:3], 0 offset:1100 ; 4-byte Folded Spill
	;; [unrolled: 3-line block ×12, first 2 shown]
	v_add_co_u32 v32, vcc_lo, v126, v26
	v_add_co_ci_u32_e64 v33, null, v127, v27, vcc_lo
	v_add_nc_u32_e32 v26, s8, v30
	v_lshlrev_b64 v[30:31], 4, v[30:31]
	v_ashrrev_i32_e32 v27, 31, v26
	global_load_dwordx4 v[98:101], v[42:43], off
	buffer_store_dword v32, off, s[0:3], 0 offset:1184 ; 4-byte Folded Spill
	buffer_store_dword v33, off, s[0:3], 0 offset:1188 ; 4-byte Folded Spill
	v_add_co_u32 v42, vcc_lo, v126, v28
	v_add_co_ci_u32_e64 v43, null, v127, v29, vcc_lo
	v_add_nc_u32_e32 v28, s8, v26
	v_lshlrev_b64 v[26:27], 4, v[26:27]
	v_ashrrev_i32_e32 v29, 31, v28
	global_load_dwordx4 v[122:125], v[32:33], off
	buffer_store_dword v42, off, s[0:3], 0 offset:1192 ; 4-byte Folded Spill
	buffer_store_dword v43, off, s[0:3], 0 offset:1196 ; 4-byte Folded Spill
	v_add_nc_u32_e32 v32, s8, v28
	v_lshlrev_b64 v[28:29], 4, v[28:29]
	v_ashrrev_i32_e32 v33, 31, v32
	global_load_dwordx4 v[118:121], v[42:43], off
	v_add_co_u32 v42, vcc_lo, v126, v30
	v_add_co_ci_u32_e64 v43, null, v127, v31, vcc_lo
	buffer_store_dword v42, off, s[0:3], 0 offset:1200 ; 4-byte Folded Spill
	buffer_store_dword v43, off, s[0:3], 0 offset:1204 ; 4-byte Folded Spill
	v_add_co_u32 v44, vcc_lo, v126, v26
	v_add_co_ci_u32_e64 v45, null, v127, v27, vcc_lo
	v_lshlrev_b64 v[26:27], 4, v[32:33]
	v_add_nc_u32_e32 v30, s8, v32
	v_add_co_u32 v32, vcc_lo, v126, v28
	v_add_co_ci_u32_e64 v33, null, v127, v29, vcc_lo
	v_add_co_u32 v46, vcc_lo, v126, v26
	v_add_co_ci_u32_e64 v47, null, v127, v27, vcc_lo
	v_ashrrev_i32_e32 v31, 31, v30
	v_add_nc_u32_e32 v28, s8, v30
	v_lshlrev_b64 v[26:27], 4, v[30:31]
	v_ashrrev_i32_e32 v29, 31, v28
	v_add_nc_u32_e32 v31, s8, v28
	v_lshlrev_b64 v[29:30], 4, v[28:29]
	global_load_dwordx4 v[128:131], v[42:43], off
	buffer_store_dword v44, off, s[0:3], 0 offset:1208 ; 4-byte Folded Spill
	buffer_store_dword v45, off, s[0:3], 0 offset:1212 ; 4-byte Folded Spill
	v_add_co_u32 v42, vcc_lo, v126, v26
	v_add_co_ci_u32_e64 v43, null, v127, v27, vcc_lo
	v_add_nc_u32_e32 v26, s8, v31
	v_ashrrev_i32_e32 v27, 31, v26
	global_load_dwordx4 v[132:135], v[44:45], off
	buffer_store_dword v32, off, s[0:3], 0 offset:1216 ; 4-byte Folded Spill
	buffer_store_dword v33, off, s[0:3], 0 offset:1220 ; 4-byte Folded Spill
	v_add_co_u32 v44, vcc_lo, v126, v29
	v_add_co_ci_u32_e64 v45, null, v127, v30, vcc_lo
	v_add_nc_u32_e32 v30, s8, v26
	v_lshlrev_b64 v[26:27], 4, v[26:27]
	global_load_dwordx4 v[136:139], v[32:33], off
	buffer_store_dword v46, off, s[0:3], 0 offset:1224 ; 4-byte Folded Spill
	buffer_store_dword v47, off, s[0:3], 0 offset:1228 ; 4-byte Folded Spill
	v_ashrrev_i32_e32 v32, 31, v31
	v_lshlrev_b64 v[28:29], 4, v[31:32]
	v_ashrrev_i32_e32 v31, 31, v30
	v_add_co_u32 v32, vcc_lo, v126, v28
	v_add_co_ci_u32_e64 v33, null, v127, v29, vcc_lo
	v_add_co_u32 v26, vcc_lo, v126, v26
	v_add_co_ci_u32_e64 v27, null, v127, v27, vcc_lo
	v_lshlrev_b64 v[28:29], 4, v[30:31]
	v_add_nc_u32_e32 v30, s8, v30
	v_add_co_u32 v28, vcc_lo, v126, v28
	v_add_co_ci_u32_e64 v29, null, v127, v29, vcc_lo
	v_ashrrev_i32_e32 v31, 31, v30
	global_load_dwordx4 v[140:143], v[46:47], off
	buffer_store_dword v42, off, s[0:3], 0 offset:1232 ; 4-byte Folded Spill
	buffer_store_dword v43, off, s[0:3], 0 offset:1236 ; 4-byte Folded Spill
	global_load_dwordx4 v[144:147], v[42:43], off
	buffer_store_dword v44, off, s[0:3], 0 offset:1240 ; 4-byte Folded Spill
	buffer_store_dword v45, off, s[0:3], 0 offset:1244 ; 4-byte Folded Spill
	;; [unrolled: 3-line block ×4, first 2 shown]
	v_add_nc_u32_e32 v32, s8, v30
	v_lshlrev_b64 v[30:31], 4, v[30:31]
	v_ashrrev_i32_e32 v33, 31, v32
	v_add_nc_u32_e32 v42, s8, v32
	v_add_co_u32 v30, vcc_lo, v126, v30
	v_add_co_ci_u32_e64 v31, null, v127, v31, vcc_lo
	v_lshlrev_b64 v[46:47], 4, v[32:33]
	v_ashrrev_i32_e32 v43, 31, v42
	v_add_nc_u32_e32 v44, s8, v42
	v_add_co_u32 v46, vcc_lo, v126, v46
	v_add_co_ci_u32_e64 v47, null, v127, v47, vcc_lo
	v_lshlrev_b64 v[42:43], 4, v[42:43]
	v_add_nc_u32_e32 v48, s8, v44
	v_ashrrev_i32_e32 v45, 31, v44
	v_add_co_u32 v42, vcc_lo, v126, v42
	v_ashrrev_i32_e32 v49, 31, v48
	v_add_co_ci_u32_e64 v43, null, v127, v43, vcc_lo
	v_add_nc_u32_e32 v60, s8, v48
	v_lshlrev_b64 v[58:59], 4, v[44:45]
	v_lshlrev_b64 v[66:67], 4, v[48:49]
	v_ashrrev_i32_e32 v61, 31, v60
	v_add_nc_u32_e32 v68, s8, v60
	v_add_co_u32 v58, vcc_lo, v126, v58
	v_add_co_ci_u32_e64 v59, null, v127, v59, vcc_lo
	v_lshlrev_b64 v[114:115], 4, v[60:61]
	v_add_co_u32 v60, vcc_lo, v126, v66
	v_ashrrev_i32_e32 v69, 31, v68
	v_add_co_ci_u32_e64 v61, null, v127, v67, vcc_lo
	v_add_nc_u32_e32 v116, s8, v68
	v_add_co_u32 v168, vcc_lo, v126, v114
	v_lshlrev_b64 v[160:161], 4, v[68:69]
	v_add_co_ci_u32_e64 v169, null, v127, v115, vcc_lo
	v_ashrrev_i32_e32 v117, 31, v116
	v_add_nc_u32_e32 v162, s8, v116
	v_add_co_u32 v170, vcc_lo, v126, v160
	v_lshlrev_b64 v[114:115], 4, v[116:117]
	v_add_co_ci_u32_e64 v171, null, v127, v161, vcc_lo
	v_ashrrev_i32_e32 v163, 31, v162
	v_add_nc_u32_e32 v164, s8, v162
	v_add_co_u32 v172, vcc_lo, v126, v114
	v_add_co_ci_u32_e64 v173, null, v127, v115, vcc_lo
	v_lshlrev_b64 v[160:161], 4, v[162:163]
	v_ashrrev_i32_e32 v165, 31, v164
	v_add_nc_u32_e32 v162, s8, v164
	v_lshlrev_b64 v[164:165], 4, v[164:165]
	v_ashrrev_i32_e32 v163, 31, v162
	global_load_dwordx4 v[156:159], v[26:27], off
	buffer_store_dword v28, off, s[0:3], 0 offset:1264 ; 4-byte Folded Spill
	buffer_store_dword v29, off, s[0:3], 0 offset:1268 ; 4-byte Folded Spill
	global_load_dwordx4 v[26:29], v[28:29], off
	buffer_store_dword v30, off, s[0:3], 0 offset:1272 ; 4-byte Folded Spill
	buffer_store_dword v31, off, s[0:3], 0 offset:1276 ; 4-byte Folded Spill
	;; [unrolled: 3-line block ×6, first 2 shown]
	global_load_dwordx4 v[58:61], v[60:61], off
	s_waitcnt vmcnt(34)
	buffer_store_dword v25, off, s[0:3], 0 offset:12
	buffer_store_dword v24, off, s[0:3], 0 offset:8
	;; [unrolled: 1-line block ×3, first 2 shown]
	buffer_store_dword v22, off, s[0:3], 0
	buffer_store_dword v168, off, s[0:3], 0 offset:1312 ; 4-byte Folded Spill
	buffer_store_dword v169, off, s[0:3], 0 offset:1316 ; 4-byte Folded Spill
	global_load_dwordx4 v[114:117], v[168:169], off
	buffer_store_dword v170, off, s[0:3], 0 offset:1320 ; 4-byte Folded Spill
	buffer_store_dword v171, off, s[0:3], 0 offset:1324 ; 4-byte Folded Spill
	v_add_co_u32 v168, vcc_lo, v126, v160
	v_add_co_ci_u32_e64 v169, null, v127, v161, vcc_lo
	v_add_co_u32 v164, vcc_lo, v126, v164
	v_add_co_ci_u32_e64 v165, null, v127, v165, vcc_lo
	global_load_dwordx4 v[22:25], v[170:171], off
	buffer_store_dword v21, off, s[0:3], 0 offset:44
	buffer_store_dword v20, off, s[0:3], 0 offset:40
	;; [unrolled: 1-line block ×12, first 2 shown]
	buffer_store_dword v172, off, s[0:3], 0 offset:1328 ; 4-byte Folded Spill
	buffer_store_dword v173, off, s[0:3], 0 offset:1332 ; 4-byte Folded Spill
	v_lshlrev_b64 v[20:21], 4, v[162:163]
	v_add_nc_u32_e32 v18, s8, v162
	v_ashrrev_i32_e32 v19, 31, v18
	v_add_nc_u32_e32 v160, s8, v18
	v_lshlrev_b64 v[18:19], 4, v[18:19]
	v_ashrrev_i32_e32 v161, 31, v160
	v_add_nc_u32_e32 v162, s8, v160
	v_ashrrev_i32_e32 v163, 31, v162
	global_load_dwordx4 v[14:17], v[172:173], off
	buffer_store_dword v168, off, s[0:3], 0 offset:1336 ; 4-byte Folded Spill
	buffer_store_dword v169, off, s[0:3], 0 offset:1340 ; 4-byte Folded Spill
	global_load_dwordx4 v[6:9], v[168:169], off
	s_waitcnt vmcnt(37)
	buffer_store_dword v13, off, s[0:3], 0 offset:92
	buffer_store_dword v12, off, s[0:3], 0 offset:88
	buffer_store_dword v11, off, s[0:3], 0 offset:84
	buffer_store_dword v10, off, s[0:3], 0 offset:80
	s_waitcnt vmcnt(36)
	buffer_store_dword v5, off, s[0:3], 0 offset:28
	buffer_store_dword v4, off, s[0:3], 0 offset:24
	buffer_store_dword v3, off, s[0:3], 0 offset:20
	buffer_store_dword v2, off, s[0:3], 0 offset:16
	;; [unrolled: 5-line block ×28, first 2 shown]
	s_waitcnt vmcnt(9)
	buffer_store_dword v29, off, s[0:3], 0 offset:524
	buffer_store_dword v164, off, s[0:3], 0 offset:1344 ; 4-byte Folded Spill
	buffer_store_dword v165, off, s[0:3], 0 offset:1348 ; 4-byte Folded Spill
	v_add_co_u32 v12, vcc_lo, v126, v20
	v_add_co_ci_u32_e64 v13, null, v127, v21, vcc_lo
	v_lshlrev_b64 v[10:11], 4, v[160:161]
	v_add_co_u32 v18, vcc_lo, v126, v18
	v_add_co_ci_u32_e64 v19, null, v127, v19, vcc_lo
	v_lshlrev_b64 v[38:39], 4, v[162:163]
	v_add_co_u32 v168, vcc_lo, v126, v10
	v_add_co_ci_u32_e64 v169, null, v127, v11, vcc_lo
	v_add_nc_u32_e32 v160, s8, v162
	v_add_co_u32 v38, vcc_lo, v126, v38
	v_add_co_ci_u32_e64 v39, null, v127, v39, vcc_lo
	v_ashrrev_i32_e32 v161, 31, v160
	v_add_nc_u32_e32 v50, s8, v160
	v_lshlrev_b64 v[40:41], 4, v[160:161]
	v_ashrrev_i32_e32 v51, 31, v50
	v_add_nc_u32_e32 v54, s8, v50
	v_add_co_u32 v52, vcc_lo, v126, v40
	v_add_co_ci_u32_e64 v53, null, v127, v41, vcc_lo
	v_lshlrev_b64 v[62:63], 4, v[50:51]
	v_add_nc_u32_e32 v56, s8, v54
	v_ashrrev_i32_e32 v55, 31, v54
	v_add_co_u32 v62, vcc_lo, v126, v62
	v_add_co_ci_u32_e64 v63, null, v127, v63, vcc_lo
	v_add_nc_u32_e32 v64, s8, v56
	v_lshlrev_b64 v[54:55], 4, v[54:55]
	v_ashrrev_i32_e32 v57, 31, v56
	v_ashrrev_i32_e32 v65, 31, v64
	v_add_nc_u32_e32 v70, s8, v64
	v_lshlrev_b64 v[56:57], 4, v[56:57]
	v_add_co_u32 v72, vcc_lo, v126, v54
	v_add_co_ci_u32_e64 v73, null, v127, v55, vcc_lo
	v_lshlrev_b64 v[54:55], 4, v[64:65]
	v_add_co_u32 v74, vcc_lo, v126, v56
	v_add_co_ci_u32_e64 v75, null, v127, v57, vcc_lo
	v_ashrrev_i32_e32 v71, 31, v70
	v_add_co_u32 v76, vcc_lo, v126, v54
	v_add_co_ci_u32_e64 v77, null, v127, v55, vcc_lo
	v_add_nc_u32_e32 v78, s8, v70
	v_lshlrev_b64 v[80:81], 4, v[70:71]
	v_ashrrev_i32_e32 v79, 31, v78
	v_add_co_u32 v80, vcc_lo, v126, v80
	v_add_co_ci_u32_e64 v81, null, v127, v81, vcc_lo
	v_lshlrev_b64 v[82:83], 4, v[78:79]
	v_add_nc_u32_e32 v78, s8, v78
	v_add_co_u32 v82, vcc_lo, v126, v82
	v_ashrrev_i32_e32 v79, 31, v78
	v_add_co_ci_u32_e64 v83, null, v127, v83, vcc_lo
	v_add_nc_u32_e32 v86, s8, v78
	v_lshlrev_b64 v[90:91], 4, v[78:79]
	v_add_nc_u32_e32 v88, s8, v86
	v_ashrrev_i32_e32 v87, 31, v86
	v_add_co_u32 v90, vcc_lo, v126, v90
	v_add_co_ci_u32_e64 v91, null, v127, v91, vcc_lo
	v_add_nc_u32_e32 v92, s8, v88
	v_lshlrev_b64 v[86:87], 4, v[86:87]
	v_ashrrev_i32_e32 v89, 31, v88
	v_ashrrev_i32_e32 v93, 31, v92
	v_add_nc_u32_e32 v94, s8, v92
	v_lshlrev_b64 v[88:89], 4, v[88:89]
	v_add_co_u32 v96, vcc_lo, v126, v86
	v_add_co_ci_u32_e64 v97, null, v127, v87, vcc_lo
	v_lshlrev_b64 v[86:87], 4, v[92:93]
	v_add_co_u32 v98, vcc_lo, v126, v88
	v_add_co_ci_u32_e64 v99, null, v127, v89, vcc_lo
	v_ashrrev_i32_e32 v95, 31, v94
	v_add_co_u32 v100, vcc_lo, v126, v86
	v_add_co_ci_u32_e64 v101, null, v127, v87, vcc_lo
	v_add_nc_u32_e32 v102, s8, v94
	v_lshlrev_b64 v[104:105], 4, v[94:95]
	v_ashrrev_i32_e32 v103, 31, v102
	v_add_co_u32 v104, vcc_lo, v126, v104
	v_add_co_ci_u32_e64 v105, null, v127, v105, vcc_lo
	v_lshlrev_b64 v[106:107], 4, v[102:103]
	v_add_nc_u32_e32 v102, s8, v102
	v_add_co_u32 v106, vcc_lo, v126, v106
	v_ashrrev_i32_e32 v103, 31, v102
	v_add_co_ci_u32_e64 v107, null, v127, v107, vcc_lo
	v_add_nc_u32_e32 v110, s8, v102
	v_lshlrev_b64 v[118:119], 4, v[102:103]
	v_ashrrev_i32_e32 v111, 31, v110
	v_add_nc_u32_e32 v112, s8, v110
	s_movk_i32 s8, 0x3c0
	v_add_co_u32 v120, vcc_lo, v126, v118
	v_add_co_ci_u32_e64 v121, null, v127, v119, vcc_lo
	v_lshlrev_b64 v[110:111], 4, v[110:111]
	v_ashrrev_i32_e32 v113, 31, v112
	v_add_co_u32 v124, vcc_lo, v126, v110
	v_add_co_ci_u32_e64 v125, null, v127, v111, vcc_lo
	v_lshlrev_b64 v[118:119], 4, v[112:113]
	v_add_co_u32 v122, vcc_lo, v126, v118
	v_add_co_ci_u32_e64 v123, null, v127, v119, vcc_lo
	global_load_dwordx4 v[2:5], v[164:165], off
	buffer_store_dword v12, off, s[0:3], 0 offset:1352 ; 4-byte Folded Spill
	buffer_store_dword v13, off, s[0:3], 0 offset:1356 ; 4-byte Folded Spill
	global_load_dwordx4 v[10:13], v[12:13], off
	buffer_store_dword v18, off, s[0:3], 0 offset:1360 ; 4-byte Folded Spill
	buffer_store_dword v19, off, s[0:3], 0 offset:1364 ; 4-byte Folded Spill
	;; [unrolled: 3-line block ×19, first 2 shown]
	global_load_dwordx4 v[118:121], v[124:125], off
	buffer_store_dword v28, off, s[0:3], 0 offset:520
	buffer_store_dword v27, off, s[0:3], 0 offset:516
	buffer_store_dword v26, off, s[0:3], 0 offset:512
	buffer_store_dword v122, off, s[0:3], 0 offset:1496 ; 4-byte Folded Spill
	buffer_store_dword v123, off, s[0:3], 0 offset:1500 ; 4-byte Folded Spill
	global_load_dwordx4 v[26:29], v[122:123], off
	s_waitcnt vmcnt(29)
	buffer_store_dword v33, off, s[0:3], 0 offset:540
	buffer_store_dword v32, off, s[0:3], 0 offset:536
	buffer_store_dword v31, off, s[0:3], 0 offset:532
	buffer_store_dword v30, off, s[0:3], 0 offset:528
	s_waitcnt vmcnt(28)
	buffer_store_dword v49, off, s[0:3], 0 offset:556
	buffer_store_dword v48, off, s[0:3], 0 offset:552
	buffer_store_dword v47, off, s[0:3], 0 offset:548
	buffer_store_dword v46, off, s[0:3], 0 offset:544
	;; [unrolled: 5-line block ×29, first 2 shown]
	s_waitcnt vmcnt(0)
	buffer_store_dword v29, off, s[0:3], 0 offset:1004
	buffer_store_dword v28, off, s[0:3], 0 offset:1000
	;; [unrolled: 1-line block ×3, first 2 shown]
	v_lshlrev_b32_e32 v2, 4, v1
	v_add3_u32 v255, 0, s4, v2
	v_cmp_eq_u32_e64 s4, 0, v0
	buffer_store_dword v26, off, s[0:3], 0 offset:992
	s_and_saveexec_b32 s45, s4
	s_cbranch_execz .LBB125_10
; %bb.2:
	global_load_dwordx4 v[2:5], v[166:167], off
	s_mov_b32 s6, 16
	s_waitcnt vmcnt(0)
	ds_write2_b64 v255, v[2:3], v[4:5] offset1:1
	.p2align	6
.LBB125_3:                              ; =>This Inner Loop Header: Depth=1
	v_mov_b32_e32 v9, s6
	v_add_nc_u32_e32 v10, s6, v249
	s_add_i32 s6, s6, 32
	s_clause 0x7
	buffer_load_dword v2, v9, s[0:3], 0 offen
	buffer_load_dword v3, v9, s[0:3], 0 offen offset:4
	buffer_load_dword v4, v9, s[0:3], 0 offen offset:8
	;; [unrolled: 1-line block ×7, first 2 shown]
	s_cmpk_eq_i32 s6, 0x3f0
	s_waitcnt vmcnt(4)
	ds_write2_b64 v10, v[2:3], v[4:5] offset1:1
	s_waitcnt vmcnt(0)
	ds_write2_b64 v10, v[6:7], v[8:9] offset0:2 offset1:3
	s_cbranch_scc0 .LBB125_3
; %bb.4:
	ds_read2_b64 v[2:5], v255 offset1:1
	s_waitcnt lgkmcnt(0)
	v_cmp_neq_f64_e32 vcc_lo, 0, v[2:3]
	v_cmp_neq_f64_e64 s6, 0, v[4:5]
	s_or_b32 s6, vcc_lo, s6
	s_and_b32 exec_lo, exec_lo, s6
	s_cbranch_execz .LBB125_10
; %bb.5:
	v_cmp_ngt_f64_e64 s6, |v[2:3]|, |v[4:5]|
                                        ; implicit-def: $vgpr6_vgpr7
	s_and_saveexec_b32 s46, s6
	s_xor_b32 s6, exec_lo, s46
                                        ; implicit-def: $vgpr8_vgpr9
	s_cbranch_execz .LBB125_7
; %bb.6:
	v_div_scale_f64 v[6:7], null, v[4:5], v[4:5], v[2:3]
	v_div_scale_f64 v[12:13], vcc_lo, v[2:3], v[4:5], v[2:3]
	v_rcp_f64_e32 v[8:9], v[6:7]
	v_fma_f64 v[10:11], -v[6:7], v[8:9], 1.0
	v_fma_f64 v[8:9], v[8:9], v[10:11], v[8:9]
	v_fma_f64 v[10:11], -v[6:7], v[8:9], 1.0
	v_fma_f64 v[8:9], v[8:9], v[10:11], v[8:9]
	v_mul_f64 v[10:11], v[12:13], v[8:9]
	v_fma_f64 v[6:7], -v[6:7], v[10:11], v[12:13]
	v_div_fmas_f64 v[6:7], v[6:7], v[8:9], v[10:11]
	v_div_fixup_f64 v[6:7], v[6:7], v[4:5], v[2:3]
	v_fma_f64 v[2:3], v[2:3], v[6:7], v[4:5]
	v_div_scale_f64 v[4:5], null, v[2:3], v[2:3], 1.0
	v_rcp_f64_e32 v[8:9], v[4:5]
	v_fma_f64 v[10:11], -v[4:5], v[8:9], 1.0
	v_fma_f64 v[8:9], v[8:9], v[10:11], v[8:9]
	v_fma_f64 v[10:11], -v[4:5], v[8:9], 1.0
	v_fma_f64 v[8:9], v[8:9], v[10:11], v[8:9]
	v_div_scale_f64 v[10:11], vcc_lo, 1.0, v[2:3], 1.0
	v_mul_f64 v[12:13], v[10:11], v[8:9]
	v_fma_f64 v[4:5], -v[4:5], v[12:13], v[10:11]
	v_div_fmas_f64 v[4:5], v[4:5], v[8:9], v[12:13]
	v_div_fixup_f64 v[8:9], v[4:5], v[2:3], 1.0
                                        ; implicit-def: $vgpr2_vgpr3
	v_mul_f64 v[6:7], v[6:7], v[8:9]
	v_xor_b32_e32 v9, 0x80000000, v9
.LBB125_7:
	s_andn2_saveexec_b32 s6, s6
	s_cbranch_execz .LBB125_9
; %bb.8:
	v_div_scale_f64 v[6:7], null, v[2:3], v[2:3], v[4:5]
	v_div_scale_f64 v[12:13], vcc_lo, v[4:5], v[2:3], v[4:5]
	v_rcp_f64_e32 v[8:9], v[6:7]
	v_fma_f64 v[10:11], -v[6:7], v[8:9], 1.0
	v_fma_f64 v[8:9], v[8:9], v[10:11], v[8:9]
	v_fma_f64 v[10:11], -v[6:7], v[8:9], 1.0
	v_fma_f64 v[8:9], v[8:9], v[10:11], v[8:9]
	v_mul_f64 v[10:11], v[12:13], v[8:9]
	v_fma_f64 v[6:7], -v[6:7], v[10:11], v[12:13]
	v_div_fmas_f64 v[6:7], v[6:7], v[8:9], v[10:11]
	v_div_fixup_f64 v[8:9], v[6:7], v[2:3], v[4:5]
	v_fma_f64 v[2:3], v[4:5], v[8:9], v[2:3]
	v_div_scale_f64 v[4:5], null, v[2:3], v[2:3], 1.0
	v_rcp_f64_e32 v[6:7], v[4:5]
	v_fma_f64 v[10:11], -v[4:5], v[6:7], 1.0
	v_fma_f64 v[6:7], v[6:7], v[10:11], v[6:7]
	v_fma_f64 v[10:11], -v[4:5], v[6:7], 1.0
	v_fma_f64 v[6:7], v[6:7], v[10:11], v[6:7]
	v_div_scale_f64 v[10:11], vcc_lo, 1.0, v[2:3], 1.0
	v_mul_f64 v[12:13], v[10:11], v[6:7]
	v_fma_f64 v[4:5], -v[4:5], v[12:13], v[10:11]
	v_div_fmas_f64 v[4:5], v[4:5], v[6:7], v[12:13]
	v_div_fixup_f64 v[6:7], v[4:5], v[2:3], 1.0
	v_mul_f64 v[8:9], v[8:9], -v[6:7]
.LBB125_9:
	s_or_b32 exec_lo, exec_lo, s6
	ds_write2_b64 v255, v[6:7], v[8:9] offset1:1
.LBB125_10:
	s_or_b32 exec_lo, exec_lo, s45
	s_waitcnt lgkmcnt(0)
	s_waitcnt_vscnt null, 0x0
	s_barrier
	buffer_gl0_inv
	ds_read2_b64 v[65:68], v255 offset1:1
	v_mul_u32_u24_e32 v185, 0x3f0, v1
	s_mov_b32 s77, 16
	s_mov_b32 s76, 32
	;; [unrolled: 1-line block ×62, first 2 shown]
	s_and_saveexec_b32 s6, s5
	s_cbranch_execz .LBB125_13
; %bb.11:
	s_clause 0x3
	buffer_load_dword v1, off, s[0:3], 0 offset:8
	buffer_load_dword v2, off, s[0:3], 0 offset:12
	buffer_load_dword v3, off, s[0:3], 0
	buffer_load_dword v4, off, s[0:3], 0 offset:4
	s_mov_b32 s5, 16
	s_waitcnt vmcnt(2) lgkmcnt(0)
	v_mul_f64 v[5:6], v[67:68], v[1:2]
	v_mul_f64 v[1:2], v[65:66], v[1:2]
	s_waitcnt vmcnt(0)
	v_fma_f64 v[5:6], v[65:66], v[3:4], -v[5:6]
	v_fma_f64 v[7:8], v[67:68], v[3:4], v[1:2]
	buffer_store_dword v5, off, s[0:3], 0
	buffer_store_dword v6, off, s[0:3], 0 offset:4
	buffer_store_dword v7, off, s[0:3], 0 offset:8
	buffer_store_dword v8, off, s[0:3], 0 offset:12
.LBB125_12:                             ; =>This Inner Loop Header: Depth=1
	v_mov_b32_e32 v29, s5
	v_add_nc_u32_e32 v9, s5, v249
	s_add_i32 s5, s5, 32
	s_clause 0x7
	buffer_load_dword v13, v29, s[0:3], 0 offen
	buffer_load_dword v14, v29, s[0:3], 0 offen offset:4
	buffer_load_dword v15, v29, s[0:3], 0 offen offset:8
	;; [unrolled: 1-line block ×7, first 2 shown]
	ds_read2_b64 v[1:4], v9 offset1:1
	ds_read2_b64 v[9:12], v9 offset0:2 offset1:3
	s_cmpk_lg_i32 s5, 0x3f0
	s_waitcnt lgkmcnt(1)
	v_mul_f64 v[21:22], v[3:4], v[7:8]
	v_mul_f64 v[23:24], v[1:2], v[7:8]
	s_waitcnt lgkmcnt(0)
	v_mul_f64 v[25:26], v[11:12], v[7:8]
	v_mul_f64 v[27:28], v[9:10], v[7:8]
	v_fma_f64 v[1:2], v[1:2], v[5:6], -v[21:22]
	v_fma_f64 v[3:4], v[3:4], v[5:6], v[23:24]
	v_fma_f64 v[9:10], v[9:10], v[5:6], -v[25:26]
	v_fma_f64 v[11:12], v[11:12], v[5:6], v[27:28]
	s_waitcnt vmcnt(6)
	v_add_f64 v[1:2], v[13:14], -v[1:2]
	s_waitcnt vmcnt(4)
	v_add_f64 v[3:4], v[15:16], -v[3:4]
	s_waitcnt vmcnt(2)
	v_add_f64 v[9:10], v[17:18], -v[9:10]
	s_waitcnt vmcnt(0)
	v_add_f64 v[11:12], v[19:20], -v[11:12]
	buffer_store_dword v1, v29, s[0:3], 0 offen
	buffer_store_dword v2, v29, s[0:3], 0 offen offset:4
	buffer_store_dword v3, v29, s[0:3], 0 offen offset:8
	;; [unrolled: 1-line block ×7, first 2 shown]
	s_cbranch_scc1 .LBB125_12
.LBB125_13:
	s_or_b32 exec_lo, exec_lo, s6
	s_mov_b32 s6, exec_lo
	s_waitcnt lgkmcnt(0)
	s_waitcnt_vscnt null, 0x0
	s_barrier
	buffer_gl0_inv
	v_cmpx_eq_u32_e32 1, v0
	s_cbranch_execz .LBB125_24
; %bb.14:
	v_mov_b32_e32 v4, s77
	s_mov_b32 s5, 32
	s_clause 0x3
	buffer_load_dword v1, v4, s[0:3], 0 offen
	buffer_load_dword v2, v4, s[0:3], 0 offen offset:4
	buffer_load_dword v3, v4, s[0:3], 0 offen offset:8
	;; [unrolled: 1-line block ×3, first 2 shown]
	s_waitcnt vmcnt(0)
	ds_write2_b64 v255, v[1:2], v[3:4] offset1:1
	s_branch .LBB125_16
.LBB125_15:                             ;   in Loop: Header=BB125_16 Depth=1
	s_andn2_b32 vcc_lo, exec_lo, s8
	s_cbranch_vccz .LBB125_18
.LBB125_16:                             ; =>This Inner Loop Header: Depth=1
	v_mov_b32_e32 v1, s5
	s_mov_b32 s7, s5
	s_mov_b32 s8, -1
	s_cmpk_eq_i32 s5, 0x3a0
	s_clause 0x13
	buffer_load_dword v2, v1, s[0:3], 0 offen
	buffer_load_dword v3, v1, s[0:3], 0 offen offset:4
	buffer_load_dword v4, v1, s[0:3], 0 offen offset:8
	;; [unrolled: 1-line block ×19, first 2 shown]
	v_add_nc_u32_e32 v1, s5, v249
	s_waitcnt vmcnt(16)
	ds_write2_b64 v1, v[2:3], v[4:5] offset1:1
	s_waitcnt vmcnt(12)
	ds_write2_b64 v1, v[6:7], v[8:9] offset0:2 offset1:3
	s_waitcnt vmcnt(8)
	ds_write2_b64 v1, v[10:11], v[12:13] offset0:4 offset1:5
	;; [unrolled: 2-line block ×4, first 2 shown]
	s_cbranch_scc1 .LBB125_15
; %bb.17:                               ;   in Loop: Header=BB125_16 Depth=1
	v_mov_b32_e32 v13, s7
	s_addk_i32 s5, 0x80
	s_mov_b32 s8, 0
	s_clause 0xb
	buffer_load_dword v2, v13, s[0:3], 0 offen offset:80
	buffer_load_dword v3, v13, s[0:3], 0 offen offset:84
	;; [unrolled: 1-line block ×12, first 2 shown]
	s_waitcnt vmcnt(8)
	ds_write2_b64 v1, v[2:3], v[4:5] offset0:10 offset1:11
	s_waitcnt vmcnt(4)
	ds_write2_b64 v1, v[6:7], v[8:9] offset0:12 offset1:13
	;; [unrolled: 2-line block ×3, first 2 shown]
	s_branch .LBB125_15
.LBB125_18:
	ds_read2_b64 v[5:8], v255 offset1:1
	s_waitcnt lgkmcnt(0)
	v_cmp_neq_f64_e32 vcc_lo, 0, v[5:6]
	v_cmp_neq_f64_e64 s5, 0, v[7:8]
	s_or_b32 s5, vcc_lo, s5
	s_and_b32 exec_lo, exec_lo, s5
	s_cbranch_execz .LBB125_24
; %bb.19:
	v_cmp_ngt_f64_e64 s5, |v[5:6]|, |v[7:8]|
                                        ; implicit-def: $vgpr1_vgpr2
	s_and_saveexec_b32 s7, s5
	s_xor_b32 s5, exec_lo, s7
                                        ; implicit-def: $vgpr3_vgpr4
	s_cbranch_execz .LBB125_21
; %bb.20:
	v_div_scale_f64 v[1:2], null, v[7:8], v[7:8], v[5:6]
	v_div_scale_f64 v[11:12], vcc_lo, v[5:6], v[7:8], v[5:6]
	v_rcp_f64_e32 v[3:4], v[1:2]
	v_fma_f64 v[9:10], -v[1:2], v[3:4], 1.0
	v_fma_f64 v[3:4], v[3:4], v[9:10], v[3:4]
	v_fma_f64 v[9:10], -v[1:2], v[3:4], 1.0
	v_fma_f64 v[3:4], v[3:4], v[9:10], v[3:4]
	v_mul_f64 v[9:10], v[11:12], v[3:4]
	v_fma_f64 v[1:2], -v[1:2], v[9:10], v[11:12]
	v_div_fmas_f64 v[1:2], v[1:2], v[3:4], v[9:10]
	v_div_fixup_f64 v[1:2], v[1:2], v[7:8], v[5:6]
	v_fma_f64 v[3:4], v[5:6], v[1:2], v[7:8]
	v_div_scale_f64 v[5:6], null, v[3:4], v[3:4], 1.0
	v_rcp_f64_e32 v[7:8], v[5:6]
	v_fma_f64 v[9:10], -v[5:6], v[7:8], 1.0
	v_fma_f64 v[7:8], v[7:8], v[9:10], v[7:8]
	v_fma_f64 v[9:10], -v[5:6], v[7:8], 1.0
	v_fma_f64 v[7:8], v[7:8], v[9:10], v[7:8]
	v_div_scale_f64 v[9:10], vcc_lo, 1.0, v[3:4], 1.0
	v_mul_f64 v[11:12], v[9:10], v[7:8]
	v_fma_f64 v[5:6], -v[5:6], v[11:12], v[9:10]
	v_div_fmas_f64 v[5:6], v[5:6], v[7:8], v[11:12]
	v_div_fixup_f64 v[3:4], v[5:6], v[3:4], 1.0
                                        ; implicit-def: $vgpr5_vgpr6
	v_mul_f64 v[1:2], v[1:2], v[3:4]
	v_xor_b32_e32 v4, 0x80000000, v4
.LBB125_21:
	s_andn2_saveexec_b32 s5, s5
	s_cbranch_execz .LBB125_23
; %bb.22:
	v_div_scale_f64 v[1:2], null, v[5:6], v[5:6], v[7:8]
	v_div_scale_f64 v[11:12], vcc_lo, v[7:8], v[5:6], v[7:8]
	v_rcp_f64_e32 v[3:4], v[1:2]
	v_fma_f64 v[9:10], -v[1:2], v[3:4], 1.0
	v_fma_f64 v[3:4], v[3:4], v[9:10], v[3:4]
	v_fma_f64 v[9:10], -v[1:2], v[3:4], 1.0
	v_fma_f64 v[3:4], v[3:4], v[9:10], v[3:4]
	v_mul_f64 v[9:10], v[11:12], v[3:4]
	v_fma_f64 v[1:2], -v[1:2], v[9:10], v[11:12]
	v_div_fmas_f64 v[1:2], v[1:2], v[3:4], v[9:10]
	v_div_fixup_f64 v[3:4], v[1:2], v[5:6], v[7:8]
	v_fma_f64 v[1:2], v[7:8], v[3:4], v[5:6]
	v_div_scale_f64 v[5:6], null, v[1:2], v[1:2], 1.0
	v_rcp_f64_e32 v[7:8], v[5:6]
	v_fma_f64 v[9:10], -v[5:6], v[7:8], 1.0
	v_fma_f64 v[7:8], v[7:8], v[9:10], v[7:8]
	v_fma_f64 v[9:10], -v[5:6], v[7:8], 1.0
	v_fma_f64 v[7:8], v[7:8], v[9:10], v[7:8]
	v_div_scale_f64 v[9:10], vcc_lo, 1.0, v[1:2], 1.0
	v_mul_f64 v[11:12], v[9:10], v[7:8]
	v_fma_f64 v[5:6], -v[5:6], v[11:12], v[9:10]
	v_div_fmas_f64 v[5:6], v[5:6], v[7:8], v[11:12]
	v_div_fixup_f64 v[1:2], v[5:6], v[1:2], 1.0
	v_mul_f64 v[3:4], v[3:4], -v[1:2]
.LBB125_23:
	s_or_b32 exec_lo, exec_lo, s5
	ds_write2_b64 v255, v[1:2], v[3:4] offset1:1
.LBB125_24:
	s_or_b32 exec_lo, exec_lo, s6
	s_waitcnt lgkmcnt(0)
	s_barrier
	buffer_gl0_inv
	ds_read2_b64 v[69:72], v255 offset1:1
	s_mov_b32 s5, exec_lo
	v_cmpx_lt_u32_e32 1, v0
	s_cbranch_execz .LBB125_29
; %bb.25:
	s_clause 0x3
	buffer_load_dword v1, off, s[0:3], 0 offset:24
	buffer_load_dword v2, off, s[0:3], 0 offset:28
	;; [unrolled: 1-line block ×4, first 2 shown]
	s_mov_b32 s6, 32
	s_waitcnt vmcnt(2) lgkmcnt(0)
	v_mul_f64 v[9:10], v[71:72], v[1:2]
	v_mul_f64 v[1:2], v[69:70], v[1:2]
	s_waitcnt vmcnt(0)
	v_fma_f64 v[9:10], v[69:70], v[3:4], -v[9:10]
	v_fma_f64 v[11:12], v[71:72], v[3:4], v[1:2]
	buffer_store_dword v9, off, s[0:3], 0 offset:16
	buffer_store_dword v10, off, s[0:3], 0 offset:20
	;; [unrolled: 1-line block ×4, first 2 shown]
	s_branch .LBB125_27
.LBB125_26:                             ;   in Loop: Header=BB125_27 Depth=1
	s_andn2_b32 vcc_lo, exec_lo, s8
	s_cbranch_vccz .LBB125_29
.LBB125_27:                             ; =>This Inner Loop Header: Depth=1
	v_mov_b32_e32 v4, s6
	v_add_nc_u32_e32 v1, s6, v249
	s_mov_b32 s7, s6
	s_mov_b32 s8, -1
	s_cmpk_eq_i32 s6, 0x3e0
	s_clause 0x3
	buffer_load_dword v2, v4, s[0:3], 0 offen
	buffer_load_dword v3, v4, s[0:3], 0 offen offset:4
	buffer_load_dword v17, v4, s[0:3], 0 offen offset:8
	;; [unrolled: 1-line block ×3, first 2 shown]
	ds_read2_b64 v[13:16], v1 offset1:1
	s_waitcnt lgkmcnt(0)
	v_mul_f64 v[19:20], v[15:16], v[11:12]
	v_mul_f64 v[21:22], v[13:14], v[11:12]
	v_fma_f64 v[13:14], v[13:14], v[9:10], -v[19:20]
	v_fma_f64 v[15:16], v[15:16], v[9:10], v[21:22]
	s_waitcnt vmcnt(2)
	v_add_f64 v[2:3], v[2:3], -v[13:14]
	s_waitcnt vmcnt(0)
	v_add_f64 v[13:14], v[17:18], -v[15:16]
	buffer_store_dword v2, v4, s[0:3], 0 offen
	buffer_store_dword v3, v4, s[0:3], 0 offen offset:4
	buffer_store_dword v13, v4, s[0:3], 0 offen offset:8
	buffer_store_dword v14, v4, s[0:3], 0 offen offset:12
	s_cbranch_scc1 .LBB125_26
; %bb.28:                               ;   in Loop: Header=BB125_27 Depth=1
	v_mov_b32_e32 v5, s7
	s_add_i32 s6, s6, 64
	s_mov_b32 s8, 0
	s_clause 0xb
	buffer_load_dword v21, v5, s[0:3], 0 offen offset:16
	buffer_load_dword v22, v5, s[0:3], 0 offen offset:20
	;; [unrolled: 1-line block ×12, first 2 shown]
	ds_read2_b64 v[13:16], v1 offset0:2 offset1:3
	ds_read2_b64 v[17:20], v1 offset0:4 offset1:5
	ds_read2_b64 v[1:4], v1 offset0:6 offset1:7
	s_waitcnt lgkmcnt(2)
	v_mul_f64 v[33:34], v[15:16], v[11:12]
	v_mul_f64 v[35:36], v[13:14], v[11:12]
	s_waitcnt lgkmcnt(1)
	v_mul_f64 v[37:38], v[19:20], v[11:12]
	v_mul_f64 v[39:40], v[17:18], v[11:12]
	;; [unrolled: 3-line block ×3, first 2 shown]
	v_fma_f64 v[13:14], v[13:14], v[9:10], -v[33:34]
	v_fma_f64 v[15:16], v[15:16], v[9:10], v[35:36]
	v_fma_f64 v[17:18], v[17:18], v[9:10], -v[37:38]
	v_fma_f64 v[19:20], v[19:20], v[9:10], v[39:40]
	;; [unrolled: 2-line block ×3, first 2 shown]
	s_waitcnt vmcnt(10)
	v_add_f64 v[13:14], v[21:22], -v[13:14]
	s_waitcnt vmcnt(8)
	v_add_f64 v[15:16], v[23:24], -v[15:16]
	;; [unrolled: 2-line block ×6, first 2 shown]
	buffer_store_dword v13, v5, s[0:3], 0 offen offset:16
	buffer_store_dword v14, v5, s[0:3], 0 offen offset:20
	;; [unrolled: 1-line block ×12, first 2 shown]
	s_branch .LBB125_26
.LBB125_29:
	s_or_b32 exec_lo, exec_lo, s5
	s_mov_b32 s6, exec_lo
	s_waitcnt lgkmcnt(0)
	s_waitcnt_vscnt null, 0x0
	s_barrier
	buffer_gl0_inv
	v_cmpx_eq_u32_e32 2, v0
	s_cbranch_execz .LBB125_38
; %bb.30:
	v_mov_b32_e32 v4, s76
	s_mov_b32 s5, 48
	s_clause 0x3
	buffer_load_dword v1, v4, s[0:3], 0 offen
	buffer_load_dword v2, v4, s[0:3], 0 offen offset:4
	buffer_load_dword v3, v4, s[0:3], 0 offen offset:8
	;; [unrolled: 1-line block ×3, first 2 shown]
	s_waitcnt vmcnt(0)
	ds_write2_b64 v255, v[1:2], v[3:4] offset1:1
.LBB125_31:                             ; =>This Inner Loop Header: Depth=1
	v_mov_b32_e32 v5, s5
	s_clause 0x3b
	buffer_load_dword v1, v5, s[0:3], 0 offen
	buffer_load_dword v2, v5, s[0:3], 0 offen offset:4
	buffer_load_dword v3, v5, s[0:3], 0 offen offset:8
	;; [unrolled: 1-line block ×59, first 2 shown]
	v_add_nc_u32_e32 v5, s5, v249
	s_addk_i32 s5, 0xf0
	s_waitcnt vmcnt(56)
	ds_write2_b64 v5, v[1:2], v[3:4] offset1:1
	s_waitcnt vmcnt(52)
	ds_write2_b64 v5, v[9:10], v[11:12] offset0:2 offset1:3
	s_waitcnt vmcnt(48)
	ds_write2_b64 v5, v[13:14], v[15:16] offset0:4 offset1:5
	;; [unrolled: 2-line block ×4, first 2 shown]
	ds_write2_b64 v5, v[25:26], v[23:24] offset0:10 offset1:11
	s_waitcnt vmcnt(28)
	ds_write2_b64 v5, v[35:36], v[29:30] offset0:12 offset1:13
	ds_write2_b64 v5, v[33:34], v[31:32] offset0:14 offset1:15
	s_waitcnt vmcnt(24)
	ds_write2_b64 v5, v[37:38], v[39:40] offset0:16 offset1:17
	s_waitcnt vmcnt(20)
	;; [unrolled: 2-line block ×7, first 2 shown]
	ds_write2_b64 v5, v[61:62], v[63:64] offset0:28 offset1:29
	s_cmpk_lg_i32 s5, 0x3f0
	s_cbranch_scc1 .LBB125_31
; %bb.32:
	ds_read2_b64 v[9:12], v255 offset1:1
	s_waitcnt lgkmcnt(0)
	v_cmp_neq_f64_e32 vcc_lo, 0, v[9:10]
	v_cmp_neq_f64_e64 s5, 0, v[11:12]
	s_or_b32 s5, vcc_lo, s5
	s_and_b32 exec_lo, exec_lo, s5
	s_cbranch_execz .LBB125_38
; %bb.33:
	v_cmp_ngt_f64_e64 s5, |v[9:10]|, |v[11:12]|
                                        ; implicit-def: $vgpr1_vgpr2
	s_and_saveexec_b32 s7, s5
	s_xor_b32 s5, exec_lo, s7
                                        ; implicit-def: $vgpr3_vgpr4
	s_cbranch_execz .LBB125_35
; %bb.34:
	v_div_scale_f64 v[1:2], null, v[11:12], v[11:12], v[9:10]
	v_div_scale_f64 v[15:16], vcc_lo, v[9:10], v[11:12], v[9:10]
	v_rcp_f64_e32 v[3:4], v[1:2]
	v_fma_f64 v[13:14], -v[1:2], v[3:4], 1.0
	v_fma_f64 v[3:4], v[3:4], v[13:14], v[3:4]
	v_fma_f64 v[13:14], -v[1:2], v[3:4], 1.0
	v_fma_f64 v[3:4], v[3:4], v[13:14], v[3:4]
	v_mul_f64 v[13:14], v[15:16], v[3:4]
	v_fma_f64 v[1:2], -v[1:2], v[13:14], v[15:16]
	v_div_fmas_f64 v[1:2], v[1:2], v[3:4], v[13:14]
	v_div_fixup_f64 v[1:2], v[1:2], v[11:12], v[9:10]
	v_fma_f64 v[3:4], v[9:10], v[1:2], v[11:12]
	v_div_scale_f64 v[9:10], null, v[3:4], v[3:4], 1.0
	v_rcp_f64_e32 v[11:12], v[9:10]
	v_fma_f64 v[13:14], -v[9:10], v[11:12], 1.0
	v_fma_f64 v[11:12], v[11:12], v[13:14], v[11:12]
	v_fma_f64 v[13:14], -v[9:10], v[11:12], 1.0
	v_fma_f64 v[11:12], v[11:12], v[13:14], v[11:12]
	v_div_scale_f64 v[13:14], vcc_lo, 1.0, v[3:4], 1.0
	v_mul_f64 v[15:16], v[13:14], v[11:12]
	v_fma_f64 v[9:10], -v[9:10], v[15:16], v[13:14]
	v_div_fmas_f64 v[9:10], v[9:10], v[11:12], v[15:16]
	v_div_fixup_f64 v[3:4], v[9:10], v[3:4], 1.0
                                        ; implicit-def: $vgpr9_vgpr10
	v_mul_f64 v[1:2], v[1:2], v[3:4]
	v_xor_b32_e32 v4, 0x80000000, v4
.LBB125_35:
	s_andn2_saveexec_b32 s5, s5
	s_cbranch_execz .LBB125_37
; %bb.36:
	v_div_scale_f64 v[1:2], null, v[9:10], v[9:10], v[11:12]
	v_div_scale_f64 v[15:16], vcc_lo, v[11:12], v[9:10], v[11:12]
	v_rcp_f64_e32 v[3:4], v[1:2]
	v_fma_f64 v[13:14], -v[1:2], v[3:4], 1.0
	v_fma_f64 v[3:4], v[3:4], v[13:14], v[3:4]
	v_fma_f64 v[13:14], -v[1:2], v[3:4], 1.0
	v_fma_f64 v[3:4], v[3:4], v[13:14], v[3:4]
	v_mul_f64 v[13:14], v[15:16], v[3:4]
	v_fma_f64 v[1:2], -v[1:2], v[13:14], v[15:16]
	v_div_fmas_f64 v[1:2], v[1:2], v[3:4], v[13:14]
	v_div_fixup_f64 v[3:4], v[1:2], v[9:10], v[11:12]
	v_fma_f64 v[1:2], v[11:12], v[3:4], v[9:10]
	v_div_scale_f64 v[9:10], null, v[1:2], v[1:2], 1.0
	v_rcp_f64_e32 v[11:12], v[9:10]
	v_fma_f64 v[13:14], -v[9:10], v[11:12], 1.0
	v_fma_f64 v[11:12], v[11:12], v[13:14], v[11:12]
	v_fma_f64 v[13:14], -v[9:10], v[11:12], 1.0
	v_fma_f64 v[11:12], v[11:12], v[13:14], v[11:12]
	v_div_scale_f64 v[13:14], vcc_lo, 1.0, v[1:2], 1.0
	v_mul_f64 v[15:16], v[13:14], v[11:12]
	v_fma_f64 v[9:10], -v[9:10], v[15:16], v[13:14]
	v_div_fmas_f64 v[9:10], v[9:10], v[11:12], v[15:16]
	v_div_fixup_f64 v[1:2], v[9:10], v[1:2], 1.0
	v_mul_f64 v[3:4], v[3:4], -v[1:2]
.LBB125_37:
	s_or_b32 exec_lo, exec_lo, s5
	ds_write2_b64 v255, v[1:2], v[3:4] offset1:1
.LBB125_38:
	s_or_b32 exec_lo, exec_lo, s6
	buffer_store_dword v69, off, s[0:3], 0 offset:1528 ; 4-byte Folded Spill
	buffer_store_dword v70, off, s[0:3], 0 offset:1532 ; 4-byte Folded Spill
	;; [unrolled: 1-line block ×8, first 2 shown]
	s_waitcnt lgkmcnt(0)
	s_waitcnt_vscnt null, 0x0
	s_barrier
	buffer_gl0_inv
	ds_read2_b64 v[7:10], v255 offset1:1
	s_mov_b32 s5, exec_lo
	v_cmpx_lt_u32_e32 2, v0
	s_cbranch_execz .LBB125_41
; %bb.39:
	s_clause 0x3
	buffer_load_dword v1, off, s[0:3], 0 offset:40
	buffer_load_dword v2, off, s[0:3], 0 offset:44
	buffer_load_dword v3, off, s[0:3], 0 offset:32
	buffer_load_dword v4, off, s[0:3], 0 offset:36
	s_mov_b32 s6, 48
	s_waitcnt vmcnt(2) lgkmcnt(0)
	v_mul_f64 v[13:14], v[9:10], v[1:2]
	v_mul_f64 v[1:2], v[7:8], v[1:2]
	s_waitcnt vmcnt(0)
	v_fma_f64 v[13:14], v[7:8], v[3:4], -v[13:14]
	v_fma_f64 v[15:16], v[9:10], v[3:4], v[1:2]
	buffer_store_dword v13, off, s[0:3], 0 offset:32
	buffer_store_dword v14, off, s[0:3], 0 offset:36
	;; [unrolled: 1-line block ×4, first 2 shown]
.LBB125_40:                             ; =>This Inner Loop Header: Depth=1
	v_mov_b32_e32 v5, s6
	v_add_nc_u32_e32 v6, s6, v249
	s_addk_i32 s6, 0x60
	s_clause 0x3
	buffer_load_dword v21, v5, s[0:3], 0 offen
	buffer_load_dword v22, v5, s[0:3], 0 offen offset:4
	buffer_load_dword v23, v5, s[0:3], 0 offen offset:8
	;; [unrolled: 1-line block ×3, first 2 shown]
	ds_read2_b64 v[1:4], v6 offset1:1
	s_clause 0x7
	buffer_load_dword v33, v5, s[0:3], 0 offen offset:16
	buffer_load_dword v35, v5, s[0:3], 0 offen offset:24
	buffer_load_dword v37, v5, s[0:3], 0 offen offset:32
	buffer_load_dword v39, v5, s[0:3], 0 offen offset:40
	buffer_load_dword v34, v5, s[0:3], 0 offen offset:20
	buffer_load_dword v36, v5, s[0:3], 0 offen offset:28
	buffer_load_dword v38, v5, s[0:3], 0 offen offset:36
	buffer_load_dword v40, v5, s[0:3], 0 offen offset:44
	ds_read2_b64 v[17:20], v6 offset0:2 offset1:3
	s_cmpk_lg_i32 s6, 0x3f0
	s_waitcnt lgkmcnt(1)
	v_mul_f64 v[25:26], v[3:4], v[15:16]
	v_mul_f64 v[15:16], v[1:2], v[15:16]
	v_fma_f64 v[1:2], v[1:2], v[13:14], -v[25:26]
	v_fma_f64 v[3:4], v[3:4], v[13:14], v[15:16]
	s_waitcnt vmcnt(10)
	v_add_f64 v[1:2], v[21:22], -v[1:2]
	s_waitcnt vmcnt(8)
	v_add_f64 v[3:4], v[23:24], -v[3:4]
	buffer_store_dword v2, v5, s[0:3], 0 offen offset:4
	buffer_store_dword v1, v5, s[0:3], 0 offen
	buffer_store_dword v4, v5, s[0:3], 0 offen offset:12
	buffer_store_dword v3, v5, s[0:3], 0 offen offset:8
	s_clause 0xf
	buffer_load_dword v16, off, s[0:3], 0 offset:44
	buffer_load_dword v15, off, s[0:3], 0 offset:40
	;; [unrolled: 1-line block ×4, first 2 shown]
	buffer_load_dword v41, v5, s[0:3], 0 offen offset:48
	buffer_load_dword v42, v5, s[0:3], 0 offen offset:52
	;; [unrolled: 1-line block ×12, first 2 shown]
	ds_read2_b64 v[1:4], v6 offset0:4 offset1:5
	ds_read2_b64 v[21:24], v6 offset0:6 offset1:7
	;; [unrolled: 1-line block ×4, first 2 shown]
	s_waitcnt vmcnt(14) lgkmcnt(4)
	v_mul_f64 v[53:54], v[19:20], v[15:16]
	v_mul_f64 v[55:56], v[17:18], v[15:16]
	s_waitcnt lgkmcnt(3)
	v_mul_f64 v[57:58], v[3:4], v[15:16]
	v_mul_f64 v[59:60], v[1:2], v[15:16]
	s_waitcnt lgkmcnt(2)
	;; [unrolled: 3-line block ×4, first 2 shown]
	v_mul_f64 v[69:70], v[31:32], v[15:16]
	v_mul_f64 v[71:72], v[29:30], v[15:16]
	s_waitcnt vmcnt(12)
	v_fma_f64 v[17:18], v[17:18], v[13:14], -v[53:54]
	v_fma_f64 v[19:20], v[19:20], v[13:14], v[55:56]
	v_fma_f64 v[1:2], v[1:2], v[13:14], -v[57:58]
	v_fma_f64 v[3:4], v[3:4], v[13:14], v[59:60]
	;; [unrolled: 2-line block ×5, first 2 shown]
	v_add_f64 v[17:18], v[33:34], -v[17:18]
	v_add_f64 v[19:20], v[35:36], -v[19:20]
	;; [unrolled: 1-line block ×4, first 2 shown]
	s_waitcnt vmcnt(10)
	v_add_f64 v[21:22], v[41:42], -v[21:22]
	s_waitcnt vmcnt(8)
	v_add_f64 v[23:24], v[43:44], -v[23:24]
	;; [unrolled: 2-line block ×6, first 2 shown]
	buffer_store_dword v18, v5, s[0:3], 0 offen offset:20
	buffer_store_dword v17, v5, s[0:3], 0 offen offset:16
	;; [unrolled: 1-line block ×20, first 2 shown]
	s_cbranch_scc1 .LBB125_40
.LBB125_41:
	s_or_b32 exec_lo, exec_lo, s5
	s_mov_b32 s6, exec_lo
	s_waitcnt lgkmcnt(0)
	s_waitcnt_vscnt null, 0x0
	s_barrier
	buffer_gl0_inv
	v_cmpx_eq_u32_e32 3, v0
	s_cbranch_execz .LBB125_52
; %bb.42:
	v_mov_b32_e32 v4, s75
	s_mov_b32 s5, 64
	s_clause 0x3
	buffer_load_dword v1, v4, s[0:3], 0 offen
	buffer_load_dword v2, v4, s[0:3], 0 offen offset:4
	buffer_load_dword v3, v4, s[0:3], 0 offen offset:8
	;; [unrolled: 1-line block ×3, first 2 shown]
	s_waitcnt vmcnt(0)
	ds_write2_b64 v255, v[1:2], v[3:4] offset1:1
	s_branch .LBB125_44
.LBB125_43:                             ;   in Loop: Header=BB125_44 Depth=1
	s_andn2_b32 vcc_lo, exec_lo, s8
	s_cbranch_vccz .LBB125_46
.LBB125_44:                             ; =>This Inner Loop Header: Depth=1
	v_mov_b32_e32 v1, s5
	s_mov_b32 s7, s5
	s_mov_b32 s8, -1
	s_cmpk_eq_i32 s5, 0x3c0
	s_clause 0xb
	buffer_load_dword v2, v1, s[0:3], 0 offen
	buffer_load_dword v3, v1, s[0:3], 0 offen offset:4
	buffer_load_dword v13, v1, s[0:3], 0 offen offset:8
	;; [unrolled: 1-line block ×11, first 2 shown]
	v_add_nc_u32_e32 v1, s5, v249
	s_waitcnt vmcnt(8)
	ds_write2_b64 v1, v[2:3], v[13:14] offset1:1
	s_waitcnt vmcnt(4)
	ds_write2_b64 v1, v[15:16], v[17:18] offset0:2 offset1:3
	s_waitcnt vmcnt(0)
	ds_write2_b64 v1, v[19:20], v[21:22] offset0:4 offset1:5
	s_cbranch_scc1 .LBB125_43
; %bb.45:                               ;   in Loop: Header=BB125_44 Depth=1
	v_mov_b32_e32 v4, s7
	s_addk_i32 s5, 0x80
	s_mov_b32 s8, 0
	s_clause 0x13
	buffer_load_dword v2, v4, s[0:3], 0 offen offset:48
	buffer_load_dword v3, v4, s[0:3], 0 offen offset:52
	;; [unrolled: 1-line block ×20, first 2 shown]
	s_waitcnt vmcnt(16)
	ds_write2_b64 v1, v[2:3], v[13:14] offset0:6 offset1:7
	s_waitcnt vmcnt(12)
	ds_write2_b64 v1, v[15:16], v[17:18] offset0:8 offset1:9
	;; [unrolled: 2-line block ×5, first 2 shown]
	s_branch .LBB125_43
.LBB125_46:
	ds_read2_b64 v[13:16], v255 offset1:1
	s_waitcnt lgkmcnt(0)
	v_cmp_neq_f64_e32 vcc_lo, 0, v[13:14]
	v_cmp_neq_f64_e64 s5, 0, v[15:16]
	s_or_b32 s5, vcc_lo, s5
	s_and_b32 exec_lo, exec_lo, s5
	s_cbranch_execz .LBB125_52
; %bb.47:
	v_cmp_ngt_f64_e64 s5, |v[13:14]|, |v[15:16]|
                                        ; implicit-def: $vgpr1_vgpr2
	s_and_saveexec_b32 s7, s5
	s_xor_b32 s5, exec_lo, s7
                                        ; implicit-def: $vgpr3_vgpr4
	s_cbranch_execz .LBB125_49
; %bb.48:
	v_div_scale_f64 v[1:2], null, v[15:16], v[15:16], v[13:14]
	v_div_scale_f64 v[19:20], vcc_lo, v[13:14], v[15:16], v[13:14]
	v_rcp_f64_e32 v[3:4], v[1:2]
	v_fma_f64 v[17:18], -v[1:2], v[3:4], 1.0
	v_fma_f64 v[3:4], v[3:4], v[17:18], v[3:4]
	v_fma_f64 v[17:18], -v[1:2], v[3:4], 1.0
	v_fma_f64 v[3:4], v[3:4], v[17:18], v[3:4]
	v_mul_f64 v[17:18], v[19:20], v[3:4]
	v_fma_f64 v[1:2], -v[1:2], v[17:18], v[19:20]
	v_div_fmas_f64 v[1:2], v[1:2], v[3:4], v[17:18]
	v_div_fixup_f64 v[1:2], v[1:2], v[15:16], v[13:14]
	v_fma_f64 v[3:4], v[13:14], v[1:2], v[15:16]
	v_div_scale_f64 v[13:14], null, v[3:4], v[3:4], 1.0
	v_rcp_f64_e32 v[15:16], v[13:14]
	v_fma_f64 v[17:18], -v[13:14], v[15:16], 1.0
	v_fma_f64 v[15:16], v[15:16], v[17:18], v[15:16]
	v_fma_f64 v[17:18], -v[13:14], v[15:16], 1.0
	v_fma_f64 v[15:16], v[15:16], v[17:18], v[15:16]
	v_div_scale_f64 v[17:18], vcc_lo, 1.0, v[3:4], 1.0
	v_mul_f64 v[19:20], v[17:18], v[15:16]
	v_fma_f64 v[13:14], -v[13:14], v[19:20], v[17:18]
	v_div_fmas_f64 v[13:14], v[13:14], v[15:16], v[19:20]
	v_div_fixup_f64 v[3:4], v[13:14], v[3:4], 1.0
                                        ; implicit-def: $vgpr13_vgpr14
	v_mul_f64 v[1:2], v[1:2], v[3:4]
	v_xor_b32_e32 v4, 0x80000000, v4
.LBB125_49:
	s_andn2_saveexec_b32 s5, s5
	s_cbranch_execz .LBB125_51
; %bb.50:
	v_div_scale_f64 v[1:2], null, v[13:14], v[13:14], v[15:16]
	v_div_scale_f64 v[19:20], vcc_lo, v[15:16], v[13:14], v[15:16]
	v_rcp_f64_e32 v[3:4], v[1:2]
	v_fma_f64 v[17:18], -v[1:2], v[3:4], 1.0
	v_fma_f64 v[3:4], v[3:4], v[17:18], v[3:4]
	v_fma_f64 v[17:18], -v[1:2], v[3:4], 1.0
	v_fma_f64 v[3:4], v[3:4], v[17:18], v[3:4]
	v_mul_f64 v[17:18], v[19:20], v[3:4]
	v_fma_f64 v[1:2], -v[1:2], v[17:18], v[19:20]
	v_div_fmas_f64 v[1:2], v[1:2], v[3:4], v[17:18]
	v_div_fixup_f64 v[3:4], v[1:2], v[13:14], v[15:16]
	v_fma_f64 v[1:2], v[15:16], v[3:4], v[13:14]
	v_div_scale_f64 v[13:14], null, v[1:2], v[1:2], 1.0
	v_rcp_f64_e32 v[15:16], v[13:14]
	v_fma_f64 v[17:18], -v[13:14], v[15:16], 1.0
	v_fma_f64 v[15:16], v[15:16], v[17:18], v[15:16]
	v_fma_f64 v[17:18], -v[13:14], v[15:16], 1.0
	v_fma_f64 v[15:16], v[15:16], v[17:18], v[15:16]
	v_div_scale_f64 v[17:18], vcc_lo, 1.0, v[1:2], 1.0
	v_mul_f64 v[19:20], v[17:18], v[15:16]
	v_fma_f64 v[13:14], -v[13:14], v[19:20], v[17:18]
	v_div_fmas_f64 v[13:14], v[13:14], v[15:16], v[19:20]
	v_div_fixup_f64 v[1:2], v[13:14], v[1:2], 1.0
	v_mul_f64 v[3:4], v[3:4], -v[1:2]
.LBB125_51:
	s_or_b32 exec_lo, exec_lo, s5
	ds_write2_b64 v255, v[1:2], v[3:4] offset1:1
.LBB125_52:
	s_or_b32 exec_lo, exec_lo, s6
	s_waitcnt lgkmcnt(0)
	s_barrier
	buffer_gl0_inv
	ds_read2_b64 v[13:16], v255 offset1:1
	s_mov_b32 s5, exec_lo
	v_cmpx_lt_u32_e32 3, v0
	s_cbranch_execz .LBB125_57
; %bb.53:
	s_clause 0x3
	buffer_load_dword v1, off, s[0:3], 0 offset:56
	buffer_load_dword v2, off, s[0:3], 0 offset:60
	;; [unrolled: 1-line block ×4, first 2 shown]
	s_mov_b32 s6, 64
	s_waitcnt vmcnt(2) lgkmcnt(0)
	v_mul_f64 v[17:18], v[15:16], v[1:2]
	v_mul_f64 v[1:2], v[13:14], v[1:2]
	s_waitcnt vmcnt(0)
	v_fma_f64 v[17:18], v[13:14], v[3:4], -v[17:18]
	v_fma_f64 v[19:20], v[15:16], v[3:4], v[1:2]
	buffer_store_dword v17, off, s[0:3], 0 offset:48
	buffer_store_dword v18, off, s[0:3], 0 offset:52
	buffer_store_dword v19, off, s[0:3], 0 offset:56
	buffer_store_dword v20, off, s[0:3], 0 offset:60
	s_branch .LBB125_55
.LBB125_54:                             ;   in Loop: Header=BB125_55 Depth=1
	s_andn2_b32 vcc_lo, exec_lo, s8
	s_cbranch_vccz .LBB125_57
.LBB125_55:                             ; =>This Inner Loop Header: Depth=1
	v_mov_b32_e32 v5, s6
	v_add_nc_u32_e32 v1, s6, v249
	s_mov_b32 s7, s6
	s_mov_b32 s8, -1
	s_cmpk_eq_i32 s6, 0x3c0
	s_clause 0x3
	buffer_load_dword v2, v5, s[0:3], 0 offen
	buffer_load_dword v3, v5, s[0:3], 0 offen offset:4
	buffer_load_dword v29, v5, s[0:3], 0 offen offset:8
	;; [unrolled: 1-line block ×3, first 2 shown]
	ds_read2_b64 v[21:24], v1 offset1:1
	ds_read2_b64 v[25:28], v1 offset0:2 offset1:3
	s_waitcnt lgkmcnt(1)
	v_mul_f64 v[31:32], v[23:24], v[19:20]
	v_mul_f64 v[19:20], v[21:22], v[19:20]
	v_fma_f64 v[21:22], v[21:22], v[17:18], -v[31:32]
	v_fma_f64 v[17:18], v[23:24], v[17:18], v[19:20]
	s_clause 0x2
	buffer_load_dword v4, v5, s[0:3], 0 offen offset:20
	buffer_load_dword v19, v5, s[0:3], 0 offen offset:28
	;; [unrolled: 1-line block ×3, first 2 shown]
	s_waitcnt vmcnt(5)
	v_add_f64 v[2:3], v[2:3], -v[21:22]
	s_waitcnt vmcnt(3)
	v_add_f64 v[17:18], v[29:30], -v[17:18]
	buffer_store_dword v3, v5, s[0:3], 0 offen offset:4
	buffer_store_dword v2, v5, s[0:3], 0 offen
	buffer_store_dword v18, v5, s[0:3], 0 offen offset:12
	buffer_store_dword v17, v5, s[0:3], 0 offen offset:8
	s_clause 0x6
	buffer_load_dword v18, v5, s[0:3], 0 offen offset:24
	buffer_load_dword v29, v5, s[0:3], 0 offen offset:36
	buffer_load_dword v21, off, s[0:3], 0 offset:60
	buffer_load_dword v20, off, s[0:3], 0 offset:56
	;; [unrolled: 1-line block ×4, first 2 shown]
	buffer_load_dword v3, v5, s[0:3], 0 offen offset:16
	s_waitcnt vmcnt(3) lgkmcnt(0)
	v_mul_f64 v[32:33], v[27:28], v[20:21]
	v_mul_f64 v[20:21], v[25:26], v[20:21]
	s_waitcnt vmcnt(1)
	v_fma_f64 v[24:25], v[25:26], v[22:23], -v[32:33]
	v_fma_f64 v[20:21], v[27:28], v[22:23], v[20:21]
	s_waitcnt vmcnt(0)
	v_add_f64 v[2:3], v[3:4], -v[24:25]
	v_add_f64 v[17:18], v[18:19], -v[20:21]
	buffer_store_dword v3, v5, s[0:3], 0 offen offset:20
	buffer_store_dword v2, v5, s[0:3], 0 offen offset:16
	;; [unrolled: 1-line block ×4, first 2 shown]
	s_clause 0x5
	buffer_load_dword v32, v5, s[0:3], 0 offen offset:44
	buffer_load_dword v19, off, s[0:3], 0 offset:56
	buffer_load_dword v20, off, s[0:3], 0 offset:60
	;; [unrolled: 1-line block ×4, first 2 shown]
	buffer_load_dword v28, v5, s[0:3], 0 offen offset:32
	ds_read2_b64 v[21:24], v1 offset0:4 offset1:5
	s_waitcnt vmcnt(3) lgkmcnt(0)
	v_mul_f64 v[2:3], v[23:24], v[19:20]
	v_mul_f64 v[25:26], v[21:22], v[19:20]
	s_waitcnt vmcnt(1)
	v_fma_f64 v[2:3], v[21:22], v[17:18], -v[2:3]
	v_fma_f64 v[21:22], v[23:24], v[17:18], v[25:26]
	s_waitcnt vmcnt(0)
	v_add_f64 v[2:3], v[28:29], -v[2:3]
	v_add_f64 v[21:22], v[31:32], -v[21:22]
	buffer_store_dword v3, v5, s[0:3], 0 offen offset:36
	buffer_store_dword v2, v5, s[0:3], 0 offen offset:32
	;; [unrolled: 1-line block ×4, first 2 shown]
	s_cbranch_scc1 .LBB125_54
; %bb.56:                               ;   in Loop: Header=BB125_55 Depth=1
	v_mov_b32_e32 v5, s7
	s_add_i32 s6, s6, 64
	s_mov_b32 s8, 0
	s_clause 0x3
	buffer_load_dword v21, v5, s[0:3], 0 offen offset:48
	buffer_load_dword v22, v5, s[0:3], 0 offen offset:52
	;; [unrolled: 1-line block ×4, first 2 shown]
	ds_read2_b64 v[1:4], v1 offset0:6 offset1:7
	s_waitcnt lgkmcnt(0)
	v_mul_f64 v[25:26], v[3:4], v[19:20]
	v_mul_f64 v[27:28], v[1:2], v[19:20]
	v_fma_f64 v[1:2], v[1:2], v[17:18], -v[25:26]
	v_fma_f64 v[3:4], v[3:4], v[17:18], v[27:28]
	s_waitcnt vmcnt(2)
	v_add_f64 v[1:2], v[21:22], -v[1:2]
	s_waitcnt vmcnt(0)
	v_add_f64 v[3:4], v[23:24], -v[3:4]
	buffer_store_dword v1, v5, s[0:3], 0 offen offset:48
	buffer_store_dword v2, v5, s[0:3], 0 offen offset:52
	;; [unrolled: 1-line block ×4, first 2 shown]
	s_branch .LBB125_54
.LBB125_57:
	s_or_b32 exec_lo, exec_lo, s5
	s_mov_b32 s6, exec_lo
	s_waitcnt lgkmcnt(0)
	s_waitcnt_vscnt null, 0x0
	s_barrier
	buffer_gl0_inv
	v_cmpx_eq_u32_e32 4, v0
	s_cbranch_execz .LBB125_66
; %bb.58:
	v_mov_b32_e32 v4, s74
	s_movk_i32 s5, 0x50
	s_clause 0x3
	buffer_load_dword v1, v4, s[0:3], 0 offen
	buffer_load_dword v2, v4, s[0:3], 0 offen offset:4
	buffer_load_dword v3, v4, s[0:3], 0 offen offset:8
	;; [unrolled: 1-line block ×3, first 2 shown]
	s_waitcnt vmcnt(0)
	ds_write2_b64 v255, v[1:2], v[3:4] offset1:1
	.p2align	6
.LBB125_59:                             ; =>This Inner Loop Header: Depth=1
	v_mov_b32_e32 v5, s5
	s_clause 0x7
	buffer_load_dword v1, v5, s[0:3], 0 offen
	buffer_load_dword v2, v5, s[0:3], 0 offen offset:4
	buffer_load_dword v3, v5, s[0:3], 0 offen offset:8
	;; [unrolled: 1-line block ×7, first 2 shown]
	v_add_nc_u32_e32 v5, s5, v249
	s_add_i32 s5, s5, 32
	s_waitcnt vmcnt(4)
	ds_write2_b64 v5, v[1:2], v[3:4] offset1:1
	s_waitcnt vmcnt(0)
	ds_write2_b64 v5, v[17:18], v[19:20] offset0:2 offset1:3
	s_cmpk_lg_i32 s5, 0x3f0
	s_cbranch_scc1 .LBB125_59
; %bb.60:
	ds_read2_b64 v[17:20], v255 offset1:1
	s_waitcnt lgkmcnt(0)
	v_cmp_neq_f64_e32 vcc_lo, 0, v[17:18]
	v_cmp_neq_f64_e64 s5, 0, v[19:20]
	s_or_b32 s5, vcc_lo, s5
	s_and_b32 exec_lo, exec_lo, s5
	s_cbranch_execz .LBB125_66
; %bb.61:
	v_cmp_ngt_f64_e64 s5, |v[17:18]|, |v[19:20]|
                                        ; implicit-def: $vgpr1_vgpr2
	s_and_saveexec_b32 s7, s5
	s_xor_b32 s5, exec_lo, s7
                                        ; implicit-def: $vgpr3_vgpr4
	s_cbranch_execz .LBB125_63
; %bb.62:
	v_div_scale_f64 v[1:2], null, v[19:20], v[19:20], v[17:18]
	v_div_scale_f64 v[23:24], vcc_lo, v[17:18], v[19:20], v[17:18]
	v_rcp_f64_e32 v[3:4], v[1:2]
	v_fma_f64 v[21:22], -v[1:2], v[3:4], 1.0
	v_fma_f64 v[3:4], v[3:4], v[21:22], v[3:4]
	v_fma_f64 v[21:22], -v[1:2], v[3:4], 1.0
	v_fma_f64 v[3:4], v[3:4], v[21:22], v[3:4]
	v_mul_f64 v[21:22], v[23:24], v[3:4]
	v_fma_f64 v[1:2], -v[1:2], v[21:22], v[23:24]
	v_div_fmas_f64 v[1:2], v[1:2], v[3:4], v[21:22]
	v_div_fixup_f64 v[1:2], v[1:2], v[19:20], v[17:18]
	v_fma_f64 v[3:4], v[17:18], v[1:2], v[19:20]
	v_div_scale_f64 v[17:18], null, v[3:4], v[3:4], 1.0
	v_rcp_f64_e32 v[19:20], v[17:18]
	v_fma_f64 v[21:22], -v[17:18], v[19:20], 1.0
	v_fma_f64 v[19:20], v[19:20], v[21:22], v[19:20]
	v_fma_f64 v[21:22], -v[17:18], v[19:20], 1.0
	v_fma_f64 v[19:20], v[19:20], v[21:22], v[19:20]
	v_div_scale_f64 v[21:22], vcc_lo, 1.0, v[3:4], 1.0
	v_mul_f64 v[23:24], v[21:22], v[19:20]
	v_fma_f64 v[17:18], -v[17:18], v[23:24], v[21:22]
	v_div_fmas_f64 v[17:18], v[17:18], v[19:20], v[23:24]
	v_div_fixup_f64 v[3:4], v[17:18], v[3:4], 1.0
                                        ; implicit-def: $vgpr17_vgpr18
	v_mul_f64 v[1:2], v[1:2], v[3:4]
	v_xor_b32_e32 v4, 0x80000000, v4
.LBB125_63:
	s_andn2_saveexec_b32 s5, s5
	s_cbranch_execz .LBB125_65
; %bb.64:
	v_div_scale_f64 v[1:2], null, v[17:18], v[17:18], v[19:20]
	v_div_scale_f64 v[23:24], vcc_lo, v[19:20], v[17:18], v[19:20]
	v_rcp_f64_e32 v[3:4], v[1:2]
	v_fma_f64 v[21:22], -v[1:2], v[3:4], 1.0
	v_fma_f64 v[3:4], v[3:4], v[21:22], v[3:4]
	v_fma_f64 v[21:22], -v[1:2], v[3:4], 1.0
	v_fma_f64 v[3:4], v[3:4], v[21:22], v[3:4]
	v_mul_f64 v[21:22], v[23:24], v[3:4]
	v_fma_f64 v[1:2], -v[1:2], v[21:22], v[23:24]
	v_div_fmas_f64 v[1:2], v[1:2], v[3:4], v[21:22]
	v_div_fixup_f64 v[3:4], v[1:2], v[17:18], v[19:20]
	v_fma_f64 v[1:2], v[19:20], v[3:4], v[17:18]
	v_div_scale_f64 v[17:18], null, v[1:2], v[1:2], 1.0
	v_rcp_f64_e32 v[19:20], v[17:18]
	v_fma_f64 v[21:22], -v[17:18], v[19:20], 1.0
	v_fma_f64 v[19:20], v[19:20], v[21:22], v[19:20]
	v_fma_f64 v[21:22], -v[17:18], v[19:20], 1.0
	v_fma_f64 v[19:20], v[19:20], v[21:22], v[19:20]
	v_div_scale_f64 v[21:22], vcc_lo, 1.0, v[1:2], 1.0
	v_mul_f64 v[23:24], v[21:22], v[19:20]
	v_fma_f64 v[17:18], -v[17:18], v[23:24], v[21:22]
	v_div_fmas_f64 v[17:18], v[17:18], v[19:20], v[23:24]
	v_div_fixup_f64 v[1:2], v[17:18], v[1:2], 1.0
	v_mul_f64 v[3:4], v[3:4], -v[1:2]
.LBB125_65:
	s_or_b32 exec_lo, exec_lo, s5
	ds_write2_b64 v255, v[1:2], v[3:4] offset1:1
.LBB125_66:
	s_or_b32 exec_lo, exec_lo, s6
	s_waitcnt lgkmcnt(0)
	s_barrier
	buffer_gl0_inv
	ds_read2_b64 v[17:20], v255 offset1:1
	s_mov_b32 s5, exec_lo
	v_cmpx_lt_u32_e32 4, v0
	s_cbranch_execz .LBB125_69
; %bb.67:
	s_clause 0x3
	buffer_load_dword v1, off, s[0:3], 0 offset:72
	buffer_load_dword v2, off, s[0:3], 0 offset:76
	;; [unrolled: 1-line block ×4, first 2 shown]
	s_movk_i32 s6, 0x50
	s_waitcnt vmcnt(2) lgkmcnt(0)
	v_mul_f64 v[21:22], v[19:20], v[1:2]
	v_mul_f64 v[1:2], v[17:18], v[1:2]
	s_waitcnt vmcnt(0)
	v_fma_f64 v[21:22], v[17:18], v[3:4], -v[21:22]
	v_fma_f64 v[1:2], v[19:20], v[3:4], v[1:2]
	buffer_store_dword v21, off, s[0:3], 0 offset:64
	buffer_store_dword v22, off, s[0:3], 0 offset:68
	;; [unrolled: 1-line block ×4, first 2 shown]
.LBB125_68:                             ; =>This Inner Loop Header: Depth=1
	s_clause 0x3
	buffer_load_dword v25, off, s[0:3], 0 offset:72
	buffer_load_dword v26, off, s[0:3], 0 offset:76
	;; [unrolled: 1-line block ×4, first 2 shown]
	v_mov_b32_e32 v5, s6
	v_add_nc_u32_e32 v6, s6, v249
	s_add_i32 s6, s6, 32
	s_clause 0x3
	buffer_load_dword v29, v5, s[0:3], 0 offen
	buffer_load_dword v30, v5, s[0:3], 0 offen offset:4
	buffer_load_dword v31, v5, s[0:3], 0 offen offset:8
	;; [unrolled: 1-line block ×3, first 2 shown]
	ds_read2_b64 v[1:4], v6 offset1:1
	ds_read2_b64 v[21:24], v6 offset0:2 offset1:3
	s_cmpk_lg_i32 s6, 0x3f0
	s_waitcnt vmcnt(6) lgkmcnt(1)
	v_mul_f64 v[33:34], v[3:4], v[25:26]
	v_mul_f64 v[25:26], v[1:2], v[25:26]
	s_waitcnt vmcnt(4)
	v_fma_f64 v[1:2], v[1:2], v[27:28], -v[33:34]
	v_fma_f64 v[3:4], v[3:4], v[27:28], v[25:26]
	s_clause 0x3
	buffer_load_dword v25, v5, s[0:3], 0 offen offset:16
	buffer_load_dword v26, v5, s[0:3], 0 offen offset:20
	;; [unrolled: 1-line block ×4, first 2 shown]
	s_waitcnt vmcnt(6)
	v_add_f64 v[1:2], v[29:30], -v[1:2]
	s_waitcnt vmcnt(4)
	v_add_f64 v[3:4], v[31:32], -v[3:4]
	buffer_store_dword v2, v5, s[0:3], 0 offen offset:4
	buffer_store_dword v1, v5, s[0:3], 0 offen
	buffer_store_dword v4, v5, s[0:3], 0 offen offset:12
	buffer_store_dword v3, v5, s[0:3], 0 offen offset:8
	s_clause 0x3
	buffer_load_dword v2, off, s[0:3], 0 offset:76
	buffer_load_dword v1, off, s[0:3], 0 offset:72
	;; [unrolled: 1-line block ×4, first 2 shown]
	s_waitcnt vmcnt(2) lgkmcnt(0)
	v_mul_f64 v[29:30], v[23:24], v[1:2]
	v_mul_f64 v[1:2], v[21:22], v[1:2]
	s_waitcnt vmcnt(0)
	v_fma_f64 v[21:22], v[21:22], v[3:4], -v[29:30]
	v_fma_f64 v[1:2], v[23:24], v[3:4], v[1:2]
	v_add_f64 v[3:4], v[25:26], -v[21:22]
	v_add_f64 v[1:2], v[27:28], -v[1:2]
	buffer_store_dword v4, v5, s[0:3], 0 offen offset:20
	buffer_store_dword v3, v5, s[0:3], 0 offen offset:16
	;; [unrolled: 1-line block ×4, first 2 shown]
	s_cbranch_scc1 .LBB125_68
.LBB125_69:
	s_or_b32 exec_lo, exec_lo, s5
	s_mov_b32 s6, exec_lo
	s_waitcnt lgkmcnt(0)
	s_waitcnt_vscnt null, 0x0
	s_barrier
	buffer_gl0_inv
	v_cmpx_eq_u32_e32 5, v0
	s_cbranch_execz .LBB125_78
; %bb.70:
	v_mov_b32_e32 v4, s73
	s_movk_i32 s5, 0x60
	s_clause 0x3
	buffer_load_dword v1, v4, s[0:3], 0 offen
	buffer_load_dword v2, v4, s[0:3], 0 offen offset:4
	buffer_load_dword v3, v4, s[0:3], 0 offen offset:8
	;; [unrolled: 1-line block ×3, first 2 shown]
	s_waitcnt vmcnt(0)
	ds_write2_b64 v255, v[1:2], v[3:4] offset1:1
	s_inst_prefetch 0x1
	.p2align	6
.LBB125_71:                             ; =>This Inner Loop Header: Depth=1
	v_mov_b32_e32 v5, s5
	s_clause 0xb
	buffer_load_dword v1, v5, s[0:3], 0 offen
	buffer_load_dword v2, v5, s[0:3], 0 offen offset:4
	buffer_load_dword v3, v5, s[0:3], 0 offen offset:8
	;; [unrolled: 1-line block ×11, first 2 shown]
	v_add_nc_u32_e32 v5, s5, v249
	s_add_i32 s5, s5, 48
	s_waitcnt vmcnt(8)
	ds_write2_b64 v5, v[1:2], v[3:4] offset1:1
	s_waitcnt vmcnt(4)
	ds_write2_b64 v5, v[21:22], v[23:24] offset0:2 offset1:3
	s_waitcnt vmcnt(0)
	ds_write2_b64 v5, v[25:26], v[27:28] offset0:4 offset1:5
	s_cmpk_lg_i32 s5, 0x3f0
	s_cbranch_scc1 .LBB125_71
; %bb.72:
	s_inst_prefetch 0x2
	ds_read2_b64 v[21:24], v255 offset1:1
	s_waitcnt lgkmcnt(0)
	v_cmp_neq_f64_e32 vcc_lo, 0, v[21:22]
	v_cmp_neq_f64_e64 s5, 0, v[23:24]
	s_or_b32 s5, vcc_lo, s5
	s_and_b32 exec_lo, exec_lo, s5
	s_cbranch_execz .LBB125_78
; %bb.73:
	v_cmp_ngt_f64_e64 s5, |v[21:22]|, |v[23:24]|
                                        ; implicit-def: $vgpr1_vgpr2
	s_and_saveexec_b32 s7, s5
	s_xor_b32 s5, exec_lo, s7
                                        ; implicit-def: $vgpr3_vgpr4
	s_cbranch_execz .LBB125_75
; %bb.74:
	v_div_scale_f64 v[1:2], null, v[23:24], v[23:24], v[21:22]
	v_div_scale_f64 v[27:28], vcc_lo, v[21:22], v[23:24], v[21:22]
	v_rcp_f64_e32 v[3:4], v[1:2]
	v_fma_f64 v[25:26], -v[1:2], v[3:4], 1.0
	v_fma_f64 v[3:4], v[3:4], v[25:26], v[3:4]
	v_fma_f64 v[25:26], -v[1:2], v[3:4], 1.0
	v_fma_f64 v[3:4], v[3:4], v[25:26], v[3:4]
	v_mul_f64 v[25:26], v[27:28], v[3:4]
	v_fma_f64 v[1:2], -v[1:2], v[25:26], v[27:28]
	v_div_fmas_f64 v[1:2], v[1:2], v[3:4], v[25:26]
	v_div_fixup_f64 v[1:2], v[1:2], v[23:24], v[21:22]
	v_fma_f64 v[3:4], v[21:22], v[1:2], v[23:24]
	v_div_scale_f64 v[21:22], null, v[3:4], v[3:4], 1.0
	v_rcp_f64_e32 v[23:24], v[21:22]
	v_fma_f64 v[25:26], -v[21:22], v[23:24], 1.0
	v_fma_f64 v[23:24], v[23:24], v[25:26], v[23:24]
	v_fma_f64 v[25:26], -v[21:22], v[23:24], 1.0
	v_fma_f64 v[23:24], v[23:24], v[25:26], v[23:24]
	v_div_scale_f64 v[25:26], vcc_lo, 1.0, v[3:4], 1.0
	v_mul_f64 v[27:28], v[25:26], v[23:24]
	v_fma_f64 v[21:22], -v[21:22], v[27:28], v[25:26]
	v_div_fmas_f64 v[21:22], v[21:22], v[23:24], v[27:28]
	v_div_fixup_f64 v[3:4], v[21:22], v[3:4], 1.0
                                        ; implicit-def: $vgpr21_vgpr22
	v_mul_f64 v[1:2], v[1:2], v[3:4]
	v_xor_b32_e32 v4, 0x80000000, v4
.LBB125_75:
	s_andn2_saveexec_b32 s5, s5
	s_cbranch_execz .LBB125_77
; %bb.76:
	v_div_scale_f64 v[1:2], null, v[21:22], v[21:22], v[23:24]
	v_div_scale_f64 v[27:28], vcc_lo, v[23:24], v[21:22], v[23:24]
	v_rcp_f64_e32 v[3:4], v[1:2]
	v_fma_f64 v[25:26], -v[1:2], v[3:4], 1.0
	v_fma_f64 v[3:4], v[3:4], v[25:26], v[3:4]
	v_fma_f64 v[25:26], -v[1:2], v[3:4], 1.0
	v_fma_f64 v[3:4], v[3:4], v[25:26], v[3:4]
	v_mul_f64 v[25:26], v[27:28], v[3:4]
	v_fma_f64 v[1:2], -v[1:2], v[25:26], v[27:28]
	v_div_fmas_f64 v[1:2], v[1:2], v[3:4], v[25:26]
	v_div_fixup_f64 v[3:4], v[1:2], v[21:22], v[23:24]
	v_fma_f64 v[1:2], v[23:24], v[3:4], v[21:22]
	v_div_scale_f64 v[21:22], null, v[1:2], v[1:2], 1.0
	v_rcp_f64_e32 v[23:24], v[21:22]
	v_fma_f64 v[25:26], -v[21:22], v[23:24], 1.0
	v_fma_f64 v[23:24], v[23:24], v[25:26], v[23:24]
	v_fma_f64 v[25:26], -v[21:22], v[23:24], 1.0
	v_fma_f64 v[23:24], v[23:24], v[25:26], v[23:24]
	v_div_scale_f64 v[25:26], vcc_lo, 1.0, v[1:2], 1.0
	v_mul_f64 v[27:28], v[25:26], v[23:24]
	v_fma_f64 v[21:22], -v[21:22], v[27:28], v[25:26]
	v_div_fmas_f64 v[21:22], v[21:22], v[23:24], v[27:28]
	v_div_fixup_f64 v[1:2], v[21:22], v[1:2], 1.0
	v_mul_f64 v[3:4], v[3:4], -v[1:2]
.LBB125_77:
	s_or_b32 exec_lo, exec_lo, s5
	ds_write2_b64 v255, v[1:2], v[3:4] offset1:1
.LBB125_78:
	s_or_b32 exec_lo, exec_lo, s6
	s_waitcnt lgkmcnt(0)
	s_barrier
	buffer_gl0_inv
	ds_read2_b64 v[21:24], v255 offset1:1
	s_mov_b32 s5, exec_lo
	v_cmpx_lt_u32_e32 5, v0
	s_cbranch_execz .LBB125_81
; %bb.79:
	s_clause 0x3
	buffer_load_dword v1, off, s[0:3], 0 offset:88
	buffer_load_dword v2, off, s[0:3], 0 offset:92
	;; [unrolled: 1-line block ×4, first 2 shown]
	s_movk_i32 s6, 0x60
	s_waitcnt vmcnt(2) lgkmcnt(0)
	v_mul_f64 v[25:26], v[23:24], v[1:2]
	v_mul_f64 v[1:2], v[21:22], v[1:2]
	s_waitcnt vmcnt(0)
	v_fma_f64 v[25:26], v[21:22], v[3:4], -v[25:26]
	v_fma_f64 v[1:2], v[23:24], v[3:4], v[1:2]
	buffer_store_dword v25, off, s[0:3], 0 offset:80
	buffer_store_dword v26, off, s[0:3], 0 offset:84
	;; [unrolled: 1-line block ×4, first 2 shown]
.LBB125_80:                             ; =>This Inner Loop Header: Depth=1
	s_clause 0x3
	buffer_load_dword v29, off, s[0:3], 0 offset:88
	buffer_load_dword v30, off, s[0:3], 0 offset:92
	;; [unrolled: 1-line block ×4, first 2 shown]
	v_mov_b32_e32 v5, s6
	v_add_nc_u32_e32 v6, s6, v249
	s_add_i32 s6, s6, 48
	s_clause 0x3
	buffer_load_dword v33, v5, s[0:3], 0 offen
	buffer_load_dword v34, v5, s[0:3], 0 offen offset:4
	buffer_load_dword v35, v5, s[0:3], 0 offen offset:8
	;; [unrolled: 1-line block ×3, first 2 shown]
	ds_read2_b64 v[1:4], v6 offset1:1
	ds_read2_b64 v[25:28], v6 offset0:2 offset1:3
	s_cmpk_lg_i32 s6, 0x3f0
	s_waitcnt vmcnt(6) lgkmcnt(1)
	v_mul_f64 v[37:38], v[3:4], v[29:30]
	v_mul_f64 v[29:30], v[1:2], v[29:30]
	s_waitcnt vmcnt(4)
	v_fma_f64 v[1:2], v[1:2], v[31:32], -v[37:38]
	v_fma_f64 v[3:4], v[3:4], v[31:32], v[29:30]
	s_clause 0x3
	buffer_load_dword v29, v5, s[0:3], 0 offen offset:16
	buffer_load_dword v30, v5, s[0:3], 0 offen offset:20
	;; [unrolled: 1-line block ×4, first 2 shown]
	s_waitcnt vmcnt(6)
	v_add_f64 v[1:2], v[33:34], -v[1:2]
	s_waitcnt vmcnt(4)
	v_add_f64 v[3:4], v[35:36], -v[3:4]
	buffer_store_dword v2, v5, s[0:3], 0 offen offset:4
	buffer_store_dword v1, v5, s[0:3], 0 offen
	buffer_store_dword v4, v5, s[0:3], 0 offen offset:12
	buffer_store_dword v3, v5, s[0:3], 0 offen offset:8
	s_clause 0x3
	buffer_load_dword v2, off, s[0:3], 0 offset:92
	buffer_load_dword v1, off, s[0:3], 0 offset:88
	;; [unrolled: 1-line block ×4, first 2 shown]
	s_waitcnt vmcnt(2) lgkmcnt(0)
	v_mul_f64 v[33:34], v[27:28], v[1:2]
	v_mul_f64 v[1:2], v[25:26], v[1:2]
	s_waitcnt vmcnt(0)
	v_fma_f64 v[25:26], v[25:26], v[3:4], -v[33:34]
	v_fma_f64 v[1:2], v[27:28], v[3:4], v[1:2]
	v_add_f64 v[3:4], v[29:30], -v[25:26]
	v_add_f64 v[1:2], v[31:32], -v[1:2]
	s_clause 0x3
	buffer_load_dword v25, v5, s[0:3], 0 offen offset:32
	buffer_load_dword v26, v5, s[0:3], 0 offen offset:36
	;; [unrolled: 1-line block ×4, first 2 shown]
	buffer_store_dword v4, v5, s[0:3], 0 offen offset:20
	buffer_store_dword v3, v5, s[0:3], 0 offen offset:16
	;; [unrolled: 1-line block ×4, first 2 shown]
	s_clause 0x3
	buffer_load_dword v29, off, s[0:3], 0 offset:88
	buffer_load_dword v30, off, s[0:3], 0 offset:92
	;; [unrolled: 1-line block ×4, first 2 shown]
	ds_read2_b64 v[1:4], v6 offset0:4 offset1:5
	s_waitcnt vmcnt(2) lgkmcnt(0)
	v_mul_f64 v[33:34], v[3:4], v[29:30]
	v_mul_f64 v[29:30], v[1:2], v[29:30]
	s_waitcnt vmcnt(0)
	v_fma_f64 v[1:2], v[1:2], v[31:32], -v[33:34]
	v_fma_f64 v[3:4], v[3:4], v[31:32], v[29:30]
	v_add_f64 v[1:2], v[25:26], -v[1:2]
	v_add_f64 v[3:4], v[27:28], -v[3:4]
	buffer_store_dword v2, v5, s[0:3], 0 offen offset:36
	buffer_store_dword v1, v5, s[0:3], 0 offen offset:32
	;; [unrolled: 1-line block ×4, first 2 shown]
	s_cbranch_scc1 .LBB125_80
.LBB125_81:
	s_or_b32 exec_lo, exec_lo, s5
	s_mov_b32 s6, exec_lo
	s_waitcnt lgkmcnt(0)
	s_waitcnt_vscnt null, 0x0
	s_barrier
	buffer_gl0_inv
	v_cmpx_eq_u32_e32 6, v0
	s_cbranch_execz .LBB125_90
; %bb.82:
	v_mov_b32_e32 v4, s72
	s_movk_i32 s5, 0x70
	s_clause 0x3
	buffer_load_dword v1, v4, s[0:3], 0 offen
	buffer_load_dword v2, v4, s[0:3], 0 offen offset:4
	buffer_load_dword v3, v4, s[0:3], 0 offen offset:8
	;; [unrolled: 1-line block ×3, first 2 shown]
	s_waitcnt vmcnt(0)
	ds_write2_b64 v255, v[1:2], v[3:4] offset1:1
.LBB125_83:                             ; =>This Inner Loop Header: Depth=1
	v_mov_b32_e32 v5, s5
	s_clause 0x37
	buffer_load_dword v1, v5, s[0:3], 0 offen
	buffer_load_dword v2, v5, s[0:3], 0 offen offset:4
	buffer_load_dword v3, v5, s[0:3], 0 offen offset:8
	;; [unrolled: 1-line block ×55, first 2 shown]
	v_add_nc_u32_e32 v5, s5, v249
	s_addk_i32 s5, 0xe0
	s_waitcnt vmcnt(52)
	ds_write2_b64 v5, v[1:2], v[3:4] offset1:1
	s_waitcnt vmcnt(48)
	ds_write2_b64 v5, v[25:26], v[27:28] offset0:2 offset1:3
	s_waitcnt vmcnt(44)
	ds_write2_b64 v5, v[29:30], v[31:32] offset0:4 offset1:5
	;; [unrolled: 2-line block ×4, first 2 shown]
	ds_write2_b64 v5, v[41:42], v[39:40] offset0:10 offset1:11
	s_waitcnt vmcnt(24)
	ds_write2_b64 v5, v[51:52], v[45:46] offset0:12 offset1:13
	ds_write2_b64 v5, v[49:50], v[47:48] offset0:14 offset1:15
	s_waitcnt vmcnt(20)
	ds_write2_b64 v5, v[53:54], v[55:56] offset0:16 offset1:17
	s_waitcnt vmcnt(16)
	;; [unrolled: 2-line block ×6, first 2 shown]
	ds_write2_b64 v5, v[73:74], v[75:76] offset0:26 offset1:27
	s_cmpk_lg_i32 s5, 0x3f0
	s_cbranch_scc1 .LBB125_83
; %bb.84:
	ds_read2_b64 v[25:28], v255 offset1:1
	s_waitcnt lgkmcnt(0)
	v_cmp_neq_f64_e32 vcc_lo, 0, v[25:26]
	v_cmp_neq_f64_e64 s5, 0, v[27:28]
	s_or_b32 s5, vcc_lo, s5
	s_and_b32 exec_lo, exec_lo, s5
	s_cbranch_execz .LBB125_90
; %bb.85:
	v_cmp_ngt_f64_e64 s5, |v[25:26]|, |v[27:28]|
                                        ; implicit-def: $vgpr1_vgpr2
	s_and_saveexec_b32 s7, s5
	s_xor_b32 s5, exec_lo, s7
                                        ; implicit-def: $vgpr3_vgpr4
	s_cbranch_execz .LBB125_87
; %bb.86:
	v_div_scale_f64 v[1:2], null, v[27:28], v[27:28], v[25:26]
	v_div_scale_f64 v[31:32], vcc_lo, v[25:26], v[27:28], v[25:26]
	v_rcp_f64_e32 v[3:4], v[1:2]
	v_fma_f64 v[29:30], -v[1:2], v[3:4], 1.0
	v_fma_f64 v[3:4], v[3:4], v[29:30], v[3:4]
	v_fma_f64 v[29:30], -v[1:2], v[3:4], 1.0
	v_fma_f64 v[3:4], v[3:4], v[29:30], v[3:4]
	v_mul_f64 v[29:30], v[31:32], v[3:4]
	v_fma_f64 v[1:2], -v[1:2], v[29:30], v[31:32]
	v_div_fmas_f64 v[1:2], v[1:2], v[3:4], v[29:30]
	v_div_fixup_f64 v[1:2], v[1:2], v[27:28], v[25:26]
	v_fma_f64 v[3:4], v[25:26], v[1:2], v[27:28]
	v_div_scale_f64 v[25:26], null, v[3:4], v[3:4], 1.0
	v_rcp_f64_e32 v[27:28], v[25:26]
	v_fma_f64 v[29:30], -v[25:26], v[27:28], 1.0
	v_fma_f64 v[27:28], v[27:28], v[29:30], v[27:28]
	v_fma_f64 v[29:30], -v[25:26], v[27:28], 1.0
	v_fma_f64 v[27:28], v[27:28], v[29:30], v[27:28]
	v_div_scale_f64 v[29:30], vcc_lo, 1.0, v[3:4], 1.0
	v_mul_f64 v[31:32], v[29:30], v[27:28]
	v_fma_f64 v[25:26], -v[25:26], v[31:32], v[29:30]
	v_div_fmas_f64 v[25:26], v[25:26], v[27:28], v[31:32]
	v_div_fixup_f64 v[3:4], v[25:26], v[3:4], 1.0
                                        ; implicit-def: $vgpr25_vgpr26
	v_mul_f64 v[1:2], v[1:2], v[3:4]
	v_xor_b32_e32 v4, 0x80000000, v4
.LBB125_87:
	s_andn2_saveexec_b32 s5, s5
	s_cbranch_execz .LBB125_89
; %bb.88:
	v_div_scale_f64 v[1:2], null, v[25:26], v[25:26], v[27:28]
	v_div_scale_f64 v[31:32], vcc_lo, v[27:28], v[25:26], v[27:28]
	v_rcp_f64_e32 v[3:4], v[1:2]
	v_fma_f64 v[29:30], -v[1:2], v[3:4], 1.0
	v_fma_f64 v[3:4], v[3:4], v[29:30], v[3:4]
	v_fma_f64 v[29:30], -v[1:2], v[3:4], 1.0
	v_fma_f64 v[3:4], v[3:4], v[29:30], v[3:4]
	v_mul_f64 v[29:30], v[31:32], v[3:4]
	v_fma_f64 v[1:2], -v[1:2], v[29:30], v[31:32]
	v_div_fmas_f64 v[1:2], v[1:2], v[3:4], v[29:30]
	v_div_fixup_f64 v[3:4], v[1:2], v[25:26], v[27:28]
	v_fma_f64 v[1:2], v[27:28], v[3:4], v[25:26]
	v_div_scale_f64 v[25:26], null, v[1:2], v[1:2], 1.0
	v_rcp_f64_e32 v[27:28], v[25:26]
	v_fma_f64 v[29:30], -v[25:26], v[27:28], 1.0
	v_fma_f64 v[27:28], v[27:28], v[29:30], v[27:28]
	v_fma_f64 v[29:30], -v[25:26], v[27:28], 1.0
	v_fma_f64 v[27:28], v[27:28], v[29:30], v[27:28]
	v_div_scale_f64 v[29:30], vcc_lo, 1.0, v[1:2], 1.0
	v_mul_f64 v[31:32], v[29:30], v[27:28]
	v_fma_f64 v[25:26], -v[25:26], v[31:32], v[29:30]
	v_div_fmas_f64 v[25:26], v[25:26], v[27:28], v[31:32]
	v_div_fixup_f64 v[1:2], v[25:26], v[1:2], 1.0
	v_mul_f64 v[3:4], v[3:4], -v[1:2]
.LBB125_89:
	s_or_b32 exec_lo, exec_lo, s5
	ds_write2_b64 v255, v[1:2], v[3:4] offset1:1
.LBB125_90:
	s_or_b32 exec_lo, exec_lo, s6
	s_waitcnt lgkmcnt(0)
	s_barrier
	buffer_gl0_inv
	ds_read2_b64 v[25:28], v255 offset1:1
	s_mov_b32 s5, exec_lo
	v_cmpx_lt_u32_e32 6, v0
	s_cbranch_execz .LBB125_93
; %bb.91:
	s_clause 0x3
	buffer_load_dword v1, off, s[0:3], 0 offset:104
	buffer_load_dword v2, off, s[0:3], 0 offset:108
	;; [unrolled: 1-line block ×4, first 2 shown]
	s_movk_i32 s6, 0x70
	s_waitcnt vmcnt(2) lgkmcnt(0)
	v_mul_f64 v[29:30], v[27:28], v[1:2]
	v_mul_f64 v[1:2], v[25:26], v[1:2]
	s_waitcnt vmcnt(0)
	v_fma_f64 v[29:30], v[25:26], v[3:4], -v[29:30]
	v_fma_f64 v[31:32], v[27:28], v[3:4], v[1:2]
	buffer_store_dword v29, off, s[0:3], 0 offset:96
	buffer_store_dword v30, off, s[0:3], 0 offset:100
	;; [unrolled: 1-line block ×4, first 2 shown]
.LBB125_92:                             ; =>This Inner Loop Header: Depth=1
	v_mov_b32_e32 v5, s6
	v_add_nc_u32_e32 v6, s6, v249
	s_addk_i32 s6, 0x70
	s_clause 0x3
	buffer_load_dword v37, v5, s[0:3], 0 offen
	buffer_load_dword v38, v5, s[0:3], 0 offen offset:4
	buffer_load_dword v39, v5, s[0:3], 0 offen offset:8
	;; [unrolled: 1-line block ×3, first 2 shown]
	ds_read2_b64 v[1:4], v6 offset1:1
	ds_read2_b64 v[33:36], v6 offset0:2 offset1:3
	s_clause 0x7
	buffer_load_dword v41, v5, s[0:3], 0 offen offset:16
	buffer_load_dword v43, v5, s[0:3], 0 offen offset:24
	;; [unrolled: 1-line block ×8, first 2 shown]
	s_cmpk_lg_i32 s6, 0x3f0
	s_waitcnt lgkmcnt(1)
	v_mul_f64 v[51:52], v[3:4], v[31:32]
	v_mul_f64 v[31:32], v[1:2], v[31:32]
	v_fma_f64 v[1:2], v[1:2], v[29:30], -v[51:52]
	v_fma_f64 v[3:4], v[3:4], v[29:30], v[31:32]
	s_waitcnt vmcnt(10)
	v_add_f64 v[1:2], v[37:38], -v[1:2]
	s_waitcnt vmcnt(8)
	v_add_f64 v[3:4], v[39:40], -v[3:4]
	buffer_store_dword v2, v5, s[0:3], 0 offen offset:4
	buffer_store_dword v1, v5, s[0:3], 0 offen
	buffer_store_dword v4, v5, s[0:3], 0 offen offset:12
	buffer_store_dword v3, v5, s[0:3], 0 offen offset:8
	s_clause 0x7
	buffer_load_dword v2, off, s[0:3], 0 offset:108
	buffer_load_dword v1, off, s[0:3], 0 offset:104
	;; [unrolled: 1-line block ×4, first 2 shown]
	buffer_load_dword v45, v5, s[0:3], 0 offen offset:32
	buffer_load_dword v49, v5, s[0:3], 0 offen offset:44
	;; [unrolled: 1-line block ×4, first 2 shown]
	s_waitcnt vmcnt(6) lgkmcnt(0)
	v_mul_f64 v[29:30], v[35:36], v[1:2]
	v_mul_f64 v[1:2], v[33:34], v[1:2]
	s_waitcnt vmcnt(4)
	v_fma_f64 v[29:30], v[33:34], v[3:4], -v[29:30]
	v_fma_f64 v[1:2], v[35:36], v[3:4], v[1:2]
	v_add_f64 v[3:4], v[41:42], -v[29:30]
	v_add_f64 v[1:2], v[43:44], -v[1:2]
	buffer_store_dword v4, v5, s[0:3], 0 offen offset:20
	buffer_store_dword v3, v5, s[0:3], 0 offen offset:16
	;; [unrolled: 1-line block ×4, first 2 shown]
	s_clause 0x3
	buffer_load_dword v33, off, s[0:3], 0 offset:104
	buffer_load_dword v34, off, s[0:3], 0 offset:108
	;; [unrolled: 1-line block ×4, first 2 shown]
	ds_read2_b64 v[1:4], v6 offset0:4 offset1:5
	ds_read2_b64 v[29:32], v6 offset0:6 offset1:7
	s_waitcnt vmcnt(2) lgkmcnt(1)
	v_mul_f64 v[38:39], v[3:4], v[33:34]
	v_mul_f64 v[33:34], v[1:2], v[33:34]
	s_waitcnt vmcnt(0)
	v_fma_f64 v[1:2], v[1:2], v[35:36], -v[38:39]
	v_fma_f64 v[3:4], v[3:4], v[35:36], v[33:34]
	v_add_f64 v[1:2], v[45:46], -v[1:2]
	v_add_f64 v[3:4], v[48:49], -v[3:4]
	buffer_store_dword v2, v5, s[0:3], 0 offen offset:36
	buffer_store_dword v1, v5, s[0:3], 0 offen offset:32
	;; [unrolled: 1-line block ×4, first 2 shown]
	s_clause 0x7
	buffer_load_dword v1, off, s[0:3], 0 offset:104
	buffer_load_dword v2, off, s[0:3], 0 offset:108
	;; [unrolled: 1-line block ×4, first 2 shown]
	buffer_load_dword v46, v5, s[0:3], 0 offen offset:48
	buffer_load_dword v40, v5, s[0:3], 0 offen offset:68
	buffer_load_dword v41, v5, s[0:3], 0 offen offset:84
	buffer_load_dword v42, v5, s[0:3], 0 offen offset:96
	s_waitcnt vmcnt(6) lgkmcnt(0)
	v_mul_f64 v[33:34], v[31:32], v[1:2]
	v_mul_f64 v[1:2], v[29:30], v[1:2]
	s_waitcnt vmcnt(4)
	v_fma_f64 v[29:30], v[29:30], v[3:4], -v[33:34]
	v_fma_f64 v[1:2], v[31:32], v[3:4], v[1:2]
	s_waitcnt vmcnt(3)
	v_add_f64 v[3:4], v[46:47], -v[29:30]
	v_add_f64 v[1:2], v[50:51], -v[1:2]
	buffer_store_dword v4, v5, s[0:3], 0 offen offset:52
	buffer_store_dword v3, v5, s[0:3], 0 offen offset:48
	;; [unrolled: 1-line block ×4, first 2 shown]
	s_clause 0x5
	buffer_load_dword v29, off, s[0:3], 0 offset:104
	buffer_load_dword v30, off, s[0:3], 0 offset:108
	;; [unrolled: 1-line block ×4, first 2 shown]
	buffer_load_dword v39, v5, s[0:3], 0 offen offset:64
	buffer_load_dword v38, v5, s[0:3], 0 offen offset:76
	ds_read2_b64 v[1:4], v6 offset0:8 offset1:9
	ds_read2_b64 v[33:36], v6 offset0:10 offset1:11
	s_clause 0x1
	buffer_load_dword v44, v5, s[0:3], 0 offen offset:88
	buffer_load_dword v43, v5, s[0:3], 0 offen offset:100
	s_waitcnt vmcnt(6) lgkmcnt(1)
	v_mul_f64 v[45:46], v[3:4], v[29:30]
	v_mul_f64 v[29:30], v[1:2], v[29:30]
	s_waitcnt vmcnt(4)
	v_fma_f64 v[1:2], v[1:2], v[31:32], -v[45:46]
	v_fma_f64 v[3:4], v[3:4], v[31:32], v[29:30]
	s_waitcnt vmcnt(3)
	v_add_f64 v[1:2], v[39:40], -v[1:2]
	s_waitcnt vmcnt(2)
	v_add_f64 v[3:4], v[37:38], -v[3:4]
	buffer_store_dword v2, v5, s[0:3], 0 offen offset:68
	buffer_store_dword v1, v5, s[0:3], 0 offen offset:64
	;; [unrolled: 1-line block ×4, first 2 shown]
	s_clause 0x7
	buffer_load_dword v31, off, s[0:3], 0 offset:104
	buffer_load_dword v32, off, s[0:3], 0 offset:108
	;; [unrolled: 1-line block ×4, first 2 shown]
	buffer_load_dword v40, v5, s[0:3], 0 offen offset:80
	buffer_load_dword v45, v5, s[0:3], 0 offen offset:92
	;; [unrolled: 1-line block ×4, first 2 shown]
	ds_read2_b64 v[1:4], v6 offset0:12 offset1:13
	s_waitcnt vmcnt(6) lgkmcnt(1)
	v_mul_f64 v[46:47], v[35:36], v[31:32]
	v_mul_f64 v[48:49], v[33:34], v[31:32]
	s_waitcnt lgkmcnt(0)
	v_mul_f64 v[50:51], v[3:4], v[31:32]
	v_mul_f64 v[52:53], v[1:2], v[31:32]
	s_waitcnt vmcnt(4)
	v_fma_f64 v[33:34], v[33:34], v[29:30], -v[46:47]
	v_fma_f64 v[35:36], v[35:36], v[29:30], v[48:49]
	v_fma_f64 v[1:2], v[1:2], v[29:30], -v[50:51]
	v_fma_f64 v[3:4], v[3:4], v[29:30], v[52:53]
	s_waitcnt vmcnt(3)
	v_add_f64 v[33:34], v[40:41], -v[33:34]
	s_waitcnt vmcnt(2)
	v_add_f64 v[35:36], v[44:45], -v[35:36]
	v_add_f64 v[1:2], v[42:43], -v[1:2]
	s_waitcnt vmcnt(0)
	v_add_f64 v[3:4], v[37:38], -v[3:4]
	buffer_store_dword v34, v5, s[0:3], 0 offen offset:84
	buffer_store_dword v33, v5, s[0:3], 0 offen offset:80
	;; [unrolled: 1-line block ×8, first 2 shown]
	s_cbranch_scc1 .LBB125_92
.LBB125_93:
	s_or_b32 exec_lo, exec_lo, s5
	s_mov_b32 s6, exec_lo
	s_waitcnt lgkmcnt(0)
	s_waitcnt_vscnt null, 0x0
	s_barrier
	buffer_gl0_inv
	v_cmpx_eq_u32_e32 7, v0
	s_cbranch_execz .LBB125_102
; %bb.94:
	v_mov_b32_e32 v4, s71
	s_movk_i32 s5, 0x80
	s_clause 0x3
	buffer_load_dword v1, v4, s[0:3], 0 offen
	buffer_load_dword v2, v4, s[0:3], 0 offen offset:4
	buffer_load_dword v3, v4, s[0:3], 0 offen offset:8
	;; [unrolled: 1-line block ×3, first 2 shown]
	s_waitcnt vmcnt(0)
	ds_write2_b64 v255, v[1:2], v[3:4] offset1:1
.LBB125_95:                             ; =>This Inner Loop Header: Depth=1
	v_mov_b32_e32 v5, s5
	s_clause 0x2b
	buffer_load_dword v1, v5, s[0:3], 0 offen
	buffer_load_dword v2, v5, s[0:3], 0 offen offset:4
	buffer_load_dword v3, v5, s[0:3], 0 offen offset:8
	;; [unrolled: 1-line block ×43, first 2 shown]
	v_add_nc_u32_e32 v5, s5, v249
	s_addk_i32 s5, 0xb0
	s_waitcnt vmcnt(40)
	ds_write2_b64 v5, v[1:2], v[3:4] offset1:1
	s_waitcnt vmcnt(36)
	ds_write2_b64 v5, v[29:30], v[31:32] offset0:2 offset1:3
	s_waitcnt vmcnt(32)
	ds_write2_b64 v5, v[33:34], v[35:36] offset0:4 offset1:5
	;; [unrolled: 2-line block ×4, first 2 shown]
	ds_write2_b64 v5, v[45:46], v[43:44] offset0:10 offset1:11
	s_waitcnt vmcnt(12)
	ds_write2_b64 v5, v[55:56], v[49:50] offset0:12 offset1:13
	ds_write2_b64 v5, v[53:54], v[51:52] offset0:14 offset1:15
	s_waitcnt vmcnt(8)
	ds_write2_b64 v5, v[57:58], v[59:60] offset0:16 offset1:17
	s_waitcnt vmcnt(4)
	;; [unrolled: 2-line block ×3, first 2 shown]
	ds_write2_b64 v5, v[65:66], v[67:68] offset0:20 offset1:21
	s_cmpk_lg_i32 s5, 0x3f0
	s_cbranch_scc1 .LBB125_95
; %bb.96:
	ds_read2_b64 v[29:32], v255 offset1:1
	s_waitcnt lgkmcnt(0)
	v_cmp_neq_f64_e32 vcc_lo, 0, v[29:30]
	v_cmp_neq_f64_e64 s5, 0, v[31:32]
	s_or_b32 s5, vcc_lo, s5
	s_and_b32 exec_lo, exec_lo, s5
	s_cbranch_execz .LBB125_102
; %bb.97:
	v_cmp_ngt_f64_e64 s5, |v[29:30]|, |v[31:32]|
                                        ; implicit-def: $vgpr1_vgpr2
	s_and_saveexec_b32 s7, s5
	s_xor_b32 s5, exec_lo, s7
                                        ; implicit-def: $vgpr3_vgpr4
	s_cbranch_execz .LBB125_99
; %bb.98:
	v_div_scale_f64 v[1:2], null, v[31:32], v[31:32], v[29:30]
	v_div_scale_f64 v[35:36], vcc_lo, v[29:30], v[31:32], v[29:30]
	v_rcp_f64_e32 v[3:4], v[1:2]
	v_fma_f64 v[33:34], -v[1:2], v[3:4], 1.0
	v_fma_f64 v[3:4], v[3:4], v[33:34], v[3:4]
	v_fma_f64 v[33:34], -v[1:2], v[3:4], 1.0
	v_fma_f64 v[3:4], v[3:4], v[33:34], v[3:4]
	v_mul_f64 v[33:34], v[35:36], v[3:4]
	v_fma_f64 v[1:2], -v[1:2], v[33:34], v[35:36]
	v_div_fmas_f64 v[1:2], v[1:2], v[3:4], v[33:34]
	v_div_fixup_f64 v[1:2], v[1:2], v[31:32], v[29:30]
	v_fma_f64 v[3:4], v[29:30], v[1:2], v[31:32]
	v_div_scale_f64 v[29:30], null, v[3:4], v[3:4], 1.0
	v_rcp_f64_e32 v[31:32], v[29:30]
	v_fma_f64 v[33:34], -v[29:30], v[31:32], 1.0
	v_fma_f64 v[31:32], v[31:32], v[33:34], v[31:32]
	v_fma_f64 v[33:34], -v[29:30], v[31:32], 1.0
	v_fma_f64 v[31:32], v[31:32], v[33:34], v[31:32]
	v_div_scale_f64 v[33:34], vcc_lo, 1.0, v[3:4], 1.0
	v_mul_f64 v[35:36], v[33:34], v[31:32]
	v_fma_f64 v[29:30], -v[29:30], v[35:36], v[33:34]
	v_div_fmas_f64 v[29:30], v[29:30], v[31:32], v[35:36]
	v_div_fixup_f64 v[3:4], v[29:30], v[3:4], 1.0
                                        ; implicit-def: $vgpr29_vgpr30
	v_mul_f64 v[1:2], v[1:2], v[3:4]
	v_xor_b32_e32 v4, 0x80000000, v4
.LBB125_99:
	s_andn2_saveexec_b32 s5, s5
	s_cbranch_execz .LBB125_101
; %bb.100:
	v_div_scale_f64 v[1:2], null, v[29:30], v[29:30], v[31:32]
	v_div_scale_f64 v[35:36], vcc_lo, v[31:32], v[29:30], v[31:32]
	v_rcp_f64_e32 v[3:4], v[1:2]
	v_fma_f64 v[33:34], -v[1:2], v[3:4], 1.0
	v_fma_f64 v[3:4], v[3:4], v[33:34], v[3:4]
	v_fma_f64 v[33:34], -v[1:2], v[3:4], 1.0
	v_fma_f64 v[3:4], v[3:4], v[33:34], v[3:4]
	v_mul_f64 v[33:34], v[35:36], v[3:4]
	v_fma_f64 v[1:2], -v[1:2], v[33:34], v[35:36]
	v_div_fmas_f64 v[1:2], v[1:2], v[3:4], v[33:34]
	v_div_fixup_f64 v[3:4], v[1:2], v[29:30], v[31:32]
	v_fma_f64 v[1:2], v[31:32], v[3:4], v[29:30]
	v_div_scale_f64 v[29:30], null, v[1:2], v[1:2], 1.0
	v_rcp_f64_e32 v[31:32], v[29:30]
	v_fma_f64 v[33:34], -v[29:30], v[31:32], 1.0
	v_fma_f64 v[31:32], v[31:32], v[33:34], v[31:32]
	v_fma_f64 v[33:34], -v[29:30], v[31:32], 1.0
	v_fma_f64 v[31:32], v[31:32], v[33:34], v[31:32]
	v_div_scale_f64 v[33:34], vcc_lo, 1.0, v[1:2], 1.0
	v_mul_f64 v[35:36], v[33:34], v[31:32]
	v_fma_f64 v[29:30], -v[29:30], v[35:36], v[33:34]
	v_div_fmas_f64 v[29:30], v[29:30], v[31:32], v[35:36]
	v_div_fixup_f64 v[1:2], v[29:30], v[1:2], 1.0
	v_mul_f64 v[3:4], v[3:4], -v[1:2]
.LBB125_101:
	s_or_b32 exec_lo, exec_lo, s5
	ds_write2_b64 v255, v[1:2], v[3:4] offset1:1
.LBB125_102:
	s_or_b32 exec_lo, exec_lo, s6
	s_waitcnt lgkmcnt(0)
	s_barrier
	buffer_gl0_inv
	ds_read2_b64 v[29:32], v255 offset1:1
	s_mov_b32 s5, exec_lo
	v_cmpx_lt_u32_e32 7, v0
	s_cbranch_execz .LBB125_105
; %bb.103:
	s_clause 0x3
	buffer_load_dword v1, off, s[0:3], 0 offset:120
	buffer_load_dword v2, off, s[0:3], 0 offset:124
	;; [unrolled: 1-line block ×4, first 2 shown]
	s_movk_i32 s6, 0x80
	s_waitcnt vmcnt(2) lgkmcnt(0)
	v_mul_f64 v[33:34], v[31:32], v[1:2]
	v_mul_f64 v[1:2], v[29:30], v[1:2]
	s_waitcnt vmcnt(0)
	v_fma_f64 v[33:34], v[29:30], v[3:4], -v[33:34]
	v_fma_f64 v[1:2], v[31:32], v[3:4], v[1:2]
	buffer_store_dword v33, off, s[0:3], 0 offset:112
	buffer_store_dword v34, off, s[0:3], 0 offset:116
	;; [unrolled: 1-line block ×4, first 2 shown]
.LBB125_104:                            ; =>This Inner Loop Header: Depth=1
	s_clause 0x3
	buffer_load_dword v37, off, s[0:3], 0 offset:120
	buffer_load_dword v38, off, s[0:3], 0 offset:124
	;; [unrolled: 1-line block ×4, first 2 shown]
	v_mov_b32_e32 v5, s6
	v_add_nc_u32_e32 v6, s6, v249
	s_addk_i32 s6, 0x50
	s_clause 0x3
	buffer_load_dword v41, v5, s[0:3], 0 offen
	buffer_load_dword v42, v5, s[0:3], 0 offen offset:4
	buffer_load_dword v43, v5, s[0:3], 0 offen offset:8
	;; [unrolled: 1-line block ×3, first 2 shown]
	ds_read2_b64 v[1:4], v6 offset1:1
	ds_read2_b64 v[33:36], v6 offset0:2 offset1:3
	s_cmpk_lg_i32 s6, 0x3f0
	s_waitcnt vmcnt(6) lgkmcnt(1)
	v_mul_f64 v[45:46], v[3:4], v[37:38]
	v_mul_f64 v[37:38], v[1:2], v[37:38]
	s_waitcnt vmcnt(4)
	v_fma_f64 v[1:2], v[1:2], v[39:40], -v[45:46]
	v_fma_f64 v[3:4], v[3:4], v[39:40], v[37:38]
	s_clause 0x3
	buffer_load_dword v37, v5, s[0:3], 0 offen offset:16
	buffer_load_dword v38, v5, s[0:3], 0 offen offset:20
	;; [unrolled: 1-line block ×4, first 2 shown]
	s_waitcnt vmcnt(6)
	v_add_f64 v[1:2], v[41:42], -v[1:2]
	s_waitcnt vmcnt(4)
	v_add_f64 v[3:4], v[43:44], -v[3:4]
	buffer_store_dword v2, v5, s[0:3], 0 offen offset:4
	buffer_store_dword v1, v5, s[0:3], 0 offen
	buffer_store_dword v4, v5, s[0:3], 0 offen offset:12
	buffer_store_dword v3, v5, s[0:3], 0 offen offset:8
	s_clause 0x3
	buffer_load_dword v2, off, s[0:3], 0 offset:124
	buffer_load_dword v1, off, s[0:3], 0 offset:120
	;; [unrolled: 1-line block ×4, first 2 shown]
	s_waitcnt vmcnt(2) lgkmcnt(0)
	v_mul_f64 v[41:42], v[35:36], v[1:2]
	v_mul_f64 v[1:2], v[33:34], v[1:2]
	s_waitcnt vmcnt(0)
	v_fma_f64 v[33:34], v[33:34], v[3:4], -v[41:42]
	v_fma_f64 v[1:2], v[35:36], v[3:4], v[1:2]
	v_add_f64 v[3:4], v[37:38], -v[33:34]
	v_add_f64 v[1:2], v[39:40], -v[1:2]
	s_clause 0x3
	buffer_load_dword v37, v5, s[0:3], 0 offen offset:32
	buffer_load_dword v38, v5, s[0:3], 0 offen offset:36
	;; [unrolled: 1-line block ×4, first 2 shown]
	buffer_store_dword v4, v5, s[0:3], 0 offen offset:20
	buffer_store_dword v3, v5, s[0:3], 0 offen offset:16
	;; [unrolled: 1-line block ×4, first 2 shown]
	s_clause 0x3
	buffer_load_dword v41, off, s[0:3], 0 offset:120
	buffer_load_dword v42, off, s[0:3], 0 offset:124
	;; [unrolled: 1-line block ×4, first 2 shown]
	ds_read2_b64 v[1:4], v6 offset0:4 offset1:5
	ds_read2_b64 v[33:36], v6 offset0:6 offset1:7
	s_waitcnt vmcnt(2) lgkmcnt(1)
	v_mul_f64 v[45:46], v[3:4], v[41:42]
	v_mul_f64 v[41:42], v[1:2], v[41:42]
	s_waitcnt vmcnt(0)
	v_fma_f64 v[1:2], v[1:2], v[43:44], -v[45:46]
	v_fma_f64 v[3:4], v[3:4], v[43:44], v[41:42]
	v_add_f64 v[1:2], v[37:38], -v[1:2]
	v_add_f64 v[3:4], v[39:40], -v[3:4]
	buffer_store_dword v2, v5, s[0:3], 0 offen offset:36
	buffer_store_dword v1, v5, s[0:3], 0 offen offset:32
	;; [unrolled: 1-line block ×4, first 2 shown]
	s_clause 0x7
	buffer_load_dword v1, off, s[0:3], 0 offset:120
	buffer_load_dword v2, off, s[0:3], 0 offset:124
	;; [unrolled: 1-line block ×4, first 2 shown]
	buffer_load_dword v37, v5, s[0:3], 0 offen offset:48
	buffer_load_dword v38, v5, s[0:3], 0 offen offset:52
	;; [unrolled: 1-line block ×4, first 2 shown]
	s_waitcnt vmcnt(6) lgkmcnt(0)
	v_mul_f64 v[41:42], v[35:36], v[1:2]
	v_mul_f64 v[1:2], v[33:34], v[1:2]
	s_waitcnt vmcnt(4)
	v_fma_f64 v[33:34], v[33:34], v[3:4], -v[41:42]
	v_fma_f64 v[1:2], v[35:36], v[3:4], v[1:2]
	s_waitcnt vmcnt(2)
	v_add_f64 v[3:4], v[37:38], -v[33:34]
	s_waitcnt vmcnt(0)
	v_add_f64 v[1:2], v[39:40], -v[1:2]
	buffer_store_dword v4, v5, s[0:3], 0 offen offset:52
	buffer_store_dword v3, v5, s[0:3], 0 offen offset:48
	;; [unrolled: 1-line block ×4, first 2 shown]
	s_clause 0x7
	buffer_load_dword v33, off, s[0:3], 0 offset:120
	buffer_load_dword v34, off, s[0:3], 0 offset:124
	;; [unrolled: 1-line block ×4, first 2 shown]
	buffer_load_dword v37, v5, s[0:3], 0 offen offset:64
	buffer_load_dword v38, v5, s[0:3], 0 offen offset:68
	;; [unrolled: 1-line block ×4, first 2 shown]
	ds_read2_b64 v[1:4], v6 offset0:8 offset1:9
	s_waitcnt vmcnt(6) lgkmcnt(0)
	v_mul_f64 v[41:42], v[3:4], v[33:34]
	v_mul_f64 v[33:34], v[1:2], v[33:34]
	s_waitcnt vmcnt(4)
	v_fma_f64 v[1:2], v[1:2], v[35:36], -v[41:42]
	v_fma_f64 v[3:4], v[3:4], v[35:36], v[33:34]
	s_waitcnt vmcnt(2)
	v_add_f64 v[1:2], v[37:38], -v[1:2]
	s_waitcnt vmcnt(0)
	v_add_f64 v[3:4], v[39:40], -v[3:4]
	buffer_store_dword v2, v5, s[0:3], 0 offen offset:68
	buffer_store_dword v1, v5, s[0:3], 0 offen offset:64
	;; [unrolled: 1-line block ×4, first 2 shown]
	s_cbranch_scc1 .LBB125_104
.LBB125_105:
	s_or_b32 exec_lo, exec_lo, s5
	s_mov_b32 s6, exec_lo
	s_waitcnt lgkmcnt(0)
	s_waitcnt_vscnt null, 0x0
	s_barrier
	buffer_gl0_inv
	v_cmpx_eq_u32_e32 8, v0
	s_cbranch_execz .LBB125_114
; %bb.106:
	v_mov_b32_e32 v4, s70
	s_movk_i32 s5, 0x90
	s_clause 0x3
	buffer_load_dword v1, v4, s[0:3], 0 offen
	buffer_load_dword v2, v4, s[0:3], 0 offen offset:4
	buffer_load_dword v3, v4, s[0:3], 0 offen offset:8
	;; [unrolled: 1-line block ×3, first 2 shown]
	s_waitcnt vmcnt(0)
	ds_write2_b64 v255, v[1:2], v[3:4] offset1:1
.LBB125_107:                            ; =>This Inner Loop Header: Depth=1
	v_mov_b32_e32 v5, s5
	s_clause 0x3e
	buffer_load_dword v1, v5, s[0:3], 0 offen
	buffer_load_dword v2, v5, s[0:3], 0 offen offset:4
	buffer_load_dword v3, v5, s[0:3], 0 offen offset:8
	;; [unrolled: 1-line block ×62, first 2 shown]
	s_clause 0x8
	buffer_load_dword v92, v5, s[0:3], 0 offen offset:252
	buffer_load_dword v93, v5, s[0:3], 0 offen offset:256
	;; [unrolled: 1-line block ×9, first 2 shown]
	v_add_nc_u32_e32 v5, s5, v249
	s_addk_i32 s5, 0x120
	s_waitcnt vmcnt(62)
	ds_write2_b64 v5, v[1:2], v[3:4] offset1:1
	ds_write2_b64 v5, v[33:34], v[35:36] offset0:2 offset1:3
	s_waitcnt vmcnt(60)
	ds_write2_b64 v5, v[37:38], v[39:40] offset0:4 offset1:5
	s_waitcnt vmcnt(56)
	;; [unrolled: 2-line block ×3, first 2 shown]
	ds_write2_b64 v5, v[51:52], v[45:46] offset0:8 offset1:9
	ds_write2_b64 v5, v[49:50], v[47:48] offset0:10 offset1:11
	s_waitcnt vmcnt(40)
	ds_write2_b64 v5, v[59:60], v[53:54] offset0:12 offset1:13
	ds_write2_b64 v5, v[57:58], v[55:56] offset0:14 offset1:15
	s_waitcnt vmcnt(36)
	ds_write2_b64 v5, v[61:62], v[63:64] offset0:16 offset1:17
	s_waitcnt vmcnt(32)
	;; [unrolled: 2-line block ×10, first 2 shown]
	ds_write2_b64 v5, v[97:98], v[99:100] offset0:34 offset1:35
	s_cmpk_lg_i32 s5, 0x3f0
	s_cbranch_scc1 .LBB125_107
; %bb.108:
	ds_read2_b64 v[33:36], v255 offset1:1
	s_waitcnt lgkmcnt(0)
	v_cmp_neq_f64_e32 vcc_lo, 0, v[33:34]
	v_cmp_neq_f64_e64 s5, 0, v[35:36]
	s_or_b32 s5, vcc_lo, s5
	s_and_b32 exec_lo, exec_lo, s5
	s_cbranch_execz .LBB125_114
; %bb.109:
	v_cmp_ngt_f64_e64 s5, |v[33:34]|, |v[35:36]|
                                        ; implicit-def: $vgpr1_vgpr2
	s_and_saveexec_b32 s7, s5
	s_xor_b32 s5, exec_lo, s7
                                        ; implicit-def: $vgpr3_vgpr4
	s_cbranch_execz .LBB125_111
; %bb.110:
	v_div_scale_f64 v[1:2], null, v[35:36], v[35:36], v[33:34]
	v_div_scale_f64 v[39:40], vcc_lo, v[33:34], v[35:36], v[33:34]
	v_rcp_f64_e32 v[3:4], v[1:2]
	v_fma_f64 v[37:38], -v[1:2], v[3:4], 1.0
	v_fma_f64 v[3:4], v[3:4], v[37:38], v[3:4]
	v_fma_f64 v[37:38], -v[1:2], v[3:4], 1.0
	v_fma_f64 v[3:4], v[3:4], v[37:38], v[3:4]
	v_mul_f64 v[37:38], v[39:40], v[3:4]
	v_fma_f64 v[1:2], -v[1:2], v[37:38], v[39:40]
	v_div_fmas_f64 v[1:2], v[1:2], v[3:4], v[37:38]
	v_div_fixup_f64 v[1:2], v[1:2], v[35:36], v[33:34]
	v_fma_f64 v[3:4], v[33:34], v[1:2], v[35:36]
	v_div_scale_f64 v[33:34], null, v[3:4], v[3:4], 1.0
	v_rcp_f64_e32 v[35:36], v[33:34]
	v_fma_f64 v[37:38], -v[33:34], v[35:36], 1.0
	v_fma_f64 v[35:36], v[35:36], v[37:38], v[35:36]
	v_fma_f64 v[37:38], -v[33:34], v[35:36], 1.0
	v_fma_f64 v[35:36], v[35:36], v[37:38], v[35:36]
	v_div_scale_f64 v[37:38], vcc_lo, 1.0, v[3:4], 1.0
	v_mul_f64 v[39:40], v[37:38], v[35:36]
	v_fma_f64 v[33:34], -v[33:34], v[39:40], v[37:38]
	v_div_fmas_f64 v[33:34], v[33:34], v[35:36], v[39:40]
	v_div_fixup_f64 v[3:4], v[33:34], v[3:4], 1.0
                                        ; implicit-def: $vgpr33_vgpr34
	v_mul_f64 v[1:2], v[1:2], v[3:4]
	v_xor_b32_e32 v4, 0x80000000, v4
.LBB125_111:
	s_andn2_saveexec_b32 s5, s5
	s_cbranch_execz .LBB125_113
; %bb.112:
	v_div_scale_f64 v[1:2], null, v[33:34], v[33:34], v[35:36]
	v_div_scale_f64 v[39:40], vcc_lo, v[35:36], v[33:34], v[35:36]
	v_rcp_f64_e32 v[3:4], v[1:2]
	v_fma_f64 v[37:38], -v[1:2], v[3:4], 1.0
	v_fma_f64 v[3:4], v[3:4], v[37:38], v[3:4]
	v_fma_f64 v[37:38], -v[1:2], v[3:4], 1.0
	v_fma_f64 v[3:4], v[3:4], v[37:38], v[3:4]
	v_mul_f64 v[37:38], v[39:40], v[3:4]
	v_fma_f64 v[1:2], -v[1:2], v[37:38], v[39:40]
	v_div_fmas_f64 v[1:2], v[1:2], v[3:4], v[37:38]
	v_div_fixup_f64 v[3:4], v[1:2], v[33:34], v[35:36]
	v_fma_f64 v[1:2], v[35:36], v[3:4], v[33:34]
	v_div_scale_f64 v[33:34], null, v[1:2], v[1:2], 1.0
	v_rcp_f64_e32 v[35:36], v[33:34]
	v_fma_f64 v[37:38], -v[33:34], v[35:36], 1.0
	v_fma_f64 v[35:36], v[35:36], v[37:38], v[35:36]
	v_fma_f64 v[37:38], -v[33:34], v[35:36], 1.0
	v_fma_f64 v[35:36], v[35:36], v[37:38], v[35:36]
	v_div_scale_f64 v[37:38], vcc_lo, 1.0, v[1:2], 1.0
	v_mul_f64 v[39:40], v[37:38], v[35:36]
	v_fma_f64 v[33:34], -v[33:34], v[39:40], v[37:38]
	v_div_fmas_f64 v[33:34], v[33:34], v[35:36], v[39:40]
	v_div_fixup_f64 v[1:2], v[33:34], v[1:2], 1.0
	v_mul_f64 v[3:4], v[3:4], -v[1:2]
.LBB125_113:
	s_or_b32 exec_lo, exec_lo, s5
	ds_write2_b64 v255, v[1:2], v[3:4] offset1:1
.LBB125_114:
	s_or_b32 exec_lo, exec_lo, s6
	s_waitcnt lgkmcnt(0)
	s_barrier
	buffer_gl0_inv
	ds_read2_b64 v[33:36], v255 offset1:1
	s_mov_b32 s5, exec_lo
	v_cmpx_lt_u32_e32 8, v0
	s_cbranch_execz .LBB125_117
; %bb.115:
	s_clause 0x3
	buffer_load_dword v1, off, s[0:3], 0 offset:136
	buffer_load_dword v2, off, s[0:3], 0 offset:140
	;; [unrolled: 1-line block ×4, first 2 shown]
	s_movk_i32 s6, 0x90
	s_waitcnt vmcnt(2) lgkmcnt(0)
	v_mul_f64 v[37:38], v[35:36], v[1:2]
	v_mul_f64 v[1:2], v[33:34], v[1:2]
	s_waitcnt vmcnt(0)
	v_fma_f64 v[37:38], v[33:34], v[3:4], -v[37:38]
	v_fma_f64 v[1:2], v[35:36], v[3:4], v[1:2]
	buffer_store_dword v37, off, s[0:3], 0 offset:128
	buffer_store_dword v38, off, s[0:3], 0 offset:132
	;; [unrolled: 1-line block ×4, first 2 shown]
.LBB125_116:                            ; =>This Inner Loop Header: Depth=1
	s_clause 0x3
	buffer_load_dword v41, off, s[0:3], 0 offset:136
	buffer_load_dword v42, off, s[0:3], 0 offset:140
	;; [unrolled: 1-line block ×4, first 2 shown]
	v_mov_b32_e32 v5, s6
	v_add_nc_u32_e32 v6, s6, v249
	s_addk_i32 s6, 0x60
	s_clause 0x3
	buffer_load_dword v45, v5, s[0:3], 0 offen
	buffer_load_dword v46, v5, s[0:3], 0 offen offset:4
	buffer_load_dword v47, v5, s[0:3], 0 offen offset:8
	;; [unrolled: 1-line block ×3, first 2 shown]
	ds_read2_b64 v[1:4], v6 offset1:1
	s_clause 0x3
	buffer_load_dword v49, v5, s[0:3], 0 offen offset:16
	buffer_load_dword v50, v5, s[0:3], 0 offen offset:20
	;; [unrolled: 1-line block ×4, first 2 shown]
	ds_read2_b64 v[37:40], v6 offset0:2 offset1:3
	s_cmpk_lg_i32 s6, 0x3f0
	s_waitcnt vmcnt(10) lgkmcnt(1)
	v_mul_f64 v[53:54], v[3:4], v[41:42]
	v_mul_f64 v[41:42], v[1:2], v[41:42]
	s_waitcnt vmcnt(8)
	v_fma_f64 v[1:2], v[1:2], v[43:44], -v[53:54]
	v_fma_f64 v[3:4], v[3:4], v[43:44], v[41:42]
	s_waitcnt vmcnt(6)
	v_add_f64 v[1:2], v[45:46], -v[1:2]
	s_waitcnt vmcnt(4)
	v_add_f64 v[3:4], v[47:48], -v[3:4]
	buffer_store_dword v2, v5, s[0:3], 0 offen offset:4
	buffer_store_dword v1, v5, s[0:3], 0 offen
	buffer_store_dword v4, v5, s[0:3], 0 offen offset:12
	buffer_store_dword v3, v5, s[0:3], 0 offen offset:8
	s_clause 0x3
	buffer_load_dword v2, off, s[0:3], 0 offset:140
	buffer_load_dword v1, off, s[0:3], 0 offset:136
	;; [unrolled: 1-line block ×4, first 2 shown]
	s_waitcnt vmcnt(2) lgkmcnt(0)
	v_mul_f64 v[41:42], v[39:40], v[1:2]
	v_mul_f64 v[1:2], v[37:38], v[1:2]
	s_waitcnt vmcnt(0)
	v_fma_f64 v[37:38], v[37:38], v[3:4], -v[41:42]
	v_fma_f64 v[1:2], v[39:40], v[3:4], v[1:2]
	s_clause 0x3
	buffer_load_dword v41, v5, s[0:3], 0 offen offset:32
	buffer_load_dword v42, v5, s[0:3], 0 offen offset:36
	;; [unrolled: 1-line block ×4, first 2 shown]
	v_add_f64 v[3:4], v[49:50], -v[37:38]
	v_add_f64 v[1:2], v[51:52], -v[1:2]
	buffer_store_dword v4, v5, s[0:3], 0 offen offset:20
	buffer_store_dword v3, v5, s[0:3], 0 offen offset:16
	;; [unrolled: 1-line block ×4, first 2 shown]
	s_clause 0x3
	buffer_load_dword v45, off, s[0:3], 0 offset:136
	buffer_load_dword v46, off, s[0:3], 0 offset:140
	buffer_load_dword v47, off, s[0:3], 0 offset:128
	buffer_load_dword v48, off, s[0:3], 0 offset:132
	ds_read2_b64 v[1:4], v6 offset0:4 offset1:5
	ds_read2_b64 v[37:40], v6 offset0:6 offset1:7
	s_waitcnt vmcnt(2) lgkmcnt(1)
	v_mul_f64 v[49:50], v[3:4], v[45:46]
	v_mul_f64 v[45:46], v[1:2], v[45:46]
	s_waitcnt vmcnt(0)
	v_fma_f64 v[1:2], v[1:2], v[47:48], -v[49:50]
	v_fma_f64 v[3:4], v[3:4], v[47:48], v[45:46]
	v_add_f64 v[1:2], v[41:42], -v[1:2]
	v_add_f64 v[3:4], v[43:44], -v[3:4]
	buffer_store_dword v2, v5, s[0:3], 0 offen offset:36
	buffer_store_dword v1, v5, s[0:3], 0 offen offset:32
	;; [unrolled: 1-line block ×4, first 2 shown]
	s_clause 0x7
	buffer_load_dword v1, off, s[0:3], 0 offset:136
	buffer_load_dword v2, off, s[0:3], 0 offset:140
	;; [unrolled: 1-line block ×4, first 2 shown]
	buffer_load_dword v41, v5, s[0:3], 0 offen offset:48
	buffer_load_dword v42, v5, s[0:3], 0 offen offset:52
	;; [unrolled: 1-line block ×4, first 2 shown]
	s_waitcnt vmcnt(6) lgkmcnt(0)
	v_mul_f64 v[45:46], v[39:40], v[1:2]
	v_mul_f64 v[1:2], v[37:38], v[1:2]
	s_waitcnt vmcnt(4)
	v_fma_f64 v[37:38], v[37:38], v[3:4], -v[45:46]
	v_fma_f64 v[1:2], v[39:40], v[3:4], v[1:2]
	s_waitcnt vmcnt(2)
	v_add_f64 v[3:4], v[41:42], -v[37:38]
	s_waitcnt vmcnt(0)
	v_add_f64 v[1:2], v[43:44], -v[1:2]
	buffer_store_dword v4, v5, s[0:3], 0 offen offset:52
	buffer_store_dword v3, v5, s[0:3], 0 offen offset:48
	;; [unrolled: 1-line block ×4, first 2 shown]
	s_clause 0x7
	buffer_load_dword v41, off, s[0:3], 0 offset:136
	buffer_load_dword v42, off, s[0:3], 0 offset:140
	;; [unrolled: 1-line block ×4, first 2 shown]
	buffer_load_dword v45, v5, s[0:3], 0 offen offset:64
	buffer_load_dword v46, v5, s[0:3], 0 offen offset:68
	;; [unrolled: 1-line block ×4, first 2 shown]
	ds_read2_b64 v[1:4], v6 offset0:8 offset1:9
	ds_read2_b64 v[37:40], v6 offset0:10 offset1:11
	s_waitcnt vmcnt(6) lgkmcnt(1)
	v_mul_f64 v[49:50], v[3:4], v[41:42]
	v_mul_f64 v[41:42], v[1:2], v[41:42]
	s_waitcnt vmcnt(4)
	v_fma_f64 v[1:2], v[1:2], v[43:44], -v[49:50]
	v_fma_f64 v[3:4], v[3:4], v[43:44], v[41:42]
	s_waitcnt vmcnt(2)
	v_add_f64 v[1:2], v[45:46], -v[1:2]
	s_waitcnt vmcnt(0)
	v_add_f64 v[3:4], v[47:48], -v[3:4]
	buffer_store_dword v2, v5, s[0:3], 0 offen offset:68
	buffer_store_dword v1, v5, s[0:3], 0 offen offset:64
	buffer_store_dword v4, v5, s[0:3], 0 offen offset:76
	buffer_store_dword v3, v5, s[0:3], 0 offen offset:72
	s_clause 0x7
	buffer_load_dword v1, off, s[0:3], 0 offset:136
	buffer_load_dword v2, off, s[0:3], 0 offset:140
	;; [unrolled: 1-line block ×4, first 2 shown]
	buffer_load_dword v41, v5, s[0:3], 0 offen offset:80
	buffer_load_dword v42, v5, s[0:3], 0 offen offset:84
	;; [unrolled: 1-line block ×4, first 2 shown]
	s_waitcnt vmcnt(6) lgkmcnt(0)
	v_mul_f64 v[45:46], v[39:40], v[1:2]
	v_mul_f64 v[1:2], v[37:38], v[1:2]
	s_waitcnt vmcnt(4)
	v_fma_f64 v[37:38], v[37:38], v[3:4], -v[45:46]
	v_fma_f64 v[1:2], v[39:40], v[3:4], v[1:2]
	s_waitcnt vmcnt(2)
	v_add_f64 v[3:4], v[41:42], -v[37:38]
	s_waitcnt vmcnt(0)
	v_add_f64 v[1:2], v[43:44], -v[1:2]
	buffer_store_dword v4, v5, s[0:3], 0 offen offset:84
	buffer_store_dword v3, v5, s[0:3], 0 offen offset:80
	;; [unrolled: 1-line block ×4, first 2 shown]
	s_cbranch_scc1 .LBB125_116
.LBB125_117:
	s_or_b32 exec_lo, exec_lo, s5
	s_mov_b32 s6, exec_lo
	s_waitcnt lgkmcnt(0)
	s_waitcnt_vscnt null, 0x0
	s_barrier
	buffer_gl0_inv
	v_cmpx_eq_u32_e32 9, v0
	s_cbranch_execz .LBB125_128
; %bb.118:
	v_mov_b32_e32 v4, s69
	s_movk_i32 s5, 0xa0
	s_clause 0x3
	buffer_load_dword v1, v4, s[0:3], 0 offen
	buffer_load_dword v2, v4, s[0:3], 0 offen offset:4
	buffer_load_dword v3, v4, s[0:3], 0 offen offset:8
	;; [unrolled: 1-line block ×3, first 2 shown]
	s_waitcnt vmcnt(0)
	ds_write2_b64 v255, v[1:2], v[3:4] offset1:1
	s_branch .LBB125_120
.LBB125_119:                            ;   in Loop: Header=BB125_120 Depth=1
	s_andn2_b32 vcc_lo, exec_lo, s8
	s_cbranch_vccz .LBB125_122
.LBB125_120:                            ; =>This Inner Loop Header: Depth=1
	v_mov_b32_e32 v1, s5
	s_mov_b32 s7, s5
	s_mov_b32 s8, -1
	s_cmpk_eq_i32 s5, 0x3a0
	s_clause 0x13
	buffer_load_dword v2, v1, s[0:3], 0 offen
	buffer_load_dword v3, v1, s[0:3], 0 offen offset:4
	buffer_load_dword v37, v1, s[0:3], 0 offen offset:8
	;; [unrolled: 1-line block ×19, first 2 shown]
	v_add_nc_u32_e32 v1, s5, v249
	s_waitcnt vmcnt(16)
	ds_write2_b64 v1, v[2:3], v[37:38] offset1:1
	s_waitcnt vmcnt(12)
	ds_write2_b64 v1, v[39:40], v[41:42] offset0:2 offset1:3
	s_waitcnt vmcnt(8)
	ds_write2_b64 v1, v[43:44], v[45:46] offset0:4 offset1:5
	;; [unrolled: 2-line block ×4, first 2 shown]
	s_cbranch_scc1 .LBB125_119
; %bb.121:                              ;   in Loop: Header=BB125_120 Depth=1
	v_mov_b32_e32 v4, s7
	s_addk_i32 s5, 0x80
	s_mov_b32 s8, 0
	s_clause 0xb
	buffer_load_dword v2, v4, s[0:3], 0 offen offset:80
	buffer_load_dword v3, v4, s[0:3], 0 offen offset:84
	;; [unrolled: 1-line block ×12, first 2 shown]
	s_waitcnt vmcnt(8)
	ds_write2_b64 v1, v[2:3], v[37:38] offset0:10 offset1:11
	s_waitcnt vmcnt(4)
	ds_write2_b64 v1, v[39:40], v[41:42] offset0:12 offset1:13
	;; [unrolled: 2-line block ×3, first 2 shown]
	s_branch .LBB125_119
.LBB125_122:
	ds_read2_b64 v[37:40], v255 offset1:1
	s_waitcnt lgkmcnt(0)
	v_cmp_neq_f64_e32 vcc_lo, 0, v[37:38]
	v_cmp_neq_f64_e64 s5, 0, v[39:40]
	s_or_b32 s5, vcc_lo, s5
	s_and_b32 exec_lo, exec_lo, s5
	s_cbranch_execz .LBB125_128
; %bb.123:
	v_cmp_ngt_f64_e64 s5, |v[37:38]|, |v[39:40]|
                                        ; implicit-def: $vgpr1_vgpr2
	s_and_saveexec_b32 s7, s5
	s_xor_b32 s5, exec_lo, s7
                                        ; implicit-def: $vgpr3_vgpr4
	s_cbranch_execz .LBB125_125
; %bb.124:
	v_div_scale_f64 v[1:2], null, v[39:40], v[39:40], v[37:38]
	v_div_scale_f64 v[43:44], vcc_lo, v[37:38], v[39:40], v[37:38]
	v_rcp_f64_e32 v[3:4], v[1:2]
	v_fma_f64 v[41:42], -v[1:2], v[3:4], 1.0
	v_fma_f64 v[3:4], v[3:4], v[41:42], v[3:4]
	v_fma_f64 v[41:42], -v[1:2], v[3:4], 1.0
	v_fma_f64 v[3:4], v[3:4], v[41:42], v[3:4]
	v_mul_f64 v[41:42], v[43:44], v[3:4]
	v_fma_f64 v[1:2], -v[1:2], v[41:42], v[43:44]
	v_div_fmas_f64 v[1:2], v[1:2], v[3:4], v[41:42]
	v_div_fixup_f64 v[1:2], v[1:2], v[39:40], v[37:38]
	v_fma_f64 v[3:4], v[37:38], v[1:2], v[39:40]
	v_div_scale_f64 v[37:38], null, v[3:4], v[3:4], 1.0
	v_rcp_f64_e32 v[39:40], v[37:38]
	v_fma_f64 v[41:42], -v[37:38], v[39:40], 1.0
	v_fma_f64 v[39:40], v[39:40], v[41:42], v[39:40]
	v_fma_f64 v[41:42], -v[37:38], v[39:40], 1.0
	v_fma_f64 v[39:40], v[39:40], v[41:42], v[39:40]
	v_div_scale_f64 v[41:42], vcc_lo, 1.0, v[3:4], 1.0
	v_mul_f64 v[43:44], v[41:42], v[39:40]
	v_fma_f64 v[37:38], -v[37:38], v[43:44], v[41:42]
	v_div_fmas_f64 v[37:38], v[37:38], v[39:40], v[43:44]
	v_div_fixup_f64 v[3:4], v[37:38], v[3:4], 1.0
                                        ; implicit-def: $vgpr37_vgpr38
	v_mul_f64 v[1:2], v[1:2], v[3:4]
	v_xor_b32_e32 v4, 0x80000000, v4
.LBB125_125:
	s_andn2_saveexec_b32 s5, s5
	s_cbranch_execz .LBB125_127
; %bb.126:
	v_div_scale_f64 v[1:2], null, v[37:38], v[37:38], v[39:40]
	v_div_scale_f64 v[43:44], vcc_lo, v[39:40], v[37:38], v[39:40]
	v_rcp_f64_e32 v[3:4], v[1:2]
	v_fma_f64 v[41:42], -v[1:2], v[3:4], 1.0
	v_fma_f64 v[3:4], v[3:4], v[41:42], v[3:4]
	v_fma_f64 v[41:42], -v[1:2], v[3:4], 1.0
	v_fma_f64 v[3:4], v[3:4], v[41:42], v[3:4]
	v_mul_f64 v[41:42], v[43:44], v[3:4]
	v_fma_f64 v[1:2], -v[1:2], v[41:42], v[43:44]
	v_div_fmas_f64 v[1:2], v[1:2], v[3:4], v[41:42]
	v_div_fixup_f64 v[3:4], v[1:2], v[37:38], v[39:40]
	v_fma_f64 v[1:2], v[39:40], v[3:4], v[37:38]
	v_div_scale_f64 v[37:38], null, v[1:2], v[1:2], 1.0
	v_rcp_f64_e32 v[39:40], v[37:38]
	v_fma_f64 v[41:42], -v[37:38], v[39:40], 1.0
	v_fma_f64 v[39:40], v[39:40], v[41:42], v[39:40]
	v_fma_f64 v[41:42], -v[37:38], v[39:40], 1.0
	v_fma_f64 v[39:40], v[39:40], v[41:42], v[39:40]
	v_div_scale_f64 v[41:42], vcc_lo, 1.0, v[1:2], 1.0
	v_mul_f64 v[43:44], v[41:42], v[39:40]
	v_fma_f64 v[37:38], -v[37:38], v[43:44], v[41:42]
	v_div_fmas_f64 v[37:38], v[37:38], v[39:40], v[43:44]
	v_div_fixup_f64 v[1:2], v[37:38], v[1:2], 1.0
	v_mul_f64 v[3:4], v[3:4], -v[1:2]
.LBB125_127:
	s_or_b32 exec_lo, exec_lo, s5
	ds_write2_b64 v255, v[1:2], v[3:4] offset1:1
.LBB125_128:
	s_or_b32 exec_lo, exec_lo, s6
	s_waitcnt lgkmcnt(0)
	s_barrier
	buffer_gl0_inv
	ds_read2_b64 v[37:40], v255 offset1:1
	s_mov_b32 s5, exec_lo
	v_cmpx_lt_u32_e32 9, v0
	s_cbranch_execz .LBB125_133
; %bb.129:
	s_clause 0x3
	buffer_load_dword v1, off, s[0:3], 0 offset:152
	buffer_load_dword v2, off, s[0:3], 0 offset:156
	;; [unrolled: 1-line block ×4, first 2 shown]
	s_movk_i32 s6, 0xa0
	s_waitcnt vmcnt(2) lgkmcnt(0)
	v_mul_f64 v[41:42], v[39:40], v[1:2]
	v_mul_f64 v[1:2], v[37:38], v[1:2]
	s_waitcnt vmcnt(0)
	v_fma_f64 v[41:42], v[37:38], v[3:4], -v[41:42]
	v_fma_f64 v[43:44], v[39:40], v[3:4], v[1:2]
	buffer_store_dword v41, off, s[0:3], 0 offset:144
	buffer_store_dword v42, off, s[0:3], 0 offset:148
	;; [unrolled: 1-line block ×4, first 2 shown]
	s_branch .LBB125_131
.LBB125_130:                            ;   in Loop: Header=BB125_131 Depth=1
	s_andn2_b32 vcc_lo, exec_lo, s8
	s_cbranch_vccz .LBB125_133
.LBB125_131:                            ; =>This Inner Loop Header: Depth=1
	v_mov_b32_e32 v4, s6
	v_add_nc_u32_e32 v1, s6, v249
	s_mov_b32 s7, s6
	s_mov_b32 s8, -1
	s_cmpk_eq_i32 s6, 0x3e0
	s_clause 0x3
	buffer_load_dword v2, v4, s[0:3], 0 offen
	buffer_load_dword v3, v4, s[0:3], 0 offen offset:4
	buffer_load_dword v49, v4, s[0:3], 0 offen offset:8
	;; [unrolled: 1-line block ×3, first 2 shown]
	ds_read2_b64 v[45:48], v1 offset1:1
	s_waitcnt vmcnt(4) lgkmcnt(0)
	v_mul_f64 v[51:52], v[47:48], v[43:44]
	v_mul_f64 v[43:44], v[45:46], v[43:44]
	v_fma_f64 v[45:46], v[45:46], v[41:42], -v[51:52]
	v_fma_f64 v[41:42], v[47:48], v[41:42], v[43:44]
                                        ; implicit-def: $vgpr43_vgpr44
	s_waitcnt vmcnt(2)
	v_add_f64 v[2:3], v[2:3], -v[45:46]
	s_waitcnt vmcnt(0)
	v_add_f64 v[41:42], v[49:50], -v[41:42]
	buffer_store_dword v2, v4, s[0:3], 0 offen
	buffer_store_dword v3, v4, s[0:3], 0 offen offset:4
	buffer_store_dword v41, v4, s[0:3], 0 offen offset:8
	;; [unrolled: 1-line block ×3, first 2 shown]
                                        ; implicit-def: $vgpr41_vgpr42
	s_cbranch_scc1 .LBB125_130
; %bb.132:                              ;   in Loop: Header=BB125_131 Depth=1
	s_clause 0x3
	buffer_load_dword v2, off, s[0:3], 0 offset:152
	buffer_load_dword v3, off, s[0:3], 0 offset:156
	;; [unrolled: 1-line block ×4, first 2 shown]
	v_mov_b32_e32 v5, s7
	s_add_i32 s6, s6, 64
	s_mov_b32 s8, 0
	s_clause 0x3
	buffer_load_dword v51, v5, s[0:3], 0 offen offset:16
	buffer_load_dword v52, v5, s[0:3], 0 offen offset:20
	;; [unrolled: 1-line block ×4, first 2 shown]
	ds_read2_b64 v[41:44], v1 offset0:2 offset1:3
	ds_read2_b64 v[45:48], v1 offset0:4 offset1:5
	s_waitcnt vmcnt(6) lgkmcnt(1)
	v_mul_f64 v[55:56], v[43:44], v[2:3]
	v_mul_f64 v[2:3], v[41:42], v[2:3]
	s_waitcnt vmcnt(4)
	v_fma_f64 v[41:42], v[41:42], v[49:50], -v[55:56]
	v_fma_f64 v[2:3], v[43:44], v[49:50], v[2:3]
	s_waitcnt vmcnt(2)
	v_add_f64 v[41:42], v[51:52], -v[41:42]
	s_waitcnt vmcnt(0)
	v_add_f64 v[2:3], v[53:54], -v[2:3]
	buffer_store_dword v42, v5, s[0:3], 0 offen offset:20
	buffer_store_dword v41, v5, s[0:3], 0 offen offset:16
	;; [unrolled: 1-line block ×4, first 2 shown]
	s_clause 0x7
	buffer_load_dword v3, v5, s[0:3], 0 offen offset:36
	buffer_load_dword v41, v5, s[0:3], 0 offen offset:40
	;; [unrolled: 1-line block ×3, first 2 shown]
	buffer_load_dword v44, off, s[0:3], 0 offset:156
	buffer_load_dword v43, off, s[0:3], 0 offset:152
	;; [unrolled: 1-line block ×4, first 2 shown]
	buffer_load_dword v2, v5, s[0:3], 0 offen offset:32
	s_waitcnt vmcnt(3) lgkmcnt(0)
	v_mul_f64 v[51:52], v[47:48], v[43:44]
	v_mul_f64 v[43:44], v[45:46], v[43:44]
	s_waitcnt vmcnt(1)
	v_fma_f64 v[45:46], v[45:46], v[49:50], -v[51:52]
	v_fma_f64 v[43:44], v[47:48], v[49:50], v[43:44]
	s_waitcnt vmcnt(0)
	v_add_f64 v[2:3], v[2:3], -v[45:46]
	v_add_f64 v[41:42], v[41:42], -v[43:44]
	buffer_store_dword v3, v5, s[0:3], 0 offen offset:36
	buffer_store_dword v2, v5, s[0:3], 0 offen offset:32
	;; [unrolled: 1-line block ×4, first 2 shown]
	s_clause 0x7
	buffer_load_dword v42, v5, s[0:3], 0 offen offset:52
	buffer_load_dword v43, v5, s[0:3], 0 offen offset:56
	;; [unrolled: 1-line block ×3, first 2 shown]
	buffer_load_dword v45, off, s[0:3], 0 offset:152
	buffer_load_dword v46, off, s[0:3], 0 offset:156
	;; [unrolled: 1-line block ×4, first 2 shown]
	buffer_load_dword v41, v5, s[0:3], 0 offen offset:48
	ds_read2_b64 v[1:4], v1 offset0:6 offset1:7
	s_waitcnt vmcnt(3) lgkmcnt(0)
	v_mul_f64 v[49:50], v[3:4], v[45:46]
	v_mul_f64 v[45:46], v[1:2], v[45:46]
	s_waitcnt vmcnt(1)
	v_fma_f64 v[1:2], v[1:2], v[47:48], -v[49:50]
	v_fma_f64 v[3:4], v[3:4], v[47:48], v[45:46]
	s_waitcnt vmcnt(0)
	v_add_f64 v[1:2], v[41:42], -v[1:2]
	v_add_f64 v[3:4], v[43:44], -v[3:4]
	buffer_store_dword v2, v5, s[0:3], 0 offen offset:52
	buffer_store_dword v1, v5, s[0:3], 0 offen offset:48
	;; [unrolled: 1-line block ×4, first 2 shown]
	s_clause 0x3
	buffer_load_dword v41, off, s[0:3], 0 offset:144
	buffer_load_dword v42, off, s[0:3], 0 offset:148
	;; [unrolled: 1-line block ×4, first 2 shown]
	s_branch .LBB125_130
.LBB125_133:
	s_or_b32 exec_lo, exec_lo, s5
	s_mov_b32 s6, exec_lo
	s_waitcnt vmcnt(0) lgkmcnt(0)
	s_waitcnt_vscnt null, 0x0
	s_barrier
	buffer_gl0_inv
	v_cmpx_eq_u32_e32 10, v0
	s_cbranch_execz .LBB125_142
; %bb.134:
	v_mov_b32_e32 v4, s68
	s_movk_i32 s5, 0xb0
	s_clause 0x3
	buffer_load_dword v1, v4, s[0:3], 0 offen
	buffer_load_dword v2, v4, s[0:3], 0 offen offset:4
	buffer_load_dword v3, v4, s[0:3], 0 offen offset:8
	;; [unrolled: 1-line block ×3, first 2 shown]
	s_waitcnt vmcnt(0)
	ds_write2_b64 v255, v[1:2], v[3:4] offset1:1
.LBB125_135:                            ; =>This Inner Loop Header: Depth=1
	v_mov_b32_e32 v5, s5
	s_clause 0x33
	buffer_load_dword v1, v5, s[0:3], 0 offen
	buffer_load_dword v2, v5, s[0:3], 0 offen offset:4
	buffer_load_dword v3, v5, s[0:3], 0 offen offset:8
	;; [unrolled: 1-line block ×51, first 2 shown]
	v_add_nc_u32_e32 v5, s5, v249
	s_addk_i32 s5, 0xd0
	s_waitcnt vmcnt(48)
	ds_write2_b64 v5, v[1:2], v[3:4] offset1:1
	s_waitcnt vmcnt(44)
	ds_write2_b64 v5, v[41:42], v[43:44] offset0:2 offset1:3
	s_waitcnt vmcnt(40)
	ds_write2_b64 v5, v[45:46], v[47:48] offset0:4 offset1:5
	;; [unrolled: 2-line block ×4, first 2 shown]
	ds_write2_b64 v5, v[57:58], v[55:56] offset0:10 offset1:11
	s_waitcnt vmcnt(20)
	ds_write2_b64 v5, v[67:68], v[61:62] offset0:12 offset1:13
	ds_write2_b64 v5, v[65:66], v[63:64] offset0:14 offset1:15
	s_waitcnt vmcnt(16)
	ds_write2_b64 v5, v[69:70], v[71:72] offset0:16 offset1:17
	s_waitcnt vmcnt(12)
	;; [unrolled: 2-line block ×5, first 2 shown]
	ds_write2_b64 v5, v[85:86], v[87:88] offset0:24 offset1:25
	s_cmpk_lg_i32 s5, 0x3f0
	s_cbranch_scc1 .LBB125_135
; %bb.136:
	ds_read2_b64 v[41:44], v255 offset1:1
	s_waitcnt lgkmcnt(0)
	v_cmp_neq_f64_e32 vcc_lo, 0, v[41:42]
	v_cmp_neq_f64_e64 s5, 0, v[43:44]
	s_or_b32 s5, vcc_lo, s5
	s_and_b32 exec_lo, exec_lo, s5
	s_cbranch_execz .LBB125_142
; %bb.137:
	v_cmp_ngt_f64_e64 s5, |v[41:42]|, |v[43:44]|
                                        ; implicit-def: $vgpr1_vgpr2
	s_and_saveexec_b32 s7, s5
	s_xor_b32 s5, exec_lo, s7
                                        ; implicit-def: $vgpr3_vgpr4
	s_cbranch_execz .LBB125_139
; %bb.138:
	v_div_scale_f64 v[1:2], null, v[43:44], v[43:44], v[41:42]
	v_div_scale_f64 v[47:48], vcc_lo, v[41:42], v[43:44], v[41:42]
	v_rcp_f64_e32 v[3:4], v[1:2]
	v_fma_f64 v[45:46], -v[1:2], v[3:4], 1.0
	v_fma_f64 v[3:4], v[3:4], v[45:46], v[3:4]
	v_fma_f64 v[45:46], -v[1:2], v[3:4], 1.0
	v_fma_f64 v[3:4], v[3:4], v[45:46], v[3:4]
	v_mul_f64 v[45:46], v[47:48], v[3:4]
	v_fma_f64 v[1:2], -v[1:2], v[45:46], v[47:48]
	v_div_fmas_f64 v[1:2], v[1:2], v[3:4], v[45:46]
	v_div_fixup_f64 v[1:2], v[1:2], v[43:44], v[41:42]
	v_fma_f64 v[3:4], v[41:42], v[1:2], v[43:44]
	v_div_scale_f64 v[41:42], null, v[3:4], v[3:4], 1.0
	v_rcp_f64_e32 v[43:44], v[41:42]
	v_fma_f64 v[45:46], -v[41:42], v[43:44], 1.0
	v_fma_f64 v[43:44], v[43:44], v[45:46], v[43:44]
	v_fma_f64 v[45:46], -v[41:42], v[43:44], 1.0
	v_fma_f64 v[43:44], v[43:44], v[45:46], v[43:44]
	v_div_scale_f64 v[45:46], vcc_lo, 1.0, v[3:4], 1.0
	v_mul_f64 v[47:48], v[45:46], v[43:44]
	v_fma_f64 v[41:42], -v[41:42], v[47:48], v[45:46]
	v_div_fmas_f64 v[41:42], v[41:42], v[43:44], v[47:48]
	v_div_fixup_f64 v[3:4], v[41:42], v[3:4], 1.0
                                        ; implicit-def: $vgpr41_vgpr42
	v_mul_f64 v[1:2], v[1:2], v[3:4]
	v_xor_b32_e32 v4, 0x80000000, v4
.LBB125_139:
	s_andn2_saveexec_b32 s5, s5
	s_cbranch_execz .LBB125_141
; %bb.140:
	v_div_scale_f64 v[1:2], null, v[41:42], v[41:42], v[43:44]
	v_div_scale_f64 v[47:48], vcc_lo, v[43:44], v[41:42], v[43:44]
	v_rcp_f64_e32 v[3:4], v[1:2]
	v_fma_f64 v[45:46], -v[1:2], v[3:4], 1.0
	v_fma_f64 v[3:4], v[3:4], v[45:46], v[3:4]
	v_fma_f64 v[45:46], -v[1:2], v[3:4], 1.0
	v_fma_f64 v[3:4], v[3:4], v[45:46], v[3:4]
	v_mul_f64 v[45:46], v[47:48], v[3:4]
	v_fma_f64 v[1:2], -v[1:2], v[45:46], v[47:48]
	v_div_fmas_f64 v[1:2], v[1:2], v[3:4], v[45:46]
	v_div_fixup_f64 v[3:4], v[1:2], v[41:42], v[43:44]
	v_fma_f64 v[1:2], v[43:44], v[3:4], v[41:42]
	v_div_scale_f64 v[41:42], null, v[1:2], v[1:2], 1.0
	v_rcp_f64_e32 v[43:44], v[41:42]
	v_fma_f64 v[45:46], -v[41:42], v[43:44], 1.0
	v_fma_f64 v[43:44], v[43:44], v[45:46], v[43:44]
	v_fma_f64 v[45:46], -v[41:42], v[43:44], 1.0
	v_fma_f64 v[43:44], v[43:44], v[45:46], v[43:44]
	v_div_scale_f64 v[45:46], vcc_lo, 1.0, v[1:2], 1.0
	v_mul_f64 v[47:48], v[45:46], v[43:44]
	v_fma_f64 v[41:42], -v[41:42], v[47:48], v[45:46]
	v_div_fmas_f64 v[41:42], v[41:42], v[43:44], v[47:48]
	v_div_fixup_f64 v[1:2], v[41:42], v[1:2], 1.0
	v_mul_f64 v[3:4], v[3:4], -v[1:2]
.LBB125_141:
	s_or_b32 exec_lo, exec_lo, s5
	ds_write2_b64 v255, v[1:2], v[3:4] offset1:1
.LBB125_142:
	s_or_b32 exec_lo, exec_lo, s6
	s_waitcnt lgkmcnt(0)
	s_barrier
	buffer_gl0_inv
	ds_read2_b64 v[41:44], v255 offset1:1
	s_mov_b32 s5, exec_lo
	v_cmpx_lt_u32_e32 10, v0
	s_cbranch_execz .LBB125_145
; %bb.143:
	s_clause 0x3
	buffer_load_dword v1, off, s[0:3], 0 offset:168
	buffer_load_dword v2, off, s[0:3], 0 offset:172
	;; [unrolled: 1-line block ×4, first 2 shown]
	s_movk_i32 s6, 0xb0
	s_waitcnt vmcnt(2) lgkmcnt(0)
	v_mul_f64 v[45:46], v[43:44], v[1:2]
	v_mul_f64 v[1:2], v[41:42], v[1:2]
	s_waitcnt vmcnt(0)
	v_fma_f64 v[45:46], v[41:42], v[3:4], -v[45:46]
	v_fma_f64 v[1:2], v[43:44], v[3:4], v[1:2]
	buffer_store_dword v45, off, s[0:3], 0 offset:160
	buffer_store_dword v46, off, s[0:3], 0 offset:164
	;; [unrolled: 1-line block ×4, first 2 shown]
.LBB125_144:                            ; =>This Inner Loop Header: Depth=1
	s_clause 0x3
	buffer_load_dword v49, off, s[0:3], 0 offset:168
	buffer_load_dword v50, off, s[0:3], 0 offset:172
	;; [unrolled: 1-line block ×4, first 2 shown]
	v_mov_b32_e32 v5, s6
	v_add_nc_u32_e32 v6, s6, v249
	s_add_i32 s6, s6, 64
	s_clause 0x3
	buffer_load_dword v53, v5, s[0:3], 0 offen
	buffer_load_dword v54, v5, s[0:3], 0 offen offset:4
	buffer_load_dword v55, v5, s[0:3], 0 offen offset:8
	;; [unrolled: 1-line block ×3, first 2 shown]
	ds_read2_b64 v[1:4], v6 offset1:1
	ds_read2_b64 v[45:48], v6 offset0:2 offset1:3
	s_cmpk_lg_i32 s6, 0x3f0
	s_waitcnt vmcnt(6) lgkmcnt(1)
	v_mul_f64 v[57:58], v[3:4], v[49:50]
	v_mul_f64 v[49:50], v[1:2], v[49:50]
	s_waitcnt vmcnt(4)
	v_fma_f64 v[1:2], v[1:2], v[51:52], -v[57:58]
	v_fma_f64 v[3:4], v[3:4], v[51:52], v[49:50]
	s_clause 0x3
	buffer_load_dword v49, v5, s[0:3], 0 offen offset:16
	buffer_load_dword v50, v5, s[0:3], 0 offen offset:20
	;; [unrolled: 1-line block ×4, first 2 shown]
	s_waitcnt vmcnt(6)
	v_add_f64 v[1:2], v[53:54], -v[1:2]
	s_waitcnt vmcnt(4)
	v_add_f64 v[3:4], v[55:56], -v[3:4]
	buffer_store_dword v2, v5, s[0:3], 0 offen offset:4
	buffer_store_dword v1, v5, s[0:3], 0 offen
	buffer_store_dword v4, v5, s[0:3], 0 offen offset:12
	buffer_store_dword v3, v5, s[0:3], 0 offen offset:8
	s_clause 0x3
	buffer_load_dword v2, off, s[0:3], 0 offset:172
	buffer_load_dword v1, off, s[0:3], 0 offset:168
	;; [unrolled: 1-line block ×4, first 2 shown]
	s_waitcnt vmcnt(2) lgkmcnt(0)
	v_mul_f64 v[53:54], v[47:48], v[1:2]
	v_mul_f64 v[1:2], v[45:46], v[1:2]
	s_waitcnt vmcnt(0)
	v_fma_f64 v[45:46], v[45:46], v[3:4], -v[53:54]
	v_fma_f64 v[1:2], v[47:48], v[3:4], v[1:2]
	v_add_f64 v[3:4], v[49:50], -v[45:46]
	v_add_f64 v[1:2], v[51:52], -v[1:2]
	s_clause 0x3
	buffer_load_dword v49, v5, s[0:3], 0 offen offset:32
	buffer_load_dword v50, v5, s[0:3], 0 offen offset:36
	buffer_load_dword v51, v5, s[0:3], 0 offen offset:40
	buffer_load_dword v52, v5, s[0:3], 0 offen offset:44
	buffer_store_dword v4, v5, s[0:3], 0 offen offset:20
	buffer_store_dword v3, v5, s[0:3], 0 offen offset:16
	;; [unrolled: 1-line block ×4, first 2 shown]
	s_clause 0x3
	buffer_load_dword v53, off, s[0:3], 0 offset:168
	buffer_load_dword v54, off, s[0:3], 0 offset:172
	buffer_load_dword v55, off, s[0:3], 0 offset:160
	buffer_load_dword v56, off, s[0:3], 0 offset:164
	ds_read2_b64 v[1:4], v6 offset0:4 offset1:5
	ds_read2_b64 v[45:48], v6 offset0:6 offset1:7
	s_waitcnt vmcnt(2) lgkmcnt(1)
	v_mul_f64 v[57:58], v[3:4], v[53:54]
	v_mul_f64 v[53:54], v[1:2], v[53:54]
	s_waitcnt vmcnt(0)
	v_fma_f64 v[1:2], v[1:2], v[55:56], -v[57:58]
	v_fma_f64 v[3:4], v[3:4], v[55:56], v[53:54]
	v_add_f64 v[1:2], v[49:50], -v[1:2]
	v_add_f64 v[3:4], v[51:52], -v[3:4]
	buffer_store_dword v2, v5, s[0:3], 0 offen offset:36
	buffer_store_dword v1, v5, s[0:3], 0 offen offset:32
	;; [unrolled: 1-line block ×4, first 2 shown]
	s_clause 0x7
	buffer_load_dword v1, off, s[0:3], 0 offset:168
	buffer_load_dword v2, off, s[0:3], 0 offset:172
	;; [unrolled: 1-line block ×4, first 2 shown]
	buffer_load_dword v49, v5, s[0:3], 0 offen offset:48
	buffer_load_dword v50, v5, s[0:3], 0 offen offset:52
	;; [unrolled: 1-line block ×4, first 2 shown]
	s_waitcnt vmcnt(6) lgkmcnt(0)
	v_mul_f64 v[53:54], v[47:48], v[1:2]
	v_mul_f64 v[1:2], v[45:46], v[1:2]
	s_waitcnt vmcnt(4)
	v_fma_f64 v[45:46], v[45:46], v[3:4], -v[53:54]
	v_fma_f64 v[1:2], v[47:48], v[3:4], v[1:2]
	s_waitcnt vmcnt(2)
	v_add_f64 v[3:4], v[49:50], -v[45:46]
	s_waitcnt vmcnt(0)
	v_add_f64 v[1:2], v[51:52], -v[1:2]
	buffer_store_dword v4, v5, s[0:3], 0 offen offset:52
	buffer_store_dword v3, v5, s[0:3], 0 offen offset:48
	;; [unrolled: 1-line block ×4, first 2 shown]
	s_cbranch_scc1 .LBB125_144
.LBB125_145:
	s_or_b32 exec_lo, exec_lo, s5
	s_mov_b32 s6, exec_lo
	s_waitcnt lgkmcnt(0)
	s_waitcnt_vscnt null, 0x0
	s_barrier
	buffer_gl0_inv
	v_cmpx_eq_u32_e32 11, v0
	s_cbranch_execz .LBB125_154
; %bb.146:
	v_mov_b32_e32 v4, s67
	s_movk_i32 s5, 0xc0
	s_clause 0x3
	buffer_load_dword v1, v4, s[0:3], 0 offen
	buffer_load_dword v2, v4, s[0:3], 0 offen offset:4
	buffer_load_dword v3, v4, s[0:3], 0 offen offset:8
	buffer_load_dword v4, v4, s[0:3], 0 offen offset:12
	s_waitcnt vmcnt(0)
	ds_write2_b64 v255, v[1:2], v[3:4] offset1:1
.LBB125_147:                            ; =>This Inner Loop Header: Depth=1
	v_mov_b32_e32 v5, s5
	s_clause 0x3e
	buffer_load_dword v1, v5, s[0:3], 0 offen
	buffer_load_dword v2, v5, s[0:3], 0 offen offset:4
	buffer_load_dword v3, v5, s[0:3], 0 offen offset:8
	;; [unrolled: 1-line block ×62, first 2 shown]
	s_clause 0x4
	buffer_load_dword v104, v5, s[0:3], 0 offen offset:252
	buffer_load_dword v105, v5, s[0:3], 0 offen offset:256
	;; [unrolled: 1-line block ×5, first 2 shown]
	v_add_nc_u32_e32 v5, s5, v249
	s_addk_i32 s5, 0x110
	s_waitcnt vmcnt(62)
	ds_write2_b64 v5, v[1:2], v[3:4] offset1:1
	s_waitcnt vmcnt(60)
	ds_write2_b64 v5, v[45:46], v[47:48] offset0:2 offset1:3
	s_waitcnt vmcnt(56)
	ds_write2_b64 v5, v[49:50], v[51:52] offset0:4 offset1:5
	s_waitcnt vmcnt(52)
	ds_write2_b64 v5, v[53:54], v[55:56] offset0:6 offset1:7
	s_waitcnt vmcnt(44)
	ds_write2_b64 v5, v[63:64], v[57:58] offset0:8 offset1:9
	ds_write2_b64 v5, v[61:62], v[59:60] offset0:10 offset1:11
	s_waitcnt vmcnt(36)
	ds_write2_b64 v5, v[71:72], v[65:66] offset0:12 offset1:13
	ds_write2_b64 v5, v[69:70], v[67:68] offset0:14 offset1:15
	s_waitcnt vmcnt(32)
	ds_write2_b64 v5, v[73:74], v[75:76] offset0:16 offset1:17
	s_waitcnt vmcnt(28)
	;; [unrolled: 2-line block ×9, first 2 shown]
	ds_write2_b64 v5, v[105:106], v[107:108] offset0:32 offset1:33
	s_cmpk_lg_i32 s5, 0x3f0
	s_cbranch_scc1 .LBB125_147
; %bb.148:
	ds_read2_b64 v[45:48], v255 offset1:1
	s_waitcnt lgkmcnt(0)
	v_cmp_neq_f64_e32 vcc_lo, 0, v[45:46]
	v_cmp_neq_f64_e64 s5, 0, v[47:48]
	s_or_b32 s5, vcc_lo, s5
	s_and_b32 exec_lo, exec_lo, s5
	s_cbranch_execz .LBB125_154
; %bb.149:
	v_cmp_ngt_f64_e64 s5, |v[45:46]|, |v[47:48]|
                                        ; implicit-def: $vgpr1_vgpr2
	s_and_saveexec_b32 s7, s5
	s_xor_b32 s5, exec_lo, s7
                                        ; implicit-def: $vgpr3_vgpr4
	s_cbranch_execz .LBB125_151
; %bb.150:
	v_div_scale_f64 v[1:2], null, v[47:48], v[47:48], v[45:46]
	v_div_scale_f64 v[51:52], vcc_lo, v[45:46], v[47:48], v[45:46]
	v_rcp_f64_e32 v[3:4], v[1:2]
	v_fma_f64 v[49:50], -v[1:2], v[3:4], 1.0
	v_fma_f64 v[3:4], v[3:4], v[49:50], v[3:4]
	v_fma_f64 v[49:50], -v[1:2], v[3:4], 1.0
	v_fma_f64 v[3:4], v[3:4], v[49:50], v[3:4]
	v_mul_f64 v[49:50], v[51:52], v[3:4]
	v_fma_f64 v[1:2], -v[1:2], v[49:50], v[51:52]
	v_div_fmas_f64 v[1:2], v[1:2], v[3:4], v[49:50]
	v_div_fixup_f64 v[1:2], v[1:2], v[47:48], v[45:46]
	v_fma_f64 v[3:4], v[45:46], v[1:2], v[47:48]
	v_div_scale_f64 v[45:46], null, v[3:4], v[3:4], 1.0
	v_rcp_f64_e32 v[47:48], v[45:46]
	v_fma_f64 v[49:50], -v[45:46], v[47:48], 1.0
	v_fma_f64 v[47:48], v[47:48], v[49:50], v[47:48]
	v_fma_f64 v[49:50], -v[45:46], v[47:48], 1.0
	v_fma_f64 v[47:48], v[47:48], v[49:50], v[47:48]
	v_div_scale_f64 v[49:50], vcc_lo, 1.0, v[3:4], 1.0
	v_mul_f64 v[51:52], v[49:50], v[47:48]
	v_fma_f64 v[45:46], -v[45:46], v[51:52], v[49:50]
	v_div_fmas_f64 v[45:46], v[45:46], v[47:48], v[51:52]
	v_div_fixup_f64 v[3:4], v[45:46], v[3:4], 1.0
                                        ; implicit-def: $vgpr45_vgpr46
	v_mul_f64 v[1:2], v[1:2], v[3:4]
	v_xor_b32_e32 v4, 0x80000000, v4
.LBB125_151:
	s_andn2_saveexec_b32 s5, s5
	s_cbranch_execz .LBB125_153
; %bb.152:
	v_div_scale_f64 v[1:2], null, v[45:46], v[45:46], v[47:48]
	v_div_scale_f64 v[51:52], vcc_lo, v[47:48], v[45:46], v[47:48]
	v_rcp_f64_e32 v[3:4], v[1:2]
	v_fma_f64 v[49:50], -v[1:2], v[3:4], 1.0
	v_fma_f64 v[3:4], v[3:4], v[49:50], v[3:4]
	v_fma_f64 v[49:50], -v[1:2], v[3:4], 1.0
	v_fma_f64 v[3:4], v[3:4], v[49:50], v[3:4]
	v_mul_f64 v[49:50], v[51:52], v[3:4]
	v_fma_f64 v[1:2], -v[1:2], v[49:50], v[51:52]
	v_div_fmas_f64 v[1:2], v[1:2], v[3:4], v[49:50]
	v_div_fixup_f64 v[3:4], v[1:2], v[45:46], v[47:48]
	v_fma_f64 v[1:2], v[47:48], v[3:4], v[45:46]
	v_div_scale_f64 v[45:46], null, v[1:2], v[1:2], 1.0
	v_rcp_f64_e32 v[47:48], v[45:46]
	v_fma_f64 v[49:50], -v[45:46], v[47:48], 1.0
	v_fma_f64 v[47:48], v[47:48], v[49:50], v[47:48]
	v_fma_f64 v[49:50], -v[45:46], v[47:48], 1.0
	v_fma_f64 v[47:48], v[47:48], v[49:50], v[47:48]
	v_div_scale_f64 v[49:50], vcc_lo, 1.0, v[1:2], 1.0
	v_mul_f64 v[51:52], v[49:50], v[47:48]
	v_fma_f64 v[45:46], -v[45:46], v[51:52], v[49:50]
	v_div_fmas_f64 v[45:46], v[45:46], v[47:48], v[51:52]
	v_div_fixup_f64 v[1:2], v[45:46], v[1:2], 1.0
	v_mul_f64 v[3:4], v[3:4], -v[1:2]
.LBB125_153:
	s_or_b32 exec_lo, exec_lo, s5
	ds_write2_b64 v255, v[1:2], v[3:4] offset1:1
.LBB125_154:
	s_or_b32 exec_lo, exec_lo, s6
	s_waitcnt lgkmcnt(0)
	s_barrier
	buffer_gl0_inv
	ds_read2_b64 v[45:48], v255 offset1:1
	s_mov_b32 s5, exec_lo
	v_cmpx_lt_u32_e32 11, v0
	s_cbranch_execz .LBB125_157
; %bb.155:
	s_clause 0x3
	buffer_load_dword v1, off, s[0:3], 0 offset:184
	buffer_load_dword v2, off, s[0:3], 0 offset:188
	;; [unrolled: 1-line block ×4, first 2 shown]
	s_movk_i32 s6, 0xc0
	s_waitcnt vmcnt(2) lgkmcnt(0)
	v_mul_f64 v[49:50], v[47:48], v[1:2]
	v_mul_f64 v[1:2], v[45:46], v[1:2]
	s_waitcnt vmcnt(0)
	v_fma_f64 v[49:50], v[45:46], v[3:4], -v[49:50]
	v_fma_f64 v[1:2], v[47:48], v[3:4], v[1:2]
	buffer_store_dword v49, off, s[0:3], 0 offset:176
	buffer_store_dword v50, off, s[0:3], 0 offset:180
	;; [unrolled: 1-line block ×4, first 2 shown]
.LBB125_156:                            ; =>This Inner Loop Header: Depth=1
	s_clause 0x3
	buffer_load_dword v53, off, s[0:3], 0 offset:184
	buffer_load_dword v54, off, s[0:3], 0 offset:188
	;; [unrolled: 1-line block ×4, first 2 shown]
	v_mov_b32_e32 v5, s6
	v_add_nc_u32_e32 v6, s6, v249
	s_add_i32 s6, s6, 48
	s_clause 0x3
	buffer_load_dword v57, v5, s[0:3], 0 offen
	buffer_load_dword v58, v5, s[0:3], 0 offen offset:4
	buffer_load_dword v59, v5, s[0:3], 0 offen offset:8
	;; [unrolled: 1-line block ×3, first 2 shown]
	ds_read2_b64 v[1:4], v6 offset1:1
	ds_read2_b64 v[49:52], v6 offset0:2 offset1:3
	s_cmpk_lg_i32 s6, 0x3f0
	s_waitcnt vmcnt(6) lgkmcnt(1)
	v_mul_f64 v[61:62], v[3:4], v[53:54]
	v_mul_f64 v[53:54], v[1:2], v[53:54]
	s_waitcnt vmcnt(4)
	v_fma_f64 v[1:2], v[1:2], v[55:56], -v[61:62]
	v_fma_f64 v[3:4], v[3:4], v[55:56], v[53:54]
	s_clause 0x3
	buffer_load_dword v53, v5, s[0:3], 0 offen offset:16
	buffer_load_dword v54, v5, s[0:3], 0 offen offset:20
	;; [unrolled: 1-line block ×4, first 2 shown]
	s_waitcnt vmcnt(6)
	v_add_f64 v[1:2], v[57:58], -v[1:2]
	s_waitcnt vmcnt(4)
	v_add_f64 v[3:4], v[59:60], -v[3:4]
	buffer_store_dword v2, v5, s[0:3], 0 offen offset:4
	buffer_store_dword v1, v5, s[0:3], 0 offen
	buffer_store_dword v4, v5, s[0:3], 0 offen offset:12
	buffer_store_dword v3, v5, s[0:3], 0 offen offset:8
	s_clause 0x3
	buffer_load_dword v2, off, s[0:3], 0 offset:188
	buffer_load_dword v1, off, s[0:3], 0 offset:184
	;; [unrolled: 1-line block ×4, first 2 shown]
	s_waitcnt vmcnt(2) lgkmcnt(0)
	v_mul_f64 v[57:58], v[51:52], v[1:2]
	v_mul_f64 v[1:2], v[49:50], v[1:2]
	s_waitcnt vmcnt(0)
	v_fma_f64 v[49:50], v[49:50], v[3:4], -v[57:58]
	v_fma_f64 v[1:2], v[51:52], v[3:4], v[1:2]
	v_add_f64 v[3:4], v[53:54], -v[49:50]
	v_add_f64 v[1:2], v[55:56], -v[1:2]
	s_clause 0x3
	buffer_load_dword v49, v5, s[0:3], 0 offen offset:32
	buffer_load_dword v50, v5, s[0:3], 0 offen offset:36
	;; [unrolled: 1-line block ×4, first 2 shown]
	buffer_store_dword v4, v5, s[0:3], 0 offen offset:20
	buffer_store_dword v3, v5, s[0:3], 0 offen offset:16
	;; [unrolled: 1-line block ×4, first 2 shown]
	s_clause 0x3
	buffer_load_dword v53, off, s[0:3], 0 offset:184
	buffer_load_dword v54, off, s[0:3], 0 offset:188
	buffer_load_dword v55, off, s[0:3], 0 offset:176
	buffer_load_dword v56, off, s[0:3], 0 offset:180
	ds_read2_b64 v[1:4], v6 offset0:4 offset1:5
	s_waitcnt vmcnt(2) lgkmcnt(0)
	v_mul_f64 v[57:58], v[3:4], v[53:54]
	v_mul_f64 v[53:54], v[1:2], v[53:54]
	s_waitcnt vmcnt(0)
	v_fma_f64 v[1:2], v[1:2], v[55:56], -v[57:58]
	v_fma_f64 v[3:4], v[3:4], v[55:56], v[53:54]
	v_add_f64 v[1:2], v[49:50], -v[1:2]
	v_add_f64 v[3:4], v[51:52], -v[3:4]
	buffer_store_dword v2, v5, s[0:3], 0 offen offset:36
	buffer_store_dword v1, v5, s[0:3], 0 offen offset:32
	;; [unrolled: 1-line block ×4, first 2 shown]
	s_cbranch_scc1 .LBB125_156
.LBB125_157:
	s_or_b32 exec_lo, exec_lo, s5
	s_mov_b32 s6, exec_lo
	s_waitcnt lgkmcnt(0)
	s_waitcnt_vscnt null, 0x0
	s_barrier
	buffer_gl0_inv
	v_cmpx_eq_u32_e32 12, v0
	s_cbranch_execz .LBB125_166
; %bb.158:
	v_mov_b32_e32 v4, s66
	s_movk_i32 s5, 0xd0
	s_clause 0x3
	buffer_load_dword v1, v4, s[0:3], 0 offen
	buffer_load_dword v2, v4, s[0:3], 0 offen offset:4
	buffer_load_dword v3, v4, s[0:3], 0 offen offset:8
	;; [unrolled: 1-line block ×3, first 2 shown]
	s_waitcnt vmcnt(0)
	ds_write2_b64 v255, v[1:2], v[3:4] offset1:1
.LBB125_159:                            ; =>This Inner Loop Header: Depth=1
	v_mov_b32_e32 v5, s5
	s_clause 0x27
	buffer_load_dword v1, v5, s[0:3], 0 offen
	buffer_load_dword v2, v5, s[0:3], 0 offen offset:4
	buffer_load_dword v3, v5, s[0:3], 0 offen offset:8
	buffer_load_dword v4, v5, s[0:3], 0 offen offset:12
	buffer_load_dword v49, v5, s[0:3], 0 offen offset:16
	buffer_load_dword v50, v5, s[0:3], 0 offen offset:20
	buffer_load_dword v51, v5, s[0:3], 0 offen offset:24
	buffer_load_dword v52, v5, s[0:3], 0 offen offset:28
	buffer_load_dword v53, v5, s[0:3], 0 offen offset:32
	buffer_load_dword v54, v5, s[0:3], 0 offen offset:36
	buffer_load_dword v55, v5, s[0:3], 0 offen offset:40
	buffer_load_dword v56, v5, s[0:3], 0 offen offset:44
	buffer_load_dword v57, v5, s[0:3], 0 offen offset:48
	buffer_load_dword v58, v5, s[0:3], 0 offen offset:52
	buffer_load_dword v59, v5, s[0:3], 0 offen offset:56
	buffer_load_dword v60, v5, s[0:3], 0 offen offset:60
	buffer_load_dword v62, v5, s[0:3], 0 offen offset:76
	buffer_load_dword v64, v5, s[0:3], 0 offen offset:92
	buffer_load_dword v63, v5, s[0:3], 0 offen offset:88
	buffer_load_dword v66, v5, s[0:3], 0 offen offset:84
	buffer_load_dword v65, v5, s[0:3], 0 offen offset:80
	buffer_load_dword v61, v5, s[0:3], 0 offen offset:72
	buffer_load_dword v68, v5, s[0:3], 0 offen offset:68
	buffer_load_dword v67, v5, s[0:3], 0 offen offset:64
	buffer_load_dword v70, v5, s[0:3], 0 offen offset:108
	buffer_load_dword v72, v5, s[0:3], 0 offen offset:124
	buffer_load_dword v71, v5, s[0:3], 0 offen offset:120
	buffer_load_dword v74, v5, s[0:3], 0 offen offset:116
	buffer_load_dword v73, v5, s[0:3], 0 offen offset:112
	buffer_load_dword v69, v5, s[0:3], 0 offen offset:104
	buffer_load_dword v76, v5, s[0:3], 0 offen offset:100
	buffer_load_dword v75, v5, s[0:3], 0 offen offset:96
	buffer_load_dword v77, v5, s[0:3], 0 offen offset:128
	buffer_load_dword v78, v5, s[0:3], 0 offen offset:132
	buffer_load_dword v79, v5, s[0:3], 0 offen offset:136
	buffer_load_dword v80, v5, s[0:3], 0 offen offset:140
	buffer_load_dword v81, v5, s[0:3], 0 offen offset:144
	buffer_load_dword v82, v5, s[0:3], 0 offen offset:148
	buffer_load_dword v83, v5, s[0:3], 0 offen offset:152
	buffer_load_dword v84, v5, s[0:3], 0 offen offset:156
	v_add_nc_u32_e32 v5, s5, v249
	s_addk_i32 s5, 0xa0
	s_waitcnt vmcnt(36)
	ds_write2_b64 v5, v[1:2], v[3:4] offset1:1
	s_waitcnt vmcnt(32)
	ds_write2_b64 v5, v[49:50], v[51:52] offset0:2 offset1:3
	s_waitcnt vmcnt(28)
	ds_write2_b64 v5, v[53:54], v[55:56] offset0:4 offset1:5
	;; [unrolled: 2-line block ×4, first 2 shown]
	ds_write2_b64 v5, v[65:66], v[63:64] offset0:10 offset1:11
	s_waitcnt vmcnt(8)
	ds_write2_b64 v5, v[75:76], v[69:70] offset0:12 offset1:13
	ds_write2_b64 v5, v[73:74], v[71:72] offset0:14 offset1:15
	s_waitcnt vmcnt(4)
	ds_write2_b64 v5, v[77:78], v[79:80] offset0:16 offset1:17
	s_waitcnt vmcnt(0)
	ds_write2_b64 v5, v[81:82], v[83:84] offset0:18 offset1:19
	s_cmpk_lg_i32 s5, 0x3f0
	s_cbranch_scc1 .LBB125_159
; %bb.160:
	ds_read2_b64 v[49:52], v255 offset1:1
	s_waitcnt lgkmcnt(0)
	v_cmp_neq_f64_e32 vcc_lo, 0, v[49:50]
	v_cmp_neq_f64_e64 s5, 0, v[51:52]
	s_or_b32 s5, vcc_lo, s5
	s_and_b32 exec_lo, exec_lo, s5
	s_cbranch_execz .LBB125_166
; %bb.161:
	v_cmp_ngt_f64_e64 s5, |v[49:50]|, |v[51:52]|
                                        ; implicit-def: $vgpr1_vgpr2
	s_and_saveexec_b32 s7, s5
	s_xor_b32 s5, exec_lo, s7
                                        ; implicit-def: $vgpr3_vgpr4
	s_cbranch_execz .LBB125_163
; %bb.162:
	v_div_scale_f64 v[1:2], null, v[51:52], v[51:52], v[49:50]
	v_div_scale_f64 v[55:56], vcc_lo, v[49:50], v[51:52], v[49:50]
	v_rcp_f64_e32 v[3:4], v[1:2]
	v_fma_f64 v[53:54], -v[1:2], v[3:4], 1.0
	v_fma_f64 v[3:4], v[3:4], v[53:54], v[3:4]
	v_fma_f64 v[53:54], -v[1:2], v[3:4], 1.0
	v_fma_f64 v[3:4], v[3:4], v[53:54], v[3:4]
	v_mul_f64 v[53:54], v[55:56], v[3:4]
	v_fma_f64 v[1:2], -v[1:2], v[53:54], v[55:56]
	v_div_fmas_f64 v[1:2], v[1:2], v[3:4], v[53:54]
	v_div_fixup_f64 v[1:2], v[1:2], v[51:52], v[49:50]
	v_fma_f64 v[3:4], v[49:50], v[1:2], v[51:52]
	v_div_scale_f64 v[49:50], null, v[3:4], v[3:4], 1.0
	v_rcp_f64_e32 v[51:52], v[49:50]
	v_fma_f64 v[53:54], -v[49:50], v[51:52], 1.0
	v_fma_f64 v[51:52], v[51:52], v[53:54], v[51:52]
	v_fma_f64 v[53:54], -v[49:50], v[51:52], 1.0
	v_fma_f64 v[51:52], v[51:52], v[53:54], v[51:52]
	v_div_scale_f64 v[53:54], vcc_lo, 1.0, v[3:4], 1.0
	v_mul_f64 v[55:56], v[53:54], v[51:52]
	v_fma_f64 v[49:50], -v[49:50], v[55:56], v[53:54]
	v_div_fmas_f64 v[49:50], v[49:50], v[51:52], v[55:56]
	v_div_fixup_f64 v[3:4], v[49:50], v[3:4], 1.0
                                        ; implicit-def: $vgpr49_vgpr50
	v_mul_f64 v[1:2], v[1:2], v[3:4]
	v_xor_b32_e32 v4, 0x80000000, v4
.LBB125_163:
	s_andn2_saveexec_b32 s5, s5
	s_cbranch_execz .LBB125_165
; %bb.164:
	v_div_scale_f64 v[1:2], null, v[49:50], v[49:50], v[51:52]
	v_div_scale_f64 v[55:56], vcc_lo, v[51:52], v[49:50], v[51:52]
	v_rcp_f64_e32 v[3:4], v[1:2]
	v_fma_f64 v[53:54], -v[1:2], v[3:4], 1.0
	v_fma_f64 v[3:4], v[3:4], v[53:54], v[3:4]
	v_fma_f64 v[53:54], -v[1:2], v[3:4], 1.0
	v_fma_f64 v[3:4], v[3:4], v[53:54], v[3:4]
	v_mul_f64 v[53:54], v[55:56], v[3:4]
	v_fma_f64 v[1:2], -v[1:2], v[53:54], v[55:56]
	v_div_fmas_f64 v[1:2], v[1:2], v[3:4], v[53:54]
	v_div_fixup_f64 v[3:4], v[1:2], v[49:50], v[51:52]
	v_fma_f64 v[1:2], v[51:52], v[3:4], v[49:50]
	v_div_scale_f64 v[49:50], null, v[1:2], v[1:2], 1.0
	v_rcp_f64_e32 v[51:52], v[49:50]
	v_fma_f64 v[53:54], -v[49:50], v[51:52], 1.0
	v_fma_f64 v[51:52], v[51:52], v[53:54], v[51:52]
	v_fma_f64 v[53:54], -v[49:50], v[51:52], 1.0
	v_fma_f64 v[51:52], v[51:52], v[53:54], v[51:52]
	v_div_scale_f64 v[53:54], vcc_lo, 1.0, v[1:2], 1.0
	v_mul_f64 v[55:56], v[53:54], v[51:52]
	v_fma_f64 v[49:50], -v[49:50], v[55:56], v[53:54]
	v_div_fmas_f64 v[49:50], v[49:50], v[51:52], v[55:56]
	v_div_fixup_f64 v[1:2], v[49:50], v[1:2], 1.0
	v_mul_f64 v[3:4], v[3:4], -v[1:2]
.LBB125_165:
	s_or_b32 exec_lo, exec_lo, s5
	ds_write2_b64 v255, v[1:2], v[3:4] offset1:1
.LBB125_166:
	s_or_b32 exec_lo, exec_lo, s6
	s_waitcnt lgkmcnt(0)
	s_barrier
	buffer_gl0_inv
	ds_read2_b64 v[49:52], v255 offset1:1
	s_mov_b32 s5, exec_lo
	v_cmpx_lt_u32_e32 12, v0
	s_cbranch_execz .LBB125_169
; %bb.167:
	s_clause 0x3
	buffer_load_dword v1, off, s[0:3], 0 offset:200
	buffer_load_dword v2, off, s[0:3], 0 offset:204
	;; [unrolled: 1-line block ×4, first 2 shown]
	s_movk_i32 s6, 0xd0
	s_waitcnt vmcnt(2) lgkmcnt(0)
	v_mul_f64 v[53:54], v[51:52], v[1:2]
	v_mul_f64 v[1:2], v[49:50], v[1:2]
	s_waitcnt vmcnt(0)
	v_fma_f64 v[53:54], v[49:50], v[3:4], -v[53:54]
	v_fma_f64 v[1:2], v[51:52], v[3:4], v[1:2]
	buffer_store_dword v53, off, s[0:3], 0 offset:192
	buffer_store_dword v54, off, s[0:3], 0 offset:196
	;; [unrolled: 1-line block ×4, first 2 shown]
.LBB125_168:                            ; =>This Inner Loop Header: Depth=1
	s_clause 0x3
	buffer_load_dword v57, off, s[0:3], 0 offset:200
	buffer_load_dword v58, off, s[0:3], 0 offset:204
	;; [unrolled: 1-line block ×4, first 2 shown]
	v_mov_b32_e32 v5, s6
	v_add_nc_u32_e32 v6, s6, v249
	s_addk_i32 s6, 0x50
	s_clause 0x3
	buffer_load_dword v61, v5, s[0:3], 0 offen
	buffer_load_dword v62, v5, s[0:3], 0 offen offset:4
	buffer_load_dword v63, v5, s[0:3], 0 offen offset:8
	;; [unrolled: 1-line block ×3, first 2 shown]
	ds_read2_b64 v[1:4], v6 offset1:1
	ds_read2_b64 v[53:56], v6 offset0:2 offset1:3
	s_cmpk_lg_i32 s6, 0x3f0
	s_waitcnt vmcnt(6) lgkmcnt(1)
	v_mul_f64 v[65:66], v[3:4], v[57:58]
	v_mul_f64 v[57:58], v[1:2], v[57:58]
	s_waitcnt vmcnt(4)
	v_fma_f64 v[1:2], v[1:2], v[59:60], -v[65:66]
	v_fma_f64 v[3:4], v[3:4], v[59:60], v[57:58]
	s_clause 0x3
	buffer_load_dword v57, v5, s[0:3], 0 offen offset:16
	buffer_load_dword v58, v5, s[0:3], 0 offen offset:20
	;; [unrolled: 1-line block ×4, first 2 shown]
	s_waitcnt vmcnt(6)
	v_add_f64 v[1:2], v[61:62], -v[1:2]
	s_waitcnt vmcnt(4)
	v_add_f64 v[3:4], v[63:64], -v[3:4]
	buffer_store_dword v2, v5, s[0:3], 0 offen offset:4
	buffer_store_dword v1, v5, s[0:3], 0 offen
	buffer_store_dword v4, v5, s[0:3], 0 offen offset:12
	buffer_store_dword v3, v5, s[0:3], 0 offen offset:8
	s_clause 0x3
	buffer_load_dword v2, off, s[0:3], 0 offset:204
	buffer_load_dword v1, off, s[0:3], 0 offset:200
	;; [unrolled: 1-line block ×4, first 2 shown]
	s_waitcnt vmcnt(2) lgkmcnt(0)
	v_mul_f64 v[61:62], v[55:56], v[1:2]
	v_mul_f64 v[1:2], v[53:54], v[1:2]
	s_waitcnt vmcnt(0)
	v_fma_f64 v[53:54], v[53:54], v[3:4], -v[61:62]
	v_fma_f64 v[1:2], v[55:56], v[3:4], v[1:2]
	v_add_f64 v[3:4], v[57:58], -v[53:54]
	v_add_f64 v[1:2], v[59:60], -v[1:2]
	s_clause 0x3
	buffer_load_dword v57, v5, s[0:3], 0 offen offset:32
	buffer_load_dword v58, v5, s[0:3], 0 offen offset:36
	;; [unrolled: 1-line block ×4, first 2 shown]
	buffer_store_dword v4, v5, s[0:3], 0 offen offset:20
	buffer_store_dword v3, v5, s[0:3], 0 offen offset:16
	;; [unrolled: 1-line block ×4, first 2 shown]
	s_clause 0x3
	buffer_load_dword v61, off, s[0:3], 0 offset:200
	buffer_load_dword v62, off, s[0:3], 0 offset:204
	;; [unrolled: 1-line block ×4, first 2 shown]
	ds_read2_b64 v[1:4], v6 offset0:4 offset1:5
	ds_read2_b64 v[53:56], v6 offset0:6 offset1:7
	s_waitcnt vmcnt(2) lgkmcnt(1)
	v_mul_f64 v[65:66], v[3:4], v[61:62]
	v_mul_f64 v[61:62], v[1:2], v[61:62]
	s_waitcnt vmcnt(0)
	v_fma_f64 v[1:2], v[1:2], v[63:64], -v[65:66]
	v_fma_f64 v[3:4], v[3:4], v[63:64], v[61:62]
	v_add_f64 v[1:2], v[57:58], -v[1:2]
	v_add_f64 v[3:4], v[59:60], -v[3:4]
	buffer_store_dword v2, v5, s[0:3], 0 offen offset:36
	buffer_store_dword v1, v5, s[0:3], 0 offen offset:32
	;; [unrolled: 1-line block ×4, first 2 shown]
	s_clause 0x7
	buffer_load_dword v1, off, s[0:3], 0 offset:200
	buffer_load_dword v2, off, s[0:3], 0 offset:204
	buffer_load_dword v3, off, s[0:3], 0 offset:192
	buffer_load_dword v4, off, s[0:3], 0 offset:196
	buffer_load_dword v57, v5, s[0:3], 0 offen offset:48
	buffer_load_dword v58, v5, s[0:3], 0 offen offset:52
	;; [unrolled: 1-line block ×4, first 2 shown]
	s_waitcnt vmcnt(6) lgkmcnt(0)
	v_mul_f64 v[61:62], v[55:56], v[1:2]
	v_mul_f64 v[1:2], v[53:54], v[1:2]
	s_waitcnt vmcnt(4)
	v_fma_f64 v[53:54], v[53:54], v[3:4], -v[61:62]
	v_fma_f64 v[1:2], v[55:56], v[3:4], v[1:2]
	s_waitcnt vmcnt(2)
	v_add_f64 v[3:4], v[57:58], -v[53:54]
	s_waitcnt vmcnt(0)
	v_add_f64 v[1:2], v[59:60], -v[1:2]
	buffer_store_dword v4, v5, s[0:3], 0 offen offset:52
	buffer_store_dword v3, v5, s[0:3], 0 offen offset:48
	;; [unrolled: 1-line block ×4, first 2 shown]
	s_clause 0x7
	buffer_load_dword v53, off, s[0:3], 0 offset:200
	buffer_load_dword v54, off, s[0:3], 0 offset:204
	;; [unrolled: 1-line block ×4, first 2 shown]
	buffer_load_dword v57, v5, s[0:3], 0 offen offset:64
	buffer_load_dword v58, v5, s[0:3], 0 offen offset:68
	;; [unrolled: 1-line block ×4, first 2 shown]
	ds_read2_b64 v[1:4], v6 offset0:8 offset1:9
	s_waitcnt vmcnt(6) lgkmcnt(0)
	v_mul_f64 v[61:62], v[3:4], v[53:54]
	v_mul_f64 v[53:54], v[1:2], v[53:54]
	s_waitcnt vmcnt(4)
	v_fma_f64 v[1:2], v[1:2], v[55:56], -v[61:62]
	v_fma_f64 v[3:4], v[3:4], v[55:56], v[53:54]
	s_waitcnt vmcnt(2)
	v_add_f64 v[1:2], v[57:58], -v[1:2]
	s_waitcnt vmcnt(0)
	v_add_f64 v[3:4], v[59:60], -v[3:4]
	buffer_store_dword v2, v5, s[0:3], 0 offen offset:68
	buffer_store_dword v1, v5, s[0:3], 0 offen offset:64
	;; [unrolled: 1-line block ×4, first 2 shown]
	s_cbranch_scc1 .LBB125_168
.LBB125_169:
	s_or_b32 exec_lo, exec_lo, s5
	s_mov_b32 s6, exec_lo
	s_waitcnt lgkmcnt(0)
	s_waitcnt_vscnt null, 0x0
	s_barrier
	buffer_gl0_inv
	v_cmpx_eq_u32_e32 13, v0
	s_cbranch_execz .LBB125_178
; %bb.170:
	v_mov_b32_e32 v4, s65
	s_movk_i32 s5, 0xe0
	s_clause 0x3
	buffer_load_dword v1, v4, s[0:3], 0 offen
	buffer_load_dword v2, v4, s[0:3], 0 offen offset:4
	buffer_load_dword v3, v4, s[0:3], 0 offen offset:8
	;; [unrolled: 1-line block ×3, first 2 shown]
	s_waitcnt vmcnt(0)
	ds_write2_b64 v255, v[1:2], v[3:4] offset1:1
.LBB125_171:                            ; =>This Inner Loop Header: Depth=1
	v_mov_b32_e32 v5, s5
	s_clause 0x1b
	buffer_load_dword v1, v5, s[0:3], 0 offen
	buffer_load_dword v2, v5, s[0:3], 0 offen offset:4
	buffer_load_dword v3, v5, s[0:3], 0 offen offset:8
	;; [unrolled: 1-line block ×27, first 2 shown]
	v_add_nc_u32_e32 v5, s5, v249
	s_addk_i32 s5, 0x70
	s_waitcnt vmcnt(24)
	ds_write2_b64 v5, v[1:2], v[3:4] offset1:1
	s_waitcnt vmcnt(20)
	ds_write2_b64 v5, v[53:54], v[55:56] offset0:2 offset1:3
	s_waitcnt vmcnt(16)
	ds_write2_b64 v5, v[57:58], v[59:60] offset0:4 offset1:5
	;; [unrolled: 2-line block ×4, first 2 shown]
	ds_write2_b64 v5, v[69:70], v[67:68] offset0:10 offset1:11
	s_waitcnt vmcnt(0)
	ds_write2_b64 v5, v[75:76], v[73:74] offset0:12 offset1:13
	s_cmpk_lg_i32 s5, 0x3f0
	s_cbranch_scc1 .LBB125_171
; %bb.172:
	ds_read2_b64 v[53:56], v255 offset1:1
	s_waitcnt lgkmcnt(0)
	v_cmp_neq_f64_e32 vcc_lo, 0, v[53:54]
	v_cmp_neq_f64_e64 s5, 0, v[55:56]
	s_or_b32 s5, vcc_lo, s5
	s_and_b32 exec_lo, exec_lo, s5
	s_cbranch_execz .LBB125_178
; %bb.173:
	v_cmp_ngt_f64_e64 s5, |v[53:54]|, |v[55:56]|
                                        ; implicit-def: $vgpr1_vgpr2
	s_and_saveexec_b32 s7, s5
	s_xor_b32 s5, exec_lo, s7
                                        ; implicit-def: $vgpr3_vgpr4
	s_cbranch_execz .LBB125_175
; %bb.174:
	v_div_scale_f64 v[1:2], null, v[55:56], v[55:56], v[53:54]
	v_div_scale_f64 v[59:60], vcc_lo, v[53:54], v[55:56], v[53:54]
	v_rcp_f64_e32 v[3:4], v[1:2]
	v_fma_f64 v[57:58], -v[1:2], v[3:4], 1.0
	v_fma_f64 v[3:4], v[3:4], v[57:58], v[3:4]
	v_fma_f64 v[57:58], -v[1:2], v[3:4], 1.0
	v_fma_f64 v[3:4], v[3:4], v[57:58], v[3:4]
	v_mul_f64 v[57:58], v[59:60], v[3:4]
	v_fma_f64 v[1:2], -v[1:2], v[57:58], v[59:60]
	v_div_fmas_f64 v[1:2], v[1:2], v[3:4], v[57:58]
	v_div_fixup_f64 v[1:2], v[1:2], v[55:56], v[53:54]
	v_fma_f64 v[3:4], v[53:54], v[1:2], v[55:56]
	v_div_scale_f64 v[53:54], null, v[3:4], v[3:4], 1.0
	v_rcp_f64_e32 v[55:56], v[53:54]
	v_fma_f64 v[57:58], -v[53:54], v[55:56], 1.0
	v_fma_f64 v[55:56], v[55:56], v[57:58], v[55:56]
	v_fma_f64 v[57:58], -v[53:54], v[55:56], 1.0
	v_fma_f64 v[55:56], v[55:56], v[57:58], v[55:56]
	v_div_scale_f64 v[57:58], vcc_lo, 1.0, v[3:4], 1.0
	v_mul_f64 v[59:60], v[57:58], v[55:56]
	v_fma_f64 v[53:54], -v[53:54], v[59:60], v[57:58]
	v_div_fmas_f64 v[53:54], v[53:54], v[55:56], v[59:60]
	v_div_fixup_f64 v[3:4], v[53:54], v[3:4], 1.0
                                        ; implicit-def: $vgpr53_vgpr54
	v_mul_f64 v[1:2], v[1:2], v[3:4]
	v_xor_b32_e32 v4, 0x80000000, v4
.LBB125_175:
	s_andn2_saveexec_b32 s5, s5
	s_cbranch_execz .LBB125_177
; %bb.176:
	v_div_scale_f64 v[1:2], null, v[53:54], v[53:54], v[55:56]
	v_div_scale_f64 v[59:60], vcc_lo, v[55:56], v[53:54], v[55:56]
	v_rcp_f64_e32 v[3:4], v[1:2]
	v_fma_f64 v[57:58], -v[1:2], v[3:4], 1.0
	v_fma_f64 v[3:4], v[3:4], v[57:58], v[3:4]
	v_fma_f64 v[57:58], -v[1:2], v[3:4], 1.0
	v_fma_f64 v[3:4], v[3:4], v[57:58], v[3:4]
	v_mul_f64 v[57:58], v[59:60], v[3:4]
	v_fma_f64 v[1:2], -v[1:2], v[57:58], v[59:60]
	v_div_fmas_f64 v[1:2], v[1:2], v[3:4], v[57:58]
	v_div_fixup_f64 v[3:4], v[1:2], v[53:54], v[55:56]
	v_fma_f64 v[1:2], v[55:56], v[3:4], v[53:54]
	v_div_scale_f64 v[53:54], null, v[1:2], v[1:2], 1.0
	v_rcp_f64_e32 v[55:56], v[53:54]
	v_fma_f64 v[57:58], -v[53:54], v[55:56], 1.0
	v_fma_f64 v[55:56], v[55:56], v[57:58], v[55:56]
	v_fma_f64 v[57:58], -v[53:54], v[55:56], 1.0
	v_fma_f64 v[55:56], v[55:56], v[57:58], v[55:56]
	v_div_scale_f64 v[57:58], vcc_lo, 1.0, v[1:2], 1.0
	v_mul_f64 v[59:60], v[57:58], v[55:56]
	v_fma_f64 v[53:54], -v[53:54], v[59:60], v[57:58]
	v_div_fmas_f64 v[53:54], v[53:54], v[55:56], v[59:60]
	v_div_fixup_f64 v[1:2], v[53:54], v[1:2], 1.0
	v_mul_f64 v[3:4], v[3:4], -v[1:2]
.LBB125_177:
	s_or_b32 exec_lo, exec_lo, s5
	ds_write2_b64 v255, v[1:2], v[3:4] offset1:1
.LBB125_178:
	s_or_b32 exec_lo, exec_lo, s6
	s_waitcnt lgkmcnt(0)
	s_barrier
	buffer_gl0_inv
	ds_read2_b64 v[53:56], v255 offset1:1
	s_mov_b32 s5, exec_lo
	v_cmpx_lt_u32_e32 13, v0
	s_cbranch_execz .LBB125_181
; %bb.179:
	s_clause 0x3
	buffer_load_dword v1, off, s[0:3], 0 offset:216
	buffer_load_dword v2, off, s[0:3], 0 offset:220
	;; [unrolled: 1-line block ×4, first 2 shown]
	s_movk_i32 s6, 0xe0
	s_waitcnt vmcnt(2) lgkmcnt(0)
	v_mul_f64 v[57:58], v[55:56], v[1:2]
	v_mul_f64 v[1:2], v[53:54], v[1:2]
	s_waitcnt vmcnt(0)
	v_fma_f64 v[57:58], v[53:54], v[3:4], -v[57:58]
	v_fma_f64 v[1:2], v[55:56], v[3:4], v[1:2]
	buffer_store_dword v57, off, s[0:3], 0 offset:208
	buffer_store_dword v58, off, s[0:3], 0 offset:212
	;; [unrolled: 1-line block ×4, first 2 shown]
.LBB125_180:                            ; =>This Inner Loop Header: Depth=1
	s_clause 0x3
	buffer_load_dword v61, off, s[0:3], 0 offset:216
	buffer_load_dword v62, off, s[0:3], 0 offset:220
	;; [unrolled: 1-line block ×4, first 2 shown]
	v_mov_b32_e32 v5, s6
	v_add_nc_u32_e32 v6, s6, v249
	s_addk_i32 s6, 0x70
	s_clause 0x3
	buffer_load_dword v65, v5, s[0:3], 0 offen
	buffer_load_dword v66, v5, s[0:3], 0 offen offset:4
	buffer_load_dword v67, v5, s[0:3], 0 offen offset:8
	;; [unrolled: 1-line block ×3, first 2 shown]
	ds_read2_b64 v[1:4], v6 offset1:1
	s_clause 0x3
	buffer_load_dword v69, v5, s[0:3], 0 offen offset:16
	buffer_load_dword v70, v5, s[0:3], 0 offen offset:20
	buffer_load_dword v71, v5, s[0:3], 0 offen offset:24
	buffer_load_dword v72, v5, s[0:3], 0 offen offset:28
	ds_read2_b64 v[57:60], v6 offset0:2 offset1:3
	s_cmpk_lg_i32 s6, 0x3f0
	s_waitcnt vmcnt(10) lgkmcnt(1)
	v_mul_f64 v[73:74], v[3:4], v[61:62]
	v_mul_f64 v[61:62], v[1:2], v[61:62]
	s_waitcnt vmcnt(8)
	v_fma_f64 v[1:2], v[1:2], v[63:64], -v[73:74]
	v_fma_f64 v[3:4], v[3:4], v[63:64], v[61:62]
	s_waitcnt vmcnt(6)
	v_add_f64 v[1:2], v[65:66], -v[1:2]
	s_waitcnt vmcnt(4)
	v_add_f64 v[3:4], v[67:68], -v[3:4]
	buffer_store_dword v2, v5, s[0:3], 0 offen offset:4
	buffer_store_dword v1, v5, s[0:3], 0 offen
	buffer_store_dword v4, v5, s[0:3], 0 offen offset:12
	buffer_store_dword v3, v5, s[0:3], 0 offen offset:8
	s_clause 0x7
	buffer_load_dword v2, off, s[0:3], 0 offset:220
	buffer_load_dword v1, off, s[0:3], 0 offset:216
	;; [unrolled: 1-line block ×4, first 2 shown]
	buffer_load_dword v61, v5, s[0:3], 0 offen offset:32
	buffer_load_dword v62, v5, s[0:3], 0 offen offset:36
	;; [unrolled: 1-line block ×4, first 2 shown]
	s_waitcnt vmcnt(6) lgkmcnt(0)
	v_mul_f64 v[65:66], v[59:60], v[1:2]
	v_mul_f64 v[1:2], v[57:58], v[1:2]
	s_waitcnt vmcnt(4)
	v_fma_f64 v[57:58], v[57:58], v[3:4], -v[65:66]
	v_fma_f64 v[1:2], v[59:60], v[3:4], v[1:2]
	v_add_f64 v[3:4], v[69:70], -v[57:58]
	v_add_f64 v[1:2], v[71:72], -v[1:2]
	buffer_store_dword v4, v5, s[0:3], 0 offen offset:20
	buffer_store_dword v3, v5, s[0:3], 0 offen offset:16
	;; [unrolled: 1-line block ×4, first 2 shown]
	s_clause 0x3
	buffer_load_dword v65, off, s[0:3], 0 offset:216
	buffer_load_dword v66, off, s[0:3], 0 offset:220
	;; [unrolled: 1-line block ×4, first 2 shown]
	ds_read2_b64 v[1:4], v6 offset0:4 offset1:5
	ds_read2_b64 v[57:60], v6 offset0:6 offset1:7
	s_waitcnt vmcnt(2) lgkmcnt(1)
	v_mul_f64 v[69:70], v[3:4], v[65:66]
	v_mul_f64 v[65:66], v[1:2], v[65:66]
	s_waitcnt vmcnt(0)
	v_fma_f64 v[1:2], v[1:2], v[67:68], -v[69:70]
	v_fma_f64 v[3:4], v[3:4], v[67:68], v[65:66]
	v_add_f64 v[1:2], v[61:62], -v[1:2]
	v_add_f64 v[3:4], v[63:64], -v[3:4]
	buffer_store_dword v2, v5, s[0:3], 0 offen offset:36
	buffer_store_dword v1, v5, s[0:3], 0 offen offset:32
	;; [unrolled: 1-line block ×4, first 2 shown]
	s_clause 0x7
	buffer_load_dword v1, off, s[0:3], 0 offset:216
	buffer_load_dword v2, off, s[0:3], 0 offset:220
	;; [unrolled: 1-line block ×4, first 2 shown]
	buffer_load_dword v61, v5, s[0:3], 0 offen offset:48
	buffer_load_dword v62, v5, s[0:3], 0 offen offset:52
	;; [unrolled: 1-line block ×4, first 2 shown]
	s_waitcnt vmcnt(6) lgkmcnt(0)
	v_mul_f64 v[65:66], v[59:60], v[1:2]
	v_mul_f64 v[1:2], v[57:58], v[1:2]
	s_waitcnt vmcnt(4)
	v_fma_f64 v[57:58], v[57:58], v[3:4], -v[65:66]
	v_fma_f64 v[1:2], v[59:60], v[3:4], v[1:2]
	s_waitcnt vmcnt(2)
	v_add_f64 v[3:4], v[61:62], -v[57:58]
	s_waitcnt vmcnt(0)
	v_add_f64 v[1:2], v[63:64], -v[1:2]
	buffer_store_dword v4, v5, s[0:3], 0 offen offset:52
	buffer_store_dword v3, v5, s[0:3], 0 offen offset:48
	;; [unrolled: 1-line block ×4, first 2 shown]
	s_clause 0x7
	buffer_load_dword v61, off, s[0:3], 0 offset:216
	buffer_load_dword v62, off, s[0:3], 0 offset:220
	;; [unrolled: 1-line block ×4, first 2 shown]
	buffer_load_dword v65, v5, s[0:3], 0 offen offset:64
	buffer_load_dword v66, v5, s[0:3], 0 offen offset:68
	buffer_load_dword v67, v5, s[0:3], 0 offen offset:72
	buffer_load_dword v68, v5, s[0:3], 0 offen offset:76
	ds_read2_b64 v[1:4], v6 offset0:8 offset1:9
	ds_read2_b64 v[57:60], v6 offset0:10 offset1:11
	s_waitcnt vmcnt(6) lgkmcnt(1)
	v_mul_f64 v[69:70], v[3:4], v[61:62]
	v_mul_f64 v[61:62], v[1:2], v[61:62]
	s_waitcnt vmcnt(4)
	v_fma_f64 v[1:2], v[1:2], v[63:64], -v[69:70]
	v_fma_f64 v[3:4], v[3:4], v[63:64], v[61:62]
	s_waitcnt vmcnt(2)
	v_add_f64 v[1:2], v[65:66], -v[1:2]
	s_waitcnt vmcnt(0)
	v_add_f64 v[3:4], v[67:68], -v[3:4]
	buffer_store_dword v2, v5, s[0:3], 0 offen offset:68
	buffer_store_dword v1, v5, s[0:3], 0 offen offset:64
	;; [unrolled: 1-line block ×4, first 2 shown]
	s_clause 0x7
	buffer_load_dword v1, off, s[0:3], 0 offset:216
	buffer_load_dword v2, off, s[0:3], 0 offset:220
	;; [unrolled: 1-line block ×4, first 2 shown]
	buffer_load_dword v61, v5, s[0:3], 0 offen offset:80
	buffer_load_dword v62, v5, s[0:3], 0 offen offset:84
	;; [unrolled: 1-line block ×4, first 2 shown]
	s_waitcnt vmcnt(6) lgkmcnt(0)
	v_mul_f64 v[65:66], v[59:60], v[1:2]
	v_mul_f64 v[1:2], v[57:58], v[1:2]
	s_waitcnt vmcnt(4)
	v_fma_f64 v[57:58], v[57:58], v[3:4], -v[65:66]
	v_fma_f64 v[1:2], v[59:60], v[3:4], v[1:2]
	s_waitcnt vmcnt(2)
	v_add_f64 v[3:4], v[61:62], -v[57:58]
	s_waitcnt vmcnt(0)
	v_add_f64 v[1:2], v[63:64], -v[1:2]
	buffer_store_dword v4, v5, s[0:3], 0 offen offset:84
	buffer_store_dword v3, v5, s[0:3], 0 offen offset:80
	;; [unrolled: 1-line block ×4, first 2 shown]
	s_clause 0x7
	buffer_load_dword v57, off, s[0:3], 0 offset:216
	buffer_load_dword v58, off, s[0:3], 0 offset:220
	buffer_load_dword v59, off, s[0:3], 0 offset:208
	buffer_load_dword v60, off, s[0:3], 0 offset:212
	buffer_load_dword v61, v5, s[0:3], 0 offen offset:96
	buffer_load_dword v62, v5, s[0:3], 0 offen offset:100
	;; [unrolled: 1-line block ×4, first 2 shown]
	ds_read2_b64 v[1:4], v6 offset0:12 offset1:13
	s_waitcnt vmcnt(6) lgkmcnt(0)
	v_mul_f64 v[65:66], v[3:4], v[57:58]
	v_mul_f64 v[57:58], v[1:2], v[57:58]
	s_waitcnt vmcnt(4)
	v_fma_f64 v[1:2], v[1:2], v[59:60], -v[65:66]
	v_fma_f64 v[3:4], v[3:4], v[59:60], v[57:58]
	s_waitcnt vmcnt(2)
	v_add_f64 v[1:2], v[61:62], -v[1:2]
	s_waitcnt vmcnt(0)
	v_add_f64 v[3:4], v[63:64], -v[3:4]
	buffer_store_dword v2, v5, s[0:3], 0 offen offset:100
	buffer_store_dword v1, v5, s[0:3], 0 offen offset:96
	;; [unrolled: 1-line block ×4, first 2 shown]
	s_cbranch_scc1 .LBB125_180
.LBB125_181:
	s_or_b32 exec_lo, exec_lo, s5
	s_mov_b32 s6, exec_lo
	s_waitcnt lgkmcnt(0)
	s_waitcnt_vscnt null, 0x0
	s_barrier
	buffer_gl0_inv
	v_cmpx_eq_u32_e32 14, v0
	s_cbranch_execz .LBB125_190
; %bb.182:
	v_mov_b32_e32 v4, s64
	s_movk_i32 s5, 0xf0
	s_clause 0x3
	buffer_load_dword v1, v4, s[0:3], 0 offen
	buffer_load_dword v2, v4, s[0:3], 0 offen offset:4
	buffer_load_dword v3, v4, s[0:3], 0 offen offset:8
	;; [unrolled: 1-line block ×3, first 2 shown]
	s_waitcnt vmcnt(0)
	ds_write2_b64 v255, v[1:2], v[3:4] offset1:1
.LBB125_183:                            ; =>This Inner Loop Header: Depth=1
	v_mov_b32_e32 v5, s5
	s_clause 0x3e
	buffer_load_dword v1, v5, s[0:3], 0 offen
	buffer_load_dword v2, v5, s[0:3], 0 offen offset:4
	buffer_load_dword v3, v5, s[0:3], 0 offen offset:8
	;; [unrolled: 1-line block ×63, first 2 shown]
	v_add_nc_u32_e32 v5, s5, v249
	s_addk_i32 s5, 0x100
	s_waitcnt vmcnt(60)
	ds_write2_b64 v5, v[1:2], v[3:4] offset1:1
	s_waitcnt vmcnt(56)
	ds_write2_b64 v5, v[57:58], v[59:60] offset0:2 offset1:3
	s_waitcnt vmcnt(52)
	ds_write2_b64 v5, v[61:62], v[63:64] offset0:4 offset1:5
	;; [unrolled: 2-line block ×4, first 2 shown]
	ds_write2_b64 v5, v[73:74], v[71:72] offset0:10 offset1:11
	s_waitcnt vmcnt(32)
	ds_write2_b64 v5, v[83:84], v[77:78] offset0:12 offset1:13
	ds_write2_b64 v5, v[81:82], v[79:80] offset0:14 offset1:15
	s_waitcnt vmcnt(28)
	ds_write2_b64 v5, v[85:86], v[87:88] offset0:16 offset1:17
	s_waitcnt vmcnt(24)
	;; [unrolled: 2-line block ×8, first 2 shown]
	ds_write2_b64 v5, v[113:114], v[115:116] offset0:30 offset1:31
	s_cmpk_lg_i32 s5, 0x3f0
	s_cbranch_scc1 .LBB125_183
; %bb.184:
	ds_read2_b64 v[57:60], v255 offset1:1
	s_waitcnt lgkmcnt(0)
	v_cmp_neq_f64_e32 vcc_lo, 0, v[57:58]
	v_cmp_neq_f64_e64 s5, 0, v[59:60]
	s_or_b32 s5, vcc_lo, s5
	s_and_b32 exec_lo, exec_lo, s5
	s_cbranch_execz .LBB125_190
; %bb.185:
	v_cmp_ngt_f64_e64 s5, |v[57:58]|, |v[59:60]|
                                        ; implicit-def: $vgpr1_vgpr2
	s_and_saveexec_b32 s7, s5
	s_xor_b32 s5, exec_lo, s7
                                        ; implicit-def: $vgpr3_vgpr4
	s_cbranch_execz .LBB125_187
; %bb.186:
	v_div_scale_f64 v[1:2], null, v[59:60], v[59:60], v[57:58]
	v_div_scale_f64 v[63:64], vcc_lo, v[57:58], v[59:60], v[57:58]
	v_rcp_f64_e32 v[3:4], v[1:2]
	v_fma_f64 v[61:62], -v[1:2], v[3:4], 1.0
	v_fma_f64 v[3:4], v[3:4], v[61:62], v[3:4]
	v_fma_f64 v[61:62], -v[1:2], v[3:4], 1.0
	v_fma_f64 v[3:4], v[3:4], v[61:62], v[3:4]
	v_mul_f64 v[61:62], v[63:64], v[3:4]
	v_fma_f64 v[1:2], -v[1:2], v[61:62], v[63:64]
	v_div_fmas_f64 v[1:2], v[1:2], v[3:4], v[61:62]
	v_div_fixup_f64 v[1:2], v[1:2], v[59:60], v[57:58]
	v_fma_f64 v[3:4], v[57:58], v[1:2], v[59:60]
	v_div_scale_f64 v[57:58], null, v[3:4], v[3:4], 1.0
	v_rcp_f64_e32 v[59:60], v[57:58]
	v_fma_f64 v[61:62], -v[57:58], v[59:60], 1.0
	v_fma_f64 v[59:60], v[59:60], v[61:62], v[59:60]
	v_fma_f64 v[61:62], -v[57:58], v[59:60], 1.0
	v_fma_f64 v[59:60], v[59:60], v[61:62], v[59:60]
	v_div_scale_f64 v[61:62], vcc_lo, 1.0, v[3:4], 1.0
	v_mul_f64 v[63:64], v[61:62], v[59:60]
	v_fma_f64 v[57:58], -v[57:58], v[63:64], v[61:62]
	v_div_fmas_f64 v[57:58], v[57:58], v[59:60], v[63:64]
	v_div_fixup_f64 v[3:4], v[57:58], v[3:4], 1.0
                                        ; implicit-def: $vgpr57_vgpr58
	v_mul_f64 v[1:2], v[1:2], v[3:4]
	v_xor_b32_e32 v4, 0x80000000, v4
.LBB125_187:
	s_andn2_saveexec_b32 s5, s5
	s_cbranch_execz .LBB125_189
; %bb.188:
	v_div_scale_f64 v[1:2], null, v[57:58], v[57:58], v[59:60]
	v_div_scale_f64 v[63:64], vcc_lo, v[59:60], v[57:58], v[59:60]
	v_rcp_f64_e32 v[3:4], v[1:2]
	v_fma_f64 v[61:62], -v[1:2], v[3:4], 1.0
	v_fma_f64 v[3:4], v[3:4], v[61:62], v[3:4]
	v_fma_f64 v[61:62], -v[1:2], v[3:4], 1.0
	v_fma_f64 v[3:4], v[3:4], v[61:62], v[3:4]
	v_mul_f64 v[61:62], v[63:64], v[3:4]
	v_fma_f64 v[1:2], -v[1:2], v[61:62], v[63:64]
	v_div_fmas_f64 v[1:2], v[1:2], v[3:4], v[61:62]
	v_div_fixup_f64 v[3:4], v[1:2], v[57:58], v[59:60]
	v_fma_f64 v[1:2], v[59:60], v[3:4], v[57:58]
	v_div_scale_f64 v[57:58], null, v[1:2], v[1:2], 1.0
	v_rcp_f64_e32 v[59:60], v[57:58]
	v_fma_f64 v[61:62], -v[57:58], v[59:60], 1.0
	v_fma_f64 v[59:60], v[59:60], v[61:62], v[59:60]
	v_fma_f64 v[61:62], -v[57:58], v[59:60], 1.0
	v_fma_f64 v[59:60], v[59:60], v[61:62], v[59:60]
	v_div_scale_f64 v[61:62], vcc_lo, 1.0, v[1:2], 1.0
	v_mul_f64 v[63:64], v[61:62], v[59:60]
	v_fma_f64 v[57:58], -v[57:58], v[63:64], v[61:62]
	v_div_fmas_f64 v[57:58], v[57:58], v[59:60], v[63:64]
	v_div_fixup_f64 v[1:2], v[57:58], v[1:2], 1.0
	v_mul_f64 v[3:4], v[3:4], -v[1:2]
.LBB125_189:
	s_or_b32 exec_lo, exec_lo, s5
	ds_write2_b64 v255, v[1:2], v[3:4] offset1:1
.LBB125_190:
	s_or_b32 exec_lo, exec_lo, s6
	s_waitcnt lgkmcnt(0)
	s_barrier
	buffer_gl0_inv
	ds_read2_b64 v[57:60], v255 offset1:1
	s_mov_b32 s5, exec_lo
	v_cmpx_lt_u32_e32 14, v0
	s_cbranch_execz .LBB125_193
; %bb.191:
	s_clause 0x3
	buffer_load_dword v1, off, s[0:3], 0 offset:232
	buffer_load_dword v2, off, s[0:3], 0 offset:236
	;; [unrolled: 1-line block ×4, first 2 shown]
	s_movk_i32 s6, 0xf0
	s_waitcnt vmcnt(2) lgkmcnt(0)
	v_mul_f64 v[61:62], v[59:60], v[1:2]
	v_mul_f64 v[1:2], v[57:58], v[1:2]
	s_waitcnt vmcnt(0)
	v_fma_f64 v[61:62], v[57:58], v[3:4], -v[61:62]
	v_fma_f64 v[1:2], v[59:60], v[3:4], v[1:2]
	buffer_store_dword v61, off, s[0:3], 0 offset:224
	buffer_store_dword v62, off, s[0:3], 0 offset:228
	;; [unrolled: 1-line block ×4, first 2 shown]
.LBB125_192:                            ; =>This Inner Loop Header: Depth=1
	s_clause 0x3
	buffer_load_dword v65, off, s[0:3], 0 offset:232
	buffer_load_dword v66, off, s[0:3], 0 offset:236
	;; [unrolled: 1-line block ×4, first 2 shown]
	v_mov_b32_e32 v5, s6
	v_add_nc_u32_e32 v6, s6, v249
	s_addk_i32 s6, 0x60
	s_clause 0x3
	buffer_load_dword v69, v5, s[0:3], 0 offen
	buffer_load_dword v70, v5, s[0:3], 0 offen offset:4
	buffer_load_dword v71, v5, s[0:3], 0 offen offset:8
	;; [unrolled: 1-line block ×3, first 2 shown]
	ds_read2_b64 v[1:4], v6 offset1:1
	s_clause 0x3
	buffer_load_dword v73, v5, s[0:3], 0 offen offset:16
	buffer_load_dword v74, v5, s[0:3], 0 offen offset:20
	buffer_load_dword v75, v5, s[0:3], 0 offen offset:24
	buffer_load_dword v76, v5, s[0:3], 0 offen offset:28
	ds_read2_b64 v[61:64], v6 offset0:2 offset1:3
	s_cmpk_lg_i32 s6, 0x3f0
	s_waitcnt vmcnt(10) lgkmcnt(1)
	v_mul_f64 v[77:78], v[3:4], v[65:66]
	v_mul_f64 v[65:66], v[1:2], v[65:66]
	s_waitcnt vmcnt(8)
	v_fma_f64 v[1:2], v[1:2], v[67:68], -v[77:78]
	v_fma_f64 v[3:4], v[3:4], v[67:68], v[65:66]
	s_waitcnt vmcnt(6)
	v_add_f64 v[1:2], v[69:70], -v[1:2]
	s_waitcnt vmcnt(4)
	v_add_f64 v[3:4], v[71:72], -v[3:4]
	buffer_store_dword v2, v5, s[0:3], 0 offen offset:4
	buffer_store_dword v1, v5, s[0:3], 0 offen
	buffer_store_dword v4, v5, s[0:3], 0 offen offset:12
	buffer_store_dword v3, v5, s[0:3], 0 offen offset:8
	s_clause 0x3
	buffer_load_dword v2, off, s[0:3], 0 offset:236
	buffer_load_dword v1, off, s[0:3], 0 offset:232
	;; [unrolled: 1-line block ×4, first 2 shown]
	s_waitcnt vmcnt(2) lgkmcnt(0)
	v_mul_f64 v[65:66], v[63:64], v[1:2]
	v_mul_f64 v[1:2], v[61:62], v[1:2]
	s_waitcnt vmcnt(0)
	v_fma_f64 v[61:62], v[61:62], v[3:4], -v[65:66]
	v_fma_f64 v[1:2], v[63:64], v[3:4], v[1:2]
	s_clause 0x3
	buffer_load_dword v65, v5, s[0:3], 0 offen offset:32
	buffer_load_dword v66, v5, s[0:3], 0 offen offset:36
	;; [unrolled: 1-line block ×4, first 2 shown]
	v_add_f64 v[3:4], v[73:74], -v[61:62]
	v_add_f64 v[1:2], v[75:76], -v[1:2]
	buffer_store_dword v4, v5, s[0:3], 0 offen offset:20
	buffer_store_dword v3, v5, s[0:3], 0 offen offset:16
	;; [unrolled: 1-line block ×4, first 2 shown]
	s_clause 0x3
	buffer_load_dword v69, off, s[0:3], 0 offset:232
	buffer_load_dword v70, off, s[0:3], 0 offset:236
	;; [unrolled: 1-line block ×4, first 2 shown]
	ds_read2_b64 v[1:4], v6 offset0:4 offset1:5
	ds_read2_b64 v[61:64], v6 offset0:6 offset1:7
	s_waitcnt vmcnt(2) lgkmcnt(1)
	v_mul_f64 v[73:74], v[3:4], v[69:70]
	v_mul_f64 v[69:70], v[1:2], v[69:70]
	s_waitcnt vmcnt(0)
	v_fma_f64 v[1:2], v[1:2], v[71:72], -v[73:74]
	v_fma_f64 v[3:4], v[3:4], v[71:72], v[69:70]
	v_add_f64 v[1:2], v[65:66], -v[1:2]
	v_add_f64 v[3:4], v[67:68], -v[3:4]
	buffer_store_dword v2, v5, s[0:3], 0 offen offset:36
	buffer_store_dword v1, v5, s[0:3], 0 offen offset:32
	;; [unrolled: 1-line block ×4, first 2 shown]
	s_clause 0x7
	buffer_load_dword v1, off, s[0:3], 0 offset:232
	buffer_load_dword v2, off, s[0:3], 0 offset:236
	buffer_load_dword v3, off, s[0:3], 0 offset:224
	buffer_load_dword v4, off, s[0:3], 0 offset:228
	buffer_load_dword v65, v5, s[0:3], 0 offen offset:48
	buffer_load_dword v66, v5, s[0:3], 0 offen offset:52
	;; [unrolled: 1-line block ×4, first 2 shown]
	s_waitcnt vmcnt(6) lgkmcnt(0)
	v_mul_f64 v[69:70], v[63:64], v[1:2]
	v_mul_f64 v[1:2], v[61:62], v[1:2]
	s_waitcnt vmcnt(4)
	v_fma_f64 v[61:62], v[61:62], v[3:4], -v[69:70]
	v_fma_f64 v[1:2], v[63:64], v[3:4], v[1:2]
	s_waitcnt vmcnt(2)
	v_add_f64 v[3:4], v[65:66], -v[61:62]
	s_waitcnt vmcnt(0)
	v_add_f64 v[1:2], v[67:68], -v[1:2]
	buffer_store_dword v4, v5, s[0:3], 0 offen offset:52
	buffer_store_dword v3, v5, s[0:3], 0 offen offset:48
	;; [unrolled: 1-line block ×4, first 2 shown]
	s_clause 0x7
	buffer_load_dword v65, off, s[0:3], 0 offset:232
	buffer_load_dword v66, off, s[0:3], 0 offset:236
	;; [unrolled: 1-line block ×4, first 2 shown]
	buffer_load_dword v69, v5, s[0:3], 0 offen offset:64
	buffer_load_dword v70, v5, s[0:3], 0 offen offset:68
	;; [unrolled: 1-line block ×4, first 2 shown]
	ds_read2_b64 v[1:4], v6 offset0:8 offset1:9
	ds_read2_b64 v[61:64], v6 offset0:10 offset1:11
	s_waitcnt vmcnt(6) lgkmcnt(1)
	v_mul_f64 v[73:74], v[3:4], v[65:66]
	v_mul_f64 v[65:66], v[1:2], v[65:66]
	s_waitcnt vmcnt(4)
	v_fma_f64 v[1:2], v[1:2], v[67:68], -v[73:74]
	v_fma_f64 v[3:4], v[3:4], v[67:68], v[65:66]
	s_waitcnt vmcnt(2)
	v_add_f64 v[1:2], v[69:70], -v[1:2]
	s_waitcnt vmcnt(0)
	v_add_f64 v[3:4], v[71:72], -v[3:4]
	buffer_store_dword v2, v5, s[0:3], 0 offen offset:68
	buffer_store_dword v1, v5, s[0:3], 0 offen offset:64
	;; [unrolled: 1-line block ×4, first 2 shown]
	s_clause 0x7
	buffer_load_dword v1, off, s[0:3], 0 offset:232
	buffer_load_dword v2, off, s[0:3], 0 offset:236
	;; [unrolled: 1-line block ×4, first 2 shown]
	buffer_load_dword v65, v5, s[0:3], 0 offen offset:80
	buffer_load_dword v66, v5, s[0:3], 0 offen offset:84
	;; [unrolled: 1-line block ×4, first 2 shown]
	s_waitcnt vmcnt(6) lgkmcnt(0)
	v_mul_f64 v[69:70], v[63:64], v[1:2]
	v_mul_f64 v[1:2], v[61:62], v[1:2]
	s_waitcnt vmcnt(4)
	v_fma_f64 v[61:62], v[61:62], v[3:4], -v[69:70]
	v_fma_f64 v[1:2], v[63:64], v[3:4], v[1:2]
	s_waitcnt vmcnt(2)
	v_add_f64 v[3:4], v[65:66], -v[61:62]
	s_waitcnt vmcnt(0)
	v_add_f64 v[1:2], v[67:68], -v[1:2]
	buffer_store_dword v4, v5, s[0:3], 0 offen offset:84
	buffer_store_dword v3, v5, s[0:3], 0 offen offset:80
	;; [unrolled: 1-line block ×4, first 2 shown]
	s_cbranch_scc1 .LBB125_192
.LBB125_193:
	s_or_b32 exec_lo, exec_lo, s5
	s_mov_b32 s6, exec_lo
	s_waitcnt lgkmcnt(0)
	s_waitcnt_vscnt null, 0x0
	s_barrier
	buffer_gl0_inv
	v_cmpx_eq_u32_e32 15, v0
	s_cbranch_execz .LBB125_204
; %bb.194:
	v_mov_b32_e32 v4, s63
	s_movk_i32 s5, 0x100
	s_clause 0x3
	buffer_load_dword v1, v4, s[0:3], 0 offen
	buffer_load_dword v2, v4, s[0:3], 0 offen offset:4
	buffer_load_dword v3, v4, s[0:3], 0 offen offset:8
	;; [unrolled: 1-line block ×3, first 2 shown]
	s_waitcnt vmcnt(0)
	ds_write2_b64 v255, v[1:2], v[3:4] offset1:1
	s_branch .LBB125_196
.LBB125_195:                            ;   in Loop: Header=BB125_196 Depth=1
	s_andn2_b32 vcc_lo, exec_lo, s8
	s_cbranch_vccz .LBB125_198
.LBB125_196:                            ; =>This Inner Loop Header: Depth=1
	v_mov_b32_e32 v1, s5
	s_mov_b32 s7, s5
	s_mov_b32 s8, -1
	s_cmpk_eq_i32 s5, 0x380
	s_clause 0x1b
	buffer_load_dword v2, v1, s[0:3], 0 offen
	buffer_load_dword v3, v1, s[0:3], 0 offen offset:4
	buffer_load_dword v61, v1, s[0:3], 0 offen offset:8
	;; [unrolled: 1-line block ×27, first 2 shown]
	v_add_nc_u32_e32 v1, s5, v249
	s_waitcnt vmcnt(24)
	ds_write2_b64 v1, v[2:3], v[61:62] offset1:1
	s_waitcnt vmcnt(20)
	ds_write2_b64 v1, v[63:64], v[65:66] offset0:2 offset1:3
	s_waitcnt vmcnt(16)
	ds_write2_b64 v1, v[67:68], v[69:70] offset0:4 offset1:5
	;; [unrolled: 2-line block ×4, first 2 shown]
	ds_write2_b64 v1, v[79:80], v[77:78] offset0:10 offset1:11
	s_waitcnt vmcnt(0)
	ds_write2_b64 v1, v[85:86], v[83:84] offset0:12 offset1:13
	s_cbranch_scc1 .LBB125_195
; %bb.197:                              ;   in Loop: Header=BB125_196 Depth=1
	v_mov_b32_e32 v4, s7
	s_addk_i32 s5, 0x80
	s_mov_b32 s8, 0
	s_clause 0x3
	buffer_load_dword v2, v4, s[0:3], 0 offen offset:112
	buffer_load_dword v3, v4, s[0:3], 0 offen offset:116
	;; [unrolled: 1-line block ×4, first 2 shown]
	s_waitcnt vmcnt(0)
	ds_write2_b64 v1, v[2:3], v[61:62] offset0:14 offset1:15
	s_branch .LBB125_195
.LBB125_198:
	ds_read2_b64 v[61:64], v255 offset1:1
	s_waitcnt lgkmcnt(0)
	v_cmp_neq_f64_e32 vcc_lo, 0, v[61:62]
	v_cmp_neq_f64_e64 s5, 0, v[63:64]
	s_or_b32 s5, vcc_lo, s5
	s_and_b32 exec_lo, exec_lo, s5
	s_cbranch_execz .LBB125_204
; %bb.199:
	v_cmp_ngt_f64_e64 s5, |v[61:62]|, |v[63:64]|
                                        ; implicit-def: $vgpr1_vgpr2
	s_and_saveexec_b32 s7, s5
	s_xor_b32 s5, exec_lo, s7
                                        ; implicit-def: $vgpr3_vgpr4
	s_cbranch_execz .LBB125_201
; %bb.200:
	v_div_scale_f64 v[1:2], null, v[63:64], v[63:64], v[61:62]
	v_div_scale_f64 v[67:68], vcc_lo, v[61:62], v[63:64], v[61:62]
	v_rcp_f64_e32 v[3:4], v[1:2]
	v_fma_f64 v[65:66], -v[1:2], v[3:4], 1.0
	v_fma_f64 v[3:4], v[3:4], v[65:66], v[3:4]
	v_fma_f64 v[65:66], -v[1:2], v[3:4], 1.0
	v_fma_f64 v[3:4], v[3:4], v[65:66], v[3:4]
	v_mul_f64 v[65:66], v[67:68], v[3:4]
	v_fma_f64 v[1:2], -v[1:2], v[65:66], v[67:68]
	v_div_fmas_f64 v[1:2], v[1:2], v[3:4], v[65:66]
	v_div_fixup_f64 v[1:2], v[1:2], v[63:64], v[61:62]
	v_fma_f64 v[3:4], v[61:62], v[1:2], v[63:64]
	v_div_scale_f64 v[61:62], null, v[3:4], v[3:4], 1.0
	v_rcp_f64_e32 v[63:64], v[61:62]
	v_fma_f64 v[65:66], -v[61:62], v[63:64], 1.0
	v_fma_f64 v[63:64], v[63:64], v[65:66], v[63:64]
	v_fma_f64 v[65:66], -v[61:62], v[63:64], 1.0
	v_fma_f64 v[63:64], v[63:64], v[65:66], v[63:64]
	v_div_scale_f64 v[65:66], vcc_lo, 1.0, v[3:4], 1.0
	v_mul_f64 v[67:68], v[65:66], v[63:64]
	v_fma_f64 v[61:62], -v[61:62], v[67:68], v[65:66]
	v_div_fmas_f64 v[61:62], v[61:62], v[63:64], v[67:68]
	v_div_fixup_f64 v[3:4], v[61:62], v[3:4], 1.0
                                        ; implicit-def: $vgpr61_vgpr62
	v_mul_f64 v[1:2], v[1:2], v[3:4]
	v_xor_b32_e32 v4, 0x80000000, v4
.LBB125_201:
	s_andn2_saveexec_b32 s5, s5
	s_cbranch_execz .LBB125_203
; %bb.202:
	v_div_scale_f64 v[1:2], null, v[61:62], v[61:62], v[63:64]
	v_div_scale_f64 v[67:68], vcc_lo, v[63:64], v[61:62], v[63:64]
	v_rcp_f64_e32 v[3:4], v[1:2]
	v_fma_f64 v[65:66], -v[1:2], v[3:4], 1.0
	v_fma_f64 v[3:4], v[3:4], v[65:66], v[3:4]
	v_fma_f64 v[65:66], -v[1:2], v[3:4], 1.0
	v_fma_f64 v[3:4], v[3:4], v[65:66], v[3:4]
	v_mul_f64 v[65:66], v[67:68], v[3:4]
	v_fma_f64 v[1:2], -v[1:2], v[65:66], v[67:68]
	v_div_fmas_f64 v[1:2], v[1:2], v[3:4], v[65:66]
	v_div_fixup_f64 v[3:4], v[1:2], v[61:62], v[63:64]
	v_fma_f64 v[1:2], v[63:64], v[3:4], v[61:62]
	v_div_scale_f64 v[61:62], null, v[1:2], v[1:2], 1.0
	v_rcp_f64_e32 v[63:64], v[61:62]
	v_fma_f64 v[65:66], -v[61:62], v[63:64], 1.0
	v_fma_f64 v[63:64], v[63:64], v[65:66], v[63:64]
	v_fma_f64 v[65:66], -v[61:62], v[63:64], 1.0
	v_fma_f64 v[63:64], v[63:64], v[65:66], v[63:64]
	v_div_scale_f64 v[65:66], vcc_lo, 1.0, v[1:2], 1.0
	v_mul_f64 v[67:68], v[65:66], v[63:64]
	v_fma_f64 v[61:62], -v[61:62], v[67:68], v[65:66]
	v_div_fmas_f64 v[61:62], v[61:62], v[63:64], v[67:68]
	v_div_fixup_f64 v[1:2], v[61:62], v[1:2], 1.0
	v_mul_f64 v[3:4], v[3:4], -v[1:2]
.LBB125_203:
	s_or_b32 exec_lo, exec_lo, s5
	ds_write2_b64 v255, v[1:2], v[3:4] offset1:1
.LBB125_204:
	s_or_b32 exec_lo, exec_lo, s6
	s_waitcnt lgkmcnt(0)
	s_barrier
	buffer_gl0_inv
	ds_read2_b64 v[61:64], v255 offset1:1
	s_mov_b32 s5, exec_lo
	v_cmpx_lt_u32_e32 15, v0
	s_cbranch_execz .LBB125_209
; %bb.205:
	s_clause 0x3
	buffer_load_dword v1, off, s[0:3], 0 offset:248
	buffer_load_dword v2, off, s[0:3], 0 offset:252
	;; [unrolled: 1-line block ×4, first 2 shown]
	s_movk_i32 s6, 0x100
	s_waitcnt vmcnt(2) lgkmcnt(0)
	v_mul_f64 v[65:66], v[63:64], v[1:2]
	v_mul_f64 v[1:2], v[61:62], v[1:2]
	s_waitcnt vmcnt(0)
	v_fma_f64 v[65:66], v[61:62], v[3:4], -v[65:66]
	v_fma_f64 v[67:68], v[63:64], v[3:4], v[1:2]
	buffer_store_dword v65, off, s[0:3], 0 offset:240
	buffer_store_dword v66, off, s[0:3], 0 offset:244
	;; [unrolled: 1-line block ×4, first 2 shown]
	s_branch .LBB125_207
.LBB125_206:                            ;   in Loop: Header=BB125_207 Depth=1
	s_andn2_b32 vcc_lo, exec_lo, s8
	s_cbranch_vccz .LBB125_209
.LBB125_207:                            ; =>This Inner Loop Header: Depth=1
	v_mov_b32_e32 v5, s6
	v_add_nc_u32_e32 v1, s6, v249
	s_mov_b32 s7, s6
	s_mov_b32 s8, -1
	s_cmpk_eq_i32 s6, 0x3c0
	s_clause 0x3
	buffer_load_dword v2, v5, s[0:3], 0 offen
	buffer_load_dword v3, v5, s[0:3], 0 offen offset:4
	buffer_load_dword v77, v5, s[0:3], 0 offen offset:8
	buffer_load_dword v78, v5, s[0:3], 0 offen offset:12
	ds_read2_b64 v[69:72], v1 offset1:1
	ds_read2_b64 v[73:76], v1 offset0:2 offset1:3
	s_waitcnt vmcnt(5) lgkmcnt(1)
	v_mul_f64 v[79:80], v[71:72], v[67:68]
	v_mul_f64 v[67:68], v[69:70], v[67:68]
	s_waitcnt vmcnt(4)
	v_fma_f64 v[69:70], v[69:70], v[65:66], -v[79:80]
	v_fma_f64 v[65:66], v[71:72], v[65:66], v[67:68]
	s_clause 0x2
	buffer_load_dword v4, v5, s[0:3], 0 offen offset:20
	buffer_load_dword v67, v5, s[0:3], 0 offen offset:28
	;; [unrolled: 1-line block ×3, first 2 shown]
	s_waitcnt vmcnt(5)
	v_add_f64 v[2:3], v[2:3], -v[69:70]
	s_waitcnt vmcnt(3)
	v_add_f64 v[65:66], v[77:78], -v[65:66]
	buffer_store_dword v3, v5, s[0:3], 0 offen offset:4
	buffer_store_dword v2, v5, s[0:3], 0 offen
	buffer_store_dword v66, v5, s[0:3], 0 offen offset:12
	buffer_store_dword v65, v5, s[0:3], 0 offen offset:8
	s_clause 0x6
	buffer_load_dword v66, v5, s[0:3], 0 offen offset:24
	buffer_load_dword v70, v5, s[0:3], 0 offen offset:36
	buffer_load_dword v69, off, s[0:3], 0 offset:252
	buffer_load_dword v68, off, s[0:3], 0 offset:248
	;; [unrolled: 1-line block ×4, first 2 shown]
	buffer_load_dword v3, v5, s[0:3], 0 offen offset:16
	s_waitcnt vmcnt(3) lgkmcnt(0)
	v_mul_f64 v[79:80], v[75:76], v[68:69]
	v_mul_f64 v[68:69], v[73:74], v[68:69]
	s_waitcnt vmcnt(1)
	v_fma_f64 v[72:73], v[73:74], v[77:78], -v[79:80]
	v_fma_f64 v[68:69], v[75:76], v[77:78], v[68:69]
	s_waitcnt vmcnt(0)
	v_add_f64 v[2:3], v[3:4], -v[72:73]
	v_add_f64 v[65:66], v[66:67], -v[68:69]
	buffer_store_dword v3, v5, s[0:3], 0 offen offset:20
	buffer_store_dword v2, v5, s[0:3], 0 offen offset:16
	;; [unrolled: 1-line block ×4, first 2 shown]
	s_clause 0x5
	buffer_load_dword v72, v5, s[0:3], 0 offen offset:44
	buffer_load_dword v2, off, s[0:3], 0 offset:248
	buffer_load_dword v3, off, s[0:3], 0 offset:252
	;; [unrolled: 1-line block ×4, first 2 shown]
	buffer_load_dword v69, v5, s[0:3], 0 offen offset:32
	ds_read2_b64 v[65:68], v1 offset0:4 offset1:5
	s_waitcnt vmcnt(3) lgkmcnt(0)
	v_mul_f64 v[75:76], v[67:68], v[2:3]
	v_mul_f64 v[2:3], v[65:66], v[2:3]
	s_waitcnt vmcnt(1)
	v_fma_f64 v[65:66], v[65:66], v[73:74], -v[75:76]
	v_fma_f64 v[2:3], v[67:68], v[73:74], v[2:3]
                                        ; implicit-def: $vgpr67_vgpr68
	s_waitcnt vmcnt(0)
	v_add_f64 v[65:66], v[69:70], -v[65:66]
	v_add_f64 v[2:3], v[71:72], -v[2:3]
	buffer_store_dword v66, v5, s[0:3], 0 offen offset:36
	buffer_store_dword v65, v5, s[0:3], 0 offen offset:32
	;; [unrolled: 1-line block ×4, first 2 shown]
                                        ; implicit-def: $vgpr65_vgpr66
	s_cbranch_scc1 .LBB125_206
; %bb.208:                              ;   in Loop: Header=BB125_207 Depth=1
	s_clause 0x3
	buffer_load_dword v65, off, s[0:3], 0 offset:248
	buffer_load_dword v66, off, s[0:3], 0 offset:252
	;; [unrolled: 1-line block ×4, first 2 shown]
	v_mov_b32_e32 v5, s7
	s_add_i32 s6, s6, 64
	s_mov_b32 s8, 0
	s_clause 0x3
	buffer_load_dword v69, v5, s[0:3], 0 offen offset:48
	buffer_load_dword v70, v5, s[0:3], 0 offen offset:52
	;; [unrolled: 1-line block ×4, first 2 shown]
	ds_read2_b64 v[1:4], v1 offset0:6 offset1:7
	s_waitcnt vmcnt(6) lgkmcnt(0)
	v_mul_f64 v[73:74], v[3:4], v[65:66]
	v_mul_f64 v[65:66], v[1:2], v[65:66]
	s_waitcnt vmcnt(4)
	v_fma_f64 v[1:2], v[1:2], v[67:68], -v[73:74]
	v_fma_f64 v[3:4], v[3:4], v[67:68], v[65:66]
	s_waitcnt vmcnt(2)
	v_add_f64 v[1:2], v[69:70], -v[1:2]
	s_waitcnt vmcnt(0)
	v_add_f64 v[3:4], v[71:72], -v[3:4]
	buffer_store_dword v2, v5, s[0:3], 0 offen offset:52
	buffer_store_dword v1, v5, s[0:3], 0 offen offset:48
	;; [unrolled: 1-line block ×4, first 2 shown]
	s_clause 0x3
	buffer_load_dword v66, off, s[0:3], 0 offset:244
	buffer_load_dword v68, off, s[0:3], 0 offset:252
	;; [unrolled: 1-line block ×4, first 2 shown]
	s_branch .LBB125_206
.LBB125_209:
	s_or_b32 exec_lo, exec_lo, s5
	s_mov_b32 s6, exec_lo
	s_waitcnt vmcnt(0) lgkmcnt(0)
	s_waitcnt_vscnt null, 0x0
	s_barrier
	buffer_gl0_inv
	v_cmpx_eq_u32_e32 16, v0
	s_cbranch_execz .LBB125_218
; %bb.210:
	v_mov_b32_e32 v4, s62
	s_movk_i32 s5, 0x110
	s_clause 0x3
	buffer_load_dword v1, v4, s[0:3], 0 offen
	buffer_load_dword v2, v4, s[0:3], 0 offen offset:4
	buffer_load_dword v3, v4, s[0:3], 0 offen offset:8
	;; [unrolled: 1-line block ×3, first 2 shown]
	s_waitcnt vmcnt(0)
	ds_write2_b64 v255, v[1:2], v[3:4] offset1:1
	.p2align	6
.LBB125_211:                            ; =>This Inner Loop Header: Depth=1
	v_mov_b32_e32 v5, s5
	s_clause 0x7
	buffer_load_dword v1, v5, s[0:3], 0 offen
	buffer_load_dword v2, v5, s[0:3], 0 offen offset:4
	buffer_load_dword v3, v5, s[0:3], 0 offen offset:8
	;; [unrolled: 1-line block ×7, first 2 shown]
	v_add_nc_u32_e32 v5, s5, v249
	s_add_i32 s5, s5, 32
	s_waitcnt vmcnt(4)
	ds_write2_b64 v5, v[1:2], v[3:4] offset1:1
	s_waitcnt vmcnt(0)
	ds_write2_b64 v5, v[65:66], v[67:68] offset0:2 offset1:3
	s_cmpk_lg_i32 s5, 0x3f0
	s_cbranch_scc1 .LBB125_211
; %bb.212:
	ds_read2_b64 v[65:68], v255 offset1:1
	s_waitcnt lgkmcnt(0)
	v_cmp_neq_f64_e32 vcc_lo, 0, v[65:66]
	v_cmp_neq_f64_e64 s5, 0, v[67:68]
	s_or_b32 s5, vcc_lo, s5
	s_and_b32 exec_lo, exec_lo, s5
	s_cbranch_execz .LBB125_218
; %bb.213:
	v_cmp_ngt_f64_e64 s5, |v[65:66]|, |v[67:68]|
                                        ; implicit-def: $vgpr1_vgpr2
	s_and_saveexec_b32 s7, s5
	s_xor_b32 s5, exec_lo, s7
                                        ; implicit-def: $vgpr3_vgpr4
	s_cbranch_execz .LBB125_215
; %bb.214:
	v_div_scale_f64 v[1:2], null, v[67:68], v[67:68], v[65:66]
	v_div_scale_f64 v[71:72], vcc_lo, v[65:66], v[67:68], v[65:66]
	v_rcp_f64_e32 v[3:4], v[1:2]
	v_fma_f64 v[69:70], -v[1:2], v[3:4], 1.0
	v_fma_f64 v[3:4], v[3:4], v[69:70], v[3:4]
	v_fma_f64 v[69:70], -v[1:2], v[3:4], 1.0
	v_fma_f64 v[3:4], v[3:4], v[69:70], v[3:4]
	v_mul_f64 v[69:70], v[71:72], v[3:4]
	v_fma_f64 v[1:2], -v[1:2], v[69:70], v[71:72]
	v_div_fmas_f64 v[1:2], v[1:2], v[3:4], v[69:70]
	v_div_fixup_f64 v[1:2], v[1:2], v[67:68], v[65:66]
	v_fma_f64 v[3:4], v[65:66], v[1:2], v[67:68]
	v_div_scale_f64 v[65:66], null, v[3:4], v[3:4], 1.0
	v_rcp_f64_e32 v[67:68], v[65:66]
	v_fma_f64 v[69:70], -v[65:66], v[67:68], 1.0
	v_fma_f64 v[67:68], v[67:68], v[69:70], v[67:68]
	v_fma_f64 v[69:70], -v[65:66], v[67:68], 1.0
	v_fma_f64 v[67:68], v[67:68], v[69:70], v[67:68]
	v_div_scale_f64 v[69:70], vcc_lo, 1.0, v[3:4], 1.0
	v_mul_f64 v[71:72], v[69:70], v[67:68]
	v_fma_f64 v[65:66], -v[65:66], v[71:72], v[69:70]
	v_div_fmas_f64 v[65:66], v[65:66], v[67:68], v[71:72]
	v_div_fixup_f64 v[3:4], v[65:66], v[3:4], 1.0
                                        ; implicit-def: $vgpr65_vgpr66
	v_mul_f64 v[1:2], v[1:2], v[3:4]
	v_xor_b32_e32 v4, 0x80000000, v4
.LBB125_215:
	s_andn2_saveexec_b32 s5, s5
	s_cbranch_execz .LBB125_217
; %bb.216:
	v_div_scale_f64 v[1:2], null, v[65:66], v[65:66], v[67:68]
	v_div_scale_f64 v[71:72], vcc_lo, v[67:68], v[65:66], v[67:68]
	v_rcp_f64_e32 v[3:4], v[1:2]
	v_fma_f64 v[69:70], -v[1:2], v[3:4], 1.0
	v_fma_f64 v[3:4], v[3:4], v[69:70], v[3:4]
	v_fma_f64 v[69:70], -v[1:2], v[3:4], 1.0
	v_fma_f64 v[3:4], v[3:4], v[69:70], v[3:4]
	v_mul_f64 v[69:70], v[71:72], v[3:4]
	v_fma_f64 v[1:2], -v[1:2], v[69:70], v[71:72]
	v_div_fmas_f64 v[1:2], v[1:2], v[3:4], v[69:70]
	v_div_fixup_f64 v[3:4], v[1:2], v[65:66], v[67:68]
	v_fma_f64 v[1:2], v[67:68], v[3:4], v[65:66]
	v_div_scale_f64 v[65:66], null, v[1:2], v[1:2], 1.0
	v_rcp_f64_e32 v[67:68], v[65:66]
	v_fma_f64 v[69:70], -v[65:66], v[67:68], 1.0
	v_fma_f64 v[67:68], v[67:68], v[69:70], v[67:68]
	v_fma_f64 v[69:70], -v[65:66], v[67:68], 1.0
	v_fma_f64 v[67:68], v[67:68], v[69:70], v[67:68]
	v_div_scale_f64 v[69:70], vcc_lo, 1.0, v[1:2], 1.0
	v_mul_f64 v[71:72], v[69:70], v[67:68]
	v_fma_f64 v[65:66], -v[65:66], v[71:72], v[69:70]
	v_div_fmas_f64 v[65:66], v[65:66], v[67:68], v[71:72]
	v_div_fixup_f64 v[1:2], v[65:66], v[1:2], 1.0
	v_mul_f64 v[3:4], v[3:4], -v[1:2]
.LBB125_217:
	s_or_b32 exec_lo, exec_lo, s5
	ds_write2_b64 v255, v[1:2], v[3:4] offset1:1
.LBB125_218:
	s_or_b32 exec_lo, exec_lo, s6
	s_waitcnt lgkmcnt(0)
	s_barrier
	buffer_gl0_inv
	ds_read2_b64 v[65:68], v255 offset1:1
	s_mov_b32 s5, exec_lo
	v_cmpx_lt_u32_e32 16, v0
	s_cbranch_execz .LBB125_221
; %bb.219:
	s_clause 0x3
	buffer_load_dword v1, off, s[0:3], 0 offset:264
	buffer_load_dword v2, off, s[0:3], 0 offset:268
	;; [unrolled: 1-line block ×4, first 2 shown]
	s_movk_i32 s6, 0x110
	s_waitcnt vmcnt(2) lgkmcnt(0)
	v_mul_f64 v[69:70], v[67:68], v[1:2]
	v_mul_f64 v[1:2], v[65:66], v[1:2]
	s_waitcnt vmcnt(0)
	v_fma_f64 v[69:70], v[65:66], v[3:4], -v[69:70]
	v_fma_f64 v[1:2], v[67:68], v[3:4], v[1:2]
	buffer_store_dword v69, off, s[0:3], 0 offset:256
	buffer_store_dword v70, off, s[0:3], 0 offset:260
	;; [unrolled: 1-line block ×4, first 2 shown]
.LBB125_220:                            ; =>This Inner Loop Header: Depth=1
	s_clause 0x3
	buffer_load_dword v73, off, s[0:3], 0 offset:264
	buffer_load_dword v74, off, s[0:3], 0 offset:268
	;; [unrolled: 1-line block ×4, first 2 shown]
	v_mov_b32_e32 v5, s6
	v_add_nc_u32_e32 v6, s6, v249
	s_add_i32 s6, s6, 32
	s_clause 0x3
	buffer_load_dword v77, v5, s[0:3], 0 offen
	buffer_load_dword v78, v5, s[0:3], 0 offen offset:4
	buffer_load_dword v79, v5, s[0:3], 0 offen offset:8
	buffer_load_dword v80, v5, s[0:3], 0 offen offset:12
	ds_read2_b64 v[1:4], v6 offset1:1
	ds_read2_b64 v[69:72], v6 offset0:2 offset1:3
	s_cmpk_lg_i32 s6, 0x3f0
	s_waitcnt vmcnt(6) lgkmcnt(1)
	v_mul_f64 v[81:82], v[3:4], v[73:74]
	v_mul_f64 v[73:74], v[1:2], v[73:74]
	s_waitcnt vmcnt(4)
	v_fma_f64 v[1:2], v[1:2], v[75:76], -v[81:82]
	v_fma_f64 v[3:4], v[3:4], v[75:76], v[73:74]
	s_clause 0x3
	buffer_load_dword v73, v5, s[0:3], 0 offen offset:16
	buffer_load_dword v74, v5, s[0:3], 0 offen offset:20
	;; [unrolled: 1-line block ×4, first 2 shown]
	s_waitcnt vmcnt(6)
	v_add_f64 v[1:2], v[77:78], -v[1:2]
	s_waitcnt vmcnt(4)
	v_add_f64 v[3:4], v[79:80], -v[3:4]
	buffer_store_dword v2, v5, s[0:3], 0 offen offset:4
	buffer_store_dword v1, v5, s[0:3], 0 offen
	buffer_store_dword v4, v5, s[0:3], 0 offen offset:12
	buffer_store_dword v3, v5, s[0:3], 0 offen offset:8
	s_clause 0x3
	buffer_load_dword v2, off, s[0:3], 0 offset:268
	buffer_load_dword v1, off, s[0:3], 0 offset:264
	;; [unrolled: 1-line block ×4, first 2 shown]
	s_waitcnt vmcnt(2) lgkmcnt(0)
	v_mul_f64 v[77:78], v[71:72], v[1:2]
	v_mul_f64 v[1:2], v[69:70], v[1:2]
	s_waitcnt vmcnt(0)
	v_fma_f64 v[69:70], v[69:70], v[3:4], -v[77:78]
	v_fma_f64 v[1:2], v[71:72], v[3:4], v[1:2]
	v_add_f64 v[3:4], v[73:74], -v[69:70]
	v_add_f64 v[1:2], v[75:76], -v[1:2]
	buffer_store_dword v4, v5, s[0:3], 0 offen offset:20
	buffer_store_dword v3, v5, s[0:3], 0 offen offset:16
	;; [unrolled: 1-line block ×4, first 2 shown]
	s_cbranch_scc1 .LBB125_220
.LBB125_221:
	s_or_b32 exec_lo, exec_lo, s5
	s_mov_b32 s6, exec_lo
	s_waitcnt lgkmcnt(0)
	s_waitcnt_vscnt null, 0x0
	s_barrier
	buffer_gl0_inv
	v_cmpx_eq_u32_e32 17, v0
	s_cbranch_execz .LBB125_230
; %bb.222:
	v_mov_b32_e32 v4, s61
	s_movk_i32 s5, 0x120
	s_clause 0x3
	buffer_load_dword v1, v4, s[0:3], 0 offen
	buffer_load_dword v2, v4, s[0:3], 0 offen offset:4
	buffer_load_dword v3, v4, s[0:3], 0 offen offset:8
	;; [unrolled: 1-line block ×3, first 2 shown]
	s_waitcnt vmcnt(0)
	ds_write2_b64 v255, v[1:2], v[3:4] offset1:1
.LBB125_223:                            ; =>This Inner Loop Header: Depth=1
	v_mov_b32_e32 v5, s5
	v_add_nc_u32_e32 v6, s5, v249
	s_addk_i32 s5, 0xf0
	s_clause 0xf
	buffer_load_dword v1, v5, s[0:3], 0 offen
	buffer_load_dword v2, v5, s[0:3], 0 offen offset:4
	buffer_load_dword v3, v5, s[0:3], 0 offen offset:8
	;; [unrolled: 1-line block ×15, first 2 shown]
	s_cmpk_lg_i32 s5, 0x3f0
	s_waitcnt vmcnt(12)
	ds_write2_b64 v6, v[1:2], v[3:4] offset1:1
	s_waitcnt vmcnt(8)
	ds_write2_b64 v6, v[69:70], v[71:72] offset0:2 offset1:3
	s_waitcnt vmcnt(4)
	ds_write2_b64 v6, v[73:74], v[75:76] offset0:4 offset1:5
	;; [unrolled: 2-line block ×3, first 2 shown]
	s_clause 0x3
	buffer_load_dword v2, v5, s[0:3], 0 offen offset:76
	buffer_load_dword v1, v5, s[0:3], 0 offen offset:72
	buffer_load_dword v4, v5, s[0:3], 0 offen offset:68
	buffer_load_dword v3, v5, s[0:3], 0 offen offset:64
	s_waitcnt vmcnt(0)
	ds_write2_b64 v6, v[3:4], v[1:2] offset0:8 offset1:9
	s_clause 0x3
	buffer_load_dword v2, v5, s[0:3], 0 offen offset:92
	buffer_load_dword v1, v5, s[0:3], 0 offen offset:88
	buffer_load_dword v4, v5, s[0:3], 0 offen offset:84
	buffer_load_dword v3, v5, s[0:3], 0 offen offset:80
	s_waitcnt vmcnt(0)
	ds_write2_b64 v6, v[3:4], v[1:2] offset0:10 offset1:11
	s_clause 0x3
	buffer_load_dword v2, v5, s[0:3], 0 offen offset:108
	buffer_load_dword v1, v5, s[0:3], 0 offen offset:104
	buffer_load_dword v4, v5, s[0:3], 0 offen offset:100
	buffer_load_dword v3, v5, s[0:3], 0 offen offset:96
	s_waitcnt vmcnt(0)
	ds_write2_b64 v6, v[3:4], v[1:2] offset0:12 offset1:13
	s_clause 0x3
	buffer_load_dword v2, v5, s[0:3], 0 offen offset:124
	buffer_load_dword v1, v5, s[0:3], 0 offen offset:120
	buffer_load_dword v4, v5, s[0:3], 0 offen offset:116
	buffer_load_dword v3, v5, s[0:3], 0 offen offset:112
	s_waitcnt vmcnt(0)
	ds_write2_b64 v6, v[3:4], v[1:2] offset0:14 offset1:15
	s_clause 0x3
	buffer_load_dword v1, v5, s[0:3], 0 offen offset:128
	buffer_load_dword v2, v5, s[0:3], 0 offen offset:132
	buffer_load_dword v3, v5, s[0:3], 0 offen offset:136
	buffer_load_dword v4, v5, s[0:3], 0 offen offset:140
	s_waitcnt vmcnt(0)
	ds_write2_b64 v6, v[1:2], v[3:4] offset0:16 offset1:17
	s_clause 0x3
	buffer_load_dword v1, v5, s[0:3], 0 offen offset:144
	buffer_load_dword v2, v5, s[0:3], 0 offen offset:148
	buffer_load_dword v3, v5, s[0:3], 0 offen offset:152
	buffer_load_dword v4, v5, s[0:3], 0 offen offset:156
	s_waitcnt vmcnt(0)
	ds_write2_b64 v6, v[1:2], v[3:4] offset0:18 offset1:19
	s_clause 0x3
	buffer_load_dword v1, v5, s[0:3], 0 offen offset:160
	buffer_load_dword v2, v5, s[0:3], 0 offen offset:164
	buffer_load_dword v3, v5, s[0:3], 0 offen offset:168
	buffer_load_dword v4, v5, s[0:3], 0 offen offset:172
	s_waitcnt vmcnt(0)
	ds_write2_b64 v6, v[1:2], v[3:4] offset0:20 offset1:21
	s_clause 0x3
	buffer_load_dword v1, v5, s[0:3], 0 offen offset:176
	buffer_load_dword v2, v5, s[0:3], 0 offen offset:180
	buffer_load_dword v3, v5, s[0:3], 0 offen offset:184
	buffer_load_dword v4, v5, s[0:3], 0 offen offset:188
	s_waitcnt vmcnt(0)
	ds_write2_b64 v6, v[1:2], v[3:4] offset0:22 offset1:23
	s_clause 0x3
	buffer_load_dword v1, v5, s[0:3], 0 offen offset:192
	buffer_load_dword v2, v5, s[0:3], 0 offen offset:196
	buffer_load_dword v3, v5, s[0:3], 0 offen offset:200
	buffer_load_dword v4, v5, s[0:3], 0 offen offset:204
	s_waitcnt vmcnt(0)
	ds_write2_b64 v6, v[1:2], v[3:4] offset0:24 offset1:25
	s_clause 0x3
	buffer_load_dword v1, v5, s[0:3], 0 offen offset:208
	buffer_load_dword v2, v5, s[0:3], 0 offen offset:212
	buffer_load_dword v3, v5, s[0:3], 0 offen offset:216
	buffer_load_dword v4, v5, s[0:3], 0 offen offset:220
	s_waitcnt vmcnt(0)
	ds_write2_b64 v6, v[1:2], v[3:4] offset0:26 offset1:27
	s_clause 0x3
	buffer_load_dword v1, v5, s[0:3], 0 offen offset:224
	buffer_load_dword v2, v5, s[0:3], 0 offen offset:228
	buffer_load_dword v3, v5, s[0:3], 0 offen offset:232
	buffer_load_dword v4, v5, s[0:3], 0 offen offset:236
	s_waitcnt vmcnt(0)
	ds_write2_b64 v6, v[1:2], v[3:4] offset0:28 offset1:29
	s_cbranch_scc1 .LBB125_223
; %bb.224:
	ds_read2_b64 v[69:72], v255 offset1:1
	s_waitcnt lgkmcnt(0)
	v_cmp_neq_f64_e32 vcc_lo, 0, v[69:70]
	v_cmp_neq_f64_e64 s5, 0, v[71:72]
	s_or_b32 s5, vcc_lo, s5
	s_and_b32 exec_lo, exec_lo, s5
	s_cbranch_execz .LBB125_230
; %bb.225:
	v_cmp_ngt_f64_e64 s5, |v[69:70]|, |v[71:72]|
                                        ; implicit-def: $vgpr1_vgpr2
	s_and_saveexec_b32 s7, s5
	s_xor_b32 s5, exec_lo, s7
                                        ; implicit-def: $vgpr3_vgpr4
	s_cbranch_execz .LBB125_227
; %bb.226:
	v_div_scale_f64 v[1:2], null, v[71:72], v[71:72], v[69:70]
	v_div_scale_f64 v[75:76], vcc_lo, v[69:70], v[71:72], v[69:70]
	v_rcp_f64_e32 v[3:4], v[1:2]
	v_fma_f64 v[73:74], -v[1:2], v[3:4], 1.0
	v_fma_f64 v[3:4], v[3:4], v[73:74], v[3:4]
	v_fma_f64 v[73:74], -v[1:2], v[3:4], 1.0
	v_fma_f64 v[3:4], v[3:4], v[73:74], v[3:4]
	v_mul_f64 v[73:74], v[75:76], v[3:4]
	v_fma_f64 v[1:2], -v[1:2], v[73:74], v[75:76]
	v_div_fmas_f64 v[1:2], v[1:2], v[3:4], v[73:74]
	v_div_fixup_f64 v[1:2], v[1:2], v[71:72], v[69:70]
	v_fma_f64 v[3:4], v[69:70], v[1:2], v[71:72]
	v_div_scale_f64 v[69:70], null, v[3:4], v[3:4], 1.0
	v_rcp_f64_e32 v[71:72], v[69:70]
	v_fma_f64 v[73:74], -v[69:70], v[71:72], 1.0
	v_fma_f64 v[71:72], v[71:72], v[73:74], v[71:72]
	v_fma_f64 v[73:74], -v[69:70], v[71:72], 1.0
	v_fma_f64 v[71:72], v[71:72], v[73:74], v[71:72]
	v_div_scale_f64 v[73:74], vcc_lo, 1.0, v[3:4], 1.0
	v_mul_f64 v[75:76], v[73:74], v[71:72]
	v_fma_f64 v[69:70], -v[69:70], v[75:76], v[73:74]
	v_div_fmas_f64 v[69:70], v[69:70], v[71:72], v[75:76]
	v_div_fixup_f64 v[3:4], v[69:70], v[3:4], 1.0
                                        ; implicit-def: $vgpr69_vgpr70
	v_mul_f64 v[1:2], v[1:2], v[3:4]
	v_xor_b32_e32 v4, 0x80000000, v4
.LBB125_227:
	s_andn2_saveexec_b32 s5, s5
	s_cbranch_execz .LBB125_229
; %bb.228:
	v_div_scale_f64 v[1:2], null, v[69:70], v[69:70], v[71:72]
	v_div_scale_f64 v[75:76], vcc_lo, v[71:72], v[69:70], v[71:72]
	v_rcp_f64_e32 v[3:4], v[1:2]
	v_fma_f64 v[73:74], -v[1:2], v[3:4], 1.0
	v_fma_f64 v[3:4], v[3:4], v[73:74], v[3:4]
	v_fma_f64 v[73:74], -v[1:2], v[3:4], 1.0
	v_fma_f64 v[3:4], v[3:4], v[73:74], v[3:4]
	v_mul_f64 v[73:74], v[75:76], v[3:4]
	v_fma_f64 v[1:2], -v[1:2], v[73:74], v[75:76]
	v_div_fmas_f64 v[1:2], v[1:2], v[3:4], v[73:74]
	v_div_fixup_f64 v[3:4], v[1:2], v[69:70], v[71:72]
	v_fma_f64 v[1:2], v[71:72], v[3:4], v[69:70]
	v_div_scale_f64 v[69:70], null, v[1:2], v[1:2], 1.0
	v_rcp_f64_e32 v[71:72], v[69:70]
	v_fma_f64 v[73:74], -v[69:70], v[71:72], 1.0
	v_fma_f64 v[71:72], v[71:72], v[73:74], v[71:72]
	v_fma_f64 v[73:74], -v[69:70], v[71:72], 1.0
	v_fma_f64 v[71:72], v[71:72], v[73:74], v[71:72]
	v_div_scale_f64 v[73:74], vcc_lo, 1.0, v[1:2], 1.0
	v_mul_f64 v[75:76], v[73:74], v[71:72]
	v_fma_f64 v[69:70], -v[69:70], v[75:76], v[73:74]
	v_div_fmas_f64 v[69:70], v[69:70], v[71:72], v[75:76]
	v_div_fixup_f64 v[1:2], v[69:70], v[1:2], 1.0
	v_mul_f64 v[3:4], v[3:4], -v[1:2]
.LBB125_229:
	s_or_b32 exec_lo, exec_lo, s5
	ds_write2_b64 v255, v[1:2], v[3:4] offset1:1
.LBB125_230:
	s_or_b32 exec_lo, exec_lo, s6
	s_waitcnt lgkmcnt(0)
	s_barrier
	buffer_gl0_inv
	ds_read2_b64 v[69:72], v255 offset1:1
	s_mov_b32 s5, exec_lo
	v_cmpx_lt_u32_e32 17, v0
	s_cbranch_execz .LBB125_233
; %bb.231:
	s_clause 0x3
	buffer_load_dword v1, off, s[0:3], 0 offset:280
	buffer_load_dword v2, off, s[0:3], 0 offset:284
	;; [unrolled: 1-line block ×4, first 2 shown]
	s_movk_i32 s6, 0x120
	s_waitcnt vmcnt(2) lgkmcnt(0)
	v_mul_f64 v[73:74], v[71:72], v[1:2]
	v_mul_f64 v[1:2], v[69:70], v[1:2]
	s_waitcnt vmcnt(0)
	v_fma_f64 v[73:74], v[69:70], v[3:4], -v[73:74]
	v_fma_f64 v[1:2], v[71:72], v[3:4], v[1:2]
	buffer_store_dword v73, off, s[0:3], 0 offset:272
	buffer_store_dword v74, off, s[0:3], 0 offset:276
	;; [unrolled: 1-line block ×4, first 2 shown]
.LBB125_232:                            ; =>This Inner Loop Header: Depth=1
	s_clause 0x3
	buffer_load_dword v77, off, s[0:3], 0 offset:280
	buffer_load_dword v78, off, s[0:3], 0 offset:284
	;; [unrolled: 1-line block ×4, first 2 shown]
	v_mov_b32_e32 v5, s6
	v_add_nc_u32_e32 v6, s6, v249
	s_addk_i32 s6, 0x50
	s_clause 0x3
	buffer_load_dword v81, v5, s[0:3], 0 offen
	buffer_load_dword v82, v5, s[0:3], 0 offen offset:4
	buffer_load_dword v83, v5, s[0:3], 0 offen offset:8
	;; [unrolled: 1-line block ×3, first 2 shown]
	ds_read2_b64 v[1:4], v6 offset1:1
	ds_read2_b64 v[73:76], v6 offset0:2 offset1:3
	s_cmpk_lg_i32 s6, 0x3f0
	s_waitcnt vmcnt(6) lgkmcnt(1)
	v_mul_f64 v[85:86], v[3:4], v[77:78]
	v_mul_f64 v[77:78], v[1:2], v[77:78]
	s_waitcnt vmcnt(4)
	v_fma_f64 v[1:2], v[1:2], v[79:80], -v[85:86]
	v_fma_f64 v[3:4], v[3:4], v[79:80], v[77:78]
	s_clause 0x3
	buffer_load_dword v77, v5, s[0:3], 0 offen offset:16
	buffer_load_dword v78, v5, s[0:3], 0 offen offset:20
	;; [unrolled: 1-line block ×4, first 2 shown]
	s_waitcnt vmcnt(6)
	v_add_f64 v[1:2], v[81:82], -v[1:2]
	s_waitcnt vmcnt(4)
	v_add_f64 v[3:4], v[83:84], -v[3:4]
	buffer_store_dword v2, v5, s[0:3], 0 offen offset:4
	buffer_store_dword v1, v5, s[0:3], 0 offen
	buffer_store_dword v4, v5, s[0:3], 0 offen offset:12
	buffer_store_dword v3, v5, s[0:3], 0 offen offset:8
	s_clause 0x3
	buffer_load_dword v2, off, s[0:3], 0 offset:284
	buffer_load_dword v1, off, s[0:3], 0 offset:280
	;; [unrolled: 1-line block ×4, first 2 shown]
	s_waitcnt vmcnt(2) lgkmcnt(0)
	v_mul_f64 v[81:82], v[75:76], v[1:2]
	v_mul_f64 v[1:2], v[73:74], v[1:2]
	s_waitcnt vmcnt(0)
	v_fma_f64 v[73:74], v[73:74], v[3:4], -v[81:82]
	v_fma_f64 v[1:2], v[75:76], v[3:4], v[1:2]
	v_add_f64 v[3:4], v[77:78], -v[73:74]
	v_add_f64 v[1:2], v[79:80], -v[1:2]
	s_clause 0x3
	buffer_load_dword v77, v5, s[0:3], 0 offen offset:32
	buffer_load_dword v78, v5, s[0:3], 0 offen offset:36
	;; [unrolled: 1-line block ×4, first 2 shown]
	buffer_store_dword v4, v5, s[0:3], 0 offen offset:20
	buffer_store_dword v3, v5, s[0:3], 0 offen offset:16
	;; [unrolled: 1-line block ×4, first 2 shown]
	s_clause 0x3
	buffer_load_dword v81, off, s[0:3], 0 offset:280
	buffer_load_dword v82, off, s[0:3], 0 offset:284
	;; [unrolled: 1-line block ×4, first 2 shown]
	ds_read2_b64 v[1:4], v6 offset0:4 offset1:5
	ds_read2_b64 v[73:76], v6 offset0:6 offset1:7
	s_waitcnt vmcnt(2) lgkmcnt(1)
	v_mul_f64 v[85:86], v[3:4], v[81:82]
	v_mul_f64 v[81:82], v[1:2], v[81:82]
	s_waitcnt vmcnt(0)
	v_fma_f64 v[1:2], v[1:2], v[83:84], -v[85:86]
	v_fma_f64 v[3:4], v[3:4], v[83:84], v[81:82]
	v_add_f64 v[1:2], v[77:78], -v[1:2]
	v_add_f64 v[3:4], v[79:80], -v[3:4]
	buffer_store_dword v2, v5, s[0:3], 0 offen offset:36
	buffer_store_dword v1, v5, s[0:3], 0 offen offset:32
	;; [unrolled: 1-line block ×4, first 2 shown]
	s_clause 0x7
	buffer_load_dword v1, off, s[0:3], 0 offset:280
	buffer_load_dword v2, off, s[0:3], 0 offset:284
	;; [unrolled: 1-line block ×4, first 2 shown]
	buffer_load_dword v77, v5, s[0:3], 0 offen offset:48
	buffer_load_dword v78, v5, s[0:3], 0 offen offset:52
	;; [unrolled: 1-line block ×4, first 2 shown]
	s_waitcnt vmcnt(6) lgkmcnt(0)
	v_mul_f64 v[81:82], v[75:76], v[1:2]
	v_mul_f64 v[1:2], v[73:74], v[1:2]
	s_waitcnt vmcnt(4)
	v_fma_f64 v[73:74], v[73:74], v[3:4], -v[81:82]
	v_fma_f64 v[1:2], v[75:76], v[3:4], v[1:2]
	s_waitcnt vmcnt(2)
	v_add_f64 v[3:4], v[77:78], -v[73:74]
	s_waitcnt vmcnt(0)
	v_add_f64 v[1:2], v[79:80], -v[1:2]
	buffer_store_dword v4, v5, s[0:3], 0 offen offset:52
	buffer_store_dword v3, v5, s[0:3], 0 offen offset:48
	buffer_store_dword v2, v5, s[0:3], 0 offen offset:60
	buffer_store_dword v1, v5, s[0:3], 0 offen offset:56
	s_clause 0x7
	buffer_load_dword v73, off, s[0:3], 0 offset:280
	buffer_load_dword v74, off, s[0:3], 0 offset:284
	buffer_load_dword v75, off, s[0:3], 0 offset:272
	buffer_load_dword v76, off, s[0:3], 0 offset:276
	buffer_load_dword v77, v5, s[0:3], 0 offen offset:64
	buffer_load_dword v78, v5, s[0:3], 0 offen offset:68
	;; [unrolled: 1-line block ×4, first 2 shown]
	ds_read2_b64 v[1:4], v6 offset0:8 offset1:9
	s_waitcnt vmcnt(6) lgkmcnt(0)
	v_mul_f64 v[81:82], v[3:4], v[73:74]
	v_mul_f64 v[73:74], v[1:2], v[73:74]
	s_waitcnt vmcnt(4)
	v_fma_f64 v[1:2], v[1:2], v[75:76], -v[81:82]
	v_fma_f64 v[3:4], v[3:4], v[75:76], v[73:74]
	s_waitcnt vmcnt(2)
	v_add_f64 v[1:2], v[77:78], -v[1:2]
	s_waitcnt vmcnt(0)
	v_add_f64 v[3:4], v[79:80], -v[3:4]
	buffer_store_dword v2, v5, s[0:3], 0 offen offset:68
	buffer_store_dword v1, v5, s[0:3], 0 offen offset:64
	;; [unrolled: 1-line block ×4, first 2 shown]
	s_cbranch_scc1 .LBB125_232
.LBB125_233:
	s_or_b32 exec_lo, exec_lo, s5
	s_mov_b32 s6, exec_lo
	s_waitcnt lgkmcnt(0)
	s_waitcnt_vscnt null, 0x0
	s_barrier
	buffer_gl0_inv
	v_cmpx_eq_u32_e32 18, v0
	s_cbranch_execz .LBB125_242
; %bb.234:
	v_mov_b32_e32 v4, s60
	s_movk_i32 s5, 0x130
	s_clause 0x3
	buffer_load_dword v1, v4, s[0:3], 0 offen
	buffer_load_dword v2, v4, s[0:3], 0 offen offset:4
	buffer_load_dword v3, v4, s[0:3], 0 offen offset:8
	buffer_load_dword v4, v4, s[0:3], 0 offen offset:12
	s_waitcnt vmcnt(0)
	ds_write2_b64 v255, v[1:2], v[3:4] offset1:1
.LBB125_235:                            ; =>This Inner Loop Header: Depth=1
	v_mov_b32_e32 v5, s5
	s_clause 0x2b
	buffer_load_dword v1, v5, s[0:3], 0 offen
	buffer_load_dword v2, v5, s[0:3], 0 offen offset:4
	buffer_load_dword v3, v5, s[0:3], 0 offen offset:8
	;; [unrolled: 1-line block ×43, first 2 shown]
	v_add_nc_u32_e32 v5, s5, v249
	s_addk_i32 s5, 0xb0
	s_waitcnt vmcnt(40)
	ds_write2_b64 v5, v[1:2], v[3:4] offset1:1
	s_waitcnt vmcnt(36)
	ds_write2_b64 v5, v[73:74], v[75:76] offset0:2 offset1:3
	s_waitcnt vmcnt(32)
	ds_write2_b64 v5, v[77:78], v[79:80] offset0:4 offset1:5
	;; [unrolled: 2-line block ×4, first 2 shown]
	ds_write2_b64 v5, v[89:90], v[87:88] offset0:10 offset1:11
	s_waitcnt vmcnt(12)
	ds_write2_b64 v5, v[99:100], v[93:94] offset0:12 offset1:13
	ds_write2_b64 v5, v[97:98], v[95:96] offset0:14 offset1:15
	s_waitcnt vmcnt(8)
	ds_write2_b64 v5, v[101:102], v[103:104] offset0:16 offset1:17
	s_waitcnt vmcnt(4)
	;; [unrolled: 2-line block ×3, first 2 shown]
	ds_write2_b64 v5, v[109:110], v[111:112] offset0:20 offset1:21
	s_cmpk_lg_i32 s5, 0x3f0
	s_cbranch_scc1 .LBB125_235
; %bb.236:
	ds_read2_b64 v[73:76], v255 offset1:1
	s_waitcnt lgkmcnt(0)
	v_cmp_neq_f64_e32 vcc_lo, 0, v[73:74]
	v_cmp_neq_f64_e64 s5, 0, v[75:76]
	s_or_b32 s5, vcc_lo, s5
	s_and_b32 exec_lo, exec_lo, s5
	s_cbranch_execz .LBB125_242
; %bb.237:
	v_cmp_ngt_f64_e64 s5, |v[73:74]|, |v[75:76]|
                                        ; implicit-def: $vgpr1_vgpr2
	s_and_saveexec_b32 s7, s5
	s_xor_b32 s5, exec_lo, s7
                                        ; implicit-def: $vgpr3_vgpr4
	s_cbranch_execz .LBB125_239
; %bb.238:
	v_div_scale_f64 v[1:2], null, v[75:76], v[75:76], v[73:74]
	v_div_scale_f64 v[79:80], vcc_lo, v[73:74], v[75:76], v[73:74]
	v_rcp_f64_e32 v[3:4], v[1:2]
	v_fma_f64 v[77:78], -v[1:2], v[3:4], 1.0
	v_fma_f64 v[3:4], v[3:4], v[77:78], v[3:4]
	v_fma_f64 v[77:78], -v[1:2], v[3:4], 1.0
	v_fma_f64 v[3:4], v[3:4], v[77:78], v[3:4]
	v_mul_f64 v[77:78], v[79:80], v[3:4]
	v_fma_f64 v[1:2], -v[1:2], v[77:78], v[79:80]
	v_div_fmas_f64 v[1:2], v[1:2], v[3:4], v[77:78]
	v_div_fixup_f64 v[1:2], v[1:2], v[75:76], v[73:74]
	v_fma_f64 v[3:4], v[73:74], v[1:2], v[75:76]
	v_div_scale_f64 v[73:74], null, v[3:4], v[3:4], 1.0
	v_rcp_f64_e32 v[75:76], v[73:74]
	v_fma_f64 v[77:78], -v[73:74], v[75:76], 1.0
	v_fma_f64 v[75:76], v[75:76], v[77:78], v[75:76]
	v_fma_f64 v[77:78], -v[73:74], v[75:76], 1.0
	v_fma_f64 v[75:76], v[75:76], v[77:78], v[75:76]
	v_div_scale_f64 v[77:78], vcc_lo, 1.0, v[3:4], 1.0
	v_mul_f64 v[79:80], v[77:78], v[75:76]
	v_fma_f64 v[73:74], -v[73:74], v[79:80], v[77:78]
	v_div_fmas_f64 v[73:74], v[73:74], v[75:76], v[79:80]
	v_div_fixup_f64 v[3:4], v[73:74], v[3:4], 1.0
                                        ; implicit-def: $vgpr73_vgpr74
	v_mul_f64 v[1:2], v[1:2], v[3:4]
	v_xor_b32_e32 v4, 0x80000000, v4
.LBB125_239:
	s_andn2_saveexec_b32 s5, s5
	s_cbranch_execz .LBB125_241
; %bb.240:
	v_div_scale_f64 v[1:2], null, v[73:74], v[73:74], v[75:76]
	v_div_scale_f64 v[79:80], vcc_lo, v[75:76], v[73:74], v[75:76]
	v_rcp_f64_e32 v[3:4], v[1:2]
	v_fma_f64 v[77:78], -v[1:2], v[3:4], 1.0
	v_fma_f64 v[3:4], v[3:4], v[77:78], v[3:4]
	v_fma_f64 v[77:78], -v[1:2], v[3:4], 1.0
	v_fma_f64 v[3:4], v[3:4], v[77:78], v[3:4]
	v_mul_f64 v[77:78], v[79:80], v[3:4]
	v_fma_f64 v[1:2], -v[1:2], v[77:78], v[79:80]
	v_div_fmas_f64 v[1:2], v[1:2], v[3:4], v[77:78]
	v_div_fixup_f64 v[3:4], v[1:2], v[73:74], v[75:76]
	v_fma_f64 v[1:2], v[75:76], v[3:4], v[73:74]
	v_div_scale_f64 v[73:74], null, v[1:2], v[1:2], 1.0
	v_rcp_f64_e32 v[75:76], v[73:74]
	v_fma_f64 v[77:78], -v[73:74], v[75:76], 1.0
	v_fma_f64 v[75:76], v[75:76], v[77:78], v[75:76]
	v_fma_f64 v[77:78], -v[73:74], v[75:76], 1.0
	v_fma_f64 v[75:76], v[75:76], v[77:78], v[75:76]
	v_div_scale_f64 v[77:78], vcc_lo, 1.0, v[1:2], 1.0
	v_mul_f64 v[79:80], v[77:78], v[75:76]
	v_fma_f64 v[73:74], -v[73:74], v[79:80], v[77:78]
	v_div_fmas_f64 v[73:74], v[73:74], v[75:76], v[79:80]
	v_div_fixup_f64 v[1:2], v[73:74], v[1:2], 1.0
	v_mul_f64 v[3:4], v[3:4], -v[1:2]
.LBB125_241:
	s_or_b32 exec_lo, exec_lo, s5
	ds_write2_b64 v255, v[1:2], v[3:4] offset1:1
.LBB125_242:
	s_or_b32 exec_lo, exec_lo, s6
	s_waitcnt lgkmcnt(0)
	s_barrier
	buffer_gl0_inv
	ds_read2_b64 v[73:76], v255 offset1:1
	s_mov_b32 s5, exec_lo
	v_cmpx_lt_u32_e32 18, v0
	s_cbranch_execz .LBB125_245
; %bb.243:
	s_clause 0x3
	buffer_load_dword v1, off, s[0:3], 0 offset:296
	buffer_load_dword v2, off, s[0:3], 0 offset:300
	;; [unrolled: 1-line block ×4, first 2 shown]
	s_movk_i32 s6, 0x130
	s_waitcnt vmcnt(2) lgkmcnt(0)
	v_mul_f64 v[77:78], v[75:76], v[1:2]
	v_mul_f64 v[1:2], v[73:74], v[1:2]
	s_waitcnt vmcnt(0)
	v_fma_f64 v[77:78], v[73:74], v[3:4], -v[77:78]
	v_fma_f64 v[1:2], v[75:76], v[3:4], v[1:2]
	buffer_store_dword v77, off, s[0:3], 0 offset:288
	buffer_store_dword v78, off, s[0:3], 0 offset:292
	;; [unrolled: 1-line block ×4, first 2 shown]
.LBB125_244:                            ; =>This Inner Loop Header: Depth=1
	s_clause 0x3
	buffer_load_dword v81, off, s[0:3], 0 offset:296
	buffer_load_dword v82, off, s[0:3], 0 offset:300
	;; [unrolled: 1-line block ×4, first 2 shown]
	v_mov_b32_e32 v5, s6
	v_add_nc_u32_e32 v6, s6, v249
	s_add_i32 s6, s6, 64
	s_clause 0x3
	buffer_load_dword v85, v5, s[0:3], 0 offen
	buffer_load_dword v86, v5, s[0:3], 0 offen offset:4
	buffer_load_dword v87, v5, s[0:3], 0 offen offset:8
	;; [unrolled: 1-line block ×3, first 2 shown]
	ds_read2_b64 v[1:4], v6 offset1:1
	ds_read2_b64 v[77:80], v6 offset0:2 offset1:3
	s_cmpk_lg_i32 s6, 0x3f0
	s_waitcnt vmcnt(6) lgkmcnt(1)
	v_mul_f64 v[89:90], v[3:4], v[81:82]
	v_mul_f64 v[81:82], v[1:2], v[81:82]
	s_waitcnt vmcnt(4)
	v_fma_f64 v[1:2], v[1:2], v[83:84], -v[89:90]
	v_fma_f64 v[3:4], v[3:4], v[83:84], v[81:82]
	s_clause 0x3
	buffer_load_dword v81, v5, s[0:3], 0 offen offset:16
	buffer_load_dword v82, v5, s[0:3], 0 offen offset:20
	;; [unrolled: 1-line block ×4, first 2 shown]
	s_waitcnt vmcnt(6)
	v_add_f64 v[1:2], v[85:86], -v[1:2]
	s_waitcnt vmcnt(4)
	v_add_f64 v[3:4], v[87:88], -v[3:4]
	buffer_store_dword v2, v5, s[0:3], 0 offen offset:4
	buffer_store_dword v1, v5, s[0:3], 0 offen
	buffer_store_dword v4, v5, s[0:3], 0 offen offset:12
	buffer_store_dword v3, v5, s[0:3], 0 offen offset:8
	s_clause 0x3
	buffer_load_dword v2, off, s[0:3], 0 offset:300
	buffer_load_dword v1, off, s[0:3], 0 offset:296
	;; [unrolled: 1-line block ×4, first 2 shown]
	s_waitcnt vmcnt(2) lgkmcnt(0)
	v_mul_f64 v[85:86], v[79:80], v[1:2]
	v_mul_f64 v[1:2], v[77:78], v[1:2]
	s_waitcnt vmcnt(0)
	v_fma_f64 v[77:78], v[77:78], v[3:4], -v[85:86]
	v_fma_f64 v[1:2], v[79:80], v[3:4], v[1:2]
	v_add_f64 v[3:4], v[81:82], -v[77:78]
	v_add_f64 v[1:2], v[83:84], -v[1:2]
	s_clause 0x3
	buffer_load_dword v81, v5, s[0:3], 0 offen offset:32
	buffer_load_dword v82, v5, s[0:3], 0 offen offset:36
	;; [unrolled: 1-line block ×4, first 2 shown]
	buffer_store_dword v4, v5, s[0:3], 0 offen offset:20
	buffer_store_dword v3, v5, s[0:3], 0 offen offset:16
	buffer_store_dword v2, v5, s[0:3], 0 offen offset:28
	buffer_store_dword v1, v5, s[0:3], 0 offen offset:24
	s_clause 0x3
	buffer_load_dword v85, off, s[0:3], 0 offset:296
	buffer_load_dword v86, off, s[0:3], 0 offset:300
	;; [unrolled: 1-line block ×4, first 2 shown]
	ds_read2_b64 v[1:4], v6 offset0:4 offset1:5
	ds_read2_b64 v[77:80], v6 offset0:6 offset1:7
	s_waitcnt vmcnt(2) lgkmcnt(1)
	v_mul_f64 v[89:90], v[3:4], v[85:86]
	v_mul_f64 v[85:86], v[1:2], v[85:86]
	s_waitcnt vmcnt(0)
	v_fma_f64 v[1:2], v[1:2], v[87:88], -v[89:90]
	v_fma_f64 v[3:4], v[3:4], v[87:88], v[85:86]
	v_add_f64 v[1:2], v[81:82], -v[1:2]
	v_add_f64 v[3:4], v[83:84], -v[3:4]
	buffer_store_dword v2, v5, s[0:3], 0 offen offset:36
	buffer_store_dword v1, v5, s[0:3], 0 offen offset:32
	;; [unrolled: 1-line block ×4, first 2 shown]
	s_clause 0x7
	buffer_load_dword v1, off, s[0:3], 0 offset:296
	buffer_load_dword v2, off, s[0:3], 0 offset:300
	;; [unrolled: 1-line block ×4, first 2 shown]
	buffer_load_dword v81, v5, s[0:3], 0 offen offset:48
	buffer_load_dword v82, v5, s[0:3], 0 offen offset:52
	;; [unrolled: 1-line block ×4, first 2 shown]
	s_waitcnt vmcnt(6) lgkmcnt(0)
	v_mul_f64 v[85:86], v[79:80], v[1:2]
	v_mul_f64 v[1:2], v[77:78], v[1:2]
	s_waitcnt vmcnt(4)
	v_fma_f64 v[77:78], v[77:78], v[3:4], -v[85:86]
	v_fma_f64 v[1:2], v[79:80], v[3:4], v[1:2]
	s_waitcnt vmcnt(2)
	v_add_f64 v[3:4], v[81:82], -v[77:78]
	s_waitcnt vmcnt(0)
	v_add_f64 v[1:2], v[83:84], -v[1:2]
	buffer_store_dword v4, v5, s[0:3], 0 offen offset:52
	buffer_store_dword v3, v5, s[0:3], 0 offen offset:48
	;; [unrolled: 1-line block ×4, first 2 shown]
	s_cbranch_scc1 .LBB125_244
.LBB125_245:
	s_or_b32 exec_lo, exec_lo, s5
	s_mov_b32 s6, exec_lo
	s_waitcnt lgkmcnt(0)
	s_waitcnt_vscnt null, 0x0
	s_barrier
	buffer_gl0_inv
	v_cmpx_eq_u32_e32 19, v0
	s_cbranch_execz .LBB125_256
; %bb.246:
	v_mov_b32_e32 v4, s59
	s_movk_i32 s5, 0x140
	s_clause 0x3
	buffer_load_dword v1, v4, s[0:3], 0 offen
	buffer_load_dword v2, v4, s[0:3], 0 offen offset:4
	buffer_load_dword v3, v4, s[0:3], 0 offen offset:8
	buffer_load_dword v4, v4, s[0:3], 0 offen offset:12
	s_waitcnt vmcnt(0)
	ds_write2_b64 v255, v[1:2], v[3:4] offset1:1
	s_branch .LBB125_248
.LBB125_247:                            ;   in Loop: Header=BB125_248 Depth=1
	s_andn2_b32 vcc_lo, exec_lo, s8
	s_cbranch_vccz .LBB125_250
.LBB125_248:                            ; =>This Inner Loop Header: Depth=1
	v_mov_b32_e32 v1, s5
	s_mov_b32 s7, s5
	s_mov_b32 s8, -1
	s_cmpk_eq_i32 s5, 0x3c0
	s_clause 0xb
	buffer_load_dword v2, v1, s[0:3], 0 offen
	buffer_load_dword v3, v1, s[0:3], 0 offen offset:4
	buffer_load_dword v77, v1, s[0:3], 0 offen offset:8
	;; [unrolled: 1-line block ×11, first 2 shown]
	v_add_nc_u32_e32 v1, s5, v249
	s_waitcnt vmcnt(8)
	ds_write2_b64 v1, v[2:3], v[77:78] offset1:1
	s_waitcnt vmcnt(4)
	ds_write2_b64 v1, v[79:80], v[81:82] offset0:2 offset1:3
	s_waitcnt vmcnt(0)
	ds_write2_b64 v1, v[83:84], v[85:86] offset0:4 offset1:5
	s_cbranch_scc1 .LBB125_247
; %bb.249:                              ;   in Loop: Header=BB125_248 Depth=1
	v_mov_b32_e32 v4, s7
	s_addk_i32 s5, 0x80
	s_mov_b32 s8, 0
	s_clause 0x13
	buffer_load_dword v2, v4, s[0:3], 0 offen offset:48
	buffer_load_dword v3, v4, s[0:3], 0 offen offset:52
	;; [unrolled: 1-line block ×20, first 2 shown]
	s_waitcnt vmcnt(16)
	ds_write2_b64 v1, v[2:3], v[77:78] offset0:6 offset1:7
	s_waitcnt vmcnt(12)
	ds_write2_b64 v1, v[79:80], v[81:82] offset0:8 offset1:9
	;; [unrolled: 2-line block ×5, first 2 shown]
	s_branch .LBB125_247
.LBB125_250:
	ds_read2_b64 v[77:80], v255 offset1:1
	s_waitcnt lgkmcnt(0)
	v_cmp_neq_f64_e32 vcc_lo, 0, v[77:78]
	v_cmp_neq_f64_e64 s5, 0, v[79:80]
	s_or_b32 s5, vcc_lo, s5
	s_and_b32 exec_lo, exec_lo, s5
	s_cbranch_execz .LBB125_256
; %bb.251:
	v_cmp_ngt_f64_e64 s5, |v[77:78]|, |v[79:80]|
                                        ; implicit-def: $vgpr1_vgpr2
	s_and_saveexec_b32 s7, s5
	s_xor_b32 s5, exec_lo, s7
                                        ; implicit-def: $vgpr3_vgpr4
	s_cbranch_execz .LBB125_253
; %bb.252:
	v_div_scale_f64 v[1:2], null, v[79:80], v[79:80], v[77:78]
	v_div_scale_f64 v[83:84], vcc_lo, v[77:78], v[79:80], v[77:78]
	v_rcp_f64_e32 v[3:4], v[1:2]
	v_fma_f64 v[81:82], -v[1:2], v[3:4], 1.0
	v_fma_f64 v[3:4], v[3:4], v[81:82], v[3:4]
	v_fma_f64 v[81:82], -v[1:2], v[3:4], 1.0
	v_fma_f64 v[3:4], v[3:4], v[81:82], v[3:4]
	v_mul_f64 v[81:82], v[83:84], v[3:4]
	v_fma_f64 v[1:2], -v[1:2], v[81:82], v[83:84]
	v_div_fmas_f64 v[1:2], v[1:2], v[3:4], v[81:82]
	v_div_fixup_f64 v[1:2], v[1:2], v[79:80], v[77:78]
	v_fma_f64 v[3:4], v[77:78], v[1:2], v[79:80]
	v_div_scale_f64 v[77:78], null, v[3:4], v[3:4], 1.0
	v_rcp_f64_e32 v[79:80], v[77:78]
	v_fma_f64 v[81:82], -v[77:78], v[79:80], 1.0
	v_fma_f64 v[79:80], v[79:80], v[81:82], v[79:80]
	v_fma_f64 v[81:82], -v[77:78], v[79:80], 1.0
	v_fma_f64 v[79:80], v[79:80], v[81:82], v[79:80]
	v_div_scale_f64 v[81:82], vcc_lo, 1.0, v[3:4], 1.0
	v_mul_f64 v[83:84], v[81:82], v[79:80]
	v_fma_f64 v[77:78], -v[77:78], v[83:84], v[81:82]
	v_div_fmas_f64 v[77:78], v[77:78], v[79:80], v[83:84]
	v_div_fixup_f64 v[3:4], v[77:78], v[3:4], 1.0
                                        ; implicit-def: $vgpr77_vgpr78
	v_mul_f64 v[1:2], v[1:2], v[3:4]
	v_xor_b32_e32 v4, 0x80000000, v4
.LBB125_253:
	s_andn2_saveexec_b32 s5, s5
	s_cbranch_execz .LBB125_255
; %bb.254:
	v_div_scale_f64 v[1:2], null, v[77:78], v[77:78], v[79:80]
	v_div_scale_f64 v[83:84], vcc_lo, v[79:80], v[77:78], v[79:80]
	v_rcp_f64_e32 v[3:4], v[1:2]
	v_fma_f64 v[81:82], -v[1:2], v[3:4], 1.0
	v_fma_f64 v[3:4], v[3:4], v[81:82], v[3:4]
	v_fma_f64 v[81:82], -v[1:2], v[3:4], 1.0
	v_fma_f64 v[3:4], v[3:4], v[81:82], v[3:4]
	v_mul_f64 v[81:82], v[83:84], v[3:4]
	v_fma_f64 v[1:2], -v[1:2], v[81:82], v[83:84]
	v_div_fmas_f64 v[1:2], v[1:2], v[3:4], v[81:82]
	v_div_fixup_f64 v[3:4], v[1:2], v[77:78], v[79:80]
	v_fma_f64 v[1:2], v[79:80], v[3:4], v[77:78]
	v_div_scale_f64 v[77:78], null, v[1:2], v[1:2], 1.0
	v_rcp_f64_e32 v[79:80], v[77:78]
	v_fma_f64 v[81:82], -v[77:78], v[79:80], 1.0
	v_fma_f64 v[79:80], v[79:80], v[81:82], v[79:80]
	v_fma_f64 v[81:82], -v[77:78], v[79:80], 1.0
	v_fma_f64 v[79:80], v[79:80], v[81:82], v[79:80]
	v_div_scale_f64 v[81:82], vcc_lo, 1.0, v[1:2], 1.0
	v_mul_f64 v[83:84], v[81:82], v[79:80]
	v_fma_f64 v[77:78], -v[77:78], v[83:84], v[81:82]
	v_div_fmas_f64 v[77:78], v[77:78], v[79:80], v[83:84]
	v_div_fixup_f64 v[1:2], v[77:78], v[1:2], 1.0
	v_mul_f64 v[3:4], v[3:4], -v[1:2]
.LBB125_255:
	s_or_b32 exec_lo, exec_lo, s5
	ds_write2_b64 v255, v[1:2], v[3:4] offset1:1
.LBB125_256:
	s_or_b32 exec_lo, exec_lo, s6
	s_waitcnt lgkmcnt(0)
	s_barrier
	buffer_gl0_inv
	ds_read2_b64 v[77:80], v255 offset1:1
	s_mov_b32 s5, exec_lo
	v_cmpx_lt_u32_e32 19, v0
	s_cbranch_execz .LBB125_261
; %bb.257:
	s_clause 0x3
	buffer_load_dword v1, off, s[0:3], 0 offset:312
	buffer_load_dword v2, off, s[0:3], 0 offset:316
	;; [unrolled: 1-line block ×4, first 2 shown]
	s_movk_i32 s6, 0x140
	s_waitcnt vmcnt(2) lgkmcnt(0)
	v_mul_f64 v[81:82], v[79:80], v[1:2]
	v_mul_f64 v[1:2], v[77:78], v[1:2]
	s_waitcnt vmcnt(0)
	v_fma_f64 v[81:82], v[77:78], v[3:4], -v[81:82]
	v_fma_f64 v[83:84], v[79:80], v[3:4], v[1:2]
	buffer_store_dword v81, off, s[0:3], 0 offset:304
	buffer_store_dword v82, off, s[0:3], 0 offset:308
	;; [unrolled: 1-line block ×4, first 2 shown]
	s_branch .LBB125_259
.LBB125_258:                            ;   in Loop: Header=BB125_259 Depth=1
	s_andn2_b32 vcc_lo, exec_lo, s8
	s_cbranch_vccz .LBB125_261
.LBB125_259:                            ; =>This Inner Loop Header: Depth=1
	v_mov_b32_e32 v5, s6
	v_add_nc_u32_e32 v1, s6, v249
	s_mov_b32 s7, s6
	s_mov_b32 s8, -1
	s_cmpk_eq_i32 s6, 0x3c0
	s_clause 0x3
	buffer_load_dword v2, v5, s[0:3], 0 offen
	buffer_load_dword v3, v5, s[0:3], 0 offen offset:4
	buffer_load_dword v93, v5, s[0:3], 0 offen offset:8
	;; [unrolled: 1-line block ×3, first 2 shown]
	ds_read2_b64 v[85:88], v1 offset1:1
	ds_read2_b64 v[89:92], v1 offset0:2 offset1:3
	s_waitcnt vmcnt(5) lgkmcnt(1)
	v_mul_f64 v[95:96], v[87:88], v[83:84]
	v_mul_f64 v[83:84], v[85:86], v[83:84]
	s_waitcnt vmcnt(4)
	v_fma_f64 v[85:86], v[85:86], v[81:82], -v[95:96]
	v_fma_f64 v[81:82], v[87:88], v[81:82], v[83:84]
	s_clause 0x2
	buffer_load_dword v4, v5, s[0:3], 0 offen offset:20
	buffer_load_dword v83, v5, s[0:3], 0 offen offset:28
	;; [unrolled: 1-line block ×3, first 2 shown]
	s_waitcnt vmcnt(5)
	v_add_f64 v[2:3], v[2:3], -v[85:86]
	s_waitcnt vmcnt(3)
	v_add_f64 v[81:82], v[93:94], -v[81:82]
	buffer_store_dword v3, v5, s[0:3], 0 offen offset:4
	buffer_store_dword v2, v5, s[0:3], 0 offen
	buffer_store_dword v82, v5, s[0:3], 0 offen offset:12
	buffer_store_dword v81, v5, s[0:3], 0 offen offset:8
	s_clause 0x6
	buffer_load_dword v82, v5, s[0:3], 0 offen offset:24
	buffer_load_dword v86, v5, s[0:3], 0 offen offset:36
	buffer_load_dword v85, off, s[0:3], 0 offset:316
	buffer_load_dword v84, off, s[0:3], 0 offset:312
	;; [unrolled: 1-line block ×4, first 2 shown]
	buffer_load_dword v3, v5, s[0:3], 0 offen offset:16
	s_waitcnt vmcnt(3) lgkmcnt(0)
	v_mul_f64 v[95:96], v[91:92], v[84:85]
	v_mul_f64 v[84:85], v[89:90], v[84:85]
	s_waitcnt vmcnt(1)
	v_fma_f64 v[88:89], v[89:90], v[93:94], -v[95:96]
	v_fma_f64 v[84:85], v[91:92], v[93:94], v[84:85]
	s_waitcnt vmcnt(0)
	v_add_f64 v[2:3], v[3:4], -v[88:89]
	v_add_f64 v[81:82], v[82:83], -v[84:85]
	buffer_store_dword v3, v5, s[0:3], 0 offen offset:20
	buffer_store_dword v2, v5, s[0:3], 0 offen offset:16
	;; [unrolled: 1-line block ×4, first 2 shown]
	s_clause 0x5
	buffer_load_dword v88, v5, s[0:3], 0 offen offset:44
	buffer_load_dword v2, off, s[0:3], 0 offset:312
	buffer_load_dword v3, off, s[0:3], 0 offset:316
	;; [unrolled: 1-line block ×4, first 2 shown]
	buffer_load_dword v85, v5, s[0:3], 0 offen offset:32
	ds_read2_b64 v[81:84], v1 offset0:4 offset1:5
	s_waitcnt vmcnt(3) lgkmcnt(0)
	v_mul_f64 v[91:92], v[83:84], v[2:3]
	v_mul_f64 v[2:3], v[81:82], v[2:3]
	s_waitcnt vmcnt(1)
	v_fma_f64 v[81:82], v[81:82], v[89:90], -v[91:92]
	v_fma_f64 v[2:3], v[83:84], v[89:90], v[2:3]
                                        ; implicit-def: $vgpr83_vgpr84
	s_waitcnt vmcnt(0)
	v_add_f64 v[81:82], v[85:86], -v[81:82]
	v_add_f64 v[2:3], v[87:88], -v[2:3]
	buffer_store_dword v82, v5, s[0:3], 0 offen offset:36
	buffer_store_dword v81, v5, s[0:3], 0 offen offset:32
	;; [unrolled: 1-line block ×4, first 2 shown]
                                        ; implicit-def: $vgpr81_vgpr82
	s_cbranch_scc1 .LBB125_258
; %bb.260:                              ;   in Loop: Header=BB125_259 Depth=1
	s_clause 0x3
	buffer_load_dword v81, off, s[0:3], 0 offset:312
	buffer_load_dword v82, off, s[0:3], 0 offset:316
	;; [unrolled: 1-line block ×4, first 2 shown]
	v_mov_b32_e32 v5, s7
	s_add_i32 s6, s6, 64
	s_mov_b32 s8, 0
	s_clause 0x3
	buffer_load_dword v85, v5, s[0:3], 0 offen offset:48
	buffer_load_dword v86, v5, s[0:3], 0 offen offset:52
	;; [unrolled: 1-line block ×4, first 2 shown]
	ds_read2_b64 v[1:4], v1 offset0:6 offset1:7
	s_waitcnt vmcnt(6) lgkmcnt(0)
	v_mul_f64 v[89:90], v[3:4], v[81:82]
	v_mul_f64 v[81:82], v[1:2], v[81:82]
	s_waitcnt vmcnt(4)
	v_fma_f64 v[1:2], v[1:2], v[83:84], -v[89:90]
	v_fma_f64 v[3:4], v[3:4], v[83:84], v[81:82]
	s_waitcnt vmcnt(2)
	v_add_f64 v[1:2], v[85:86], -v[1:2]
	s_waitcnt vmcnt(0)
	v_add_f64 v[3:4], v[87:88], -v[3:4]
	buffer_store_dword v2, v5, s[0:3], 0 offen offset:52
	buffer_store_dword v1, v5, s[0:3], 0 offen offset:48
	;; [unrolled: 1-line block ×4, first 2 shown]
	s_clause 0x3
	buffer_load_dword v82, off, s[0:3], 0 offset:308
	buffer_load_dword v84, off, s[0:3], 0 offset:316
	;; [unrolled: 1-line block ×4, first 2 shown]
	s_branch .LBB125_258
.LBB125_261:
	s_or_b32 exec_lo, exec_lo, s5
	s_mov_b32 s6, exec_lo
	s_waitcnt vmcnt(0) lgkmcnt(0)
	s_waitcnt_vscnt null, 0x0
	s_barrier
	buffer_gl0_inv
	v_cmpx_eq_u32_e32 20, v0
	s_cbranch_execz .LBB125_270
; %bb.262:
	v_mov_b32_e32 v4, s58
	s_movk_i32 s5, 0x150
	s_clause 0x3
	buffer_load_dword v1, v4, s[0:3], 0 offen
	buffer_load_dword v2, v4, s[0:3], 0 offen offset:4
	buffer_load_dword v3, v4, s[0:3], 0 offen offset:8
	buffer_load_dword v4, v4, s[0:3], 0 offen offset:12
	s_waitcnt vmcnt(0)
	ds_write2_b64 v255, v[1:2], v[3:4] offset1:1
.LBB125_263:                            ; =>This Inner Loop Header: Depth=1
	v_mov_b32_e32 v5, s5
	v_add_nc_u32_e32 v6, s5, v249
	s_addk_i32 s5, 0xe0
	s_clause 0xf
	buffer_load_dword v1, v5, s[0:3], 0 offen
	buffer_load_dword v2, v5, s[0:3], 0 offen offset:4
	buffer_load_dword v3, v5, s[0:3], 0 offen offset:8
	;; [unrolled: 1-line block ×15, first 2 shown]
	s_cmpk_lg_i32 s5, 0x3f0
	s_waitcnt vmcnt(12)
	ds_write2_b64 v6, v[1:2], v[3:4] offset1:1
	s_waitcnt vmcnt(8)
	ds_write2_b64 v6, v[81:82], v[83:84] offset0:2 offset1:3
	s_waitcnt vmcnt(4)
	ds_write2_b64 v6, v[85:86], v[87:88] offset0:4 offset1:5
	;; [unrolled: 2-line block ×3, first 2 shown]
	s_clause 0x3
	buffer_load_dword v2, v5, s[0:3], 0 offen offset:76
	buffer_load_dword v1, v5, s[0:3], 0 offen offset:72
	buffer_load_dword v4, v5, s[0:3], 0 offen offset:68
	buffer_load_dword v3, v5, s[0:3], 0 offen offset:64
	s_waitcnt vmcnt(0)
	ds_write2_b64 v6, v[3:4], v[1:2] offset0:8 offset1:9
	s_clause 0x3
	buffer_load_dword v2, v5, s[0:3], 0 offen offset:92
	buffer_load_dword v1, v5, s[0:3], 0 offen offset:88
	buffer_load_dword v4, v5, s[0:3], 0 offen offset:84
	buffer_load_dword v3, v5, s[0:3], 0 offen offset:80
	s_waitcnt vmcnt(0)
	ds_write2_b64 v6, v[3:4], v[1:2] offset0:10 offset1:11
	s_clause 0x3
	buffer_load_dword v2, v5, s[0:3], 0 offen offset:108
	buffer_load_dword v1, v5, s[0:3], 0 offen offset:104
	buffer_load_dword v4, v5, s[0:3], 0 offen offset:100
	buffer_load_dword v3, v5, s[0:3], 0 offen offset:96
	s_waitcnt vmcnt(0)
	ds_write2_b64 v6, v[3:4], v[1:2] offset0:12 offset1:13
	s_clause 0x3
	buffer_load_dword v2, v5, s[0:3], 0 offen offset:124
	buffer_load_dword v1, v5, s[0:3], 0 offen offset:120
	buffer_load_dword v4, v5, s[0:3], 0 offen offset:116
	buffer_load_dword v3, v5, s[0:3], 0 offen offset:112
	s_waitcnt vmcnt(0)
	ds_write2_b64 v6, v[3:4], v[1:2] offset0:14 offset1:15
	s_clause 0x3
	buffer_load_dword v1, v5, s[0:3], 0 offen offset:128
	buffer_load_dword v2, v5, s[0:3], 0 offen offset:132
	buffer_load_dword v3, v5, s[0:3], 0 offen offset:136
	buffer_load_dword v4, v5, s[0:3], 0 offen offset:140
	s_waitcnt vmcnt(0)
	ds_write2_b64 v6, v[1:2], v[3:4] offset0:16 offset1:17
	s_clause 0x3
	buffer_load_dword v1, v5, s[0:3], 0 offen offset:144
	buffer_load_dword v2, v5, s[0:3], 0 offen offset:148
	buffer_load_dword v3, v5, s[0:3], 0 offen offset:152
	buffer_load_dword v4, v5, s[0:3], 0 offen offset:156
	s_waitcnt vmcnt(0)
	ds_write2_b64 v6, v[1:2], v[3:4] offset0:18 offset1:19
	s_clause 0x3
	buffer_load_dword v1, v5, s[0:3], 0 offen offset:160
	buffer_load_dword v2, v5, s[0:3], 0 offen offset:164
	buffer_load_dword v3, v5, s[0:3], 0 offen offset:168
	buffer_load_dword v4, v5, s[0:3], 0 offen offset:172
	s_waitcnt vmcnt(0)
	ds_write2_b64 v6, v[1:2], v[3:4] offset0:20 offset1:21
	s_clause 0x3
	buffer_load_dword v1, v5, s[0:3], 0 offen offset:176
	buffer_load_dword v2, v5, s[0:3], 0 offen offset:180
	buffer_load_dword v3, v5, s[0:3], 0 offen offset:184
	buffer_load_dword v4, v5, s[0:3], 0 offen offset:188
	s_waitcnt vmcnt(0)
	ds_write2_b64 v6, v[1:2], v[3:4] offset0:22 offset1:23
	s_clause 0x3
	buffer_load_dword v1, v5, s[0:3], 0 offen offset:192
	buffer_load_dword v2, v5, s[0:3], 0 offen offset:196
	buffer_load_dword v3, v5, s[0:3], 0 offen offset:200
	buffer_load_dword v4, v5, s[0:3], 0 offen offset:204
	s_waitcnt vmcnt(0)
	ds_write2_b64 v6, v[1:2], v[3:4] offset0:24 offset1:25
	s_clause 0x3
	buffer_load_dword v1, v5, s[0:3], 0 offen offset:208
	buffer_load_dword v2, v5, s[0:3], 0 offen offset:212
	buffer_load_dword v3, v5, s[0:3], 0 offen offset:216
	buffer_load_dword v4, v5, s[0:3], 0 offen offset:220
	s_waitcnt vmcnt(0)
	ds_write2_b64 v6, v[1:2], v[3:4] offset0:26 offset1:27
	s_cbranch_scc1 .LBB125_263
; %bb.264:
	ds_read2_b64 v[81:84], v255 offset1:1
	s_waitcnt lgkmcnt(0)
	v_cmp_neq_f64_e32 vcc_lo, 0, v[81:82]
	v_cmp_neq_f64_e64 s5, 0, v[83:84]
	s_or_b32 s5, vcc_lo, s5
	s_and_b32 exec_lo, exec_lo, s5
	s_cbranch_execz .LBB125_270
; %bb.265:
	v_cmp_ngt_f64_e64 s5, |v[81:82]|, |v[83:84]|
                                        ; implicit-def: $vgpr1_vgpr2
	s_and_saveexec_b32 s7, s5
	s_xor_b32 s5, exec_lo, s7
                                        ; implicit-def: $vgpr3_vgpr4
	s_cbranch_execz .LBB125_267
; %bb.266:
	v_div_scale_f64 v[1:2], null, v[83:84], v[83:84], v[81:82]
	v_div_scale_f64 v[87:88], vcc_lo, v[81:82], v[83:84], v[81:82]
	v_rcp_f64_e32 v[3:4], v[1:2]
	v_fma_f64 v[85:86], -v[1:2], v[3:4], 1.0
	v_fma_f64 v[3:4], v[3:4], v[85:86], v[3:4]
	v_fma_f64 v[85:86], -v[1:2], v[3:4], 1.0
	v_fma_f64 v[3:4], v[3:4], v[85:86], v[3:4]
	v_mul_f64 v[85:86], v[87:88], v[3:4]
	v_fma_f64 v[1:2], -v[1:2], v[85:86], v[87:88]
	v_div_fmas_f64 v[1:2], v[1:2], v[3:4], v[85:86]
	v_div_fixup_f64 v[1:2], v[1:2], v[83:84], v[81:82]
	v_fma_f64 v[3:4], v[81:82], v[1:2], v[83:84]
	v_div_scale_f64 v[81:82], null, v[3:4], v[3:4], 1.0
	v_rcp_f64_e32 v[83:84], v[81:82]
	v_fma_f64 v[85:86], -v[81:82], v[83:84], 1.0
	v_fma_f64 v[83:84], v[83:84], v[85:86], v[83:84]
	v_fma_f64 v[85:86], -v[81:82], v[83:84], 1.0
	v_fma_f64 v[83:84], v[83:84], v[85:86], v[83:84]
	v_div_scale_f64 v[85:86], vcc_lo, 1.0, v[3:4], 1.0
	v_mul_f64 v[87:88], v[85:86], v[83:84]
	v_fma_f64 v[81:82], -v[81:82], v[87:88], v[85:86]
	v_div_fmas_f64 v[81:82], v[81:82], v[83:84], v[87:88]
	v_div_fixup_f64 v[3:4], v[81:82], v[3:4], 1.0
                                        ; implicit-def: $vgpr81_vgpr82
	v_mul_f64 v[1:2], v[1:2], v[3:4]
	v_xor_b32_e32 v4, 0x80000000, v4
.LBB125_267:
	s_andn2_saveexec_b32 s5, s5
	s_cbranch_execz .LBB125_269
; %bb.268:
	v_div_scale_f64 v[1:2], null, v[81:82], v[81:82], v[83:84]
	v_div_scale_f64 v[87:88], vcc_lo, v[83:84], v[81:82], v[83:84]
	v_rcp_f64_e32 v[3:4], v[1:2]
	v_fma_f64 v[85:86], -v[1:2], v[3:4], 1.0
	v_fma_f64 v[3:4], v[3:4], v[85:86], v[3:4]
	v_fma_f64 v[85:86], -v[1:2], v[3:4], 1.0
	v_fma_f64 v[3:4], v[3:4], v[85:86], v[3:4]
	v_mul_f64 v[85:86], v[87:88], v[3:4]
	v_fma_f64 v[1:2], -v[1:2], v[85:86], v[87:88]
	v_div_fmas_f64 v[1:2], v[1:2], v[3:4], v[85:86]
	v_div_fixup_f64 v[3:4], v[1:2], v[81:82], v[83:84]
	v_fma_f64 v[1:2], v[83:84], v[3:4], v[81:82]
	v_div_scale_f64 v[81:82], null, v[1:2], v[1:2], 1.0
	v_rcp_f64_e32 v[83:84], v[81:82]
	v_fma_f64 v[85:86], -v[81:82], v[83:84], 1.0
	v_fma_f64 v[83:84], v[83:84], v[85:86], v[83:84]
	v_fma_f64 v[85:86], -v[81:82], v[83:84], 1.0
	v_fma_f64 v[83:84], v[83:84], v[85:86], v[83:84]
	v_div_scale_f64 v[85:86], vcc_lo, 1.0, v[1:2], 1.0
	v_mul_f64 v[87:88], v[85:86], v[83:84]
	v_fma_f64 v[81:82], -v[81:82], v[87:88], v[85:86]
	v_div_fmas_f64 v[81:82], v[81:82], v[83:84], v[87:88]
	v_div_fixup_f64 v[1:2], v[81:82], v[1:2], 1.0
	v_mul_f64 v[3:4], v[3:4], -v[1:2]
.LBB125_269:
	s_or_b32 exec_lo, exec_lo, s5
	ds_write2_b64 v255, v[1:2], v[3:4] offset1:1
.LBB125_270:
	s_or_b32 exec_lo, exec_lo, s6
	s_waitcnt lgkmcnt(0)
	s_barrier
	buffer_gl0_inv
	ds_read2_b64 v[81:84], v255 offset1:1
	s_mov_b32 s5, exec_lo
	v_cmpx_lt_u32_e32 20, v0
	s_cbranch_execz .LBB125_273
; %bb.271:
	s_clause 0x3
	buffer_load_dword v1, off, s[0:3], 0 offset:328
	buffer_load_dword v2, off, s[0:3], 0 offset:332
	;; [unrolled: 1-line block ×4, first 2 shown]
	s_movk_i32 s6, 0x150
	s_waitcnt vmcnt(2) lgkmcnt(0)
	v_mul_f64 v[85:86], v[83:84], v[1:2]
	v_mul_f64 v[1:2], v[81:82], v[1:2]
	s_waitcnt vmcnt(0)
	v_fma_f64 v[85:86], v[81:82], v[3:4], -v[85:86]
	v_fma_f64 v[1:2], v[83:84], v[3:4], v[1:2]
	buffer_store_dword v85, off, s[0:3], 0 offset:320
	buffer_store_dword v86, off, s[0:3], 0 offset:324
	buffer_store_dword v1, off, s[0:3], 0 offset:328
	buffer_store_dword v2, off, s[0:3], 0 offset:332
.LBB125_272:                            ; =>This Inner Loop Header: Depth=1
	s_clause 0x3
	buffer_load_dword v89, off, s[0:3], 0 offset:328
	buffer_load_dword v90, off, s[0:3], 0 offset:332
	buffer_load_dword v91, off, s[0:3], 0 offset:320
	buffer_load_dword v92, off, s[0:3], 0 offset:324
	v_mov_b32_e32 v5, s6
	v_add_nc_u32_e32 v6, s6, v249
	s_addk_i32 s6, 0x70
	s_clause 0x3
	buffer_load_dword v93, v5, s[0:3], 0 offen
	buffer_load_dword v94, v5, s[0:3], 0 offen offset:4
	buffer_load_dword v95, v5, s[0:3], 0 offen offset:8
	;; [unrolled: 1-line block ×3, first 2 shown]
	ds_read2_b64 v[1:4], v6 offset1:1
	s_clause 0x3
	buffer_load_dword v97, v5, s[0:3], 0 offen offset:16
	buffer_load_dword v98, v5, s[0:3], 0 offen offset:20
	;; [unrolled: 1-line block ×4, first 2 shown]
	ds_read2_b64 v[85:88], v6 offset0:2 offset1:3
	s_cmpk_lg_i32 s6, 0x3f0
	s_waitcnt vmcnt(10) lgkmcnt(1)
	v_mul_f64 v[101:102], v[3:4], v[89:90]
	v_mul_f64 v[89:90], v[1:2], v[89:90]
	s_waitcnt vmcnt(8)
	v_fma_f64 v[1:2], v[1:2], v[91:92], -v[101:102]
	v_fma_f64 v[3:4], v[3:4], v[91:92], v[89:90]
	s_waitcnt vmcnt(6)
	v_add_f64 v[1:2], v[93:94], -v[1:2]
	s_waitcnt vmcnt(4)
	v_add_f64 v[3:4], v[95:96], -v[3:4]
	buffer_store_dword v2, v5, s[0:3], 0 offen offset:4
	buffer_store_dword v1, v5, s[0:3], 0 offen
	buffer_store_dword v4, v5, s[0:3], 0 offen offset:12
	buffer_store_dword v3, v5, s[0:3], 0 offen offset:8
	s_clause 0x7
	buffer_load_dword v2, off, s[0:3], 0 offset:332
	buffer_load_dword v1, off, s[0:3], 0 offset:328
	;; [unrolled: 1-line block ×4, first 2 shown]
	buffer_load_dword v89, v5, s[0:3], 0 offen offset:32
	buffer_load_dword v90, v5, s[0:3], 0 offen offset:36
	;; [unrolled: 1-line block ×4, first 2 shown]
	s_waitcnt vmcnt(6) lgkmcnt(0)
	v_mul_f64 v[93:94], v[87:88], v[1:2]
	v_mul_f64 v[1:2], v[85:86], v[1:2]
	s_waitcnt vmcnt(4)
	v_fma_f64 v[85:86], v[85:86], v[3:4], -v[93:94]
	v_fma_f64 v[1:2], v[87:88], v[3:4], v[1:2]
	v_add_f64 v[3:4], v[97:98], -v[85:86]
	v_add_f64 v[1:2], v[99:100], -v[1:2]
	buffer_store_dword v4, v5, s[0:3], 0 offen offset:20
	buffer_store_dword v3, v5, s[0:3], 0 offen offset:16
	;; [unrolled: 1-line block ×4, first 2 shown]
	s_clause 0x3
	buffer_load_dword v93, off, s[0:3], 0 offset:328
	buffer_load_dword v94, off, s[0:3], 0 offset:332
	;; [unrolled: 1-line block ×4, first 2 shown]
	ds_read2_b64 v[1:4], v6 offset0:4 offset1:5
	ds_read2_b64 v[85:88], v6 offset0:6 offset1:7
	s_waitcnt vmcnt(2) lgkmcnt(1)
	v_mul_f64 v[97:98], v[3:4], v[93:94]
	v_mul_f64 v[93:94], v[1:2], v[93:94]
	s_waitcnt vmcnt(0)
	v_fma_f64 v[1:2], v[1:2], v[95:96], -v[97:98]
	v_fma_f64 v[3:4], v[3:4], v[95:96], v[93:94]
	v_add_f64 v[1:2], v[89:90], -v[1:2]
	v_add_f64 v[3:4], v[91:92], -v[3:4]
	buffer_store_dword v2, v5, s[0:3], 0 offen offset:36
	buffer_store_dword v1, v5, s[0:3], 0 offen offset:32
	buffer_store_dword v4, v5, s[0:3], 0 offen offset:44
	buffer_store_dword v3, v5, s[0:3], 0 offen offset:40
	s_clause 0x7
	buffer_load_dword v1, off, s[0:3], 0 offset:328
	buffer_load_dword v2, off, s[0:3], 0 offset:332
	;; [unrolled: 1-line block ×4, first 2 shown]
	buffer_load_dword v89, v5, s[0:3], 0 offen offset:48
	buffer_load_dword v90, v5, s[0:3], 0 offen offset:52
	buffer_load_dword v91, v5, s[0:3], 0 offen offset:56
	buffer_load_dword v92, v5, s[0:3], 0 offen offset:60
	s_waitcnt vmcnt(6) lgkmcnt(0)
	v_mul_f64 v[93:94], v[87:88], v[1:2]
	v_mul_f64 v[1:2], v[85:86], v[1:2]
	s_waitcnt vmcnt(4)
	v_fma_f64 v[85:86], v[85:86], v[3:4], -v[93:94]
	v_fma_f64 v[1:2], v[87:88], v[3:4], v[1:2]
	s_waitcnt vmcnt(2)
	v_add_f64 v[3:4], v[89:90], -v[85:86]
	s_waitcnt vmcnt(0)
	v_add_f64 v[1:2], v[91:92], -v[1:2]
	buffer_store_dword v4, v5, s[0:3], 0 offen offset:52
	buffer_store_dword v3, v5, s[0:3], 0 offen offset:48
	;; [unrolled: 1-line block ×4, first 2 shown]
	s_clause 0x7
	buffer_load_dword v89, off, s[0:3], 0 offset:328
	buffer_load_dword v90, off, s[0:3], 0 offset:332
	;; [unrolled: 1-line block ×4, first 2 shown]
	buffer_load_dword v93, v5, s[0:3], 0 offen offset:64
	buffer_load_dword v94, v5, s[0:3], 0 offen offset:68
	;; [unrolled: 1-line block ×4, first 2 shown]
	ds_read2_b64 v[1:4], v6 offset0:8 offset1:9
	ds_read2_b64 v[85:88], v6 offset0:10 offset1:11
	s_waitcnt vmcnt(6) lgkmcnt(1)
	v_mul_f64 v[97:98], v[3:4], v[89:90]
	v_mul_f64 v[89:90], v[1:2], v[89:90]
	s_waitcnt vmcnt(4)
	v_fma_f64 v[1:2], v[1:2], v[91:92], -v[97:98]
	v_fma_f64 v[3:4], v[3:4], v[91:92], v[89:90]
	s_waitcnt vmcnt(2)
	v_add_f64 v[1:2], v[93:94], -v[1:2]
	s_waitcnt vmcnt(0)
	v_add_f64 v[3:4], v[95:96], -v[3:4]
	buffer_store_dword v2, v5, s[0:3], 0 offen offset:68
	buffer_store_dword v1, v5, s[0:3], 0 offen offset:64
	;; [unrolled: 1-line block ×4, first 2 shown]
	s_clause 0x7
	buffer_load_dword v1, off, s[0:3], 0 offset:328
	buffer_load_dword v2, off, s[0:3], 0 offset:332
	;; [unrolled: 1-line block ×4, first 2 shown]
	buffer_load_dword v89, v5, s[0:3], 0 offen offset:80
	buffer_load_dword v90, v5, s[0:3], 0 offen offset:84
	;; [unrolled: 1-line block ×4, first 2 shown]
	s_waitcnt vmcnt(6) lgkmcnt(0)
	v_mul_f64 v[93:94], v[87:88], v[1:2]
	v_mul_f64 v[1:2], v[85:86], v[1:2]
	s_waitcnt vmcnt(4)
	v_fma_f64 v[85:86], v[85:86], v[3:4], -v[93:94]
	v_fma_f64 v[1:2], v[87:88], v[3:4], v[1:2]
	s_waitcnt vmcnt(2)
	v_add_f64 v[3:4], v[89:90], -v[85:86]
	s_waitcnt vmcnt(0)
	v_add_f64 v[1:2], v[91:92], -v[1:2]
	buffer_store_dword v4, v5, s[0:3], 0 offen offset:84
	buffer_store_dword v3, v5, s[0:3], 0 offen offset:80
	;; [unrolled: 1-line block ×4, first 2 shown]
	s_clause 0x7
	buffer_load_dword v85, off, s[0:3], 0 offset:328
	buffer_load_dword v86, off, s[0:3], 0 offset:332
	;; [unrolled: 1-line block ×4, first 2 shown]
	buffer_load_dword v89, v5, s[0:3], 0 offen offset:96
	buffer_load_dword v90, v5, s[0:3], 0 offen offset:100
	;; [unrolled: 1-line block ×4, first 2 shown]
	ds_read2_b64 v[1:4], v6 offset0:12 offset1:13
	s_waitcnt vmcnt(6) lgkmcnt(0)
	v_mul_f64 v[93:94], v[3:4], v[85:86]
	v_mul_f64 v[85:86], v[1:2], v[85:86]
	s_waitcnt vmcnt(4)
	v_fma_f64 v[1:2], v[1:2], v[87:88], -v[93:94]
	v_fma_f64 v[3:4], v[3:4], v[87:88], v[85:86]
	s_waitcnt vmcnt(2)
	v_add_f64 v[1:2], v[89:90], -v[1:2]
	s_waitcnt vmcnt(0)
	v_add_f64 v[3:4], v[91:92], -v[3:4]
	buffer_store_dword v2, v5, s[0:3], 0 offen offset:100
	buffer_store_dword v1, v5, s[0:3], 0 offen offset:96
	;; [unrolled: 1-line block ×4, first 2 shown]
	s_cbranch_scc1 .LBB125_272
.LBB125_273:
	s_or_b32 exec_lo, exec_lo, s5
	s_mov_b32 s6, exec_lo
	s_waitcnt lgkmcnt(0)
	s_waitcnt_vscnt null, 0x0
	s_barrier
	buffer_gl0_inv
	v_cmpx_eq_u32_e32 21, v0
	s_cbranch_execz .LBB125_284
; %bb.274:
	v_mov_b32_e32 v4, s57
	s_movk_i32 s5, 0x160
	s_clause 0x3
	buffer_load_dword v1, v4, s[0:3], 0 offen
	buffer_load_dword v2, v4, s[0:3], 0 offen offset:4
	buffer_load_dword v3, v4, s[0:3], 0 offen offset:8
	;; [unrolled: 1-line block ×3, first 2 shown]
	s_waitcnt vmcnt(0)
	ds_write2_b64 v255, v[1:2], v[3:4] offset1:1
	s_branch .LBB125_276
.LBB125_275:                            ;   in Loop: Header=BB125_276 Depth=1
	s_andn2_b32 vcc_lo, exec_lo, s8
	s_cbranch_vccz .LBB125_278
.LBB125_276:                            ; =>This Inner Loop Header: Depth=1
	v_mov_b32_e32 v1, s5
	s_mov_b32 s7, s5
	s_cmpk_eq_i32 s5, 0x3e0
	s_mov_b32 s8, -1
	s_clause 0x3
	buffer_load_dword v2, v1, s[0:3], 0 offen
	buffer_load_dword v3, v1, s[0:3], 0 offen offset:4
	buffer_load_dword v85, v1, s[0:3], 0 offen offset:8
	;; [unrolled: 1-line block ×3, first 2 shown]
	v_add_nc_u32_e32 v1, s5, v249
	s_waitcnt vmcnt(0)
	ds_write2_b64 v1, v[2:3], v[85:86] offset1:1
	s_cbranch_scc1 .LBB125_275
; %bb.277:                              ;   in Loop: Header=BB125_276 Depth=1
	v_mov_b32_e32 v4, s7
	s_addk_i32 s5, 0x80
	s_mov_b32 s8, 0
	s_clause 0x1b
	buffer_load_dword v2, v4, s[0:3], 0 offen offset:16
	buffer_load_dword v3, v4, s[0:3], 0 offen offset:20
	;; [unrolled: 1-line block ×28, first 2 shown]
	s_waitcnt vmcnt(24)
	ds_write2_b64 v1, v[2:3], v[85:86] offset0:2 offset1:3
	s_waitcnt vmcnt(20)
	ds_write2_b64 v1, v[87:88], v[89:90] offset0:4 offset1:5
	;; [unrolled: 2-line block ×5, first 2 shown]
	ds_write2_b64 v1, v[103:104], v[101:102] offset0:12 offset1:13
	s_waitcnt vmcnt(0)
	ds_write2_b64 v1, v[109:110], v[107:108] offset0:14 offset1:15
	s_branch .LBB125_275
.LBB125_278:
	ds_read2_b64 v[85:88], v255 offset1:1
	s_waitcnt lgkmcnt(0)
	v_cmp_neq_f64_e32 vcc_lo, 0, v[85:86]
	v_cmp_neq_f64_e64 s5, 0, v[87:88]
	s_or_b32 s5, vcc_lo, s5
	s_and_b32 exec_lo, exec_lo, s5
	s_cbranch_execz .LBB125_284
; %bb.279:
	v_cmp_ngt_f64_e64 s5, |v[85:86]|, |v[87:88]|
                                        ; implicit-def: $vgpr1_vgpr2
	s_and_saveexec_b32 s7, s5
	s_xor_b32 s5, exec_lo, s7
                                        ; implicit-def: $vgpr3_vgpr4
	s_cbranch_execz .LBB125_281
; %bb.280:
	v_div_scale_f64 v[1:2], null, v[87:88], v[87:88], v[85:86]
	v_div_scale_f64 v[91:92], vcc_lo, v[85:86], v[87:88], v[85:86]
	v_rcp_f64_e32 v[3:4], v[1:2]
	v_fma_f64 v[89:90], -v[1:2], v[3:4], 1.0
	v_fma_f64 v[3:4], v[3:4], v[89:90], v[3:4]
	v_fma_f64 v[89:90], -v[1:2], v[3:4], 1.0
	v_fma_f64 v[3:4], v[3:4], v[89:90], v[3:4]
	v_mul_f64 v[89:90], v[91:92], v[3:4]
	v_fma_f64 v[1:2], -v[1:2], v[89:90], v[91:92]
	v_div_fmas_f64 v[1:2], v[1:2], v[3:4], v[89:90]
	v_div_fixup_f64 v[1:2], v[1:2], v[87:88], v[85:86]
	v_fma_f64 v[3:4], v[85:86], v[1:2], v[87:88]
	v_div_scale_f64 v[85:86], null, v[3:4], v[3:4], 1.0
	v_rcp_f64_e32 v[87:88], v[85:86]
	v_fma_f64 v[89:90], -v[85:86], v[87:88], 1.0
	v_fma_f64 v[87:88], v[87:88], v[89:90], v[87:88]
	v_fma_f64 v[89:90], -v[85:86], v[87:88], 1.0
	v_fma_f64 v[87:88], v[87:88], v[89:90], v[87:88]
	v_div_scale_f64 v[89:90], vcc_lo, 1.0, v[3:4], 1.0
	v_mul_f64 v[91:92], v[89:90], v[87:88]
	v_fma_f64 v[85:86], -v[85:86], v[91:92], v[89:90]
	v_div_fmas_f64 v[85:86], v[85:86], v[87:88], v[91:92]
	v_div_fixup_f64 v[3:4], v[85:86], v[3:4], 1.0
                                        ; implicit-def: $vgpr85_vgpr86
	v_mul_f64 v[1:2], v[1:2], v[3:4]
	v_xor_b32_e32 v4, 0x80000000, v4
.LBB125_281:
	s_andn2_saveexec_b32 s5, s5
	s_cbranch_execz .LBB125_283
; %bb.282:
	v_div_scale_f64 v[1:2], null, v[85:86], v[85:86], v[87:88]
	v_div_scale_f64 v[91:92], vcc_lo, v[87:88], v[85:86], v[87:88]
	v_rcp_f64_e32 v[3:4], v[1:2]
	v_fma_f64 v[89:90], -v[1:2], v[3:4], 1.0
	v_fma_f64 v[3:4], v[3:4], v[89:90], v[3:4]
	v_fma_f64 v[89:90], -v[1:2], v[3:4], 1.0
	v_fma_f64 v[3:4], v[3:4], v[89:90], v[3:4]
	v_mul_f64 v[89:90], v[91:92], v[3:4]
	v_fma_f64 v[1:2], -v[1:2], v[89:90], v[91:92]
	v_div_fmas_f64 v[1:2], v[1:2], v[3:4], v[89:90]
	v_div_fixup_f64 v[3:4], v[1:2], v[85:86], v[87:88]
	v_fma_f64 v[1:2], v[87:88], v[3:4], v[85:86]
	v_div_scale_f64 v[85:86], null, v[1:2], v[1:2], 1.0
	v_rcp_f64_e32 v[87:88], v[85:86]
	v_fma_f64 v[89:90], -v[85:86], v[87:88], 1.0
	v_fma_f64 v[87:88], v[87:88], v[89:90], v[87:88]
	v_fma_f64 v[89:90], -v[85:86], v[87:88], 1.0
	v_fma_f64 v[87:88], v[87:88], v[89:90], v[87:88]
	v_div_scale_f64 v[89:90], vcc_lo, 1.0, v[1:2], 1.0
	v_mul_f64 v[91:92], v[89:90], v[87:88]
	v_fma_f64 v[85:86], -v[85:86], v[91:92], v[89:90]
	v_div_fmas_f64 v[85:86], v[85:86], v[87:88], v[91:92]
	v_div_fixup_f64 v[1:2], v[85:86], v[1:2], 1.0
	v_mul_f64 v[3:4], v[3:4], -v[1:2]
.LBB125_283:
	s_or_b32 exec_lo, exec_lo, s5
	ds_write2_b64 v255, v[1:2], v[3:4] offset1:1
.LBB125_284:
	s_or_b32 exec_lo, exec_lo, s6
	s_waitcnt lgkmcnt(0)
	s_barrier
	buffer_gl0_inv
	ds_read2_b64 v[85:88], v255 offset1:1
	s_mov_b32 s5, exec_lo
	v_cmpx_lt_u32_e32 21, v0
	s_cbranch_execz .LBB125_289
; %bb.285:
	s_clause 0x3
	buffer_load_dword v1, off, s[0:3], 0 offset:344
	buffer_load_dword v2, off, s[0:3], 0 offset:348
	;; [unrolled: 1-line block ×4, first 2 shown]
	s_movk_i32 s6, 0x160
	s_waitcnt vmcnt(2) lgkmcnt(0)
	v_mul_f64 v[89:90], v[87:88], v[1:2]
	v_mul_f64 v[1:2], v[85:86], v[1:2]
	s_waitcnt vmcnt(0)
	v_fma_f64 v[89:90], v[85:86], v[3:4], -v[89:90]
	v_fma_f64 v[91:92], v[87:88], v[3:4], v[1:2]
	buffer_store_dword v89, off, s[0:3], 0 offset:336
	buffer_store_dword v90, off, s[0:3], 0 offset:340
	;; [unrolled: 1-line block ×4, first 2 shown]
	s_branch .LBB125_287
.LBB125_286:                            ;   in Loop: Header=BB125_287 Depth=1
	s_andn2_b32 vcc_lo, exec_lo, s8
	s_cbranch_vccz .LBB125_289
.LBB125_287:                            ; =>This Inner Loop Header: Depth=1
	v_mov_b32_e32 v4, s6
	v_add_nc_u32_e32 v1, s6, v249
	s_mov_b32 s7, s6
	s_mov_b32 s8, -1
	s_cmpk_eq_i32 s6, 0x3e0
	s_clause 0x3
	buffer_load_dword v2, v4, s[0:3], 0 offen
	buffer_load_dword v3, v4, s[0:3], 0 offen offset:4
	buffer_load_dword v97, v4, s[0:3], 0 offen offset:8
	;; [unrolled: 1-line block ×3, first 2 shown]
	ds_read2_b64 v[93:96], v1 offset1:1
	s_waitcnt vmcnt(4) lgkmcnt(0)
	v_mul_f64 v[99:100], v[95:96], v[91:92]
	v_mul_f64 v[91:92], v[93:94], v[91:92]
	v_fma_f64 v[93:94], v[93:94], v[89:90], -v[99:100]
	v_fma_f64 v[89:90], v[95:96], v[89:90], v[91:92]
                                        ; implicit-def: $vgpr91_vgpr92
	s_waitcnt vmcnt(2)
	v_add_f64 v[2:3], v[2:3], -v[93:94]
	s_waitcnt vmcnt(0)
	v_add_f64 v[89:90], v[97:98], -v[89:90]
	buffer_store_dword v2, v4, s[0:3], 0 offen
	buffer_store_dword v3, v4, s[0:3], 0 offen offset:4
	buffer_store_dword v89, v4, s[0:3], 0 offen offset:8
	;; [unrolled: 1-line block ×3, first 2 shown]
                                        ; implicit-def: $vgpr89_vgpr90
	s_cbranch_scc1 .LBB125_286
; %bb.288:                              ;   in Loop: Header=BB125_287 Depth=1
	s_clause 0x3
	buffer_load_dword v2, off, s[0:3], 0 offset:344
	buffer_load_dword v3, off, s[0:3], 0 offset:348
	;; [unrolled: 1-line block ×4, first 2 shown]
	v_mov_b32_e32 v5, s7
	s_add_i32 s6, s6, 64
	s_mov_b32 s8, 0
	s_clause 0x3
	buffer_load_dword v99, v5, s[0:3], 0 offen offset:16
	buffer_load_dword v100, v5, s[0:3], 0 offen offset:20
	;; [unrolled: 1-line block ×4, first 2 shown]
	ds_read2_b64 v[89:92], v1 offset0:2 offset1:3
	ds_read2_b64 v[93:96], v1 offset0:4 offset1:5
	s_waitcnt vmcnt(6) lgkmcnt(1)
	v_mul_f64 v[103:104], v[91:92], v[2:3]
	v_mul_f64 v[2:3], v[89:90], v[2:3]
	s_waitcnt vmcnt(4)
	v_fma_f64 v[89:90], v[89:90], v[97:98], -v[103:104]
	v_fma_f64 v[2:3], v[91:92], v[97:98], v[2:3]
	s_waitcnt vmcnt(2)
	v_add_f64 v[89:90], v[99:100], -v[89:90]
	s_waitcnt vmcnt(0)
	v_add_f64 v[2:3], v[101:102], -v[2:3]
	buffer_store_dword v90, v5, s[0:3], 0 offen offset:20
	buffer_store_dword v89, v5, s[0:3], 0 offen offset:16
	;; [unrolled: 1-line block ×4, first 2 shown]
	s_clause 0x7
	buffer_load_dword v3, v5, s[0:3], 0 offen offset:36
	buffer_load_dword v89, v5, s[0:3], 0 offen offset:40
	;; [unrolled: 1-line block ×3, first 2 shown]
	buffer_load_dword v92, off, s[0:3], 0 offset:348
	buffer_load_dword v91, off, s[0:3], 0 offset:344
	;; [unrolled: 1-line block ×4, first 2 shown]
	buffer_load_dword v2, v5, s[0:3], 0 offen offset:32
	s_waitcnt vmcnt(3) lgkmcnt(0)
	v_mul_f64 v[99:100], v[95:96], v[91:92]
	v_mul_f64 v[91:92], v[93:94], v[91:92]
	s_waitcnt vmcnt(1)
	v_fma_f64 v[93:94], v[93:94], v[97:98], -v[99:100]
	v_fma_f64 v[91:92], v[95:96], v[97:98], v[91:92]
	s_waitcnt vmcnt(0)
	v_add_f64 v[2:3], v[2:3], -v[93:94]
	v_add_f64 v[89:90], v[89:90], -v[91:92]
	buffer_store_dword v3, v5, s[0:3], 0 offen offset:36
	buffer_store_dword v2, v5, s[0:3], 0 offen offset:32
	;; [unrolled: 1-line block ×4, first 2 shown]
	s_clause 0x7
	buffer_load_dword v90, v5, s[0:3], 0 offen offset:52
	buffer_load_dword v91, v5, s[0:3], 0 offen offset:56
	;; [unrolled: 1-line block ×3, first 2 shown]
	buffer_load_dword v93, off, s[0:3], 0 offset:344
	buffer_load_dword v94, off, s[0:3], 0 offset:348
	;; [unrolled: 1-line block ×4, first 2 shown]
	buffer_load_dword v89, v5, s[0:3], 0 offen offset:48
	ds_read2_b64 v[1:4], v1 offset0:6 offset1:7
	s_waitcnt vmcnt(3) lgkmcnt(0)
	v_mul_f64 v[97:98], v[3:4], v[93:94]
	v_mul_f64 v[93:94], v[1:2], v[93:94]
	s_waitcnt vmcnt(1)
	v_fma_f64 v[1:2], v[1:2], v[95:96], -v[97:98]
	v_fma_f64 v[3:4], v[3:4], v[95:96], v[93:94]
	s_waitcnt vmcnt(0)
	v_add_f64 v[1:2], v[89:90], -v[1:2]
	v_add_f64 v[3:4], v[91:92], -v[3:4]
	buffer_store_dword v2, v5, s[0:3], 0 offen offset:52
	buffer_store_dword v1, v5, s[0:3], 0 offen offset:48
	;; [unrolled: 1-line block ×4, first 2 shown]
	s_clause 0x3
	buffer_load_dword v89, off, s[0:3], 0 offset:336
	buffer_load_dword v90, off, s[0:3], 0 offset:340
	;; [unrolled: 1-line block ×4, first 2 shown]
	s_branch .LBB125_286
.LBB125_289:
	s_or_b32 exec_lo, exec_lo, s5
	s_mov_b32 s6, exec_lo
	s_waitcnt vmcnt(0) lgkmcnt(0)
	s_waitcnt_vscnt null, 0x0
	s_barrier
	buffer_gl0_inv
	v_cmpx_eq_u32_e32 22, v0
	s_cbranch_execz .LBB125_298
; %bb.290:
	v_mov_b32_e32 v4, s56
	s_movk_i32 s5, 0x170
	s_clause 0x3
	buffer_load_dword v1, v4, s[0:3], 0 offen
	buffer_load_dword v2, v4, s[0:3], 0 offen offset:4
	buffer_load_dword v3, v4, s[0:3], 0 offen offset:8
	;; [unrolled: 1-line block ×3, first 2 shown]
	s_waitcnt vmcnt(0)
	ds_write2_b64 v255, v[1:2], v[3:4] offset1:1
.LBB125_291:                            ; =>This Inner Loop Header: Depth=1
	v_mov_b32_e32 v5, s5
	v_add_nc_u32_e32 v6, s5, v249
	s_addk_i32 s5, 0xa0
	s_clause 0xf
	buffer_load_dword v1, v5, s[0:3], 0 offen
	buffer_load_dword v2, v5, s[0:3], 0 offen offset:4
	buffer_load_dword v3, v5, s[0:3], 0 offen offset:8
	;; [unrolled: 1-line block ×15, first 2 shown]
	s_cmpk_lg_i32 s5, 0x3f0
	s_waitcnt vmcnt(12)
	ds_write2_b64 v6, v[1:2], v[3:4] offset1:1
	s_waitcnt vmcnt(8)
	ds_write2_b64 v6, v[89:90], v[91:92] offset0:2 offset1:3
	s_waitcnt vmcnt(4)
	ds_write2_b64 v6, v[93:94], v[95:96] offset0:4 offset1:5
	;; [unrolled: 2-line block ×3, first 2 shown]
	s_clause 0x3
	buffer_load_dword v2, v5, s[0:3], 0 offen offset:76
	buffer_load_dword v1, v5, s[0:3], 0 offen offset:72
	buffer_load_dword v4, v5, s[0:3], 0 offen offset:68
	buffer_load_dword v3, v5, s[0:3], 0 offen offset:64
	s_waitcnt vmcnt(0)
	ds_write2_b64 v6, v[3:4], v[1:2] offset0:8 offset1:9
	s_clause 0x3
	buffer_load_dword v2, v5, s[0:3], 0 offen offset:92
	buffer_load_dword v1, v5, s[0:3], 0 offen offset:88
	buffer_load_dword v4, v5, s[0:3], 0 offen offset:84
	buffer_load_dword v3, v5, s[0:3], 0 offen offset:80
	s_waitcnt vmcnt(0)
	ds_write2_b64 v6, v[3:4], v[1:2] offset0:10 offset1:11
	s_clause 0x3
	buffer_load_dword v2, v5, s[0:3], 0 offen offset:108
	buffer_load_dword v1, v5, s[0:3], 0 offen offset:104
	buffer_load_dword v4, v5, s[0:3], 0 offen offset:100
	buffer_load_dword v3, v5, s[0:3], 0 offen offset:96
	s_waitcnt vmcnt(0)
	ds_write2_b64 v6, v[3:4], v[1:2] offset0:12 offset1:13
	s_clause 0x3
	buffer_load_dword v2, v5, s[0:3], 0 offen offset:124
	buffer_load_dword v1, v5, s[0:3], 0 offen offset:120
	buffer_load_dword v4, v5, s[0:3], 0 offen offset:116
	buffer_load_dword v3, v5, s[0:3], 0 offen offset:112
	s_waitcnt vmcnt(0)
	ds_write2_b64 v6, v[3:4], v[1:2] offset0:14 offset1:15
	s_clause 0x3
	buffer_load_dword v1, v5, s[0:3], 0 offen offset:128
	buffer_load_dword v2, v5, s[0:3], 0 offen offset:132
	buffer_load_dword v3, v5, s[0:3], 0 offen offset:136
	buffer_load_dword v4, v5, s[0:3], 0 offen offset:140
	s_waitcnt vmcnt(0)
	ds_write2_b64 v6, v[1:2], v[3:4] offset0:16 offset1:17
	s_clause 0x3
	buffer_load_dword v1, v5, s[0:3], 0 offen offset:144
	buffer_load_dword v2, v5, s[0:3], 0 offen offset:148
	buffer_load_dword v3, v5, s[0:3], 0 offen offset:152
	buffer_load_dword v4, v5, s[0:3], 0 offen offset:156
	s_waitcnt vmcnt(0)
	ds_write2_b64 v6, v[1:2], v[3:4] offset0:18 offset1:19
	s_cbranch_scc1 .LBB125_291
; %bb.292:
	ds_read2_b64 v[89:92], v255 offset1:1
	s_waitcnt lgkmcnt(0)
	v_cmp_neq_f64_e32 vcc_lo, 0, v[89:90]
	v_cmp_neq_f64_e64 s5, 0, v[91:92]
	s_or_b32 s5, vcc_lo, s5
	s_and_b32 exec_lo, exec_lo, s5
	s_cbranch_execz .LBB125_298
; %bb.293:
	v_cmp_ngt_f64_e64 s5, |v[89:90]|, |v[91:92]|
                                        ; implicit-def: $vgpr1_vgpr2
	s_and_saveexec_b32 s7, s5
	s_xor_b32 s5, exec_lo, s7
                                        ; implicit-def: $vgpr3_vgpr4
	s_cbranch_execz .LBB125_295
; %bb.294:
	v_div_scale_f64 v[1:2], null, v[91:92], v[91:92], v[89:90]
	v_div_scale_f64 v[95:96], vcc_lo, v[89:90], v[91:92], v[89:90]
	v_rcp_f64_e32 v[3:4], v[1:2]
	v_fma_f64 v[93:94], -v[1:2], v[3:4], 1.0
	v_fma_f64 v[3:4], v[3:4], v[93:94], v[3:4]
	v_fma_f64 v[93:94], -v[1:2], v[3:4], 1.0
	v_fma_f64 v[3:4], v[3:4], v[93:94], v[3:4]
	v_mul_f64 v[93:94], v[95:96], v[3:4]
	v_fma_f64 v[1:2], -v[1:2], v[93:94], v[95:96]
	v_div_fmas_f64 v[1:2], v[1:2], v[3:4], v[93:94]
	v_div_fixup_f64 v[1:2], v[1:2], v[91:92], v[89:90]
	v_fma_f64 v[3:4], v[89:90], v[1:2], v[91:92]
	v_div_scale_f64 v[89:90], null, v[3:4], v[3:4], 1.0
	v_rcp_f64_e32 v[91:92], v[89:90]
	v_fma_f64 v[93:94], -v[89:90], v[91:92], 1.0
	v_fma_f64 v[91:92], v[91:92], v[93:94], v[91:92]
	v_fma_f64 v[93:94], -v[89:90], v[91:92], 1.0
	v_fma_f64 v[91:92], v[91:92], v[93:94], v[91:92]
	v_div_scale_f64 v[93:94], vcc_lo, 1.0, v[3:4], 1.0
	v_mul_f64 v[95:96], v[93:94], v[91:92]
	v_fma_f64 v[89:90], -v[89:90], v[95:96], v[93:94]
	v_div_fmas_f64 v[89:90], v[89:90], v[91:92], v[95:96]
	v_div_fixup_f64 v[3:4], v[89:90], v[3:4], 1.0
                                        ; implicit-def: $vgpr89_vgpr90
	v_mul_f64 v[1:2], v[1:2], v[3:4]
	v_xor_b32_e32 v4, 0x80000000, v4
.LBB125_295:
	s_andn2_saveexec_b32 s5, s5
	s_cbranch_execz .LBB125_297
; %bb.296:
	v_div_scale_f64 v[1:2], null, v[89:90], v[89:90], v[91:92]
	v_div_scale_f64 v[95:96], vcc_lo, v[91:92], v[89:90], v[91:92]
	v_rcp_f64_e32 v[3:4], v[1:2]
	v_fma_f64 v[93:94], -v[1:2], v[3:4], 1.0
	v_fma_f64 v[3:4], v[3:4], v[93:94], v[3:4]
	v_fma_f64 v[93:94], -v[1:2], v[3:4], 1.0
	v_fma_f64 v[3:4], v[3:4], v[93:94], v[3:4]
	v_mul_f64 v[93:94], v[95:96], v[3:4]
	v_fma_f64 v[1:2], -v[1:2], v[93:94], v[95:96]
	v_div_fmas_f64 v[1:2], v[1:2], v[3:4], v[93:94]
	v_div_fixup_f64 v[3:4], v[1:2], v[89:90], v[91:92]
	v_fma_f64 v[1:2], v[91:92], v[3:4], v[89:90]
	v_div_scale_f64 v[89:90], null, v[1:2], v[1:2], 1.0
	v_rcp_f64_e32 v[91:92], v[89:90]
	v_fma_f64 v[93:94], -v[89:90], v[91:92], 1.0
	v_fma_f64 v[91:92], v[91:92], v[93:94], v[91:92]
	v_fma_f64 v[93:94], -v[89:90], v[91:92], 1.0
	v_fma_f64 v[91:92], v[91:92], v[93:94], v[91:92]
	v_div_scale_f64 v[93:94], vcc_lo, 1.0, v[1:2], 1.0
	v_mul_f64 v[95:96], v[93:94], v[91:92]
	v_fma_f64 v[89:90], -v[89:90], v[95:96], v[93:94]
	v_div_fmas_f64 v[89:90], v[89:90], v[91:92], v[95:96]
	v_div_fixup_f64 v[1:2], v[89:90], v[1:2], 1.0
	v_mul_f64 v[3:4], v[3:4], -v[1:2]
.LBB125_297:
	s_or_b32 exec_lo, exec_lo, s5
	ds_write2_b64 v255, v[1:2], v[3:4] offset1:1
.LBB125_298:
	s_or_b32 exec_lo, exec_lo, s6
	s_waitcnt lgkmcnt(0)
	s_barrier
	buffer_gl0_inv
	ds_read2_b64 v[89:92], v255 offset1:1
	s_mov_b32 s5, exec_lo
	v_cmpx_lt_u32_e32 22, v0
	s_cbranch_execz .LBB125_301
; %bb.299:
	s_clause 0x3
	buffer_load_dword v1, off, s[0:3], 0 offset:360
	buffer_load_dword v2, off, s[0:3], 0 offset:364
	;; [unrolled: 1-line block ×4, first 2 shown]
	s_movk_i32 s6, 0x170
	s_waitcnt vmcnt(2) lgkmcnt(0)
	v_mul_f64 v[93:94], v[91:92], v[1:2]
	v_mul_f64 v[1:2], v[89:90], v[1:2]
	s_waitcnt vmcnt(0)
	v_fma_f64 v[93:94], v[89:90], v[3:4], -v[93:94]
	v_fma_f64 v[1:2], v[91:92], v[3:4], v[1:2]
	buffer_store_dword v93, off, s[0:3], 0 offset:352
	buffer_store_dword v94, off, s[0:3], 0 offset:356
	;; [unrolled: 1-line block ×4, first 2 shown]
.LBB125_300:                            ; =>This Inner Loop Header: Depth=1
	s_clause 0x3
	buffer_load_dword v97, off, s[0:3], 0 offset:360
	buffer_load_dword v98, off, s[0:3], 0 offset:364
	buffer_load_dword v99, off, s[0:3], 0 offset:352
	buffer_load_dword v100, off, s[0:3], 0 offset:356
	v_mov_b32_e32 v5, s6
	v_add_nc_u32_e32 v6, s6, v249
	s_addk_i32 s6, 0x50
	s_clause 0x3
	buffer_load_dword v101, v5, s[0:3], 0 offen
	buffer_load_dword v102, v5, s[0:3], 0 offen offset:4
	buffer_load_dword v103, v5, s[0:3], 0 offen offset:8
	;; [unrolled: 1-line block ×3, first 2 shown]
	ds_read2_b64 v[1:4], v6 offset1:1
	ds_read2_b64 v[93:96], v6 offset0:2 offset1:3
	s_cmpk_lg_i32 s6, 0x3f0
	s_waitcnt vmcnt(6) lgkmcnt(1)
	v_mul_f64 v[105:106], v[3:4], v[97:98]
	v_mul_f64 v[97:98], v[1:2], v[97:98]
	s_waitcnt vmcnt(4)
	v_fma_f64 v[1:2], v[1:2], v[99:100], -v[105:106]
	v_fma_f64 v[3:4], v[3:4], v[99:100], v[97:98]
	s_clause 0x3
	buffer_load_dword v97, v5, s[0:3], 0 offen offset:16
	buffer_load_dword v98, v5, s[0:3], 0 offen offset:20
	buffer_load_dword v99, v5, s[0:3], 0 offen offset:24
	buffer_load_dword v100, v5, s[0:3], 0 offen offset:28
	s_waitcnt vmcnt(6)
	v_add_f64 v[1:2], v[101:102], -v[1:2]
	s_waitcnt vmcnt(4)
	v_add_f64 v[3:4], v[103:104], -v[3:4]
	buffer_store_dword v2, v5, s[0:3], 0 offen offset:4
	buffer_store_dword v1, v5, s[0:3], 0 offen
	buffer_store_dword v4, v5, s[0:3], 0 offen offset:12
	buffer_store_dword v3, v5, s[0:3], 0 offen offset:8
	s_clause 0x3
	buffer_load_dword v2, off, s[0:3], 0 offset:364
	buffer_load_dword v1, off, s[0:3], 0 offset:360
	;; [unrolled: 1-line block ×4, first 2 shown]
	s_waitcnt vmcnt(2) lgkmcnt(0)
	v_mul_f64 v[101:102], v[95:96], v[1:2]
	v_mul_f64 v[1:2], v[93:94], v[1:2]
	s_waitcnt vmcnt(0)
	v_fma_f64 v[93:94], v[93:94], v[3:4], -v[101:102]
	v_fma_f64 v[1:2], v[95:96], v[3:4], v[1:2]
	v_add_f64 v[3:4], v[97:98], -v[93:94]
	v_add_f64 v[1:2], v[99:100], -v[1:2]
	s_clause 0x3
	buffer_load_dword v97, v5, s[0:3], 0 offen offset:32
	buffer_load_dword v98, v5, s[0:3], 0 offen offset:36
	;; [unrolled: 1-line block ×4, first 2 shown]
	buffer_store_dword v4, v5, s[0:3], 0 offen offset:20
	buffer_store_dword v3, v5, s[0:3], 0 offen offset:16
	;; [unrolled: 1-line block ×4, first 2 shown]
	s_clause 0x3
	buffer_load_dword v101, off, s[0:3], 0 offset:360
	buffer_load_dword v102, off, s[0:3], 0 offset:364
	;; [unrolled: 1-line block ×4, first 2 shown]
	ds_read2_b64 v[1:4], v6 offset0:4 offset1:5
	ds_read2_b64 v[93:96], v6 offset0:6 offset1:7
	s_waitcnt vmcnt(2) lgkmcnt(1)
	v_mul_f64 v[105:106], v[3:4], v[101:102]
	v_mul_f64 v[101:102], v[1:2], v[101:102]
	s_waitcnt vmcnt(0)
	v_fma_f64 v[1:2], v[1:2], v[103:104], -v[105:106]
	v_fma_f64 v[3:4], v[3:4], v[103:104], v[101:102]
	v_add_f64 v[1:2], v[97:98], -v[1:2]
	v_add_f64 v[3:4], v[99:100], -v[3:4]
	buffer_store_dword v2, v5, s[0:3], 0 offen offset:36
	buffer_store_dword v1, v5, s[0:3], 0 offen offset:32
	buffer_store_dword v4, v5, s[0:3], 0 offen offset:44
	buffer_store_dword v3, v5, s[0:3], 0 offen offset:40
	s_clause 0x7
	buffer_load_dword v1, off, s[0:3], 0 offset:360
	buffer_load_dword v2, off, s[0:3], 0 offset:364
	;; [unrolled: 1-line block ×4, first 2 shown]
	buffer_load_dword v97, v5, s[0:3], 0 offen offset:48
	buffer_load_dword v98, v5, s[0:3], 0 offen offset:52
	;; [unrolled: 1-line block ×4, first 2 shown]
	s_waitcnt vmcnt(6) lgkmcnt(0)
	v_mul_f64 v[101:102], v[95:96], v[1:2]
	v_mul_f64 v[1:2], v[93:94], v[1:2]
	s_waitcnt vmcnt(4)
	v_fma_f64 v[93:94], v[93:94], v[3:4], -v[101:102]
	v_fma_f64 v[1:2], v[95:96], v[3:4], v[1:2]
	s_waitcnt vmcnt(2)
	v_add_f64 v[3:4], v[97:98], -v[93:94]
	s_waitcnt vmcnt(0)
	v_add_f64 v[1:2], v[99:100], -v[1:2]
	buffer_store_dword v4, v5, s[0:3], 0 offen offset:52
	buffer_store_dword v3, v5, s[0:3], 0 offen offset:48
	;; [unrolled: 1-line block ×4, first 2 shown]
	s_clause 0x7
	buffer_load_dword v93, off, s[0:3], 0 offset:360
	buffer_load_dword v94, off, s[0:3], 0 offset:364
	;; [unrolled: 1-line block ×4, first 2 shown]
	buffer_load_dword v97, v5, s[0:3], 0 offen offset:64
	buffer_load_dword v98, v5, s[0:3], 0 offen offset:68
	;; [unrolled: 1-line block ×4, first 2 shown]
	ds_read2_b64 v[1:4], v6 offset0:8 offset1:9
	s_waitcnt vmcnt(6) lgkmcnt(0)
	v_mul_f64 v[101:102], v[3:4], v[93:94]
	v_mul_f64 v[93:94], v[1:2], v[93:94]
	s_waitcnt vmcnt(4)
	v_fma_f64 v[1:2], v[1:2], v[95:96], -v[101:102]
	v_fma_f64 v[3:4], v[3:4], v[95:96], v[93:94]
	s_waitcnt vmcnt(2)
	v_add_f64 v[1:2], v[97:98], -v[1:2]
	s_waitcnt vmcnt(0)
	v_add_f64 v[3:4], v[99:100], -v[3:4]
	buffer_store_dword v2, v5, s[0:3], 0 offen offset:68
	buffer_store_dword v1, v5, s[0:3], 0 offen offset:64
	;; [unrolled: 1-line block ×4, first 2 shown]
	s_cbranch_scc1 .LBB125_300
.LBB125_301:
	s_or_b32 exec_lo, exec_lo, s5
	s_mov_b32 s6, exec_lo
	s_waitcnt lgkmcnt(0)
	s_waitcnt_vscnt null, 0x0
	s_barrier
	buffer_gl0_inv
	v_cmpx_eq_u32_e32 23, v0
	s_cbranch_execz .LBB125_310
; %bb.302:
	v_mov_b32_e32 v4, s55
	s_movk_i32 s5, 0x180
	s_clause 0x3
	buffer_load_dword v1, v4, s[0:3], 0 offen
	buffer_load_dword v2, v4, s[0:3], 0 offen offset:4
	buffer_load_dword v3, v4, s[0:3], 0 offen offset:8
	buffer_load_dword v4, v4, s[0:3], 0 offen offset:12
	s_waitcnt vmcnt(0)
	ds_write2_b64 v255, v[1:2], v[3:4] offset1:1
.LBB125_303:                            ; =>This Inner Loop Header: Depth=1
	v_mov_b32_e32 v5, s5
	v_add_nc_u32_e32 v6, s5, v249
	s_addk_i32 s5, 0xd0
	s_clause 0xf
	buffer_load_dword v1, v5, s[0:3], 0 offen
	buffer_load_dword v2, v5, s[0:3], 0 offen offset:4
	buffer_load_dword v3, v5, s[0:3], 0 offen offset:8
	;; [unrolled: 1-line block ×15, first 2 shown]
	s_cmpk_lg_i32 s5, 0x3f0
	s_waitcnt vmcnt(12)
	ds_write2_b64 v6, v[1:2], v[3:4] offset1:1
	s_waitcnt vmcnt(8)
	ds_write2_b64 v6, v[93:94], v[95:96] offset0:2 offset1:3
	s_waitcnt vmcnt(4)
	ds_write2_b64 v6, v[97:98], v[99:100] offset0:4 offset1:5
	;; [unrolled: 2-line block ×3, first 2 shown]
	s_clause 0x3
	buffer_load_dword v2, v5, s[0:3], 0 offen offset:76
	buffer_load_dword v1, v5, s[0:3], 0 offen offset:72
	buffer_load_dword v4, v5, s[0:3], 0 offen offset:68
	buffer_load_dword v3, v5, s[0:3], 0 offen offset:64
	s_waitcnt vmcnt(0)
	ds_write2_b64 v6, v[3:4], v[1:2] offset0:8 offset1:9
	s_clause 0x3
	buffer_load_dword v2, v5, s[0:3], 0 offen offset:92
	buffer_load_dword v1, v5, s[0:3], 0 offen offset:88
	buffer_load_dword v4, v5, s[0:3], 0 offen offset:84
	buffer_load_dword v3, v5, s[0:3], 0 offen offset:80
	s_waitcnt vmcnt(0)
	ds_write2_b64 v6, v[3:4], v[1:2] offset0:10 offset1:11
	;; [unrolled: 7-line block ×9, first 2 shown]
	s_cbranch_scc1 .LBB125_303
; %bb.304:
	ds_read2_b64 v[93:96], v255 offset1:1
	s_waitcnt lgkmcnt(0)
	v_cmp_neq_f64_e32 vcc_lo, 0, v[93:94]
	v_cmp_neq_f64_e64 s5, 0, v[95:96]
	s_or_b32 s5, vcc_lo, s5
	s_and_b32 exec_lo, exec_lo, s5
	s_cbranch_execz .LBB125_310
; %bb.305:
	v_cmp_ngt_f64_e64 s5, |v[93:94]|, |v[95:96]|
                                        ; implicit-def: $vgpr1_vgpr2
	s_and_saveexec_b32 s7, s5
	s_xor_b32 s5, exec_lo, s7
                                        ; implicit-def: $vgpr3_vgpr4
	s_cbranch_execz .LBB125_307
; %bb.306:
	v_div_scale_f64 v[1:2], null, v[95:96], v[95:96], v[93:94]
	v_div_scale_f64 v[99:100], vcc_lo, v[93:94], v[95:96], v[93:94]
	v_rcp_f64_e32 v[3:4], v[1:2]
	v_fma_f64 v[97:98], -v[1:2], v[3:4], 1.0
	v_fma_f64 v[3:4], v[3:4], v[97:98], v[3:4]
	v_fma_f64 v[97:98], -v[1:2], v[3:4], 1.0
	v_fma_f64 v[3:4], v[3:4], v[97:98], v[3:4]
	v_mul_f64 v[97:98], v[99:100], v[3:4]
	v_fma_f64 v[1:2], -v[1:2], v[97:98], v[99:100]
	v_div_fmas_f64 v[1:2], v[1:2], v[3:4], v[97:98]
	v_div_fixup_f64 v[1:2], v[1:2], v[95:96], v[93:94]
	v_fma_f64 v[3:4], v[93:94], v[1:2], v[95:96]
	v_div_scale_f64 v[93:94], null, v[3:4], v[3:4], 1.0
	v_rcp_f64_e32 v[95:96], v[93:94]
	v_fma_f64 v[97:98], -v[93:94], v[95:96], 1.0
	v_fma_f64 v[95:96], v[95:96], v[97:98], v[95:96]
	v_fma_f64 v[97:98], -v[93:94], v[95:96], 1.0
	v_fma_f64 v[95:96], v[95:96], v[97:98], v[95:96]
	v_div_scale_f64 v[97:98], vcc_lo, 1.0, v[3:4], 1.0
	v_mul_f64 v[99:100], v[97:98], v[95:96]
	v_fma_f64 v[93:94], -v[93:94], v[99:100], v[97:98]
	v_div_fmas_f64 v[93:94], v[93:94], v[95:96], v[99:100]
	v_div_fixup_f64 v[3:4], v[93:94], v[3:4], 1.0
                                        ; implicit-def: $vgpr93_vgpr94
	v_mul_f64 v[1:2], v[1:2], v[3:4]
	v_xor_b32_e32 v4, 0x80000000, v4
.LBB125_307:
	s_andn2_saveexec_b32 s5, s5
	s_cbranch_execz .LBB125_309
; %bb.308:
	v_div_scale_f64 v[1:2], null, v[93:94], v[93:94], v[95:96]
	v_div_scale_f64 v[99:100], vcc_lo, v[95:96], v[93:94], v[95:96]
	v_rcp_f64_e32 v[3:4], v[1:2]
	v_fma_f64 v[97:98], -v[1:2], v[3:4], 1.0
	v_fma_f64 v[3:4], v[3:4], v[97:98], v[3:4]
	v_fma_f64 v[97:98], -v[1:2], v[3:4], 1.0
	v_fma_f64 v[3:4], v[3:4], v[97:98], v[3:4]
	v_mul_f64 v[97:98], v[99:100], v[3:4]
	v_fma_f64 v[1:2], -v[1:2], v[97:98], v[99:100]
	v_div_fmas_f64 v[1:2], v[1:2], v[3:4], v[97:98]
	v_div_fixup_f64 v[3:4], v[1:2], v[93:94], v[95:96]
	v_fma_f64 v[1:2], v[95:96], v[3:4], v[93:94]
	v_div_scale_f64 v[93:94], null, v[1:2], v[1:2], 1.0
	v_rcp_f64_e32 v[95:96], v[93:94]
	v_fma_f64 v[97:98], -v[93:94], v[95:96], 1.0
	v_fma_f64 v[95:96], v[95:96], v[97:98], v[95:96]
	v_fma_f64 v[97:98], -v[93:94], v[95:96], 1.0
	v_fma_f64 v[95:96], v[95:96], v[97:98], v[95:96]
	v_div_scale_f64 v[97:98], vcc_lo, 1.0, v[1:2], 1.0
	v_mul_f64 v[99:100], v[97:98], v[95:96]
	v_fma_f64 v[93:94], -v[93:94], v[99:100], v[97:98]
	v_div_fmas_f64 v[93:94], v[93:94], v[95:96], v[99:100]
	v_div_fixup_f64 v[1:2], v[93:94], v[1:2], 1.0
	v_mul_f64 v[3:4], v[3:4], -v[1:2]
.LBB125_309:
	s_or_b32 exec_lo, exec_lo, s5
	ds_write2_b64 v255, v[1:2], v[3:4] offset1:1
.LBB125_310:
	s_or_b32 exec_lo, exec_lo, s6
	s_waitcnt lgkmcnt(0)
	s_barrier
	buffer_gl0_inv
	ds_read2_b64 v[93:96], v255 offset1:1
	s_mov_b32 s5, exec_lo
	v_cmpx_lt_u32_e32 23, v0
	s_cbranch_execz .LBB125_313
; %bb.311:
	s_clause 0x3
	buffer_load_dword v1, off, s[0:3], 0 offset:376
	buffer_load_dword v2, off, s[0:3], 0 offset:380
	;; [unrolled: 1-line block ×4, first 2 shown]
	s_movk_i32 s6, 0x180
	s_waitcnt vmcnt(2) lgkmcnt(0)
	v_mul_f64 v[97:98], v[95:96], v[1:2]
	v_mul_f64 v[1:2], v[93:94], v[1:2]
	s_waitcnt vmcnt(0)
	v_fma_f64 v[97:98], v[93:94], v[3:4], -v[97:98]
	v_fma_f64 v[1:2], v[95:96], v[3:4], v[1:2]
	buffer_store_dword v97, off, s[0:3], 0 offset:368
	buffer_store_dword v98, off, s[0:3], 0 offset:372
	;; [unrolled: 1-line block ×4, first 2 shown]
.LBB125_312:                            ; =>This Inner Loop Header: Depth=1
	s_clause 0x3
	buffer_load_dword v101, off, s[0:3], 0 offset:376
	buffer_load_dword v102, off, s[0:3], 0 offset:380
	;; [unrolled: 1-line block ×4, first 2 shown]
	v_mov_b32_e32 v5, s6
	v_add_nc_u32_e32 v6, s6, v249
	s_add_i32 s6, s6, 48
	s_clause 0x3
	buffer_load_dword v105, v5, s[0:3], 0 offen
	buffer_load_dword v106, v5, s[0:3], 0 offen offset:4
	buffer_load_dword v107, v5, s[0:3], 0 offen offset:8
	;; [unrolled: 1-line block ×3, first 2 shown]
	ds_read2_b64 v[1:4], v6 offset1:1
	ds_read2_b64 v[97:100], v6 offset0:2 offset1:3
	s_cmpk_lg_i32 s6, 0x3f0
	s_waitcnt vmcnt(6) lgkmcnt(1)
	v_mul_f64 v[109:110], v[3:4], v[101:102]
	v_mul_f64 v[101:102], v[1:2], v[101:102]
	s_waitcnt vmcnt(4)
	v_fma_f64 v[1:2], v[1:2], v[103:104], -v[109:110]
	v_fma_f64 v[3:4], v[3:4], v[103:104], v[101:102]
	s_clause 0x3
	buffer_load_dword v101, v5, s[0:3], 0 offen offset:16
	buffer_load_dword v102, v5, s[0:3], 0 offen offset:20
	;; [unrolled: 1-line block ×4, first 2 shown]
	s_waitcnt vmcnt(6)
	v_add_f64 v[1:2], v[105:106], -v[1:2]
	s_waitcnt vmcnt(4)
	v_add_f64 v[3:4], v[107:108], -v[3:4]
	buffer_store_dword v2, v5, s[0:3], 0 offen offset:4
	buffer_store_dword v1, v5, s[0:3], 0 offen
	buffer_store_dword v4, v5, s[0:3], 0 offen offset:12
	buffer_store_dword v3, v5, s[0:3], 0 offen offset:8
	s_clause 0x3
	buffer_load_dword v2, off, s[0:3], 0 offset:380
	buffer_load_dword v1, off, s[0:3], 0 offset:376
	;; [unrolled: 1-line block ×4, first 2 shown]
	s_waitcnt vmcnt(2) lgkmcnt(0)
	v_mul_f64 v[105:106], v[99:100], v[1:2]
	v_mul_f64 v[1:2], v[97:98], v[1:2]
	s_waitcnt vmcnt(0)
	v_fma_f64 v[97:98], v[97:98], v[3:4], -v[105:106]
	v_fma_f64 v[1:2], v[99:100], v[3:4], v[1:2]
	v_add_f64 v[3:4], v[101:102], -v[97:98]
	v_add_f64 v[1:2], v[103:104], -v[1:2]
	s_clause 0x3
	buffer_load_dword v97, v5, s[0:3], 0 offen offset:32
	buffer_load_dword v98, v5, s[0:3], 0 offen offset:36
	;; [unrolled: 1-line block ×4, first 2 shown]
	buffer_store_dword v4, v5, s[0:3], 0 offen offset:20
	buffer_store_dword v3, v5, s[0:3], 0 offen offset:16
	;; [unrolled: 1-line block ×4, first 2 shown]
	s_clause 0x3
	buffer_load_dword v101, off, s[0:3], 0 offset:376
	buffer_load_dword v102, off, s[0:3], 0 offset:380
	;; [unrolled: 1-line block ×4, first 2 shown]
	ds_read2_b64 v[1:4], v6 offset0:4 offset1:5
	s_waitcnt vmcnt(2) lgkmcnt(0)
	v_mul_f64 v[105:106], v[3:4], v[101:102]
	v_mul_f64 v[101:102], v[1:2], v[101:102]
	s_waitcnt vmcnt(0)
	v_fma_f64 v[1:2], v[1:2], v[103:104], -v[105:106]
	v_fma_f64 v[3:4], v[3:4], v[103:104], v[101:102]
	v_add_f64 v[1:2], v[97:98], -v[1:2]
	v_add_f64 v[3:4], v[99:100], -v[3:4]
	buffer_store_dword v2, v5, s[0:3], 0 offen offset:36
	buffer_store_dword v1, v5, s[0:3], 0 offen offset:32
	;; [unrolled: 1-line block ×4, first 2 shown]
	s_cbranch_scc1 .LBB125_312
.LBB125_313:
	s_or_b32 exec_lo, exec_lo, s5
	s_mov_b32 s6, exec_lo
	s_waitcnt lgkmcnt(0)
	s_waitcnt_vscnt null, 0x0
	s_barrier
	buffer_gl0_inv
	v_cmpx_eq_u32_e32 24, v0
	s_cbranch_execz .LBB125_322
; %bb.314:
	v_mov_b32_e32 v4, s54
	s_movk_i32 s5, 0x190
	s_clause 0x3
	buffer_load_dword v1, v4, s[0:3], 0 offen
	buffer_load_dword v2, v4, s[0:3], 0 offen offset:4
	buffer_load_dword v3, v4, s[0:3], 0 offen offset:8
	;; [unrolled: 1-line block ×3, first 2 shown]
	s_waitcnt vmcnt(0)
	ds_write2_b64 v255, v[1:2], v[3:4] offset1:1
	.p2align	6
.LBB125_315:                            ; =>This Inner Loop Header: Depth=1
	v_mov_b32_e32 v5, s5
	s_clause 0x7
	buffer_load_dword v1, v5, s[0:3], 0 offen
	buffer_load_dword v2, v5, s[0:3], 0 offen offset:4
	buffer_load_dword v3, v5, s[0:3], 0 offen offset:8
	;; [unrolled: 1-line block ×7, first 2 shown]
	v_add_nc_u32_e32 v5, s5, v249
	s_add_i32 s5, s5, 32
	s_waitcnt vmcnt(4)
	ds_write2_b64 v5, v[1:2], v[3:4] offset1:1
	s_waitcnt vmcnt(0)
	ds_write2_b64 v5, v[97:98], v[99:100] offset0:2 offset1:3
	s_cmpk_lg_i32 s5, 0x3f0
	s_cbranch_scc1 .LBB125_315
; %bb.316:
	ds_read2_b64 v[97:100], v255 offset1:1
	s_waitcnt lgkmcnt(0)
	v_cmp_neq_f64_e32 vcc_lo, 0, v[97:98]
	v_cmp_neq_f64_e64 s5, 0, v[99:100]
	s_or_b32 s5, vcc_lo, s5
	s_and_b32 exec_lo, exec_lo, s5
	s_cbranch_execz .LBB125_322
; %bb.317:
	v_cmp_ngt_f64_e64 s5, |v[97:98]|, |v[99:100]|
                                        ; implicit-def: $vgpr1_vgpr2
	s_and_saveexec_b32 s7, s5
	s_xor_b32 s5, exec_lo, s7
                                        ; implicit-def: $vgpr3_vgpr4
	s_cbranch_execz .LBB125_319
; %bb.318:
	v_div_scale_f64 v[1:2], null, v[99:100], v[99:100], v[97:98]
	v_div_scale_f64 v[103:104], vcc_lo, v[97:98], v[99:100], v[97:98]
	v_rcp_f64_e32 v[3:4], v[1:2]
	v_fma_f64 v[101:102], -v[1:2], v[3:4], 1.0
	v_fma_f64 v[3:4], v[3:4], v[101:102], v[3:4]
	v_fma_f64 v[101:102], -v[1:2], v[3:4], 1.0
	v_fma_f64 v[3:4], v[3:4], v[101:102], v[3:4]
	v_mul_f64 v[101:102], v[103:104], v[3:4]
	v_fma_f64 v[1:2], -v[1:2], v[101:102], v[103:104]
	v_div_fmas_f64 v[1:2], v[1:2], v[3:4], v[101:102]
	v_div_fixup_f64 v[1:2], v[1:2], v[99:100], v[97:98]
	v_fma_f64 v[3:4], v[97:98], v[1:2], v[99:100]
	v_div_scale_f64 v[97:98], null, v[3:4], v[3:4], 1.0
	v_rcp_f64_e32 v[99:100], v[97:98]
	v_fma_f64 v[101:102], -v[97:98], v[99:100], 1.0
	v_fma_f64 v[99:100], v[99:100], v[101:102], v[99:100]
	v_fma_f64 v[101:102], -v[97:98], v[99:100], 1.0
	v_fma_f64 v[99:100], v[99:100], v[101:102], v[99:100]
	v_div_scale_f64 v[101:102], vcc_lo, 1.0, v[3:4], 1.0
	v_mul_f64 v[103:104], v[101:102], v[99:100]
	v_fma_f64 v[97:98], -v[97:98], v[103:104], v[101:102]
	v_div_fmas_f64 v[97:98], v[97:98], v[99:100], v[103:104]
	v_div_fixup_f64 v[3:4], v[97:98], v[3:4], 1.0
                                        ; implicit-def: $vgpr97_vgpr98
	v_mul_f64 v[1:2], v[1:2], v[3:4]
	v_xor_b32_e32 v4, 0x80000000, v4
.LBB125_319:
	s_andn2_saveexec_b32 s5, s5
	s_cbranch_execz .LBB125_321
; %bb.320:
	v_div_scale_f64 v[1:2], null, v[97:98], v[97:98], v[99:100]
	v_div_scale_f64 v[103:104], vcc_lo, v[99:100], v[97:98], v[99:100]
	v_rcp_f64_e32 v[3:4], v[1:2]
	v_fma_f64 v[101:102], -v[1:2], v[3:4], 1.0
	v_fma_f64 v[3:4], v[3:4], v[101:102], v[3:4]
	v_fma_f64 v[101:102], -v[1:2], v[3:4], 1.0
	v_fma_f64 v[3:4], v[3:4], v[101:102], v[3:4]
	v_mul_f64 v[101:102], v[103:104], v[3:4]
	v_fma_f64 v[1:2], -v[1:2], v[101:102], v[103:104]
	v_div_fmas_f64 v[1:2], v[1:2], v[3:4], v[101:102]
	v_div_fixup_f64 v[3:4], v[1:2], v[97:98], v[99:100]
	v_fma_f64 v[1:2], v[99:100], v[3:4], v[97:98]
	v_div_scale_f64 v[97:98], null, v[1:2], v[1:2], 1.0
	v_rcp_f64_e32 v[99:100], v[97:98]
	v_fma_f64 v[101:102], -v[97:98], v[99:100], 1.0
	v_fma_f64 v[99:100], v[99:100], v[101:102], v[99:100]
	v_fma_f64 v[101:102], -v[97:98], v[99:100], 1.0
	v_fma_f64 v[99:100], v[99:100], v[101:102], v[99:100]
	v_div_scale_f64 v[101:102], vcc_lo, 1.0, v[1:2], 1.0
	v_mul_f64 v[103:104], v[101:102], v[99:100]
	v_fma_f64 v[97:98], -v[97:98], v[103:104], v[101:102]
	v_div_fmas_f64 v[97:98], v[97:98], v[99:100], v[103:104]
	v_div_fixup_f64 v[1:2], v[97:98], v[1:2], 1.0
	v_mul_f64 v[3:4], v[3:4], -v[1:2]
.LBB125_321:
	s_or_b32 exec_lo, exec_lo, s5
	ds_write2_b64 v255, v[1:2], v[3:4] offset1:1
.LBB125_322:
	s_or_b32 exec_lo, exec_lo, s6
	s_waitcnt lgkmcnt(0)
	s_barrier
	buffer_gl0_inv
	ds_read2_b64 v[97:100], v255 offset1:1
	s_mov_b32 s5, exec_lo
	v_cmpx_lt_u32_e32 24, v0
	s_cbranch_execz .LBB125_325
; %bb.323:
	s_clause 0x3
	buffer_load_dword v1, off, s[0:3], 0 offset:392
	buffer_load_dword v2, off, s[0:3], 0 offset:396
	;; [unrolled: 1-line block ×4, first 2 shown]
	s_movk_i32 s6, 0x190
	s_waitcnt vmcnt(2) lgkmcnt(0)
	v_mul_f64 v[101:102], v[99:100], v[1:2]
	v_mul_f64 v[1:2], v[97:98], v[1:2]
	s_waitcnt vmcnt(0)
	v_fma_f64 v[101:102], v[97:98], v[3:4], -v[101:102]
	v_fma_f64 v[1:2], v[99:100], v[3:4], v[1:2]
	buffer_store_dword v101, off, s[0:3], 0 offset:384
	buffer_store_dword v102, off, s[0:3], 0 offset:388
	;; [unrolled: 1-line block ×4, first 2 shown]
.LBB125_324:                            ; =>This Inner Loop Header: Depth=1
	s_clause 0x3
	buffer_load_dword v105, off, s[0:3], 0 offset:392
	buffer_load_dword v106, off, s[0:3], 0 offset:396
	;; [unrolled: 1-line block ×4, first 2 shown]
	v_mov_b32_e32 v5, s6
	v_add_nc_u32_e32 v6, s6, v249
	s_add_i32 s6, s6, 32
	s_clause 0x3
	buffer_load_dword v109, v5, s[0:3], 0 offen
	buffer_load_dword v110, v5, s[0:3], 0 offen offset:4
	buffer_load_dword v111, v5, s[0:3], 0 offen offset:8
	buffer_load_dword v112, v5, s[0:3], 0 offen offset:12
	ds_read2_b64 v[1:4], v6 offset1:1
	ds_read2_b64 v[101:104], v6 offset0:2 offset1:3
	s_cmpk_lg_i32 s6, 0x3f0
	s_waitcnt vmcnt(6) lgkmcnt(1)
	v_mul_f64 v[113:114], v[3:4], v[105:106]
	v_mul_f64 v[105:106], v[1:2], v[105:106]
	s_waitcnt vmcnt(4)
	v_fma_f64 v[1:2], v[1:2], v[107:108], -v[113:114]
	v_fma_f64 v[3:4], v[3:4], v[107:108], v[105:106]
	s_clause 0x3
	buffer_load_dword v105, v5, s[0:3], 0 offen offset:16
	buffer_load_dword v106, v5, s[0:3], 0 offen offset:20
	;; [unrolled: 1-line block ×4, first 2 shown]
	s_waitcnt vmcnt(6)
	v_add_f64 v[1:2], v[109:110], -v[1:2]
	s_waitcnt vmcnt(4)
	v_add_f64 v[3:4], v[111:112], -v[3:4]
	buffer_store_dword v2, v5, s[0:3], 0 offen offset:4
	buffer_store_dword v1, v5, s[0:3], 0 offen
	buffer_store_dword v4, v5, s[0:3], 0 offen offset:12
	buffer_store_dword v3, v5, s[0:3], 0 offen offset:8
	s_clause 0x3
	buffer_load_dword v2, off, s[0:3], 0 offset:396
	buffer_load_dword v1, off, s[0:3], 0 offset:392
	;; [unrolled: 1-line block ×4, first 2 shown]
	s_waitcnt vmcnt(2) lgkmcnt(0)
	v_mul_f64 v[109:110], v[103:104], v[1:2]
	v_mul_f64 v[1:2], v[101:102], v[1:2]
	s_waitcnt vmcnt(0)
	v_fma_f64 v[101:102], v[101:102], v[3:4], -v[109:110]
	v_fma_f64 v[1:2], v[103:104], v[3:4], v[1:2]
	v_add_f64 v[3:4], v[105:106], -v[101:102]
	v_add_f64 v[1:2], v[107:108], -v[1:2]
	buffer_store_dword v4, v5, s[0:3], 0 offen offset:20
	buffer_store_dword v3, v5, s[0:3], 0 offen offset:16
	;; [unrolled: 1-line block ×4, first 2 shown]
	s_cbranch_scc1 .LBB125_324
.LBB125_325:
	s_or_b32 exec_lo, exec_lo, s5
	s_mov_b32 s6, exec_lo
	s_waitcnt lgkmcnt(0)
	s_waitcnt_vscnt null, 0x0
	s_barrier
	buffer_gl0_inv
	v_cmpx_eq_u32_e32 25, v0
	s_cbranch_execz .LBB125_336
; %bb.326:
	v_mov_b32_e32 v1, s53
	s_mov_b32 s5, 0
	s_clause 0x3
	buffer_load_dword v2, v1, s[0:3], 0 offen
	buffer_load_dword v3, v1, s[0:3], 0 offen offset:4
	buffer_load_dword v101, v1, s[0:3], 0 offen offset:8
	;; [unrolled: 1-line block ×3, first 2 shown]
	v_add3_u32 v1, v185, 0, 0x1a0
	s_waitcnt vmcnt(0)
	ds_write2_b64 v255, v[2:3], v[101:102] offset1:1
	s_branch .LBB125_328
.LBB125_327:                            ;   in Loop: Header=BB125_328 Depth=1
	s_andn2_b32 vcc_lo, exec_lo, s8
	s_cbranch_vccz .LBB125_330
.LBB125_328:                            ; =>This Inner Loop Header: Depth=1
	s_add_i32 s7, s52, s5
	s_mov_b32 s8, -1
	v_mov_b32_e32 v2, s7
	s_cmpk_eq_i32 s5, 0x200
	s_clause 0x13
	buffer_load_dword v3, v2, s[0:3], 0 offen
	buffer_load_dword v4, v2, s[0:3], 0 offen offset:4
	buffer_load_dword v101, v2, s[0:3], 0 offen offset:8
	;; [unrolled: 1-line block ×19, first 2 shown]
	v_add_nc_u32_e32 v2, s5, v1
	s_waitcnt vmcnt(16)
	ds_write2_b64 v2, v[3:4], v[101:102] offset1:1
	s_waitcnt vmcnt(12)
	ds_write2_b64 v2, v[103:104], v[105:106] offset0:2 offset1:3
	s_waitcnt vmcnt(8)
	ds_write2_b64 v2, v[107:108], v[109:110] offset0:4 offset1:5
	;; [unrolled: 2-line block ×4, first 2 shown]
	s_cbranch_scc1 .LBB125_327
; %bb.329:                              ;   in Loop: Header=BB125_328 Depth=1
	v_mov_b32_e32 v5, s7
	s_addk_i32 s5, 0x80
	s_mov_b32 s8, 0
	s_clause 0xb
	buffer_load_dword v3, v5, s[0:3], 0 offen offset:80
	buffer_load_dword v4, v5, s[0:3], 0 offen offset:84
	buffer_load_dword v101, v5, s[0:3], 0 offen offset:88
	buffer_load_dword v102, v5, s[0:3], 0 offen offset:92
	buffer_load_dword v103, v5, s[0:3], 0 offen offset:96
	buffer_load_dword v104, v5, s[0:3], 0 offen offset:100
	buffer_load_dword v105, v5, s[0:3], 0 offen offset:104
	buffer_load_dword v106, v5, s[0:3], 0 offen offset:108
	buffer_load_dword v107, v5, s[0:3], 0 offen offset:112
	buffer_load_dword v108, v5, s[0:3], 0 offen offset:116
	buffer_load_dword v109, v5, s[0:3], 0 offen offset:120
	buffer_load_dword v110, v5, s[0:3], 0 offen offset:124
	s_waitcnt vmcnt(8)
	ds_write2_b64 v2, v[3:4], v[101:102] offset0:10 offset1:11
	s_waitcnt vmcnt(4)
	ds_write2_b64 v2, v[103:104], v[105:106] offset0:12 offset1:13
	;; [unrolled: 2-line block ×3, first 2 shown]
	s_branch .LBB125_327
.LBB125_330:
	ds_read2_b64 v[101:104], v255 offset1:1
	s_waitcnt lgkmcnt(0)
	v_cmp_neq_f64_e32 vcc_lo, 0, v[101:102]
	v_cmp_neq_f64_e64 s5, 0, v[103:104]
	s_or_b32 s5, vcc_lo, s5
	s_and_b32 exec_lo, exec_lo, s5
	s_cbranch_execz .LBB125_336
; %bb.331:
	v_cmp_ngt_f64_e64 s5, |v[101:102]|, |v[103:104]|
                                        ; implicit-def: $vgpr1_vgpr2
	s_and_saveexec_b32 s7, s5
	s_xor_b32 s5, exec_lo, s7
                                        ; implicit-def: $vgpr3_vgpr4
	s_cbranch_execz .LBB125_333
; %bb.332:
	v_div_scale_f64 v[1:2], null, v[103:104], v[103:104], v[101:102]
	v_div_scale_f64 v[107:108], vcc_lo, v[101:102], v[103:104], v[101:102]
	v_rcp_f64_e32 v[3:4], v[1:2]
	v_fma_f64 v[105:106], -v[1:2], v[3:4], 1.0
	v_fma_f64 v[3:4], v[3:4], v[105:106], v[3:4]
	v_fma_f64 v[105:106], -v[1:2], v[3:4], 1.0
	v_fma_f64 v[3:4], v[3:4], v[105:106], v[3:4]
	v_mul_f64 v[105:106], v[107:108], v[3:4]
	v_fma_f64 v[1:2], -v[1:2], v[105:106], v[107:108]
	v_div_fmas_f64 v[1:2], v[1:2], v[3:4], v[105:106]
	v_div_fixup_f64 v[1:2], v[1:2], v[103:104], v[101:102]
	v_fma_f64 v[3:4], v[101:102], v[1:2], v[103:104]
	v_div_scale_f64 v[101:102], null, v[3:4], v[3:4], 1.0
	v_rcp_f64_e32 v[103:104], v[101:102]
	v_fma_f64 v[105:106], -v[101:102], v[103:104], 1.0
	v_fma_f64 v[103:104], v[103:104], v[105:106], v[103:104]
	v_fma_f64 v[105:106], -v[101:102], v[103:104], 1.0
	v_fma_f64 v[103:104], v[103:104], v[105:106], v[103:104]
	v_div_scale_f64 v[105:106], vcc_lo, 1.0, v[3:4], 1.0
	v_mul_f64 v[107:108], v[105:106], v[103:104]
	v_fma_f64 v[101:102], -v[101:102], v[107:108], v[105:106]
	v_div_fmas_f64 v[101:102], v[101:102], v[103:104], v[107:108]
	v_div_fixup_f64 v[3:4], v[101:102], v[3:4], 1.0
                                        ; implicit-def: $vgpr101_vgpr102
	v_mul_f64 v[1:2], v[1:2], v[3:4]
	v_xor_b32_e32 v4, 0x80000000, v4
.LBB125_333:
	s_andn2_saveexec_b32 s5, s5
	s_cbranch_execz .LBB125_335
; %bb.334:
	v_div_scale_f64 v[1:2], null, v[101:102], v[101:102], v[103:104]
	v_div_scale_f64 v[107:108], vcc_lo, v[103:104], v[101:102], v[103:104]
	v_rcp_f64_e32 v[3:4], v[1:2]
	v_fma_f64 v[105:106], -v[1:2], v[3:4], 1.0
	v_fma_f64 v[3:4], v[3:4], v[105:106], v[3:4]
	v_fma_f64 v[105:106], -v[1:2], v[3:4], 1.0
	v_fma_f64 v[3:4], v[3:4], v[105:106], v[3:4]
	v_mul_f64 v[105:106], v[107:108], v[3:4]
	v_fma_f64 v[1:2], -v[1:2], v[105:106], v[107:108]
	v_div_fmas_f64 v[1:2], v[1:2], v[3:4], v[105:106]
	v_div_fixup_f64 v[3:4], v[1:2], v[101:102], v[103:104]
	v_fma_f64 v[1:2], v[103:104], v[3:4], v[101:102]
	v_div_scale_f64 v[101:102], null, v[1:2], v[1:2], 1.0
	v_rcp_f64_e32 v[103:104], v[101:102]
	v_fma_f64 v[105:106], -v[101:102], v[103:104], 1.0
	v_fma_f64 v[103:104], v[103:104], v[105:106], v[103:104]
	v_fma_f64 v[105:106], -v[101:102], v[103:104], 1.0
	v_fma_f64 v[103:104], v[103:104], v[105:106], v[103:104]
	v_div_scale_f64 v[105:106], vcc_lo, 1.0, v[1:2], 1.0
	v_mul_f64 v[107:108], v[105:106], v[103:104]
	v_fma_f64 v[101:102], -v[101:102], v[107:108], v[105:106]
	v_div_fmas_f64 v[101:102], v[101:102], v[103:104], v[107:108]
	v_div_fixup_f64 v[1:2], v[101:102], v[1:2], 1.0
	v_mul_f64 v[3:4], v[3:4], -v[1:2]
.LBB125_335:
	s_or_b32 exec_lo, exec_lo, s5
	ds_write2_b64 v255, v[1:2], v[3:4] offset1:1
.LBB125_336:
	s_or_b32 exec_lo, exec_lo, s6
	s_waitcnt lgkmcnt(0)
	s_barrier
	buffer_gl0_inv
	ds_read2_b64 v[101:104], v255 offset1:1
	s_mov_b32 s5, exec_lo
	v_cmpx_lt_u32_e32 25, v0
	s_cbranch_execz .LBB125_341
; %bb.337:
	s_clause 0x3
	buffer_load_dword v1, off, s[0:3], 0 offset:408
	buffer_load_dword v2, off, s[0:3], 0 offset:412
	;; [unrolled: 1-line block ×4, first 2 shown]
	s_movk_i32 s6, 0x1a0
	s_waitcnt vmcnt(2) lgkmcnt(0)
	v_mul_f64 v[105:106], v[103:104], v[1:2]
	v_mul_f64 v[1:2], v[101:102], v[1:2]
	s_waitcnt vmcnt(0)
	v_fma_f64 v[105:106], v[101:102], v[3:4], -v[105:106]
	v_fma_f64 v[107:108], v[103:104], v[3:4], v[1:2]
	buffer_store_dword v105, off, s[0:3], 0 offset:400
	buffer_store_dword v106, off, s[0:3], 0 offset:404
	;; [unrolled: 1-line block ×4, first 2 shown]
	s_branch .LBB125_339
.LBB125_338:                            ;   in Loop: Header=BB125_339 Depth=1
	s_andn2_b32 vcc_lo, exec_lo, s8
	s_cbranch_vccz .LBB125_341
.LBB125_339:                            ; =>This Inner Loop Header: Depth=1
	v_mov_b32_e32 v4, s6
	v_add_nc_u32_e32 v1, s6, v249
	s_mov_b32 s7, s6
	s_mov_b32 s8, -1
	s_cmpk_eq_i32 s6, 0x3e0
	s_clause 0x3
	buffer_load_dword v2, v4, s[0:3], 0 offen
	buffer_load_dword v3, v4, s[0:3], 0 offen offset:4
	buffer_load_dword v113, v4, s[0:3], 0 offen offset:8
	;; [unrolled: 1-line block ×3, first 2 shown]
	ds_read2_b64 v[109:112], v1 offset1:1
	s_waitcnt vmcnt(4) lgkmcnt(0)
	v_mul_f64 v[115:116], v[111:112], v[107:108]
	v_mul_f64 v[107:108], v[109:110], v[107:108]
	v_fma_f64 v[109:110], v[109:110], v[105:106], -v[115:116]
	v_fma_f64 v[105:106], v[111:112], v[105:106], v[107:108]
                                        ; implicit-def: $vgpr107_vgpr108
	s_waitcnt vmcnt(2)
	v_add_f64 v[2:3], v[2:3], -v[109:110]
	s_waitcnt vmcnt(0)
	v_add_f64 v[105:106], v[113:114], -v[105:106]
	buffer_store_dword v2, v4, s[0:3], 0 offen
	buffer_store_dword v3, v4, s[0:3], 0 offen offset:4
	buffer_store_dword v105, v4, s[0:3], 0 offen offset:8
	;; [unrolled: 1-line block ×3, first 2 shown]
                                        ; implicit-def: $vgpr105_vgpr106
	s_cbranch_scc1 .LBB125_338
; %bb.340:                              ;   in Loop: Header=BB125_339 Depth=1
	s_clause 0x3
	buffer_load_dword v2, off, s[0:3], 0 offset:408
	buffer_load_dword v3, off, s[0:3], 0 offset:412
	;; [unrolled: 1-line block ×4, first 2 shown]
	v_mov_b32_e32 v5, s7
	s_add_i32 s6, s6, 64
	s_mov_b32 s8, 0
	s_clause 0x3
	buffer_load_dword v111, v5, s[0:3], 0 offen offset:16
	buffer_load_dword v112, v5, s[0:3], 0 offen offset:20
	buffer_load_dword v113, v5, s[0:3], 0 offen offset:24
	buffer_load_dword v114, v5, s[0:3], 0 offen offset:28
	ds_read2_b64 v[105:108], v1 offset0:2 offset1:3
	s_waitcnt vmcnt(6) lgkmcnt(0)
	v_mul_f64 v[115:116], v[107:108], v[2:3]
	v_mul_f64 v[2:3], v[105:106], v[2:3]
	s_waitcnt vmcnt(4)
	v_fma_f64 v[105:106], v[105:106], v[109:110], -v[115:116]
	v_fma_f64 v[2:3], v[107:108], v[109:110], v[2:3]
	s_waitcnt vmcnt(2)
	v_add_f64 v[105:106], v[111:112], -v[105:106]
	s_waitcnt vmcnt(0)
	v_add_f64 v[2:3], v[113:114], -v[2:3]
	buffer_store_dword v106, v5, s[0:3], 0 offen offset:20
	buffer_store_dword v105, v5, s[0:3], 0 offen offset:16
	buffer_store_dword v3, v5, s[0:3], 0 offen offset:28
	buffer_store_dword v2, v5, s[0:3], 0 offen offset:24
	s_clause 0x7
	buffer_load_dword v3, off, s[0:3], 0 offset:412
	buffer_load_dword v2, off, s[0:3], 0 offset:408
	buffer_load_dword v110, off, s[0:3], 0 offset:404
	buffer_load_dword v109, off, s[0:3], 0 offset:400
	buffer_load_dword v112, v5, s[0:3], 0 offen offset:36
	buffer_load_dword v111, v5, s[0:3], 0 offen offset:32
	buffer_load_dword v113, v5, s[0:3], 0 offen offset:40
	buffer_load_dword v114, v5, s[0:3], 0 offen offset:44
	ds_read2_b64 v[105:108], v1 offset0:4 offset1:5
	s_waitcnt vmcnt(6) lgkmcnt(0)
	v_mul_f64 v[115:116], v[107:108], v[2:3]
	v_mul_f64 v[2:3], v[105:106], v[2:3]
	s_waitcnt vmcnt(4)
	v_fma_f64 v[105:106], v[105:106], v[109:110], -v[115:116]
	v_fma_f64 v[2:3], v[107:108], v[109:110], v[2:3]
	s_waitcnt vmcnt(2)
	v_add_f64 v[105:106], v[111:112], -v[105:106]
	s_waitcnt vmcnt(0)
	v_add_f64 v[2:3], v[113:114], -v[2:3]
	buffer_store_dword v106, v5, s[0:3], 0 offen offset:36
	buffer_store_dword v105, v5, s[0:3], 0 offen offset:32
	buffer_store_dword v3, v5, s[0:3], 0 offen offset:44
	buffer_store_dword v2, v5, s[0:3], 0 offen offset:40
	s_clause 0x7
	buffer_load_dword v105, off, s[0:3], 0 offset:408
	buffer_load_dword v106, off, s[0:3], 0 offset:412
	buffer_load_dword v107, off, s[0:3], 0 offset:400
	buffer_load_dword v108, off, s[0:3], 0 offset:404
	;; [unrolled: 24-line block ×3, first 2 shown]
	s_branch .LBB125_338
.LBB125_341:
	s_or_b32 exec_lo, exec_lo, s5
	s_mov_b32 s6, exec_lo
	s_waitcnt vmcnt(0) lgkmcnt(0)
	s_waitcnt_vscnt null, 0x0
	s_barrier
	buffer_gl0_inv
	v_cmpx_eq_u32_e32 26, v0
	s_cbranch_execz .LBB125_348
; %bb.342:
	v_mov_b32_e32 v4, s52
	s_clause 0x3
	buffer_load_dword v1, v4, s[0:3], 0 offen
	buffer_load_dword v2, v4, s[0:3], 0 offen offset:4
	buffer_load_dword v3, v4, s[0:3], 0 offen offset:8
	;; [unrolled: 1-line block ×3, first 2 shown]
	s_waitcnt vmcnt(0)
	ds_write2_b64 v255, v[1:2], v[3:4] offset1:1
	v_mov_b32_e32 v4, s51
	s_clause 0x3
	buffer_load_dword v1, v4, s[0:3], 0 offen
	buffer_load_dword v2, v4, s[0:3], 0 offen offset:4
	buffer_load_dword v3, v4, s[0:3], 0 offen offset:8
	buffer_load_dword v4, v4, s[0:3], 0 offen offset:12
	s_waitcnt vmcnt(0)
	ds_write2_b64 v249, v[1:2], v[3:4] offset0:54 offset1:55
	v_mov_b32_e32 v4, s50
	s_clause 0x3
	buffer_load_dword v1, v4, s[0:3], 0 offen
	buffer_load_dword v2, v4, s[0:3], 0 offen offset:4
	buffer_load_dword v3, v4, s[0:3], 0 offen offset:8
	buffer_load_dword v4, v4, s[0:3], 0 offen offset:12
	s_waitcnt vmcnt(0)
	ds_write2_b64 v249, v[1:2], v[3:4] offset0:56 offset1:57
	v_mov_b32_e32 v4, s49
	s_clause 0x3
	buffer_load_dword v1, v4, s[0:3], 0 offen
	buffer_load_dword v2, v4, s[0:3], 0 offen offset:4
	buffer_load_dword v3, v4, s[0:3], 0 offen offset:8
	buffer_load_dword v4, v4, s[0:3], 0 offen offset:12
	s_waitcnt vmcnt(0)
	ds_write2_b64 v249, v[1:2], v[3:4] offset0:58 offset1:59
	v_mov_b32_e32 v4, s48
	s_clause 0x3
	buffer_load_dword v1, v4, s[0:3], 0 offen
	buffer_load_dword v2, v4, s[0:3], 0 offen offset:4
	buffer_load_dword v3, v4, s[0:3], 0 offen offset:8
	buffer_load_dword v4, v4, s[0:3], 0 offen offset:12
	s_waitcnt vmcnt(0)
	ds_write2_b64 v249, v[1:2], v[3:4] offset0:60 offset1:61
	v_mov_b32_e32 v4, s47
	s_clause 0x3
	buffer_load_dword v1, v4, s[0:3], 0 offen
	buffer_load_dword v2, v4, s[0:3], 0 offen offset:4
	buffer_load_dword v3, v4, s[0:3], 0 offen offset:8
	buffer_load_dword v4, v4, s[0:3], 0 offen offset:12
	s_waitcnt vmcnt(0)
	ds_write2_b64 v249, v[1:2], v[3:4] offset0:62 offset1:63
	v_mov_b32_e32 v4, s46
	s_clause 0x3
	buffer_load_dword v1, v4, s[0:3], 0 offen
	buffer_load_dword v2, v4, s[0:3], 0 offen offset:4
	buffer_load_dword v3, v4, s[0:3], 0 offen offset:8
	buffer_load_dword v4, v4, s[0:3], 0 offen offset:12
	s_waitcnt vmcnt(0)
	ds_write2_b64 v249, v[1:2], v[3:4] offset0:64 offset1:65
	v_mov_b32_e32 v4, s45
	s_clause 0x3
	buffer_load_dword v1, v4, s[0:3], 0 offen
	buffer_load_dword v2, v4, s[0:3], 0 offen offset:4
	buffer_load_dword v3, v4, s[0:3], 0 offen offset:8
	buffer_load_dword v4, v4, s[0:3], 0 offen offset:12
	s_waitcnt vmcnt(0)
	ds_write2_b64 v249, v[1:2], v[3:4] offset0:66 offset1:67
	v_mov_b32_e32 v4, s44
	s_clause 0x3
	buffer_load_dword v1, v4, s[0:3], 0 offen
	buffer_load_dword v2, v4, s[0:3], 0 offen offset:4
	buffer_load_dword v3, v4, s[0:3], 0 offen offset:8
	buffer_load_dword v4, v4, s[0:3], 0 offen offset:12
	s_waitcnt vmcnt(0)
	ds_write2_b64 v249, v[1:2], v[3:4] offset0:68 offset1:69
	v_mov_b32_e32 v4, s43
	s_clause 0x3
	buffer_load_dword v1, v4, s[0:3], 0 offen
	buffer_load_dword v2, v4, s[0:3], 0 offen offset:4
	buffer_load_dword v3, v4, s[0:3], 0 offen offset:8
	buffer_load_dword v4, v4, s[0:3], 0 offen offset:12
	s_waitcnt vmcnt(0)
	ds_write2_b64 v249, v[1:2], v[3:4] offset0:70 offset1:71
	v_mov_b32_e32 v4, s42
	s_clause 0x3
	buffer_load_dword v1, v4, s[0:3], 0 offen
	buffer_load_dword v2, v4, s[0:3], 0 offen offset:4
	buffer_load_dword v3, v4, s[0:3], 0 offen offset:8
	buffer_load_dword v4, v4, s[0:3], 0 offen offset:12
	s_waitcnt vmcnt(0)
	ds_write2_b64 v249, v[1:2], v[3:4] offset0:72 offset1:73
	v_mov_b32_e32 v4, s41
	s_clause 0x3
	buffer_load_dword v1, v4, s[0:3], 0 offen
	buffer_load_dword v2, v4, s[0:3], 0 offen offset:4
	buffer_load_dword v3, v4, s[0:3], 0 offen offset:8
	buffer_load_dword v4, v4, s[0:3], 0 offen offset:12
	s_waitcnt vmcnt(0)
	ds_write2_b64 v249, v[1:2], v[3:4] offset0:74 offset1:75
	v_mov_b32_e32 v4, s40
	s_clause 0x3
	buffer_load_dword v1, v4, s[0:3], 0 offen
	buffer_load_dword v2, v4, s[0:3], 0 offen offset:4
	buffer_load_dword v3, v4, s[0:3], 0 offen offset:8
	buffer_load_dword v4, v4, s[0:3], 0 offen offset:12
	s_waitcnt vmcnt(0)
	ds_write2_b64 v249, v[1:2], v[3:4] offset0:76 offset1:77
	v_mov_b32_e32 v4, s39
	s_clause 0x3
	buffer_load_dword v1, v4, s[0:3], 0 offen
	buffer_load_dword v2, v4, s[0:3], 0 offen offset:4
	buffer_load_dword v3, v4, s[0:3], 0 offen offset:8
	buffer_load_dword v4, v4, s[0:3], 0 offen offset:12
	s_waitcnt vmcnt(0)
	ds_write2_b64 v249, v[1:2], v[3:4] offset0:78 offset1:79
	v_mov_b32_e32 v4, s38
	s_clause 0x3
	buffer_load_dword v1, v4, s[0:3], 0 offen
	buffer_load_dword v2, v4, s[0:3], 0 offen offset:4
	buffer_load_dword v3, v4, s[0:3], 0 offen offset:8
	buffer_load_dword v4, v4, s[0:3], 0 offen offset:12
	s_waitcnt vmcnt(0)
	ds_write2_b64 v249, v[1:2], v[3:4] offset0:80 offset1:81
	v_mov_b32_e32 v4, s37
	s_clause 0x3
	buffer_load_dword v1, v4, s[0:3], 0 offen
	buffer_load_dword v2, v4, s[0:3], 0 offen offset:4
	buffer_load_dword v3, v4, s[0:3], 0 offen offset:8
	buffer_load_dword v4, v4, s[0:3], 0 offen offset:12
	s_waitcnt vmcnt(0)
	ds_write2_b64 v249, v[1:2], v[3:4] offset0:82 offset1:83
	v_mov_b32_e32 v4, s36
	s_clause 0x3
	buffer_load_dword v1, v4, s[0:3], 0 offen
	buffer_load_dword v2, v4, s[0:3], 0 offen offset:4
	buffer_load_dword v3, v4, s[0:3], 0 offen offset:8
	buffer_load_dword v4, v4, s[0:3], 0 offen offset:12
	s_waitcnt vmcnt(0)
	ds_write2_b64 v249, v[1:2], v[3:4] offset0:84 offset1:85
	v_mov_b32_e32 v4, s35
	s_clause 0x3
	buffer_load_dword v1, v4, s[0:3], 0 offen
	buffer_load_dword v2, v4, s[0:3], 0 offen offset:4
	buffer_load_dword v3, v4, s[0:3], 0 offen offset:8
	buffer_load_dword v4, v4, s[0:3], 0 offen offset:12
	s_waitcnt vmcnt(0)
	ds_write2_b64 v249, v[1:2], v[3:4] offset0:86 offset1:87
	v_mov_b32_e32 v4, s34
	s_clause 0x3
	buffer_load_dword v1, v4, s[0:3], 0 offen
	buffer_load_dword v2, v4, s[0:3], 0 offen offset:4
	buffer_load_dword v3, v4, s[0:3], 0 offen offset:8
	buffer_load_dword v4, v4, s[0:3], 0 offen offset:12
	s_waitcnt vmcnt(0)
	ds_write2_b64 v249, v[1:2], v[3:4] offset0:88 offset1:89
	v_mov_b32_e32 v4, s33
	s_clause 0x3
	buffer_load_dword v1, v4, s[0:3], 0 offen
	buffer_load_dword v2, v4, s[0:3], 0 offen offset:4
	buffer_load_dword v3, v4, s[0:3], 0 offen offset:8
	buffer_load_dword v4, v4, s[0:3], 0 offen offset:12
	s_waitcnt vmcnt(0)
	ds_write2_b64 v249, v[1:2], v[3:4] offset0:90 offset1:91
	v_mov_b32_e32 v4, s31
	s_clause 0x3
	buffer_load_dword v1, v4, s[0:3], 0 offen
	buffer_load_dword v2, v4, s[0:3], 0 offen offset:4
	buffer_load_dword v3, v4, s[0:3], 0 offen offset:8
	buffer_load_dword v4, v4, s[0:3], 0 offen offset:12
	s_waitcnt vmcnt(0)
	ds_write2_b64 v249, v[1:2], v[3:4] offset0:92 offset1:93
	v_mov_b32_e32 v4, s30
	s_clause 0x3
	buffer_load_dword v1, v4, s[0:3], 0 offen
	buffer_load_dword v2, v4, s[0:3], 0 offen offset:4
	buffer_load_dword v3, v4, s[0:3], 0 offen offset:8
	buffer_load_dword v4, v4, s[0:3], 0 offen offset:12
	s_waitcnt vmcnt(0)
	ds_write2_b64 v249, v[1:2], v[3:4] offset0:94 offset1:95
	v_mov_b32_e32 v4, s29
	s_clause 0x3
	buffer_load_dword v1, v4, s[0:3], 0 offen
	buffer_load_dword v2, v4, s[0:3], 0 offen offset:4
	buffer_load_dword v3, v4, s[0:3], 0 offen offset:8
	buffer_load_dword v4, v4, s[0:3], 0 offen offset:12
	s_waitcnt vmcnt(0)
	ds_write2_b64 v249, v[1:2], v[3:4] offset0:96 offset1:97
	v_mov_b32_e32 v4, s28
	s_clause 0x3
	buffer_load_dword v1, v4, s[0:3], 0 offen
	buffer_load_dword v2, v4, s[0:3], 0 offen offset:4
	buffer_load_dword v3, v4, s[0:3], 0 offen offset:8
	buffer_load_dword v4, v4, s[0:3], 0 offen offset:12
	s_waitcnt vmcnt(0)
	ds_write2_b64 v249, v[1:2], v[3:4] offset0:98 offset1:99
	v_mov_b32_e32 v4, s27
	s_clause 0x3
	buffer_load_dword v1, v4, s[0:3], 0 offen
	buffer_load_dword v2, v4, s[0:3], 0 offen offset:4
	buffer_load_dword v3, v4, s[0:3], 0 offen offset:8
	buffer_load_dword v4, v4, s[0:3], 0 offen offset:12
	s_waitcnt vmcnt(0)
	ds_write2_b64 v249, v[1:2], v[3:4] offset0:100 offset1:101
	v_mov_b32_e32 v4, s26
	s_clause 0x3
	buffer_load_dword v1, v4, s[0:3], 0 offen
	buffer_load_dword v2, v4, s[0:3], 0 offen offset:4
	buffer_load_dword v3, v4, s[0:3], 0 offen offset:8
	buffer_load_dword v4, v4, s[0:3], 0 offen offset:12
	s_waitcnt vmcnt(0)
	ds_write2_b64 v249, v[1:2], v[3:4] offset0:102 offset1:103
	v_mov_b32_e32 v4, s25
	s_clause 0x3
	buffer_load_dword v1, v4, s[0:3], 0 offen
	buffer_load_dword v2, v4, s[0:3], 0 offen offset:4
	buffer_load_dword v3, v4, s[0:3], 0 offen offset:8
	buffer_load_dword v4, v4, s[0:3], 0 offen offset:12
	s_waitcnt vmcnt(0)
	ds_write2_b64 v249, v[1:2], v[3:4] offset0:104 offset1:105
	v_mov_b32_e32 v4, s24
	s_clause 0x3
	buffer_load_dword v1, v4, s[0:3], 0 offen
	buffer_load_dword v2, v4, s[0:3], 0 offen offset:4
	buffer_load_dword v3, v4, s[0:3], 0 offen offset:8
	buffer_load_dword v4, v4, s[0:3], 0 offen offset:12
	s_waitcnt vmcnt(0)
	ds_write2_b64 v249, v[1:2], v[3:4] offset0:106 offset1:107
	v_mov_b32_e32 v4, s23
	s_clause 0x3
	buffer_load_dword v1, v4, s[0:3], 0 offen
	buffer_load_dword v2, v4, s[0:3], 0 offen offset:4
	buffer_load_dword v3, v4, s[0:3], 0 offen offset:8
	buffer_load_dword v4, v4, s[0:3], 0 offen offset:12
	s_waitcnt vmcnt(0)
	ds_write2_b64 v249, v[1:2], v[3:4] offset0:108 offset1:109
	v_mov_b32_e32 v4, s22
	s_clause 0x3
	buffer_load_dword v1, v4, s[0:3], 0 offen
	buffer_load_dword v2, v4, s[0:3], 0 offen offset:4
	buffer_load_dword v3, v4, s[0:3], 0 offen offset:8
	buffer_load_dword v4, v4, s[0:3], 0 offen offset:12
	s_waitcnt vmcnt(0)
	ds_write2_b64 v249, v[1:2], v[3:4] offset0:110 offset1:111
	v_mov_b32_e32 v4, s21
	s_clause 0x3
	buffer_load_dword v1, v4, s[0:3], 0 offen
	buffer_load_dword v2, v4, s[0:3], 0 offen offset:4
	buffer_load_dword v3, v4, s[0:3], 0 offen offset:8
	buffer_load_dword v4, v4, s[0:3], 0 offen offset:12
	s_waitcnt vmcnt(0)
	ds_write2_b64 v249, v[1:2], v[3:4] offset0:112 offset1:113
	v_mov_b32_e32 v4, s20
	s_clause 0x3
	buffer_load_dword v1, v4, s[0:3], 0 offen
	buffer_load_dword v2, v4, s[0:3], 0 offen offset:4
	buffer_load_dword v3, v4, s[0:3], 0 offen offset:8
	buffer_load_dword v4, v4, s[0:3], 0 offen offset:12
	s_waitcnt vmcnt(0)
	ds_write2_b64 v249, v[1:2], v[3:4] offset0:114 offset1:115
	v_mov_b32_e32 v4, s19
	s_clause 0x3
	buffer_load_dword v1, v4, s[0:3], 0 offen
	buffer_load_dword v2, v4, s[0:3], 0 offen offset:4
	buffer_load_dword v3, v4, s[0:3], 0 offen offset:8
	buffer_load_dword v4, v4, s[0:3], 0 offen offset:12
	s_waitcnt vmcnt(0)
	ds_write2_b64 v249, v[1:2], v[3:4] offset0:116 offset1:117
	v_mov_b32_e32 v4, s18
	s_clause 0x3
	buffer_load_dword v1, v4, s[0:3], 0 offen
	buffer_load_dword v2, v4, s[0:3], 0 offen offset:4
	buffer_load_dword v3, v4, s[0:3], 0 offen offset:8
	buffer_load_dword v4, v4, s[0:3], 0 offen offset:12
	s_waitcnt vmcnt(0)
	ds_write2_b64 v249, v[1:2], v[3:4] offset0:118 offset1:119
	v_mov_b32_e32 v4, s16
	s_clause 0x3
	buffer_load_dword v1, v4, s[0:3], 0 offen
	buffer_load_dword v2, v4, s[0:3], 0 offen offset:4
	buffer_load_dword v3, v4, s[0:3], 0 offen offset:8
	buffer_load_dword v4, v4, s[0:3], 0 offen offset:12
	s_waitcnt vmcnt(0)
	ds_write2_b64 v249, v[1:2], v[3:4] offset0:120 offset1:121
	v_mov_b32_e32 v4, s13
	s_clause 0x3
	buffer_load_dword v1, v4, s[0:3], 0 offen
	buffer_load_dword v2, v4, s[0:3], 0 offen offset:4
	buffer_load_dword v3, v4, s[0:3], 0 offen offset:8
	buffer_load_dword v4, v4, s[0:3], 0 offen offset:12
	s_waitcnt vmcnt(0)
	ds_write2_b64 v249, v[1:2], v[3:4] offset0:122 offset1:123
	v_mov_b32_e32 v4, s12
	s_clause 0x3
	buffer_load_dword v1, v4, s[0:3], 0 offen
	buffer_load_dword v2, v4, s[0:3], 0 offen offset:4
	buffer_load_dword v3, v4, s[0:3], 0 offen offset:8
	buffer_load_dword v4, v4, s[0:3], 0 offen offset:12
	s_waitcnt vmcnt(0)
	ds_write2_b64 v249, v[1:2], v[3:4] offset0:124 offset1:125
	ds_read2_b64 v[105:108], v255 offset1:1
	s_waitcnt lgkmcnt(0)
	v_cmp_neq_f64_e32 vcc_lo, 0, v[105:106]
	v_cmp_neq_f64_e64 s5, 0, v[107:108]
	s_or_b32 s5, vcc_lo, s5
	s_and_b32 exec_lo, exec_lo, s5
	s_cbranch_execz .LBB125_348
; %bb.343:
	v_cmp_ngt_f64_e64 s5, |v[105:106]|, |v[107:108]|
                                        ; implicit-def: $vgpr1_vgpr2
	s_and_saveexec_b32 s7, s5
	s_xor_b32 s5, exec_lo, s7
                                        ; implicit-def: $vgpr3_vgpr4
	s_cbranch_execz .LBB125_345
; %bb.344:
	v_div_scale_f64 v[1:2], null, v[107:108], v[107:108], v[105:106]
	v_div_scale_f64 v[111:112], vcc_lo, v[105:106], v[107:108], v[105:106]
	v_rcp_f64_e32 v[3:4], v[1:2]
	v_fma_f64 v[109:110], -v[1:2], v[3:4], 1.0
	v_fma_f64 v[3:4], v[3:4], v[109:110], v[3:4]
	v_fma_f64 v[109:110], -v[1:2], v[3:4], 1.0
	v_fma_f64 v[3:4], v[3:4], v[109:110], v[3:4]
	v_mul_f64 v[109:110], v[111:112], v[3:4]
	v_fma_f64 v[1:2], -v[1:2], v[109:110], v[111:112]
	v_div_fmas_f64 v[1:2], v[1:2], v[3:4], v[109:110]
	v_div_fixup_f64 v[1:2], v[1:2], v[107:108], v[105:106]
	v_fma_f64 v[3:4], v[105:106], v[1:2], v[107:108]
	v_div_scale_f64 v[105:106], null, v[3:4], v[3:4], 1.0
	v_rcp_f64_e32 v[107:108], v[105:106]
	v_fma_f64 v[109:110], -v[105:106], v[107:108], 1.0
	v_fma_f64 v[107:108], v[107:108], v[109:110], v[107:108]
	v_fma_f64 v[109:110], -v[105:106], v[107:108], 1.0
	v_fma_f64 v[107:108], v[107:108], v[109:110], v[107:108]
	v_div_scale_f64 v[109:110], vcc_lo, 1.0, v[3:4], 1.0
	v_mul_f64 v[111:112], v[109:110], v[107:108]
	v_fma_f64 v[105:106], -v[105:106], v[111:112], v[109:110]
	v_div_fmas_f64 v[105:106], v[105:106], v[107:108], v[111:112]
	v_div_fixup_f64 v[3:4], v[105:106], v[3:4], 1.0
                                        ; implicit-def: $vgpr105_vgpr106
	v_mul_f64 v[1:2], v[1:2], v[3:4]
	v_xor_b32_e32 v4, 0x80000000, v4
.LBB125_345:
	s_andn2_saveexec_b32 s5, s5
	s_cbranch_execz .LBB125_347
; %bb.346:
	v_div_scale_f64 v[1:2], null, v[105:106], v[105:106], v[107:108]
	v_div_scale_f64 v[111:112], vcc_lo, v[107:108], v[105:106], v[107:108]
	v_rcp_f64_e32 v[3:4], v[1:2]
	v_fma_f64 v[109:110], -v[1:2], v[3:4], 1.0
	v_fma_f64 v[3:4], v[3:4], v[109:110], v[3:4]
	v_fma_f64 v[109:110], -v[1:2], v[3:4], 1.0
	v_fma_f64 v[3:4], v[3:4], v[109:110], v[3:4]
	v_mul_f64 v[109:110], v[111:112], v[3:4]
	v_fma_f64 v[1:2], -v[1:2], v[109:110], v[111:112]
	v_div_fmas_f64 v[1:2], v[1:2], v[3:4], v[109:110]
	v_div_fixup_f64 v[3:4], v[1:2], v[105:106], v[107:108]
	v_fma_f64 v[1:2], v[107:108], v[3:4], v[105:106]
	v_div_scale_f64 v[105:106], null, v[1:2], v[1:2], 1.0
	v_rcp_f64_e32 v[107:108], v[105:106]
	v_fma_f64 v[109:110], -v[105:106], v[107:108], 1.0
	v_fma_f64 v[107:108], v[107:108], v[109:110], v[107:108]
	v_fma_f64 v[109:110], -v[105:106], v[107:108], 1.0
	v_fma_f64 v[107:108], v[107:108], v[109:110], v[107:108]
	v_div_scale_f64 v[109:110], vcc_lo, 1.0, v[1:2], 1.0
	v_mul_f64 v[111:112], v[109:110], v[107:108]
	v_fma_f64 v[105:106], -v[105:106], v[111:112], v[109:110]
	v_div_fmas_f64 v[105:106], v[105:106], v[107:108], v[111:112]
	v_div_fixup_f64 v[1:2], v[105:106], v[1:2], 1.0
	v_mul_f64 v[3:4], v[3:4], -v[1:2]
.LBB125_347:
	s_or_b32 exec_lo, exec_lo, s5
	ds_write2_b64 v255, v[1:2], v[3:4] offset1:1
.LBB125_348:
	s_or_b32 exec_lo, exec_lo, s6
	s_waitcnt lgkmcnt(0)
	s_barrier
	buffer_gl0_inv
	ds_read2_b64 v[105:108], v255 offset1:1
	s_mov_b32 s5, exec_lo
	v_cmpx_lt_u32_e32 26, v0
	s_cbranch_execz .LBB125_351
; %bb.349:
	s_clause 0x3
	buffer_load_dword v1, off, s[0:3], 0 offset:424
	buffer_load_dword v2, off, s[0:3], 0 offset:428
	;; [unrolled: 1-line block ×4, first 2 shown]
	s_movk_i32 s6, 0x1b0
	s_waitcnt vmcnt(2) lgkmcnt(0)
	v_mul_f64 v[109:110], v[107:108], v[1:2]
	v_mul_f64 v[1:2], v[105:106], v[1:2]
	s_waitcnt vmcnt(0)
	v_fma_f64 v[109:110], v[105:106], v[3:4], -v[109:110]
	v_fma_f64 v[1:2], v[107:108], v[3:4], v[1:2]
	buffer_store_dword v109, off, s[0:3], 0 offset:416
	buffer_store_dword v110, off, s[0:3], 0 offset:420
	;; [unrolled: 1-line block ×4, first 2 shown]
.LBB125_350:                            ; =>This Inner Loop Header: Depth=1
	s_clause 0x3
	buffer_load_dword v109, off, s[0:3], 0 offset:424
	buffer_load_dword v110, off, s[0:3], 0 offset:428
	;; [unrolled: 1-line block ×4, first 2 shown]
	v_mov_b32_e32 v5, s6
	v_add_nc_u32_e32 v6, s6, v249
	s_addk_i32 s6, 0x60
	s_clause 0x3
	buffer_load_dword v113, v5, s[0:3], 0 offen
	buffer_load_dword v114, v5, s[0:3], 0 offen offset:4
	buffer_load_dword v115, v5, s[0:3], 0 offen offset:8
	;; [unrolled: 1-line block ×3, first 2 shown]
	ds_read2_b64 v[1:4], v6 offset1:1
	s_cmpk_lg_i32 s6, 0x3f0
	s_waitcnt vmcnt(6) lgkmcnt(0)
	v_mul_f64 v[117:118], v[3:4], v[109:110]
	v_mul_f64 v[109:110], v[1:2], v[109:110]
	s_waitcnt vmcnt(4)
	v_fma_f64 v[1:2], v[1:2], v[111:112], -v[117:118]
	v_fma_f64 v[3:4], v[3:4], v[111:112], v[109:110]
	s_waitcnt vmcnt(2)
	v_add_f64 v[1:2], v[113:114], -v[1:2]
	s_waitcnt vmcnt(0)
	v_add_f64 v[3:4], v[115:116], -v[3:4]
	buffer_store_dword v2, v5, s[0:3], 0 offen offset:4
	buffer_store_dword v1, v5, s[0:3], 0 offen
	buffer_store_dword v4, v5, s[0:3], 0 offen offset:12
	buffer_store_dword v3, v5, s[0:3], 0 offen offset:8
	s_clause 0x7
	buffer_load_dword v110, off, s[0:3], 0 offset:428
	buffer_load_dword v109, off, s[0:3], 0 offset:424
	buffer_load_dword v112, off, s[0:3], 0 offset:420
	buffer_load_dword v111, off, s[0:3], 0 offset:416
	buffer_load_dword v113, v5, s[0:3], 0 offen offset:16
	buffer_load_dword v114, v5, s[0:3], 0 offen offset:20
	buffer_load_dword v115, v5, s[0:3], 0 offen offset:24
	buffer_load_dword v116, v5, s[0:3], 0 offen offset:28
	ds_read2_b64 v[1:4], v6 offset0:2 offset1:3
	s_waitcnt vmcnt(6) lgkmcnt(0)
	v_mul_f64 v[117:118], v[3:4], v[109:110]
	v_mul_f64 v[109:110], v[1:2], v[109:110]
	s_waitcnt vmcnt(4)
	v_fma_f64 v[1:2], v[1:2], v[111:112], -v[117:118]
	v_fma_f64 v[3:4], v[3:4], v[111:112], v[109:110]
	s_waitcnt vmcnt(2)
	v_add_f64 v[1:2], v[113:114], -v[1:2]
	s_waitcnt vmcnt(0)
	v_add_f64 v[3:4], v[115:116], -v[3:4]
	buffer_store_dword v2, v5, s[0:3], 0 offen offset:20
	buffer_store_dword v1, v5, s[0:3], 0 offen offset:16
	buffer_store_dword v4, v5, s[0:3], 0 offen offset:28
	buffer_store_dword v3, v5, s[0:3], 0 offen offset:24
	s_clause 0x7
	buffer_load_dword v109, off, s[0:3], 0 offset:424
	buffer_load_dword v110, off, s[0:3], 0 offset:428
	buffer_load_dword v111, off, s[0:3], 0 offset:416
	buffer_load_dword v112, off, s[0:3], 0 offset:420
	buffer_load_dword v113, v5, s[0:3], 0 offen offset:32
	buffer_load_dword v114, v5, s[0:3], 0 offen offset:36
	buffer_load_dword v115, v5, s[0:3], 0 offen offset:40
	buffer_load_dword v116, v5, s[0:3], 0 offen offset:44
	ds_read2_b64 v[1:4], v6 offset0:4 offset1:5
	s_waitcnt vmcnt(6) lgkmcnt(0)
	v_mul_f64 v[117:118], v[3:4], v[109:110]
	v_mul_f64 v[109:110], v[1:2], v[109:110]
	s_waitcnt vmcnt(4)
	v_fma_f64 v[1:2], v[1:2], v[111:112], -v[117:118]
	v_fma_f64 v[3:4], v[3:4], v[111:112], v[109:110]
	s_waitcnt vmcnt(2)
	v_add_f64 v[1:2], v[113:114], -v[1:2]
	s_waitcnt vmcnt(0)
	v_add_f64 v[3:4], v[115:116], -v[3:4]
	buffer_store_dword v2, v5, s[0:3], 0 offen offset:36
	buffer_store_dword v1, v5, s[0:3], 0 offen offset:32
	;; [unrolled: 24-line block ×5, first 2 shown]
	buffer_store_dword v4, v5, s[0:3], 0 offen offset:92
	buffer_store_dword v3, v5, s[0:3], 0 offen offset:88
	s_cbranch_scc1 .LBB125_350
.LBB125_351:
	s_or_b32 exec_lo, exec_lo, s5
	s_mov_b32 s6, exec_lo
	s_waitcnt lgkmcnt(0)
	s_waitcnt_vscnt null, 0x0
	s_barrier
	buffer_gl0_inv
	v_cmpx_eq_u32_e32 27, v0
	s_cbranch_execz .LBB125_358
; %bb.352:
	v_mov_b32_e32 v4, s51
	s_clause 0x3
	buffer_load_dword v1, v4, s[0:3], 0 offen
	buffer_load_dword v2, v4, s[0:3], 0 offen offset:4
	buffer_load_dword v3, v4, s[0:3], 0 offen offset:8
	;; [unrolled: 1-line block ×3, first 2 shown]
	s_waitcnt vmcnt(0)
	ds_write2_b64 v255, v[1:2], v[3:4] offset1:1
	v_mov_b32_e32 v4, s50
	s_clause 0x3
	buffer_load_dword v1, v4, s[0:3], 0 offen
	buffer_load_dword v2, v4, s[0:3], 0 offen offset:4
	buffer_load_dword v3, v4, s[0:3], 0 offen offset:8
	buffer_load_dword v4, v4, s[0:3], 0 offen offset:12
	s_waitcnt vmcnt(0)
	ds_write2_b64 v249, v[1:2], v[3:4] offset0:56 offset1:57
	v_mov_b32_e32 v4, s49
	s_clause 0x3
	buffer_load_dword v1, v4, s[0:3], 0 offen
	buffer_load_dword v2, v4, s[0:3], 0 offen offset:4
	buffer_load_dword v3, v4, s[0:3], 0 offen offset:8
	buffer_load_dword v4, v4, s[0:3], 0 offen offset:12
	s_waitcnt vmcnt(0)
	ds_write2_b64 v249, v[1:2], v[3:4] offset0:58 offset1:59
	;; [unrolled: 8-line block ×35, first 2 shown]
	ds_read2_b64 v[109:112], v255 offset1:1
	s_waitcnt lgkmcnt(0)
	v_cmp_neq_f64_e32 vcc_lo, 0, v[109:110]
	v_cmp_neq_f64_e64 s5, 0, v[111:112]
	s_or_b32 s5, vcc_lo, s5
	s_and_b32 exec_lo, exec_lo, s5
	s_cbranch_execz .LBB125_358
; %bb.353:
	v_cmp_ngt_f64_e64 s5, |v[109:110]|, |v[111:112]|
                                        ; implicit-def: $vgpr1_vgpr2
	s_and_saveexec_b32 s7, s5
	s_xor_b32 s5, exec_lo, s7
                                        ; implicit-def: $vgpr3_vgpr4
	s_cbranch_execz .LBB125_355
; %bb.354:
	v_div_scale_f64 v[1:2], null, v[111:112], v[111:112], v[109:110]
	v_div_scale_f64 v[115:116], vcc_lo, v[109:110], v[111:112], v[109:110]
	v_rcp_f64_e32 v[3:4], v[1:2]
	v_fma_f64 v[113:114], -v[1:2], v[3:4], 1.0
	v_fma_f64 v[3:4], v[3:4], v[113:114], v[3:4]
	v_fma_f64 v[113:114], -v[1:2], v[3:4], 1.0
	v_fma_f64 v[3:4], v[3:4], v[113:114], v[3:4]
	v_mul_f64 v[113:114], v[115:116], v[3:4]
	v_fma_f64 v[1:2], -v[1:2], v[113:114], v[115:116]
	v_div_fmas_f64 v[1:2], v[1:2], v[3:4], v[113:114]
	v_div_fixup_f64 v[1:2], v[1:2], v[111:112], v[109:110]
	v_fma_f64 v[3:4], v[109:110], v[1:2], v[111:112]
	v_div_scale_f64 v[109:110], null, v[3:4], v[3:4], 1.0
	v_rcp_f64_e32 v[111:112], v[109:110]
	v_fma_f64 v[113:114], -v[109:110], v[111:112], 1.0
	v_fma_f64 v[111:112], v[111:112], v[113:114], v[111:112]
	v_fma_f64 v[113:114], -v[109:110], v[111:112], 1.0
	v_fma_f64 v[111:112], v[111:112], v[113:114], v[111:112]
	v_div_scale_f64 v[113:114], vcc_lo, 1.0, v[3:4], 1.0
	v_mul_f64 v[115:116], v[113:114], v[111:112]
	v_fma_f64 v[109:110], -v[109:110], v[115:116], v[113:114]
	v_div_fmas_f64 v[109:110], v[109:110], v[111:112], v[115:116]
	v_div_fixup_f64 v[3:4], v[109:110], v[3:4], 1.0
                                        ; implicit-def: $vgpr109_vgpr110
	v_mul_f64 v[1:2], v[1:2], v[3:4]
	v_xor_b32_e32 v4, 0x80000000, v4
.LBB125_355:
	s_andn2_saveexec_b32 s5, s5
	s_cbranch_execz .LBB125_357
; %bb.356:
	v_div_scale_f64 v[1:2], null, v[109:110], v[109:110], v[111:112]
	v_div_scale_f64 v[115:116], vcc_lo, v[111:112], v[109:110], v[111:112]
	v_rcp_f64_e32 v[3:4], v[1:2]
	v_fma_f64 v[113:114], -v[1:2], v[3:4], 1.0
	v_fma_f64 v[3:4], v[3:4], v[113:114], v[3:4]
	v_fma_f64 v[113:114], -v[1:2], v[3:4], 1.0
	v_fma_f64 v[3:4], v[3:4], v[113:114], v[3:4]
	v_mul_f64 v[113:114], v[115:116], v[3:4]
	v_fma_f64 v[1:2], -v[1:2], v[113:114], v[115:116]
	v_div_fmas_f64 v[1:2], v[1:2], v[3:4], v[113:114]
	v_div_fixup_f64 v[3:4], v[1:2], v[109:110], v[111:112]
	v_fma_f64 v[1:2], v[111:112], v[3:4], v[109:110]
	v_div_scale_f64 v[109:110], null, v[1:2], v[1:2], 1.0
	v_rcp_f64_e32 v[111:112], v[109:110]
	v_fma_f64 v[113:114], -v[109:110], v[111:112], 1.0
	v_fma_f64 v[111:112], v[111:112], v[113:114], v[111:112]
	v_fma_f64 v[113:114], -v[109:110], v[111:112], 1.0
	v_fma_f64 v[111:112], v[111:112], v[113:114], v[111:112]
	v_div_scale_f64 v[113:114], vcc_lo, 1.0, v[1:2], 1.0
	v_mul_f64 v[115:116], v[113:114], v[111:112]
	v_fma_f64 v[109:110], -v[109:110], v[115:116], v[113:114]
	v_div_fmas_f64 v[109:110], v[109:110], v[111:112], v[115:116]
	v_div_fixup_f64 v[1:2], v[109:110], v[1:2], 1.0
	v_mul_f64 v[3:4], v[3:4], -v[1:2]
.LBB125_357:
	s_or_b32 exec_lo, exec_lo, s5
	ds_write2_b64 v255, v[1:2], v[3:4] offset1:1
.LBB125_358:
	s_or_b32 exec_lo, exec_lo, s6
	buffer_store_dword v7, off, s[0:3], 0 offset:1544 ; 4-byte Folded Spill
	buffer_store_dword v8, off, s[0:3], 0 offset:1548 ; 4-byte Folded Spill
	buffer_store_dword v9, off, s[0:3], 0 offset:1552 ; 4-byte Folded Spill
	buffer_store_dword v10, off, s[0:3], 0 offset:1556 ; 4-byte Folded Spill
	s_waitcnt lgkmcnt(0)
	s_waitcnt_vscnt null, 0x0
	s_barrier
	buffer_gl0_inv
	ds_read2_b64 v[109:112], v255 offset1:1
	s_mov_b32 s5, exec_lo
	v_cmpx_lt_u32_e32 27, v0
	s_cbranch_execz .LBB125_361
; %bb.359:
	s_clause 0x3
	buffer_load_dword v1, off, s[0:3], 0 offset:440
	buffer_load_dword v2, off, s[0:3], 0 offset:444
	;; [unrolled: 1-line block ×4, first 2 shown]
	s_movk_i32 s6, 0x1c0
	s_waitcnt vmcnt(2) lgkmcnt(0)
	v_mul_f64 v[113:114], v[111:112], v[1:2]
	v_mul_f64 v[1:2], v[109:110], v[1:2]
	s_waitcnt vmcnt(0)
	v_fma_f64 v[113:114], v[109:110], v[3:4], -v[113:114]
	v_fma_f64 v[1:2], v[111:112], v[3:4], v[1:2]
	buffer_store_dword v113, off, s[0:3], 0 offset:432
	buffer_store_dword v114, off, s[0:3], 0 offset:436
	;; [unrolled: 1-line block ×4, first 2 shown]
.LBB125_360:                            ; =>This Inner Loop Header: Depth=1
	s_clause 0x3
	buffer_load_dword v113, off, s[0:3], 0 offset:440
	buffer_load_dword v114, off, s[0:3], 0 offset:444
	;; [unrolled: 1-line block ×4, first 2 shown]
	v_mov_b32_e32 v5, s6
	v_add_nc_u32_e32 v6, s6, v249
	s_addk_i32 s6, 0x70
	s_clause 0x3
	buffer_load_dword v117, v5, s[0:3], 0 offen
	buffer_load_dword v118, v5, s[0:3], 0 offen offset:4
	buffer_load_dword v119, v5, s[0:3], 0 offen offset:8
	;; [unrolled: 1-line block ×3, first 2 shown]
	ds_read2_b64 v[1:4], v6 offset1:1
	s_clause 0x2
	buffer_load_dword v121, v5, s[0:3], 0 offen offset:16
	buffer_load_dword v122, v5, s[0:3], 0 offen offset:20
	;; [unrolled: 1-line block ×3, first 2 shown]
	s_cmpk_lg_i32 s6, 0x3f0
	s_waitcnt vmcnt(9) lgkmcnt(0)
	v_mul_f64 v[124:125], v[3:4], v[113:114]
	v_mul_f64 v[113:114], v[1:2], v[113:114]
	s_waitcnt vmcnt(7)
	v_fma_f64 v[1:2], v[1:2], v[115:116], -v[124:125]
	v_fma_f64 v[3:4], v[3:4], v[115:116], v[113:114]
	s_waitcnt vmcnt(5)
	v_add_f64 v[1:2], v[117:118], -v[1:2]
	s_waitcnt vmcnt(3)
	v_add_f64 v[3:4], v[119:120], -v[3:4]
	buffer_store_dword v2, v5, s[0:3], 0 offen offset:4
	buffer_store_dword v1, v5, s[0:3], 0 offen
	buffer_store_dword v4, v5, s[0:3], 0 offen offset:12
	buffer_store_dword v3, v5, s[0:3], 0 offen offset:8
	s_clause 0x4
	buffer_load_dword v114, off, s[0:3], 0 offset:444
	buffer_load_dword v113, off, s[0:3], 0 offset:440
	;; [unrolled: 1-line block ×4, first 2 shown]
	buffer_load_dword v124, v5, s[0:3], 0 offen offset:28
	ds_read2_b64 v[1:4], v6 offset0:2 offset1:3
	s_waitcnt vmcnt(3) lgkmcnt(0)
	v_mul_f64 v[117:118], v[3:4], v[113:114]
	v_mul_f64 v[113:114], v[1:2], v[113:114]
	s_waitcnt vmcnt(1)
	v_fma_f64 v[1:2], v[1:2], v[115:116], -v[117:118]
	v_fma_f64 v[3:4], v[3:4], v[115:116], v[113:114]
	v_add_f64 v[1:2], v[121:122], -v[1:2]
	s_waitcnt vmcnt(0)
	v_add_f64 v[3:4], v[123:124], -v[3:4]
	buffer_store_dword v2, v5, s[0:3], 0 offen offset:20
	buffer_store_dword v1, v5, s[0:3], 0 offen offset:16
	buffer_store_dword v4, v5, s[0:3], 0 offen offset:28
	buffer_store_dword v3, v5, s[0:3], 0 offen offset:24
	s_clause 0x7
	buffer_load_dword v113, off, s[0:3], 0 offset:440
	buffer_load_dword v114, off, s[0:3], 0 offset:444
	buffer_load_dword v115, off, s[0:3], 0 offset:432
	buffer_load_dword v116, off, s[0:3], 0 offset:436
	buffer_load_dword v117, v5, s[0:3], 0 offen offset:32
	buffer_load_dword v118, v5, s[0:3], 0 offen offset:36
	buffer_load_dword v119, v5, s[0:3], 0 offen offset:40
	buffer_load_dword v120, v5, s[0:3], 0 offen offset:44
	ds_read2_b64 v[1:4], v6 offset0:4 offset1:5
	s_waitcnt vmcnt(6) lgkmcnt(0)
	v_mul_f64 v[121:122], v[3:4], v[113:114]
	v_mul_f64 v[113:114], v[1:2], v[113:114]
	s_waitcnt vmcnt(4)
	v_fma_f64 v[1:2], v[1:2], v[115:116], -v[121:122]
	v_fma_f64 v[3:4], v[3:4], v[115:116], v[113:114]
	s_waitcnt vmcnt(2)
	v_add_f64 v[1:2], v[117:118], -v[1:2]
	s_waitcnt vmcnt(0)
	v_add_f64 v[3:4], v[119:120], -v[3:4]
	buffer_store_dword v2, v5, s[0:3], 0 offen offset:36
	buffer_store_dword v1, v5, s[0:3], 0 offen offset:32
	buffer_store_dword v4, v5, s[0:3], 0 offen offset:44
	buffer_store_dword v3, v5, s[0:3], 0 offen offset:40
	s_clause 0x7
	buffer_load_dword v113, off, s[0:3], 0 offset:440
	buffer_load_dword v114, off, s[0:3], 0 offset:444
	buffer_load_dword v115, off, s[0:3], 0 offset:432
	buffer_load_dword v116, off, s[0:3], 0 offset:436
	buffer_load_dword v117, v5, s[0:3], 0 offen offset:48
	buffer_load_dword v118, v5, s[0:3], 0 offen offset:52
	buffer_load_dword v119, v5, s[0:3], 0 offen offset:56
	buffer_load_dword v120, v5, s[0:3], 0 offen offset:60
	ds_read2_b64 v[1:4], v6 offset0:6 offset1:7
	s_waitcnt vmcnt(6) lgkmcnt(0)
	v_mul_f64 v[121:122], v[3:4], v[113:114]
	v_mul_f64 v[113:114], v[1:2], v[113:114]
	s_waitcnt vmcnt(4)
	v_fma_f64 v[1:2], v[1:2], v[115:116], -v[121:122]
	v_fma_f64 v[3:4], v[3:4], v[115:116], v[113:114]
	s_waitcnt vmcnt(2)
	;; [unrolled: 24-line block ×5, first 2 shown]
	v_add_f64 v[1:2], v[117:118], -v[1:2]
	s_waitcnt vmcnt(0)
	v_add_f64 v[3:4], v[119:120], -v[3:4]
	buffer_store_dword v2, v5, s[0:3], 0 offen offset:100
	buffer_store_dword v1, v5, s[0:3], 0 offen offset:96
	;; [unrolled: 1-line block ×4, first 2 shown]
	s_cbranch_scc1 .LBB125_360
.LBB125_361:
	s_or_b32 exec_lo, exec_lo, s5
	s_mov_b32 s6, exec_lo
	s_waitcnt lgkmcnt(0)
	s_waitcnt_vscnt null, 0x0
	s_barrier
	buffer_gl0_inv
	v_cmpx_eq_u32_e32 28, v0
	s_cbranch_execz .LBB125_368
; %bb.362:
	v_mov_b32_e32 v4, s50
	s_clause 0x3
	buffer_load_dword v1, v4, s[0:3], 0 offen
	buffer_load_dword v2, v4, s[0:3], 0 offen offset:4
	buffer_load_dword v3, v4, s[0:3], 0 offen offset:8
	;; [unrolled: 1-line block ×3, first 2 shown]
	s_waitcnt vmcnt(0)
	ds_write2_b64 v255, v[1:2], v[3:4] offset1:1
	v_mov_b32_e32 v4, s49
	s_clause 0x3
	buffer_load_dword v1, v4, s[0:3], 0 offen
	buffer_load_dword v2, v4, s[0:3], 0 offen offset:4
	buffer_load_dword v3, v4, s[0:3], 0 offen offset:8
	buffer_load_dword v4, v4, s[0:3], 0 offen offset:12
	s_waitcnt vmcnt(0)
	ds_write2_b64 v249, v[1:2], v[3:4] offset0:58 offset1:59
	v_mov_b32_e32 v4, s48
	s_clause 0x3
	buffer_load_dword v1, v4, s[0:3], 0 offen
	buffer_load_dword v2, v4, s[0:3], 0 offen offset:4
	buffer_load_dword v3, v4, s[0:3], 0 offen offset:8
	buffer_load_dword v4, v4, s[0:3], 0 offen offset:12
	s_waitcnt vmcnt(0)
	ds_write2_b64 v249, v[1:2], v[3:4] offset0:60 offset1:61
	;; [unrolled: 8-line block ×34, first 2 shown]
	ds_read2_b64 v[113:116], v255 offset1:1
	s_waitcnt lgkmcnt(0)
	v_cmp_neq_f64_e32 vcc_lo, 0, v[113:114]
	v_cmp_neq_f64_e64 s5, 0, v[115:116]
	s_or_b32 s5, vcc_lo, s5
	s_and_b32 exec_lo, exec_lo, s5
	s_cbranch_execz .LBB125_368
; %bb.363:
	v_cmp_ngt_f64_e64 s5, |v[113:114]|, |v[115:116]|
                                        ; implicit-def: $vgpr1_vgpr2
	s_and_saveexec_b32 s7, s5
	s_xor_b32 s5, exec_lo, s7
                                        ; implicit-def: $vgpr3_vgpr4
	s_cbranch_execz .LBB125_365
; %bb.364:
	v_div_scale_f64 v[1:2], null, v[115:116], v[115:116], v[113:114]
	v_div_scale_f64 v[119:120], vcc_lo, v[113:114], v[115:116], v[113:114]
	v_rcp_f64_e32 v[3:4], v[1:2]
	v_fma_f64 v[117:118], -v[1:2], v[3:4], 1.0
	v_fma_f64 v[3:4], v[3:4], v[117:118], v[3:4]
	v_fma_f64 v[117:118], -v[1:2], v[3:4], 1.0
	v_fma_f64 v[3:4], v[3:4], v[117:118], v[3:4]
	v_mul_f64 v[117:118], v[119:120], v[3:4]
	v_fma_f64 v[1:2], -v[1:2], v[117:118], v[119:120]
	v_div_fmas_f64 v[1:2], v[1:2], v[3:4], v[117:118]
	v_div_fixup_f64 v[1:2], v[1:2], v[115:116], v[113:114]
	v_fma_f64 v[3:4], v[113:114], v[1:2], v[115:116]
	v_div_scale_f64 v[113:114], null, v[3:4], v[3:4], 1.0
	v_rcp_f64_e32 v[115:116], v[113:114]
	v_fma_f64 v[117:118], -v[113:114], v[115:116], 1.0
	v_fma_f64 v[115:116], v[115:116], v[117:118], v[115:116]
	v_fma_f64 v[117:118], -v[113:114], v[115:116], 1.0
	v_fma_f64 v[115:116], v[115:116], v[117:118], v[115:116]
	v_div_scale_f64 v[117:118], vcc_lo, 1.0, v[3:4], 1.0
	v_mul_f64 v[119:120], v[117:118], v[115:116]
	v_fma_f64 v[113:114], -v[113:114], v[119:120], v[117:118]
	v_div_fmas_f64 v[113:114], v[113:114], v[115:116], v[119:120]
	v_div_fixup_f64 v[3:4], v[113:114], v[3:4], 1.0
                                        ; implicit-def: $vgpr113_vgpr114
	v_mul_f64 v[1:2], v[1:2], v[3:4]
	v_xor_b32_e32 v4, 0x80000000, v4
.LBB125_365:
	s_andn2_saveexec_b32 s5, s5
	s_cbranch_execz .LBB125_367
; %bb.366:
	v_div_scale_f64 v[1:2], null, v[113:114], v[113:114], v[115:116]
	v_div_scale_f64 v[119:120], vcc_lo, v[115:116], v[113:114], v[115:116]
	v_rcp_f64_e32 v[3:4], v[1:2]
	v_fma_f64 v[117:118], -v[1:2], v[3:4], 1.0
	v_fma_f64 v[3:4], v[3:4], v[117:118], v[3:4]
	v_fma_f64 v[117:118], -v[1:2], v[3:4], 1.0
	v_fma_f64 v[3:4], v[3:4], v[117:118], v[3:4]
	v_mul_f64 v[117:118], v[119:120], v[3:4]
	v_fma_f64 v[1:2], -v[1:2], v[117:118], v[119:120]
	v_div_fmas_f64 v[1:2], v[1:2], v[3:4], v[117:118]
	v_div_fixup_f64 v[3:4], v[1:2], v[113:114], v[115:116]
	v_fma_f64 v[1:2], v[115:116], v[3:4], v[113:114]
	v_div_scale_f64 v[113:114], null, v[1:2], v[1:2], 1.0
	v_rcp_f64_e32 v[115:116], v[113:114]
	v_fma_f64 v[117:118], -v[113:114], v[115:116], 1.0
	v_fma_f64 v[115:116], v[115:116], v[117:118], v[115:116]
	v_fma_f64 v[117:118], -v[113:114], v[115:116], 1.0
	v_fma_f64 v[115:116], v[115:116], v[117:118], v[115:116]
	v_div_scale_f64 v[117:118], vcc_lo, 1.0, v[1:2], 1.0
	v_mul_f64 v[119:120], v[117:118], v[115:116]
	v_fma_f64 v[113:114], -v[113:114], v[119:120], v[117:118]
	v_div_fmas_f64 v[113:114], v[113:114], v[115:116], v[119:120]
	v_div_fixup_f64 v[1:2], v[113:114], v[1:2], 1.0
	v_mul_f64 v[3:4], v[3:4], -v[1:2]
.LBB125_367:
	s_or_b32 exec_lo, exec_lo, s5
	ds_write2_b64 v255, v[1:2], v[3:4] offset1:1
.LBB125_368:
	s_or_b32 exec_lo, exec_lo, s6
	s_waitcnt lgkmcnt(0)
	s_barrier
	buffer_gl0_inv
	ds_read2_b64 v[113:116], v255 offset1:1
	s_mov_b32 s5, exec_lo
	v_cmpx_lt_u32_e32 28, v0
	s_cbranch_execz .LBB125_371
; %bb.369:
	s_clause 0x3
	buffer_load_dword v1, off, s[0:3], 0 offset:456
	buffer_load_dword v2, off, s[0:3], 0 offset:460
	;; [unrolled: 1-line block ×4, first 2 shown]
	s_movk_i32 s6, 0x1d0
	s_waitcnt vmcnt(2) lgkmcnt(0)
	v_mul_f64 v[117:118], v[115:116], v[1:2]
	v_mul_f64 v[1:2], v[113:114], v[1:2]
	s_waitcnt vmcnt(0)
	v_fma_f64 v[117:118], v[113:114], v[3:4], -v[117:118]
	v_fma_f64 v[1:2], v[115:116], v[3:4], v[1:2]
	buffer_store_dword v117, off, s[0:3], 0 offset:448
	buffer_store_dword v118, off, s[0:3], 0 offset:452
	buffer_store_dword v1, off, s[0:3], 0 offset:456
	buffer_store_dword v2, off, s[0:3], 0 offset:460
.LBB125_370:                            ; =>This Inner Loop Header: Depth=1
	v_add_nc_u32_e32 v5, s6, v249
	v_mov_b32_e32 v6, s6
	s_add_i32 s6, s6, 32
	s_cmpk_lg_i32 s6, 0x3f0
	ds_read2_b64 v[1:4], v5 offset1:1
	s_clause 0x3
	buffer_load_dword v117, off, s[0:3], 0 offset:448
	buffer_load_dword v118, off, s[0:3], 0 offset:452
	;; [unrolled: 1-line block ×4, first 2 shown]
	s_waitcnt vmcnt(0) lgkmcnt(0)
	v_mul_f64 v[121:122], v[3:4], v[119:120]
	v_fma_f64 v[121:122], v[1:2], v[117:118], -v[121:122]
	v_mul_f64 v[1:2], v[1:2], v[119:120]
	v_fma_f64 v[1:2], v[3:4], v[117:118], v[1:2]
	s_clause 0x7
	buffer_load_dword v3, v6, s[0:3], 0 offen
	buffer_load_dword v4, v6, s[0:3], 0 offen offset:4
	buffer_load_dword v117, v6, s[0:3], 0 offen offset:8
	;; [unrolled: 1-line block ×7, first 2 shown]
	s_waitcnt vmcnt(6)
	v_add_f64 v[3:4], v[3:4], -v[121:122]
	s_waitcnt vmcnt(4)
	v_add_f64 v[1:2], v[117:118], -v[1:2]
	buffer_store_dword v4, v6, s[0:3], 0 offen offset:4
	buffer_store_dword v3, v6, s[0:3], 0 offen
	buffer_store_dword v2, v6, s[0:3], 0 offen offset:12
	buffer_store_dword v1, v6, s[0:3], 0 offen offset:8
	ds_read2_b64 v[1:4], v5 offset0:2 offset1:3
	s_clause 0x3
	buffer_load_dword v118, off, s[0:3], 0 offset:452
	buffer_load_dword v117, off, s[0:3], 0 offset:448
	;; [unrolled: 1-line block ×4, first 2 shown]
	s_waitcnt vmcnt(0) lgkmcnt(0)
	v_mul_f64 v[125:126], v[3:4], v[121:122]
	v_fma_f64 v[125:126], v[1:2], v[117:118], -v[125:126]
	v_mul_f64 v[1:2], v[1:2], v[121:122]
	v_fma_f64 v[1:2], v[3:4], v[117:118], v[1:2]
	v_add_f64 v[3:4], v[119:120], -v[125:126]
	v_add_f64 v[1:2], v[123:124], -v[1:2]
	buffer_store_dword v4, v6, s[0:3], 0 offen offset:20
	buffer_store_dword v3, v6, s[0:3], 0 offen offset:16
	;; [unrolled: 1-line block ×4, first 2 shown]
	s_cbranch_scc1 .LBB125_370
.LBB125_371:
	s_or_b32 exec_lo, exec_lo, s5
	s_mov_b32 s6, exec_lo
	s_waitcnt lgkmcnt(0)
	s_waitcnt_vscnt null, 0x0
	s_barrier
	buffer_gl0_inv
	v_cmpx_eq_u32_e32 29, v0
	s_cbranch_execz .LBB125_378
; %bb.372:
	v_mov_b32_e32 v4, s49
	s_clause 0x3
	buffer_load_dword v1, v4, s[0:3], 0 offen
	buffer_load_dword v2, v4, s[0:3], 0 offen offset:4
	buffer_load_dword v3, v4, s[0:3], 0 offen offset:8
	buffer_load_dword v4, v4, s[0:3], 0 offen offset:12
	s_waitcnt vmcnt(0)
	ds_write2_b64 v255, v[1:2], v[3:4] offset1:1
	v_mov_b32_e32 v4, s48
	s_clause 0x3
	buffer_load_dword v1, v4, s[0:3], 0 offen
	buffer_load_dword v2, v4, s[0:3], 0 offen offset:4
	buffer_load_dword v3, v4, s[0:3], 0 offen offset:8
	buffer_load_dword v4, v4, s[0:3], 0 offen offset:12
	s_waitcnt vmcnt(0)
	ds_write2_b64 v249, v[1:2], v[3:4] offset0:60 offset1:61
	v_mov_b32_e32 v4, s47
	s_clause 0x3
	buffer_load_dword v1, v4, s[0:3], 0 offen
	buffer_load_dword v2, v4, s[0:3], 0 offen offset:4
	buffer_load_dword v3, v4, s[0:3], 0 offen offset:8
	buffer_load_dword v4, v4, s[0:3], 0 offen offset:12
	s_waitcnt vmcnt(0)
	ds_write2_b64 v249, v[1:2], v[3:4] offset0:62 offset1:63
	;; [unrolled: 8-line block ×33, first 2 shown]
	ds_read2_b64 v[117:120], v255 offset1:1
	s_waitcnt lgkmcnt(0)
	v_cmp_neq_f64_e32 vcc_lo, 0, v[117:118]
	v_cmp_neq_f64_e64 s5, 0, v[119:120]
	s_or_b32 s5, vcc_lo, s5
	s_and_b32 exec_lo, exec_lo, s5
	s_cbranch_execz .LBB125_378
; %bb.373:
	v_cmp_ngt_f64_e64 s5, |v[117:118]|, |v[119:120]|
                                        ; implicit-def: $vgpr1_vgpr2
	s_and_saveexec_b32 s7, s5
	s_xor_b32 s5, exec_lo, s7
                                        ; implicit-def: $vgpr3_vgpr4
	s_cbranch_execz .LBB125_375
; %bb.374:
	v_div_scale_f64 v[1:2], null, v[119:120], v[119:120], v[117:118]
	v_div_scale_f64 v[123:124], vcc_lo, v[117:118], v[119:120], v[117:118]
	v_rcp_f64_e32 v[3:4], v[1:2]
	v_fma_f64 v[121:122], -v[1:2], v[3:4], 1.0
	v_fma_f64 v[3:4], v[3:4], v[121:122], v[3:4]
	v_fma_f64 v[121:122], -v[1:2], v[3:4], 1.0
	v_fma_f64 v[3:4], v[3:4], v[121:122], v[3:4]
	v_mul_f64 v[121:122], v[123:124], v[3:4]
	v_fma_f64 v[1:2], -v[1:2], v[121:122], v[123:124]
	v_div_fmas_f64 v[1:2], v[1:2], v[3:4], v[121:122]
	v_div_fixup_f64 v[1:2], v[1:2], v[119:120], v[117:118]
	v_fma_f64 v[3:4], v[117:118], v[1:2], v[119:120]
	v_div_scale_f64 v[117:118], null, v[3:4], v[3:4], 1.0
	v_rcp_f64_e32 v[119:120], v[117:118]
	v_fma_f64 v[121:122], -v[117:118], v[119:120], 1.0
	v_fma_f64 v[119:120], v[119:120], v[121:122], v[119:120]
	v_fma_f64 v[121:122], -v[117:118], v[119:120], 1.0
	v_fma_f64 v[119:120], v[119:120], v[121:122], v[119:120]
	v_div_scale_f64 v[121:122], vcc_lo, 1.0, v[3:4], 1.0
	v_mul_f64 v[123:124], v[121:122], v[119:120]
	v_fma_f64 v[117:118], -v[117:118], v[123:124], v[121:122]
	v_div_fmas_f64 v[117:118], v[117:118], v[119:120], v[123:124]
	v_div_fixup_f64 v[3:4], v[117:118], v[3:4], 1.0
                                        ; implicit-def: $vgpr117_vgpr118
	v_mul_f64 v[1:2], v[1:2], v[3:4]
	v_xor_b32_e32 v4, 0x80000000, v4
.LBB125_375:
	s_andn2_saveexec_b32 s5, s5
	s_cbranch_execz .LBB125_377
; %bb.376:
	v_div_scale_f64 v[1:2], null, v[117:118], v[117:118], v[119:120]
	v_div_scale_f64 v[123:124], vcc_lo, v[119:120], v[117:118], v[119:120]
	v_rcp_f64_e32 v[3:4], v[1:2]
	v_fma_f64 v[121:122], -v[1:2], v[3:4], 1.0
	v_fma_f64 v[3:4], v[3:4], v[121:122], v[3:4]
	v_fma_f64 v[121:122], -v[1:2], v[3:4], 1.0
	v_fma_f64 v[3:4], v[3:4], v[121:122], v[3:4]
	v_mul_f64 v[121:122], v[123:124], v[3:4]
	v_fma_f64 v[1:2], -v[1:2], v[121:122], v[123:124]
	v_div_fmas_f64 v[1:2], v[1:2], v[3:4], v[121:122]
	v_div_fixup_f64 v[3:4], v[1:2], v[117:118], v[119:120]
	v_fma_f64 v[1:2], v[119:120], v[3:4], v[117:118]
	v_div_scale_f64 v[117:118], null, v[1:2], v[1:2], 1.0
	v_rcp_f64_e32 v[119:120], v[117:118]
	v_fma_f64 v[121:122], -v[117:118], v[119:120], 1.0
	v_fma_f64 v[119:120], v[119:120], v[121:122], v[119:120]
	v_fma_f64 v[121:122], -v[117:118], v[119:120], 1.0
	v_fma_f64 v[119:120], v[119:120], v[121:122], v[119:120]
	v_div_scale_f64 v[121:122], vcc_lo, 1.0, v[1:2], 1.0
	v_mul_f64 v[123:124], v[121:122], v[119:120]
	v_fma_f64 v[117:118], -v[117:118], v[123:124], v[121:122]
	v_div_fmas_f64 v[117:118], v[117:118], v[119:120], v[123:124]
	v_div_fixup_f64 v[1:2], v[117:118], v[1:2], 1.0
	v_mul_f64 v[3:4], v[3:4], -v[1:2]
.LBB125_377:
	s_or_b32 exec_lo, exec_lo, s5
	ds_write2_b64 v255, v[1:2], v[3:4] offset1:1
.LBB125_378:
	s_or_b32 exec_lo, exec_lo, s6
	s_waitcnt lgkmcnt(0)
	s_barrier
	buffer_gl0_inv
	ds_read2_b64 v[117:120], v255 offset1:1
	s_mov_b32 s5, exec_lo
	v_cmpx_lt_u32_e32 29, v0
	s_cbranch_execz .LBB125_381
; %bb.379:
	s_clause 0x3
	buffer_load_dword v1, off, s[0:3], 0 offset:472
	buffer_load_dword v2, off, s[0:3], 0 offset:476
	;; [unrolled: 1-line block ×4, first 2 shown]
	s_movk_i32 s6, 0x1e0
	s_waitcnt vmcnt(2) lgkmcnt(0)
	v_mul_f64 v[121:122], v[119:120], v[1:2]
	v_mul_f64 v[1:2], v[117:118], v[1:2]
	s_waitcnt vmcnt(0)
	v_fma_f64 v[121:122], v[117:118], v[3:4], -v[121:122]
	v_fma_f64 v[1:2], v[119:120], v[3:4], v[1:2]
	buffer_store_dword v121, off, s[0:3], 0 offset:464
	buffer_store_dword v122, off, s[0:3], 0 offset:468
	;; [unrolled: 1-line block ×4, first 2 shown]
.LBB125_380:                            ; =>This Inner Loop Header: Depth=1
	s_clause 0x3
	buffer_load_dword v121, off, s[0:3], 0 offset:472
	buffer_load_dword v122, off, s[0:3], 0 offset:476
	;; [unrolled: 1-line block ×4, first 2 shown]
	v_mov_b32_e32 v5, s6
	v_add_nc_u32_e32 v6, s6, v249
	s_add_i32 s6, s6, 48
	s_clause 0x3
	buffer_load_dword v125, v5, s[0:3], 0 offen
	buffer_load_dword v126, v5, s[0:3], 0 offen offset:4
	buffer_load_dword v127, v5, s[0:3], 0 offen offset:8
	;; [unrolled: 1-line block ×3, first 2 shown]
	ds_read2_b64 v[1:4], v6 offset1:1
	s_cmpk_lg_i32 s6, 0x3f0
	s_waitcnt vmcnt(6) lgkmcnt(0)
	v_mul_f64 v[129:130], v[3:4], v[121:122]
	v_mul_f64 v[121:122], v[1:2], v[121:122]
	s_waitcnt vmcnt(4)
	v_fma_f64 v[1:2], v[1:2], v[123:124], -v[129:130]
	v_fma_f64 v[3:4], v[3:4], v[123:124], v[121:122]
	s_waitcnt vmcnt(2)
	v_add_f64 v[1:2], v[125:126], -v[1:2]
	s_waitcnt vmcnt(0)
	v_add_f64 v[3:4], v[127:128], -v[3:4]
	buffer_store_dword v2, v5, s[0:3], 0 offen offset:4
	buffer_store_dword v1, v5, s[0:3], 0 offen
	buffer_store_dword v4, v5, s[0:3], 0 offen offset:12
	buffer_store_dword v3, v5, s[0:3], 0 offen offset:8
	s_clause 0x7
	buffer_load_dword v122, off, s[0:3], 0 offset:476
	buffer_load_dword v121, off, s[0:3], 0 offset:472
	buffer_load_dword v124, off, s[0:3], 0 offset:468
	buffer_load_dword v123, off, s[0:3], 0 offset:464
	buffer_load_dword v125, v5, s[0:3], 0 offen offset:16
	buffer_load_dword v126, v5, s[0:3], 0 offen offset:20
	;; [unrolled: 1-line block ×4, first 2 shown]
	ds_read2_b64 v[1:4], v6 offset0:2 offset1:3
	s_waitcnt vmcnt(6) lgkmcnt(0)
	v_mul_f64 v[129:130], v[3:4], v[121:122]
	v_mul_f64 v[121:122], v[1:2], v[121:122]
	s_waitcnt vmcnt(4)
	v_fma_f64 v[1:2], v[1:2], v[123:124], -v[129:130]
	v_fma_f64 v[3:4], v[3:4], v[123:124], v[121:122]
	s_waitcnt vmcnt(2)
	v_add_f64 v[1:2], v[125:126], -v[1:2]
	s_waitcnt vmcnt(0)
	v_add_f64 v[3:4], v[127:128], -v[3:4]
	buffer_store_dword v2, v5, s[0:3], 0 offen offset:20
	buffer_store_dword v1, v5, s[0:3], 0 offen offset:16
	;; [unrolled: 1-line block ×4, first 2 shown]
	s_clause 0x7
	buffer_load_dword v121, off, s[0:3], 0 offset:472
	buffer_load_dword v122, off, s[0:3], 0 offset:476
	;; [unrolled: 1-line block ×4, first 2 shown]
	buffer_load_dword v125, v5, s[0:3], 0 offen offset:32
	buffer_load_dword v126, v5, s[0:3], 0 offen offset:36
	;; [unrolled: 1-line block ×4, first 2 shown]
	ds_read2_b64 v[1:4], v6 offset0:4 offset1:5
	s_waitcnt vmcnt(6) lgkmcnt(0)
	v_mul_f64 v[129:130], v[3:4], v[121:122]
	v_mul_f64 v[121:122], v[1:2], v[121:122]
	s_waitcnt vmcnt(4)
	v_fma_f64 v[1:2], v[1:2], v[123:124], -v[129:130]
	v_fma_f64 v[3:4], v[3:4], v[123:124], v[121:122]
	s_waitcnt vmcnt(2)
	v_add_f64 v[1:2], v[125:126], -v[1:2]
	s_waitcnt vmcnt(0)
	v_add_f64 v[3:4], v[127:128], -v[3:4]
	buffer_store_dword v2, v5, s[0:3], 0 offen offset:36
	buffer_store_dword v1, v5, s[0:3], 0 offen offset:32
	;; [unrolled: 1-line block ×4, first 2 shown]
	s_cbranch_scc1 .LBB125_380
.LBB125_381:
	s_or_b32 exec_lo, exec_lo, s5
	s_mov_b32 s6, exec_lo
	s_waitcnt lgkmcnt(0)
	s_waitcnt_vscnt null, 0x0
	s_barrier
	buffer_gl0_inv
	v_cmpx_eq_u32_e32 30, v0
	s_cbranch_execz .LBB125_388
; %bb.382:
	v_mov_b32_e32 v4, s48
	s_clause 0x3
	buffer_load_dword v1, v4, s[0:3], 0 offen
	buffer_load_dword v2, v4, s[0:3], 0 offen offset:4
	buffer_load_dword v3, v4, s[0:3], 0 offen offset:8
	;; [unrolled: 1-line block ×3, first 2 shown]
	s_waitcnt vmcnt(0)
	ds_write2_b64 v255, v[1:2], v[3:4] offset1:1
	v_mov_b32_e32 v4, s47
	s_clause 0x3
	buffer_load_dword v1, v4, s[0:3], 0 offen
	buffer_load_dword v2, v4, s[0:3], 0 offen offset:4
	buffer_load_dword v3, v4, s[0:3], 0 offen offset:8
	buffer_load_dword v4, v4, s[0:3], 0 offen offset:12
	s_waitcnt vmcnt(0)
	ds_write2_b64 v249, v[1:2], v[3:4] offset0:62 offset1:63
	v_mov_b32_e32 v4, s46
	s_clause 0x3
	buffer_load_dword v1, v4, s[0:3], 0 offen
	buffer_load_dword v2, v4, s[0:3], 0 offen offset:4
	buffer_load_dword v3, v4, s[0:3], 0 offen offset:8
	buffer_load_dword v4, v4, s[0:3], 0 offen offset:12
	s_waitcnt vmcnt(0)
	ds_write2_b64 v249, v[1:2], v[3:4] offset0:64 offset1:65
	;; [unrolled: 8-line block ×32, first 2 shown]
	ds_read2_b64 v[121:124], v255 offset1:1
	s_waitcnt lgkmcnt(0)
	v_cmp_neq_f64_e32 vcc_lo, 0, v[121:122]
	v_cmp_neq_f64_e64 s5, 0, v[123:124]
	s_or_b32 s5, vcc_lo, s5
	s_and_b32 exec_lo, exec_lo, s5
	s_cbranch_execz .LBB125_388
; %bb.383:
	v_cmp_ngt_f64_e64 s5, |v[121:122]|, |v[123:124]|
                                        ; implicit-def: $vgpr1_vgpr2
	s_and_saveexec_b32 s7, s5
	s_xor_b32 s5, exec_lo, s7
                                        ; implicit-def: $vgpr3_vgpr4
	s_cbranch_execz .LBB125_385
; %bb.384:
	v_div_scale_f64 v[1:2], null, v[123:124], v[123:124], v[121:122]
	v_div_scale_f64 v[127:128], vcc_lo, v[121:122], v[123:124], v[121:122]
	v_rcp_f64_e32 v[3:4], v[1:2]
	v_fma_f64 v[125:126], -v[1:2], v[3:4], 1.0
	v_fma_f64 v[3:4], v[3:4], v[125:126], v[3:4]
	v_fma_f64 v[125:126], -v[1:2], v[3:4], 1.0
	v_fma_f64 v[3:4], v[3:4], v[125:126], v[3:4]
	v_mul_f64 v[125:126], v[127:128], v[3:4]
	v_fma_f64 v[1:2], -v[1:2], v[125:126], v[127:128]
	v_div_fmas_f64 v[1:2], v[1:2], v[3:4], v[125:126]
	v_div_fixup_f64 v[1:2], v[1:2], v[123:124], v[121:122]
	v_fma_f64 v[3:4], v[121:122], v[1:2], v[123:124]
	v_div_scale_f64 v[121:122], null, v[3:4], v[3:4], 1.0
	v_rcp_f64_e32 v[123:124], v[121:122]
	v_fma_f64 v[125:126], -v[121:122], v[123:124], 1.0
	v_fma_f64 v[123:124], v[123:124], v[125:126], v[123:124]
	v_fma_f64 v[125:126], -v[121:122], v[123:124], 1.0
	v_fma_f64 v[123:124], v[123:124], v[125:126], v[123:124]
	v_div_scale_f64 v[125:126], vcc_lo, 1.0, v[3:4], 1.0
	v_mul_f64 v[127:128], v[125:126], v[123:124]
	v_fma_f64 v[121:122], -v[121:122], v[127:128], v[125:126]
	v_div_fmas_f64 v[121:122], v[121:122], v[123:124], v[127:128]
	v_div_fixup_f64 v[3:4], v[121:122], v[3:4], 1.0
                                        ; implicit-def: $vgpr121_vgpr122
	v_mul_f64 v[1:2], v[1:2], v[3:4]
	v_xor_b32_e32 v4, 0x80000000, v4
.LBB125_385:
	s_andn2_saveexec_b32 s5, s5
	s_cbranch_execz .LBB125_387
; %bb.386:
	v_div_scale_f64 v[1:2], null, v[121:122], v[121:122], v[123:124]
	v_div_scale_f64 v[127:128], vcc_lo, v[123:124], v[121:122], v[123:124]
	v_rcp_f64_e32 v[3:4], v[1:2]
	v_fma_f64 v[125:126], -v[1:2], v[3:4], 1.0
	v_fma_f64 v[3:4], v[3:4], v[125:126], v[3:4]
	v_fma_f64 v[125:126], -v[1:2], v[3:4], 1.0
	v_fma_f64 v[3:4], v[3:4], v[125:126], v[3:4]
	v_mul_f64 v[125:126], v[127:128], v[3:4]
	v_fma_f64 v[1:2], -v[1:2], v[125:126], v[127:128]
	v_div_fmas_f64 v[1:2], v[1:2], v[3:4], v[125:126]
	v_div_fixup_f64 v[3:4], v[1:2], v[121:122], v[123:124]
	v_fma_f64 v[1:2], v[123:124], v[3:4], v[121:122]
	v_div_scale_f64 v[121:122], null, v[1:2], v[1:2], 1.0
	v_rcp_f64_e32 v[123:124], v[121:122]
	v_fma_f64 v[125:126], -v[121:122], v[123:124], 1.0
	v_fma_f64 v[123:124], v[123:124], v[125:126], v[123:124]
	v_fma_f64 v[125:126], -v[121:122], v[123:124], 1.0
	v_fma_f64 v[123:124], v[123:124], v[125:126], v[123:124]
	v_div_scale_f64 v[125:126], vcc_lo, 1.0, v[1:2], 1.0
	v_mul_f64 v[127:128], v[125:126], v[123:124]
	v_fma_f64 v[121:122], -v[121:122], v[127:128], v[125:126]
	v_div_fmas_f64 v[121:122], v[121:122], v[123:124], v[127:128]
	v_div_fixup_f64 v[1:2], v[121:122], v[1:2], 1.0
	v_mul_f64 v[3:4], v[3:4], -v[1:2]
.LBB125_387:
	s_or_b32 exec_lo, exec_lo, s5
	ds_write2_b64 v255, v[1:2], v[3:4] offset1:1
.LBB125_388:
	s_or_b32 exec_lo, exec_lo, s6
	s_waitcnt lgkmcnt(0)
	s_barrier
	buffer_gl0_inv
	ds_read2_b64 v[121:124], v255 offset1:1
	s_mov_b32 s5, exec_lo
	v_cmpx_lt_u32_e32 30, v0
	s_cbranch_execz .LBB125_391
; %bb.389:
	s_clause 0x3
	buffer_load_dword v1, off, s[0:3], 0 offset:488
	buffer_load_dword v2, off, s[0:3], 0 offset:492
	;; [unrolled: 1-line block ×4, first 2 shown]
	s_mov_b32 s6, 0
	s_waitcnt vmcnt(2) lgkmcnt(0)
	v_mul_f64 v[125:126], v[123:124], v[1:2]
	v_mul_f64 v[1:2], v[121:122], v[1:2]
	s_waitcnt vmcnt(0)
	v_fma_f64 v[125:126], v[121:122], v[3:4], -v[125:126]
	v_fma_f64 v[127:128], v[123:124], v[3:4], v[1:2]
	buffer_store_dword v125, off, s[0:3], 0 offset:480
	buffer_store_dword v126, off, s[0:3], 0 offset:484
	;; [unrolled: 1-line block ×4, first 2 shown]
.LBB125_390:                            ; =>This Inner Loop Header: Depth=1
	v_add3_u32 v1, v185, 0, 0x1f0
	v_mov_b32_e32 v6, s6
	v_add_nc_u32_e32 v5, s6, v1
	s_add_i32 s6, s6, 64
	s_cmpk_lg_i32 s6, 0x200
	ds_read2_b64 v[1:4], v5 offset1:1
	s_waitcnt lgkmcnt(0)
	v_mul_f64 v[129:130], v[3:4], v[127:128]
	v_fma_f64 v[129:130], v[1:2], v[125:126], -v[129:130]
	v_mul_f64 v[1:2], v[1:2], v[127:128]
	v_fma_f64 v[1:2], v[3:4], v[125:126], v[1:2]
	s_clause 0xf
	buffer_load_dword v3, v6, s[0:3], 0 offen offset:496
	buffer_load_dword v4, v6, s[0:3], 0 offen offset:500
	;; [unrolled: 1-line block ×16, first 2 shown]
	s_waitcnt vmcnt(14)
	v_add_f64 v[3:4], v[3:4], -v[129:130]
	s_waitcnt vmcnt(12)
	v_add_f64 v[1:2], v[131:132], -v[1:2]
	buffer_store_dword v3, v6, s[0:3], 0 offen offset:496
	buffer_store_dword v4, v6, s[0:3], 0 offen offset:500
	buffer_store_dword v1, v6, s[0:3], 0 offen offset:504
	buffer_store_dword v2, v6, s[0:3], 0 offen offset:508
	ds_read2_b64 v[1:4], v5 offset0:2 offset1:3
	s_waitcnt lgkmcnt(0)
	v_mul_f64 v[129:130], v[3:4], v[127:128]
	v_fma_f64 v[129:130], v[1:2], v[125:126], -v[129:130]
	v_mul_f64 v[1:2], v[1:2], v[127:128]
	v_fma_f64 v[1:2], v[3:4], v[125:126], v[1:2]
	s_waitcnt vmcnt(10)
	v_add_f64 v[3:4], v[133:134], -v[129:130]
	s_waitcnt vmcnt(8)
	v_add_f64 v[1:2], v[135:136], -v[1:2]
	buffer_store_dword v3, v6, s[0:3], 0 offen offset:512
	buffer_store_dword v4, v6, s[0:3], 0 offen offset:516
	buffer_store_dword v1, v6, s[0:3], 0 offen offset:520
	buffer_store_dword v2, v6, s[0:3], 0 offen offset:524
	ds_read2_b64 v[1:4], v5 offset0:4 offset1:5
	s_waitcnt lgkmcnt(0)
	v_mul_f64 v[129:130], v[3:4], v[127:128]
	v_fma_f64 v[129:130], v[1:2], v[125:126], -v[129:130]
	v_mul_f64 v[1:2], v[1:2], v[127:128]
	v_fma_f64 v[1:2], v[3:4], v[125:126], v[1:2]
	;; [unrolled: 14-line block ×3, first 2 shown]
	s_waitcnt vmcnt(2)
	v_add_f64 v[3:4], v[141:142], -v[129:130]
	s_waitcnt vmcnt(0)
	v_add_f64 v[1:2], v[143:144], -v[1:2]
	buffer_store_dword v4, v6, s[0:3], 0 offen offset:548
	buffer_store_dword v3, v6, s[0:3], 0 offen offset:544
	;; [unrolled: 1-line block ×4, first 2 shown]
	s_cbranch_scc1 .LBB125_390
.LBB125_391:
	s_or_b32 exec_lo, exec_lo, s5
	s_mov_b32 s6, exec_lo
	s_waitcnt lgkmcnt(0)
	s_waitcnt_vscnt null, 0x0
	s_barrier
	buffer_gl0_inv
	v_cmpx_eq_u32_e32 31, v0
	s_cbranch_execz .LBB125_398
; %bb.392:
	v_mov_b32_e32 v4, s47
	s_clause 0x3
	buffer_load_dword v1, v4, s[0:3], 0 offen
	buffer_load_dword v2, v4, s[0:3], 0 offen offset:4
	buffer_load_dword v3, v4, s[0:3], 0 offen offset:8
	buffer_load_dword v4, v4, s[0:3], 0 offen offset:12
	s_waitcnt vmcnt(0)
	ds_write2_b64 v255, v[1:2], v[3:4] offset1:1
	v_mov_b32_e32 v4, s46
	s_clause 0x3
	buffer_load_dword v1, v4, s[0:3], 0 offen
	buffer_load_dword v2, v4, s[0:3], 0 offen offset:4
	buffer_load_dword v3, v4, s[0:3], 0 offen offset:8
	buffer_load_dword v4, v4, s[0:3], 0 offen offset:12
	s_waitcnt vmcnt(0)
	ds_write2_b64 v249, v[1:2], v[3:4] offset0:64 offset1:65
	v_mov_b32_e32 v4, s45
	s_clause 0x3
	buffer_load_dword v1, v4, s[0:3], 0 offen
	buffer_load_dword v2, v4, s[0:3], 0 offen offset:4
	buffer_load_dword v3, v4, s[0:3], 0 offen offset:8
	buffer_load_dword v4, v4, s[0:3], 0 offen offset:12
	s_waitcnt vmcnt(0)
	ds_write2_b64 v249, v[1:2], v[3:4] offset0:66 offset1:67
	;; [unrolled: 8-line block ×31, first 2 shown]
	ds_read2_b64 v[125:128], v255 offset1:1
	s_waitcnt lgkmcnt(0)
	v_cmp_neq_f64_e32 vcc_lo, 0, v[125:126]
	v_cmp_neq_f64_e64 s5, 0, v[127:128]
	s_or_b32 s5, vcc_lo, s5
	s_and_b32 exec_lo, exec_lo, s5
	s_cbranch_execz .LBB125_398
; %bb.393:
	v_cmp_ngt_f64_e64 s5, |v[125:126]|, |v[127:128]|
                                        ; implicit-def: $vgpr1_vgpr2
	s_and_saveexec_b32 s7, s5
	s_xor_b32 s5, exec_lo, s7
                                        ; implicit-def: $vgpr3_vgpr4
	s_cbranch_execz .LBB125_395
; %bb.394:
	v_div_scale_f64 v[1:2], null, v[127:128], v[127:128], v[125:126]
	v_div_scale_f64 v[131:132], vcc_lo, v[125:126], v[127:128], v[125:126]
	v_rcp_f64_e32 v[3:4], v[1:2]
	v_fma_f64 v[129:130], -v[1:2], v[3:4], 1.0
	v_fma_f64 v[3:4], v[3:4], v[129:130], v[3:4]
	v_fma_f64 v[129:130], -v[1:2], v[3:4], 1.0
	v_fma_f64 v[3:4], v[3:4], v[129:130], v[3:4]
	v_mul_f64 v[129:130], v[131:132], v[3:4]
	v_fma_f64 v[1:2], -v[1:2], v[129:130], v[131:132]
	v_div_fmas_f64 v[1:2], v[1:2], v[3:4], v[129:130]
	v_div_fixup_f64 v[1:2], v[1:2], v[127:128], v[125:126]
	v_fma_f64 v[3:4], v[125:126], v[1:2], v[127:128]
	v_div_scale_f64 v[125:126], null, v[3:4], v[3:4], 1.0
	v_rcp_f64_e32 v[127:128], v[125:126]
	v_fma_f64 v[129:130], -v[125:126], v[127:128], 1.0
	v_fma_f64 v[127:128], v[127:128], v[129:130], v[127:128]
	v_fma_f64 v[129:130], -v[125:126], v[127:128], 1.0
	v_fma_f64 v[127:128], v[127:128], v[129:130], v[127:128]
	v_div_scale_f64 v[129:130], vcc_lo, 1.0, v[3:4], 1.0
	v_mul_f64 v[131:132], v[129:130], v[127:128]
	v_fma_f64 v[125:126], -v[125:126], v[131:132], v[129:130]
	v_div_fmas_f64 v[125:126], v[125:126], v[127:128], v[131:132]
	v_div_fixup_f64 v[3:4], v[125:126], v[3:4], 1.0
                                        ; implicit-def: $vgpr125_vgpr126
	v_mul_f64 v[1:2], v[1:2], v[3:4]
	v_xor_b32_e32 v4, 0x80000000, v4
.LBB125_395:
	s_andn2_saveexec_b32 s5, s5
	s_cbranch_execz .LBB125_397
; %bb.396:
	v_div_scale_f64 v[1:2], null, v[125:126], v[125:126], v[127:128]
	v_div_scale_f64 v[131:132], vcc_lo, v[127:128], v[125:126], v[127:128]
	v_rcp_f64_e32 v[3:4], v[1:2]
	v_fma_f64 v[129:130], -v[1:2], v[3:4], 1.0
	v_fma_f64 v[3:4], v[3:4], v[129:130], v[3:4]
	v_fma_f64 v[129:130], -v[1:2], v[3:4], 1.0
	v_fma_f64 v[3:4], v[3:4], v[129:130], v[3:4]
	v_mul_f64 v[129:130], v[131:132], v[3:4]
	v_fma_f64 v[1:2], -v[1:2], v[129:130], v[131:132]
	v_div_fmas_f64 v[1:2], v[1:2], v[3:4], v[129:130]
	v_div_fixup_f64 v[3:4], v[1:2], v[125:126], v[127:128]
	v_fma_f64 v[1:2], v[127:128], v[3:4], v[125:126]
	v_div_scale_f64 v[125:126], null, v[1:2], v[1:2], 1.0
	v_rcp_f64_e32 v[127:128], v[125:126]
	v_fma_f64 v[129:130], -v[125:126], v[127:128], 1.0
	v_fma_f64 v[127:128], v[127:128], v[129:130], v[127:128]
	v_fma_f64 v[129:130], -v[125:126], v[127:128], 1.0
	v_fma_f64 v[127:128], v[127:128], v[129:130], v[127:128]
	v_div_scale_f64 v[129:130], vcc_lo, 1.0, v[1:2], 1.0
	v_mul_f64 v[131:132], v[129:130], v[127:128]
	v_fma_f64 v[125:126], -v[125:126], v[131:132], v[129:130]
	v_div_fmas_f64 v[125:126], v[125:126], v[127:128], v[131:132]
	v_div_fixup_f64 v[1:2], v[125:126], v[1:2], 1.0
	v_mul_f64 v[3:4], v[3:4], -v[1:2]
.LBB125_397:
	s_or_b32 exec_lo, exec_lo, s5
	ds_write2_b64 v255, v[1:2], v[3:4] offset1:1
.LBB125_398:
	s_or_b32 exec_lo, exec_lo, s6
	s_waitcnt lgkmcnt(0)
	s_barrier
	buffer_gl0_inv
	ds_read2_b64 v[125:128], v255 offset1:1
	s_mov_b32 s5, exec_lo
	v_cmpx_lt_u32_e32 31, v0
	s_cbranch_execz .LBB125_403
; %bb.399:
	s_clause 0x3
	buffer_load_dword v1, off, s[0:3], 0 offset:504
	buffer_load_dword v2, off, s[0:3], 0 offset:508
	;; [unrolled: 1-line block ×4, first 2 shown]
	s_mov_b32 s6, 0
	s_waitcnt vmcnt(2) lgkmcnt(0)
	v_mul_f64 v[129:130], v[127:128], v[1:2]
	v_mul_f64 v[1:2], v[125:126], v[1:2]
	s_waitcnt vmcnt(0)
	v_fma_f64 v[129:130], v[125:126], v[3:4], -v[129:130]
	v_fma_f64 v[131:132], v[127:128], v[3:4], v[1:2]
	buffer_store_dword v129, off, s[0:3], 0 offset:496
	buffer_store_dword v130, off, s[0:3], 0 offset:500
	;; [unrolled: 1-line block ×4, first 2 shown]
	s_branch .LBB125_401
.LBB125_400:                            ;   in Loop: Header=BB125_401 Depth=1
	s_andn2_b32 vcc_lo, exec_lo, s8
	s_cbranch_vccz .LBB125_403
.LBB125_401:                            ; =>This Inner Loop Header: Depth=1
	v_add3_u32 v1, v185, 0, 0x200
	v_mov_b32_e32 v4, s6
	s_mov_b32 s7, s6
	s_mov_b32 s8, -1
	s_cmpk_eq_i32 s6, 0x1c0
	v_add_nc_u32_e32 v1, s6, v1
	ds_read2_b64 v[133:136], v1 offset1:1
	s_waitcnt lgkmcnt(0)
	v_mul_f64 v[2:3], v[135:136], v[131:132]
	v_fma_f64 v[2:3], v[133:134], v[129:130], -v[2:3]
	v_mul_f64 v[133:134], v[133:134], v[131:132]
	v_fma_f64 v[133:134], v[135:136], v[129:130], v[133:134]
	s_clause 0xb
	buffer_load_dword v135, v4, s[0:3], 0 offen offset:512
	buffer_load_dword v136, v4, s[0:3], 0 offen offset:516
	;; [unrolled: 1-line block ×12, first 2 shown]
	s_waitcnt vmcnt(10)
	v_add_f64 v[2:3], v[135:136], -v[2:3]
	s_waitcnt vmcnt(8)
	v_add_f64 v[133:134], v[137:138], -v[133:134]
	buffer_store_dword v2, v4, s[0:3], 0 offen offset:512
	buffer_store_dword v3, v4, s[0:3], 0 offen offset:516
	;; [unrolled: 1-line block ×4, first 2 shown]
	ds_read2_b64 v[133:136], v1 offset0:2 offset1:3
	s_waitcnt lgkmcnt(0)
	v_mul_f64 v[2:3], v[135:136], v[131:132]
	v_fma_f64 v[2:3], v[133:134], v[129:130], -v[2:3]
	v_mul_f64 v[133:134], v[133:134], v[131:132]
	s_waitcnt vmcnt(6)
	v_add_f64 v[2:3], v[139:140], -v[2:3]
	v_fma_f64 v[133:134], v[135:136], v[129:130], v[133:134]
	s_waitcnt vmcnt(4)
	v_add_f64 v[133:134], v[141:142], -v[133:134]
	buffer_store_dword v2, v4, s[0:3], 0 offen offset:528
	buffer_store_dword v3, v4, s[0:3], 0 offen offset:532
	;; [unrolled: 1-line block ×4, first 2 shown]
	ds_read2_b64 v[133:136], v1 offset0:4 offset1:5
	s_waitcnt lgkmcnt(0)
	v_mul_f64 v[2:3], v[135:136], v[131:132]
	v_fma_f64 v[2:3], v[133:134], v[129:130], -v[2:3]
	v_mul_f64 v[133:134], v[133:134], v[131:132]
	s_waitcnt vmcnt(2)
	v_add_f64 v[2:3], v[143:144], -v[2:3]
	v_fma_f64 v[133:134], v[135:136], v[129:130], v[133:134]
	s_waitcnt vmcnt(0)
	v_add_f64 v[133:134], v[145:146], -v[133:134]
	buffer_store_dword v2, v4, s[0:3], 0 offen offset:544
	buffer_store_dword v3, v4, s[0:3], 0 offen offset:548
	;; [unrolled: 1-line block ×4, first 2 shown]
	s_cbranch_scc1 .LBB125_400
; %bb.402:                              ;   in Loop: Header=BB125_401 Depth=1
	ds_read2_b64 v[1:4], v1 offset0:6 offset1:7
	v_mov_b32_e32 v5, s7
	s_add_i32 s6, s6, 64
	s_mov_b32 s8, 0
	s_waitcnt lgkmcnt(0)
	v_mul_f64 v[133:134], v[3:4], v[131:132]
	v_fma_f64 v[133:134], v[1:2], v[129:130], -v[133:134]
	v_mul_f64 v[1:2], v[1:2], v[131:132]
	v_fma_f64 v[1:2], v[3:4], v[129:130], v[1:2]
	s_clause 0x3
	buffer_load_dword v3, v5, s[0:3], 0 offen offset:560
	buffer_load_dword v4, v5, s[0:3], 0 offen offset:564
	buffer_load_dword v135, v5, s[0:3], 0 offen offset:568
	buffer_load_dword v136, v5, s[0:3], 0 offen offset:572
	s_waitcnt vmcnt(2)
	v_add_f64 v[3:4], v[3:4], -v[133:134]
	s_waitcnt vmcnt(0)
	v_add_f64 v[1:2], v[135:136], -v[1:2]
	buffer_store_dword v3, v5, s[0:3], 0 offen offset:560
	buffer_store_dword v4, v5, s[0:3], 0 offen offset:564
	;; [unrolled: 1-line block ×4, first 2 shown]
	s_branch .LBB125_400
.LBB125_403:
	s_or_b32 exec_lo, exec_lo, s5
	s_mov_b32 s6, exec_lo
	s_waitcnt lgkmcnt(0)
	s_waitcnt_vscnt null, 0x0
	s_barrier
	buffer_gl0_inv
	v_cmpx_eq_u32_e32 32, v0
	s_cbranch_execz .LBB125_410
; %bb.404:
	v_mov_b32_e32 v4, s46
	s_clause 0x3
	buffer_load_dword v1, v4, s[0:3], 0 offen
	buffer_load_dword v2, v4, s[0:3], 0 offen offset:4
	buffer_load_dword v3, v4, s[0:3], 0 offen offset:8
	buffer_load_dword v4, v4, s[0:3], 0 offen offset:12
	s_waitcnt vmcnt(0)
	ds_write2_b64 v255, v[1:2], v[3:4] offset1:1
	v_mov_b32_e32 v4, s45
	s_clause 0x3
	buffer_load_dword v1, v4, s[0:3], 0 offen
	buffer_load_dword v2, v4, s[0:3], 0 offen offset:4
	buffer_load_dword v3, v4, s[0:3], 0 offen offset:8
	buffer_load_dword v4, v4, s[0:3], 0 offen offset:12
	s_waitcnt vmcnt(0)
	ds_write2_b64 v249, v[1:2], v[3:4] offset0:66 offset1:67
	v_mov_b32_e32 v4, s44
	s_clause 0x3
	buffer_load_dword v1, v4, s[0:3], 0 offen
	buffer_load_dword v2, v4, s[0:3], 0 offen offset:4
	buffer_load_dword v3, v4, s[0:3], 0 offen offset:8
	buffer_load_dword v4, v4, s[0:3], 0 offen offset:12
	s_waitcnt vmcnt(0)
	ds_write2_b64 v249, v[1:2], v[3:4] offset0:68 offset1:69
	;; [unrolled: 8-line block ×30, first 2 shown]
	ds_read2_b64 v[129:132], v255 offset1:1
	s_waitcnt lgkmcnt(0)
	v_cmp_neq_f64_e32 vcc_lo, 0, v[129:130]
	v_cmp_neq_f64_e64 s5, 0, v[131:132]
	s_or_b32 s5, vcc_lo, s5
	s_and_b32 exec_lo, exec_lo, s5
	s_cbranch_execz .LBB125_410
; %bb.405:
	v_cmp_ngt_f64_e64 s5, |v[129:130]|, |v[131:132]|
                                        ; implicit-def: $vgpr1_vgpr2
	s_and_saveexec_b32 s7, s5
	s_xor_b32 s5, exec_lo, s7
                                        ; implicit-def: $vgpr3_vgpr4
	s_cbranch_execz .LBB125_407
; %bb.406:
	v_div_scale_f64 v[1:2], null, v[131:132], v[131:132], v[129:130]
	v_div_scale_f64 v[135:136], vcc_lo, v[129:130], v[131:132], v[129:130]
	v_rcp_f64_e32 v[3:4], v[1:2]
	v_fma_f64 v[133:134], -v[1:2], v[3:4], 1.0
	v_fma_f64 v[3:4], v[3:4], v[133:134], v[3:4]
	v_fma_f64 v[133:134], -v[1:2], v[3:4], 1.0
	v_fma_f64 v[3:4], v[3:4], v[133:134], v[3:4]
	v_mul_f64 v[133:134], v[135:136], v[3:4]
	v_fma_f64 v[1:2], -v[1:2], v[133:134], v[135:136]
	v_div_fmas_f64 v[1:2], v[1:2], v[3:4], v[133:134]
	v_div_fixup_f64 v[1:2], v[1:2], v[131:132], v[129:130]
	v_fma_f64 v[3:4], v[129:130], v[1:2], v[131:132]
	v_div_scale_f64 v[129:130], null, v[3:4], v[3:4], 1.0
	v_rcp_f64_e32 v[131:132], v[129:130]
	v_fma_f64 v[133:134], -v[129:130], v[131:132], 1.0
	v_fma_f64 v[131:132], v[131:132], v[133:134], v[131:132]
	v_fma_f64 v[133:134], -v[129:130], v[131:132], 1.0
	v_fma_f64 v[131:132], v[131:132], v[133:134], v[131:132]
	v_div_scale_f64 v[133:134], vcc_lo, 1.0, v[3:4], 1.0
	v_mul_f64 v[135:136], v[133:134], v[131:132]
	v_fma_f64 v[129:130], -v[129:130], v[135:136], v[133:134]
	v_div_fmas_f64 v[129:130], v[129:130], v[131:132], v[135:136]
	v_div_fixup_f64 v[3:4], v[129:130], v[3:4], 1.0
                                        ; implicit-def: $vgpr129_vgpr130
	v_mul_f64 v[1:2], v[1:2], v[3:4]
	v_xor_b32_e32 v4, 0x80000000, v4
.LBB125_407:
	s_andn2_saveexec_b32 s5, s5
	s_cbranch_execz .LBB125_409
; %bb.408:
	v_div_scale_f64 v[1:2], null, v[129:130], v[129:130], v[131:132]
	v_div_scale_f64 v[135:136], vcc_lo, v[131:132], v[129:130], v[131:132]
	v_rcp_f64_e32 v[3:4], v[1:2]
	v_fma_f64 v[133:134], -v[1:2], v[3:4], 1.0
	v_fma_f64 v[3:4], v[3:4], v[133:134], v[3:4]
	v_fma_f64 v[133:134], -v[1:2], v[3:4], 1.0
	v_fma_f64 v[3:4], v[3:4], v[133:134], v[3:4]
	v_mul_f64 v[133:134], v[135:136], v[3:4]
	v_fma_f64 v[1:2], -v[1:2], v[133:134], v[135:136]
	v_div_fmas_f64 v[1:2], v[1:2], v[3:4], v[133:134]
	v_div_fixup_f64 v[3:4], v[1:2], v[129:130], v[131:132]
	v_fma_f64 v[1:2], v[131:132], v[3:4], v[129:130]
	v_div_scale_f64 v[129:130], null, v[1:2], v[1:2], 1.0
	v_rcp_f64_e32 v[131:132], v[129:130]
	v_fma_f64 v[133:134], -v[129:130], v[131:132], 1.0
	v_fma_f64 v[131:132], v[131:132], v[133:134], v[131:132]
	v_fma_f64 v[133:134], -v[129:130], v[131:132], 1.0
	v_fma_f64 v[131:132], v[131:132], v[133:134], v[131:132]
	v_div_scale_f64 v[133:134], vcc_lo, 1.0, v[1:2], 1.0
	v_mul_f64 v[135:136], v[133:134], v[131:132]
	v_fma_f64 v[129:130], -v[129:130], v[135:136], v[133:134]
	v_div_fmas_f64 v[129:130], v[129:130], v[131:132], v[135:136]
	v_div_fixup_f64 v[1:2], v[129:130], v[1:2], 1.0
	v_mul_f64 v[3:4], v[3:4], -v[1:2]
.LBB125_409:
	s_or_b32 exec_lo, exec_lo, s5
	ds_write2_b64 v255, v[1:2], v[3:4] offset1:1
.LBB125_410:
	s_or_b32 exec_lo, exec_lo, s6
	s_waitcnt lgkmcnt(0)
	s_barrier
	buffer_gl0_inv
	ds_read2_b64 v[129:132], v255 offset1:1
	s_mov_b32 s5, exec_lo
	v_cmpx_lt_u32_e32 32, v0
	s_cbranch_execz .LBB125_413
; %bb.411:
	s_clause 0x3
	buffer_load_dword v1, off, s[0:3], 0 offset:520
	buffer_load_dword v2, off, s[0:3], 0 offset:524
	;; [unrolled: 1-line block ×4, first 2 shown]
	s_mov_b32 s6, 0
	s_waitcnt vmcnt(2) lgkmcnt(0)
	v_mul_f64 v[133:134], v[131:132], v[1:2]
	v_mul_f64 v[1:2], v[129:130], v[1:2]
	s_waitcnt vmcnt(0)
	v_fma_f64 v[133:134], v[129:130], v[3:4], -v[133:134]
	v_fma_f64 v[135:136], v[131:132], v[3:4], v[1:2]
	buffer_store_dword v133, off, s[0:3], 0 offset:512
	buffer_store_dword v134, off, s[0:3], 0 offset:516
	;; [unrolled: 1-line block ×4, first 2 shown]
.LBB125_412:                            ; =>This Inner Loop Header: Depth=1
	v_add3_u32 v1, v185, 0, 0x210
	v_mov_b32_e32 v6, s6
	v_add_nc_u32_e32 v5, s6, v1
	s_addk_i32 s6, 0x60
	s_cmpk_lg_i32 s6, 0x1e0
	ds_read2_b64 v[1:4], v5 offset1:1
	s_waitcnt lgkmcnt(0)
	v_mul_f64 v[137:138], v[3:4], v[135:136]
	v_fma_f64 v[137:138], v[1:2], v[133:134], -v[137:138]
	v_mul_f64 v[1:2], v[1:2], v[135:136]
	v_fma_f64 v[1:2], v[3:4], v[133:134], v[1:2]
	s_clause 0xf
	buffer_load_dword v3, v6, s[0:3], 0 offen offset:528
	buffer_load_dword v4, v6, s[0:3], 0 offen offset:532
	;; [unrolled: 1-line block ×16, first 2 shown]
	s_waitcnt vmcnt(14)
	v_add_f64 v[3:4], v[3:4], -v[137:138]
	s_waitcnt vmcnt(12)
	v_add_f64 v[1:2], v[139:140], -v[1:2]
	buffer_store_dword v3, v6, s[0:3], 0 offen offset:528
	buffer_store_dword v4, v6, s[0:3], 0 offen offset:532
	buffer_store_dword v1, v6, s[0:3], 0 offen offset:536
	buffer_store_dword v2, v6, s[0:3], 0 offen offset:540
	ds_read2_b64 v[1:4], v5 offset0:2 offset1:3
	s_waitcnt lgkmcnt(0)
	v_mul_f64 v[137:138], v[3:4], v[135:136]
	v_fma_f64 v[137:138], v[1:2], v[133:134], -v[137:138]
	v_mul_f64 v[1:2], v[1:2], v[135:136]
	v_fma_f64 v[1:2], v[3:4], v[133:134], v[1:2]
	s_waitcnt vmcnt(10)
	v_add_f64 v[3:4], v[141:142], -v[137:138]
	s_waitcnt vmcnt(8)
	v_add_f64 v[1:2], v[143:144], -v[1:2]
	buffer_store_dword v3, v6, s[0:3], 0 offen offset:544
	buffer_store_dword v4, v6, s[0:3], 0 offen offset:548
	buffer_store_dword v1, v6, s[0:3], 0 offen offset:552
	buffer_store_dword v2, v6, s[0:3], 0 offen offset:556
	ds_read2_b64 v[1:4], v5 offset0:4 offset1:5
	s_waitcnt lgkmcnt(0)
	v_mul_f64 v[137:138], v[3:4], v[135:136]
	v_fma_f64 v[137:138], v[1:2], v[133:134], -v[137:138]
	v_mul_f64 v[1:2], v[1:2], v[135:136]
	v_fma_f64 v[1:2], v[3:4], v[133:134], v[1:2]
	s_waitcnt vmcnt(6)
	v_add_f64 v[3:4], v[145:146], -v[137:138]
	s_waitcnt vmcnt(4)
	v_add_f64 v[1:2], v[147:148], -v[1:2]
	buffer_store_dword v3, v6, s[0:3], 0 offen offset:560
	buffer_store_dword v4, v6, s[0:3], 0 offen offset:564
	buffer_store_dword v1, v6, s[0:3], 0 offen offset:568
	buffer_store_dword v2, v6, s[0:3], 0 offen offset:572
	ds_read2_b64 v[1:4], v5 offset0:6 offset1:7
	s_waitcnt lgkmcnt(0)
	v_mul_f64 v[137:138], v[3:4], v[135:136]
	v_fma_f64 v[137:138], v[1:2], v[133:134], -v[137:138]
	v_mul_f64 v[1:2], v[1:2], v[135:136]
	v_fma_f64 v[1:2], v[3:4], v[133:134], v[1:2]
	s_waitcnt vmcnt(2)
	v_add_f64 v[3:4], v[149:150], -v[137:138]
	s_waitcnt vmcnt(0)
	v_add_f64 v[1:2], v[151:152], -v[1:2]
	buffer_store_dword v4, v6, s[0:3], 0 offen offset:580
	buffer_store_dword v3, v6, s[0:3], 0 offen offset:576
	buffer_store_dword v1, v6, s[0:3], 0 offen offset:584
	buffer_store_dword v2, v6, s[0:3], 0 offen offset:588
	ds_read2_b64 v[1:4], v5 offset0:8 offset1:9
	s_waitcnt lgkmcnt(0)
	v_mul_f64 v[137:138], v[3:4], v[135:136]
	v_fma_f64 v[137:138], v[1:2], v[133:134], -v[137:138]
	v_mul_f64 v[1:2], v[1:2], v[135:136]
	v_fma_f64 v[1:2], v[3:4], v[133:134], v[1:2]
	s_clause 0x3
	buffer_load_dword v3, v6, s[0:3], 0 offen offset:592
	buffer_load_dword v4, v6, s[0:3], 0 offen offset:596
	;; [unrolled: 1-line block ×4, first 2 shown]
	s_waitcnt vmcnt(2)
	v_add_f64 v[3:4], v[3:4], -v[137:138]
	s_waitcnt vmcnt(0)
	v_add_f64 v[1:2], v[139:140], -v[1:2]
	buffer_store_dword v4, v6, s[0:3], 0 offen offset:596
	buffer_store_dword v3, v6, s[0:3], 0 offen offset:592
	;; [unrolled: 1-line block ×4, first 2 shown]
	ds_read2_b64 v[1:4], v5 offset0:10 offset1:11
	s_waitcnt lgkmcnt(0)
	v_mul_f64 v[137:138], v[3:4], v[135:136]
	v_fma_f64 v[137:138], v[1:2], v[133:134], -v[137:138]
	v_mul_f64 v[1:2], v[1:2], v[135:136]
	v_fma_f64 v[1:2], v[3:4], v[133:134], v[1:2]
	s_clause 0x3
	buffer_load_dword v3, v6, s[0:3], 0 offen offset:608
	buffer_load_dword v4, v6, s[0:3], 0 offen offset:612
	;; [unrolled: 1-line block ×4, first 2 shown]
	s_waitcnt vmcnt(2)
	v_add_f64 v[3:4], v[3:4], -v[137:138]
	s_waitcnt vmcnt(0)
	v_add_f64 v[1:2], v[139:140], -v[1:2]
	buffer_store_dword v4, v6, s[0:3], 0 offen offset:612
	buffer_store_dword v3, v6, s[0:3], 0 offen offset:608
	;; [unrolled: 1-line block ×4, first 2 shown]
	s_cbranch_scc1 .LBB125_412
.LBB125_413:
	s_or_b32 exec_lo, exec_lo, s5
	s_mov_b32 s6, exec_lo
	s_waitcnt lgkmcnt(0)
	s_waitcnt_vscnt null, 0x0
	s_barrier
	buffer_gl0_inv
	v_cmpx_eq_u32_e32 33, v0
	s_cbranch_execz .LBB125_420
; %bb.414:
	v_mov_b32_e32 v4, s45
	s_clause 0x3
	buffer_load_dword v1, v4, s[0:3], 0 offen
	buffer_load_dword v2, v4, s[0:3], 0 offen offset:4
	buffer_load_dword v3, v4, s[0:3], 0 offen offset:8
	;; [unrolled: 1-line block ×3, first 2 shown]
	s_waitcnt vmcnt(0)
	ds_write2_b64 v255, v[1:2], v[3:4] offset1:1
	v_mov_b32_e32 v4, s44
	s_clause 0x3
	buffer_load_dword v1, v4, s[0:3], 0 offen
	buffer_load_dword v2, v4, s[0:3], 0 offen offset:4
	buffer_load_dword v3, v4, s[0:3], 0 offen offset:8
	buffer_load_dword v4, v4, s[0:3], 0 offen offset:12
	s_waitcnt vmcnt(0)
	ds_write2_b64 v249, v[1:2], v[3:4] offset0:68 offset1:69
	v_mov_b32_e32 v4, s43
	s_clause 0x3
	buffer_load_dword v1, v4, s[0:3], 0 offen
	buffer_load_dword v2, v4, s[0:3], 0 offen offset:4
	buffer_load_dword v3, v4, s[0:3], 0 offen offset:8
	buffer_load_dword v4, v4, s[0:3], 0 offen offset:12
	s_waitcnt vmcnt(0)
	ds_write2_b64 v249, v[1:2], v[3:4] offset0:70 offset1:71
	;; [unrolled: 8-line block ×29, first 2 shown]
	ds_read2_b64 v[133:136], v255 offset1:1
	s_waitcnt lgkmcnt(0)
	v_cmp_neq_f64_e32 vcc_lo, 0, v[133:134]
	v_cmp_neq_f64_e64 s5, 0, v[135:136]
	s_or_b32 s5, vcc_lo, s5
	s_and_b32 exec_lo, exec_lo, s5
	s_cbranch_execz .LBB125_420
; %bb.415:
	v_cmp_ngt_f64_e64 s5, |v[133:134]|, |v[135:136]|
                                        ; implicit-def: $vgpr1_vgpr2
	s_and_saveexec_b32 s7, s5
	s_xor_b32 s5, exec_lo, s7
                                        ; implicit-def: $vgpr3_vgpr4
	s_cbranch_execz .LBB125_417
; %bb.416:
	v_div_scale_f64 v[1:2], null, v[135:136], v[135:136], v[133:134]
	v_div_scale_f64 v[139:140], vcc_lo, v[133:134], v[135:136], v[133:134]
	v_rcp_f64_e32 v[3:4], v[1:2]
	v_fma_f64 v[137:138], -v[1:2], v[3:4], 1.0
	v_fma_f64 v[3:4], v[3:4], v[137:138], v[3:4]
	v_fma_f64 v[137:138], -v[1:2], v[3:4], 1.0
	v_fma_f64 v[3:4], v[3:4], v[137:138], v[3:4]
	v_mul_f64 v[137:138], v[139:140], v[3:4]
	v_fma_f64 v[1:2], -v[1:2], v[137:138], v[139:140]
	v_div_fmas_f64 v[1:2], v[1:2], v[3:4], v[137:138]
	v_div_fixup_f64 v[1:2], v[1:2], v[135:136], v[133:134]
	v_fma_f64 v[3:4], v[133:134], v[1:2], v[135:136]
	v_div_scale_f64 v[133:134], null, v[3:4], v[3:4], 1.0
	v_rcp_f64_e32 v[135:136], v[133:134]
	v_fma_f64 v[137:138], -v[133:134], v[135:136], 1.0
	v_fma_f64 v[135:136], v[135:136], v[137:138], v[135:136]
	v_fma_f64 v[137:138], -v[133:134], v[135:136], 1.0
	v_fma_f64 v[135:136], v[135:136], v[137:138], v[135:136]
	v_div_scale_f64 v[137:138], vcc_lo, 1.0, v[3:4], 1.0
	v_mul_f64 v[139:140], v[137:138], v[135:136]
	v_fma_f64 v[133:134], -v[133:134], v[139:140], v[137:138]
	v_div_fmas_f64 v[133:134], v[133:134], v[135:136], v[139:140]
	v_div_fixup_f64 v[3:4], v[133:134], v[3:4], 1.0
                                        ; implicit-def: $vgpr133_vgpr134
	v_mul_f64 v[1:2], v[1:2], v[3:4]
	v_xor_b32_e32 v4, 0x80000000, v4
.LBB125_417:
	s_andn2_saveexec_b32 s5, s5
	s_cbranch_execz .LBB125_419
; %bb.418:
	v_div_scale_f64 v[1:2], null, v[133:134], v[133:134], v[135:136]
	v_div_scale_f64 v[139:140], vcc_lo, v[135:136], v[133:134], v[135:136]
	v_rcp_f64_e32 v[3:4], v[1:2]
	v_fma_f64 v[137:138], -v[1:2], v[3:4], 1.0
	v_fma_f64 v[3:4], v[3:4], v[137:138], v[3:4]
	v_fma_f64 v[137:138], -v[1:2], v[3:4], 1.0
	v_fma_f64 v[3:4], v[3:4], v[137:138], v[3:4]
	v_mul_f64 v[137:138], v[139:140], v[3:4]
	v_fma_f64 v[1:2], -v[1:2], v[137:138], v[139:140]
	v_div_fmas_f64 v[1:2], v[1:2], v[3:4], v[137:138]
	v_div_fixup_f64 v[3:4], v[1:2], v[133:134], v[135:136]
	v_fma_f64 v[1:2], v[135:136], v[3:4], v[133:134]
	v_div_scale_f64 v[133:134], null, v[1:2], v[1:2], 1.0
	v_rcp_f64_e32 v[135:136], v[133:134]
	v_fma_f64 v[137:138], -v[133:134], v[135:136], 1.0
	v_fma_f64 v[135:136], v[135:136], v[137:138], v[135:136]
	v_fma_f64 v[137:138], -v[133:134], v[135:136], 1.0
	v_fma_f64 v[135:136], v[135:136], v[137:138], v[135:136]
	v_div_scale_f64 v[137:138], vcc_lo, 1.0, v[1:2], 1.0
	v_mul_f64 v[139:140], v[137:138], v[135:136]
	v_fma_f64 v[133:134], -v[133:134], v[139:140], v[137:138]
	v_div_fmas_f64 v[133:134], v[133:134], v[135:136], v[139:140]
	v_div_fixup_f64 v[1:2], v[133:134], v[1:2], 1.0
	v_mul_f64 v[3:4], v[3:4], -v[1:2]
.LBB125_419:
	s_or_b32 exec_lo, exec_lo, s5
	ds_write2_b64 v255, v[1:2], v[3:4] offset1:1
.LBB125_420:
	s_or_b32 exec_lo, exec_lo, s6
	s_waitcnt lgkmcnt(0)
	s_barrier
	buffer_gl0_inv
	ds_read2_b64 v[133:136], v255 offset1:1
	s_mov_b32 s5, exec_lo
	v_cmpx_lt_u32_e32 33, v0
	s_cbranch_execz .LBB125_425
; %bb.421:
	s_clause 0x3
	buffer_load_dword v1, off, s[0:3], 0 offset:536
	buffer_load_dword v2, off, s[0:3], 0 offset:540
	;; [unrolled: 1-line block ×4, first 2 shown]
	s_mov_b32 s6, 0
	s_waitcnt vmcnt(2) lgkmcnt(0)
	v_mul_f64 v[137:138], v[135:136], v[1:2]
	v_mul_f64 v[1:2], v[133:134], v[1:2]
	s_waitcnt vmcnt(0)
	v_fma_f64 v[137:138], v[133:134], v[3:4], -v[137:138]
	v_fma_f64 v[139:140], v[135:136], v[3:4], v[1:2]
	buffer_store_dword v137, off, s[0:3], 0 offset:528
	buffer_store_dword v138, off, s[0:3], 0 offset:532
	;; [unrolled: 1-line block ×4, first 2 shown]
	s_branch .LBB125_423
.LBB125_422:                            ;   in Loop: Header=BB125_423 Depth=1
	s_andn2_b32 vcc_lo, exec_lo, s8
	s_cbranch_vccz .LBB125_425
.LBB125_423:                            ; =>This Inner Loop Header: Depth=1
	v_add3_u32 v1, v185, 0, 0x220
	v_mov_b32_e32 v4, s6
	s_mov_b32 s7, s6
	s_mov_b32 s8, -1
	s_cmpk_eq_i32 s6, 0x1c0
	v_add_nc_u32_e32 v1, s6, v1
	ds_read2_b64 v[141:144], v1 offset1:1
	s_waitcnt lgkmcnt(0)
	v_mul_f64 v[2:3], v[143:144], v[139:140]
	v_fma_f64 v[2:3], v[141:142], v[137:138], -v[2:3]
	v_mul_f64 v[141:142], v[141:142], v[139:140]
	v_fma_f64 v[141:142], v[143:144], v[137:138], v[141:142]
	s_clause 0x3
	buffer_load_dword v143, v4, s[0:3], 0 offen offset:544
	buffer_load_dword v144, v4, s[0:3], 0 offen offset:548
	;; [unrolled: 1-line block ×4, first 2 shown]
	s_waitcnt vmcnt(2)
	v_add_f64 v[2:3], v[143:144], -v[2:3]
	s_waitcnt vmcnt(0)
	v_add_f64 v[141:142], v[145:146], -v[141:142]
	buffer_store_dword v2, v4, s[0:3], 0 offen offset:544
	buffer_store_dword v3, v4, s[0:3], 0 offen offset:548
	;; [unrolled: 1-line block ×4, first 2 shown]
	s_cbranch_scc1 .LBB125_422
; %bb.424:                              ;   in Loop: Header=BB125_423 Depth=1
	ds_read2_b64 v[141:144], v1 offset0:2 offset1:3
	v_mov_b32_e32 v5, s7
	s_add_i32 s6, s6, 64
	s_mov_b32 s8, 0
	s_waitcnt lgkmcnt(0)
	v_mul_f64 v[2:3], v[143:144], v[139:140]
	v_fma_f64 v[2:3], v[141:142], v[137:138], -v[2:3]
	v_mul_f64 v[141:142], v[141:142], v[139:140]
	v_fma_f64 v[141:142], v[143:144], v[137:138], v[141:142]
	s_clause 0xb
	buffer_load_dword v143, v5, s[0:3], 0 offen offset:560
	buffer_load_dword v144, v5, s[0:3], 0 offen offset:564
	;; [unrolled: 1-line block ×12, first 2 shown]
	s_waitcnt vmcnt(10)
	v_add_f64 v[2:3], v[143:144], -v[2:3]
	s_waitcnt vmcnt(8)
	v_add_f64 v[141:142], v[145:146], -v[141:142]
	buffer_store_dword v2, v5, s[0:3], 0 offen offset:560
	buffer_store_dword v3, v5, s[0:3], 0 offen offset:564
	;; [unrolled: 1-line block ×4, first 2 shown]
	ds_read2_b64 v[141:144], v1 offset0:4 offset1:5
	s_waitcnt lgkmcnt(0)
	v_mul_f64 v[2:3], v[143:144], v[139:140]
	v_fma_f64 v[2:3], v[141:142], v[137:138], -v[2:3]
	v_mul_f64 v[141:142], v[141:142], v[139:140]
	s_waitcnt vmcnt(6)
	v_add_f64 v[2:3], v[147:148], -v[2:3]
	v_fma_f64 v[141:142], v[143:144], v[137:138], v[141:142]
	s_waitcnt vmcnt(4)
	v_add_f64 v[141:142], v[149:150], -v[141:142]
	buffer_store_dword v2, v5, s[0:3], 0 offen offset:576
	buffer_store_dword v3, v5, s[0:3], 0 offen offset:580
	;; [unrolled: 1-line block ×4, first 2 shown]
	ds_read2_b64 v[1:4], v1 offset0:6 offset1:7
	s_waitcnt lgkmcnt(0)
	v_mul_f64 v[141:142], v[3:4], v[139:140]
	v_fma_f64 v[141:142], v[1:2], v[137:138], -v[141:142]
	v_mul_f64 v[1:2], v[1:2], v[139:140]
	v_fma_f64 v[1:2], v[3:4], v[137:138], v[1:2]
	s_waitcnt vmcnt(2)
	v_add_f64 v[3:4], v[151:152], -v[141:142]
	s_waitcnt vmcnt(0)
	v_add_f64 v[1:2], v[153:154], -v[1:2]
	buffer_store_dword v3, v5, s[0:3], 0 offen offset:592
	buffer_store_dword v4, v5, s[0:3], 0 offen offset:596
	;; [unrolled: 1-line block ×4, first 2 shown]
	s_branch .LBB125_422
.LBB125_425:
	s_or_b32 exec_lo, exec_lo, s5
	s_mov_b32 s6, exec_lo
	s_waitcnt lgkmcnt(0)
	s_waitcnt_vscnt null, 0x0
	s_barrier
	buffer_gl0_inv
	v_cmpx_eq_u32_e32 34, v0
	s_cbranch_execz .LBB125_432
; %bb.426:
	v_mov_b32_e32 v4, s44
	s_clause 0x3
	buffer_load_dword v1, v4, s[0:3], 0 offen
	buffer_load_dword v2, v4, s[0:3], 0 offen offset:4
	buffer_load_dword v3, v4, s[0:3], 0 offen offset:8
	;; [unrolled: 1-line block ×3, first 2 shown]
	s_waitcnt vmcnt(0)
	ds_write2_b64 v255, v[1:2], v[3:4] offset1:1
	v_mov_b32_e32 v4, s43
	s_clause 0x3
	buffer_load_dword v1, v4, s[0:3], 0 offen
	buffer_load_dword v2, v4, s[0:3], 0 offen offset:4
	buffer_load_dword v3, v4, s[0:3], 0 offen offset:8
	buffer_load_dword v4, v4, s[0:3], 0 offen offset:12
	s_waitcnt vmcnt(0)
	ds_write2_b64 v249, v[1:2], v[3:4] offset0:70 offset1:71
	v_mov_b32_e32 v4, s42
	s_clause 0x3
	buffer_load_dword v1, v4, s[0:3], 0 offen
	buffer_load_dword v2, v4, s[0:3], 0 offen offset:4
	buffer_load_dword v3, v4, s[0:3], 0 offen offset:8
	buffer_load_dword v4, v4, s[0:3], 0 offen offset:12
	s_waitcnt vmcnt(0)
	ds_write2_b64 v249, v[1:2], v[3:4] offset0:72 offset1:73
	;; [unrolled: 8-line block ×28, first 2 shown]
	ds_read2_b64 v[137:140], v255 offset1:1
	s_waitcnt lgkmcnt(0)
	v_cmp_neq_f64_e32 vcc_lo, 0, v[137:138]
	v_cmp_neq_f64_e64 s5, 0, v[139:140]
	s_or_b32 s5, vcc_lo, s5
	s_and_b32 exec_lo, exec_lo, s5
	s_cbranch_execz .LBB125_432
; %bb.427:
	v_cmp_ngt_f64_e64 s5, |v[137:138]|, |v[139:140]|
                                        ; implicit-def: $vgpr1_vgpr2
	s_and_saveexec_b32 s7, s5
	s_xor_b32 s5, exec_lo, s7
                                        ; implicit-def: $vgpr3_vgpr4
	s_cbranch_execz .LBB125_429
; %bb.428:
	v_div_scale_f64 v[1:2], null, v[139:140], v[139:140], v[137:138]
	v_div_scale_f64 v[143:144], vcc_lo, v[137:138], v[139:140], v[137:138]
	v_rcp_f64_e32 v[3:4], v[1:2]
	v_fma_f64 v[141:142], -v[1:2], v[3:4], 1.0
	v_fma_f64 v[3:4], v[3:4], v[141:142], v[3:4]
	v_fma_f64 v[141:142], -v[1:2], v[3:4], 1.0
	v_fma_f64 v[3:4], v[3:4], v[141:142], v[3:4]
	v_mul_f64 v[141:142], v[143:144], v[3:4]
	v_fma_f64 v[1:2], -v[1:2], v[141:142], v[143:144]
	v_div_fmas_f64 v[1:2], v[1:2], v[3:4], v[141:142]
	v_div_fixup_f64 v[1:2], v[1:2], v[139:140], v[137:138]
	v_fma_f64 v[3:4], v[137:138], v[1:2], v[139:140]
	v_div_scale_f64 v[137:138], null, v[3:4], v[3:4], 1.0
	v_rcp_f64_e32 v[139:140], v[137:138]
	v_fma_f64 v[141:142], -v[137:138], v[139:140], 1.0
	v_fma_f64 v[139:140], v[139:140], v[141:142], v[139:140]
	v_fma_f64 v[141:142], -v[137:138], v[139:140], 1.0
	v_fma_f64 v[139:140], v[139:140], v[141:142], v[139:140]
	v_div_scale_f64 v[141:142], vcc_lo, 1.0, v[3:4], 1.0
	v_mul_f64 v[143:144], v[141:142], v[139:140]
	v_fma_f64 v[137:138], -v[137:138], v[143:144], v[141:142]
	v_div_fmas_f64 v[137:138], v[137:138], v[139:140], v[143:144]
	v_div_fixup_f64 v[3:4], v[137:138], v[3:4], 1.0
                                        ; implicit-def: $vgpr137_vgpr138
	v_mul_f64 v[1:2], v[1:2], v[3:4]
	v_xor_b32_e32 v4, 0x80000000, v4
.LBB125_429:
	s_andn2_saveexec_b32 s5, s5
	s_cbranch_execz .LBB125_431
; %bb.430:
	v_div_scale_f64 v[1:2], null, v[137:138], v[137:138], v[139:140]
	v_div_scale_f64 v[143:144], vcc_lo, v[139:140], v[137:138], v[139:140]
	v_rcp_f64_e32 v[3:4], v[1:2]
	v_fma_f64 v[141:142], -v[1:2], v[3:4], 1.0
	v_fma_f64 v[3:4], v[3:4], v[141:142], v[3:4]
	v_fma_f64 v[141:142], -v[1:2], v[3:4], 1.0
	v_fma_f64 v[3:4], v[3:4], v[141:142], v[3:4]
	v_mul_f64 v[141:142], v[143:144], v[3:4]
	v_fma_f64 v[1:2], -v[1:2], v[141:142], v[143:144]
	v_div_fmas_f64 v[1:2], v[1:2], v[3:4], v[141:142]
	v_div_fixup_f64 v[3:4], v[1:2], v[137:138], v[139:140]
	v_fma_f64 v[1:2], v[139:140], v[3:4], v[137:138]
	v_div_scale_f64 v[137:138], null, v[1:2], v[1:2], 1.0
	v_rcp_f64_e32 v[139:140], v[137:138]
	v_fma_f64 v[141:142], -v[137:138], v[139:140], 1.0
	v_fma_f64 v[139:140], v[139:140], v[141:142], v[139:140]
	v_fma_f64 v[141:142], -v[137:138], v[139:140], 1.0
	v_fma_f64 v[139:140], v[139:140], v[141:142], v[139:140]
	v_div_scale_f64 v[141:142], vcc_lo, 1.0, v[1:2], 1.0
	v_mul_f64 v[143:144], v[141:142], v[139:140]
	v_fma_f64 v[137:138], -v[137:138], v[143:144], v[141:142]
	v_div_fmas_f64 v[137:138], v[137:138], v[139:140], v[143:144]
	v_div_fixup_f64 v[1:2], v[137:138], v[1:2], 1.0
	v_mul_f64 v[3:4], v[3:4], -v[1:2]
.LBB125_431:
	s_or_b32 exec_lo, exec_lo, s5
	ds_write2_b64 v255, v[1:2], v[3:4] offset1:1
.LBB125_432:
	s_or_b32 exec_lo, exec_lo, s6
	s_waitcnt lgkmcnt(0)
	s_barrier
	buffer_gl0_inv
	ds_read2_b64 v[137:140], v255 offset1:1
	s_mov_b32 s5, exec_lo
	v_cmpx_lt_u32_e32 34, v0
	s_cbranch_execz .LBB125_435
; %bb.433:
	s_clause 0x3
	buffer_load_dword v1, off, s[0:3], 0 offset:552
	buffer_load_dword v2, off, s[0:3], 0 offset:556
	;; [unrolled: 1-line block ×4, first 2 shown]
	s_mov_b32 s6, 0
	s_waitcnt vmcnt(2) lgkmcnt(0)
	v_mul_f64 v[141:142], v[139:140], v[1:2]
	v_mul_f64 v[1:2], v[137:138], v[1:2]
	s_waitcnt vmcnt(0)
	v_fma_f64 v[141:142], v[137:138], v[3:4], -v[141:142]
	v_fma_f64 v[143:144], v[139:140], v[3:4], v[1:2]
	buffer_store_dword v141, off, s[0:3], 0 offset:544
	buffer_store_dword v142, off, s[0:3], 0 offset:548
	;; [unrolled: 1-line block ×4, first 2 shown]
.LBB125_434:                            ; =>This Inner Loop Header: Depth=1
	v_add3_u32 v1, v185, 0, 0x230
	v_add_nc_u32_e32 v5, s6, v1
	ds_read2_b64 v[1:4], v5 offset1:1
	s_waitcnt lgkmcnt(0)
	v_mul_f64 v[145:146], v[3:4], v[143:144]
	v_fma_f64 v[145:146], v[1:2], v[141:142], -v[145:146]
	v_mul_f64 v[1:2], v[1:2], v[143:144]
	v_fma_f64 v[2:3], v[3:4], v[141:142], v[1:2]
	v_mov_b32_e32 v1, s6
	s_addk_i32 s6, 0x70
	s_clause 0xf
	buffer_load_dword v147, v1, s[0:3], 0 offen offset:560
	buffer_load_dword v148, v1, s[0:3], 0 offen offset:564
	;; [unrolled: 1-line block ×16, first 2 shown]
	s_cmpk_lg_i32 s6, 0x1c0
	s_waitcnt vmcnt(14)
	v_add_f64 v[145:146], v[147:148], -v[145:146]
	s_waitcnt vmcnt(12)
	v_add_f64 v[2:3], v[149:150], -v[2:3]
	buffer_store_dword v145, v1, s[0:3], 0 offen offset:560
	buffer_store_dword v146, v1, s[0:3], 0 offen offset:564
	buffer_store_dword v2, v1, s[0:3], 0 offen offset:568
	buffer_store_dword v3, v1, s[0:3], 0 offen offset:572
	ds_read2_b64 v[145:148], v5 offset0:2 offset1:3
	s_waitcnt lgkmcnt(0)
	v_mul_f64 v[2:3], v[147:148], v[143:144]
	v_fma_f64 v[2:3], v[145:146], v[141:142], -v[2:3]
	v_mul_f64 v[145:146], v[145:146], v[143:144]
	s_waitcnt vmcnt(10)
	v_add_f64 v[2:3], v[151:152], -v[2:3]
	v_fma_f64 v[145:146], v[147:148], v[141:142], v[145:146]
	s_waitcnt vmcnt(8)
	v_add_f64 v[145:146], v[153:154], -v[145:146]
	buffer_store_dword v2, v1, s[0:3], 0 offen offset:576
	buffer_store_dword v3, v1, s[0:3], 0 offen offset:580
	buffer_store_dword v145, v1, s[0:3], 0 offen offset:584
	buffer_store_dword v146, v1, s[0:3], 0 offen offset:588
	ds_read2_b64 v[145:148], v5 offset0:4 offset1:5
	s_waitcnt lgkmcnt(0)
	v_mul_f64 v[2:3], v[147:148], v[143:144]
	v_fma_f64 v[2:3], v[145:146], v[141:142], -v[2:3]
	v_mul_f64 v[145:146], v[145:146], v[143:144]
	s_waitcnt vmcnt(6)
	v_add_f64 v[2:3], v[155:156], -v[2:3]
	v_fma_f64 v[145:146], v[147:148], v[141:142], v[145:146]
	;; [unrolled: 14-line block ×3, first 2 shown]
	s_waitcnt vmcnt(0)
	v_add_f64 v[145:146], v[161:162], -v[145:146]
	buffer_store_dword v3, v1, s[0:3], 0 offen offset:612
	buffer_store_dword v2, v1, s[0:3], 0 offen offset:608
	;; [unrolled: 1-line block ×4, first 2 shown]
	ds_read2_b64 v[145:148], v5 offset0:8 offset1:9
	s_waitcnt lgkmcnt(0)
	v_mul_f64 v[2:3], v[147:148], v[143:144]
	v_fma_f64 v[2:3], v[145:146], v[141:142], -v[2:3]
	v_mul_f64 v[145:146], v[145:146], v[143:144]
	v_fma_f64 v[145:146], v[147:148], v[141:142], v[145:146]
	s_clause 0x3
	buffer_load_dword v147, v1, s[0:3], 0 offen offset:624
	buffer_load_dword v148, v1, s[0:3], 0 offen offset:628
	;; [unrolled: 1-line block ×4, first 2 shown]
	s_waitcnt vmcnt(2)
	v_add_f64 v[2:3], v[147:148], -v[2:3]
	s_waitcnt vmcnt(0)
	v_add_f64 v[145:146], v[149:150], -v[145:146]
	buffer_store_dword v3, v1, s[0:3], 0 offen offset:628
	buffer_store_dword v2, v1, s[0:3], 0 offen offset:624
	;; [unrolled: 1-line block ×4, first 2 shown]
	ds_read2_b64 v[145:148], v5 offset0:10 offset1:11
	s_waitcnt lgkmcnt(0)
	v_mul_f64 v[2:3], v[147:148], v[143:144]
	v_mul_f64 v[143:144], v[145:146], v[143:144]
	v_fma_f64 v[2:3], v[145:146], v[141:142], -v[2:3]
	v_fma_f64 v[141:142], v[147:148], v[141:142], v[143:144]
	s_clause 0x3
	buffer_load_dword v143, v1, s[0:3], 0 offen offset:640
	buffer_load_dword v144, v1, s[0:3], 0 offen offset:644
	;; [unrolled: 1-line block ×4, first 2 shown]
	s_waitcnt vmcnt(2)
	v_add_f64 v[2:3], v[143:144], -v[2:3]
	s_waitcnt vmcnt(0)
	v_add_f64 v[141:142], v[145:146], -v[141:142]
	buffer_store_dword v3, v1, s[0:3], 0 offen offset:644
	buffer_store_dword v2, v1, s[0:3], 0 offen offset:640
	;; [unrolled: 1-line block ×4, first 2 shown]
	ds_read2_b64 v[145:148], v5 offset0:12 offset1:13
	s_clause 0x3
	buffer_load_dword v141, off, s[0:3], 0 offset:544
	buffer_load_dword v142, off, s[0:3], 0 offset:548
	buffer_load_dword v143, off, s[0:3], 0 offset:552
	buffer_load_dword v144, off, s[0:3], 0 offset:556
	s_waitcnt vmcnt(0) lgkmcnt(0)
	v_mul_f64 v[2:3], v[147:148], v[143:144]
	v_fma_f64 v[2:3], v[145:146], v[141:142], -v[2:3]
	v_mul_f64 v[145:146], v[145:146], v[143:144]
	v_fma_f64 v[145:146], v[147:148], v[141:142], v[145:146]
	s_clause 0x3
	buffer_load_dword v147, v1, s[0:3], 0 offen offset:656
	buffer_load_dword v148, v1, s[0:3], 0 offen offset:660
	;; [unrolled: 1-line block ×4, first 2 shown]
	s_waitcnt vmcnt(2)
	v_add_f64 v[2:3], v[147:148], -v[2:3]
	s_waitcnt vmcnt(0)
	v_add_f64 v[145:146], v[149:150], -v[145:146]
	buffer_store_dword v3, v1, s[0:3], 0 offen offset:660
	buffer_store_dword v2, v1, s[0:3], 0 offen offset:656
	;; [unrolled: 1-line block ×4, first 2 shown]
	s_cbranch_scc1 .LBB125_434
.LBB125_435:
	s_or_b32 exec_lo, exec_lo, s5
	s_mov_b32 s6, exec_lo
	s_waitcnt lgkmcnt(0)
	s_waitcnt_vscnt null, 0x0
	s_barrier
	buffer_gl0_inv
	v_cmpx_eq_u32_e32 35, v0
	s_cbranch_execz .LBB125_442
; %bb.436:
	v_mov_b32_e32 v4, s43
	s_clause 0x3
	buffer_load_dword v1, v4, s[0:3], 0 offen
	buffer_load_dword v2, v4, s[0:3], 0 offen offset:4
	buffer_load_dword v3, v4, s[0:3], 0 offen offset:8
	;; [unrolled: 1-line block ×3, first 2 shown]
	s_waitcnt vmcnt(0)
	ds_write2_b64 v255, v[1:2], v[3:4] offset1:1
	v_mov_b32_e32 v4, s42
	s_clause 0x3
	buffer_load_dword v1, v4, s[0:3], 0 offen
	buffer_load_dword v2, v4, s[0:3], 0 offen offset:4
	buffer_load_dword v3, v4, s[0:3], 0 offen offset:8
	buffer_load_dword v4, v4, s[0:3], 0 offen offset:12
	s_waitcnt vmcnt(0)
	ds_write2_b64 v249, v[1:2], v[3:4] offset0:72 offset1:73
	v_mov_b32_e32 v4, s41
	s_clause 0x3
	buffer_load_dword v1, v4, s[0:3], 0 offen
	buffer_load_dword v2, v4, s[0:3], 0 offen offset:4
	buffer_load_dword v3, v4, s[0:3], 0 offen offset:8
	buffer_load_dword v4, v4, s[0:3], 0 offen offset:12
	s_waitcnt vmcnt(0)
	ds_write2_b64 v249, v[1:2], v[3:4] offset0:74 offset1:75
	;; [unrolled: 8-line block ×27, first 2 shown]
	ds_read2_b64 v[141:144], v255 offset1:1
	s_waitcnt lgkmcnt(0)
	v_cmp_neq_f64_e32 vcc_lo, 0, v[141:142]
	v_cmp_neq_f64_e64 s5, 0, v[143:144]
	s_or_b32 s5, vcc_lo, s5
	s_and_b32 exec_lo, exec_lo, s5
	s_cbranch_execz .LBB125_442
; %bb.437:
	v_cmp_ngt_f64_e64 s5, |v[141:142]|, |v[143:144]|
                                        ; implicit-def: $vgpr1_vgpr2
	s_and_saveexec_b32 s7, s5
	s_xor_b32 s5, exec_lo, s7
                                        ; implicit-def: $vgpr3_vgpr4
	s_cbranch_execz .LBB125_439
; %bb.438:
	v_div_scale_f64 v[1:2], null, v[143:144], v[143:144], v[141:142]
	v_div_scale_f64 v[147:148], vcc_lo, v[141:142], v[143:144], v[141:142]
	v_rcp_f64_e32 v[3:4], v[1:2]
	v_fma_f64 v[145:146], -v[1:2], v[3:4], 1.0
	v_fma_f64 v[3:4], v[3:4], v[145:146], v[3:4]
	v_fma_f64 v[145:146], -v[1:2], v[3:4], 1.0
	v_fma_f64 v[3:4], v[3:4], v[145:146], v[3:4]
	v_mul_f64 v[145:146], v[147:148], v[3:4]
	v_fma_f64 v[1:2], -v[1:2], v[145:146], v[147:148]
	v_div_fmas_f64 v[1:2], v[1:2], v[3:4], v[145:146]
	v_div_fixup_f64 v[1:2], v[1:2], v[143:144], v[141:142]
	v_fma_f64 v[3:4], v[141:142], v[1:2], v[143:144]
	v_div_scale_f64 v[141:142], null, v[3:4], v[3:4], 1.0
	v_rcp_f64_e32 v[143:144], v[141:142]
	v_fma_f64 v[145:146], -v[141:142], v[143:144], 1.0
	v_fma_f64 v[143:144], v[143:144], v[145:146], v[143:144]
	v_fma_f64 v[145:146], -v[141:142], v[143:144], 1.0
	v_fma_f64 v[143:144], v[143:144], v[145:146], v[143:144]
	v_div_scale_f64 v[145:146], vcc_lo, 1.0, v[3:4], 1.0
	v_mul_f64 v[147:148], v[145:146], v[143:144]
	v_fma_f64 v[141:142], -v[141:142], v[147:148], v[145:146]
	v_div_fmas_f64 v[141:142], v[141:142], v[143:144], v[147:148]
	v_div_fixup_f64 v[3:4], v[141:142], v[3:4], 1.0
                                        ; implicit-def: $vgpr141_vgpr142
	v_mul_f64 v[1:2], v[1:2], v[3:4]
	v_xor_b32_e32 v4, 0x80000000, v4
.LBB125_439:
	s_andn2_saveexec_b32 s5, s5
	s_cbranch_execz .LBB125_441
; %bb.440:
	v_div_scale_f64 v[1:2], null, v[141:142], v[141:142], v[143:144]
	v_div_scale_f64 v[147:148], vcc_lo, v[143:144], v[141:142], v[143:144]
	v_rcp_f64_e32 v[3:4], v[1:2]
	v_fma_f64 v[145:146], -v[1:2], v[3:4], 1.0
	v_fma_f64 v[3:4], v[3:4], v[145:146], v[3:4]
	v_fma_f64 v[145:146], -v[1:2], v[3:4], 1.0
	v_fma_f64 v[3:4], v[3:4], v[145:146], v[3:4]
	v_mul_f64 v[145:146], v[147:148], v[3:4]
	v_fma_f64 v[1:2], -v[1:2], v[145:146], v[147:148]
	v_div_fmas_f64 v[1:2], v[1:2], v[3:4], v[145:146]
	v_div_fixup_f64 v[3:4], v[1:2], v[141:142], v[143:144]
	v_fma_f64 v[1:2], v[143:144], v[3:4], v[141:142]
	v_div_scale_f64 v[141:142], null, v[1:2], v[1:2], 1.0
	v_rcp_f64_e32 v[143:144], v[141:142]
	v_fma_f64 v[145:146], -v[141:142], v[143:144], 1.0
	v_fma_f64 v[143:144], v[143:144], v[145:146], v[143:144]
	v_fma_f64 v[145:146], -v[141:142], v[143:144], 1.0
	v_fma_f64 v[143:144], v[143:144], v[145:146], v[143:144]
	v_div_scale_f64 v[145:146], vcc_lo, 1.0, v[1:2], 1.0
	v_mul_f64 v[147:148], v[145:146], v[143:144]
	v_fma_f64 v[141:142], -v[141:142], v[147:148], v[145:146]
	v_div_fmas_f64 v[141:142], v[141:142], v[143:144], v[147:148]
	v_div_fixup_f64 v[1:2], v[141:142], v[1:2], 1.0
	v_mul_f64 v[3:4], v[3:4], -v[1:2]
.LBB125_441:
	s_or_b32 exec_lo, exec_lo, s5
	ds_write2_b64 v255, v[1:2], v[3:4] offset1:1
.LBB125_442:
	s_or_b32 exec_lo, exec_lo, s6
	s_waitcnt lgkmcnt(0)
	s_barrier
	buffer_gl0_inv
	ds_read2_b64 v[141:144], v255 offset1:1
	s_mov_b32 s5, exec_lo
	v_cmpx_lt_u32_e32 35, v0
	s_cbranch_execz .LBB125_445
; %bb.443:
	s_clause 0x3
	buffer_load_dword v1, off, s[0:3], 0 offset:568
	buffer_load_dword v2, off, s[0:3], 0 offset:572
	;; [unrolled: 1-line block ×4, first 2 shown]
	s_mov_b32 s6, 0
	s_waitcnt vmcnt(2) lgkmcnt(0)
	v_mul_f64 v[145:146], v[143:144], v[1:2]
	v_mul_f64 v[1:2], v[141:142], v[1:2]
	s_waitcnt vmcnt(0)
	v_fma_f64 v[145:146], v[141:142], v[3:4], -v[145:146]
	v_fma_f64 v[147:148], v[143:144], v[3:4], v[1:2]
	buffer_store_dword v145, off, s[0:3], 0 offset:560
	buffer_store_dword v146, off, s[0:3], 0 offset:564
	;; [unrolled: 1-line block ×4, first 2 shown]
.LBB125_444:                            ; =>This Inner Loop Header: Depth=1
	v_add3_u32 v1, v185, 0, 0x240
	v_mov_b32_e32 v6, s6
	v_add_nc_u32_e32 v5, s6, v1
	s_add_i32 s6, s6, 48
	s_cmpk_lg_i32 s6, 0x1b0
	ds_read2_b64 v[1:4], v5 offset1:1
	s_waitcnt lgkmcnt(0)
	v_mul_f64 v[149:150], v[3:4], v[147:148]
	v_fma_f64 v[149:150], v[1:2], v[145:146], -v[149:150]
	v_mul_f64 v[1:2], v[1:2], v[147:148]
	v_fma_f64 v[1:2], v[3:4], v[145:146], v[1:2]
	s_clause 0xb
	buffer_load_dword v3, v6, s[0:3], 0 offen offset:576
	buffer_load_dword v4, v6, s[0:3], 0 offen offset:580
	;; [unrolled: 1-line block ×12, first 2 shown]
	s_waitcnt vmcnt(10)
	v_add_f64 v[3:4], v[3:4], -v[149:150]
	s_waitcnt vmcnt(8)
	v_add_f64 v[1:2], v[151:152], -v[1:2]
	buffer_store_dword v3, v6, s[0:3], 0 offen offset:576
	buffer_store_dword v4, v6, s[0:3], 0 offen offset:580
	;; [unrolled: 1-line block ×4, first 2 shown]
	ds_read2_b64 v[1:4], v5 offset0:2 offset1:3
	s_waitcnt lgkmcnt(0)
	v_mul_f64 v[149:150], v[3:4], v[147:148]
	v_fma_f64 v[149:150], v[1:2], v[145:146], -v[149:150]
	v_mul_f64 v[1:2], v[1:2], v[147:148]
	v_fma_f64 v[1:2], v[3:4], v[145:146], v[1:2]
	s_waitcnt vmcnt(6)
	v_add_f64 v[3:4], v[153:154], -v[149:150]
	s_waitcnt vmcnt(4)
	v_add_f64 v[1:2], v[155:156], -v[1:2]
	buffer_store_dword v3, v6, s[0:3], 0 offen offset:592
	buffer_store_dword v4, v6, s[0:3], 0 offen offset:596
	;; [unrolled: 1-line block ×4, first 2 shown]
	ds_read2_b64 v[1:4], v5 offset0:4 offset1:5
	s_waitcnt lgkmcnt(0)
	v_mul_f64 v[149:150], v[3:4], v[147:148]
	v_fma_f64 v[149:150], v[1:2], v[145:146], -v[149:150]
	v_mul_f64 v[1:2], v[1:2], v[147:148]
	v_fma_f64 v[1:2], v[3:4], v[145:146], v[1:2]
	s_waitcnt vmcnt(2)
	v_add_f64 v[3:4], v[157:158], -v[149:150]
	s_waitcnt vmcnt(0)
	v_add_f64 v[1:2], v[159:160], -v[1:2]
	buffer_store_dword v3, v6, s[0:3], 0 offen offset:608
	buffer_store_dword v4, v6, s[0:3], 0 offen offset:612
	;; [unrolled: 1-line block ×4, first 2 shown]
	s_cbranch_scc1 .LBB125_444
.LBB125_445:
	s_or_b32 exec_lo, exec_lo, s5
	s_mov_b32 s6, exec_lo
	s_waitcnt lgkmcnt(0)
	s_waitcnt_vscnt null, 0x0
	s_barrier
	buffer_gl0_inv
	v_cmpx_eq_u32_e32 36, v0
	s_cbranch_execz .LBB125_452
; %bb.446:
	v_mov_b32_e32 v4, s42
	s_clause 0x3
	buffer_load_dword v1, v4, s[0:3], 0 offen
	buffer_load_dword v2, v4, s[0:3], 0 offen offset:4
	buffer_load_dword v3, v4, s[0:3], 0 offen offset:8
	;; [unrolled: 1-line block ×3, first 2 shown]
	s_waitcnt vmcnt(0)
	ds_write2_b64 v255, v[1:2], v[3:4] offset1:1
	v_mov_b32_e32 v4, s41
	s_clause 0x3
	buffer_load_dword v1, v4, s[0:3], 0 offen
	buffer_load_dword v2, v4, s[0:3], 0 offen offset:4
	buffer_load_dword v3, v4, s[0:3], 0 offen offset:8
	buffer_load_dword v4, v4, s[0:3], 0 offen offset:12
	s_waitcnt vmcnt(0)
	ds_write2_b64 v249, v[1:2], v[3:4] offset0:74 offset1:75
	v_mov_b32_e32 v4, s40
	s_clause 0x3
	buffer_load_dword v1, v4, s[0:3], 0 offen
	buffer_load_dword v2, v4, s[0:3], 0 offen offset:4
	buffer_load_dword v3, v4, s[0:3], 0 offen offset:8
	buffer_load_dword v4, v4, s[0:3], 0 offen offset:12
	s_waitcnt vmcnt(0)
	ds_write2_b64 v249, v[1:2], v[3:4] offset0:76 offset1:77
	v_mov_b32_e32 v4, s39
	s_clause 0x3
	buffer_load_dword v1, v4, s[0:3], 0 offen
	buffer_load_dword v2, v4, s[0:3], 0 offen offset:4
	buffer_load_dword v3, v4, s[0:3], 0 offen offset:8
	buffer_load_dword v4, v4, s[0:3], 0 offen offset:12
	s_waitcnt vmcnt(0)
	ds_write2_b64 v249, v[1:2], v[3:4] offset0:78 offset1:79
	v_mov_b32_e32 v4, s38
	s_clause 0x3
	buffer_load_dword v1, v4, s[0:3], 0 offen
	buffer_load_dword v2, v4, s[0:3], 0 offen offset:4
	buffer_load_dword v3, v4, s[0:3], 0 offen offset:8
	buffer_load_dword v4, v4, s[0:3], 0 offen offset:12
	s_waitcnt vmcnt(0)
	ds_write2_b64 v249, v[1:2], v[3:4] offset0:80 offset1:81
	v_mov_b32_e32 v4, s37
	s_clause 0x3
	buffer_load_dword v1, v4, s[0:3], 0 offen
	buffer_load_dword v2, v4, s[0:3], 0 offen offset:4
	buffer_load_dword v3, v4, s[0:3], 0 offen offset:8
	buffer_load_dword v4, v4, s[0:3], 0 offen offset:12
	s_waitcnt vmcnt(0)
	ds_write2_b64 v249, v[1:2], v[3:4] offset0:82 offset1:83
	v_mov_b32_e32 v4, s36
	s_clause 0x3
	buffer_load_dword v1, v4, s[0:3], 0 offen
	buffer_load_dword v2, v4, s[0:3], 0 offen offset:4
	buffer_load_dword v3, v4, s[0:3], 0 offen offset:8
	buffer_load_dword v4, v4, s[0:3], 0 offen offset:12
	s_waitcnt vmcnt(0)
	ds_write2_b64 v249, v[1:2], v[3:4] offset0:84 offset1:85
	v_mov_b32_e32 v4, s35
	s_clause 0x3
	buffer_load_dword v1, v4, s[0:3], 0 offen
	buffer_load_dword v2, v4, s[0:3], 0 offen offset:4
	buffer_load_dword v3, v4, s[0:3], 0 offen offset:8
	buffer_load_dword v4, v4, s[0:3], 0 offen offset:12
	s_waitcnt vmcnt(0)
	ds_write2_b64 v249, v[1:2], v[3:4] offset0:86 offset1:87
	v_mov_b32_e32 v4, s34
	s_clause 0x3
	buffer_load_dword v1, v4, s[0:3], 0 offen
	buffer_load_dword v2, v4, s[0:3], 0 offen offset:4
	buffer_load_dword v3, v4, s[0:3], 0 offen offset:8
	buffer_load_dword v4, v4, s[0:3], 0 offen offset:12
	s_waitcnt vmcnt(0)
	ds_write2_b64 v249, v[1:2], v[3:4] offset0:88 offset1:89
	v_mov_b32_e32 v4, s33
	s_clause 0x3
	buffer_load_dword v1, v4, s[0:3], 0 offen
	buffer_load_dword v2, v4, s[0:3], 0 offen offset:4
	buffer_load_dword v3, v4, s[0:3], 0 offen offset:8
	buffer_load_dword v4, v4, s[0:3], 0 offen offset:12
	s_waitcnt vmcnt(0)
	ds_write2_b64 v249, v[1:2], v[3:4] offset0:90 offset1:91
	v_mov_b32_e32 v4, s31
	s_clause 0x3
	buffer_load_dword v1, v4, s[0:3], 0 offen
	buffer_load_dword v2, v4, s[0:3], 0 offen offset:4
	buffer_load_dword v3, v4, s[0:3], 0 offen offset:8
	buffer_load_dword v4, v4, s[0:3], 0 offen offset:12
	s_waitcnt vmcnt(0)
	ds_write2_b64 v249, v[1:2], v[3:4] offset0:92 offset1:93
	v_mov_b32_e32 v4, s30
	s_clause 0x3
	buffer_load_dword v1, v4, s[0:3], 0 offen
	buffer_load_dword v2, v4, s[0:3], 0 offen offset:4
	buffer_load_dword v3, v4, s[0:3], 0 offen offset:8
	buffer_load_dword v4, v4, s[0:3], 0 offen offset:12
	s_waitcnt vmcnt(0)
	ds_write2_b64 v249, v[1:2], v[3:4] offset0:94 offset1:95
	v_mov_b32_e32 v4, s29
	s_clause 0x3
	buffer_load_dword v1, v4, s[0:3], 0 offen
	buffer_load_dword v2, v4, s[0:3], 0 offen offset:4
	buffer_load_dword v3, v4, s[0:3], 0 offen offset:8
	buffer_load_dword v4, v4, s[0:3], 0 offen offset:12
	s_waitcnt vmcnt(0)
	ds_write2_b64 v249, v[1:2], v[3:4] offset0:96 offset1:97
	v_mov_b32_e32 v4, s28
	s_clause 0x3
	buffer_load_dword v1, v4, s[0:3], 0 offen
	buffer_load_dword v2, v4, s[0:3], 0 offen offset:4
	buffer_load_dword v3, v4, s[0:3], 0 offen offset:8
	buffer_load_dword v4, v4, s[0:3], 0 offen offset:12
	s_waitcnt vmcnt(0)
	ds_write2_b64 v249, v[1:2], v[3:4] offset0:98 offset1:99
	v_mov_b32_e32 v4, s27
	s_clause 0x3
	buffer_load_dword v1, v4, s[0:3], 0 offen
	buffer_load_dword v2, v4, s[0:3], 0 offen offset:4
	buffer_load_dword v3, v4, s[0:3], 0 offen offset:8
	buffer_load_dword v4, v4, s[0:3], 0 offen offset:12
	s_waitcnt vmcnt(0)
	ds_write2_b64 v249, v[1:2], v[3:4] offset0:100 offset1:101
	v_mov_b32_e32 v4, s26
	s_clause 0x3
	buffer_load_dword v1, v4, s[0:3], 0 offen
	buffer_load_dword v2, v4, s[0:3], 0 offen offset:4
	buffer_load_dword v3, v4, s[0:3], 0 offen offset:8
	buffer_load_dword v4, v4, s[0:3], 0 offen offset:12
	s_waitcnt vmcnt(0)
	ds_write2_b64 v249, v[1:2], v[3:4] offset0:102 offset1:103
	v_mov_b32_e32 v4, s25
	s_clause 0x3
	buffer_load_dword v1, v4, s[0:3], 0 offen
	buffer_load_dword v2, v4, s[0:3], 0 offen offset:4
	buffer_load_dword v3, v4, s[0:3], 0 offen offset:8
	buffer_load_dword v4, v4, s[0:3], 0 offen offset:12
	s_waitcnt vmcnt(0)
	ds_write2_b64 v249, v[1:2], v[3:4] offset0:104 offset1:105
	v_mov_b32_e32 v4, s24
	s_clause 0x3
	buffer_load_dword v1, v4, s[0:3], 0 offen
	buffer_load_dword v2, v4, s[0:3], 0 offen offset:4
	buffer_load_dword v3, v4, s[0:3], 0 offen offset:8
	buffer_load_dword v4, v4, s[0:3], 0 offen offset:12
	s_waitcnt vmcnt(0)
	ds_write2_b64 v249, v[1:2], v[3:4] offset0:106 offset1:107
	v_mov_b32_e32 v4, s23
	s_clause 0x3
	buffer_load_dword v1, v4, s[0:3], 0 offen
	buffer_load_dword v2, v4, s[0:3], 0 offen offset:4
	buffer_load_dword v3, v4, s[0:3], 0 offen offset:8
	buffer_load_dword v4, v4, s[0:3], 0 offen offset:12
	s_waitcnt vmcnt(0)
	ds_write2_b64 v249, v[1:2], v[3:4] offset0:108 offset1:109
	v_mov_b32_e32 v4, s22
	s_clause 0x3
	buffer_load_dword v1, v4, s[0:3], 0 offen
	buffer_load_dword v2, v4, s[0:3], 0 offen offset:4
	buffer_load_dword v3, v4, s[0:3], 0 offen offset:8
	buffer_load_dword v4, v4, s[0:3], 0 offen offset:12
	s_waitcnt vmcnt(0)
	ds_write2_b64 v249, v[1:2], v[3:4] offset0:110 offset1:111
	v_mov_b32_e32 v4, s21
	s_clause 0x3
	buffer_load_dword v1, v4, s[0:3], 0 offen
	buffer_load_dword v2, v4, s[0:3], 0 offen offset:4
	buffer_load_dword v3, v4, s[0:3], 0 offen offset:8
	buffer_load_dword v4, v4, s[0:3], 0 offen offset:12
	s_waitcnt vmcnt(0)
	ds_write2_b64 v249, v[1:2], v[3:4] offset0:112 offset1:113
	v_mov_b32_e32 v4, s20
	s_clause 0x3
	buffer_load_dword v1, v4, s[0:3], 0 offen
	buffer_load_dword v2, v4, s[0:3], 0 offen offset:4
	buffer_load_dword v3, v4, s[0:3], 0 offen offset:8
	buffer_load_dword v4, v4, s[0:3], 0 offen offset:12
	s_waitcnt vmcnt(0)
	ds_write2_b64 v249, v[1:2], v[3:4] offset0:114 offset1:115
	v_mov_b32_e32 v4, s19
	s_clause 0x3
	buffer_load_dword v1, v4, s[0:3], 0 offen
	buffer_load_dword v2, v4, s[0:3], 0 offen offset:4
	buffer_load_dword v3, v4, s[0:3], 0 offen offset:8
	buffer_load_dword v4, v4, s[0:3], 0 offen offset:12
	s_waitcnt vmcnt(0)
	ds_write2_b64 v249, v[1:2], v[3:4] offset0:116 offset1:117
	v_mov_b32_e32 v4, s18
	s_clause 0x3
	buffer_load_dword v1, v4, s[0:3], 0 offen
	buffer_load_dword v2, v4, s[0:3], 0 offen offset:4
	buffer_load_dword v3, v4, s[0:3], 0 offen offset:8
	buffer_load_dword v4, v4, s[0:3], 0 offen offset:12
	s_waitcnt vmcnt(0)
	ds_write2_b64 v249, v[1:2], v[3:4] offset0:118 offset1:119
	v_mov_b32_e32 v4, s16
	s_clause 0x3
	buffer_load_dword v1, v4, s[0:3], 0 offen
	buffer_load_dword v2, v4, s[0:3], 0 offen offset:4
	buffer_load_dword v3, v4, s[0:3], 0 offen offset:8
	buffer_load_dword v4, v4, s[0:3], 0 offen offset:12
	s_waitcnt vmcnt(0)
	ds_write2_b64 v249, v[1:2], v[3:4] offset0:120 offset1:121
	v_mov_b32_e32 v4, s13
	s_clause 0x3
	buffer_load_dword v1, v4, s[0:3], 0 offen
	buffer_load_dword v2, v4, s[0:3], 0 offen offset:4
	buffer_load_dword v3, v4, s[0:3], 0 offen offset:8
	buffer_load_dword v4, v4, s[0:3], 0 offen offset:12
	s_waitcnt vmcnt(0)
	ds_write2_b64 v249, v[1:2], v[3:4] offset0:122 offset1:123
	v_mov_b32_e32 v4, s12
	s_clause 0x3
	buffer_load_dword v1, v4, s[0:3], 0 offen
	buffer_load_dword v2, v4, s[0:3], 0 offen offset:4
	buffer_load_dword v3, v4, s[0:3], 0 offen offset:8
	buffer_load_dword v4, v4, s[0:3], 0 offen offset:12
	s_waitcnt vmcnt(0)
	ds_write2_b64 v249, v[1:2], v[3:4] offset0:124 offset1:125
	ds_read2_b64 v[145:148], v255 offset1:1
	s_waitcnt lgkmcnt(0)
	v_cmp_neq_f64_e32 vcc_lo, 0, v[145:146]
	v_cmp_neq_f64_e64 s5, 0, v[147:148]
	s_or_b32 s5, vcc_lo, s5
	s_and_b32 exec_lo, exec_lo, s5
	s_cbranch_execz .LBB125_452
; %bb.447:
	v_cmp_ngt_f64_e64 s5, |v[145:146]|, |v[147:148]|
                                        ; implicit-def: $vgpr1_vgpr2
	s_and_saveexec_b32 s7, s5
	s_xor_b32 s5, exec_lo, s7
                                        ; implicit-def: $vgpr3_vgpr4
	s_cbranch_execz .LBB125_449
; %bb.448:
	v_div_scale_f64 v[1:2], null, v[147:148], v[147:148], v[145:146]
	v_div_scale_f64 v[151:152], vcc_lo, v[145:146], v[147:148], v[145:146]
	v_rcp_f64_e32 v[3:4], v[1:2]
	v_fma_f64 v[149:150], -v[1:2], v[3:4], 1.0
	v_fma_f64 v[3:4], v[3:4], v[149:150], v[3:4]
	v_fma_f64 v[149:150], -v[1:2], v[3:4], 1.0
	v_fma_f64 v[3:4], v[3:4], v[149:150], v[3:4]
	v_mul_f64 v[149:150], v[151:152], v[3:4]
	v_fma_f64 v[1:2], -v[1:2], v[149:150], v[151:152]
	v_div_fmas_f64 v[1:2], v[1:2], v[3:4], v[149:150]
	v_div_fixup_f64 v[1:2], v[1:2], v[147:148], v[145:146]
	v_fma_f64 v[3:4], v[145:146], v[1:2], v[147:148]
	v_div_scale_f64 v[145:146], null, v[3:4], v[3:4], 1.0
	v_rcp_f64_e32 v[147:148], v[145:146]
	v_fma_f64 v[149:150], -v[145:146], v[147:148], 1.0
	v_fma_f64 v[147:148], v[147:148], v[149:150], v[147:148]
	v_fma_f64 v[149:150], -v[145:146], v[147:148], 1.0
	v_fma_f64 v[147:148], v[147:148], v[149:150], v[147:148]
	v_div_scale_f64 v[149:150], vcc_lo, 1.0, v[3:4], 1.0
	v_mul_f64 v[151:152], v[149:150], v[147:148]
	v_fma_f64 v[145:146], -v[145:146], v[151:152], v[149:150]
	v_div_fmas_f64 v[145:146], v[145:146], v[147:148], v[151:152]
	v_div_fixup_f64 v[3:4], v[145:146], v[3:4], 1.0
                                        ; implicit-def: $vgpr145_vgpr146
	v_mul_f64 v[1:2], v[1:2], v[3:4]
	v_xor_b32_e32 v4, 0x80000000, v4
.LBB125_449:
	s_andn2_saveexec_b32 s5, s5
	s_cbranch_execz .LBB125_451
; %bb.450:
	v_div_scale_f64 v[1:2], null, v[145:146], v[145:146], v[147:148]
	v_div_scale_f64 v[151:152], vcc_lo, v[147:148], v[145:146], v[147:148]
	v_rcp_f64_e32 v[3:4], v[1:2]
	v_fma_f64 v[149:150], -v[1:2], v[3:4], 1.0
	v_fma_f64 v[3:4], v[3:4], v[149:150], v[3:4]
	v_fma_f64 v[149:150], -v[1:2], v[3:4], 1.0
	v_fma_f64 v[3:4], v[3:4], v[149:150], v[3:4]
	v_mul_f64 v[149:150], v[151:152], v[3:4]
	v_fma_f64 v[1:2], -v[1:2], v[149:150], v[151:152]
	v_div_fmas_f64 v[1:2], v[1:2], v[3:4], v[149:150]
	v_div_fixup_f64 v[3:4], v[1:2], v[145:146], v[147:148]
	v_fma_f64 v[1:2], v[147:148], v[3:4], v[145:146]
	v_div_scale_f64 v[145:146], null, v[1:2], v[1:2], 1.0
	v_rcp_f64_e32 v[147:148], v[145:146]
	v_fma_f64 v[149:150], -v[145:146], v[147:148], 1.0
	v_fma_f64 v[147:148], v[147:148], v[149:150], v[147:148]
	v_fma_f64 v[149:150], -v[145:146], v[147:148], 1.0
	v_fma_f64 v[147:148], v[147:148], v[149:150], v[147:148]
	v_div_scale_f64 v[149:150], vcc_lo, 1.0, v[1:2], 1.0
	v_mul_f64 v[151:152], v[149:150], v[147:148]
	v_fma_f64 v[145:146], -v[145:146], v[151:152], v[149:150]
	v_div_fmas_f64 v[145:146], v[145:146], v[147:148], v[151:152]
	v_div_fixup_f64 v[1:2], v[145:146], v[1:2], 1.0
	v_mul_f64 v[3:4], v[3:4], -v[1:2]
.LBB125_451:
	s_or_b32 exec_lo, exec_lo, s5
	ds_write2_b64 v255, v[1:2], v[3:4] offset1:1
.LBB125_452:
	s_or_b32 exec_lo, exec_lo, s6
	s_waitcnt lgkmcnt(0)
	s_barrier
	buffer_gl0_inv
	ds_read2_b64 v[145:148], v255 offset1:1
	s_mov_b32 s5, exec_lo
	v_cmpx_lt_u32_e32 36, v0
	s_cbranch_execz .LBB125_455
; %bb.453:
	s_clause 0x3
	buffer_load_dword v1, off, s[0:3], 0 offset:584
	buffer_load_dword v2, off, s[0:3], 0 offset:588
	;; [unrolled: 1-line block ×4, first 2 shown]
	s_mov_b32 s6, 0
	s_waitcnt vmcnt(2) lgkmcnt(0)
	v_mul_f64 v[149:150], v[147:148], v[1:2]
	v_mul_f64 v[1:2], v[145:146], v[1:2]
	s_waitcnt vmcnt(0)
	v_fma_f64 v[149:150], v[145:146], v[3:4], -v[149:150]
	v_fma_f64 v[151:152], v[147:148], v[3:4], v[1:2]
	buffer_store_dword v149, off, s[0:3], 0 offset:576
	buffer_store_dword v150, off, s[0:3], 0 offset:580
	;; [unrolled: 1-line block ×4, first 2 shown]
.LBB125_454:                            ; =>This Inner Loop Header: Depth=1
	v_add3_u32 v1, v185, 0, 0x250
	v_mov_b32_e32 v6, s6
	v_add_nc_u32_e32 v5, s6, v1
	s_add_i32 s6, s6, 32
	s_cmpk_lg_i32 s6, 0x1a0
	ds_read2_b64 v[1:4], v5 offset1:1
	s_waitcnt lgkmcnt(0)
	v_mul_f64 v[153:154], v[3:4], v[151:152]
	v_fma_f64 v[153:154], v[1:2], v[149:150], -v[153:154]
	v_mul_f64 v[1:2], v[1:2], v[151:152]
	v_fma_f64 v[1:2], v[3:4], v[149:150], v[1:2]
	s_clause 0x7
	buffer_load_dword v3, v6, s[0:3], 0 offen offset:592
	buffer_load_dword v4, v6, s[0:3], 0 offen offset:596
	;; [unrolled: 1-line block ×8, first 2 shown]
	s_waitcnt vmcnt(6)
	v_add_f64 v[3:4], v[3:4], -v[153:154]
	s_waitcnt vmcnt(4)
	v_add_f64 v[1:2], v[155:156], -v[1:2]
	buffer_store_dword v3, v6, s[0:3], 0 offen offset:592
	buffer_store_dword v4, v6, s[0:3], 0 offen offset:596
	;; [unrolled: 1-line block ×4, first 2 shown]
	ds_read2_b64 v[1:4], v5 offset0:2 offset1:3
	s_waitcnt lgkmcnt(0)
	v_mul_f64 v[153:154], v[3:4], v[151:152]
	v_fma_f64 v[153:154], v[1:2], v[149:150], -v[153:154]
	v_mul_f64 v[1:2], v[1:2], v[151:152]
	v_fma_f64 v[1:2], v[3:4], v[149:150], v[1:2]
	s_waitcnt vmcnt(2)
	v_add_f64 v[3:4], v[157:158], -v[153:154]
	s_waitcnt vmcnt(0)
	v_add_f64 v[1:2], v[159:160], -v[1:2]
	buffer_store_dword v3, v6, s[0:3], 0 offen offset:608
	buffer_store_dword v4, v6, s[0:3], 0 offen offset:612
	;; [unrolled: 1-line block ×4, first 2 shown]
	s_cbranch_scc1 .LBB125_454
.LBB125_455:
	s_or_b32 exec_lo, exec_lo, s5
	s_mov_b32 s6, exec_lo
	s_waitcnt lgkmcnt(0)
	s_waitcnt_vscnt null, 0x0
	s_barrier
	buffer_gl0_inv
	v_cmpx_eq_u32_e32 37, v0
	s_cbranch_execz .LBB125_462
; %bb.456:
	v_mov_b32_e32 v4, s41
	s_clause 0x3
	buffer_load_dword v1, v4, s[0:3], 0 offen
	buffer_load_dword v2, v4, s[0:3], 0 offen offset:4
	buffer_load_dword v3, v4, s[0:3], 0 offen offset:8
	;; [unrolled: 1-line block ×3, first 2 shown]
	s_waitcnt vmcnt(0)
	ds_write2_b64 v255, v[1:2], v[3:4] offset1:1
	v_mov_b32_e32 v4, s40
	s_clause 0x3
	buffer_load_dword v1, v4, s[0:3], 0 offen
	buffer_load_dword v2, v4, s[0:3], 0 offen offset:4
	buffer_load_dword v3, v4, s[0:3], 0 offen offset:8
	buffer_load_dword v4, v4, s[0:3], 0 offen offset:12
	s_waitcnt vmcnt(0)
	ds_write2_b64 v249, v[1:2], v[3:4] offset0:76 offset1:77
	v_mov_b32_e32 v4, s39
	s_clause 0x3
	buffer_load_dword v1, v4, s[0:3], 0 offen
	buffer_load_dword v2, v4, s[0:3], 0 offen offset:4
	buffer_load_dword v3, v4, s[0:3], 0 offen offset:8
	buffer_load_dword v4, v4, s[0:3], 0 offen offset:12
	s_waitcnt vmcnt(0)
	ds_write2_b64 v249, v[1:2], v[3:4] offset0:78 offset1:79
	;; [unrolled: 8-line block ×25, first 2 shown]
	ds_read2_b64 v[149:152], v255 offset1:1
	s_waitcnt lgkmcnt(0)
	v_cmp_neq_f64_e32 vcc_lo, 0, v[149:150]
	v_cmp_neq_f64_e64 s5, 0, v[151:152]
	s_or_b32 s5, vcc_lo, s5
	s_and_b32 exec_lo, exec_lo, s5
	s_cbranch_execz .LBB125_462
; %bb.457:
	v_cmp_ngt_f64_e64 s5, |v[149:150]|, |v[151:152]|
                                        ; implicit-def: $vgpr1_vgpr2
	s_and_saveexec_b32 s7, s5
	s_xor_b32 s5, exec_lo, s7
                                        ; implicit-def: $vgpr3_vgpr4
	s_cbranch_execz .LBB125_459
; %bb.458:
	v_div_scale_f64 v[1:2], null, v[151:152], v[151:152], v[149:150]
	v_div_scale_f64 v[155:156], vcc_lo, v[149:150], v[151:152], v[149:150]
	v_rcp_f64_e32 v[3:4], v[1:2]
	v_fma_f64 v[153:154], -v[1:2], v[3:4], 1.0
	v_fma_f64 v[3:4], v[3:4], v[153:154], v[3:4]
	v_fma_f64 v[153:154], -v[1:2], v[3:4], 1.0
	v_fma_f64 v[3:4], v[3:4], v[153:154], v[3:4]
	v_mul_f64 v[153:154], v[155:156], v[3:4]
	v_fma_f64 v[1:2], -v[1:2], v[153:154], v[155:156]
	v_div_fmas_f64 v[1:2], v[1:2], v[3:4], v[153:154]
	v_div_fixup_f64 v[1:2], v[1:2], v[151:152], v[149:150]
	v_fma_f64 v[3:4], v[149:150], v[1:2], v[151:152]
	v_div_scale_f64 v[149:150], null, v[3:4], v[3:4], 1.0
	v_rcp_f64_e32 v[151:152], v[149:150]
	v_fma_f64 v[153:154], -v[149:150], v[151:152], 1.0
	v_fma_f64 v[151:152], v[151:152], v[153:154], v[151:152]
	v_fma_f64 v[153:154], -v[149:150], v[151:152], 1.0
	v_fma_f64 v[151:152], v[151:152], v[153:154], v[151:152]
	v_div_scale_f64 v[153:154], vcc_lo, 1.0, v[3:4], 1.0
	v_mul_f64 v[155:156], v[153:154], v[151:152]
	v_fma_f64 v[149:150], -v[149:150], v[155:156], v[153:154]
	v_div_fmas_f64 v[149:150], v[149:150], v[151:152], v[155:156]
	v_div_fixup_f64 v[3:4], v[149:150], v[3:4], 1.0
                                        ; implicit-def: $vgpr149_vgpr150
	v_mul_f64 v[1:2], v[1:2], v[3:4]
	v_xor_b32_e32 v4, 0x80000000, v4
.LBB125_459:
	s_andn2_saveexec_b32 s5, s5
	s_cbranch_execz .LBB125_461
; %bb.460:
	v_div_scale_f64 v[1:2], null, v[149:150], v[149:150], v[151:152]
	v_div_scale_f64 v[155:156], vcc_lo, v[151:152], v[149:150], v[151:152]
	v_rcp_f64_e32 v[3:4], v[1:2]
	v_fma_f64 v[153:154], -v[1:2], v[3:4], 1.0
	v_fma_f64 v[3:4], v[3:4], v[153:154], v[3:4]
	v_fma_f64 v[153:154], -v[1:2], v[3:4], 1.0
	v_fma_f64 v[3:4], v[3:4], v[153:154], v[3:4]
	v_mul_f64 v[153:154], v[155:156], v[3:4]
	v_fma_f64 v[1:2], -v[1:2], v[153:154], v[155:156]
	v_div_fmas_f64 v[1:2], v[1:2], v[3:4], v[153:154]
	v_div_fixup_f64 v[3:4], v[1:2], v[149:150], v[151:152]
	v_fma_f64 v[1:2], v[151:152], v[3:4], v[149:150]
	v_div_scale_f64 v[149:150], null, v[1:2], v[1:2], 1.0
	v_rcp_f64_e32 v[151:152], v[149:150]
	v_fma_f64 v[153:154], -v[149:150], v[151:152], 1.0
	v_fma_f64 v[151:152], v[151:152], v[153:154], v[151:152]
	v_fma_f64 v[153:154], -v[149:150], v[151:152], 1.0
	v_fma_f64 v[151:152], v[151:152], v[153:154], v[151:152]
	v_div_scale_f64 v[153:154], vcc_lo, 1.0, v[1:2], 1.0
	v_mul_f64 v[155:156], v[153:154], v[151:152]
	v_fma_f64 v[149:150], -v[149:150], v[155:156], v[153:154]
	v_div_fmas_f64 v[149:150], v[149:150], v[151:152], v[155:156]
	v_div_fixup_f64 v[1:2], v[149:150], v[1:2], 1.0
	v_mul_f64 v[3:4], v[3:4], -v[1:2]
.LBB125_461:
	s_or_b32 exec_lo, exec_lo, s5
	ds_write2_b64 v255, v[1:2], v[3:4] offset1:1
.LBB125_462:
	s_or_b32 exec_lo, exec_lo, s6
	buffer_store_dword v166, off, s[0:3], 0 offset:1040 ; 4-byte Folded Spill
	buffer_store_dword v167, off, s[0:3], 0 offset:1044 ; 4-byte Folded Spill
	s_waitcnt lgkmcnt(0)
	s_waitcnt_vscnt null, 0x0
	s_barrier
	buffer_gl0_inv
	ds_read2_b64 v[149:152], v255 offset1:1
	s_mov_b32 s5, exec_lo
	v_cmpx_lt_u32_e32 37, v0
	s_cbranch_execz .LBB125_465
; %bb.463:
	s_clause 0x3
	buffer_load_dword v1, off, s[0:3], 0 offset:600
	buffer_load_dword v2, off, s[0:3], 0 offset:604
	;; [unrolled: 1-line block ×4, first 2 shown]
	s_mov_b32 s6, 0
	s_waitcnt vmcnt(2) lgkmcnt(0)
	v_mul_f64 v[153:154], v[151:152], v[1:2]
	v_mul_f64 v[1:2], v[149:150], v[1:2]
	s_waitcnt vmcnt(0)
	v_fma_f64 v[153:154], v[149:150], v[3:4], -v[153:154]
	v_fma_f64 v[155:156], v[151:152], v[3:4], v[1:2]
	buffer_store_dword v153, off, s[0:3], 0 offset:592
	buffer_store_dword v154, off, s[0:3], 0 offset:596
	;; [unrolled: 1-line block ×4, first 2 shown]
.LBB125_464:                            ; =>This Inner Loop Header: Depth=1
	v_add3_u32 v1, v185, 0, 0x260
	v_mov_b32_e32 v6, s6
	v_add_nc_u32_e32 v5, s6, v1
	s_addk_i32 s6, 0x50
	s_cmpk_lg_i32 s6, 0x190
	ds_read2_b64 v[1:4], v5 offset1:1
	s_waitcnt lgkmcnt(0)
	v_mul_f64 v[157:158], v[3:4], v[155:156]
	v_fma_f64 v[157:158], v[1:2], v[153:154], -v[157:158]
	v_mul_f64 v[1:2], v[1:2], v[155:156]
	v_fma_f64 v[1:2], v[3:4], v[153:154], v[1:2]
	s_clause 0xf
	buffer_load_dword v3, v6, s[0:3], 0 offen offset:608
	buffer_load_dword v4, v6, s[0:3], 0 offen offset:612
	;; [unrolled: 1-line block ×16, first 2 shown]
	s_waitcnt vmcnt(14)
	v_add_f64 v[3:4], v[3:4], -v[157:158]
	s_waitcnt vmcnt(12)
	v_add_f64 v[1:2], v[159:160], -v[1:2]
	buffer_store_dword v3, v6, s[0:3], 0 offen offset:608
	buffer_store_dword v4, v6, s[0:3], 0 offen offset:612
	buffer_store_dword v1, v6, s[0:3], 0 offen offset:616
	buffer_store_dword v2, v6, s[0:3], 0 offen offset:620
	ds_read2_b64 v[1:4], v5 offset0:2 offset1:3
	s_waitcnt lgkmcnt(0)
	v_mul_f64 v[157:158], v[3:4], v[155:156]
	v_fma_f64 v[157:158], v[1:2], v[153:154], -v[157:158]
	v_mul_f64 v[1:2], v[1:2], v[155:156]
	v_fma_f64 v[1:2], v[3:4], v[153:154], v[1:2]
	s_waitcnt vmcnt(10)
	v_add_f64 v[3:4], v[161:162], -v[157:158]
	s_waitcnt vmcnt(8)
	v_add_f64 v[1:2], v[163:164], -v[1:2]
	buffer_store_dword v3, v6, s[0:3], 0 offen offset:624
	buffer_store_dword v4, v6, s[0:3], 0 offen offset:628
	buffer_store_dword v1, v6, s[0:3], 0 offen offset:632
	buffer_store_dword v2, v6, s[0:3], 0 offen offset:636
	ds_read2_b64 v[1:4], v5 offset0:4 offset1:5
	s_waitcnt lgkmcnt(0)
	v_mul_f64 v[157:158], v[3:4], v[155:156]
	v_fma_f64 v[157:158], v[1:2], v[153:154], -v[157:158]
	v_mul_f64 v[1:2], v[1:2], v[155:156]
	v_fma_f64 v[1:2], v[3:4], v[153:154], v[1:2]
	;; [unrolled: 14-line block ×4, first 2 shown]
	s_clause 0x3
	buffer_load_dword v3, v6, s[0:3], 0 offen offset:672
	buffer_load_dword v4, v6, s[0:3], 0 offen offset:676
	;; [unrolled: 1-line block ×4, first 2 shown]
	s_waitcnt vmcnt(2)
	v_add_f64 v[3:4], v[3:4], -v[157:158]
	s_waitcnt vmcnt(0)
	v_add_f64 v[1:2], v[159:160], -v[1:2]
	buffer_store_dword v4, v6, s[0:3], 0 offen offset:676
	buffer_store_dword v3, v6, s[0:3], 0 offen offset:672
	;; [unrolled: 1-line block ×4, first 2 shown]
	s_cbranch_scc1 .LBB125_464
.LBB125_465:
	s_or_b32 exec_lo, exec_lo, s5
	s_mov_b32 s6, exec_lo
	s_waitcnt lgkmcnt(0)
	s_waitcnt_vscnt null, 0x0
	s_barrier
	buffer_gl0_inv
	v_cmpx_eq_u32_e32 38, v0
	s_cbranch_execz .LBB125_472
; %bb.466:
	v_mov_b32_e32 v4, s40
	s_clause 0x3
	buffer_load_dword v1, v4, s[0:3], 0 offen
	buffer_load_dword v2, v4, s[0:3], 0 offen offset:4
	buffer_load_dword v3, v4, s[0:3], 0 offen offset:8
	;; [unrolled: 1-line block ×3, first 2 shown]
	s_waitcnt vmcnt(0)
	ds_write2_b64 v255, v[1:2], v[3:4] offset1:1
	v_mov_b32_e32 v4, s39
	s_clause 0x3
	buffer_load_dword v1, v4, s[0:3], 0 offen
	buffer_load_dword v2, v4, s[0:3], 0 offen offset:4
	buffer_load_dword v3, v4, s[0:3], 0 offen offset:8
	buffer_load_dword v4, v4, s[0:3], 0 offen offset:12
	s_waitcnt vmcnt(0)
	ds_write2_b64 v249, v[1:2], v[3:4] offset0:78 offset1:79
	v_mov_b32_e32 v4, s38
	s_clause 0x3
	buffer_load_dword v1, v4, s[0:3], 0 offen
	buffer_load_dword v2, v4, s[0:3], 0 offen offset:4
	buffer_load_dword v3, v4, s[0:3], 0 offen offset:8
	buffer_load_dword v4, v4, s[0:3], 0 offen offset:12
	s_waitcnt vmcnt(0)
	ds_write2_b64 v249, v[1:2], v[3:4] offset0:80 offset1:81
	;; [unrolled: 8-line block ×24, first 2 shown]
	ds_read2_b64 v[153:156], v255 offset1:1
	s_waitcnt lgkmcnt(0)
	v_cmp_neq_f64_e32 vcc_lo, 0, v[153:154]
	v_cmp_neq_f64_e64 s5, 0, v[155:156]
	s_or_b32 s5, vcc_lo, s5
	s_and_b32 exec_lo, exec_lo, s5
	s_cbranch_execz .LBB125_472
; %bb.467:
	v_cmp_ngt_f64_e64 s5, |v[153:154]|, |v[155:156]|
                                        ; implicit-def: $vgpr1_vgpr2
	s_and_saveexec_b32 s7, s5
	s_xor_b32 s5, exec_lo, s7
                                        ; implicit-def: $vgpr3_vgpr4
	s_cbranch_execz .LBB125_469
; %bb.468:
	v_div_scale_f64 v[1:2], null, v[155:156], v[155:156], v[153:154]
	v_div_scale_f64 v[159:160], vcc_lo, v[153:154], v[155:156], v[153:154]
	v_rcp_f64_e32 v[3:4], v[1:2]
	v_fma_f64 v[157:158], -v[1:2], v[3:4], 1.0
	v_fma_f64 v[3:4], v[3:4], v[157:158], v[3:4]
	v_fma_f64 v[157:158], -v[1:2], v[3:4], 1.0
	v_fma_f64 v[3:4], v[3:4], v[157:158], v[3:4]
	v_mul_f64 v[157:158], v[159:160], v[3:4]
	v_fma_f64 v[1:2], -v[1:2], v[157:158], v[159:160]
	v_div_fmas_f64 v[1:2], v[1:2], v[3:4], v[157:158]
	v_div_fixup_f64 v[1:2], v[1:2], v[155:156], v[153:154]
	v_fma_f64 v[3:4], v[153:154], v[1:2], v[155:156]
	v_div_scale_f64 v[153:154], null, v[3:4], v[3:4], 1.0
	v_rcp_f64_e32 v[155:156], v[153:154]
	v_fma_f64 v[157:158], -v[153:154], v[155:156], 1.0
	v_fma_f64 v[155:156], v[155:156], v[157:158], v[155:156]
	v_fma_f64 v[157:158], -v[153:154], v[155:156], 1.0
	v_fma_f64 v[155:156], v[155:156], v[157:158], v[155:156]
	v_div_scale_f64 v[157:158], vcc_lo, 1.0, v[3:4], 1.0
	v_mul_f64 v[159:160], v[157:158], v[155:156]
	v_fma_f64 v[153:154], -v[153:154], v[159:160], v[157:158]
	v_div_fmas_f64 v[153:154], v[153:154], v[155:156], v[159:160]
	v_div_fixup_f64 v[3:4], v[153:154], v[3:4], 1.0
                                        ; implicit-def: $vgpr153_vgpr154
	v_mul_f64 v[1:2], v[1:2], v[3:4]
	v_xor_b32_e32 v4, 0x80000000, v4
.LBB125_469:
	s_andn2_saveexec_b32 s5, s5
	s_cbranch_execz .LBB125_471
; %bb.470:
	v_div_scale_f64 v[1:2], null, v[153:154], v[153:154], v[155:156]
	v_div_scale_f64 v[159:160], vcc_lo, v[155:156], v[153:154], v[155:156]
	v_rcp_f64_e32 v[3:4], v[1:2]
	v_fma_f64 v[157:158], -v[1:2], v[3:4], 1.0
	v_fma_f64 v[3:4], v[3:4], v[157:158], v[3:4]
	v_fma_f64 v[157:158], -v[1:2], v[3:4], 1.0
	v_fma_f64 v[3:4], v[3:4], v[157:158], v[3:4]
	v_mul_f64 v[157:158], v[159:160], v[3:4]
	v_fma_f64 v[1:2], -v[1:2], v[157:158], v[159:160]
	v_div_fmas_f64 v[1:2], v[1:2], v[3:4], v[157:158]
	v_div_fixup_f64 v[3:4], v[1:2], v[153:154], v[155:156]
	v_fma_f64 v[1:2], v[155:156], v[3:4], v[153:154]
	v_div_scale_f64 v[153:154], null, v[1:2], v[1:2], 1.0
	v_rcp_f64_e32 v[155:156], v[153:154]
	v_fma_f64 v[157:158], -v[153:154], v[155:156], 1.0
	v_fma_f64 v[155:156], v[155:156], v[157:158], v[155:156]
	v_fma_f64 v[157:158], -v[153:154], v[155:156], 1.0
	v_fma_f64 v[155:156], v[155:156], v[157:158], v[155:156]
	v_div_scale_f64 v[157:158], vcc_lo, 1.0, v[1:2], 1.0
	v_mul_f64 v[159:160], v[157:158], v[155:156]
	v_fma_f64 v[153:154], -v[153:154], v[159:160], v[157:158]
	v_div_fmas_f64 v[153:154], v[153:154], v[155:156], v[159:160]
	v_div_fixup_f64 v[1:2], v[153:154], v[1:2], 1.0
	v_mul_f64 v[3:4], v[3:4], -v[1:2]
.LBB125_471:
	s_or_b32 exec_lo, exec_lo, s5
	ds_write2_b64 v255, v[1:2], v[3:4] offset1:1
.LBB125_472:
	s_or_b32 exec_lo, exec_lo, s6
	s_waitcnt lgkmcnt(0)
	s_barrier
	buffer_gl0_inv
	ds_read2_b64 v[153:156], v255 offset1:1
	s_mov_b32 s5, exec_lo
	v_cmpx_lt_u32_e32 38, v0
	s_cbranch_execz .LBB125_475
; %bb.473:
	s_clause 0x3
	buffer_load_dword v1, off, s[0:3], 0 offset:616
	buffer_load_dword v2, off, s[0:3], 0 offset:620
	;; [unrolled: 1-line block ×4, first 2 shown]
	s_mov_b32 s6, 0
	s_waitcnt vmcnt(2) lgkmcnt(0)
	v_mul_f64 v[157:158], v[155:156], v[1:2]
	v_mul_f64 v[1:2], v[153:154], v[1:2]
	s_waitcnt vmcnt(0)
	v_fma_f64 v[157:158], v[153:154], v[3:4], -v[157:158]
	v_fma_f64 v[159:160], v[155:156], v[3:4], v[1:2]
	buffer_store_dword v157, off, s[0:3], 0 offset:608
	buffer_store_dword v158, off, s[0:3], 0 offset:612
	;; [unrolled: 1-line block ×4, first 2 shown]
.LBB125_474:                            ; =>This Inner Loop Header: Depth=1
	v_add3_u32 v1, v185, 0, 0x270
	v_mov_b32_e32 v6, s6
	v_add_nc_u32_e32 v5, s6, v1
	s_addk_i32 s6, 0x60
	s_cmpk_lg_i32 s6, 0x180
	ds_read2_b64 v[1:4], v5 offset1:1
	s_waitcnt lgkmcnt(0)
	v_mul_f64 v[161:162], v[3:4], v[159:160]
	v_fma_f64 v[161:162], v[1:2], v[157:158], -v[161:162]
	v_mul_f64 v[1:2], v[1:2], v[159:160]
	v_fma_f64 v[1:2], v[3:4], v[157:158], v[1:2]
	s_clause 0xf
	buffer_load_dword v3, v6, s[0:3], 0 offen offset:624
	buffer_load_dword v4, v6, s[0:3], 0 offen offset:628
	;; [unrolled: 1-line block ×16, first 2 shown]
	s_waitcnt vmcnt(14)
	v_add_f64 v[3:4], v[3:4], -v[161:162]
	s_waitcnt vmcnt(12)
	v_add_f64 v[1:2], v[163:164], -v[1:2]
	buffer_store_dword v3, v6, s[0:3], 0 offen offset:624
	buffer_store_dword v4, v6, s[0:3], 0 offen offset:628
	buffer_store_dword v1, v6, s[0:3], 0 offen offset:632
	buffer_store_dword v2, v6, s[0:3], 0 offen offset:636
	ds_read2_b64 v[1:4], v5 offset0:2 offset1:3
	s_waitcnt lgkmcnt(0)
	v_mul_f64 v[161:162], v[3:4], v[159:160]
	v_fma_f64 v[161:162], v[1:2], v[157:158], -v[161:162]
	v_mul_f64 v[1:2], v[1:2], v[159:160]
	v_fma_f64 v[1:2], v[3:4], v[157:158], v[1:2]
	s_waitcnt vmcnt(10)
	v_add_f64 v[3:4], v[165:166], -v[161:162]
	s_waitcnt vmcnt(8)
	v_add_f64 v[1:2], v[167:168], -v[1:2]
	buffer_store_dword v3, v6, s[0:3], 0 offen offset:640
	buffer_store_dword v4, v6, s[0:3], 0 offen offset:644
	buffer_store_dword v1, v6, s[0:3], 0 offen offset:648
	buffer_store_dword v2, v6, s[0:3], 0 offen offset:652
	ds_read2_b64 v[1:4], v5 offset0:4 offset1:5
	s_waitcnt lgkmcnt(0)
	v_mul_f64 v[161:162], v[3:4], v[159:160]
	v_fma_f64 v[161:162], v[1:2], v[157:158], -v[161:162]
	v_mul_f64 v[1:2], v[1:2], v[159:160]
	v_fma_f64 v[1:2], v[3:4], v[157:158], v[1:2]
	;; [unrolled: 14-line block ×4, first 2 shown]
	s_clause 0x3
	buffer_load_dword v3, v6, s[0:3], 0 offen offset:688
	buffer_load_dword v4, v6, s[0:3], 0 offen offset:692
	;; [unrolled: 1-line block ×4, first 2 shown]
	s_waitcnt vmcnt(2)
	v_add_f64 v[3:4], v[3:4], -v[161:162]
	s_waitcnt vmcnt(0)
	v_add_f64 v[1:2], v[163:164], -v[1:2]
	buffer_store_dword v4, v6, s[0:3], 0 offen offset:692
	buffer_store_dword v3, v6, s[0:3], 0 offen offset:688
	;; [unrolled: 1-line block ×4, first 2 shown]
	ds_read2_b64 v[1:4], v5 offset0:10 offset1:11
	s_waitcnt lgkmcnt(0)
	v_mul_f64 v[161:162], v[3:4], v[159:160]
	v_fma_f64 v[161:162], v[1:2], v[157:158], -v[161:162]
	v_mul_f64 v[1:2], v[1:2], v[159:160]
	v_fma_f64 v[1:2], v[3:4], v[157:158], v[1:2]
	s_clause 0x3
	buffer_load_dword v3, v6, s[0:3], 0 offen offset:704
	buffer_load_dword v4, v6, s[0:3], 0 offen offset:708
	;; [unrolled: 1-line block ×4, first 2 shown]
	s_waitcnt vmcnt(2)
	v_add_f64 v[3:4], v[3:4], -v[161:162]
	s_waitcnt vmcnt(0)
	v_add_f64 v[1:2], v[163:164], -v[1:2]
	buffer_store_dword v4, v6, s[0:3], 0 offen offset:708
	buffer_store_dword v3, v6, s[0:3], 0 offen offset:704
	;; [unrolled: 1-line block ×4, first 2 shown]
	s_cbranch_scc1 .LBB125_474
.LBB125_475:
	s_or_b32 exec_lo, exec_lo, s5
	s_mov_b32 s6, exec_lo
	s_waitcnt lgkmcnt(0)
	s_waitcnt_vscnt null, 0x0
	s_barrier
	buffer_gl0_inv
	v_cmpx_eq_u32_e32 39, v0
	s_cbranch_execz .LBB125_482
; %bb.476:
	v_mov_b32_e32 v4, s39
	s_clause 0x3
	buffer_load_dword v1, v4, s[0:3], 0 offen
	buffer_load_dword v2, v4, s[0:3], 0 offen offset:4
	buffer_load_dword v3, v4, s[0:3], 0 offen offset:8
	;; [unrolled: 1-line block ×3, first 2 shown]
	s_waitcnt vmcnt(0)
	ds_write2_b64 v255, v[1:2], v[3:4] offset1:1
	v_mov_b32_e32 v4, s38
	s_clause 0x3
	buffer_load_dword v1, v4, s[0:3], 0 offen
	buffer_load_dword v2, v4, s[0:3], 0 offen offset:4
	buffer_load_dword v3, v4, s[0:3], 0 offen offset:8
	buffer_load_dword v4, v4, s[0:3], 0 offen offset:12
	s_waitcnt vmcnt(0)
	ds_write2_b64 v249, v[1:2], v[3:4] offset0:80 offset1:81
	v_mov_b32_e32 v4, s37
	s_clause 0x3
	buffer_load_dword v1, v4, s[0:3], 0 offen
	buffer_load_dword v2, v4, s[0:3], 0 offen offset:4
	buffer_load_dword v3, v4, s[0:3], 0 offen offset:8
	buffer_load_dword v4, v4, s[0:3], 0 offen offset:12
	s_waitcnt vmcnt(0)
	ds_write2_b64 v249, v[1:2], v[3:4] offset0:82 offset1:83
	;; [unrolled: 8-line block ×23, first 2 shown]
	ds_read2_b64 v[157:160], v255 offset1:1
	s_waitcnt lgkmcnt(0)
	v_cmp_neq_f64_e32 vcc_lo, 0, v[157:158]
	v_cmp_neq_f64_e64 s5, 0, v[159:160]
	s_or_b32 s5, vcc_lo, s5
	s_and_b32 exec_lo, exec_lo, s5
	s_cbranch_execz .LBB125_482
; %bb.477:
	v_cmp_ngt_f64_e64 s5, |v[157:158]|, |v[159:160]|
                                        ; implicit-def: $vgpr1_vgpr2
	s_and_saveexec_b32 s7, s5
	s_xor_b32 s5, exec_lo, s7
                                        ; implicit-def: $vgpr3_vgpr4
	s_cbranch_execz .LBB125_479
; %bb.478:
	v_div_scale_f64 v[1:2], null, v[159:160], v[159:160], v[157:158]
	v_div_scale_f64 v[163:164], vcc_lo, v[157:158], v[159:160], v[157:158]
	v_rcp_f64_e32 v[3:4], v[1:2]
	v_fma_f64 v[161:162], -v[1:2], v[3:4], 1.0
	v_fma_f64 v[3:4], v[3:4], v[161:162], v[3:4]
	v_fma_f64 v[161:162], -v[1:2], v[3:4], 1.0
	v_fma_f64 v[3:4], v[3:4], v[161:162], v[3:4]
	v_mul_f64 v[161:162], v[163:164], v[3:4]
	v_fma_f64 v[1:2], -v[1:2], v[161:162], v[163:164]
	v_div_fmas_f64 v[1:2], v[1:2], v[3:4], v[161:162]
	v_div_fixup_f64 v[1:2], v[1:2], v[159:160], v[157:158]
	v_fma_f64 v[3:4], v[157:158], v[1:2], v[159:160]
	v_div_scale_f64 v[157:158], null, v[3:4], v[3:4], 1.0
	v_rcp_f64_e32 v[159:160], v[157:158]
	v_fma_f64 v[161:162], -v[157:158], v[159:160], 1.0
	v_fma_f64 v[159:160], v[159:160], v[161:162], v[159:160]
	v_fma_f64 v[161:162], -v[157:158], v[159:160], 1.0
	v_fma_f64 v[159:160], v[159:160], v[161:162], v[159:160]
	v_div_scale_f64 v[161:162], vcc_lo, 1.0, v[3:4], 1.0
	v_mul_f64 v[163:164], v[161:162], v[159:160]
	v_fma_f64 v[157:158], -v[157:158], v[163:164], v[161:162]
	v_div_fmas_f64 v[157:158], v[157:158], v[159:160], v[163:164]
	v_div_fixup_f64 v[3:4], v[157:158], v[3:4], 1.0
                                        ; implicit-def: $vgpr157_vgpr158
	v_mul_f64 v[1:2], v[1:2], v[3:4]
	v_xor_b32_e32 v4, 0x80000000, v4
.LBB125_479:
	s_andn2_saveexec_b32 s5, s5
	s_cbranch_execz .LBB125_481
; %bb.480:
	v_div_scale_f64 v[1:2], null, v[157:158], v[157:158], v[159:160]
	v_div_scale_f64 v[163:164], vcc_lo, v[159:160], v[157:158], v[159:160]
	v_rcp_f64_e32 v[3:4], v[1:2]
	v_fma_f64 v[161:162], -v[1:2], v[3:4], 1.0
	v_fma_f64 v[3:4], v[3:4], v[161:162], v[3:4]
	v_fma_f64 v[161:162], -v[1:2], v[3:4], 1.0
	v_fma_f64 v[3:4], v[3:4], v[161:162], v[3:4]
	v_mul_f64 v[161:162], v[163:164], v[3:4]
	v_fma_f64 v[1:2], -v[1:2], v[161:162], v[163:164]
	v_div_fmas_f64 v[1:2], v[1:2], v[3:4], v[161:162]
	v_div_fixup_f64 v[3:4], v[1:2], v[157:158], v[159:160]
	v_fma_f64 v[1:2], v[159:160], v[3:4], v[157:158]
	v_div_scale_f64 v[157:158], null, v[1:2], v[1:2], 1.0
	v_rcp_f64_e32 v[159:160], v[157:158]
	v_fma_f64 v[161:162], -v[157:158], v[159:160], 1.0
	v_fma_f64 v[159:160], v[159:160], v[161:162], v[159:160]
	v_fma_f64 v[161:162], -v[157:158], v[159:160], 1.0
	v_fma_f64 v[159:160], v[159:160], v[161:162], v[159:160]
	v_div_scale_f64 v[161:162], vcc_lo, 1.0, v[1:2], 1.0
	v_mul_f64 v[163:164], v[161:162], v[159:160]
	v_fma_f64 v[157:158], -v[157:158], v[163:164], v[161:162]
	v_div_fmas_f64 v[157:158], v[157:158], v[159:160], v[163:164]
	v_div_fixup_f64 v[1:2], v[157:158], v[1:2], 1.0
	v_mul_f64 v[3:4], v[3:4], -v[1:2]
.LBB125_481:
	s_or_b32 exec_lo, exec_lo, s5
	ds_write2_b64 v255, v[1:2], v[3:4] offset1:1
.LBB125_482:
	s_or_b32 exec_lo, exec_lo, s6
	s_waitcnt lgkmcnt(0)
	s_barrier
	buffer_gl0_inv
	ds_read2_b64 v[157:160], v255 offset1:1
	s_mov_b32 s5, exec_lo
	v_cmpx_lt_u32_e32 39, v0
	s_cbranch_execz .LBB125_487
; %bb.483:
	s_clause 0x3
	buffer_load_dword v1, off, s[0:3], 0 offset:632
	buffer_load_dword v2, off, s[0:3], 0 offset:636
	;; [unrolled: 1-line block ×4, first 2 shown]
	s_mov_b32 s6, 0
	s_waitcnt vmcnt(2) lgkmcnt(0)
	v_mul_f64 v[161:162], v[159:160], v[1:2]
	v_mul_f64 v[1:2], v[157:158], v[1:2]
	s_waitcnt vmcnt(0)
	v_fma_f64 v[161:162], v[157:158], v[3:4], -v[161:162]
	v_fma_f64 v[163:164], v[159:160], v[3:4], v[1:2]
	buffer_store_dword v161, off, s[0:3], 0 offset:624
	buffer_store_dword v162, off, s[0:3], 0 offset:628
	;; [unrolled: 1-line block ×4, first 2 shown]
	s_branch .LBB125_485
.LBB125_484:                            ;   in Loop: Header=BB125_485 Depth=1
	s_andn2_b32 vcc_lo, exec_lo, s8
	s_cbranch_vccz .LBB125_487
.LBB125_485:                            ; =>This Inner Loop Header: Depth=1
	v_add3_u32 v1, v185, 0, 0x280
	v_mov_b32_e32 v4, s6
	s_mov_b32 s7, s6
	s_mov_b32 s8, -1
	s_cmpk_eq_i32 s6, 0x140
	v_add_nc_u32_e32 v1, s6, v1
	ds_read2_b64 v[165:168], v1 offset1:1
	s_waitcnt lgkmcnt(0)
	v_mul_f64 v[2:3], v[167:168], v[163:164]
	v_fma_f64 v[2:3], v[165:166], v[161:162], -v[2:3]
	v_mul_f64 v[165:166], v[165:166], v[163:164]
	v_fma_f64 v[165:166], v[167:168], v[161:162], v[165:166]
	s_clause 0xb
	buffer_load_dword v167, v4, s[0:3], 0 offen offset:640
	buffer_load_dword v168, v4, s[0:3], 0 offen offset:644
	;; [unrolled: 1-line block ×12, first 2 shown]
	s_waitcnt vmcnt(10)
	v_add_f64 v[2:3], v[167:168], -v[2:3]
	s_waitcnt vmcnt(8)
	v_add_f64 v[165:166], v[169:170], -v[165:166]
	buffer_store_dword v2, v4, s[0:3], 0 offen offset:640
	buffer_store_dword v3, v4, s[0:3], 0 offen offset:644
	;; [unrolled: 1-line block ×4, first 2 shown]
	ds_read2_b64 v[165:168], v1 offset0:2 offset1:3
	s_waitcnt lgkmcnt(0)
	v_mul_f64 v[2:3], v[167:168], v[163:164]
	v_fma_f64 v[2:3], v[165:166], v[161:162], -v[2:3]
	v_mul_f64 v[165:166], v[165:166], v[163:164]
	s_waitcnt vmcnt(6)
	v_add_f64 v[2:3], v[171:172], -v[2:3]
	v_fma_f64 v[165:166], v[167:168], v[161:162], v[165:166]
	s_waitcnt vmcnt(4)
	v_add_f64 v[165:166], v[173:174], -v[165:166]
	buffer_store_dword v2, v4, s[0:3], 0 offen offset:656
	buffer_store_dword v3, v4, s[0:3], 0 offen offset:660
	buffer_store_dword v165, v4, s[0:3], 0 offen offset:664
	buffer_store_dword v166, v4, s[0:3], 0 offen offset:668
	ds_read2_b64 v[165:168], v1 offset0:4 offset1:5
	s_waitcnt lgkmcnt(0)
	v_mul_f64 v[2:3], v[167:168], v[163:164]
	v_fma_f64 v[2:3], v[165:166], v[161:162], -v[2:3]
	v_mul_f64 v[165:166], v[165:166], v[163:164]
	s_waitcnt vmcnt(2)
	v_add_f64 v[2:3], v[175:176], -v[2:3]
	v_fma_f64 v[165:166], v[167:168], v[161:162], v[165:166]
	s_waitcnt vmcnt(0)
	v_add_f64 v[165:166], v[177:178], -v[165:166]
	buffer_store_dword v2, v4, s[0:3], 0 offen offset:672
	buffer_store_dword v3, v4, s[0:3], 0 offen offset:676
	;; [unrolled: 1-line block ×4, first 2 shown]
	s_cbranch_scc1 .LBB125_484
; %bb.486:                              ;   in Loop: Header=BB125_485 Depth=1
	ds_read2_b64 v[1:4], v1 offset0:6 offset1:7
	v_mov_b32_e32 v5, s7
	s_add_i32 s6, s6, 64
	s_mov_b32 s8, 0
	s_waitcnt lgkmcnt(0)
	v_mul_f64 v[165:166], v[3:4], v[163:164]
	v_fma_f64 v[165:166], v[1:2], v[161:162], -v[165:166]
	v_mul_f64 v[1:2], v[1:2], v[163:164]
	v_fma_f64 v[1:2], v[3:4], v[161:162], v[1:2]
	s_clause 0x3
	buffer_load_dword v3, v5, s[0:3], 0 offen offset:688
	buffer_load_dword v4, v5, s[0:3], 0 offen offset:692
	;; [unrolled: 1-line block ×4, first 2 shown]
	s_waitcnt vmcnt(2)
	v_add_f64 v[3:4], v[3:4], -v[165:166]
	s_waitcnt vmcnt(0)
	v_add_f64 v[1:2], v[167:168], -v[1:2]
	buffer_store_dword v3, v5, s[0:3], 0 offen offset:688
	buffer_store_dword v4, v5, s[0:3], 0 offen offset:692
	;; [unrolled: 1-line block ×4, first 2 shown]
	s_branch .LBB125_484
.LBB125_487:
	s_or_b32 exec_lo, exec_lo, s5
	s_mov_b32 s6, exec_lo
	s_waitcnt lgkmcnt(0)
	s_waitcnt_vscnt null, 0x0
	s_barrier
	buffer_gl0_inv
	v_cmpx_eq_u32_e32 40, v0
	s_cbranch_execz .LBB125_494
; %bb.488:
	v_mov_b32_e32 v4, s38
	s_clause 0x3
	buffer_load_dword v1, v4, s[0:3], 0 offen
	buffer_load_dword v2, v4, s[0:3], 0 offen offset:4
	buffer_load_dword v3, v4, s[0:3], 0 offen offset:8
	;; [unrolled: 1-line block ×3, first 2 shown]
	s_waitcnt vmcnt(0)
	ds_write2_b64 v255, v[1:2], v[3:4] offset1:1
	v_mov_b32_e32 v4, s37
	s_clause 0x3
	buffer_load_dword v1, v4, s[0:3], 0 offen
	buffer_load_dword v2, v4, s[0:3], 0 offen offset:4
	buffer_load_dword v3, v4, s[0:3], 0 offen offset:8
	buffer_load_dword v4, v4, s[0:3], 0 offen offset:12
	s_waitcnt vmcnt(0)
	ds_write2_b64 v249, v[1:2], v[3:4] offset0:82 offset1:83
	v_mov_b32_e32 v4, s36
	s_clause 0x3
	buffer_load_dword v1, v4, s[0:3], 0 offen
	buffer_load_dword v2, v4, s[0:3], 0 offen offset:4
	buffer_load_dword v3, v4, s[0:3], 0 offen offset:8
	buffer_load_dword v4, v4, s[0:3], 0 offen offset:12
	s_waitcnt vmcnt(0)
	ds_write2_b64 v249, v[1:2], v[3:4] offset0:84 offset1:85
	;; [unrolled: 8-line block ×22, first 2 shown]
	ds_read2_b64 v[161:164], v255 offset1:1
	s_waitcnt lgkmcnt(0)
	v_cmp_neq_f64_e32 vcc_lo, 0, v[161:162]
	v_cmp_neq_f64_e64 s5, 0, v[163:164]
	s_or_b32 s5, vcc_lo, s5
	s_and_b32 exec_lo, exec_lo, s5
	s_cbranch_execz .LBB125_494
; %bb.489:
	v_cmp_ngt_f64_e64 s5, |v[161:162]|, |v[163:164]|
                                        ; implicit-def: $vgpr1_vgpr2
	s_and_saveexec_b32 s7, s5
	s_xor_b32 s5, exec_lo, s7
                                        ; implicit-def: $vgpr3_vgpr4
	s_cbranch_execz .LBB125_491
; %bb.490:
	v_div_scale_f64 v[1:2], null, v[163:164], v[163:164], v[161:162]
	v_div_scale_f64 v[167:168], vcc_lo, v[161:162], v[163:164], v[161:162]
	v_rcp_f64_e32 v[3:4], v[1:2]
	v_fma_f64 v[165:166], -v[1:2], v[3:4], 1.0
	v_fma_f64 v[3:4], v[3:4], v[165:166], v[3:4]
	v_fma_f64 v[165:166], -v[1:2], v[3:4], 1.0
	v_fma_f64 v[3:4], v[3:4], v[165:166], v[3:4]
	v_mul_f64 v[165:166], v[167:168], v[3:4]
	v_fma_f64 v[1:2], -v[1:2], v[165:166], v[167:168]
	v_div_fmas_f64 v[1:2], v[1:2], v[3:4], v[165:166]
	v_div_fixup_f64 v[1:2], v[1:2], v[163:164], v[161:162]
	v_fma_f64 v[3:4], v[161:162], v[1:2], v[163:164]
	v_div_scale_f64 v[161:162], null, v[3:4], v[3:4], 1.0
	v_rcp_f64_e32 v[163:164], v[161:162]
	v_fma_f64 v[165:166], -v[161:162], v[163:164], 1.0
	v_fma_f64 v[163:164], v[163:164], v[165:166], v[163:164]
	v_fma_f64 v[165:166], -v[161:162], v[163:164], 1.0
	v_fma_f64 v[163:164], v[163:164], v[165:166], v[163:164]
	v_div_scale_f64 v[165:166], vcc_lo, 1.0, v[3:4], 1.0
	v_mul_f64 v[167:168], v[165:166], v[163:164]
	v_fma_f64 v[161:162], -v[161:162], v[167:168], v[165:166]
	v_div_fmas_f64 v[161:162], v[161:162], v[163:164], v[167:168]
	v_div_fixup_f64 v[3:4], v[161:162], v[3:4], 1.0
                                        ; implicit-def: $vgpr161_vgpr162
	v_mul_f64 v[1:2], v[1:2], v[3:4]
	v_xor_b32_e32 v4, 0x80000000, v4
.LBB125_491:
	s_andn2_saveexec_b32 s5, s5
	s_cbranch_execz .LBB125_493
; %bb.492:
	v_div_scale_f64 v[1:2], null, v[161:162], v[161:162], v[163:164]
	v_div_scale_f64 v[167:168], vcc_lo, v[163:164], v[161:162], v[163:164]
	v_rcp_f64_e32 v[3:4], v[1:2]
	v_fma_f64 v[165:166], -v[1:2], v[3:4], 1.0
	v_fma_f64 v[3:4], v[3:4], v[165:166], v[3:4]
	v_fma_f64 v[165:166], -v[1:2], v[3:4], 1.0
	v_fma_f64 v[3:4], v[3:4], v[165:166], v[3:4]
	v_mul_f64 v[165:166], v[167:168], v[3:4]
	v_fma_f64 v[1:2], -v[1:2], v[165:166], v[167:168]
	v_div_fmas_f64 v[1:2], v[1:2], v[3:4], v[165:166]
	v_div_fixup_f64 v[3:4], v[1:2], v[161:162], v[163:164]
	v_fma_f64 v[1:2], v[163:164], v[3:4], v[161:162]
	v_div_scale_f64 v[161:162], null, v[1:2], v[1:2], 1.0
	v_rcp_f64_e32 v[163:164], v[161:162]
	v_fma_f64 v[165:166], -v[161:162], v[163:164], 1.0
	v_fma_f64 v[163:164], v[163:164], v[165:166], v[163:164]
	v_fma_f64 v[165:166], -v[161:162], v[163:164], 1.0
	v_fma_f64 v[163:164], v[163:164], v[165:166], v[163:164]
	v_div_scale_f64 v[165:166], vcc_lo, 1.0, v[1:2], 1.0
	v_mul_f64 v[167:168], v[165:166], v[163:164]
	v_fma_f64 v[161:162], -v[161:162], v[167:168], v[165:166]
	v_div_fmas_f64 v[161:162], v[161:162], v[163:164], v[167:168]
	v_div_fixup_f64 v[1:2], v[161:162], v[1:2], 1.0
	v_mul_f64 v[3:4], v[3:4], -v[1:2]
.LBB125_493:
	s_or_b32 exec_lo, exec_lo, s5
	ds_write2_b64 v255, v[1:2], v[3:4] offset1:1
.LBB125_494:
	s_or_b32 exec_lo, exec_lo, s6
	s_waitcnt lgkmcnt(0)
	s_barrier
	buffer_gl0_inv
	ds_read2_b64 v[161:164], v255 offset1:1
	s_mov_b32 s5, exec_lo
	v_cmpx_lt_u32_e32 40, v0
	s_cbranch_execz .LBB125_497
; %bb.495:
	s_clause 0x3
	buffer_load_dword v1, off, s[0:3], 0 offset:648
	buffer_load_dword v2, off, s[0:3], 0 offset:652
	;; [unrolled: 1-line block ×4, first 2 shown]
	s_mov_b32 s6, 0
	s_waitcnt vmcnt(2) lgkmcnt(0)
	v_mul_f64 v[165:166], v[163:164], v[1:2]
	v_mul_f64 v[1:2], v[161:162], v[1:2]
	s_waitcnt vmcnt(0)
	v_fma_f64 v[165:166], v[161:162], v[3:4], -v[165:166]
	v_fma_f64 v[167:168], v[163:164], v[3:4], v[1:2]
	buffer_store_dword v165, off, s[0:3], 0 offset:640
	buffer_store_dword v166, off, s[0:3], 0 offset:644
	;; [unrolled: 1-line block ×4, first 2 shown]
.LBB125_496:                            ; =>This Inner Loop Header: Depth=1
	v_add3_u32 v1, v185, 0, 0x290
	v_mov_b32_e32 v6, s6
	v_add_nc_u32_e32 v5, s6, v1
	s_add_i32 s6, s6, 32
	s_cmpk_lg_i32 s6, 0x160
	ds_read2_b64 v[1:4], v5 offset1:1
	s_waitcnt lgkmcnt(0)
	v_mul_f64 v[169:170], v[3:4], v[167:168]
	v_fma_f64 v[169:170], v[1:2], v[165:166], -v[169:170]
	v_mul_f64 v[1:2], v[1:2], v[167:168]
	v_fma_f64 v[1:2], v[3:4], v[165:166], v[1:2]
	s_clause 0x7
	buffer_load_dword v3, v6, s[0:3], 0 offen offset:656
	buffer_load_dword v4, v6, s[0:3], 0 offen offset:660
	;; [unrolled: 1-line block ×8, first 2 shown]
	s_waitcnt vmcnt(6)
	v_add_f64 v[3:4], v[3:4], -v[169:170]
	s_waitcnt vmcnt(4)
	v_add_f64 v[1:2], v[171:172], -v[1:2]
	buffer_store_dword v3, v6, s[0:3], 0 offen offset:656
	buffer_store_dword v4, v6, s[0:3], 0 offen offset:660
	;; [unrolled: 1-line block ×4, first 2 shown]
	ds_read2_b64 v[1:4], v5 offset0:2 offset1:3
	s_waitcnt lgkmcnt(0)
	v_mul_f64 v[169:170], v[3:4], v[167:168]
	v_fma_f64 v[169:170], v[1:2], v[165:166], -v[169:170]
	v_mul_f64 v[1:2], v[1:2], v[167:168]
	v_fma_f64 v[1:2], v[3:4], v[165:166], v[1:2]
	s_waitcnt vmcnt(2)
	v_add_f64 v[3:4], v[173:174], -v[169:170]
	s_waitcnt vmcnt(0)
	v_add_f64 v[1:2], v[175:176], -v[1:2]
	buffer_store_dword v3, v6, s[0:3], 0 offen offset:672
	buffer_store_dword v4, v6, s[0:3], 0 offen offset:676
	;; [unrolled: 1-line block ×4, first 2 shown]
	s_cbranch_scc1 .LBB125_496
.LBB125_497:
	s_or_b32 exec_lo, exec_lo, s5
	s_mov_b32 s6, exec_lo
	s_waitcnt lgkmcnt(0)
	s_waitcnt_vscnt null, 0x0
	s_barrier
	buffer_gl0_inv
	v_cmpx_eq_u32_e32 41, v0
	s_cbranch_execz .LBB125_504
; %bb.498:
	v_mov_b32_e32 v4, s37
	s_clause 0x3
	buffer_load_dword v1, v4, s[0:3], 0 offen
	buffer_load_dword v2, v4, s[0:3], 0 offen offset:4
	buffer_load_dword v3, v4, s[0:3], 0 offen offset:8
	;; [unrolled: 1-line block ×3, first 2 shown]
	s_waitcnt vmcnt(0)
	ds_write2_b64 v255, v[1:2], v[3:4] offset1:1
	v_mov_b32_e32 v4, s36
	s_clause 0x3
	buffer_load_dword v1, v4, s[0:3], 0 offen
	buffer_load_dword v2, v4, s[0:3], 0 offen offset:4
	buffer_load_dword v3, v4, s[0:3], 0 offen offset:8
	buffer_load_dword v4, v4, s[0:3], 0 offen offset:12
	s_waitcnt vmcnt(0)
	ds_write2_b64 v249, v[1:2], v[3:4] offset0:84 offset1:85
	v_mov_b32_e32 v4, s35
	s_clause 0x3
	buffer_load_dword v1, v4, s[0:3], 0 offen
	buffer_load_dword v2, v4, s[0:3], 0 offen offset:4
	buffer_load_dword v3, v4, s[0:3], 0 offen offset:8
	buffer_load_dword v4, v4, s[0:3], 0 offen offset:12
	s_waitcnt vmcnt(0)
	ds_write2_b64 v249, v[1:2], v[3:4] offset0:86 offset1:87
	;; [unrolled: 8-line block ×21, first 2 shown]
	ds_read2_b64 v[165:168], v255 offset1:1
	s_waitcnt lgkmcnt(0)
	v_cmp_neq_f64_e32 vcc_lo, 0, v[165:166]
	v_cmp_neq_f64_e64 s5, 0, v[167:168]
	s_or_b32 s5, vcc_lo, s5
	s_and_b32 exec_lo, exec_lo, s5
	s_cbranch_execz .LBB125_504
; %bb.499:
	v_cmp_ngt_f64_e64 s5, |v[165:166]|, |v[167:168]|
                                        ; implicit-def: $vgpr1_vgpr2
	s_and_saveexec_b32 s7, s5
	s_xor_b32 s5, exec_lo, s7
                                        ; implicit-def: $vgpr3_vgpr4
	s_cbranch_execz .LBB125_501
; %bb.500:
	v_div_scale_f64 v[1:2], null, v[167:168], v[167:168], v[165:166]
	v_div_scale_f64 v[171:172], vcc_lo, v[165:166], v[167:168], v[165:166]
	v_rcp_f64_e32 v[3:4], v[1:2]
	v_fma_f64 v[169:170], -v[1:2], v[3:4], 1.0
	v_fma_f64 v[3:4], v[3:4], v[169:170], v[3:4]
	v_fma_f64 v[169:170], -v[1:2], v[3:4], 1.0
	v_fma_f64 v[3:4], v[3:4], v[169:170], v[3:4]
	v_mul_f64 v[169:170], v[171:172], v[3:4]
	v_fma_f64 v[1:2], -v[1:2], v[169:170], v[171:172]
	v_div_fmas_f64 v[1:2], v[1:2], v[3:4], v[169:170]
	v_div_fixup_f64 v[1:2], v[1:2], v[167:168], v[165:166]
	v_fma_f64 v[3:4], v[165:166], v[1:2], v[167:168]
	v_div_scale_f64 v[165:166], null, v[3:4], v[3:4], 1.0
	v_rcp_f64_e32 v[167:168], v[165:166]
	v_fma_f64 v[169:170], -v[165:166], v[167:168], 1.0
	v_fma_f64 v[167:168], v[167:168], v[169:170], v[167:168]
	v_fma_f64 v[169:170], -v[165:166], v[167:168], 1.0
	v_fma_f64 v[167:168], v[167:168], v[169:170], v[167:168]
	v_div_scale_f64 v[169:170], vcc_lo, 1.0, v[3:4], 1.0
	v_mul_f64 v[171:172], v[169:170], v[167:168]
	v_fma_f64 v[165:166], -v[165:166], v[171:172], v[169:170]
	v_div_fmas_f64 v[165:166], v[165:166], v[167:168], v[171:172]
	v_div_fixup_f64 v[3:4], v[165:166], v[3:4], 1.0
                                        ; implicit-def: $vgpr165_vgpr166
	v_mul_f64 v[1:2], v[1:2], v[3:4]
	v_xor_b32_e32 v4, 0x80000000, v4
.LBB125_501:
	s_andn2_saveexec_b32 s5, s5
	s_cbranch_execz .LBB125_503
; %bb.502:
	v_div_scale_f64 v[1:2], null, v[165:166], v[165:166], v[167:168]
	v_div_scale_f64 v[171:172], vcc_lo, v[167:168], v[165:166], v[167:168]
	v_rcp_f64_e32 v[3:4], v[1:2]
	v_fma_f64 v[169:170], -v[1:2], v[3:4], 1.0
	v_fma_f64 v[3:4], v[3:4], v[169:170], v[3:4]
	v_fma_f64 v[169:170], -v[1:2], v[3:4], 1.0
	v_fma_f64 v[3:4], v[3:4], v[169:170], v[3:4]
	v_mul_f64 v[169:170], v[171:172], v[3:4]
	v_fma_f64 v[1:2], -v[1:2], v[169:170], v[171:172]
	v_div_fmas_f64 v[1:2], v[1:2], v[3:4], v[169:170]
	v_div_fixup_f64 v[3:4], v[1:2], v[165:166], v[167:168]
	v_fma_f64 v[1:2], v[167:168], v[3:4], v[165:166]
	v_div_scale_f64 v[165:166], null, v[1:2], v[1:2], 1.0
	v_rcp_f64_e32 v[167:168], v[165:166]
	v_fma_f64 v[169:170], -v[165:166], v[167:168], 1.0
	v_fma_f64 v[167:168], v[167:168], v[169:170], v[167:168]
	v_fma_f64 v[169:170], -v[165:166], v[167:168], 1.0
	v_fma_f64 v[167:168], v[167:168], v[169:170], v[167:168]
	v_div_scale_f64 v[169:170], vcc_lo, 1.0, v[1:2], 1.0
	v_mul_f64 v[171:172], v[169:170], v[167:168]
	v_fma_f64 v[165:166], -v[165:166], v[171:172], v[169:170]
	v_div_fmas_f64 v[165:166], v[165:166], v[167:168], v[171:172]
	v_div_fixup_f64 v[1:2], v[165:166], v[1:2], 1.0
	v_mul_f64 v[3:4], v[3:4], -v[1:2]
.LBB125_503:
	s_or_b32 exec_lo, exec_lo, s5
	ds_write2_b64 v255, v[1:2], v[3:4] offset1:1
.LBB125_504:
	s_or_b32 exec_lo, exec_lo, s6
	s_waitcnt lgkmcnt(0)
	s_barrier
	buffer_gl0_inv
	ds_read2_b64 v[165:168], v255 offset1:1
	s_mov_b32 s5, exec_lo
	v_cmpx_lt_u32_e32 41, v0
	s_cbranch_execz .LBB125_507
; %bb.505:
	s_clause 0x3
	buffer_load_dword v1, off, s[0:3], 0 offset:664
	buffer_load_dword v2, off, s[0:3], 0 offset:668
	;; [unrolled: 1-line block ×4, first 2 shown]
	s_mov_b32 s6, 0
	s_waitcnt vmcnt(2) lgkmcnt(0)
	v_mul_f64 v[169:170], v[167:168], v[1:2]
	v_mul_f64 v[1:2], v[165:166], v[1:2]
	s_waitcnt vmcnt(0)
	v_fma_f64 v[169:170], v[165:166], v[3:4], -v[169:170]
	v_fma_f64 v[171:172], v[167:168], v[3:4], v[1:2]
	buffer_store_dword v169, off, s[0:3], 0 offset:656
	buffer_store_dword v170, off, s[0:3], 0 offset:660
	;; [unrolled: 1-line block ×4, first 2 shown]
.LBB125_506:                            ; =>This Inner Loop Header: Depth=1
	v_add3_u32 v1, v185, 0, 0x2a0
	v_add_nc_u32_e32 v5, s6, v1
	ds_read2_b64 v[1:4], v5 offset1:1
	s_waitcnt lgkmcnt(0)
	v_mul_f64 v[173:174], v[3:4], v[171:172]
	v_fma_f64 v[173:174], v[1:2], v[169:170], -v[173:174]
	v_mul_f64 v[1:2], v[1:2], v[171:172]
	v_fma_f64 v[2:3], v[3:4], v[169:170], v[1:2]
	v_mov_b32_e32 v1, s6
	s_addk_i32 s6, 0x70
	s_clause 0xf
	buffer_load_dword v175, v1, s[0:3], 0 offen offset:672
	buffer_load_dword v176, v1, s[0:3], 0 offen offset:676
	;; [unrolled: 1-line block ×16, first 2 shown]
	s_cmpk_lg_i32 s6, 0x150
	s_waitcnt vmcnt(14)
	v_add_f64 v[173:174], v[175:176], -v[173:174]
	s_waitcnt vmcnt(12)
	v_add_f64 v[2:3], v[177:178], -v[2:3]
	buffer_store_dword v173, v1, s[0:3], 0 offen offset:672
	buffer_store_dword v174, v1, s[0:3], 0 offen offset:676
	buffer_store_dword v2, v1, s[0:3], 0 offen offset:680
	buffer_store_dword v3, v1, s[0:3], 0 offen offset:684
	ds_read2_b64 v[173:176], v5 offset0:2 offset1:3
	s_waitcnt lgkmcnt(0)
	v_mul_f64 v[2:3], v[175:176], v[171:172]
	v_fma_f64 v[2:3], v[173:174], v[169:170], -v[2:3]
	v_mul_f64 v[173:174], v[173:174], v[171:172]
	s_waitcnt vmcnt(10)
	v_add_f64 v[2:3], v[179:180], -v[2:3]
	v_fma_f64 v[173:174], v[175:176], v[169:170], v[173:174]
	s_waitcnt vmcnt(8)
	v_add_f64 v[173:174], v[181:182], -v[173:174]
	buffer_store_dword v2, v1, s[0:3], 0 offen offset:688
	buffer_store_dword v3, v1, s[0:3], 0 offen offset:692
	buffer_store_dword v173, v1, s[0:3], 0 offen offset:696
	buffer_store_dword v174, v1, s[0:3], 0 offen offset:700
	ds_read2_b64 v[173:176], v5 offset0:4 offset1:5
	s_waitcnt lgkmcnt(0)
	v_mul_f64 v[2:3], v[175:176], v[171:172]
	v_fma_f64 v[2:3], v[173:174], v[169:170], -v[2:3]
	v_mul_f64 v[173:174], v[173:174], v[171:172]
	s_waitcnt vmcnt(6)
	v_add_f64 v[2:3], v[183:184], -v[2:3]
	v_fma_f64 v[173:174], v[175:176], v[169:170], v[173:174]
	;; [unrolled: 14-line block ×3, first 2 shown]
	s_waitcnt vmcnt(0)
	v_add_f64 v[173:174], v[190:191], -v[173:174]
	buffer_store_dword v3, v1, s[0:3], 0 offen offset:724
	buffer_store_dword v2, v1, s[0:3], 0 offen offset:720
	;; [unrolled: 1-line block ×4, first 2 shown]
	ds_read2_b64 v[173:176], v5 offset0:8 offset1:9
	s_waitcnt lgkmcnt(0)
	v_mul_f64 v[2:3], v[175:176], v[171:172]
	v_fma_f64 v[2:3], v[173:174], v[169:170], -v[2:3]
	v_mul_f64 v[173:174], v[173:174], v[171:172]
	v_fma_f64 v[173:174], v[175:176], v[169:170], v[173:174]
	s_clause 0x3
	buffer_load_dword v175, v1, s[0:3], 0 offen offset:736
	buffer_load_dword v176, v1, s[0:3], 0 offen offset:740
	;; [unrolled: 1-line block ×4, first 2 shown]
	s_waitcnt vmcnt(2)
	v_add_f64 v[2:3], v[175:176], -v[2:3]
	s_waitcnt vmcnt(0)
	v_add_f64 v[173:174], v[177:178], -v[173:174]
	buffer_store_dword v3, v1, s[0:3], 0 offen offset:740
	buffer_store_dword v2, v1, s[0:3], 0 offen offset:736
	;; [unrolled: 1-line block ×4, first 2 shown]
	ds_read2_b64 v[173:176], v5 offset0:10 offset1:11
	s_waitcnt lgkmcnt(0)
	v_mul_f64 v[2:3], v[175:176], v[171:172]
	v_mul_f64 v[171:172], v[173:174], v[171:172]
	v_fma_f64 v[2:3], v[173:174], v[169:170], -v[2:3]
	v_fma_f64 v[169:170], v[175:176], v[169:170], v[171:172]
	s_clause 0x3
	buffer_load_dword v171, v1, s[0:3], 0 offen offset:752
	buffer_load_dword v172, v1, s[0:3], 0 offen offset:756
	;; [unrolled: 1-line block ×4, first 2 shown]
	s_waitcnt vmcnt(2)
	v_add_f64 v[2:3], v[171:172], -v[2:3]
	s_waitcnt vmcnt(0)
	v_add_f64 v[169:170], v[173:174], -v[169:170]
	buffer_store_dword v3, v1, s[0:3], 0 offen offset:756
	buffer_store_dword v2, v1, s[0:3], 0 offen offset:752
	;; [unrolled: 1-line block ×4, first 2 shown]
	ds_read2_b64 v[173:176], v5 offset0:12 offset1:13
	s_clause 0x3
	buffer_load_dword v169, off, s[0:3], 0 offset:656
	buffer_load_dword v170, off, s[0:3], 0 offset:660
	;; [unrolled: 1-line block ×4, first 2 shown]
	s_waitcnt vmcnt(0) lgkmcnt(0)
	v_mul_f64 v[2:3], v[175:176], v[171:172]
	v_fma_f64 v[2:3], v[173:174], v[169:170], -v[2:3]
	v_mul_f64 v[173:174], v[173:174], v[171:172]
	v_fma_f64 v[173:174], v[175:176], v[169:170], v[173:174]
	s_clause 0x3
	buffer_load_dword v175, v1, s[0:3], 0 offen offset:768
	buffer_load_dword v176, v1, s[0:3], 0 offen offset:772
	;; [unrolled: 1-line block ×4, first 2 shown]
	s_waitcnt vmcnt(2)
	v_add_f64 v[2:3], v[175:176], -v[2:3]
	s_waitcnt vmcnt(0)
	v_add_f64 v[173:174], v[177:178], -v[173:174]
	buffer_store_dword v3, v1, s[0:3], 0 offen offset:772
	buffer_store_dword v2, v1, s[0:3], 0 offen offset:768
	;; [unrolled: 1-line block ×4, first 2 shown]
	s_cbranch_scc1 .LBB125_506
.LBB125_507:
	s_or_b32 exec_lo, exec_lo, s5
	s_mov_b32 s6, exec_lo
	s_waitcnt lgkmcnt(0)
	s_waitcnt_vscnt null, 0x0
	s_barrier
	buffer_gl0_inv
	v_cmpx_eq_u32_e32 42, v0
	s_cbranch_execz .LBB125_514
; %bb.508:
	v_mov_b32_e32 v4, s36
	s_clause 0x3
	buffer_load_dword v1, v4, s[0:3], 0 offen
	buffer_load_dword v2, v4, s[0:3], 0 offen offset:4
	buffer_load_dword v3, v4, s[0:3], 0 offen offset:8
	;; [unrolled: 1-line block ×3, first 2 shown]
	s_waitcnt vmcnt(0)
	ds_write2_b64 v255, v[1:2], v[3:4] offset1:1
	v_mov_b32_e32 v4, s35
	s_clause 0x3
	buffer_load_dword v1, v4, s[0:3], 0 offen
	buffer_load_dword v2, v4, s[0:3], 0 offen offset:4
	buffer_load_dword v3, v4, s[0:3], 0 offen offset:8
	buffer_load_dword v4, v4, s[0:3], 0 offen offset:12
	s_waitcnt vmcnt(0)
	ds_write2_b64 v249, v[1:2], v[3:4] offset0:86 offset1:87
	v_mov_b32_e32 v4, s34
	s_clause 0x3
	buffer_load_dword v1, v4, s[0:3], 0 offen
	buffer_load_dword v2, v4, s[0:3], 0 offen offset:4
	buffer_load_dword v3, v4, s[0:3], 0 offen offset:8
	buffer_load_dword v4, v4, s[0:3], 0 offen offset:12
	s_waitcnt vmcnt(0)
	ds_write2_b64 v249, v[1:2], v[3:4] offset0:88 offset1:89
	;; [unrolled: 8-line block ×20, first 2 shown]
	ds_read2_b64 v[169:172], v255 offset1:1
	s_waitcnt lgkmcnt(0)
	v_cmp_neq_f64_e32 vcc_lo, 0, v[169:170]
	v_cmp_neq_f64_e64 s5, 0, v[171:172]
	s_or_b32 s5, vcc_lo, s5
	s_and_b32 exec_lo, exec_lo, s5
	s_cbranch_execz .LBB125_514
; %bb.509:
	v_cmp_ngt_f64_e64 s5, |v[169:170]|, |v[171:172]|
                                        ; implicit-def: $vgpr1_vgpr2
	s_and_saveexec_b32 s7, s5
	s_xor_b32 s5, exec_lo, s7
                                        ; implicit-def: $vgpr3_vgpr4
	s_cbranch_execz .LBB125_511
; %bb.510:
	v_div_scale_f64 v[1:2], null, v[171:172], v[171:172], v[169:170]
	v_div_scale_f64 v[175:176], vcc_lo, v[169:170], v[171:172], v[169:170]
	v_rcp_f64_e32 v[3:4], v[1:2]
	v_fma_f64 v[173:174], -v[1:2], v[3:4], 1.0
	v_fma_f64 v[3:4], v[3:4], v[173:174], v[3:4]
	v_fma_f64 v[173:174], -v[1:2], v[3:4], 1.0
	v_fma_f64 v[3:4], v[3:4], v[173:174], v[3:4]
	v_mul_f64 v[173:174], v[175:176], v[3:4]
	v_fma_f64 v[1:2], -v[1:2], v[173:174], v[175:176]
	v_div_fmas_f64 v[1:2], v[1:2], v[3:4], v[173:174]
	v_div_fixup_f64 v[1:2], v[1:2], v[171:172], v[169:170]
	v_fma_f64 v[3:4], v[169:170], v[1:2], v[171:172]
	v_div_scale_f64 v[169:170], null, v[3:4], v[3:4], 1.0
	v_rcp_f64_e32 v[171:172], v[169:170]
	v_fma_f64 v[173:174], -v[169:170], v[171:172], 1.0
	v_fma_f64 v[171:172], v[171:172], v[173:174], v[171:172]
	v_fma_f64 v[173:174], -v[169:170], v[171:172], 1.0
	v_fma_f64 v[171:172], v[171:172], v[173:174], v[171:172]
	v_div_scale_f64 v[173:174], vcc_lo, 1.0, v[3:4], 1.0
	v_mul_f64 v[175:176], v[173:174], v[171:172]
	v_fma_f64 v[169:170], -v[169:170], v[175:176], v[173:174]
	v_div_fmas_f64 v[169:170], v[169:170], v[171:172], v[175:176]
	v_div_fixup_f64 v[3:4], v[169:170], v[3:4], 1.0
                                        ; implicit-def: $vgpr169_vgpr170
	v_mul_f64 v[1:2], v[1:2], v[3:4]
	v_xor_b32_e32 v4, 0x80000000, v4
.LBB125_511:
	s_andn2_saveexec_b32 s5, s5
	s_cbranch_execz .LBB125_513
; %bb.512:
	v_div_scale_f64 v[1:2], null, v[169:170], v[169:170], v[171:172]
	v_div_scale_f64 v[175:176], vcc_lo, v[171:172], v[169:170], v[171:172]
	v_rcp_f64_e32 v[3:4], v[1:2]
	v_fma_f64 v[173:174], -v[1:2], v[3:4], 1.0
	v_fma_f64 v[3:4], v[3:4], v[173:174], v[3:4]
	v_fma_f64 v[173:174], -v[1:2], v[3:4], 1.0
	v_fma_f64 v[3:4], v[3:4], v[173:174], v[3:4]
	v_mul_f64 v[173:174], v[175:176], v[3:4]
	v_fma_f64 v[1:2], -v[1:2], v[173:174], v[175:176]
	v_div_fmas_f64 v[1:2], v[1:2], v[3:4], v[173:174]
	v_div_fixup_f64 v[3:4], v[1:2], v[169:170], v[171:172]
	v_fma_f64 v[1:2], v[171:172], v[3:4], v[169:170]
	v_div_scale_f64 v[169:170], null, v[1:2], v[1:2], 1.0
	v_rcp_f64_e32 v[171:172], v[169:170]
	v_fma_f64 v[173:174], -v[169:170], v[171:172], 1.0
	v_fma_f64 v[171:172], v[171:172], v[173:174], v[171:172]
	v_fma_f64 v[173:174], -v[169:170], v[171:172], 1.0
	v_fma_f64 v[171:172], v[171:172], v[173:174], v[171:172]
	v_div_scale_f64 v[173:174], vcc_lo, 1.0, v[1:2], 1.0
	v_mul_f64 v[175:176], v[173:174], v[171:172]
	v_fma_f64 v[169:170], -v[169:170], v[175:176], v[173:174]
	v_div_fmas_f64 v[169:170], v[169:170], v[171:172], v[175:176]
	v_div_fixup_f64 v[1:2], v[169:170], v[1:2], 1.0
	v_mul_f64 v[3:4], v[3:4], -v[1:2]
.LBB125_513:
	s_or_b32 exec_lo, exec_lo, s5
	ds_write2_b64 v255, v[1:2], v[3:4] offset1:1
.LBB125_514:
	s_or_b32 exec_lo, exec_lo, s6
	s_waitcnt lgkmcnt(0)
	s_barrier
	buffer_gl0_inv
	ds_read2_b64 v[169:172], v255 offset1:1
	s_mov_b32 s5, exec_lo
	v_cmpx_lt_u32_e32 42, v0
	s_cbranch_execz .LBB125_517
; %bb.515:
	s_clause 0x3
	buffer_load_dword v1, off, s[0:3], 0 offset:680
	buffer_load_dword v2, off, s[0:3], 0 offset:684
	;; [unrolled: 1-line block ×4, first 2 shown]
	s_mov_b32 s6, 0
	s_waitcnt vmcnt(2) lgkmcnt(0)
	v_mul_f64 v[173:174], v[171:172], v[1:2]
	v_mul_f64 v[1:2], v[169:170], v[1:2]
	s_waitcnt vmcnt(0)
	v_fma_f64 v[173:174], v[169:170], v[3:4], -v[173:174]
	v_fma_f64 v[175:176], v[171:172], v[3:4], v[1:2]
	buffer_store_dword v173, off, s[0:3], 0 offset:672
	buffer_store_dword v174, off, s[0:3], 0 offset:676
	;; [unrolled: 1-line block ×4, first 2 shown]
.LBB125_516:                            ; =>This Inner Loop Header: Depth=1
	v_add3_u32 v1, v185, 0, 0x2b0
	v_mov_b32_e32 v6, s6
	v_add_nc_u32_e32 v5, s6, v1
	s_addk_i32 s6, 0x50
	s_cmpk_lg_i32 s6, 0x140
	ds_read2_b64 v[1:4], v5 offset1:1
	s_waitcnt lgkmcnt(0)
	v_mul_f64 v[177:178], v[3:4], v[175:176]
	v_fma_f64 v[177:178], v[1:2], v[173:174], -v[177:178]
	v_mul_f64 v[1:2], v[1:2], v[175:176]
	v_fma_f64 v[1:2], v[3:4], v[173:174], v[1:2]
	s_clause 0xf
	buffer_load_dword v3, v6, s[0:3], 0 offen offset:688
	buffer_load_dword v4, v6, s[0:3], 0 offen offset:692
	;; [unrolled: 1-line block ×16, first 2 shown]
	s_waitcnt vmcnt(14)
	v_add_f64 v[3:4], v[3:4], -v[177:178]
	s_waitcnt vmcnt(12)
	v_add_f64 v[1:2], v[179:180], -v[1:2]
	buffer_store_dword v3, v6, s[0:3], 0 offen offset:688
	buffer_store_dword v4, v6, s[0:3], 0 offen offset:692
	buffer_store_dword v1, v6, s[0:3], 0 offen offset:696
	buffer_store_dword v2, v6, s[0:3], 0 offen offset:700
	ds_read2_b64 v[1:4], v5 offset0:2 offset1:3
	s_waitcnt lgkmcnt(0)
	v_mul_f64 v[177:178], v[3:4], v[175:176]
	v_fma_f64 v[177:178], v[1:2], v[173:174], -v[177:178]
	v_mul_f64 v[1:2], v[1:2], v[175:176]
	v_fma_f64 v[1:2], v[3:4], v[173:174], v[1:2]
	s_waitcnt vmcnt(10)
	v_add_f64 v[3:4], v[181:182], -v[177:178]
	s_waitcnt vmcnt(8)
	v_add_f64 v[1:2], v[183:184], -v[1:2]
	buffer_store_dword v3, v6, s[0:3], 0 offen offset:704
	buffer_store_dword v4, v6, s[0:3], 0 offen offset:708
	buffer_store_dword v1, v6, s[0:3], 0 offen offset:712
	buffer_store_dword v2, v6, s[0:3], 0 offen offset:716
	ds_read2_b64 v[1:4], v5 offset0:4 offset1:5
	s_waitcnt lgkmcnt(0)
	v_mul_f64 v[177:178], v[3:4], v[175:176]
	v_fma_f64 v[177:178], v[1:2], v[173:174], -v[177:178]
	v_mul_f64 v[1:2], v[1:2], v[175:176]
	v_fma_f64 v[1:2], v[3:4], v[173:174], v[1:2]
	;; [unrolled: 14-line block ×4, first 2 shown]
	s_clause 0x3
	buffer_load_dword v3, v6, s[0:3], 0 offen offset:752
	buffer_load_dword v4, v6, s[0:3], 0 offen offset:756
	;; [unrolled: 1-line block ×4, first 2 shown]
	s_waitcnt vmcnt(2)
	v_add_f64 v[3:4], v[3:4], -v[177:178]
	s_waitcnt vmcnt(0)
	v_add_f64 v[1:2], v[179:180], -v[1:2]
	buffer_store_dword v4, v6, s[0:3], 0 offen offset:756
	buffer_store_dword v3, v6, s[0:3], 0 offen offset:752
	;; [unrolled: 1-line block ×4, first 2 shown]
	s_cbranch_scc1 .LBB125_516
.LBB125_517:
	s_or_b32 exec_lo, exec_lo, s5
	s_mov_b32 s6, exec_lo
	s_waitcnt lgkmcnt(0)
	s_waitcnt_vscnt null, 0x0
	s_barrier
	buffer_gl0_inv
	v_cmpx_eq_u32_e32 43, v0
	s_cbranch_execz .LBB125_524
; %bb.518:
	v_mov_b32_e32 v4, s35
	s_clause 0x3
	buffer_load_dword v1, v4, s[0:3], 0 offen
	buffer_load_dword v2, v4, s[0:3], 0 offen offset:4
	buffer_load_dword v3, v4, s[0:3], 0 offen offset:8
	;; [unrolled: 1-line block ×3, first 2 shown]
	s_waitcnt vmcnt(0)
	ds_write2_b64 v255, v[1:2], v[3:4] offset1:1
	v_mov_b32_e32 v4, s34
	s_clause 0x3
	buffer_load_dword v1, v4, s[0:3], 0 offen
	buffer_load_dword v2, v4, s[0:3], 0 offen offset:4
	buffer_load_dword v3, v4, s[0:3], 0 offen offset:8
	buffer_load_dword v4, v4, s[0:3], 0 offen offset:12
	s_waitcnt vmcnt(0)
	ds_write2_b64 v249, v[1:2], v[3:4] offset0:88 offset1:89
	v_mov_b32_e32 v4, s33
	s_clause 0x3
	buffer_load_dword v1, v4, s[0:3], 0 offen
	buffer_load_dword v2, v4, s[0:3], 0 offen offset:4
	buffer_load_dword v3, v4, s[0:3], 0 offen offset:8
	buffer_load_dword v4, v4, s[0:3], 0 offen offset:12
	s_waitcnt vmcnt(0)
	ds_write2_b64 v249, v[1:2], v[3:4] offset0:90 offset1:91
	v_mov_b32_e32 v4, s31
	s_clause 0x3
	buffer_load_dword v1, v4, s[0:3], 0 offen
	buffer_load_dword v2, v4, s[0:3], 0 offen offset:4
	buffer_load_dword v3, v4, s[0:3], 0 offen offset:8
	buffer_load_dword v4, v4, s[0:3], 0 offen offset:12
	s_waitcnt vmcnt(0)
	ds_write2_b64 v249, v[1:2], v[3:4] offset0:92 offset1:93
	v_mov_b32_e32 v4, s30
	s_clause 0x3
	buffer_load_dword v1, v4, s[0:3], 0 offen
	buffer_load_dword v2, v4, s[0:3], 0 offen offset:4
	buffer_load_dword v3, v4, s[0:3], 0 offen offset:8
	buffer_load_dword v4, v4, s[0:3], 0 offen offset:12
	s_waitcnt vmcnt(0)
	ds_write2_b64 v249, v[1:2], v[3:4] offset0:94 offset1:95
	v_mov_b32_e32 v4, s29
	s_clause 0x3
	buffer_load_dword v1, v4, s[0:3], 0 offen
	buffer_load_dword v2, v4, s[0:3], 0 offen offset:4
	buffer_load_dword v3, v4, s[0:3], 0 offen offset:8
	buffer_load_dword v4, v4, s[0:3], 0 offen offset:12
	s_waitcnt vmcnt(0)
	ds_write2_b64 v249, v[1:2], v[3:4] offset0:96 offset1:97
	v_mov_b32_e32 v4, s28
	s_clause 0x3
	buffer_load_dword v1, v4, s[0:3], 0 offen
	buffer_load_dword v2, v4, s[0:3], 0 offen offset:4
	buffer_load_dword v3, v4, s[0:3], 0 offen offset:8
	buffer_load_dword v4, v4, s[0:3], 0 offen offset:12
	s_waitcnt vmcnt(0)
	ds_write2_b64 v249, v[1:2], v[3:4] offset0:98 offset1:99
	v_mov_b32_e32 v4, s27
	s_clause 0x3
	buffer_load_dword v1, v4, s[0:3], 0 offen
	buffer_load_dword v2, v4, s[0:3], 0 offen offset:4
	buffer_load_dword v3, v4, s[0:3], 0 offen offset:8
	buffer_load_dword v4, v4, s[0:3], 0 offen offset:12
	s_waitcnt vmcnt(0)
	ds_write2_b64 v249, v[1:2], v[3:4] offset0:100 offset1:101
	v_mov_b32_e32 v4, s26
	s_clause 0x3
	buffer_load_dword v1, v4, s[0:3], 0 offen
	buffer_load_dword v2, v4, s[0:3], 0 offen offset:4
	buffer_load_dword v3, v4, s[0:3], 0 offen offset:8
	buffer_load_dword v4, v4, s[0:3], 0 offen offset:12
	s_waitcnt vmcnt(0)
	ds_write2_b64 v249, v[1:2], v[3:4] offset0:102 offset1:103
	v_mov_b32_e32 v4, s25
	s_clause 0x3
	buffer_load_dword v1, v4, s[0:3], 0 offen
	buffer_load_dword v2, v4, s[0:3], 0 offen offset:4
	buffer_load_dword v3, v4, s[0:3], 0 offen offset:8
	buffer_load_dword v4, v4, s[0:3], 0 offen offset:12
	s_waitcnt vmcnt(0)
	ds_write2_b64 v249, v[1:2], v[3:4] offset0:104 offset1:105
	v_mov_b32_e32 v4, s24
	s_clause 0x3
	buffer_load_dword v1, v4, s[0:3], 0 offen
	buffer_load_dword v2, v4, s[0:3], 0 offen offset:4
	buffer_load_dword v3, v4, s[0:3], 0 offen offset:8
	buffer_load_dword v4, v4, s[0:3], 0 offen offset:12
	s_waitcnt vmcnt(0)
	ds_write2_b64 v249, v[1:2], v[3:4] offset0:106 offset1:107
	v_mov_b32_e32 v4, s23
	s_clause 0x3
	buffer_load_dword v1, v4, s[0:3], 0 offen
	buffer_load_dword v2, v4, s[0:3], 0 offen offset:4
	buffer_load_dword v3, v4, s[0:3], 0 offen offset:8
	buffer_load_dword v4, v4, s[0:3], 0 offen offset:12
	s_waitcnt vmcnt(0)
	ds_write2_b64 v249, v[1:2], v[3:4] offset0:108 offset1:109
	v_mov_b32_e32 v4, s22
	s_clause 0x3
	buffer_load_dword v1, v4, s[0:3], 0 offen
	buffer_load_dword v2, v4, s[0:3], 0 offen offset:4
	buffer_load_dword v3, v4, s[0:3], 0 offen offset:8
	buffer_load_dword v4, v4, s[0:3], 0 offen offset:12
	s_waitcnt vmcnt(0)
	ds_write2_b64 v249, v[1:2], v[3:4] offset0:110 offset1:111
	v_mov_b32_e32 v4, s21
	s_clause 0x3
	buffer_load_dword v1, v4, s[0:3], 0 offen
	buffer_load_dword v2, v4, s[0:3], 0 offen offset:4
	buffer_load_dword v3, v4, s[0:3], 0 offen offset:8
	buffer_load_dword v4, v4, s[0:3], 0 offen offset:12
	s_waitcnt vmcnt(0)
	ds_write2_b64 v249, v[1:2], v[3:4] offset0:112 offset1:113
	v_mov_b32_e32 v4, s20
	s_clause 0x3
	buffer_load_dword v1, v4, s[0:3], 0 offen
	buffer_load_dword v2, v4, s[0:3], 0 offen offset:4
	buffer_load_dword v3, v4, s[0:3], 0 offen offset:8
	buffer_load_dword v4, v4, s[0:3], 0 offen offset:12
	s_waitcnt vmcnt(0)
	ds_write2_b64 v249, v[1:2], v[3:4] offset0:114 offset1:115
	v_mov_b32_e32 v4, s19
	s_clause 0x3
	buffer_load_dword v1, v4, s[0:3], 0 offen
	buffer_load_dword v2, v4, s[0:3], 0 offen offset:4
	buffer_load_dword v3, v4, s[0:3], 0 offen offset:8
	buffer_load_dword v4, v4, s[0:3], 0 offen offset:12
	s_waitcnt vmcnt(0)
	ds_write2_b64 v249, v[1:2], v[3:4] offset0:116 offset1:117
	v_mov_b32_e32 v4, s18
	s_clause 0x3
	buffer_load_dword v1, v4, s[0:3], 0 offen
	buffer_load_dword v2, v4, s[0:3], 0 offen offset:4
	buffer_load_dword v3, v4, s[0:3], 0 offen offset:8
	buffer_load_dword v4, v4, s[0:3], 0 offen offset:12
	s_waitcnt vmcnt(0)
	ds_write2_b64 v249, v[1:2], v[3:4] offset0:118 offset1:119
	v_mov_b32_e32 v4, s16
	s_clause 0x3
	buffer_load_dword v1, v4, s[0:3], 0 offen
	buffer_load_dword v2, v4, s[0:3], 0 offen offset:4
	buffer_load_dword v3, v4, s[0:3], 0 offen offset:8
	buffer_load_dword v4, v4, s[0:3], 0 offen offset:12
	s_waitcnt vmcnt(0)
	ds_write2_b64 v249, v[1:2], v[3:4] offset0:120 offset1:121
	v_mov_b32_e32 v4, s13
	s_clause 0x3
	buffer_load_dword v1, v4, s[0:3], 0 offen
	buffer_load_dword v2, v4, s[0:3], 0 offen offset:4
	buffer_load_dword v3, v4, s[0:3], 0 offen offset:8
	buffer_load_dword v4, v4, s[0:3], 0 offen offset:12
	s_waitcnt vmcnt(0)
	ds_write2_b64 v249, v[1:2], v[3:4] offset0:122 offset1:123
	v_mov_b32_e32 v4, s12
	s_clause 0x3
	buffer_load_dword v1, v4, s[0:3], 0 offen
	buffer_load_dword v2, v4, s[0:3], 0 offen offset:4
	buffer_load_dword v3, v4, s[0:3], 0 offen offset:8
	buffer_load_dword v4, v4, s[0:3], 0 offen offset:12
	s_waitcnt vmcnt(0)
	ds_write2_b64 v249, v[1:2], v[3:4] offset0:124 offset1:125
	ds_read2_b64 v[173:176], v255 offset1:1
	s_waitcnt lgkmcnt(0)
	v_cmp_neq_f64_e32 vcc_lo, 0, v[173:174]
	v_cmp_neq_f64_e64 s5, 0, v[175:176]
	s_or_b32 s5, vcc_lo, s5
	s_and_b32 exec_lo, exec_lo, s5
	s_cbranch_execz .LBB125_524
; %bb.519:
	v_cmp_ngt_f64_e64 s5, |v[173:174]|, |v[175:176]|
                                        ; implicit-def: $vgpr1_vgpr2
	s_and_saveexec_b32 s7, s5
	s_xor_b32 s5, exec_lo, s7
                                        ; implicit-def: $vgpr3_vgpr4
	s_cbranch_execz .LBB125_521
; %bb.520:
	v_div_scale_f64 v[1:2], null, v[175:176], v[175:176], v[173:174]
	v_div_scale_f64 v[179:180], vcc_lo, v[173:174], v[175:176], v[173:174]
	v_rcp_f64_e32 v[3:4], v[1:2]
	v_fma_f64 v[177:178], -v[1:2], v[3:4], 1.0
	v_fma_f64 v[3:4], v[3:4], v[177:178], v[3:4]
	v_fma_f64 v[177:178], -v[1:2], v[3:4], 1.0
	v_fma_f64 v[3:4], v[3:4], v[177:178], v[3:4]
	v_mul_f64 v[177:178], v[179:180], v[3:4]
	v_fma_f64 v[1:2], -v[1:2], v[177:178], v[179:180]
	v_div_fmas_f64 v[1:2], v[1:2], v[3:4], v[177:178]
	v_div_fixup_f64 v[1:2], v[1:2], v[175:176], v[173:174]
	v_fma_f64 v[3:4], v[173:174], v[1:2], v[175:176]
	v_div_scale_f64 v[173:174], null, v[3:4], v[3:4], 1.0
	v_rcp_f64_e32 v[175:176], v[173:174]
	v_fma_f64 v[177:178], -v[173:174], v[175:176], 1.0
	v_fma_f64 v[175:176], v[175:176], v[177:178], v[175:176]
	v_fma_f64 v[177:178], -v[173:174], v[175:176], 1.0
	v_fma_f64 v[175:176], v[175:176], v[177:178], v[175:176]
	v_div_scale_f64 v[177:178], vcc_lo, 1.0, v[3:4], 1.0
	v_mul_f64 v[179:180], v[177:178], v[175:176]
	v_fma_f64 v[173:174], -v[173:174], v[179:180], v[177:178]
	v_div_fmas_f64 v[173:174], v[173:174], v[175:176], v[179:180]
	v_div_fixup_f64 v[3:4], v[173:174], v[3:4], 1.0
                                        ; implicit-def: $vgpr173_vgpr174
	v_mul_f64 v[1:2], v[1:2], v[3:4]
	v_xor_b32_e32 v4, 0x80000000, v4
.LBB125_521:
	s_andn2_saveexec_b32 s5, s5
	s_cbranch_execz .LBB125_523
; %bb.522:
	v_div_scale_f64 v[1:2], null, v[173:174], v[173:174], v[175:176]
	v_div_scale_f64 v[179:180], vcc_lo, v[175:176], v[173:174], v[175:176]
	v_rcp_f64_e32 v[3:4], v[1:2]
	v_fma_f64 v[177:178], -v[1:2], v[3:4], 1.0
	v_fma_f64 v[3:4], v[3:4], v[177:178], v[3:4]
	v_fma_f64 v[177:178], -v[1:2], v[3:4], 1.0
	v_fma_f64 v[3:4], v[3:4], v[177:178], v[3:4]
	v_mul_f64 v[177:178], v[179:180], v[3:4]
	v_fma_f64 v[1:2], -v[1:2], v[177:178], v[179:180]
	v_div_fmas_f64 v[1:2], v[1:2], v[3:4], v[177:178]
	v_div_fixup_f64 v[3:4], v[1:2], v[173:174], v[175:176]
	v_fma_f64 v[1:2], v[175:176], v[3:4], v[173:174]
	v_div_scale_f64 v[173:174], null, v[1:2], v[1:2], 1.0
	v_rcp_f64_e32 v[175:176], v[173:174]
	v_fma_f64 v[177:178], -v[173:174], v[175:176], 1.0
	v_fma_f64 v[175:176], v[175:176], v[177:178], v[175:176]
	v_fma_f64 v[177:178], -v[173:174], v[175:176], 1.0
	v_fma_f64 v[175:176], v[175:176], v[177:178], v[175:176]
	v_div_scale_f64 v[177:178], vcc_lo, 1.0, v[1:2], 1.0
	v_mul_f64 v[179:180], v[177:178], v[175:176]
	v_fma_f64 v[173:174], -v[173:174], v[179:180], v[177:178]
	v_div_fmas_f64 v[173:174], v[173:174], v[175:176], v[179:180]
	v_div_fixup_f64 v[1:2], v[173:174], v[1:2], 1.0
	v_mul_f64 v[3:4], v[3:4], -v[1:2]
.LBB125_523:
	s_or_b32 exec_lo, exec_lo, s5
	ds_write2_b64 v255, v[1:2], v[3:4] offset1:1
.LBB125_524:
	s_or_b32 exec_lo, exec_lo, s6
	s_waitcnt lgkmcnt(0)
	s_barrier
	buffer_gl0_inv
	ds_read2_b64 v[173:176], v255 offset1:1
	s_mov_b32 s5, exec_lo
	v_cmpx_lt_u32_e32 43, v0
	s_cbranch_execz .LBB125_529
; %bb.525:
	s_clause 0x3
	buffer_load_dword v1, off, s[0:3], 0 offset:696
	buffer_load_dword v2, off, s[0:3], 0 offset:700
	;; [unrolled: 1-line block ×4, first 2 shown]
	s_mov_b32 s6, 0
	s_waitcnt vmcnt(2) lgkmcnt(0)
	v_mul_f64 v[177:178], v[175:176], v[1:2]
	v_mul_f64 v[1:2], v[173:174], v[1:2]
	s_waitcnt vmcnt(0)
	v_fma_f64 v[177:178], v[173:174], v[3:4], -v[177:178]
	v_fma_f64 v[179:180], v[175:176], v[3:4], v[1:2]
	buffer_store_dword v177, off, s[0:3], 0 offset:688
	buffer_store_dword v178, off, s[0:3], 0 offset:692
	;; [unrolled: 1-line block ×4, first 2 shown]
	s_branch .LBB125_527
.LBB125_526:                            ;   in Loop: Header=BB125_527 Depth=1
	s_andn2_b32 vcc_lo, exec_lo, s8
	s_cbranch_vccz .LBB125_529
.LBB125_527:                            ; =>This Inner Loop Header: Depth=1
	v_add3_u32 v1, v185, 0, 0x2c0
	v_mov_b32_e32 v4, s6
	s_mov_b32 s7, s6
	s_mov_b32 s8, -1
	s_cmpk_eq_i32 s6, 0x100
	v_add_nc_u32_e32 v1, s6, v1
	ds_read2_b64 v[181:184], v1 offset1:1
	s_waitcnt lgkmcnt(0)
	v_mul_f64 v[2:3], v[183:184], v[179:180]
	v_fma_f64 v[2:3], v[181:182], v[177:178], -v[2:3]
	v_mul_f64 v[181:182], v[181:182], v[179:180]
	v_fma_f64 v[181:182], v[183:184], v[177:178], v[181:182]
	s_clause 0xb
	buffer_load_dword v183, v4, s[0:3], 0 offen offset:704
	buffer_load_dword v184, v4, s[0:3], 0 offen offset:708
	;; [unrolled: 1-line block ×12, first 2 shown]
	s_waitcnt vmcnt(10)
	v_add_f64 v[2:3], v[183:184], -v[2:3]
	s_waitcnt vmcnt(8)
	v_add_f64 v[181:182], v[186:187], -v[181:182]
	buffer_store_dword v2, v4, s[0:3], 0 offen offset:704
	buffer_store_dword v3, v4, s[0:3], 0 offen offset:708
	;; [unrolled: 1-line block ×4, first 2 shown]
	ds_read2_b64 v[181:184], v1 offset0:2 offset1:3
	s_waitcnt lgkmcnt(0)
	v_mul_f64 v[2:3], v[183:184], v[179:180]
	v_fma_f64 v[2:3], v[181:182], v[177:178], -v[2:3]
	v_mul_f64 v[181:182], v[181:182], v[179:180]
	s_waitcnt vmcnt(6)
	v_add_f64 v[2:3], v[188:189], -v[2:3]
	v_fma_f64 v[181:182], v[183:184], v[177:178], v[181:182]
	s_waitcnt vmcnt(4)
	v_add_f64 v[181:182], v[190:191], -v[181:182]
	buffer_store_dword v2, v4, s[0:3], 0 offen offset:720
	buffer_store_dword v3, v4, s[0:3], 0 offen offset:724
	;; [unrolled: 1-line block ×4, first 2 shown]
	ds_read2_b64 v[181:184], v1 offset0:4 offset1:5
	s_waitcnt lgkmcnt(0)
	v_mul_f64 v[2:3], v[183:184], v[179:180]
	v_fma_f64 v[2:3], v[181:182], v[177:178], -v[2:3]
	v_mul_f64 v[181:182], v[181:182], v[179:180]
	s_waitcnt vmcnt(2)
	v_add_f64 v[2:3], v[192:193], -v[2:3]
	v_fma_f64 v[181:182], v[183:184], v[177:178], v[181:182]
	s_waitcnt vmcnt(0)
	v_add_f64 v[181:182], v[194:195], -v[181:182]
	buffer_store_dword v2, v4, s[0:3], 0 offen offset:736
	buffer_store_dword v3, v4, s[0:3], 0 offen offset:740
	buffer_store_dword v181, v4, s[0:3], 0 offen offset:744
	buffer_store_dword v182, v4, s[0:3], 0 offen offset:748
	s_cbranch_scc1 .LBB125_526
; %bb.528:                              ;   in Loop: Header=BB125_527 Depth=1
	ds_read2_b64 v[1:4], v1 offset0:6 offset1:7
	v_mov_b32_e32 v5, s7
	s_add_i32 s6, s6, 64
	s_mov_b32 s8, 0
	s_waitcnt lgkmcnt(0)
	v_mul_f64 v[181:182], v[3:4], v[179:180]
	v_fma_f64 v[181:182], v[1:2], v[177:178], -v[181:182]
	v_mul_f64 v[1:2], v[1:2], v[179:180]
	v_fma_f64 v[1:2], v[3:4], v[177:178], v[1:2]
	s_clause 0x3
	buffer_load_dword v3, v5, s[0:3], 0 offen offset:752
	buffer_load_dword v4, v5, s[0:3], 0 offen offset:756
	;; [unrolled: 1-line block ×4, first 2 shown]
	s_waitcnt vmcnt(2)
	v_add_f64 v[3:4], v[3:4], -v[181:182]
	s_waitcnt vmcnt(0)
	v_add_f64 v[1:2], v[183:184], -v[1:2]
	buffer_store_dword v3, v5, s[0:3], 0 offen offset:752
	buffer_store_dword v4, v5, s[0:3], 0 offen offset:756
	;; [unrolled: 1-line block ×4, first 2 shown]
	s_branch .LBB125_526
.LBB125_529:
	s_or_b32 exec_lo, exec_lo, s5
	s_mov_b32 s6, exec_lo
	s_waitcnt lgkmcnt(0)
	s_waitcnt_vscnt null, 0x0
	s_barrier
	buffer_gl0_inv
	v_cmpx_eq_u32_e32 44, v0
	s_cbranch_execz .LBB125_536
; %bb.530:
	v_mov_b32_e32 v4, s34
	s_clause 0x3
	buffer_load_dword v1, v4, s[0:3], 0 offen
	buffer_load_dword v2, v4, s[0:3], 0 offen offset:4
	buffer_load_dword v3, v4, s[0:3], 0 offen offset:8
	;; [unrolled: 1-line block ×3, first 2 shown]
	s_waitcnt vmcnt(0)
	ds_write2_b64 v255, v[1:2], v[3:4] offset1:1
	v_mov_b32_e32 v4, s33
	s_clause 0x3
	buffer_load_dword v1, v4, s[0:3], 0 offen
	buffer_load_dword v2, v4, s[0:3], 0 offen offset:4
	buffer_load_dword v3, v4, s[0:3], 0 offen offset:8
	buffer_load_dword v4, v4, s[0:3], 0 offen offset:12
	s_waitcnt vmcnt(0)
	ds_write2_b64 v249, v[1:2], v[3:4] offset0:90 offset1:91
	v_mov_b32_e32 v4, s31
	s_clause 0x3
	buffer_load_dword v1, v4, s[0:3], 0 offen
	buffer_load_dword v2, v4, s[0:3], 0 offen offset:4
	buffer_load_dword v3, v4, s[0:3], 0 offen offset:8
	buffer_load_dword v4, v4, s[0:3], 0 offen offset:12
	s_waitcnt vmcnt(0)
	ds_write2_b64 v249, v[1:2], v[3:4] offset0:92 offset1:93
	;; [unrolled: 8-line block ×18, first 2 shown]
	ds_read2_b64 v[177:180], v255 offset1:1
	s_waitcnt lgkmcnt(0)
	v_cmp_neq_f64_e32 vcc_lo, 0, v[177:178]
	v_cmp_neq_f64_e64 s5, 0, v[179:180]
	s_or_b32 s5, vcc_lo, s5
	s_and_b32 exec_lo, exec_lo, s5
	s_cbranch_execz .LBB125_536
; %bb.531:
	v_cmp_ngt_f64_e64 s5, |v[177:178]|, |v[179:180]|
                                        ; implicit-def: $vgpr1_vgpr2
	s_and_saveexec_b32 s7, s5
	s_xor_b32 s5, exec_lo, s7
                                        ; implicit-def: $vgpr3_vgpr4
	s_cbranch_execz .LBB125_533
; %bb.532:
	v_div_scale_f64 v[1:2], null, v[179:180], v[179:180], v[177:178]
	v_div_scale_f64 v[183:184], vcc_lo, v[177:178], v[179:180], v[177:178]
	v_rcp_f64_e32 v[3:4], v[1:2]
	v_fma_f64 v[181:182], -v[1:2], v[3:4], 1.0
	v_fma_f64 v[3:4], v[3:4], v[181:182], v[3:4]
	v_fma_f64 v[181:182], -v[1:2], v[3:4], 1.0
	v_fma_f64 v[3:4], v[3:4], v[181:182], v[3:4]
	v_mul_f64 v[181:182], v[183:184], v[3:4]
	v_fma_f64 v[1:2], -v[1:2], v[181:182], v[183:184]
	v_div_fmas_f64 v[1:2], v[1:2], v[3:4], v[181:182]
	v_div_fixup_f64 v[1:2], v[1:2], v[179:180], v[177:178]
	v_fma_f64 v[3:4], v[177:178], v[1:2], v[179:180]
	v_div_scale_f64 v[177:178], null, v[3:4], v[3:4], 1.0
	v_rcp_f64_e32 v[179:180], v[177:178]
	v_fma_f64 v[181:182], -v[177:178], v[179:180], 1.0
	v_fma_f64 v[179:180], v[179:180], v[181:182], v[179:180]
	v_fma_f64 v[181:182], -v[177:178], v[179:180], 1.0
	v_fma_f64 v[179:180], v[179:180], v[181:182], v[179:180]
	v_div_scale_f64 v[181:182], vcc_lo, 1.0, v[3:4], 1.0
	v_mul_f64 v[183:184], v[181:182], v[179:180]
	v_fma_f64 v[177:178], -v[177:178], v[183:184], v[181:182]
	v_div_fmas_f64 v[177:178], v[177:178], v[179:180], v[183:184]
	v_div_fixup_f64 v[3:4], v[177:178], v[3:4], 1.0
                                        ; implicit-def: $vgpr177_vgpr178
	v_mul_f64 v[1:2], v[1:2], v[3:4]
	v_xor_b32_e32 v4, 0x80000000, v4
.LBB125_533:
	s_andn2_saveexec_b32 s5, s5
	s_cbranch_execz .LBB125_535
; %bb.534:
	v_div_scale_f64 v[1:2], null, v[177:178], v[177:178], v[179:180]
	v_div_scale_f64 v[183:184], vcc_lo, v[179:180], v[177:178], v[179:180]
	v_rcp_f64_e32 v[3:4], v[1:2]
	v_fma_f64 v[181:182], -v[1:2], v[3:4], 1.0
	v_fma_f64 v[3:4], v[3:4], v[181:182], v[3:4]
	v_fma_f64 v[181:182], -v[1:2], v[3:4], 1.0
	v_fma_f64 v[3:4], v[3:4], v[181:182], v[3:4]
	v_mul_f64 v[181:182], v[183:184], v[3:4]
	v_fma_f64 v[1:2], -v[1:2], v[181:182], v[183:184]
	v_div_fmas_f64 v[1:2], v[1:2], v[3:4], v[181:182]
	v_div_fixup_f64 v[3:4], v[1:2], v[177:178], v[179:180]
	v_fma_f64 v[1:2], v[179:180], v[3:4], v[177:178]
	v_div_scale_f64 v[177:178], null, v[1:2], v[1:2], 1.0
	v_rcp_f64_e32 v[179:180], v[177:178]
	v_fma_f64 v[181:182], -v[177:178], v[179:180], 1.0
	v_fma_f64 v[179:180], v[179:180], v[181:182], v[179:180]
	v_fma_f64 v[181:182], -v[177:178], v[179:180], 1.0
	v_fma_f64 v[179:180], v[179:180], v[181:182], v[179:180]
	v_div_scale_f64 v[181:182], vcc_lo, 1.0, v[1:2], 1.0
	v_mul_f64 v[183:184], v[181:182], v[179:180]
	v_fma_f64 v[177:178], -v[177:178], v[183:184], v[181:182]
	v_div_fmas_f64 v[177:178], v[177:178], v[179:180], v[183:184]
	v_div_fixup_f64 v[1:2], v[177:178], v[1:2], 1.0
	v_mul_f64 v[3:4], v[3:4], -v[1:2]
.LBB125_535:
	s_or_b32 exec_lo, exec_lo, s5
	ds_write2_b64 v255, v[1:2], v[3:4] offset1:1
.LBB125_536:
	s_or_b32 exec_lo, exec_lo, s6
	s_waitcnt lgkmcnt(0)
	s_barrier
	buffer_gl0_inv
	ds_read2_b64 v[177:180], v255 offset1:1
	s_mov_b32 s5, exec_lo
	v_cmpx_lt_u32_e32 44, v0
	s_cbranch_execz .LBB125_539
; %bb.537:
	s_clause 0x3
	buffer_load_dword v1, off, s[0:3], 0 offset:712
	buffer_load_dword v2, off, s[0:3], 0 offset:716
	;; [unrolled: 1-line block ×4, first 2 shown]
	s_mov_b32 s6, 0
	s_waitcnt vmcnt(2) lgkmcnt(0)
	v_mul_f64 v[181:182], v[179:180], v[1:2]
	v_mul_f64 v[1:2], v[177:178], v[1:2]
	s_waitcnt vmcnt(0)
	v_fma_f64 v[181:182], v[177:178], v[3:4], -v[181:182]
	v_fma_f64 v[183:184], v[179:180], v[3:4], v[1:2]
	v_add3_u32 v1, v185, 0, 0x2d0
	buffer_store_dword v181, off, s[0:3], 0 offset:704
	buffer_store_dword v182, off, s[0:3], 0 offset:708
	;; [unrolled: 1-line block ×4, first 2 shown]
.LBB125_538:                            ; =>This Inner Loop Header: Depth=1
	v_add_nc_u32_e32 v4, s6, v1
	v_mov_b32_e32 v5, s6
	s_addk_i32 s6, 0x60
	s_cmpk_lg_i32 s6, 0x120
	ds_read2_b64 v[185:188], v4 offset1:1
	s_waitcnt lgkmcnt(0)
	v_mul_f64 v[2:3], v[187:188], v[183:184]
	v_fma_f64 v[2:3], v[185:186], v[181:182], -v[2:3]
	v_mul_f64 v[185:186], v[185:186], v[183:184]
	v_fma_f64 v[185:186], v[187:188], v[181:182], v[185:186]
	s_clause 0xf
	buffer_load_dword v187, v5, s[0:3], 0 offen offset:720
	buffer_load_dword v188, v5, s[0:3], 0 offen offset:724
	;; [unrolled: 1-line block ×16, first 2 shown]
	s_waitcnt vmcnt(14)
	v_add_f64 v[2:3], v[187:188], -v[2:3]
	s_waitcnt vmcnt(12)
	v_add_f64 v[185:186], v[189:190], -v[185:186]
	buffer_store_dword v2, v5, s[0:3], 0 offen offset:720
	buffer_store_dword v3, v5, s[0:3], 0 offen offset:724
	buffer_store_dword v185, v5, s[0:3], 0 offen offset:728
	buffer_store_dword v186, v5, s[0:3], 0 offen offset:732
	ds_read2_b64 v[185:188], v4 offset0:2 offset1:3
	s_waitcnt lgkmcnt(0)
	v_mul_f64 v[2:3], v[187:188], v[183:184]
	v_fma_f64 v[2:3], v[185:186], v[181:182], -v[2:3]
	v_mul_f64 v[185:186], v[185:186], v[183:184]
	s_waitcnt vmcnt(10)
	v_add_f64 v[2:3], v[191:192], -v[2:3]
	v_fma_f64 v[185:186], v[187:188], v[181:182], v[185:186]
	s_waitcnt vmcnt(8)
	v_add_f64 v[185:186], v[193:194], -v[185:186]
	buffer_store_dword v2, v5, s[0:3], 0 offen offset:736
	buffer_store_dword v3, v5, s[0:3], 0 offen offset:740
	buffer_store_dword v185, v5, s[0:3], 0 offen offset:744
	buffer_store_dword v186, v5, s[0:3], 0 offen offset:748
	ds_read2_b64 v[185:188], v4 offset0:4 offset1:5
	s_waitcnt lgkmcnt(0)
	v_mul_f64 v[2:3], v[187:188], v[183:184]
	v_fma_f64 v[2:3], v[185:186], v[181:182], -v[2:3]
	v_mul_f64 v[185:186], v[185:186], v[183:184]
	s_waitcnt vmcnt(6)
	v_add_f64 v[2:3], v[195:196], -v[2:3]
	v_fma_f64 v[185:186], v[187:188], v[181:182], v[185:186]
	;; [unrolled: 14-line block ×3, first 2 shown]
	s_waitcnt vmcnt(0)
	v_add_f64 v[185:186], v[201:202], -v[185:186]
	buffer_store_dword v3, v5, s[0:3], 0 offen offset:772
	buffer_store_dword v2, v5, s[0:3], 0 offen offset:768
	;; [unrolled: 1-line block ×4, first 2 shown]
	ds_read2_b64 v[185:188], v4 offset0:8 offset1:9
	s_waitcnt lgkmcnt(0)
	v_mul_f64 v[2:3], v[187:188], v[183:184]
	v_fma_f64 v[2:3], v[185:186], v[181:182], -v[2:3]
	v_mul_f64 v[185:186], v[185:186], v[183:184]
	v_fma_f64 v[185:186], v[187:188], v[181:182], v[185:186]
	s_clause 0x3
	buffer_load_dword v187, v5, s[0:3], 0 offen offset:784
	buffer_load_dword v188, v5, s[0:3], 0 offen offset:788
	;; [unrolled: 1-line block ×4, first 2 shown]
	s_waitcnt vmcnt(2)
	v_add_f64 v[2:3], v[187:188], -v[2:3]
	s_waitcnt vmcnt(0)
	v_add_f64 v[185:186], v[189:190], -v[185:186]
	buffer_store_dword v3, v5, s[0:3], 0 offen offset:788
	buffer_store_dword v2, v5, s[0:3], 0 offen offset:784
	;; [unrolled: 1-line block ×4, first 2 shown]
	ds_read2_b64 v[185:188], v4 offset0:10 offset1:11
	s_waitcnt lgkmcnt(0)
	v_mul_f64 v[2:3], v[187:188], v[183:184]
	v_fma_f64 v[2:3], v[185:186], v[181:182], -v[2:3]
	v_mul_f64 v[185:186], v[185:186], v[183:184]
	v_fma_f64 v[185:186], v[187:188], v[181:182], v[185:186]
	s_clause 0x3
	buffer_load_dword v187, v5, s[0:3], 0 offen offset:800
	buffer_load_dword v188, v5, s[0:3], 0 offen offset:804
	;; [unrolled: 1-line block ×4, first 2 shown]
	s_waitcnt vmcnt(2)
	v_add_f64 v[2:3], v[187:188], -v[2:3]
	s_waitcnt vmcnt(0)
	v_add_f64 v[185:186], v[189:190], -v[185:186]
	buffer_store_dword v3, v5, s[0:3], 0 offen offset:804
	buffer_store_dword v2, v5, s[0:3], 0 offen offset:800
	buffer_store_dword v186, v5, s[0:3], 0 offen offset:812
	buffer_store_dword v185, v5, s[0:3], 0 offen offset:808
	s_cbranch_scc1 .LBB125_538
.LBB125_539:
	s_or_b32 exec_lo, exec_lo, s5
	s_mov_b32 s6, exec_lo
	s_waitcnt lgkmcnt(0)
	s_waitcnt_vscnt null, 0x0
	s_barrier
	buffer_gl0_inv
	v_cmpx_eq_u32_e32 45, v0
	s_cbranch_execz .LBB125_546
; %bb.540:
	v_mov_b32_e32 v4, s33
	s_clause 0x3
	buffer_load_dword v1, v4, s[0:3], 0 offen
	buffer_load_dword v2, v4, s[0:3], 0 offen offset:4
	buffer_load_dword v3, v4, s[0:3], 0 offen offset:8
	;; [unrolled: 1-line block ×3, first 2 shown]
	s_waitcnt vmcnt(0)
	ds_write2_b64 v255, v[1:2], v[3:4] offset1:1
	v_mov_b32_e32 v4, s31
	s_clause 0x3
	buffer_load_dword v1, v4, s[0:3], 0 offen
	buffer_load_dword v2, v4, s[0:3], 0 offen offset:4
	buffer_load_dword v3, v4, s[0:3], 0 offen offset:8
	buffer_load_dword v4, v4, s[0:3], 0 offen offset:12
	s_waitcnt vmcnt(0)
	ds_write2_b64 v249, v[1:2], v[3:4] offset0:92 offset1:93
	v_mov_b32_e32 v4, s30
	s_clause 0x3
	buffer_load_dword v1, v4, s[0:3], 0 offen
	buffer_load_dword v2, v4, s[0:3], 0 offen offset:4
	buffer_load_dword v3, v4, s[0:3], 0 offen offset:8
	buffer_load_dword v4, v4, s[0:3], 0 offen offset:12
	s_waitcnt vmcnt(0)
	ds_write2_b64 v249, v[1:2], v[3:4] offset0:94 offset1:95
	;; [unrolled: 8-line block ×17, first 2 shown]
	ds_read2_b64 v[181:184], v255 offset1:1
	s_waitcnt lgkmcnt(0)
	v_cmp_neq_f64_e32 vcc_lo, 0, v[181:182]
	v_cmp_neq_f64_e64 s5, 0, v[183:184]
	s_or_b32 s5, vcc_lo, s5
	s_and_b32 exec_lo, exec_lo, s5
	s_cbranch_execz .LBB125_546
; %bb.541:
	v_cmp_ngt_f64_e64 s5, |v[181:182]|, |v[183:184]|
                                        ; implicit-def: $vgpr1_vgpr2
	s_and_saveexec_b32 s7, s5
	s_xor_b32 s5, exec_lo, s7
                                        ; implicit-def: $vgpr3_vgpr4
	s_cbranch_execz .LBB125_543
; %bb.542:
	v_div_scale_f64 v[1:2], null, v[183:184], v[183:184], v[181:182]
	v_div_scale_f64 v[187:188], vcc_lo, v[181:182], v[183:184], v[181:182]
	v_rcp_f64_e32 v[3:4], v[1:2]
	v_fma_f64 v[185:186], -v[1:2], v[3:4], 1.0
	v_fma_f64 v[3:4], v[3:4], v[185:186], v[3:4]
	v_fma_f64 v[185:186], -v[1:2], v[3:4], 1.0
	v_fma_f64 v[3:4], v[3:4], v[185:186], v[3:4]
	v_mul_f64 v[185:186], v[187:188], v[3:4]
	v_fma_f64 v[1:2], -v[1:2], v[185:186], v[187:188]
	v_div_fmas_f64 v[1:2], v[1:2], v[3:4], v[185:186]
	v_div_fixup_f64 v[1:2], v[1:2], v[183:184], v[181:182]
	v_fma_f64 v[3:4], v[181:182], v[1:2], v[183:184]
	v_div_scale_f64 v[181:182], null, v[3:4], v[3:4], 1.0
	v_rcp_f64_e32 v[183:184], v[181:182]
	v_fma_f64 v[185:186], -v[181:182], v[183:184], 1.0
	v_fma_f64 v[183:184], v[183:184], v[185:186], v[183:184]
	v_fma_f64 v[185:186], -v[181:182], v[183:184], 1.0
	v_fma_f64 v[183:184], v[183:184], v[185:186], v[183:184]
	v_div_scale_f64 v[185:186], vcc_lo, 1.0, v[3:4], 1.0
	v_mul_f64 v[187:188], v[185:186], v[183:184]
	v_fma_f64 v[181:182], -v[181:182], v[187:188], v[185:186]
	v_div_fmas_f64 v[181:182], v[181:182], v[183:184], v[187:188]
	v_div_fixup_f64 v[3:4], v[181:182], v[3:4], 1.0
                                        ; implicit-def: $vgpr181_vgpr182
	v_mul_f64 v[1:2], v[1:2], v[3:4]
	v_xor_b32_e32 v4, 0x80000000, v4
.LBB125_543:
	s_andn2_saveexec_b32 s5, s5
	s_cbranch_execz .LBB125_545
; %bb.544:
	v_div_scale_f64 v[1:2], null, v[181:182], v[181:182], v[183:184]
	v_div_scale_f64 v[187:188], vcc_lo, v[183:184], v[181:182], v[183:184]
	v_rcp_f64_e32 v[3:4], v[1:2]
	v_fma_f64 v[185:186], -v[1:2], v[3:4], 1.0
	v_fma_f64 v[3:4], v[3:4], v[185:186], v[3:4]
	v_fma_f64 v[185:186], -v[1:2], v[3:4], 1.0
	v_fma_f64 v[3:4], v[3:4], v[185:186], v[3:4]
	v_mul_f64 v[185:186], v[187:188], v[3:4]
	v_fma_f64 v[1:2], -v[1:2], v[185:186], v[187:188]
	v_div_fmas_f64 v[1:2], v[1:2], v[3:4], v[185:186]
	v_div_fixup_f64 v[3:4], v[1:2], v[181:182], v[183:184]
	v_fma_f64 v[1:2], v[183:184], v[3:4], v[181:182]
	v_div_scale_f64 v[181:182], null, v[1:2], v[1:2], 1.0
	v_rcp_f64_e32 v[183:184], v[181:182]
	v_fma_f64 v[185:186], -v[181:182], v[183:184], 1.0
	v_fma_f64 v[183:184], v[183:184], v[185:186], v[183:184]
	v_fma_f64 v[185:186], -v[181:182], v[183:184], 1.0
	v_fma_f64 v[183:184], v[183:184], v[185:186], v[183:184]
	v_div_scale_f64 v[185:186], vcc_lo, 1.0, v[1:2], 1.0
	v_mul_f64 v[187:188], v[185:186], v[183:184]
	v_fma_f64 v[181:182], -v[181:182], v[187:188], v[185:186]
	v_div_fmas_f64 v[181:182], v[181:182], v[183:184], v[187:188]
	v_div_fixup_f64 v[1:2], v[181:182], v[1:2], 1.0
	v_mul_f64 v[3:4], v[3:4], -v[1:2]
.LBB125_545:
	s_or_b32 exec_lo, exec_lo, s5
	ds_write2_b64 v255, v[1:2], v[3:4] offset1:1
.LBB125_546:
	s_or_b32 exec_lo, exec_lo, s6
	s_waitcnt lgkmcnt(0)
	s_barrier
	buffer_gl0_inv
	ds_read2_b64 v[181:184], v255 offset1:1
	s_mov_b32 s5, exec_lo
	v_cmpx_lt_u32_e32 45, v0
	s_cbranch_execz .LBB125_548
; %bb.547:
	s_clause 0xf
	buffer_load_dword v1, off, s[0:3], 0 offset:720
	buffer_load_dword v2, off, s[0:3], 0 offset:724
	buffer_load_dword v3, off, s[0:3], 0 offset:728
	buffer_load_dword v4, off, s[0:3], 0 offset:732
	buffer_load_dword v185, off, s[0:3], 0 offset:736
	buffer_load_dword v186, off, s[0:3], 0 offset:740
	buffer_load_dword v187, off, s[0:3], 0 offset:744
	buffer_load_dword v188, off, s[0:3], 0 offset:748
	buffer_load_dword v189, off, s[0:3], 0 offset:752
	buffer_load_dword v190, off, s[0:3], 0 offset:756
	buffer_load_dword v191, off, s[0:3], 0 offset:760
	buffer_load_dword v192, off, s[0:3], 0 offset:764
	buffer_load_dword v193, off, s[0:3], 0 offset:768
	buffer_load_dword v194, off, s[0:3], 0 offset:772
	buffer_load_dword v195, off, s[0:3], 0 offset:776
	buffer_load_dword v196, off, s[0:3], 0 offset:780
	s_waitcnt vmcnt(12) lgkmcnt(0)
	v_mul_f64 v[197:198], v[183:184], v[3:4]
	v_mul_f64 v[3:4], v[181:182], v[3:4]
	v_fma_f64 v[197:198], v[181:182], v[1:2], -v[197:198]
	v_fma_f64 v[199:200], v[183:184], v[1:2], v[3:4]
	buffer_store_dword v197, off, s[0:3], 0 offset:720
	buffer_store_dword v198, off, s[0:3], 0 offset:724
	buffer_store_dword v199, off, s[0:3], 0 offset:728
	buffer_store_dword v200, off, s[0:3], 0 offset:732
	ds_read2_b64 v[1:4], v249 offset0:92 offset1:93
	s_waitcnt lgkmcnt(0)
	v_mul_f64 v[201:202], v[3:4], v[199:200]
	v_fma_f64 v[201:202], v[1:2], v[197:198], -v[201:202]
	v_mul_f64 v[1:2], v[1:2], v[199:200]
	v_fma_f64 v[1:2], v[3:4], v[197:198], v[1:2]
	s_waitcnt vmcnt(10)
	v_add_f64 v[3:4], v[185:186], -v[201:202]
	s_waitcnt vmcnt(8)
	v_add_f64 v[1:2], v[187:188], -v[1:2]
	buffer_store_dword v3, off, s[0:3], 0 offset:736
	buffer_store_dword v4, off, s[0:3], 0 offset:740
	buffer_store_dword v1, off, s[0:3], 0 offset:744
	buffer_store_dword v2, off, s[0:3], 0 offset:748
	ds_read2_b64 v[1:4], v249 offset0:94 offset1:95
	s_waitcnt lgkmcnt(0)
	v_mul_f64 v[185:186], v[3:4], v[199:200]
	v_fma_f64 v[185:186], v[1:2], v[197:198], -v[185:186]
	v_mul_f64 v[1:2], v[1:2], v[199:200]
	v_fma_f64 v[1:2], v[3:4], v[197:198], v[1:2]
	s_waitcnt vmcnt(6)
	v_add_f64 v[3:4], v[189:190], -v[185:186]
	s_waitcnt vmcnt(4)
	v_add_f64 v[1:2], v[191:192], -v[1:2]
	;; [unrolled: 14-line block ×3, first 2 shown]
	buffer_store_dword v4, off, s[0:3], 0 offset:772
	buffer_store_dword v3, off, s[0:3], 0 offset:768
	buffer_store_dword v1, off, s[0:3], 0 offset:776
	buffer_store_dword v2, off, s[0:3], 0 offset:780
	ds_read2_b64 v[1:4], v249 offset0:98 offset1:99
	s_waitcnt lgkmcnt(0)
	v_mul_f64 v[185:186], v[3:4], v[199:200]
	v_fma_f64 v[185:186], v[1:2], v[197:198], -v[185:186]
	v_mul_f64 v[1:2], v[1:2], v[199:200]
	v_fma_f64 v[1:2], v[3:4], v[197:198], v[1:2]
	s_clause 0x3
	buffer_load_dword v3, off, s[0:3], 0 offset:784
	buffer_load_dword v4, off, s[0:3], 0 offset:788
	buffer_load_dword v187, off, s[0:3], 0 offset:792
	buffer_load_dword v188, off, s[0:3], 0 offset:796
	s_waitcnt vmcnt(2)
	v_add_f64 v[3:4], v[3:4], -v[185:186]
	s_waitcnt vmcnt(0)
	v_add_f64 v[1:2], v[187:188], -v[1:2]
	buffer_store_dword v4, off, s[0:3], 0 offset:788
	buffer_store_dword v3, off, s[0:3], 0 offset:784
	buffer_store_dword v2, off, s[0:3], 0 offset:796
	buffer_store_dword v1, off, s[0:3], 0 offset:792
	ds_read2_b64 v[1:4], v249 offset0:100 offset1:101
	s_waitcnt lgkmcnt(0)
	v_mul_f64 v[185:186], v[3:4], v[199:200]
	v_fma_f64 v[185:186], v[1:2], v[197:198], -v[185:186]
	v_mul_f64 v[1:2], v[1:2], v[199:200]
	v_fma_f64 v[1:2], v[3:4], v[197:198], v[1:2]
	s_clause 0x3
	buffer_load_dword v3, off, s[0:3], 0 offset:800
	buffer_load_dword v4, off, s[0:3], 0 offset:804
	buffer_load_dword v187, off, s[0:3], 0 offset:808
	buffer_load_dword v188, off, s[0:3], 0 offset:812
	s_waitcnt vmcnt(2)
	v_add_f64 v[3:4], v[3:4], -v[185:186]
	s_waitcnt vmcnt(0)
	v_add_f64 v[1:2], v[187:188], -v[1:2]
	;; [unrolled: 19-line block ×3, first 2 shown]
	buffer_store_dword v4, off, s[0:3], 0 offset:820
	buffer_store_dword v3, off, s[0:3], 0 offset:816
	;; [unrolled: 1-line block ×4, first 2 shown]
	ds_read2_b64 v[1:4], v249 offset0:104 offset1:105
	s_clause 0x3
	buffer_load_dword v185, off, s[0:3], 0 offset:720
	buffer_load_dword v186, off, s[0:3], 0 offset:724
	buffer_load_dword v187, off, s[0:3], 0 offset:728
	buffer_load_dword v188, off, s[0:3], 0 offset:732
	s_waitcnt vmcnt(0) lgkmcnt(0)
	v_mul_f64 v[189:190], v[3:4], v[187:188]
	v_fma_f64 v[189:190], v[1:2], v[185:186], -v[189:190]
	v_mul_f64 v[1:2], v[1:2], v[187:188]
	v_fma_f64 v[1:2], v[3:4], v[185:186], v[1:2]
	s_clause 0x1
	buffer_load_dword v4, off, s[0:3], 0 offset:836
	buffer_load_dword v3, off, s[0:3], 0 offset:832
	s_waitcnt vmcnt(0)
	v_add_f64 v[3:4], v[3:4], -v[189:190]
	s_clause 0x1
	buffer_load_dword v190, off, s[0:3], 0 offset:844
	buffer_load_dword v189, off, s[0:3], 0 offset:840
	s_waitcnt vmcnt(0)
	v_add_f64 v[1:2], v[189:190], -v[1:2]
	buffer_store_dword v4, off, s[0:3], 0 offset:836
	buffer_store_dword v3, off, s[0:3], 0 offset:832
	buffer_store_dword v2, off, s[0:3], 0 offset:844
	buffer_store_dword v1, off, s[0:3], 0 offset:840
	ds_read2_b64 v[1:4], v249 offset0:106 offset1:107
	s_waitcnt lgkmcnt(0)
	v_mul_f64 v[189:190], v[3:4], v[187:188]
	v_fma_f64 v[189:190], v[1:2], v[185:186], -v[189:190]
	v_mul_f64 v[1:2], v[1:2], v[187:188]
	v_fma_f64 v[1:2], v[3:4], v[185:186], v[1:2]
	s_clause 0x3
	buffer_load_dword v3, off, s[0:3], 0 offset:848
	buffer_load_dword v4, off, s[0:3], 0 offset:852
	buffer_load_dword v191, off, s[0:3], 0 offset:856
	buffer_load_dword v192, off, s[0:3], 0 offset:860
	s_waitcnt vmcnt(2)
	v_add_f64 v[3:4], v[3:4], -v[189:190]
	s_waitcnt vmcnt(0)
	v_add_f64 v[1:2], v[191:192], -v[1:2]
	buffer_store_dword v4, off, s[0:3], 0 offset:852
	buffer_store_dword v3, off, s[0:3], 0 offset:848
	buffer_store_dword v2, off, s[0:3], 0 offset:860
	buffer_store_dword v1, off, s[0:3], 0 offset:856
	ds_read2_b64 v[1:4], v249 offset0:108 offset1:109
	s_waitcnt lgkmcnt(0)
	v_mul_f64 v[189:190], v[3:4], v[187:188]
	v_fma_f64 v[189:190], v[1:2], v[185:186], -v[189:190]
	v_mul_f64 v[1:2], v[1:2], v[187:188]
	v_fma_f64 v[1:2], v[3:4], v[185:186], v[1:2]
	s_clause 0x3
	buffer_load_dword v3, off, s[0:3], 0 offset:864
	buffer_load_dword v4, off, s[0:3], 0 offset:868
	buffer_load_dword v191, off, s[0:3], 0 offset:872
	buffer_load_dword v192, off, s[0:3], 0 offset:876
	s_waitcnt vmcnt(2)
	v_add_f64 v[3:4], v[3:4], -v[189:190]
	;; [unrolled: 19-line block ×5, first 2 shown]
	s_waitcnt vmcnt(0)
	v_add_f64 v[1:2], v[185:186], -v[1:2]
	buffer_store_dword v4, off, s[0:3], 0 offset:916
	buffer_store_dword v3, off, s[0:3], 0 offset:912
	;; [unrolled: 1-line block ×4, first 2 shown]
	ds_read2_b64 v[1:4], v249 offset0:116 offset1:117
	s_clause 0x3
	buffer_load_dword v185, off, s[0:3], 0 offset:720
	buffer_load_dword v186, off, s[0:3], 0 offset:724
	;; [unrolled: 1-line block ×4, first 2 shown]
	s_waitcnt vmcnt(0) lgkmcnt(0)
	v_mul_f64 v[189:190], v[3:4], v[187:188]
	v_fma_f64 v[189:190], v[1:2], v[185:186], -v[189:190]
	v_mul_f64 v[1:2], v[1:2], v[187:188]
	v_fma_f64 v[1:2], v[3:4], v[185:186], v[1:2]
	s_clause 0x1
	buffer_load_dword v4, off, s[0:3], 0 offset:932
	buffer_load_dword v3, off, s[0:3], 0 offset:928
	s_waitcnt vmcnt(0)
	v_add_f64 v[3:4], v[3:4], -v[189:190]
	s_clause 0x1
	buffer_load_dword v190, off, s[0:3], 0 offset:940
	buffer_load_dword v189, off, s[0:3], 0 offset:936
	s_waitcnt vmcnt(0)
	v_add_f64 v[1:2], v[189:190], -v[1:2]
	buffer_store_dword v4, off, s[0:3], 0 offset:932
	buffer_store_dword v3, off, s[0:3], 0 offset:928
	buffer_store_dword v2, off, s[0:3], 0 offset:940
	buffer_store_dword v1, off, s[0:3], 0 offset:936
	ds_read2_b64 v[1:4], v249 offset0:118 offset1:119
	s_waitcnt lgkmcnt(0)
	v_mul_f64 v[189:190], v[3:4], v[187:188]
	v_fma_f64 v[189:190], v[1:2], v[185:186], -v[189:190]
	v_mul_f64 v[1:2], v[1:2], v[187:188]
	v_fma_f64 v[1:2], v[3:4], v[185:186], v[1:2]
	s_clause 0x3
	buffer_load_dword v3, off, s[0:3], 0 offset:944
	buffer_load_dword v4, off, s[0:3], 0 offset:948
	buffer_load_dword v191, off, s[0:3], 0 offset:952
	buffer_load_dword v192, off, s[0:3], 0 offset:956
	s_waitcnt vmcnt(2)
	v_add_f64 v[3:4], v[3:4], -v[189:190]
	s_waitcnt vmcnt(0)
	v_add_f64 v[1:2], v[191:192], -v[1:2]
	buffer_store_dword v4, off, s[0:3], 0 offset:948
	buffer_store_dword v3, off, s[0:3], 0 offset:944
	buffer_store_dword v2, off, s[0:3], 0 offset:956
	buffer_store_dword v1, off, s[0:3], 0 offset:952
	ds_read2_b64 v[1:4], v249 offset0:120 offset1:121
	s_waitcnt lgkmcnt(0)
	v_mul_f64 v[189:190], v[3:4], v[187:188]
	v_fma_f64 v[189:190], v[1:2], v[185:186], -v[189:190]
	v_mul_f64 v[1:2], v[1:2], v[187:188]
	v_fma_f64 v[1:2], v[3:4], v[185:186], v[1:2]
	s_clause 0x3
	buffer_load_dword v3, off, s[0:3], 0 offset:960
	buffer_load_dword v4, off, s[0:3], 0 offset:964
	buffer_load_dword v191, off, s[0:3], 0 offset:968
	buffer_load_dword v192, off, s[0:3], 0 offset:972
	s_waitcnt vmcnt(2)
	v_add_f64 v[3:4], v[3:4], -v[189:190]
	s_waitcnt vmcnt(0)
	v_add_f64 v[1:2], v[191:192], -v[1:2]
	buffer_store_dword v4, off, s[0:3], 0 offset:964
	buffer_store_dword v3, off, s[0:3], 0 offset:960
	buffer_store_dword v2, off, s[0:3], 0 offset:972
	buffer_store_dword v1, off, s[0:3], 0 offset:968
	ds_read2_b64 v[1:4], v249 offset0:122 offset1:123
	s_waitcnt lgkmcnt(0)
	v_mul_f64 v[189:190], v[3:4], v[187:188]
	v_fma_f64 v[189:190], v[1:2], v[185:186], -v[189:190]
	v_mul_f64 v[1:2], v[1:2], v[187:188]
	v_fma_f64 v[1:2], v[3:4], v[185:186], v[1:2]
	s_clause 0x3
	buffer_load_dword v3, off, s[0:3], 0 offset:976
	buffer_load_dword v4, off, s[0:3], 0 offset:980
	buffer_load_dword v191, off, s[0:3], 0 offset:984
	buffer_load_dword v192, off, s[0:3], 0 offset:988
	s_waitcnt vmcnt(2)
	v_add_f64 v[3:4], v[3:4], -v[189:190]
	s_waitcnt vmcnt(0)
	v_add_f64 v[1:2], v[191:192], -v[1:2]
	buffer_store_dword v4, off, s[0:3], 0 offset:980
	buffer_store_dword v3, off, s[0:3], 0 offset:976
	buffer_store_dword v2, off, s[0:3], 0 offset:988
	buffer_store_dword v1, off, s[0:3], 0 offset:984
	ds_read2_b64 v[1:4], v249 offset0:124 offset1:125
	s_waitcnt lgkmcnt(0)
	v_mul_f64 v[189:190], v[3:4], v[187:188]
	v_fma_f64 v[189:190], v[1:2], v[185:186], -v[189:190]
	v_mul_f64 v[1:2], v[1:2], v[187:188]
	v_fma_f64 v[1:2], v[3:4], v[185:186], v[1:2]
	s_clause 0x3
	buffer_load_dword v3, off, s[0:3], 0 offset:992
	buffer_load_dword v4, off, s[0:3], 0 offset:996
	buffer_load_dword v185, off, s[0:3], 0 offset:1000
	buffer_load_dword v186, off, s[0:3], 0 offset:1004
	s_waitcnt vmcnt(2)
	v_add_f64 v[3:4], v[3:4], -v[189:190]
	s_waitcnt vmcnt(0)
	v_add_f64 v[1:2], v[185:186], -v[1:2]
	buffer_store_dword v4, off, s[0:3], 0 offset:996
	buffer_store_dword v3, off, s[0:3], 0 offset:992
	;; [unrolled: 1-line block ×4, first 2 shown]
.LBB125_548:
	s_or_b32 exec_lo, exec_lo, s5
	s_mov_b32 s6, exec_lo
	s_waitcnt lgkmcnt(0)
	s_waitcnt_vscnt null, 0x0
	s_barrier
	buffer_gl0_inv
	v_cmpx_eq_u32_e32 46, v0
	s_cbranch_execz .LBB125_555
; %bb.549:
	v_mov_b32_e32 v4, s31
	s_clause 0x3
	buffer_load_dword v1, v4, s[0:3], 0 offen
	buffer_load_dword v2, v4, s[0:3], 0 offen offset:4
	buffer_load_dword v3, v4, s[0:3], 0 offen offset:8
	;; [unrolled: 1-line block ×3, first 2 shown]
	s_waitcnt vmcnt(0)
	ds_write2_b64 v255, v[1:2], v[3:4] offset1:1
	v_mov_b32_e32 v4, s30
	s_clause 0x3
	buffer_load_dword v1, v4, s[0:3], 0 offen
	buffer_load_dword v2, v4, s[0:3], 0 offen offset:4
	buffer_load_dword v3, v4, s[0:3], 0 offen offset:8
	buffer_load_dword v4, v4, s[0:3], 0 offen offset:12
	s_waitcnt vmcnt(0)
	ds_write2_b64 v249, v[1:2], v[3:4] offset0:94 offset1:95
	v_mov_b32_e32 v4, s29
	s_clause 0x3
	buffer_load_dword v1, v4, s[0:3], 0 offen
	buffer_load_dword v2, v4, s[0:3], 0 offen offset:4
	buffer_load_dword v3, v4, s[0:3], 0 offen offset:8
	buffer_load_dword v4, v4, s[0:3], 0 offen offset:12
	s_waitcnt vmcnt(0)
	ds_write2_b64 v249, v[1:2], v[3:4] offset0:96 offset1:97
	;; [unrolled: 8-line block ×16, first 2 shown]
	ds_read2_b64 v[185:188], v255 offset1:1
	s_waitcnt lgkmcnt(0)
	v_cmp_neq_f64_e32 vcc_lo, 0, v[185:186]
	v_cmp_neq_f64_e64 s5, 0, v[187:188]
	s_or_b32 s5, vcc_lo, s5
	s_and_b32 exec_lo, exec_lo, s5
	s_cbranch_execz .LBB125_555
; %bb.550:
	v_cmp_ngt_f64_e64 s5, |v[185:186]|, |v[187:188]|
                                        ; implicit-def: $vgpr1_vgpr2
	s_and_saveexec_b32 s7, s5
	s_xor_b32 s5, exec_lo, s7
                                        ; implicit-def: $vgpr3_vgpr4
	s_cbranch_execz .LBB125_552
; %bb.551:
	v_div_scale_f64 v[1:2], null, v[187:188], v[187:188], v[185:186]
	v_div_scale_f64 v[191:192], vcc_lo, v[185:186], v[187:188], v[185:186]
	v_rcp_f64_e32 v[3:4], v[1:2]
	v_fma_f64 v[189:190], -v[1:2], v[3:4], 1.0
	v_fma_f64 v[3:4], v[3:4], v[189:190], v[3:4]
	v_fma_f64 v[189:190], -v[1:2], v[3:4], 1.0
	v_fma_f64 v[3:4], v[3:4], v[189:190], v[3:4]
	v_mul_f64 v[189:190], v[191:192], v[3:4]
	v_fma_f64 v[1:2], -v[1:2], v[189:190], v[191:192]
	v_div_fmas_f64 v[1:2], v[1:2], v[3:4], v[189:190]
	v_div_fixup_f64 v[1:2], v[1:2], v[187:188], v[185:186]
	v_fma_f64 v[3:4], v[185:186], v[1:2], v[187:188]
	v_div_scale_f64 v[185:186], null, v[3:4], v[3:4], 1.0
	v_rcp_f64_e32 v[187:188], v[185:186]
	v_fma_f64 v[189:190], -v[185:186], v[187:188], 1.0
	v_fma_f64 v[187:188], v[187:188], v[189:190], v[187:188]
	v_fma_f64 v[189:190], -v[185:186], v[187:188], 1.0
	v_fma_f64 v[187:188], v[187:188], v[189:190], v[187:188]
	v_div_scale_f64 v[189:190], vcc_lo, 1.0, v[3:4], 1.0
	v_mul_f64 v[191:192], v[189:190], v[187:188]
	v_fma_f64 v[185:186], -v[185:186], v[191:192], v[189:190]
	v_div_fmas_f64 v[185:186], v[185:186], v[187:188], v[191:192]
	v_div_fixup_f64 v[3:4], v[185:186], v[3:4], 1.0
                                        ; implicit-def: $vgpr185_vgpr186
	v_mul_f64 v[1:2], v[1:2], v[3:4]
	v_xor_b32_e32 v4, 0x80000000, v4
.LBB125_552:
	s_andn2_saveexec_b32 s5, s5
	s_cbranch_execz .LBB125_554
; %bb.553:
	v_div_scale_f64 v[1:2], null, v[185:186], v[185:186], v[187:188]
	v_div_scale_f64 v[191:192], vcc_lo, v[187:188], v[185:186], v[187:188]
	v_rcp_f64_e32 v[3:4], v[1:2]
	v_fma_f64 v[189:190], -v[1:2], v[3:4], 1.0
	v_fma_f64 v[3:4], v[3:4], v[189:190], v[3:4]
	v_fma_f64 v[189:190], -v[1:2], v[3:4], 1.0
	v_fma_f64 v[3:4], v[3:4], v[189:190], v[3:4]
	v_mul_f64 v[189:190], v[191:192], v[3:4]
	v_fma_f64 v[1:2], -v[1:2], v[189:190], v[191:192]
	v_div_fmas_f64 v[1:2], v[1:2], v[3:4], v[189:190]
	v_div_fixup_f64 v[3:4], v[1:2], v[185:186], v[187:188]
	v_fma_f64 v[1:2], v[187:188], v[3:4], v[185:186]
	v_div_scale_f64 v[185:186], null, v[1:2], v[1:2], 1.0
	v_rcp_f64_e32 v[187:188], v[185:186]
	v_fma_f64 v[189:190], -v[185:186], v[187:188], 1.0
	v_fma_f64 v[187:188], v[187:188], v[189:190], v[187:188]
	v_fma_f64 v[189:190], -v[185:186], v[187:188], 1.0
	v_fma_f64 v[187:188], v[187:188], v[189:190], v[187:188]
	v_div_scale_f64 v[189:190], vcc_lo, 1.0, v[1:2], 1.0
	v_mul_f64 v[191:192], v[189:190], v[187:188]
	v_fma_f64 v[185:186], -v[185:186], v[191:192], v[189:190]
	v_div_fmas_f64 v[185:186], v[185:186], v[187:188], v[191:192]
	v_div_fixup_f64 v[1:2], v[185:186], v[1:2], 1.0
	v_mul_f64 v[3:4], v[3:4], -v[1:2]
.LBB125_554:
	s_or_b32 exec_lo, exec_lo, s5
	ds_write2_b64 v255, v[1:2], v[3:4] offset1:1
.LBB125_555:
	s_or_b32 exec_lo, exec_lo, s6
	s_waitcnt lgkmcnt(0)
	s_barrier
	buffer_gl0_inv
	ds_read2_b64 v[185:188], v255 offset1:1
	s_mov_b32 s5, exec_lo
	v_cmpx_lt_u32_e32 46, v0
	s_cbranch_execz .LBB125_557
; %bb.556:
	s_clause 0xf
	buffer_load_dword v1, off, s[0:3], 0 offset:736
	buffer_load_dword v2, off, s[0:3], 0 offset:740
	;; [unrolled: 1-line block ×16, first 2 shown]
	s_waitcnt vmcnt(12) lgkmcnt(0)
	v_mul_f64 v[201:202], v[187:188], v[3:4]
	v_mul_f64 v[3:4], v[185:186], v[3:4]
	v_fma_f64 v[201:202], v[185:186], v[1:2], -v[201:202]
	v_fma_f64 v[203:204], v[187:188], v[1:2], v[3:4]
	buffer_store_dword v201, off, s[0:3], 0 offset:736
	buffer_store_dword v202, off, s[0:3], 0 offset:740
	buffer_store_dword v203, off, s[0:3], 0 offset:744
	buffer_store_dword v204, off, s[0:3], 0 offset:748
	ds_read2_b64 v[1:4], v249 offset0:94 offset1:95
	s_waitcnt lgkmcnt(0)
	v_mul_f64 v[205:206], v[3:4], v[203:204]
	v_fma_f64 v[205:206], v[1:2], v[201:202], -v[205:206]
	v_mul_f64 v[1:2], v[1:2], v[203:204]
	v_fma_f64 v[1:2], v[3:4], v[201:202], v[1:2]
	s_waitcnt vmcnt(10)
	v_add_f64 v[3:4], v[189:190], -v[205:206]
	s_waitcnt vmcnt(8)
	v_add_f64 v[1:2], v[191:192], -v[1:2]
	buffer_store_dword v3, off, s[0:3], 0 offset:752
	buffer_store_dword v4, off, s[0:3], 0 offset:756
	buffer_store_dword v1, off, s[0:3], 0 offset:760
	buffer_store_dword v2, off, s[0:3], 0 offset:764
	ds_read2_b64 v[1:4], v249 offset0:96 offset1:97
	s_waitcnt lgkmcnt(0)
	v_mul_f64 v[189:190], v[3:4], v[203:204]
	v_fma_f64 v[189:190], v[1:2], v[201:202], -v[189:190]
	v_mul_f64 v[1:2], v[1:2], v[203:204]
	v_fma_f64 v[1:2], v[3:4], v[201:202], v[1:2]
	s_waitcnt vmcnt(6)
	v_add_f64 v[3:4], v[193:194], -v[189:190]
	s_waitcnt vmcnt(4)
	v_add_f64 v[1:2], v[195:196], -v[1:2]
	;; [unrolled: 14-line block ×3, first 2 shown]
	buffer_store_dword v4, off, s[0:3], 0 offset:788
	buffer_store_dword v3, off, s[0:3], 0 offset:784
	buffer_store_dword v1, off, s[0:3], 0 offset:792
	buffer_store_dword v2, off, s[0:3], 0 offset:796
	ds_read2_b64 v[1:4], v249 offset0:100 offset1:101
	s_waitcnt lgkmcnt(0)
	v_mul_f64 v[189:190], v[3:4], v[203:204]
	v_fma_f64 v[189:190], v[1:2], v[201:202], -v[189:190]
	v_mul_f64 v[1:2], v[1:2], v[203:204]
	v_fma_f64 v[1:2], v[3:4], v[201:202], v[1:2]
	s_clause 0x3
	buffer_load_dword v3, off, s[0:3], 0 offset:800
	buffer_load_dword v4, off, s[0:3], 0 offset:804
	buffer_load_dword v191, off, s[0:3], 0 offset:808
	buffer_load_dword v192, off, s[0:3], 0 offset:812
	s_waitcnt vmcnt(2)
	v_add_f64 v[3:4], v[3:4], -v[189:190]
	s_waitcnt vmcnt(0)
	v_add_f64 v[1:2], v[191:192], -v[1:2]
	buffer_store_dword v4, off, s[0:3], 0 offset:804
	buffer_store_dword v3, off, s[0:3], 0 offset:800
	buffer_store_dword v2, off, s[0:3], 0 offset:812
	buffer_store_dword v1, off, s[0:3], 0 offset:808
	ds_read2_b64 v[1:4], v249 offset0:102 offset1:103
	s_waitcnt lgkmcnt(0)
	v_mul_f64 v[189:190], v[3:4], v[203:204]
	v_fma_f64 v[189:190], v[1:2], v[201:202], -v[189:190]
	v_mul_f64 v[1:2], v[1:2], v[203:204]
	v_fma_f64 v[1:2], v[3:4], v[201:202], v[1:2]
	s_clause 0x3
	buffer_load_dword v3, off, s[0:3], 0 offset:816
	buffer_load_dword v4, off, s[0:3], 0 offset:820
	buffer_load_dword v191, off, s[0:3], 0 offset:824
	buffer_load_dword v192, off, s[0:3], 0 offset:828
	s_waitcnt vmcnt(2)
	v_add_f64 v[3:4], v[3:4], -v[189:190]
	s_waitcnt vmcnt(0)
	v_add_f64 v[1:2], v[191:192], -v[1:2]
	;; [unrolled: 19-line block ×3, first 2 shown]
	buffer_store_dword v4, off, s[0:3], 0 offset:836
	buffer_store_dword v3, off, s[0:3], 0 offset:832
	;; [unrolled: 1-line block ×4, first 2 shown]
	ds_read2_b64 v[1:4], v249 offset0:106 offset1:107
	s_clause 0x3
	buffer_load_dword v189, off, s[0:3], 0 offset:736
	buffer_load_dword v190, off, s[0:3], 0 offset:740
	;; [unrolled: 1-line block ×4, first 2 shown]
	s_waitcnt vmcnt(0) lgkmcnt(0)
	v_mul_f64 v[193:194], v[3:4], v[191:192]
	v_fma_f64 v[193:194], v[1:2], v[189:190], -v[193:194]
	v_mul_f64 v[1:2], v[1:2], v[191:192]
	v_fma_f64 v[1:2], v[3:4], v[189:190], v[1:2]
	s_clause 0x1
	buffer_load_dword v4, off, s[0:3], 0 offset:852
	buffer_load_dword v3, off, s[0:3], 0 offset:848
	s_waitcnt vmcnt(0)
	v_add_f64 v[3:4], v[3:4], -v[193:194]
	s_clause 0x1
	buffer_load_dword v194, off, s[0:3], 0 offset:860
	buffer_load_dword v193, off, s[0:3], 0 offset:856
	s_waitcnt vmcnt(0)
	v_add_f64 v[1:2], v[193:194], -v[1:2]
	buffer_store_dword v4, off, s[0:3], 0 offset:852
	buffer_store_dword v3, off, s[0:3], 0 offset:848
	buffer_store_dword v2, off, s[0:3], 0 offset:860
	buffer_store_dword v1, off, s[0:3], 0 offset:856
	ds_read2_b64 v[1:4], v249 offset0:108 offset1:109
	s_waitcnt lgkmcnt(0)
	v_mul_f64 v[193:194], v[3:4], v[191:192]
	v_fma_f64 v[193:194], v[1:2], v[189:190], -v[193:194]
	v_mul_f64 v[1:2], v[1:2], v[191:192]
	v_fma_f64 v[1:2], v[3:4], v[189:190], v[1:2]
	s_clause 0x3
	buffer_load_dword v3, off, s[0:3], 0 offset:864
	buffer_load_dword v4, off, s[0:3], 0 offset:868
	buffer_load_dword v195, off, s[0:3], 0 offset:872
	buffer_load_dword v196, off, s[0:3], 0 offset:876
	s_waitcnt vmcnt(2)
	v_add_f64 v[3:4], v[3:4], -v[193:194]
	s_waitcnt vmcnt(0)
	v_add_f64 v[1:2], v[195:196], -v[1:2]
	buffer_store_dword v4, off, s[0:3], 0 offset:868
	buffer_store_dword v3, off, s[0:3], 0 offset:864
	buffer_store_dword v2, off, s[0:3], 0 offset:876
	buffer_store_dword v1, off, s[0:3], 0 offset:872
	ds_read2_b64 v[1:4], v249 offset0:110 offset1:111
	s_waitcnt lgkmcnt(0)
	v_mul_f64 v[193:194], v[3:4], v[191:192]
	v_fma_f64 v[193:194], v[1:2], v[189:190], -v[193:194]
	v_mul_f64 v[1:2], v[1:2], v[191:192]
	v_fma_f64 v[1:2], v[3:4], v[189:190], v[1:2]
	s_clause 0x3
	buffer_load_dword v3, off, s[0:3], 0 offset:880
	buffer_load_dword v4, off, s[0:3], 0 offset:884
	buffer_load_dword v195, off, s[0:3], 0 offset:888
	buffer_load_dword v196, off, s[0:3], 0 offset:892
	s_waitcnt vmcnt(2)
	v_add_f64 v[3:4], v[3:4], -v[193:194]
	;; [unrolled: 19-line block ×5, first 2 shown]
	s_waitcnt vmcnt(0)
	v_add_f64 v[1:2], v[189:190], -v[1:2]
	buffer_store_dword v4, off, s[0:3], 0 offset:932
	buffer_store_dword v3, off, s[0:3], 0 offset:928
	;; [unrolled: 1-line block ×4, first 2 shown]
	ds_read2_b64 v[1:4], v249 offset0:118 offset1:119
	s_clause 0x3
	buffer_load_dword v189, off, s[0:3], 0 offset:736
	buffer_load_dword v190, off, s[0:3], 0 offset:740
	;; [unrolled: 1-line block ×4, first 2 shown]
	s_waitcnt vmcnt(0) lgkmcnt(0)
	v_mul_f64 v[193:194], v[3:4], v[191:192]
	v_fma_f64 v[193:194], v[1:2], v[189:190], -v[193:194]
	v_mul_f64 v[1:2], v[1:2], v[191:192]
	v_fma_f64 v[1:2], v[3:4], v[189:190], v[1:2]
	s_clause 0x1
	buffer_load_dword v4, off, s[0:3], 0 offset:948
	buffer_load_dword v3, off, s[0:3], 0 offset:944
	s_waitcnt vmcnt(0)
	v_add_f64 v[3:4], v[3:4], -v[193:194]
	s_clause 0x1
	buffer_load_dword v194, off, s[0:3], 0 offset:956
	buffer_load_dword v193, off, s[0:3], 0 offset:952
	s_waitcnt vmcnt(0)
	v_add_f64 v[1:2], v[193:194], -v[1:2]
	buffer_store_dword v4, off, s[0:3], 0 offset:948
	buffer_store_dword v3, off, s[0:3], 0 offset:944
	buffer_store_dword v2, off, s[0:3], 0 offset:956
	buffer_store_dword v1, off, s[0:3], 0 offset:952
	ds_read2_b64 v[1:4], v249 offset0:120 offset1:121
	s_waitcnt lgkmcnt(0)
	v_mul_f64 v[193:194], v[3:4], v[191:192]
	v_fma_f64 v[193:194], v[1:2], v[189:190], -v[193:194]
	v_mul_f64 v[1:2], v[1:2], v[191:192]
	v_fma_f64 v[1:2], v[3:4], v[189:190], v[1:2]
	s_clause 0x3
	buffer_load_dword v3, off, s[0:3], 0 offset:960
	buffer_load_dword v4, off, s[0:3], 0 offset:964
	buffer_load_dword v195, off, s[0:3], 0 offset:968
	buffer_load_dword v196, off, s[0:3], 0 offset:972
	s_waitcnt vmcnt(2)
	v_add_f64 v[3:4], v[3:4], -v[193:194]
	s_waitcnt vmcnt(0)
	v_add_f64 v[1:2], v[195:196], -v[1:2]
	buffer_store_dword v4, off, s[0:3], 0 offset:964
	buffer_store_dword v3, off, s[0:3], 0 offset:960
	buffer_store_dword v2, off, s[0:3], 0 offset:972
	buffer_store_dword v1, off, s[0:3], 0 offset:968
	ds_read2_b64 v[1:4], v249 offset0:122 offset1:123
	s_waitcnt lgkmcnt(0)
	v_mul_f64 v[193:194], v[3:4], v[191:192]
	v_fma_f64 v[193:194], v[1:2], v[189:190], -v[193:194]
	v_mul_f64 v[1:2], v[1:2], v[191:192]
	v_fma_f64 v[1:2], v[3:4], v[189:190], v[1:2]
	s_clause 0x3
	buffer_load_dword v3, off, s[0:3], 0 offset:976
	buffer_load_dword v4, off, s[0:3], 0 offset:980
	buffer_load_dword v195, off, s[0:3], 0 offset:984
	buffer_load_dword v196, off, s[0:3], 0 offset:988
	s_waitcnt vmcnt(2)
	v_add_f64 v[3:4], v[3:4], -v[193:194]
	;; [unrolled: 19-line block ×3, first 2 shown]
	s_waitcnt vmcnt(0)
	v_add_f64 v[1:2], v[189:190], -v[1:2]
	buffer_store_dword v4, off, s[0:3], 0 offset:996
	buffer_store_dword v3, off, s[0:3], 0 offset:992
	;; [unrolled: 1-line block ×4, first 2 shown]
.LBB125_557:
	s_or_b32 exec_lo, exec_lo, s5
	s_mov_b32 s6, exec_lo
	s_waitcnt lgkmcnt(0)
	s_waitcnt_vscnt null, 0x0
	s_barrier
	buffer_gl0_inv
	v_cmpx_eq_u32_e32 47, v0
	s_cbranch_execz .LBB125_564
; %bb.558:
	v_mov_b32_e32 v4, s30
	s_clause 0x3
	buffer_load_dword v1, v4, s[0:3], 0 offen
	buffer_load_dword v2, v4, s[0:3], 0 offen offset:4
	buffer_load_dword v3, v4, s[0:3], 0 offen offset:8
	;; [unrolled: 1-line block ×3, first 2 shown]
	s_waitcnt vmcnt(0)
	ds_write2_b64 v255, v[1:2], v[3:4] offset1:1
	v_mov_b32_e32 v4, s29
	s_clause 0x3
	buffer_load_dword v1, v4, s[0:3], 0 offen
	buffer_load_dword v2, v4, s[0:3], 0 offen offset:4
	buffer_load_dword v3, v4, s[0:3], 0 offen offset:8
	buffer_load_dword v4, v4, s[0:3], 0 offen offset:12
	s_waitcnt vmcnt(0)
	ds_write2_b64 v249, v[1:2], v[3:4] offset0:96 offset1:97
	v_mov_b32_e32 v4, s28
	s_clause 0x3
	buffer_load_dword v1, v4, s[0:3], 0 offen
	buffer_load_dword v2, v4, s[0:3], 0 offen offset:4
	buffer_load_dword v3, v4, s[0:3], 0 offen offset:8
	buffer_load_dword v4, v4, s[0:3], 0 offen offset:12
	s_waitcnt vmcnt(0)
	ds_write2_b64 v249, v[1:2], v[3:4] offset0:98 offset1:99
	;; [unrolled: 8-line block ×15, first 2 shown]
	ds_read2_b64 v[189:192], v255 offset1:1
	s_waitcnt lgkmcnt(0)
	v_cmp_neq_f64_e32 vcc_lo, 0, v[189:190]
	v_cmp_neq_f64_e64 s5, 0, v[191:192]
	s_or_b32 s5, vcc_lo, s5
	s_and_b32 exec_lo, exec_lo, s5
	s_cbranch_execz .LBB125_564
; %bb.559:
	v_cmp_ngt_f64_e64 s5, |v[189:190]|, |v[191:192]|
                                        ; implicit-def: $vgpr1_vgpr2
	s_and_saveexec_b32 s7, s5
	s_xor_b32 s5, exec_lo, s7
                                        ; implicit-def: $vgpr3_vgpr4
	s_cbranch_execz .LBB125_561
; %bb.560:
	v_div_scale_f64 v[1:2], null, v[191:192], v[191:192], v[189:190]
	v_div_scale_f64 v[195:196], vcc_lo, v[189:190], v[191:192], v[189:190]
	v_rcp_f64_e32 v[3:4], v[1:2]
	v_fma_f64 v[193:194], -v[1:2], v[3:4], 1.0
	v_fma_f64 v[3:4], v[3:4], v[193:194], v[3:4]
	v_fma_f64 v[193:194], -v[1:2], v[3:4], 1.0
	v_fma_f64 v[3:4], v[3:4], v[193:194], v[3:4]
	v_mul_f64 v[193:194], v[195:196], v[3:4]
	v_fma_f64 v[1:2], -v[1:2], v[193:194], v[195:196]
	v_div_fmas_f64 v[1:2], v[1:2], v[3:4], v[193:194]
	v_div_fixup_f64 v[1:2], v[1:2], v[191:192], v[189:190]
	v_fma_f64 v[3:4], v[189:190], v[1:2], v[191:192]
	v_div_scale_f64 v[189:190], null, v[3:4], v[3:4], 1.0
	v_rcp_f64_e32 v[191:192], v[189:190]
	v_fma_f64 v[193:194], -v[189:190], v[191:192], 1.0
	v_fma_f64 v[191:192], v[191:192], v[193:194], v[191:192]
	v_fma_f64 v[193:194], -v[189:190], v[191:192], 1.0
	v_fma_f64 v[191:192], v[191:192], v[193:194], v[191:192]
	v_div_scale_f64 v[193:194], vcc_lo, 1.0, v[3:4], 1.0
	v_mul_f64 v[195:196], v[193:194], v[191:192]
	v_fma_f64 v[189:190], -v[189:190], v[195:196], v[193:194]
	v_div_fmas_f64 v[189:190], v[189:190], v[191:192], v[195:196]
	v_div_fixup_f64 v[3:4], v[189:190], v[3:4], 1.0
                                        ; implicit-def: $vgpr189_vgpr190
	v_mul_f64 v[1:2], v[1:2], v[3:4]
	v_xor_b32_e32 v4, 0x80000000, v4
.LBB125_561:
	s_andn2_saveexec_b32 s5, s5
	s_cbranch_execz .LBB125_563
; %bb.562:
	v_div_scale_f64 v[1:2], null, v[189:190], v[189:190], v[191:192]
	v_div_scale_f64 v[195:196], vcc_lo, v[191:192], v[189:190], v[191:192]
	v_rcp_f64_e32 v[3:4], v[1:2]
	v_fma_f64 v[193:194], -v[1:2], v[3:4], 1.0
	v_fma_f64 v[3:4], v[3:4], v[193:194], v[3:4]
	v_fma_f64 v[193:194], -v[1:2], v[3:4], 1.0
	v_fma_f64 v[3:4], v[3:4], v[193:194], v[3:4]
	v_mul_f64 v[193:194], v[195:196], v[3:4]
	v_fma_f64 v[1:2], -v[1:2], v[193:194], v[195:196]
	v_div_fmas_f64 v[1:2], v[1:2], v[3:4], v[193:194]
	v_div_fixup_f64 v[3:4], v[1:2], v[189:190], v[191:192]
	v_fma_f64 v[1:2], v[191:192], v[3:4], v[189:190]
	v_div_scale_f64 v[189:190], null, v[1:2], v[1:2], 1.0
	v_rcp_f64_e32 v[191:192], v[189:190]
	v_fma_f64 v[193:194], -v[189:190], v[191:192], 1.0
	v_fma_f64 v[191:192], v[191:192], v[193:194], v[191:192]
	v_fma_f64 v[193:194], -v[189:190], v[191:192], 1.0
	v_fma_f64 v[191:192], v[191:192], v[193:194], v[191:192]
	v_div_scale_f64 v[193:194], vcc_lo, 1.0, v[1:2], 1.0
	v_mul_f64 v[195:196], v[193:194], v[191:192]
	v_fma_f64 v[189:190], -v[189:190], v[195:196], v[193:194]
	v_div_fmas_f64 v[189:190], v[189:190], v[191:192], v[195:196]
	v_div_fixup_f64 v[1:2], v[189:190], v[1:2], 1.0
	v_mul_f64 v[3:4], v[3:4], -v[1:2]
.LBB125_563:
	s_or_b32 exec_lo, exec_lo, s5
	ds_write2_b64 v255, v[1:2], v[3:4] offset1:1
.LBB125_564:
	s_or_b32 exec_lo, exec_lo, s6
	s_waitcnt lgkmcnt(0)
	s_barrier
	buffer_gl0_inv
	ds_read2_b64 v[189:192], v255 offset1:1
	s_mov_b32 s5, exec_lo
	v_cmpx_lt_u32_e32 47, v0
	s_cbranch_execz .LBB125_566
; %bb.565:
	s_clause 0xf
	buffer_load_dword v1, off, s[0:3], 0 offset:752
	buffer_load_dword v2, off, s[0:3], 0 offset:756
	;; [unrolled: 1-line block ×16, first 2 shown]
	s_waitcnt vmcnt(12) lgkmcnt(0)
	v_mul_f64 v[205:206], v[191:192], v[3:4]
	v_mul_f64 v[3:4], v[189:190], v[3:4]
	v_fma_f64 v[205:206], v[189:190], v[1:2], -v[205:206]
	v_fma_f64 v[207:208], v[191:192], v[1:2], v[3:4]
	buffer_store_dword v205, off, s[0:3], 0 offset:752
	buffer_store_dword v206, off, s[0:3], 0 offset:756
	buffer_store_dword v207, off, s[0:3], 0 offset:760
	buffer_store_dword v208, off, s[0:3], 0 offset:764
	ds_read2_b64 v[1:4], v249 offset0:96 offset1:97
	s_waitcnt lgkmcnt(0)
	v_mul_f64 v[209:210], v[3:4], v[207:208]
	v_fma_f64 v[209:210], v[1:2], v[205:206], -v[209:210]
	v_mul_f64 v[1:2], v[1:2], v[207:208]
	v_fma_f64 v[1:2], v[3:4], v[205:206], v[1:2]
	s_waitcnt vmcnt(10)
	v_add_f64 v[3:4], v[193:194], -v[209:210]
	s_waitcnt vmcnt(8)
	v_add_f64 v[1:2], v[195:196], -v[1:2]
	buffer_store_dword v3, off, s[0:3], 0 offset:768
	buffer_store_dword v4, off, s[0:3], 0 offset:772
	buffer_store_dword v1, off, s[0:3], 0 offset:776
	buffer_store_dword v2, off, s[0:3], 0 offset:780
	ds_read2_b64 v[1:4], v249 offset0:98 offset1:99
	s_waitcnt lgkmcnt(0)
	v_mul_f64 v[193:194], v[3:4], v[207:208]
	v_fma_f64 v[193:194], v[1:2], v[205:206], -v[193:194]
	v_mul_f64 v[1:2], v[1:2], v[207:208]
	v_fma_f64 v[1:2], v[3:4], v[205:206], v[1:2]
	s_waitcnt vmcnt(6)
	v_add_f64 v[3:4], v[197:198], -v[193:194]
	s_waitcnt vmcnt(4)
	v_add_f64 v[1:2], v[199:200], -v[1:2]
	;; [unrolled: 14-line block ×3, first 2 shown]
	buffer_store_dword v4, off, s[0:3], 0 offset:804
	buffer_store_dword v3, off, s[0:3], 0 offset:800
	buffer_store_dword v1, off, s[0:3], 0 offset:808
	buffer_store_dword v2, off, s[0:3], 0 offset:812
	ds_read2_b64 v[1:4], v249 offset0:102 offset1:103
	s_waitcnt lgkmcnt(0)
	v_mul_f64 v[193:194], v[3:4], v[207:208]
	v_fma_f64 v[193:194], v[1:2], v[205:206], -v[193:194]
	v_mul_f64 v[1:2], v[1:2], v[207:208]
	v_fma_f64 v[1:2], v[3:4], v[205:206], v[1:2]
	s_clause 0x3
	buffer_load_dword v3, off, s[0:3], 0 offset:816
	buffer_load_dword v4, off, s[0:3], 0 offset:820
	buffer_load_dword v195, off, s[0:3], 0 offset:824
	buffer_load_dword v196, off, s[0:3], 0 offset:828
	s_waitcnt vmcnt(2)
	v_add_f64 v[3:4], v[3:4], -v[193:194]
	s_waitcnt vmcnt(0)
	v_add_f64 v[1:2], v[195:196], -v[1:2]
	buffer_store_dword v4, off, s[0:3], 0 offset:820
	buffer_store_dword v3, off, s[0:3], 0 offset:816
	buffer_store_dword v2, off, s[0:3], 0 offset:828
	buffer_store_dword v1, off, s[0:3], 0 offset:824
	ds_read2_b64 v[1:4], v249 offset0:104 offset1:105
	s_waitcnt lgkmcnt(0)
	v_mul_f64 v[193:194], v[3:4], v[207:208]
	v_fma_f64 v[193:194], v[1:2], v[205:206], -v[193:194]
	v_mul_f64 v[1:2], v[1:2], v[207:208]
	v_fma_f64 v[1:2], v[3:4], v[205:206], v[1:2]
	s_clause 0x3
	buffer_load_dword v3, off, s[0:3], 0 offset:832
	buffer_load_dword v4, off, s[0:3], 0 offset:836
	buffer_load_dword v195, off, s[0:3], 0 offset:840
	buffer_load_dword v196, off, s[0:3], 0 offset:844
	s_waitcnt vmcnt(2)
	v_add_f64 v[3:4], v[3:4], -v[193:194]
	s_waitcnt vmcnt(0)
	v_add_f64 v[1:2], v[195:196], -v[1:2]
	;; [unrolled: 19-line block ×3, first 2 shown]
	buffer_store_dword v4, off, s[0:3], 0 offset:852
	buffer_store_dword v3, off, s[0:3], 0 offset:848
	;; [unrolled: 1-line block ×4, first 2 shown]
	ds_read2_b64 v[1:4], v249 offset0:108 offset1:109
	s_clause 0x3
	buffer_load_dword v193, off, s[0:3], 0 offset:752
	buffer_load_dword v194, off, s[0:3], 0 offset:756
	buffer_load_dword v195, off, s[0:3], 0 offset:760
	buffer_load_dword v196, off, s[0:3], 0 offset:764
	s_waitcnt vmcnt(0) lgkmcnt(0)
	v_mul_f64 v[197:198], v[3:4], v[195:196]
	v_fma_f64 v[197:198], v[1:2], v[193:194], -v[197:198]
	v_mul_f64 v[1:2], v[1:2], v[195:196]
	v_fma_f64 v[1:2], v[3:4], v[193:194], v[1:2]
	s_clause 0x1
	buffer_load_dword v4, off, s[0:3], 0 offset:868
	buffer_load_dword v3, off, s[0:3], 0 offset:864
	s_waitcnt vmcnt(0)
	v_add_f64 v[3:4], v[3:4], -v[197:198]
	s_clause 0x1
	buffer_load_dword v198, off, s[0:3], 0 offset:876
	buffer_load_dword v197, off, s[0:3], 0 offset:872
	s_waitcnt vmcnt(0)
	v_add_f64 v[1:2], v[197:198], -v[1:2]
	buffer_store_dword v4, off, s[0:3], 0 offset:868
	buffer_store_dword v3, off, s[0:3], 0 offset:864
	buffer_store_dword v2, off, s[0:3], 0 offset:876
	buffer_store_dword v1, off, s[0:3], 0 offset:872
	ds_read2_b64 v[1:4], v249 offset0:110 offset1:111
	s_waitcnt lgkmcnt(0)
	v_mul_f64 v[197:198], v[3:4], v[195:196]
	v_fma_f64 v[197:198], v[1:2], v[193:194], -v[197:198]
	v_mul_f64 v[1:2], v[1:2], v[195:196]
	v_fma_f64 v[1:2], v[3:4], v[193:194], v[1:2]
	s_clause 0x3
	buffer_load_dword v3, off, s[0:3], 0 offset:880
	buffer_load_dword v4, off, s[0:3], 0 offset:884
	buffer_load_dword v199, off, s[0:3], 0 offset:888
	buffer_load_dword v200, off, s[0:3], 0 offset:892
	s_waitcnt vmcnt(2)
	v_add_f64 v[3:4], v[3:4], -v[197:198]
	s_waitcnt vmcnt(0)
	v_add_f64 v[1:2], v[199:200], -v[1:2]
	buffer_store_dword v4, off, s[0:3], 0 offset:884
	buffer_store_dword v3, off, s[0:3], 0 offset:880
	buffer_store_dword v2, off, s[0:3], 0 offset:892
	buffer_store_dword v1, off, s[0:3], 0 offset:888
	ds_read2_b64 v[1:4], v249 offset0:112 offset1:113
	s_waitcnt lgkmcnt(0)
	v_mul_f64 v[197:198], v[3:4], v[195:196]
	v_fma_f64 v[197:198], v[1:2], v[193:194], -v[197:198]
	v_mul_f64 v[1:2], v[1:2], v[195:196]
	v_fma_f64 v[1:2], v[3:4], v[193:194], v[1:2]
	s_clause 0x3
	buffer_load_dword v3, off, s[0:3], 0 offset:896
	buffer_load_dword v4, off, s[0:3], 0 offset:900
	buffer_load_dword v199, off, s[0:3], 0 offset:904
	buffer_load_dword v200, off, s[0:3], 0 offset:908
	s_waitcnt vmcnt(2)
	v_add_f64 v[3:4], v[3:4], -v[197:198]
	;; [unrolled: 19-line block ×5, first 2 shown]
	s_waitcnt vmcnt(0)
	v_add_f64 v[1:2], v[193:194], -v[1:2]
	buffer_store_dword v4, off, s[0:3], 0 offset:948
	buffer_store_dword v3, off, s[0:3], 0 offset:944
	;; [unrolled: 1-line block ×4, first 2 shown]
	ds_read2_b64 v[1:4], v249 offset0:120 offset1:121
	s_clause 0x3
	buffer_load_dword v193, off, s[0:3], 0 offset:752
	buffer_load_dword v194, off, s[0:3], 0 offset:756
	;; [unrolled: 1-line block ×4, first 2 shown]
	s_waitcnt vmcnt(0) lgkmcnt(0)
	v_mul_f64 v[197:198], v[3:4], v[195:196]
	v_fma_f64 v[197:198], v[1:2], v[193:194], -v[197:198]
	v_mul_f64 v[1:2], v[1:2], v[195:196]
	v_fma_f64 v[1:2], v[3:4], v[193:194], v[1:2]
	s_clause 0x1
	buffer_load_dword v4, off, s[0:3], 0 offset:964
	buffer_load_dword v3, off, s[0:3], 0 offset:960
	s_waitcnt vmcnt(0)
	v_add_f64 v[3:4], v[3:4], -v[197:198]
	s_clause 0x1
	buffer_load_dword v198, off, s[0:3], 0 offset:972
	buffer_load_dword v197, off, s[0:3], 0 offset:968
	s_waitcnt vmcnt(0)
	v_add_f64 v[1:2], v[197:198], -v[1:2]
	buffer_store_dword v4, off, s[0:3], 0 offset:964
	buffer_store_dword v3, off, s[0:3], 0 offset:960
	;; [unrolled: 1-line block ×4, first 2 shown]
	ds_read2_b64 v[1:4], v249 offset0:122 offset1:123
	s_waitcnt lgkmcnt(0)
	v_mul_f64 v[197:198], v[3:4], v[195:196]
	v_fma_f64 v[197:198], v[1:2], v[193:194], -v[197:198]
	v_mul_f64 v[1:2], v[1:2], v[195:196]
	v_fma_f64 v[1:2], v[3:4], v[193:194], v[1:2]
	s_clause 0x3
	buffer_load_dword v3, off, s[0:3], 0 offset:976
	buffer_load_dword v4, off, s[0:3], 0 offset:980
	;; [unrolled: 1-line block ×4, first 2 shown]
	s_waitcnt vmcnt(2)
	v_add_f64 v[3:4], v[3:4], -v[197:198]
	s_waitcnt vmcnt(0)
	v_add_f64 v[1:2], v[199:200], -v[1:2]
	buffer_store_dword v4, off, s[0:3], 0 offset:980
	buffer_store_dword v3, off, s[0:3], 0 offset:976
	buffer_store_dword v2, off, s[0:3], 0 offset:988
	buffer_store_dword v1, off, s[0:3], 0 offset:984
	ds_read2_b64 v[1:4], v249 offset0:124 offset1:125
	s_waitcnt lgkmcnt(0)
	v_mul_f64 v[197:198], v[3:4], v[195:196]
	v_fma_f64 v[197:198], v[1:2], v[193:194], -v[197:198]
	v_mul_f64 v[1:2], v[1:2], v[195:196]
	v_fma_f64 v[1:2], v[3:4], v[193:194], v[1:2]
	s_clause 0x3
	buffer_load_dword v3, off, s[0:3], 0 offset:992
	buffer_load_dword v4, off, s[0:3], 0 offset:996
	buffer_load_dword v193, off, s[0:3], 0 offset:1000
	buffer_load_dword v194, off, s[0:3], 0 offset:1004
	s_waitcnt vmcnt(2)
	v_add_f64 v[3:4], v[3:4], -v[197:198]
	s_waitcnt vmcnt(0)
	v_add_f64 v[1:2], v[193:194], -v[1:2]
	buffer_store_dword v4, off, s[0:3], 0 offset:996
	buffer_store_dword v3, off, s[0:3], 0 offset:992
	;; [unrolled: 1-line block ×4, first 2 shown]
.LBB125_566:
	s_or_b32 exec_lo, exec_lo, s5
	s_mov_b32 s6, exec_lo
	s_waitcnt lgkmcnt(0)
	s_waitcnt_vscnt null, 0x0
	s_barrier
	buffer_gl0_inv
	v_cmpx_eq_u32_e32 48, v0
	s_cbranch_execz .LBB125_573
; %bb.567:
	v_mov_b32_e32 v4, s29
	s_clause 0x3
	buffer_load_dword v1, v4, s[0:3], 0 offen
	buffer_load_dword v2, v4, s[0:3], 0 offen offset:4
	buffer_load_dword v3, v4, s[0:3], 0 offen offset:8
	;; [unrolled: 1-line block ×3, first 2 shown]
	s_waitcnt vmcnt(0)
	ds_write2_b64 v255, v[1:2], v[3:4] offset1:1
	v_mov_b32_e32 v4, s28
	s_clause 0x3
	buffer_load_dword v1, v4, s[0:3], 0 offen
	buffer_load_dword v2, v4, s[0:3], 0 offen offset:4
	buffer_load_dword v3, v4, s[0:3], 0 offen offset:8
	buffer_load_dword v4, v4, s[0:3], 0 offen offset:12
	s_waitcnt vmcnt(0)
	ds_write2_b64 v249, v[1:2], v[3:4] offset0:98 offset1:99
	v_mov_b32_e32 v4, s27
	s_clause 0x3
	buffer_load_dword v1, v4, s[0:3], 0 offen
	buffer_load_dword v2, v4, s[0:3], 0 offen offset:4
	buffer_load_dword v3, v4, s[0:3], 0 offen offset:8
	buffer_load_dword v4, v4, s[0:3], 0 offen offset:12
	s_waitcnt vmcnt(0)
	ds_write2_b64 v249, v[1:2], v[3:4] offset0:100 offset1:101
	;; [unrolled: 8-line block ×14, first 2 shown]
	ds_read2_b64 v[193:196], v255 offset1:1
	s_waitcnt lgkmcnt(0)
	v_cmp_neq_f64_e32 vcc_lo, 0, v[193:194]
	v_cmp_neq_f64_e64 s5, 0, v[195:196]
	s_or_b32 s5, vcc_lo, s5
	s_and_b32 exec_lo, exec_lo, s5
	s_cbranch_execz .LBB125_573
; %bb.568:
	v_cmp_ngt_f64_e64 s5, |v[193:194]|, |v[195:196]|
                                        ; implicit-def: $vgpr1_vgpr2
	s_and_saveexec_b32 s7, s5
	s_xor_b32 s5, exec_lo, s7
                                        ; implicit-def: $vgpr3_vgpr4
	s_cbranch_execz .LBB125_570
; %bb.569:
	v_div_scale_f64 v[1:2], null, v[195:196], v[195:196], v[193:194]
	v_div_scale_f64 v[199:200], vcc_lo, v[193:194], v[195:196], v[193:194]
	v_rcp_f64_e32 v[3:4], v[1:2]
	v_fma_f64 v[197:198], -v[1:2], v[3:4], 1.0
	v_fma_f64 v[3:4], v[3:4], v[197:198], v[3:4]
	v_fma_f64 v[197:198], -v[1:2], v[3:4], 1.0
	v_fma_f64 v[3:4], v[3:4], v[197:198], v[3:4]
	v_mul_f64 v[197:198], v[199:200], v[3:4]
	v_fma_f64 v[1:2], -v[1:2], v[197:198], v[199:200]
	v_div_fmas_f64 v[1:2], v[1:2], v[3:4], v[197:198]
	v_div_fixup_f64 v[1:2], v[1:2], v[195:196], v[193:194]
	v_fma_f64 v[3:4], v[193:194], v[1:2], v[195:196]
	v_div_scale_f64 v[193:194], null, v[3:4], v[3:4], 1.0
	v_rcp_f64_e32 v[195:196], v[193:194]
	v_fma_f64 v[197:198], -v[193:194], v[195:196], 1.0
	v_fma_f64 v[195:196], v[195:196], v[197:198], v[195:196]
	v_fma_f64 v[197:198], -v[193:194], v[195:196], 1.0
	v_fma_f64 v[195:196], v[195:196], v[197:198], v[195:196]
	v_div_scale_f64 v[197:198], vcc_lo, 1.0, v[3:4], 1.0
	v_mul_f64 v[199:200], v[197:198], v[195:196]
	v_fma_f64 v[193:194], -v[193:194], v[199:200], v[197:198]
	v_div_fmas_f64 v[193:194], v[193:194], v[195:196], v[199:200]
	v_div_fixup_f64 v[3:4], v[193:194], v[3:4], 1.0
                                        ; implicit-def: $vgpr193_vgpr194
	v_mul_f64 v[1:2], v[1:2], v[3:4]
	v_xor_b32_e32 v4, 0x80000000, v4
.LBB125_570:
	s_andn2_saveexec_b32 s5, s5
	s_cbranch_execz .LBB125_572
; %bb.571:
	v_div_scale_f64 v[1:2], null, v[193:194], v[193:194], v[195:196]
	v_div_scale_f64 v[199:200], vcc_lo, v[195:196], v[193:194], v[195:196]
	v_rcp_f64_e32 v[3:4], v[1:2]
	v_fma_f64 v[197:198], -v[1:2], v[3:4], 1.0
	v_fma_f64 v[3:4], v[3:4], v[197:198], v[3:4]
	v_fma_f64 v[197:198], -v[1:2], v[3:4], 1.0
	v_fma_f64 v[3:4], v[3:4], v[197:198], v[3:4]
	v_mul_f64 v[197:198], v[199:200], v[3:4]
	v_fma_f64 v[1:2], -v[1:2], v[197:198], v[199:200]
	v_div_fmas_f64 v[1:2], v[1:2], v[3:4], v[197:198]
	v_div_fixup_f64 v[3:4], v[1:2], v[193:194], v[195:196]
	v_fma_f64 v[1:2], v[195:196], v[3:4], v[193:194]
	v_div_scale_f64 v[193:194], null, v[1:2], v[1:2], 1.0
	v_rcp_f64_e32 v[195:196], v[193:194]
	v_fma_f64 v[197:198], -v[193:194], v[195:196], 1.0
	v_fma_f64 v[195:196], v[195:196], v[197:198], v[195:196]
	v_fma_f64 v[197:198], -v[193:194], v[195:196], 1.0
	v_fma_f64 v[195:196], v[195:196], v[197:198], v[195:196]
	v_div_scale_f64 v[197:198], vcc_lo, 1.0, v[1:2], 1.0
	v_mul_f64 v[199:200], v[197:198], v[195:196]
	v_fma_f64 v[193:194], -v[193:194], v[199:200], v[197:198]
	v_div_fmas_f64 v[193:194], v[193:194], v[195:196], v[199:200]
	v_div_fixup_f64 v[1:2], v[193:194], v[1:2], 1.0
	v_mul_f64 v[3:4], v[3:4], -v[1:2]
.LBB125_572:
	s_or_b32 exec_lo, exec_lo, s5
	ds_write2_b64 v255, v[1:2], v[3:4] offset1:1
.LBB125_573:
	s_or_b32 exec_lo, exec_lo, s6
	s_waitcnt lgkmcnt(0)
	s_barrier
	buffer_gl0_inv
	ds_read2_b64 v[193:196], v255 offset1:1
	s_mov_b32 s5, exec_lo
	v_cmpx_lt_u32_e32 48, v0
	s_cbranch_execz .LBB125_575
; %bb.574:
	s_clause 0xf
	buffer_load_dword v1, off, s[0:3], 0 offset:768
	buffer_load_dword v2, off, s[0:3], 0 offset:772
	;; [unrolled: 1-line block ×16, first 2 shown]
	s_waitcnt vmcnt(12) lgkmcnt(0)
	v_mul_f64 v[209:210], v[195:196], v[3:4]
	v_mul_f64 v[3:4], v[193:194], v[3:4]
	v_fma_f64 v[209:210], v[193:194], v[1:2], -v[209:210]
	v_fma_f64 v[211:212], v[195:196], v[1:2], v[3:4]
	buffer_store_dword v209, off, s[0:3], 0 offset:768
	buffer_store_dword v210, off, s[0:3], 0 offset:772
	buffer_store_dword v211, off, s[0:3], 0 offset:776
	buffer_store_dword v212, off, s[0:3], 0 offset:780
	ds_read2_b64 v[1:4], v249 offset0:98 offset1:99
	s_waitcnt lgkmcnt(0)
	v_mul_f64 v[213:214], v[3:4], v[211:212]
	v_fma_f64 v[213:214], v[1:2], v[209:210], -v[213:214]
	v_mul_f64 v[1:2], v[1:2], v[211:212]
	v_fma_f64 v[1:2], v[3:4], v[209:210], v[1:2]
	s_waitcnt vmcnt(10)
	v_add_f64 v[3:4], v[197:198], -v[213:214]
	s_waitcnt vmcnt(8)
	v_add_f64 v[1:2], v[199:200], -v[1:2]
	buffer_store_dword v3, off, s[0:3], 0 offset:784
	buffer_store_dword v4, off, s[0:3], 0 offset:788
	buffer_store_dword v1, off, s[0:3], 0 offset:792
	buffer_store_dword v2, off, s[0:3], 0 offset:796
	ds_read2_b64 v[1:4], v249 offset0:100 offset1:101
	s_waitcnt lgkmcnt(0)
	v_mul_f64 v[197:198], v[3:4], v[211:212]
	v_fma_f64 v[197:198], v[1:2], v[209:210], -v[197:198]
	v_mul_f64 v[1:2], v[1:2], v[211:212]
	v_fma_f64 v[1:2], v[3:4], v[209:210], v[1:2]
	s_waitcnt vmcnt(6)
	v_add_f64 v[3:4], v[201:202], -v[197:198]
	s_waitcnt vmcnt(4)
	v_add_f64 v[1:2], v[203:204], -v[1:2]
	;; [unrolled: 14-line block ×3, first 2 shown]
	buffer_store_dword v4, off, s[0:3], 0 offset:820
	buffer_store_dword v3, off, s[0:3], 0 offset:816
	buffer_store_dword v1, off, s[0:3], 0 offset:824
	buffer_store_dword v2, off, s[0:3], 0 offset:828
	ds_read2_b64 v[1:4], v249 offset0:104 offset1:105
	s_waitcnt lgkmcnt(0)
	v_mul_f64 v[197:198], v[3:4], v[211:212]
	v_fma_f64 v[197:198], v[1:2], v[209:210], -v[197:198]
	v_mul_f64 v[1:2], v[1:2], v[211:212]
	v_fma_f64 v[1:2], v[3:4], v[209:210], v[1:2]
	s_clause 0x3
	buffer_load_dword v3, off, s[0:3], 0 offset:832
	buffer_load_dword v4, off, s[0:3], 0 offset:836
	buffer_load_dword v199, off, s[0:3], 0 offset:840
	buffer_load_dword v200, off, s[0:3], 0 offset:844
	s_waitcnt vmcnt(2)
	v_add_f64 v[3:4], v[3:4], -v[197:198]
	s_waitcnt vmcnt(0)
	v_add_f64 v[1:2], v[199:200], -v[1:2]
	buffer_store_dword v4, off, s[0:3], 0 offset:836
	buffer_store_dword v3, off, s[0:3], 0 offset:832
	buffer_store_dword v2, off, s[0:3], 0 offset:844
	buffer_store_dword v1, off, s[0:3], 0 offset:840
	ds_read2_b64 v[1:4], v249 offset0:106 offset1:107
	s_waitcnt lgkmcnt(0)
	v_mul_f64 v[197:198], v[3:4], v[211:212]
	v_fma_f64 v[197:198], v[1:2], v[209:210], -v[197:198]
	v_mul_f64 v[1:2], v[1:2], v[211:212]
	v_fma_f64 v[1:2], v[3:4], v[209:210], v[1:2]
	s_clause 0x3
	buffer_load_dword v3, off, s[0:3], 0 offset:848
	buffer_load_dword v4, off, s[0:3], 0 offset:852
	buffer_load_dword v199, off, s[0:3], 0 offset:856
	buffer_load_dword v200, off, s[0:3], 0 offset:860
	s_waitcnt vmcnt(2)
	v_add_f64 v[3:4], v[3:4], -v[197:198]
	s_waitcnt vmcnt(0)
	v_add_f64 v[1:2], v[199:200], -v[1:2]
	;; [unrolled: 19-line block ×3, first 2 shown]
	buffer_store_dword v4, off, s[0:3], 0 offset:868
	buffer_store_dword v3, off, s[0:3], 0 offset:864
	;; [unrolled: 1-line block ×4, first 2 shown]
	ds_read2_b64 v[1:4], v249 offset0:110 offset1:111
	s_clause 0x3
	buffer_load_dword v197, off, s[0:3], 0 offset:768
	buffer_load_dword v198, off, s[0:3], 0 offset:772
	;; [unrolled: 1-line block ×4, first 2 shown]
	s_waitcnt vmcnt(0) lgkmcnt(0)
	v_mul_f64 v[201:202], v[3:4], v[199:200]
	v_fma_f64 v[201:202], v[1:2], v[197:198], -v[201:202]
	v_mul_f64 v[1:2], v[1:2], v[199:200]
	v_fma_f64 v[1:2], v[3:4], v[197:198], v[1:2]
	s_clause 0x1
	buffer_load_dword v4, off, s[0:3], 0 offset:884
	buffer_load_dword v3, off, s[0:3], 0 offset:880
	s_waitcnt vmcnt(0)
	v_add_f64 v[3:4], v[3:4], -v[201:202]
	s_clause 0x1
	buffer_load_dword v202, off, s[0:3], 0 offset:892
	buffer_load_dword v201, off, s[0:3], 0 offset:888
	s_waitcnt vmcnt(0)
	v_add_f64 v[1:2], v[201:202], -v[1:2]
	buffer_store_dword v4, off, s[0:3], 0 offset:884
	buffer_store_dword v3, off, s[0:3], 0 offset:880
	buffer_store_dword v2, off, s[0:3], 0 offset:892
	buffer_store_dword v1, off, s[0:3], 0 offset:888
	ds_read2_b64 v[1:4], v249 offset0:112 offset1:113
	s_waitcnt lgkmcnt(0)
	v_mul_f64 v[201:202], v[3:4], v[199:200]
	v_fma_f64 v[201:202], v[1:2], v[197:198], -v[201:202]
	v_mul_f64 v[1:2], v[1:2], v[199:200]
	v_fma_f64 v[1:2], v[3:4], v[197:198], v[1:2]
	s_clause 0x3
	buffer_load_dword v3, off, s[0:3], 0 offset:896
	buffer_load_dword v4, off, s[0:3], 0 offset:900
	buffer_load_dword v203, off, s[0:3], 0 offset:904
	buffer_load_dword v204, off, s[0:3], 0 offset:908
	s_waitcnt vmcnt(2)
	v_add_f64 v[3:4], v[3:4], -v[201:202]
	s_waitcnt vmcnt(0)
	v_add_f64 v[1:2], v[203:204], -v[1:2]
	buffer_store_dword v4, off, s[0:3], 0 offset:900
	buffer_store_dword v3, off, s[0:3], 0 offset:896
	buffer_store_dword v2, off, s[0:3], 0 offset:908
	buffer_store_dword v1, off, s[0:3], 0 offset:904
	ds_read2_b64 v[1:4], v249 offset0:114 offset1:115
	s_waitcnt lgkmcnt(0)
	v_mul_f64 v[201:202], v[3:4], v[199:200]
	v_fma_f64 v[201:202], v[1:2], v[197:198], -v[201:202]
	v_mul_f64 v[1:2], v[1:2], v[199:200]
	v_fma_f64 v[1:2], v[3:4], v[197:198], v[1:2]
	s_clause 0x3
	buffer_load_dword v3, off, s[0:3], 0 offset:912
	buffer_load_dword v4, off, s[0:3], 0 offset:916
	buffer_load_dword v203, off, s[0:3], 0 offset:920
	buffer_load_dword v204, off, s[0:3], 0 offset:924
	s_waitcnt vmcnt(2)
	v_add_f64 v[3:4], v[3:4], -v[201:202]
	;; [unrolled: 19-line block ×5, first 2 shown]
	s_waitcnt vmcnt(0)
	v_add_f64 v[1:2], v[197:198], -v[1:2]
	buffer_store_dword v4, off, s[0:3], 0 offset:964
	buffer_store_dword v3, off, s[0:3], 0 offset:960
	buffer_store_dword v2, off, s[0:3], 0 offset:972
	buffer_store_dword v1, off, s[0:3], 0 offset:968
	ds_read2_b64 v[1:4], v249 offset0:122 offset1:123
	s_clause 0x3
	buffer_load_dword v197, off, s[0:3], 0 offset:768
	buffer_load_dword v198, off, s[0:3], 0 offset:772
	;; [unrolled: 1-line block ×4, first 2 shown]
	s_waitcnt vmcnt(0) lgkmcnt(0)
	v_mul_f64 v[201:202], v[3:4], v[199:200]
	v_fma_f64 v[201:202], v[1:2], v[197:198], -v[201:202]
	v_mul_f64 v[1:2], v[1:2], v[199:200]
	v_fma_f64 v[1:2], v[3:4], v[197:198], v[1:2]
	s_clause 0x1
	buffer_load_dword v4, off, s[0:3], 0 offset:980
	buffer_load_dword v3, off, s[0:3], 0 offset:976
	s_waitcnt vmcnt(0)
	v_add_f64 v[3:4], v[3:4], -v[201:202]
	s_clause 0x1
	buffer_load_dword v202, off, s[0:3], 0 offset:988
	buffer_load_dword v201, off, s[0:3], 0 offset:984
	s_waitcnt vmcnt(0)
	v_add_f64 v[1:2], v[201:202], -v[1:2]
	buffer_store_dword v4, off, s[0:3], 0 offset:980
	buffer_store_dword v3, off, s[0:3], 0 offset:976
	;; [unrolled: 1-line block ×4, first 2 shown]
	ds_read2_b64 v[1:4], v249 offset0:124 offset1:125
	s_waitcnt lgkmcnt(0)
	v_mul_f64 v[201:202], v[3:4], v[199:200]
	v_fma_f64 v[201:202], v[1:2], v[197:198], -v[201:202]
	v_mul_f64 v[1:2], v[1:2], v[199:200]
	v_fma_f64 v[1:2], v[3:4], v[197:198], v[1:2]
	s_clause 0x3
	buffer_load_dword v3, off, s[0:3], 0 offset:992
	buffer_load_dword v4, off, s[0:3], 0 offset:996
	;; [unrolled: 1-line block ×4, first 2 shown]
	s_waitcnt vmcnt(2)
	v_add_f64 v[3:4], v[3:4], -v[201:202]
	s_waitcnt vmcnt(0)
	v_add_f64 v[1:2], v[197:198], -v[1:2]
	buffer_store_dword v4, off, s[0:3], 0 offset:996
	buffer_store_dword v3, off, s[0:3], 0 offset:992
	;; [unrolled: 1-line block ×4, first 2 shown]
.LBB125_575:
	s_or_b32 exec_lo, exec_lo, s5
	s_mov_b32 s6, exec_lo
	s_waitcnt lgkmcnt(0)
	s_waitcnt_vscnt null, 0x0
	s_barrier
	buffer_gl0_inv
	v_cmpx_eq_u32_e32 49, v0
	s_cbranch_execz .LBB125_582
; %bb.576:
	v_mov_b32_e32 v4, s28
	s_clause 0x3
	buffer_load_dword v1, v4, s[0:3], 0 offen
	buffer_load_dword v2, v4, s[0:3], 0 offen offset:4
	buffer_load_dword v3, v4, s[0:3], 0 offen offset:8
	;; [unrolled: 1-line block ×3, first 2 shown]
	s_waitcnt vmcnt(0)
	ds_write2_b64 v255, v[1:2], v[3:4] offset1:1
	v_mov_b32_e32 v4, s27
	s_clause 0x3
	buffer_load_dword v1, v4, s[0:3], 0 offen
	buffer_load_dword v2, v4, s[0:3], 0 offen offset:4
	buffer_load_dword v3, v4, s[0:3], 0 offen offset:8
	buffer_load_dword v4, v4, s[0:3], 0 offen offset:12
	s_waitcnt vmcnt(0)
	ds_write2_b64 v249, v[1:2], v[3:4] offset0:100 offset1:101
	v_mov_b32_e32 v4, s26
	s_clause 0x3
	buffer_load_dword v1, v4, s[0:3], 0 offen
	buffer_load_dword v2, v4, s[0:3], 0 offen offset:4
	buffer_load_dword v3, v4, s[0:3], 0 offen offset:8
	buffer_load_dword v4, v4, s[0:3], 0 offen offset:12
	s_waitcnt vmcnt(0)
	ds_write2_b64 v249, v[1:2], v[3:4] offset0:102 offset1:103
	;; [unrolled: 8-line block ×13, first 2 shown]
	ds_read2_b64 v[197:200], v255 offset1:1
	s_waitcnt lgkmcnt(0)
	v_cmp_neq_f64_e32 vcc_lo, 0, v[197:198]
	v_cmp_neq_f64_e64 s5, 0, v[199:200]
	s_or_b32 s5, vcc_lo, s5
	s_and_b32 exec_lo, exec_lo, s5
	s_cbranch_execz .LBB125_582
; %bb.577:
	v_cmp_ngt_f64_e64 s5, |v[197:198]|, |v[199:200]|
                                        ; implicit-def: $vgpr1_vgpr2
	s_and_saveexec_b32 s7, s5
	s_xor_b32 s5, exec_lo, s7
                                        ; implicit-def: $vgpr3_vgpr4
	s_cbranch_execz .LBB125_579
; %bb.578:
	v_div_scale_f64 v[1:2], null, v[199:200], v[199:200], v[197:198]
	v_div_scale_f64 v[203:204], vcc_lo, v[197:198], v[199:200], v[197:198]
	v_rcp_f64_e32 v[3:4], v[1:2]
	v_fma_f64 v[201:202], -v[1:2], v[3:4], 1.0
	v_fma_f64 v[3:4], v[3:4], v[201:202], v[3:4]
	v_fma_f64 v[201:202], -v[1:2], v[3:4], 1.0
	v_fma_f64 v[3:4], v[3:4], v[201:202], v[3:4]
	v_mul_f64 v[201:202], v[203:204], v[3:4]
	v_fma_f64 v[1:2], -v[1:2], v[201:202], v[203:204]
	v_div_fmas_f64 v[1:2], v[1:2], v[3:4], v[201:202]
	v_div_fixup_f64 v[1:2], v[1:2], v[199:200], v[197:198]
	v_fma_f64 v[3:4], v[197:198], v[1:2], v[199:200]
	v_div_scale_f64 v[197:198], null, v[3:4], v[3:4], 1.0
	v_rcp_f64_e32 v[199:200], v[197:198]
	v_fma_f64 v[201:202], -v[197:198], v[199:200], 1.0
	v_fma_f64 v[199:200], v[199:200], v[201:202], v[199:200]
	v_fma_f64 v[201:202], -v[197:198], v[199:200], 1.0
	v_fma_f64 v[199:200], v[199:200], v[201:202], v[199:200]
	v_div_scale_f64 v[201:202], vcc_lo, 1.0, v[3:4], 1.0
	v_mul_f64 v[203:204], v[201:202], v[199:200]
	v_fma_f64 v[197:198], -v[197:198], v[203:204], v[201:202]
	v_div_fmas_f64 v[197:198], v[197:198], v[199:200], v[203:204]
	v_div_fixup_f64 v[3:4], v[197:198], v[3:4], 1.0
                                        ; implicit-def: $vgpr197_vgpr198
	v_mul_f64 v[1:2], v[1:2], v[3:4]
	v_xor_b32_e32 v4, 0x80000000, v4
.LBB125_579:
	s_andn2_saveexec_b32 s5, s5
	s_cbranch_execz .LBB125_581
; %bb.580:
	v_div_scale_f64 v[1:2], null, v[197:198], v[197:198], v[199:200]
	v_div_scale_f64 v[203:204], vcc_lo, v[199:200], v[197:198], v[199:200]
	v_rcp_f64_e32 v[3:4], v[1:2]
	v_fma_f64 v[201:202], -v[1:2], v[3:4], 1.0
	v_fma_f64 v[3:4], v[3:4], v[201:202], v[3:4]
	v_fma_f64 v[201:202], -v[1:2], v[3:4], 1.0
	v_fma_f64 v[3:4], v[3:4], v[201:202], v[3:4]
	v_mul_f64 v[201:202], v[203:204], v[3:4]
	v_fma_f64 v[1:2], -v[1:2], v[201:202], v[203:204]
	v_div_fmas_f64 v[1:2], v[1:2], v[3:4], v[201:202]
	v_div_fixup_f64 v[3:4], v[1:2], v[197:198], v[199:200]
	v_fma_f64 v[1:2], v[199:200], v[3:4], v[197:198]
	v_div_scale_f64 v[197:198], null, v[1:2], v[1:2], 1.0
	v_rcp_f64_e32 v[199:200], v[197:198]
	v_fma_f64 v[201:202], -v[197:198], v[199:200], 1.0
	v_fma_f64 v[199:200], v[199:200], v[201:202], v[199:200]
	v_fma_f64 v[201:202], -v[197:198], v[199:200], 1.0
	v_fma_f64 v[199:200], v[199:200], v[201:202], v[199:200]
	v_div_scale_f64 v[201:202], vcc_lo, 1.0, v[1:2], 1.0
	v_mul_f64 v[203:204], v[201:202], v[199:200]
	v_fma_f64 v[197:198], -v[197:198], v[203:204], v[201:202]
	v_div_fmas_f64 v[197:198], v[197:198], v[199:200], v[203:204]
	v_div_fixup_f64 v[1:2], v[197:198], v[1:2], 1.0
	v_mul_f64 v[3:4], v[3:4], -v[1:2]
.LBB125_581:
	s_or_b32 exec_lo, exec_lo, s5
	ds_write2_b64 v255, v[1:2], v[3:4] offset1:1
.LBB125_582:
	s_or_b32 exec_lo, exec_lo, s6
	s_waitcnt lgkmcnt(0)
	s_barrier
	buffer_gl0_inv
	ds_read2_b64 v[197:200], v255 offset1:1
	s_mov_b32 s5, exec_lo
	v_cmpx_lt_u32_e32 49, v0
	s_cbranch_execz .LBB125_584
; %bb.583:
	s_clause 0xf
	buffer_load_dword v1, off, s[0:3], 0 offset:784
	buffer_load_dword v2, off, s[0:3], 0 offset:788
	;; [unrolled: 1-line block ×16, first 2 shown]
	s_waitcnt vmcnt(12) lgkmcnt(0)
	v_mul_f64 v[213:214], v[199:200], v[3:4]
	v_mul_f64 v[3:4], v[197:198], v[3:4]
	v_fma_f64 v[213:214], v[197:198], v[1:2], -v[213:214]
	v_fma_f64 v[215:216], v[199:200], v[1:2], v[3:4]
	buffer_store_dword v213, off, s[0:3], 0 offset:784
	buffer_store_dword v214, off, s[0:3], 0 offset:788
	buffer_store_dword v215, off, s[0:3], 0 offset:792
	buffer_store_dword v216, off, s[0:3], 0 offset:796
	ds_read2_b64 v[1:4], v249 offset0:100 offset1:101
	s_waitcnt lgkmcnt(0)
	v_mul_f64 v[217:218], v[3:4], v[215:216]
	v_fma_f64 v[217:218], v[1:2], v[213:214], -v[217:218]
	v_mul_f64 v[1:2], v[1:2], v[215:216]
	v_fma_f64 v[1:2], v[3:4], v[213:214], v[1:2]
	s_waitcnt vmcnt(10)
	v_add_f64 v[3:4], v[201:202], -v[217:218]
	s_waitcnt vmcnt(8)
	v_add_f64 v[1:2], v[203:204], -v[1:2]
	buffer_store_dword v3, off, s[0:3], 0 offset:800
	buffer_store_dword v4, off, s[0:3], 0 offset:804
	buffer_store_dword v1, off, s[0:3], 0 offset:808
	buffer_store_dword v2, off, s[0:3], 0 offset:812
	ds_read2_b64 v[1:4], v249 offset0:102 offset1:103
	s_waitcnt lgkmcnt(0)
	v_mul_f64 v[201:202], v[3:4], v[215:216]
	v_fma_f64 v[201:202], v[1:2], v[213:214], -v[201:202]
	v_mul_f64 v[1:2], v[1:2], v[215:216]
	v_fma_f64 v[1:2], v[3:4], v[213:214], v[1:2]
	s_waitcnt vmcnt(6)
	v_add_f64 v[3:4], v[205:206], -v[201:202]
	s_waitcnt vmcnt(4)
	v_add_f64 v[1:2], v[207:208], -v[1:2]
	;; [unrolled: 14-line block ×3, first 2 shown]
	buffer_store_dword v4, off, s[0:3], 0 offset:836
	buffer_store_dword v3, off, s[0:3], 0 offset:832
	buffer_store_dword v1, off, s[0:3], 0 offset:840
	buffer_store_dword v2, off, s[0:3], 0 offset:844
	ds_read2_b64 v[1:4], v249 offset0:106 offset1:107
	s_waitcnt lgkmcnt(0)
	v_mul_f64 v[201:202], v[3:4], v[215:216]
	v_fma_f64 v[201:202], v[1:2], v[213:214], -v[201:202]
	v_mul_f64 v[1:2], v[1:2], v[215:216]
	v_fma_f64 v[1:2], v[3:4], v[213:214], v[1:2]
	s_clause 0x3
	buffer_load_dword v3, off, s[0:3], 0 offset:848
	buffer_load_dword v4, off, s[0:3], 0 offset:852
	buffer_load_dword v203, off, s[0:3], 0 offset:856
	buffer_load_dword v204, off, s[0:3], 0 offset:860
	s_waitcnt vmcnt(2)
	v_add_f64 v[3:4], v[3:4], -v[201:202]
	s_waitcnt vmcnt(0)
	v_add_f64 v[1:2], v[203:204], -v[1:2]
	buffer_store_dword v4, off, s[0:3], 0 offset:852
	buffer_store_dword v3, off, s[0:3], 0 offset:848
	buffer_store_dword v2, off, s[0:3], 0 offset:860
	buffer_store_dword v1, off, s[0:3], 0 offset:856
	ds_read2_b64 v[1:4], v249 offset0:108 offset1:109
	s_waitcnt lgkmcnt(0)
	v_mul_f64 v[201:202], v[3:4], v[215:216]
	v_fma_f64 v[201:202], v[1:2], v[213:214], -v[201:202]
	v_mul_f64 v[1:2], v[1:2], v[215:216]
	v_fma_f64 v[1:2], v[3:4], v[213:214], v[1:2]
	s_clause 0x3
	buffer_load_dword v3, off, s[0:3], 0 offset:864
	buffer_load_dword v4, off, s[0:3], 0 offset:868
	buffer_load_dword v203, off, s[0:3], 0 offset:872
	buffer_load_dword v204, off, s[0:3], 0 offset:876
	s_waitcnt vmcnt(2)
	v_add_f64 v[3:4], v[3:4], -v[201:202]
	s_waitcnt vmcnt(0)
	v_add_f64 v[1:2], v[203:204], -v[1:2]
	;; [unrolled: 19-line block ×3, first 2 shown]
	buffer_store_dword v4, off, s[0:3], 0 offset:884
	buffer_store_dword v3, off, s[0:3], 0 offset:880
	;; [unrolled: 1-line block ×4, first 2 shown]
	ds_read2_b64 v[1:4], v249 offset0:112 offset1:113
	s_clause 0x3
	buffer_load_dword v201, off, s[0:3], 0 offset:784
	buffer_load_dword v202, off, s[0:3], 0 offset:788
	;; [unrolled: 1-line block ×4, first 2 shown]
	s_waitcnt vmcnt(0) lgkmcnt(0)
	v_mul_f64 v[205:206], v[3:4], v[203:204]
	v_fma_f64 v[205:206], v[1:2], v[201:202], -v[205:206]
	v_mul_f64 v[1:2], v[1:2], v[203:204]
	v_fma_f64 v[1:2], v[3:4], v[201:202], v[1:2]
	s_clause 0x1
	buffer_load_dword v4, off, s[0:3], 0 offset:900
	buffer_load_dword v3, off, s[0:3], 0 offset:896
	s_waitcnt vmcnt(0)
	v_add_f64 v[3:4], v[3:4], -v[205:206]
	s_clause 0x1
	buffer_load_dword v206, off, s[0:3], 0 offset:908
	buffer_load_dword v205, off, s[0:3], 0 offset:904
	s_waitcnt vmcnt(0)
	v_add_f64 v[1:2], v[205:206], -v[1:2]
	buffer_store_dword v4, off, s[0:3], 0 offset:900
	buffer_store_dword v3, off, s[0:3], 0 offset:896
	buffer_store_dword v2, off, s[0:3], 0 offset:908
	buffer_store_dword v1, off, s[0:3], 0 offset:904
	ds_read2_b64 v[1:4], v249 offset0:114 offset1:115
	s_waitcnt lgkmcnt(0)
	v_mul_f64 v[205:206], v[3:4], v[203:204]
	v_fma_f64 v[205:206], v[1:2], v[201:202], -v[205:206]
	v_mul_f64 v[1:2], v[1:2], v[203:204]
	v_fma_f64 v[1:2], v[3:4], v[201:202], v[1:2]
	s_clause 0x3
	buffer_load_dword v3, off, s[0:3], 0 offset:912
	buffer_load_dword v4, off, s[0:3], 0 offset:916
	buffer_load_dword v207, off, s[0:3], 0 offset:920
	buffer_load_dword v208, off, s[0:3], 0 offset:924
	s_waitcnt vmcnt(2)
	v_add_f64 v[3:4], v[3:4], -v[205:206]
	s_waitcnt vmcnt(0)
	v_add_f64 v[1:2], v[207:208], -v[1:2]
	buffer_store_dword v4, off, s[0:3], 0 offset:916
	buffer_store_dword v3, off, s[0:3], 0 offset:912
	buffer_store_dword v2, off, s[0:3], 0 offset:924
	buffer_store_dword v1, off, s[0:3], 0 offset:920
	ds_read2_b64 v[1:4], v249 offset0:116 offset1:117
	s_waitcnt lgkmcnt(0)
	v_mul_f64 v[205:206], v[3:4], v[203:204]
	v_fma_f64 v[205:206], v[1:2], v[201:202], -v[205:206]
	v_mul_f64 v[1:2], v[1:2], v[203:204]
	v_fma_f64 v[1:2], v[3:4], v[201:202], v[1:2]
	s_clause 0x3
	buffer_load_dword v3, off, s[0:3], 0 offset:928
	buffer_load_dword v4, off, s[0:3], 0 offset:932
	buffer_load_dword v207, off, s[0:3], 0 offset:936
	buffer_load_dword v208, off, s[0:3], 0 offset:940
	s_waitcnt vmcnt(2)
	v_add_f64 v[3:4], v[3:4], -v[205:206]
	;; [unrolled: 19-line block ×5, first 2 shown]
	s_waitcnt vmcnt(0)
	v_add_f64 v[1:2], v[201:202], -v[1:2]
	buffer_store_dword v4, off, s[0:3], 0 offset:980
	buffer_store_dword v3, off, s[0:3], 0 offset:976
	;; [unrolled: 1-line block ×4, first 2 shown]
	ds_read2_b64 v[1:4], v249 offset0:124 offset1:125
	s_clause 0x3
	buffer_load_dword v201, off, s[0:3], 0 offset:784
	buffer_load_dword v202, off, s[0:3], 0 offset:788
	buffer_load_dword v203, off, s[0:3], 0 offset:792
	buffer_load_dword v204, off, s[0:3], 0 offset:796
	s_waitcnt vmcnt(0) lgkmcnt(0)
	v_mul_f64 v[205:206], v[3:4], v[203:204]
	v_fma_f64 v[205:206], v[1:2], v[201:202], -v[205:206]
	v_mul_f64 v[1:2], v[1:2], v[203:204]
	v_fma_f64 v[1:2], v[3:4], v[201:202], v[1:2]
	s_clause 0x3
	buffer_load_dword v4, off, s[0:3], 0 offset:996
	buffer_load_dword v3, off, s[0:3], 0 offset:992
	buffer_load_dword v202, off, s[0:3], 0 offset:1004
	buffer_load_dword v201, off, s[0:3], 0 offset:1000
	s_waitcnt vmcnt(2)
	v_add_f64 v[3:4], v[3:4], -v[205:206]
	s_waitcnt vmcnt(0)
	v_add_f64 v[1:2], v[201:202], -v[1:2]
	buffer_store_dword v4, off, s[0:3], 0 offset:996
	buffer_store_dword v3, off, s[0:3], 0 offset:992
	;; [unrolled: 1-line block ×4, first 2 shown]
.LBB125_584:
	s_or_b32 exec_lo, exec_lo, s5
	s_mov_b32 s6, exec_lo
	s_waitcnt lgkmcnt(0)
	s_waitcnt_vscnt null, 0x0
	s_barrier
	buffer_gl0_inv
	v_cmpx_eq_u32_e32 50, v0
	s_cbranch_execz .LBB125_591
; %bb.585:
	v_mov_b32_e32 v4, s27
	s_clause 0x3
	buffer_load_dword v1, v4, s[0:3], 0 offen
	buffer_load_dword v2, v4, s[0:3], 0 offen offset:4
	buffer_load_dword v3, v4, s[0:3], 0 offen offset:8
	;; [unrolled: 1-line block ×3, first 2 shown]
	s_waitcnt vmcnt(0)
	ds_write2_b64 v255, v[1:2], v[3:4] offset1:1
	v_mov_b32_e32 v4, s26
	s_clause 0x3
	buffer_load_dword v1, v4, s[0:3], 0 offen
	buffer_load_dword v2, v4, s[0:3], 0 offen offset:4
	buffer_load_dword v3, v4, s[0:3], 0 offen offset:8
	buffer_load_dword v4, v4, s[0:3], 0 offen offset:12
	s_waitcnt vmcnt(0)
	ds_write2_b64 v249, v[1:2], v[3:4] offset0:102 offset1:103
	v_mov_b32_e32 v4, s25
	s_clause 0x3
	buffer_load_dword v1, v4, s[0:3], 0 offen
	buffer_load_dword v2, v4, s[0:3], 0 offen offset:4
	buffer_load_dword v3, v4, s[0:3], 0 offen offset:8
	buffer_load_dword v4, v4, s[0:3], 0 offen offset:12
	s_waitcnt vmcnt(0)
	ds_write2_b64 v249, v[1:2], v[3:4] offset0:104 offset1:105
	;; [unrolled: 8-line block ×12, first 2 shown]
	ds_read2_b64 v[201:204], v255 offset1:1
	s_waitcnt lgkmcnt(0)
	v_cmp_neq_f64_e32 vcc_lo, 0, v[201:202]
	v_cmp_neq_f64_e64 s5, 0, v[203:204]
	s_or_b32 s5, vcc_lo, s5
	s_and_b32 exec_lo, exec_lo, s5
	s_cbranch_execz .LBB125_591
; %bb.586:
	v_cmp_ngt_f64_e64 s5, |v[201:202]|, |v[203:204]|
                                        ; implicit-def: $vgpr1_vgpr2
	s_and_saveexec_b32 s7, s5
	s_xor_b32 s5, exec_lo, s7
                                        ; implicit-def: $vgpr3_vgpr4
	s_cbranch_execz .LBB125_588
; %bb.587:
	v_div_scale_f64 v[1:2], null, v[203:204], v[203:204], v[201:202]
	v_div_scale_f64 v[207:208], vcc_lo, v[201:202], v[203:204], v[201:202]
	v_rcp_f64_e32 v[3:4], v[1:2]
	v_fma_f64 v[205:206], -v[1:2], v[3:4], 1.0
	v_fma_f64 v[3:4], v[3:4], v[205:206], v[3:4]
	v_fma_f64 v[205:206], -v[1:2], v[3:4], 1.0
	v_fma_f64 v[3:4], v[3:4], v[205:206], v[3:4]
	v_mul_f64 v[205:206], v[207:208], v[3:4]
	v_fma_f64 v[1:2], -v[1:2], v[205:206], v[207:208]
	v_div_fmas_f64 v[1:2], v[1:2], v[3:4], v[205:206]
	v_div_fixup_f64 v[1:2], v[1:2], v[203:204], v[201:202]
	v_fma_f64 v[3:4], v[201:202], v[1:2], v[203:204]
	v_div_scale_f64 v[201:202], null, v[3:4], v[3:4], 1.0
	v_rcp_f64_e32 v[203:204], v[201:202]
	v_fma_f64 v[205:206], -v[201:202], v[203:204], 1.0
	v_fma_f64 v[203:204], v[203:204], v[205:206], v[203:204]
	v_fma_f64 v[205:206], -v[201:202], v[203:204], 1.0
	v_fma_f64 v[203:204], v[203:204], v[205:206], v[203:204]
	v_div_scale_f64 v[205:206], vcc_lo, 1.0, v[3:4], 1.0
	v_mul_f64 v[207:208], v[205:206], v[203:204]
	v_fma_f64 v[201:202], -v[201:202], v[207:208], v[205:206]
	v_div_fmas_f64 v[201:202], v[201:202], v[203:204], v[207:208]
	v_div_fixup_f64 v[3:4], v[201:202], v[3:4], 1.0
                                        ; implicit-def: $vgpr201_vgpr202
	v_mul_f64 v[1:2], v[1:2], v[3:4]
	v_xor_b32_e32 v4, 0x80000000, v4
.LBB125_588:
	s_andn2_saveexec_b32 s5, s5
	s_cbranch_execz .LBB125_590
; %bb.589:
	v_div_scale_f64 v[1:2], null, v[201:202], v[201:202], v[203:204]
	v_div_scale_f64 v[207:208], vcc_lo, v[203:204], v[201:202], v[203:204]
	v_rcp_f64_e32 v[3:4], v[1:2]
	v_fma_f64 v[205:206], -v[1:2], v[3:4], 1.0
	v_fma_f64 v[3:4], v[3:4], v[205:206], v[3:4]
	v_fma_f64 v[205:206], -v[1:2], v[3:4], 1.0
	v_fma_f64 v[3:4], v[3:4], v[205:206], v[3:4]
	v_mul_f64 v[205:206], v[207:208], v[3:4]
	v_fma_f64 v[1:2], -v[1:2], v[205:206], v[207:208]
	v_div_fmas_f64 v[1:2], v[1:2], v[3:4], v[205:206]
	v_div_fixup_f64 v[3:4], v[1:2], v[201:202], v[203:204]
	v_fma_f64 v[1:2], v[203:204], v[3:4], v[201:202]
	v_div_scale_f64 v[201:202], null, v[1:2], v[1:2], 1.0
	v_rcp_f64_e32 v[203:204], v[201:202]
	v_fma_f64 v[205:206], -v[201:202], v[203:204], 1.0
	v_fma_f64 v[203:204], v[203:204], v[205:206], v[203:204]
	v_fma_f64 v[205:206], -v[201:202], v[203:204], 1.0
	v_fma_f64 v[203:204], v[203:204], v[205:206], v[203:204]
	v_div_scale_f64 v[205:206], vcc_lo, 1.0, v[1:2], 1.0
	v_mul_f64 v[207:208], v[205:206], v[203:204]
	v_fma_f64 v[201:202], -v[201:202], v[207:208], v[205:206]
	v_div_fmas_f64 v[201:202], v[201:202], v[203:204], v[207:208]
	v_div_fixup_f64 v[1:2], v[201:202], v[1:2], 1.0
	v_mul_f64 v[3:4], v[3:4], -v[1:2]
.LBB125_590:
	s_or_b32 exec_lo, exec_lo, s5
	ds_write2_b64 v255, v[1:2], v[3:4] offset1:1
.LBB125_591:
	s_or_b32 exec_lo, exec_lo, s6
	s_waitcnt lgkmcnt(0)
	s_barrier
	buffer_gl0_inv
	ds_read2_b64 v[201:204], v255 offset1:1
	s_mov_b32 s5, exec_lo
	v_cmpx_lt_u32_e32 50, v0
	s_cbranch_execz .LBB125_593
; %bb.592:
	s_clause 0xf
	buffer_load_dword v1, off, s[0:3], 0 offset:800
	buffer_load_dword v2, off, s[0:3], 0 offset:804
	;; [unrolled: 1-line block ×16, first 2 shown]
	s_waitcnt vmcnt(12) lgkmcnt(0)
	v_mul_f64 v[217:218], v[203:204], v[3:4]
	v_mul_f64 v[3:4], v[201:202], v[3:4]
	v_fma_f64 v[217:218], v[201:202], v[1:2], -v[217:218]
	v_fma_f64 v[219:220], v[203:204], v[1:2], v[3:4]
	buffer_store_dword v217, off, s[0:3], 0 offset:800
	buffer_store_dword v218, off, s[0:3], 0 offset:804
	buffer_store_dword v219, off, s[0:3], 0 offset:808
	buffer_store_dword v220, off, s[0:3], 0 offset:812
	ds_read2_b64 v[1:4], v249 offset0:102 offset1:103
	s_waitcnt lgkmcnt(0)
	v_mul_f64 v[221:222], v[3:4], v[219:220]
	v_fma_f64 v[221:222], v[1:2], v[217:218], -v[221:222]
	v_mul_f64 v[1:2], v[1:2], v[219:220]
	v_fma_f64 v[1:2], v[3:4], v[217:218], v[1:2]
	s_waitcnt vmcnt(10)
	v_add_f64 v[3:4], v[205:206], -v[221:222]
	s_waitcnt vmcnt(8)
	v_add_f64 v[1:2], v[207:208], -v[1:2]
	buffer_store_dword v3, off, s[0:3], 0 offset:816
	buffer_store_dword v4, off, s[0:3], 0 offset:820
	buffer_store_dword v1, off, s[0:3], 0 offset:824
	buffer_store_dword v2, off, s[0:3], 0 offset:828
	ds_read2_b64 v[1:4], v249 offset0:104 offset1:105
	s_waitcnt lgkmcnt(0)
	v_mul_f64 v[205:206], v[3:4], v[219:220]
	v_fma_f64 v[205:206], v[1:2], v[217:218], -v[205:206]
	v_mul_f64 v[1:2], v[1:2], v[219:220]
	v_fma_f64 v[1:2], v[3:4], v[217:218], v[1:2]
	s_waitcnt vmcnt(6)
	v_add_f64 v[3:4], v[209:210], -v[205:206]
	s_waitcnt vmcnt(4)
	v_add_f64 v[1:2], v[211:212], -v[1:2]
	;; [unrolled: 14-line block ×3, first 2 shown]
	buffer_store_dword v4, off, s[0:3], 0 offset:852
	buffer_store_dword v3, off, s[0:3], 0 offset:848
	buffer_store_dword v1, off, s[0:3], 0 offset:856
	buffer_store_dword v2, off, s[0:3], 0 offset:860
	ds_read2_b64 v[1:4], v249 offset0:108 offset1:109
	s_waitcnt lgkmcnt(0)
	v_mul_f64 v[205:206], v[3:4], v[219:220]
	v_fma_f64 v[205:206], v[1:2], v[217:218], -v[205:206]
	v_mul_f64 v[1:2], v[1:2], v[219:220]
	v_fma_f64 v[1:2], v[3:4], v[217:218], v[1:2]
	s_clause 0x3
	buffer_load_dword v3, off, s[0:3], 0 offset:864
	buffer_load_dword v4, off, s[0:3], 0 offset:868
	buffer_load_dword v207, off, s[0:3], 0 offset:872
	buffer_load_dword v208, off, s[0:3], 0 offset:876
	s_waitcnt vmcnt(2)
	v_add_f64 v[3:4], v[3:4], -v[205:206]
	s_waitcnt vmcnt(0)
	v_add_f64 v[1:2], v[207:208], -v[1:2]
	buffer_store_dword v4, off, s[0:3], 0 offset:868
	buffer_store_dword v3, off, s[0:3], 0 offset:864
	buffer_store_dword v2, off, s[0:3], 0 offset:876
	buffer_store_dword v1, off, s[0:3], 0 offset:872
	ds_read2_b64 v[1:4], v249 offset0:110 offset1:111
	s_waitcnt lgkmcnt(0)
	v_mul_f64 v[205:206], v[3:4], v[219:220]
	v_fma_f64 v[205:206], v[1:2], v[217:218], -v[205:206]
	v_mul_f64 v[1:2], v[1:2], v[219:220]
	v_fma_f64 v[1:2], v[3:4], v[217:218], v[1:2]
	s_clause 0x3
	buffer_load_dword v3, off, s[0:3], 0 offset:880
	buffer_load_dword v4, off, s[0:3], 0 offset:884
	buffer_load_dword v207, off, s[0:3], 0 offset:888
	buffer_load_dword v208, off, s[0:3], 0 offset:892
	s_waitcnt vmcnt(2)
	v_add_f64 v[3:4], v[3:4], -v[205:206]
	s_waitcnt vmcnt(0)
	v_add_f64 v[1:2], v[207:208], -v[1:2]
	;; [unrolled: 19-line block ×3, first 2 shown]
	buffer_store_dword v4, off, s[0:3], 0 offset:900
	buffer_store_dword v3, off, s[0:3], 0 offset:896
	;; [unrolled: 1-line block ×4, first 2 shown]
	ds_read2_b64 v[1:4], v249 offset0:114 offset1:115
	s_clause 0x3
	buffer_load_dword v205, off, s[0:3], 0 offset:800
	buffer_load_dword v206, off, s[0:3], 0 offset:804
	buffer_load_dword v207, off, s[0:3], 0 offset:808
	buffer_load_dword v208, off, s[0:3], 0 offset:812
	s_waitcnt vmcnt(0) lgkmcnt(0)
	v_mul_f64 v[209:210], v[3:4], v[207:208]
	v_fma_f64 v[209:210], v[1:2], v[205:206], -v[209:210]
	v_mul_f64 v[1:2], v[1:2], v[207:208]
	v_fma_f64 v[1:2], v[3:4], v[205:206], v[1:2]
	s_clause 0x1
	buffer_load_dword v4, off, s[0:3], 0 offset:916
	buffer_load_dword v3, off, s[0:3], 0 offset:912
	s_waitcnt vmcnt(0)
	v_add_f64 v[3:4], v[3:4], -v[209:210]
	s_clause 0x1
	buffer_load_dword v210, off, s[0:3], 0 offset:924
	buffer_load_dword v209, off, s[0:3], 0 offset:920
	s_waitcnt vmcnt(0)
	v_add_f64 v[1:2], v[209:210], -v[1:2]
	buffer_store_dword v4, off, s[0:3], 0 offset:916
	buffer_store_dword v3, off, s[0:3], 0 offset:912
	buffer_store_dword v2, off, s[0:3], 0 offset:924
	buffer_store_dword v1, off, s[0:3], 0 offset:920
	ds_read2_b64 v[1:4], v249 offset0:116 offset1:117
	s_waitcnt lgkmcnt(0)
	v_mul_f64 v[209:210], v[3:4], v[207:208]
	v_fma_f64 v[209:210], v[1:2], v[205:206], -v[209:210]
	v_mul_f64 v[1:2], v[1:2], v[207:208]
	v_fma_f64 v[1:2], v[3:4], v[205:206], v[1:2]
	s_clause 0x3
	buffer_load_dword v3, off, s[0:3], 0 offset:928
	buffer_load_dword v4, off, s[0:3], 0 offset:932
	buffer_load_dword v211, off, s[0:3], 0 offset:936
	buffer_load_dword v212, off, s[0:3], 0 offset:940
	s_waitcnt vmcnt(2)
	v_add_f64 v[3:4], v[3:4], -v[209:210]
	s_waitcnt vmcnt(0)
	v_add_f64 v[1:2], v[211:212], -v[1:2]
	buffer_store_dword v4, off, s[0:3], 0 offset:932
	buffer_store_dword v3, off, s[0:3], 0 offset:928
	buffer_store_dword v2, off, s[0:3], 0 offset:940
	buffer_store_dword v1, off, s[0:3], 0 offset:936
	ds_read2_b64 v[1:4], v249 offset0:118 offset1:119
	s_waitcnt lgkmcnt(0)
	v_mul_f64 v[209:210], v[3:4], v[207:208]
	v_fma_f64 v[209:210], v[1:2], v[205:206], -v[209:210]
	v_mul_f64 v[1:2], v[1:2], v[207:208]
	v_fma_f64 v[1:2], v[3:4], v[205:206], v[1:2]
	s_clause 0x3
	buffer_load_dword v3, off, s[0:3], 0 offset:944
	buffer_load_dword v4, off, s[0:3], 0 offset:948
	buffer_load_dword v211, off, s[0:3], 0 offset:952
	buffer_load_dword v212, off, s[0:3], 0 offset:956
	s_waitcnt vmcnt(2)
	v_add_f64 v[3:4], v[3:4], -v[209:210]
	s_waitcnt vmcnt(0)
	v_add_f64 v[1:2], v[211:212], -v[1:2]
	buffer_store_dword v4, off, s[0:3], 0 offset:948
	buffer_store_dword v3, off, s[0:3], 0 offset:944
	buffer_store_dword v2, off, s[0:3], 0 offset:956
	buffer_store_dword v1, off, s[0:3], 0 offset:952
	ds_read2_b64 v[1:4], v249 offset0:120 offset1:121
	s_waitcnt lgkmcnt(0)
	v_mul_f64 v[209:210], v[3:4], v[207:208]
	v_fma_f64 v[209:210], v[1:2], v[205:206], -v[209:210]
	v_mul_f64 v[1:2], v[1:2], v[207:208]
	v_fma_f64 v[1:2], v[3:4], v[205:206], v[1:2]
	s_clause 0x3
	buffer_load_dword v3, off, s[0:3], 0 offset:960
	buffer_load_dword v4, off, s[0:3], 0 offset:964
	buffer_load_dword v211, off, s[0:3], 0 offset:968
	buffer_load_dword v212, off, s[0:3], 0 offset:972
	s_waitcnt vmcnt(2)
	v_add_f64 v[3:4], v[3:4], -v[209:210]
	s_waitcnt vmcnt(0)
	v_add_f64 v[1:2], v[211:212], -v[1:2]
	buffer_store_dword v4, off, s[0:3], 0 offset:964
	buffer_store_dword v3, off, s[0:3], 0 offset:960
	buffer_store_dword v2, off, s[0:3], 0 offset:972
	buffer_store_dword v1, off, s[0:3], 0 offset:968
	ds_read2_b64 v[1:4], v249 offset0:122 offset1:123
	s_waitcnt lgkmcnt(0)
	v_mul_f64 v[209:210], v[3:4], v[207:208]
	v_fma_f64 v[209:210], v[1:2], v[205:206], -v[209:210]
	v_mul_f64 v[1:2], v[1:2], v[207:208]
	v_fma_f64 v[1:2], v[3:4], v[205:206], v[1:2]
	s_clause 0x3
	buffer_load_dword v3, off, s[0:3], 0 offset:976
	buffer_load_dword v4, off, s[0:3], 0 offset:980
	buffer_load_dword v211, off, s[0:3], 0 offset:984
	buffer_load_dword v212, off, s[0:3], 0 offset:988
	s_waitcnt vmcnt(2)
	v_add_f64 v[3:4], v[3:4], -v[209:210]
	s_waitcnt vmcnt(0)
	v_add_f64 v[1:2], v[211:212], -v[1:2]
	buffer_store_dword v4, off, s[0:3], 0 offset:980
	buffer_store_dword v3, off, s[0:3], 0 offset:976
	buffer_store_dword v2, off, s[0:3], 0 offset:988
	buffer_store_dword v1, off, s[0:3], 0 offset:984
	ds_read2_b64 v[1:4], v249 offset0:124 offset1:125
	s_waitcnt lgkmcnt(0)
	v_mul_f64 v[209:210], v[3:4], v[207:208]
	v_fma_f64 v[209:210], v[1:2], v[205:206], -v[209:210]
	v_mul_f64 v[1:2], v[1:2], v[207:208]
	v_fma_f64 v[1:2], v[3:4], v[205:206], v[1:2]
	s_clause 0x3
	buffer_load_dword v3, off, s[0:3], 0 offset:992
	buffer_load_dword v4, off, s[0:3], 0 offset:996
	buffer_load_dword v205, off, s[0:3], 0 offset:1000
	buffer_load_dword v206, off, s[0:3], 0 offset:1004
	s_waitcnt vmcnt(2)
	v_add_f64 v[3:4], v[3:4], -v[209:210]
	s_waitcnt vmcnt(0)
	v_add_f64 v[1:2], v[205:206], -v[1:2]
	buffer_store_dword v4, off, s[0:3], 0 offset:996
	buffer_store_dword v3, off, s[0:3], 0 offset:992
	;; [unrolled: 1-line block ×4, first 2 shown]
.LBB125_593:
	s_or_b32 exec_lo, exec_lo, s5
	s_mov_b32 s6, exec_lo
	s_waitcnt lgkmcnt(0)
	s_waitcnt_vscnt null, 0x0
	s_barrier
	buffer_gl0_inv
	v_cmpx_eq_u32_e32 51, v0
	s_cbranch_execz .LBB125_600
; %bb.594:
	v_mov_b32_e32 v4, s26
	s_clause 0x3
	buffer_load_dword v1, v4, s[0:3], 0 offen
	buffer_load_dword v2, v4, s[0:3], 0 offen offset:4
	buffer_load_dword v3, v4, s[0:3], 0 offen offset:8
	;; [unrolled: 1-line block ×3, first 2 shown]
	s_waitcnt vmcnt(0)
	ds_write2_b64 v255, v[1:2], v[3:4] offset1:1
	v_mov_b32_e32 v4, s25
	s_clause 0x3
	buffer_load_dword v1, v4, s[0:3], 0 offen
	buffer_load_dword v2, v4, s[0:3], 0 offen offset:4
	buffer_load_dword v3, v4, s[0:3], 0 offen offset:8
	buffer_load_dword v4, v4, s[0:3], 0 offen offset:12
	s_waitcnt vmcnt(0)
	ds_write2_b64 v249, v[1:2], v[3:4] offset0:104 offset1:105
	v_mov_b32_e32 v4, s24
	s_clause 0x3
	buffer_load_dword v1, v4, s[0:3], 0 offen
	buffer_load_dword v2, v4, s[0:3], 0 offen offset:4
	buffer_load_dword v3, v4, s[0:3], 0 offen offset:8
	buffer_load_dword v4, v4, s[0:3], 0 offen offset:12
	s_waitcnt vmcnt(0)
	ds_write2_b64 v249, v[1:2], v[3:4] offset0:106 offset1:107
	;; [unrolled: 8-line block ×11, first 2 shown]
	ds_read2_b64 v[205:208], v255 offset1:1
	s_waitcnt lgkmcnt(0)
	v_cmp_neq_f64_e32 vcc_lo, 0, v[205:206]
	v_cmp_neq_f64_e64 s5, 0, v[207:208]
	s_or_b32 s5, vcc_lo, s5
	s_and_b32 exec_lo, exec_lo, s5
	s_cbranch_execz .LBB125_600
; %bb.595:
	v_cmp_ngt_f64_e64 s5, |v[205:206]|, |v[207:208]|
                                        ; implicit-def: $vgpr1_vgpr2
	s_and_saveexec_b32 s7, s5
	s_xor_b32 s5, exec_lo, s7
                                        ; implicit-def: $vgpr3_vgpr4
	s_cbranch_execz .LBB125_597
; %bb.596:
	v_div_scale_f64 v[1:2], null, v[207:208], v[207:208], v[205:206]
	v_div_scale_f64 v[211:212], vcc_lo, v[205:206], v[207:208], v[205:206]
	v_rcp_f64_e32 v[3:4], v[1:2]
	v_fma_f64 v[209:210], -v[1:2], v[3:4], 1.0
	v_fma_f64 v[3:4], v[3:4], v[209:210], v[3:4]
	v_fma_f64 v[209:210], -v[1:2], v[3:4], 1.0
	v_fma_f64 v[3:4], v[3:4], v[209:210], v[3:4]
	v_mul_f64 v[209:210], v[211:212], v[3:4]
	v_fma_f64 v[1:2], -v[1:2], v[209:210], v[211:212]
	v_div_fmas_f64 v[1:2], v[1:2], v[3:4], v[209:210]
	v_div_fixup_f64 v[1:2], v[1:2], v[207:208], v[205:206]
	v_fma_f64 v[3:4], v[205:206], v[1:2], v[207:208]
	v_div_scale_f64 v[205:206], null, v[3:4], v[3:4], 1.0
	v_rcp_f64_e32 v[207:208], v[205:206]
	v_fma_f64 v[209:210], -v[205:206], v[207:208], 1.0
	v_fma_f64 v[207:208], v[207:208], v[209:210], v[207:208]
	v_fma_f64 v[209:210], -v[205:206], v[207:208], 1.0
	v_fma_f64 v[207:208], v[207:208], v[209:210], v[207:208]
	v_div_scale_f64 v[209:210], vcc_lo, 1.0, v[3:4], 1.0
	v_mul_f64 v[211:212], v[209:210], v[207:208]
	v_fma_f64 v[205:206], -v[205:206], v[211:212], v[209:210]
	v_div_fmas_f64 v[205:206], v[205:206], v[207:208], v[211:212]
	v_div_fixup_f64 v[3:4], v[205:206], v[3:4], 1.0
                                        ; implicit-def: $vgpr205_vgpr206
	v_mul_f64 v[1:2], v[1:2], v[3:4]
	v_xor_b32_e32 v4, 0x80000000, v4
.LBB125_597:
	s_andn2_saveexec_b32 s5, s5
	s_cbranch_execz .LBB125_599
; %bb.598:
	v_div_scale_f64 v[1:2], null, v[205:206], v[205:206], v[207:208]
	v_div_scale_f64 v[211:212], vcc_lo, v[207:208], v[205:206], v[207:208]
	v_rcp_f64_e32 v[3:4], v[1:2]
	v_fma_f64 v[209:210], -v[1:2], v[3:4], 1.0
	v_fma_f64 v[3:4], v[3:4], v[209:210], v[3:4]
	v_fma_f64 v[209:210], -v[1:2], v[3:4], 1.0
	v_fma_f64 v[3:4], v[3:4], v[209:210], v[3:4]
	v_mul_f64 v[209:210], v[211:212], v[3:4]
	v_fma_f64 v[1:2], -v[1:2], v[209:210], v[211:212]
	v_div_fmas_f64 v[1:2], v[1:2], v[3:4], v[209:210]
	v_div_fixup_f64 v[3:4], v[1:2], v[205:206], v[207:208]
	v_fma_f64 v[1:2], v[207:208], v[3:4], v[205:206]
	v_div_scale_f64 v[205:206], null, v[1:2], v[1:2], 1.0
	v_rcp_f64_e32 v[207:208], v[205:206]
	v_fma_f64 v[209:210], -v[205:206], v[207:208], 1.0
	v_fma_f64 v[207:208], v[207:208], v[209:210], v[207:208]
	v_fma_f64 v[209:210], -v[205:206], v[207:208], 1.0
	v_fma_f64 v[207:208], v[207:208], v[209:210], v[207:208]
	v_div_scale_f64 v[209:210], vcc_lo, 1.0, v[1:2], 1.0
	v_mul_f64 v[211:212], v[209:210], v[207:208]
	v_fma_f64 v[205:206], -v[205:206], v[211:212], v[209:210]
	v_div_fmas_f64 v[205:206], v[205:206], v[207:208], v[211:212]
	v_div_fixup_f64 v[1:2], v[205:206], v[1:2], 1.0
	v_mul_f64 v[3:4], v[3:4], -v[1:2]
.LBB125_599:
	s_or_b32 exec_lo, exec_lo, s5
	ds_write2_b64 v255, v[1:2], v[3:4] offset1:1
.LBB125_600:
	s_or_b32 exec_lo, exec_lo, s6
	s_waitcnt lgkmcnt(0)
	s_barrier
	buffer_gl0_inv
	ds_read2_b64 v[205:208], v255 offset1:1
	s_mov_b32 s5, exec_lo
	v_cmpx_lt_u32_e32 51, v0
	s_cbranch_execz .LBB125_602
; %bb.601:
	s_clause 0xf
	buffer_load_dword v1, off, s[0:3], 0 offset:816
	buffer_load_dword v2, off, s[0:3], 0 offset:820
	buffer_load_dword v3, off, s[0:3], 0 offset:824
	buffer_load_dword v4, off, s[0:3], 0 offset:828
	buffer_load_dword v209, off, s[0:3], 0 offset:832
	buffer_load_dword v210, off, s[0:3], 0 offset:836
	buffer_load_dword v211, off, s[0:3], 0 offset:840
	buffer_load_dword v212, off, s[0:3], 0 offset:844
	buffer_load_dword v213, off, s[0:3], 0 offset:848
	buffer_load_dword v214, off, s[0:3], 0 offset:852
	buffer_load_dword v215, off, s[0:3], 0 offset:856
	buffer_load_dword v216, off, s[0:3], 0 offset:860
	buffer_load_dword v217, off, s[0:3], 0 offset:864
	buffer_load_dword v218, off, s[0:3], 0 offset:868
	buffer_load_dword v219, off, s[0:3], 0 offset:872
	buffer_load_dword v220, off, s[0:3], 0 offset:876
	s_waitcnt vmcnt(12) lgkmcnt(0)
	v_mul_f64 v[221:222], v[207:208], v[3:4]
	v_mul_f64 v[3:4], v[205:206], v[3:4]
	v_fma_f64 v[221:222], v[205:206], v[1:2], -v[221:222]
	v_fma_f64 v[223:224], v[207:208], v[1:2], v[3:4]
	buffer_store_dword v221, off, s[0:3], 0 offset:816
	buffer_store_dword v222, off, s[0:3], 0 offset:820
	buffer_store_dword v223, off, s[0:3], 0 offset:824
	buffer_store_dword v224, off, s[0:3], 0 offset:828
	ds_read2_b64 v[1:4], v249 offset0:104 offset1:105
	s_waitcnt lgkmcnt(0)
	v_mul_f64 v[225:226], v[3:4], v[223:224]
	v_fma_f64 v[225:226], v[1:2], v[221:222], -v[225:226]
	v_mul_f64 v[1:2], v[1:2], v[223:224]
	v_fma_f64 v[1:2], v[3:4], v[221:222], v[1:2]
	s_waitcnt vmcnt(10)
	v_add_f64 v[3:4], v[209:210], -v[225:226]
	s_waitcnt vmcnt(8)
	v_add_f64 v[1:2], v[211:212], -v[1:2]
	buffer_store_dword v3, off, s[0:3], 0 offset:832
	buffer_store_dword v4, off, s[0:3], 0 offset:836
	buffer_store_dword v1, off, s[0:3], 0 offset:840
	buffer_store_dword v2, off, s[0:3], 0 offset:844
	ds_read2_b64 v[1:4], v249 offset0:106 offset1:107
	s_waitcnt lgkmcnt(0)
	v_mul_f64 v[209:210], v[3:4], v[223:224]
	v_fma_f64 v[209:210], v[1:2], v[221:222], -v[209:210]
	v_mul_f64 v[1:2], v[1:2], v[223:224]
	v_fma_f64 v[1:2], v[3:4], v[221:222], v[1:2]
	s_waitcnt vmcnt(6)
	v_add_f64 v[3:4], v[213:214], -v[209:210]
	s_waitcnt vmcnt(4)
	v_add_f64 v[1:2], v[215:216], -v[1:2]
	;; [unrolled: 14-line block ×3, first 2 shown]
	buffer_store_dword v4, off, s[0:3], 0 offset:868
	buffer_store_dword v3, off, s[0:3], 0 offset:864
	buffer_store_dword v1, off, s[0:3], 0 offset:872
	buffer_store_dword v2, off, s[0:3], 0 offset:876
	ds_read2_b64 v[1:4], v249 offset0:110 offset1:111
	s_waitcnt lgkmcnt(0)
	v_mul_f64 v[209:210], v[3:4], v[223:224]
	v_fma_f64 v[209:210], v[1:2], v[221:222], -v[209:210]
	v_mul_f64 v[1:2], v[1:2], v[223:224]
	v_fma_f64 v[1:2], v[3:4], v[221:222], v[1:2]
	s_clause 0x3
	buffer_load_dword v3, off, s[0:3], 0 offset:880
	buffer_load_dword v4, off, s[0:3], 0 offset:884
	buffer_load_dword v211, off, s[0:3], 0 offset:888
	buffer_load_dword v212, off, s[0:3], 0 offset:892
	s_waitcnt vmcnt(2)
	v_add_f64 v[3:4], v[3:4], -v[209:210]
	s_waitcnt vmcnt(0)
	v_add_f64 v[1:2], v[211:212], -v[1:2]
	buffer_store_dword v4, off, s[0:3], 0 offset:884
	buffer_store_dword v3, off, s[0:3], 0 offset:880
	buffer_store_dword v2, off, s[0:3], 0 offset:892
	buffer_store_dword v1, off, s[0:3], 0 offset:888
	ds_read2_b64 v[1:4], v249 offset0:112 offset1:113
	s_waitcnt lgkmcnt(0)
	v_mul_f64 v[209:210], v[3:4], v[223:224]
	v_fma_f64 v[209:210], v[1:2], v[221:222], -v[209:210]
	v_mul_f64 v[1:2], v[1:2], v[223:224]
	v_fma_f64 v[1:2], v[3:4], v[221:222], v[1:2]
	s_clause 0x3
	buffer_load_dword v3, off, s[0:3], 0 offset:896
	buffer_load_dword v4, off, s[0:3], 0 offset:900
	buffer_load_dword v211, off, s[0:3], 0 offset:904
	buffer_load_dword v212, off, s[0:3], 0 offset:908
	s_waitcnt vmcnt(2)
	v_add_f64 v[3:4], v[3:4], -v[209:210]
	s_waitcnt vmcnt(0)
	v_add_f64 v[1:2], v[211:212], -v[1:2]
	;; [unrolled: 19-line block ×3, first 2 shown]
	buffer_store_dword v4, off, s[0:3], 0 offset:916
	buffer_store_dword v3, off, s[0:3], 0 offset:912
	;; [unrolled: 1-line block ×4, first 2 shown]
	ds_read2_b64 v[1:4], v249 offset0:116 offset1:117
	s_clause 0x3
	buffer_load_dword v209, off, s[0:3], 0 offset:816
	buffer_load_dword v210, off, s[0:3], 0 offset:820
	;; [unrolled: 1-line block ×4, first 2 shown]
	s_waitcnt vmcnt(0) lgkmcnt(0)
	v_mul_f64 v[213:214], v[3:4], v[211:212]
	v_fma_f64 v[213:214], v[1:2], v[209:210], -v[213:214]
	v_mul_f64 v[1:2], v[1:2], v[211:212]
	v_fma_f64 v[1:2], v[3:4], v[209:210], v[1:2]
	s_clause 0x1
	buffer_load_dword v4, off, s[0:3], 0 offset:932
	buffer_load_dword v3, off, s[0:3], 0 offset:928
	s_waitcnt vmcnt(0)
	v_add_f64 v[3:4], v[3:4], -v[213:214]
	s_clause 0x1
	buffer_load_dword v214, off, s[0:3], 0 offset:940
	buffer_load_dword v213, off, s[0:3], 0 offset:936
	s_waitcnt vmcnt(0)
	v_add_f64 v[1:2], v[213:214], -v[1:2]
	buffer_store_dword v4, off, s[0:3], 0 offset:932
	buffer_store_dword v3, off, s[0:3], 0 offset:928
	buffer_store_dword v2, off, s[0:3], 0 offset:940
	buffer_store_dword v1, off, s[0:3], 0 offset:936
	ds_read2_b64 v[1:4], v249 offset0:118 offset1:119
	s_waitcnt lgkmcnt(0)
	v_mul_f64 v[213:214], v[3:4], v[211:212]
	v_fma_f64 v[213:214], v[1:2], v[209:210], -v[213:214]
	v_mul_f64 v[1:2], v[1:2], v[211:212]
	v_fma_f64 v[1:2], v[3:4], v[209:210], v[1:2]
	s_clause 0x3
	buffer_load_dword v3, off, s[0:3], 0 offset:944
	buffer_load_dword v4, off, s[0:3], 0 offset:948
	buffer_load_dword v215, off, s[0:3], 0 offset:952
	buffer_load_dword v216, off, s[0:3], 0 offset:956
	s_waitcnt vmcnt(2)
	v_add_f64 v[3:4], v[3:4], -v[213:214]
	s_waitcnt vmcnt(0)
	v_add_f64 v[1:2], v[215:216], -v[1:2]
	buffer_store_dword v4, off, s[0:3], 0 offset:948
	buffer_store_dword v3, off, s[0:3], 0 offset:944
	buffer_store_dword v2, off, s[0:3], 0 offset:956
	buffer_store_dword v1, off, s[0:3], 0 offset:952
	ds_read2_b64 v[1:4], v249 offset0:120 offset1:121
	s_waitcnt lgkmcnt(0)
	v_mul_f64 v[213:214], v[3:4], v[211:212]
	v_fma_f64 v[213:214], v[1:2], v[209:210], -v[213:214]
	v_mul_f64 v[1:2], v[1:2], v[211:212]
	v_fma_f64 v[1:2], v[3:4], v[209:210], v[1:2]
	s_clause 0x3
	buffer_load_dword v3, off, s[0:3], 0 offset:960
	buffer_load_dword v4, off, s[0:3], 0 offset:964
	buffer_load_dword v215, off, s[0:3], 0 offset:968
	buffer_load_dword v216, off, s[0:3], 0 offset:972
	s_waitcnt vmcnt(2)
	v_add_f64 v[3:4], v[3:4], -v[213:214]
	;; [unrolled: 19-line block ×4, first 2 shown]
	s_waitcnt vmcnt(0)
	v_add_f64 v[1:2], v[209:210], -v[1:2]
	buffer_store_dword v4, off, s[0:3], 0 offset:996
	buffer_store_dword v3, off, s[0:3], 0 offset:992
	;; [unrolled: 1-line block ×4, first 2 shown]
.LBB125_602:
	s_or_b32 exec_lo, exec_lo, s5
	s_mov_b32 s6, exec_lo
	s_waitcnt lgkmcnt(0)
	s_waitcnt_vscnt null, 0x0
	s_barrier
	buffer_gl0_inv
	v_cmpx_eq_u32_e32 52, v0
	s_cbranch_execz .LBB125_609
; %bb.603:
	v_mov_b32_e32 v4, s25
	s_clause 0x3
	buffer_load_dword v1, v4, s[0:3], 0 offen
	buffer_load_dword v2, v4, s[0:3], 0 offen offset:4
	buffer_load_dword v3, v4, s[0:3], 0 offen offset:8
	;; [unrolled: 1-line block ×3, first 2 shown]
	s_waitcnt vmcnt(0)
	ds_write2_b64 v255, v[1:2], v[3:4] offset1:1
	v_mov_b32_e32 v4, s24
	s_clause 0x3
	buffer_load_dword v1, v4, s[0:3], 0 offen
	buffer_load_dword v2, v4, s[0:3], 0 offen offset:4
	buffer_load_dword v3, v4, s[0:3], 0 offen offset:8
	buffer_load_dword v4, v4, s[0:3], 0 offen offset:12
	s_waitcnt vmcnt(0)
	ds_write2_b64 v249, v[1:2], v[3:4] offset0:106 offset1:107
	v_mov_b32_e32 v4, s23
	s_clause 0x3
	buffer_load_dword v1, v4, s[0:3], 0 offen
	buffer_load_dword v2, v4, s[0:3], 0 offen offset:4
	buffer_load_dword v3, v4, s[0:3], 0 offen offset:8
	buffer_load_dword v4, v4, s[0:3], 0 offen offset:12
	s_waitcnt vmcnt(0)
	ds_write2_b64 v249, v[1:2], v[3:4] offset0:108 offset1:109
	;; [unrolled: 8-line block ×10, first 2 shown]
	ds_read2_b64 v[209:212], v255 offset1:1
	s_waitcnt lgkmcnt(0)
	v_cmp_neq_f64_e32 vcc_lo, 0, v[209:210]
	v_cmp_neq_f64_e64 s5, 0, v[211:212]
	s_or_b32 s5, vcc_lo, s5
	s_and_b32 exec_lo, exec_lo, s5
	s_cbranch_execz .LBB125_609
; %bb.604:
	v_cmp_ngt_f64_e64 s5, |v[209:210]|, |v[211:212]|
                                        ; implicit-def: $vgpr1_vgpr2
	s_and_saveexec_b32 s7, s5
	s_xor_b32 s5, exec_lo, s7
                                        ; implicit-def: $vgpr3_vgpr4
	s_cbranch_execz .LBB125_606
; %bb.605:
	v_div_scale_f64 v[1:2], null, v[211:212], v[211:212], v[209:210]
	v_div_scale_f64 v[215:216], vcc_lo, v[209:210], v[211:212], v[209:210]
	v_rcp_f64_e32 v[3:4], v[1:2]
	v_fma_f64 v[213:214], -v[1:2], v[3:4], 1.0
	v_fma_f64 v[3:4], v[3:4], v[213:214], v[3:4]
	v_fma_f64 v[213:214], -v[1:2], v[3:4], 1.0
	v_fma_f64 v[3:4], v[3:4], v[213:214], v[3:4]
	v_mul_f64 v[213:214], v[215:216], v[3:4]
	v_fma_f64 v[1:2], -v[1:2], v[213:214], v[215:216]
	v_div_fmas_f64 v[1:2], v[1:2], v[3:4], v[213:214]
	v_div_fixup_f64 v[1:2], v[1:2], v[211:212], v[209:210]
	v_fma_f64 v[3:4], v[209:210], v[1:2], v[211:212]
	v_div_scale_f64 v[209:210], null, v[3:4], v[3:4], 1.0
	v_rcp_f64_e32 v[211:212], v[209:210]
	v_fma_f64 v[213:214], -v[209:210], v[211:212], 1.0
	v_fma_f64 v[211:212], v[211:212], v[213:214], v[211:212]
	v_fma_f64 v[213:214], -v[209:210], v[211:212], 1.0
	v_fma_f64 v[211:212], v[211:212], v[213:214], v[211:212]
	v_div_scale_f64 v[213:214], vcc_lo, 1.0, v[3:4], 1.0
	v_mul_f64 v[215:216], v[213:214], v[211:212]
	v_fma_f64 v[209:210], -v[209:210], v[215:216], v[213:214]
	v_div_fmas_f64 v[209:210], v[209:210], v[211:212], v[215:216]
	v_div_fixup_f64 v[3:4], v[209:210], v[3:4], 1.0
                                        ; implicit-def: $vgpr209_vgpr210
	v_mul_f64 v[1:2], v[1:2], v[3:4]
	v_xor_b32_e32 v4, 0x80000000, v4
.LBB125_606:
	s_andn2_saveexec_b32 s5, s5
	s_cbranch_execz .LBB125_608
; %bb.607:
	v_div_scale_f64 v[1:2], null, v[209:210], v[209:210], v[211:212]
	v_div_scale_f64 v[215:216], vcc_lo, v[211:212], v[209:210], v[211:212]
	v_rcp_f64_e32 v[3:4], v[1:2]
	v_fma_f64 v[213:214], -v[1:2], v[3:4], 1.0
	v_fma_f64 v[3:4], v[3:4], v[213:214], v[3:4]
	v_fma_f64 v[213:214], -v[1:2], v[3:4], 1.0
	v_fma_f64 v[3:4], v[3:4], v[213:214], v[3:4]
	v_mul_f64 v[213:214], v[215:216], v[3:4]
	v_fma_f64 v[1:2], -v[1:2], v[213:214], v[215:216]
	v_div_fmas_f64 v[1:2], v[1:2], v[3:4], v[213:214]
	v_div_fixup_f64 v[3:4], v[1:2], v[209:210], v[211:212]
	v_fma_f64 v[1:2], v[211:212], v[3:4], v[209:210]
	v_div_scale_f64 v[209:210], null, v[1:2], v[1:2], 1.0
	v_rcp_f64_e32 v[211:212], v[209:210]
	v_fma_f64 v[213:214], -v[209:210], v[211:212], 1.0
	v_fma_f64 v[211:212], v[211:212], v[213:214], v[211:212]
	v_fma_f64 v[213:214], -v[209:210], v[211:212], 1.0
	v_fma_f64 v[211:212], v[211:212], v[213:214], v[211:212]
	v_div_scale_f64 v[213:214], vcc_lo, 1.0, v[1:2], 1.0
	v_mul_f64 v[215:216], v[213:214], v[211:212]
	v_fma_f64 v[209:210], -v[209:210], v[215:216], v[213:214]
	v_div_fmas_f64 v[209:210], v[209:210], v[211:212], v[215:216]
	v_div_fixup_f64 v[1:2], v[209:210], v[1:2], 1.0
	v_mul_f64 v[3:4], v[3:4], -v[1:2]
.LBB125_608:
	s_or_b32 exec_lo, exec_lo, s5
	ds_write2_b64 v255, v[1:2], v[3:4] offset1:1
.LBB125_609:
	s_or_b32 exec_lo, exec_lo, s6
	s_waitcnt lgkmcnt(0)
	s_barrier
	buffer_gl0_inv
	ds_read2_b64 v[209:212], v255 offset1:1
	s_mov_b32 s5, exec_lo
	v_cmpx_lt_u32_e32 52, v0
	s_cbranch_execz .LBB125_611
; %bb.610:
	s_clause 0xf
	buffer_load_dword v1, off, s[0:3], 0 offset:832
	buffer_load_dword v2, off, s[0:3], 0 offset:836
	;; [unrolled: 1-line block ×16, first 2 shown]
	s_waitcnt vmcnt(12) lgkmcnt(0)
	v_mul_f64 v[225:226], v[211:212], v[3:4]
	v_mul_f64 v[3:4], v[209:210], v[3:4]
	v_fma_f64 v[225:226], v[209:210], v[1:2], -v[225:226]
	v_fma_f64 v[227:228], v[211:212], v[1:2], v[3:4]
	buffer_store_dword v225, off, s[0:3], 0 offset:832
	buffer_store_dword v226, off, s[0:3], 0 offset:836
	buffer_store_dword v227, off, s[0:3], 0 offset:840
	buffer_store_dword v228, off, s[0:3], 0 offset:844
	ds_read2_b64 v[1:4], v249 offset0:106 offset1:107
	s_waitcnt lgkmcnt(0)
	v_mul_f64 v[229:230], v[3:4], v[227:228]
	v_fma_f64 v[229:230], v[1:2], v[225:226], -v[229:230]
	v_mul_f64 v[1:2], v[1:2], v[227:228]
	v_fma_f64 v[1:2], v[3:4], v[225:226], v[1:2]
	s_waitcnt vmcnt(10)
	v_add_f64 v[3:4], v[213:214], -v[229:230]
	s_waitcnt vmcnt(8)
	v_add_f64 v[1:2], v[215:216], -v[1:2]
	buffer_store_dword v3, off, s[0:3], 0 offset:848
	buffer_store_dword v4, off, s[0:3], 0 offset:852
	buffer_store_dword v1, off, s[0:3], 0 offset:856
	buffer_store_dword v2, off, s[0:3], 0 offset:860
	ds_read2_b64 v[1:4], v249 offset0:108 offset1:109
	s_waitcnt lgkmcnt(0)
	v_mul_f64 v[213:214], v[3:4], v[227:228]
	v_fma_f64 v[213:214], v[1:2], v[225:226], -v[213:214]
	v_mul_f64 v[1:2], v[1:2], v[227:228]
	v_fma_f64 v[1:2], v[3:4], v[225:226], v[1:2]
	s_waitcnt vmcnt(6)
	v_add_f64 v[3:4], v[217:218], -v[213:214]
	s_waitcnt vmcnt(4)
	v_add_f64 v[1:2], v[219:220], -v[1:2]
	;; [unrolled: 14-line block ×3, first 2 shown]
	buffer_store_dword v4, off, s[0:3], 0 offset:884
	buffer_store_dword v3, off, s[0:3], 0 offset:880
	buffer_store_dword v1, off, s[0:3], 0 offset:888
	buffer_store_dword v2, off, s[0:3], 0 offset:892
	ds_read2_b64 v[1:4], v249 offset0:112 offset1:113
	s_waitcnt lgkmcnt(0)
	v_mul_f64 v[213:214], v[3:4], v[227:228]
	v_fma_f64 v[213:214], v[1:2], v[225:226], -v[213:214]
	v_mul_f64 v[1:2], v[1:2], v[227:228]
	v_fma_f64 v[1:2], v[3:4], v[225:226], v[1:2]
	s_clause 0x3
	buffer_load_dword v3, off, s[0:3], 0 offset:896
	buffer_load_dword v4, off, s[0:3], 0 offset:900
	buffer_load_dword v215, off, s[0:3], 0 offset:904
	buffer_load_dword v216, off, s[0:3], 0 offset:908
	s_waitcnt vmcnt(2)
	v_add_f64 v[3:4], v[3:4], -v[213:214]
	s_waitcnt vmcnt(0)
	v_add_f64 v[1:2], v[215:216], -v[1:2]
	buffer_store_dword v4, off, s[0:3], 0 offset:900
	buffer_store_dword v3, off, s[0:3], 0 offset:896
	buffer_store_dword v2, off, s[0:3], 0 offset:908
	buffer_store_dword v1, off, s[0:3], 0 offset:904
	ds_read2_b64 v[1:4], v249 offset0:114 offset1:115
	s_waitcnt lgkmcnt(0)
	v_mul_f64 v[213:214], v[3:4], v[227:228]
	v_fma_f64 v[213:214], v[1:2], v[225:226], -v[213:214]
	v_mul_f64 v[1:2], v[1:2], v[227:228]
	v_fma_f64 v[1:2], v[3:4], v[225:226], v[1:2]
	s_clause 0x3
	buffer_load_dword v3, off, s[0:3], 0 offset:912
	buffer_load_dword v4, off, s[0:3], 0 offset:916
	buffer_load_dword v215, off, s[0:3], 0 offset:920
	buffer_load_dword v216, off, s[0:3], 0 offset:924
	s_waitcnt vmcnt(2)
	v_add_f64 v[3:4], v[3:4], -v[213:214]
	s_waitcnt vmcnt(0)
	v_add_f64 v[1:2], v[215:216], -v[1:2]
	;; [unrolled: 19-line block ×3, first 2 shown]
	buffer_store_dword v4, off, s[0:3], 0 offset:932
	buffer_store_dword v3, off, s[0:3], 0 offset:928
	;; [unrolled: 1-line block ×4, first 2 shown]
	ds_read2_b64 v[1:4], v249 offset0:118 offset1:119
	s_clause 0x3
	buffer_load_dword v213, off, s[0:3], 0 offset:832
	buffer_load_dword v214, off, s[0:3], 0 offset:836
	;; [unrolled: 1-line block ×4, first 2 shown]
	s_waitcnt vmcnt(0) lgkmcnt(0)
	v_mul_f64 v[217:218], v[3:4], v[215:216]
	v_fma_f64 v[217:218], v[1:2], v[213:214], -v[217:218]
	v_mul_f64 v[1:2], v[1:2], v[215:216]
	v_fma_f64 v[1:2], v[3:4], v[213:214], v[1:2]
	s_clause 0x1
	buffer_load_dword v4, off, s[0:3], 0 offset:948
	buffer_load_dword v3, off, s[0:3], 0 offset:944
	s_waitcnt vmcnt(0)
	v_add_f64 v[3:4], v[3:4], -v[217:218]
	s_clause 0x1
	buffer_load_dword v218, off, s[0:3], 0 offset:956
	buffer_load_dword v217, off, s[0:3], 0 offset:952
	s_waitcnt vmcnt(0)
	v_add_f64 v[1:2], v[217:218], -v[1:2]
	buffer_store_dword v4, off, s[0:3], 0 offset:948
	buffer_store_dword v3, off, s[0:3], 0 offset:944
	buffer_store_dword v2, off, s[0:3], 0 offset:956
	buffer_store_dword v1, off, s[0:3], 0 offset:952
	ds_read2_b64 v[1:4], v249 offset0:120 offset1:121
	s_waitcnt lgkmcnt(0)
	v_mul_f64 v[217:218], v[3:4], v[215:216]
	v_fma_f64 v[217:218], v[1:2], v[213:214], -v[217:218]
	v_mul_f64 v[1:2], v[1:2], v[215:216]
	v_fma_f64 v[1:2], v[3:4], v[213:214], v[1:2]
	s_clause 0x3
	buffer_load_dword v3, off, s[0:3], 0 offset:960
	buffer_load_dword v4, off, s[0:3], 0 offset:964
	buffer_load_dword v219, off, s[0:3], 0 offset:968
	buffer_load_dword v220, off, s[0:3], 0 offset:972
	s_waitcnt vmcnt(2)
	v_add_f64 v[3:4], v[3:4], -v[217:218]
	s_waitcnt vmcnt(0)
	v_add_f64 v[1:2], v[219:220], -v[1:2]
	buffer_store_dword v4, off, s[0:3], 0 offset:964
	buffer_store_dword v3, off, s[0:3], 0 offset:960
	buffer_store_dword v2, off, s[0:3], 0 offset:972
	buffer_store_dword v1, off, s[0:3], 0 offset:968
	ds_read2_b64 v[1:4], v249 offset0:122 offset1:123
	s_waitcnt lgkmcnt(0)
	v_mul_f64 v[217:218], v[3:4], v[215:216]
	v_fma_f64 v[217:218], v[1:2], v[213:214], -v[217:218]
	v_mul_f64 v[1:2], v[1:2], v[215:216]
	v_fma_f64 v[1:2], v[3:4], v[213:214], v[1:2]
	s_clause 0x3
	buffer_load_dword v3, off, s[0:3], 0 offset:976
	buffer_load_dword v4, off, s[0:3], 0 offset:980
	buffer_load_dword v219, off, s[0:3], 0 offset:984
	buffer_load_dword v220, off, s[0:3], 0 offset:988
	s_waitcnt vmcnt(2)
	v_add_f64 v[3:4], v[3:4], -v[217:218]
	;; [unrolled: 19-line block ×3, first 2 shown]
	s_waitcnt vmcnt(0)
	v_add_f64 v[1:2], v[213:214], -v[1:2]
	buffer_store_dword v4, off, s[0:3], 0 offset:996
	buffer_store_dword v3, off, s[0:3], 0 offset:992
	;; [unrolled: 1-line block ×4, first 2 shown]
.LBB125_611:
	s_or_b32 exec_lo, exec_lo, s5
	s_mov_b32 s6, exec_lo
	s_waitcnt lgkmcnt(0)
	s_waitcnt_vscnt null, 0x0
	s_barrier
	buffer_gl0_inv
	v_cmpx_eq_u32_e32 53, v0
	s_cbranch_execz .LBB125_618
; %bb.612:
	v_mov_b32_e32 v4, s24
	s_clause 0x3
	buffer_load_dword v1, v4, s[0:3], 0 offen
	buffer_load_dword v2, v4, s[0:3], 0 offen offset:4
	buffer_load_dword v3, v4, s[0:3], 0 offen offset:8
	;; [unrolled: 1-line block ×3, first 2 shown]
	s_waitcnt vmcnt(0)
	ds_write2_b64 v255, v[1:2], v[3:4] offset1:1
	v_mov_b32_e32 v4, s23
	s_clause 0x3
	buffer_load_dword v1, v4, s[0:3], 0 offen
	buffer_load_dword v2, v4, s[0:3], 0 offen offset:4
	buffer_load_dword v3, v4, s[0:3], 0 offen offset:8
	buffer_load_dword v4, v4, s[0:3], 0 offen offset:12
	s_waitcnt vmcnt(0)
	ds_write2_b64 v249, v[1:2], v[3:4] offset0:108 offset1:109
	v_mov_b32_e32 v4, s22
	s_clause 0x3
	buffer_load_dword v1, v4, s[0:3], 0 offen
	buffer_load_dword v2, v4, s[0:3], 0 offen offset:4
	buffer_load_dword v3, v4, s[0:3], 0 offen offset:8
	buffer_load_dword v4, v4, s[0:3], 0 offen offset:12
	s_waitcnt vmcnt(0)
	ds_write2_b64 v249, v[1:2], v[3:4] offset0:110 offset1:111
	;; [unrolled: 8-line block ×9, first 2 shown]
	ds_read2_b64 v[213:216], v255 offset1:1
	s_waitcnt lgkmcnt(0)
	v_cmp_neq_f64_e32 vcc_lo, 0, v[213:214]
	v_cmp_neq_f64_e64 s5, 0, v[215:216]
	s_or_b32 s5, vcc_lo, s5
	s_and_b32 exec_lo, exec_lo, s5
	s_cbranch_execz .LBB125_618
; %bb.613:
	v_cmp_ngt_f64_e64 s5, |v[213:214]|, |v[215:216]|
                                        ; implicit-def: $vgpr1_vgpr2
	s_and_saveexec_b32 s7, s5
	s_xor_b32 s5, exec_lo, s7
                                        ; implicit-def: $vgpr3_vgpr4
	s_cbranch_execz .LBB125_615
; %bb.614:
	v_div_scale_f64 v[1:2], null, v[215:216], v[215:216], v[213:214]
	v_div_scale_f64 v[219:220], vcc_lo, v[213:214], v[215:216], v[213:214]
	v_rcp_f64_e32 v[3:4], v[1:2]
	v_fma_f64 v[217:218], -v[1:2], v[3:4], 1.0
	v_fma_f64 v[3:4], v[3:4], v[217:218], v[3:4]
	v_fma_f64 v[217:218], -v[1:2], v[3:4], 1.0
	v_fma_f64 v[3:4], v[3:4], v[217:218], v[3:4]
	v_mul_f64 v[217:218], v[219:220], v[3:4]
	v_fma_f64 v[1:2], -v[1:2], v[217:218], v[219:220]
	v_div_fmas_f64 v[1:2], v[1:2], v[3:4], v[217:218]
	v_div_fixup_f64 v[1:2], v[1:2], v[215:216], v[213:214]
	v_fma_f64 v[3:4], v[213:214], v[1:2], v[215:216]
	v_div_scale_f64 v[213:214], null, v[3:4], v[3:4], 1.0
	v_rcp_f64_e32 v[215:216], v[213:214]
	v_fma_f64 v[217:218], -v[213:214], v[215:216], 1.0
	v_fma_f64 v[215:216], v[215:216], v[217:218], v[215:216]
	v_fma_f64 v[217:218], -v[213:214], v[215:216], 1.0
	v_fma_f64 v[215:216], v[215:216], v[217:218], v[215:216]
	v_div_scale_f64 v[217:218], vcc_lo, 1.0, v[3:4], 1.0
	v_mul_f64 v[219:220], v[217:218], v[215:216]
	v_fma_f64 v[213:214], -v[213:214], v[219:220], v[217:218]
	v_div_fmas_f64 v[213:214], v[213:214], v[215:216], v[219:220]
	v_div_fixup_f64 v[3:4], v[213:214], v[3:4], 1.0
                                        ; implicit-def: $vgpr213_vgpr214
	v_mul_f64 v[1:2], v[1:2], v[3:4]
	v_xor_b32_e32 v4, 0x80000000, v4
.LBB125_615:
	s_andn2_saveexec_b32 s5, s5
	s_cbranch_execz .LBB125_617
; %bb.616:
	v_div_scale_f64 v[1:2], null, v[213:214], v[213:214], v[215:216]
	v_div_scale_f64 v[219:220], vcc_lo, v[215:216], v[213:214], v[215:216]
	v_rcp_f64_e32 v[3:4], v[1:2]
	v_fma_f64 v[217:218], -v[1:2], v[3:4], 1.0
	v_fma_f64 v[3:4], v[3:4], v[217:218], v[3:4]
	v_fma_f64 v[217:218], -v[1:2], v[3:4], 1.0
	v_fma_f64 v[3:4], v[3:4], v[217:218], v[3:4]
	v_mul_f64 v[217:218], v[219:220], v[3:4]
	v_fma_f64 v[1:2], -v[1:2], v[217:218], v[219:220]
	v_div_fmas_f64 v[1:2], v[1:2], v[3:4], v[217:218]
	v_div_fixup_f64 v[3:4], v[1:2], v[213:214], v[215:216]
	v_fma_f64 v[1:2], v[215:216], v[3:4], v[213:214]
	v_div_scale_f64 v[213:214], null, v[1:2], v[1:2], 1.0
	v_rcp_f64_e32 v[215:216], v[213:214]
	v_fma_f64 v[217:218], -v[213:214], v[215:216], 1.0
	v_fma_f64 v[215:216], v[215:216], v[217:218], v[215:216]
	v_fma_f64 v[217:218], -v[213:214], v[215:216], 1.0
	v_fma_f64 v[215:216], v[215:216], v[217:218], v[215:216]
	v_div_scale_f64 v[217:218], vcc_lo, 1.0, v[1:2], 1.0
	v_mul_f64 v[219:220], v[217:218], v[215:216]
	v_fma_f64 v[213:214], -v[213:214], v[219:220], v[217:218]
	v_div_fmas_f64 v[213:214], v[213:214], v[215:216], v[219:220]
	v_div_fixup_f64 v[1:2], v[213:214], v[1:2], 1.0
	v_mul_f64 v[3:4], v[3:4], -v[1:2]
.LBB125_617:
	s_or_b32 exec_lo, exec_lo, s5
	ds_write2_b64 v255, v[1:2], v[3:4] offset1:1
.LBB125_618:
	s_or_b32 exec_lo, exec_lo, s6
	s_waitcnt lgkmcnt(0)
	s_barrier
	buffer_gl0_inv
	ds_read2_b64 v[213:216], v255 offset1:1
	s_mov_b32 s5, exec_lo
	v_cmpx_lt_u32_e32 53, v0
	s_cbranch_execz .LBB125_620
; %bb.619:
	s_clause 0xf
	buffer_load_dword v1, off, s[0:3], 0 offset:848
	buffer_load_dword v2, off, s[0:3], 0 offset:852
	;; [unrolled: 1-line block ×16, first 2 shown]
	s_waitcnt vmcnt(12) lgkmcnt(0)
	v_mul_f64 v[229:230], v[215:216], v[3:4]
	v_mul_f64 v[3:4], v[213:214], v[3:4]
	v_fma_f64 v[229:230], v[213:214], v[1:2], -v[229:230]
	v_fma_f64 v[231:232], v[215:216], v[1:2], v[3:4]
	buffer_store_dword v229, off, s[0:3], 0 offset:848
	buffer_store_dword v230, off, s[0:3], 0 offset:852
	buffer_store_dword v231, off, s[0:3], 0 offset:856
	buffer_store_dword v232, off, s[0:3], 0 offset:860
	ds_read2_b64 v[1:4], v249 offset0:108 offset1:109
	s_waitcnt lgkmcnt(0)
	v_mul_f64 v[233:234], v[3:4], v[231:232]
	v_fma_f64 v[233:234], v[1:2], v[229:230], -v[233:234]
	v_mul_f64 v[1:2], v[1:2], v[231:232]
	v_fma_f64 v[1:2], v[3:4], v[229:230], v[1:2]
	s_waitcnt vmcnt(10)
	v_add_f64 v[3:4], v[217:218], -v[233:234]
	s_waitcnt vmcnt(8)
	v_add_f64 v[1:2], v[219:220], -v[1:2]
	buffer_store_dword v3, off, s[0:3], 0 offset:864
	buffer_store_dword v4, off, s[0:3], 0 offset:868
	buffer_store_dword v1, off, s[0:3], 0 offset:872
	buffer_store_dword v2, off, s[0:3], 0 offset:876
	ds_read2_b64 v[1:4], v249 offset0:110 offset1:111
	s_waitcnt lgkmcnt(0)
	v_mul_f64 v[217:218], v[3:4], v[231:232]
	v_fma_f64 v[217:218], v[1:2], v[229:230], -v[217:218]
	v_mul_f64 v[1:2], v[1:2], v[231:232]
	v_fma_f64 v[1:2], v[3:4], v[229:230], v[1:2]
	s_waitcnt vmcnt(6)
	v_add_f64 v[3:4], v[221:222], -v[217:218]
	s_waitcnt vmcnt(4)
	v_add_f64 v[1:2], v[223:224], -v[1:2]
	buffer_store_dword v3, off, s[0:3], 0 offset:880
	buffer_store_dword v4, off, s[0:3], 0 offset:884
	buffer_store_dword v1, off, s[0:3], 0 offset:888
	buffer_store_dword v2, off, s[0:3], 0 offset:892
	ds_read2_b64 v[1:4], v249 offset0:112 offset1:113
	s_waitcnt lgkmcnt(0)
	v_mul_f64 v[217:218], v[3:4], v[231:232]
	v_fma_f64 v[217:218], v[1:2], v[229:230], -v[217:218]
	v_mul_f64 v[1:2], v[1:2], v[231:232]
	v_fma_f64 v[1:2], v[3:4], v[229:230], v[1:2]
	s_waitcnt vmcnt(2)
	v_add_f64 v[3:4], v[225:226], -v[217:218]
	s_waitcnt vmcnt(0)
	v_add_f64 v[1:2], v[227:228], -v[1:2]
	buffer_store_dword v4, off, s[0:3], 0 offset:900
	buffer_store_dword v3, off, s[0:3], 0 offset:896
	buffer_store_dword v1, off, s[0:3], 0 offset:904
	buffer_store_dword v2, off, s[0:3], 0 offset:908
	ds_read2_b64 v[1:4], v249 offset0:114 offset1:115
	s_waitcnt lgkmcnt(0)
	v_mul_f64 v[217:218], v[3:4], v[231:232]
	v_fma_f64 v[217:218], v[1:2], v[229:230], -v[217:218]
	v_mul_f64 v[1:2], v[1:2], v[231:232]
	v_fma_f64 v[1:2], v[3:4], v[229:230], v[1:2]
	s_clause 0x3
	buffer_load_dword v3, off, s[0:3], 0 offset:912
	buffer_load_dword v4, off, s[0:3], 0 offset:916
	buffer_load_dword v219, off, s[0:3], 0 offset:920
	buffer_load_dword v220, off, s[0:3], 0 offset:924
	s_waitcnt vmcnt(2)
	v_add_f64 v[3:4], v[3:4], -v[217:218]
	s_waitcnt vmcnt(0)
	v_add_f64 v[1:2], v[219:220], -v[1:2]
	buffer_store_dword v4, off, s[0:3], 0 offset:916
	buffer_store_dword v3, off, s[0:3], 0 offset:912
	buffer_store_dword v2, off, s[0:3], 0 offset:924
	buffer_store_dword v1, off, s[0:3], 0 offset:920
	ds_read2_b64 v[1:4], v249 offset0:116 offset1:117
	s_waitcnt lgkmcnt(0)
	v_mul_f64 v[217:218], v[3:4], v[231:232]
	v_fma_f64 v[217:218], v[1:2], v[229:230], -v[217:218]
	v_mul_f64 v[1:2], v[1:2], v[231:232]
	v_fma_f64 v[1:2], v[3:4], v[229:230], v[1:2]
	s_clause 0x3
	buffer_load_dword v3, off, s[0:3], 0 offset:928
	buffer_load_dword v4, off, s[0:3], 0 offset:932
	buffer_load_dword v219, off, s[0:3], 0 offset:936
	buffer_load_dword v220, off, s[0:3], 0 offset:940
	s_waitcnt vmcnt(2)
	v_add_f64 v[3:4], v[3:4], -v[217:218]
	s_waitcnt vmcnt(0)
	v_add_f64 v[1:2], v[219:220], -v[1:2]
	;; [unrolled: 19-line block ×3, first 2 shown]
	buffer_store_dword v4, off, s[0:3], 0 offset:948
	buffer_store_dword v3, off, s[0:3], 0 offset:944
	;; [unrolled: 1-line block ×4, first 2 shown]
	ds_read2_b64 v[1:4], v249 offset0:120 offset1:121
	s_clause 0x3
	buffer_load_dword v217, off, s[0:3], 0 offset:848
	buffer_load_dword v218, off, s[0:3], 0 offset:852
	;; [unrolled: 1-line block ×4, first 2 shown]
	s_waitcnt vmcnt(0) lgkmcnt(0)
	v_mul_f64 v[221:222], v[3:4], v[219:220]
	v_fma_f64 v[221:222], v[1:2], v[217:218], -v[221:222]
	v_mul_f64 v[1:2], v[1:2], v[219:220]
	v_fma_f64 v[1:2], v[3:4], v[217:218], v[1:2]
	s_clause 0x1
	buffer_load_dword v4, off, s[0:3], 0 offset:964
	buffer_load_dword v3, off, s[0:3], 0 offset:960
	s_waitcnt vmcnt(0)
	v_add_f64 v[3:4], v[3:4], -v[221:222]
	s_clause 0x1
	buffer_load_dword v222, off, s[0:3], 0 offset:972
	buffer_load_dword v221, off, s[0:3], 0 offset:968
	s_waitcnt vmcnt(0)
	v_add_f64 v[1:2], v[221:222], -v[1:2]
	buffer_store_dword v4, off, s[0:3], 0 offset:964
	buffer_store_dword v3, off, s[0:3], 0 offset:960
	;; [unrolled: 1-line block ×4, first 2 shown]
	ds_read2_b64 v[1:4], v249 offset0:122 offset1:123
	s_waitcnt lgkmcnt(0)
	v_mul_f64 v[221:222], v[3:4], v[219:220]
	v_fma_f64 v[221:222], v[1:2], v[217:218], -v[221:222]
	v_mul_f64 v[1:2], v[1:2], v[219:220]
	v_fma_f64 v[1:2], v[3:4], v[217:218], v[1:2]
	s_clause 0x3
	buffer_load_dword v3, off, s[0:3], 0 offset:976
	buffer_load_dword v4, off, s[0:3], 0 offset:980
	;; [unrolled: 1-line block ×4, first 2 shown]
	s_waitcnt vmcnt(2)
	v_add_f64 v[3:4], v[3:4], -v[221:222]
	s_waitcnt vmcnt(0)
	v_add_f64 v[1:2], v[223:224], -v[1:2]
	buffer_store_dword v4, off, s[0:3], 0 offset:980
	buffer_store_dword v3, off, s[0:3], 0 offset:976
	;; [unrolled: 1-line block ×4, first 2 shown]
	ds_read2_b64 v[1:4], v249 offset0:124 offset1:125
	s_waitcnt lgkmcnt(0)
	v_mul_f64 v[221:222], v[3:4], v[219:220]
	v_fma_f64 v[221:222], v[1:2], v[217:218], -v[221:222]
	v_mul_f64 v[1:2], v[1:2], v[219:220]
	v_fma_f64 v[1:2], v[3:4], v[217:218], v[1:2]
	s_clause 0x3
	buffer_load_dword v3, off, s[0:3], 0 offset:992
	buffer_load_dword v4, off, s[0:3], 0 offset:996
	;; [unrolled: 1-line block ×4, first 2 shown]
	s_waitcnt vmcnt(2)
	v_add_f64 v[3:4], v[3:4], -v[221:222]
	s_waitcnt vmcnt(0)
	v_add_f64 v[1:2], v[217:218], -v[1:2]
	buffer_store_dword v4, off, s[0:3], 0 offset:996
	buffer_store_dword v3, off, s[0:3], 0 offset:992
	;; [unrolled: 1-line block ×4, first 2 shown]
.LBB125_620:
	s_or_b32 exec_lo, exec_lo, s5
	s_mov_b32 s6, exec_lo
	s_waitcnt lgkmcnt(0)
	s_waitcnt_vscnt null, 0x0
	s_barrier
	buffer_gl0_inv
	v_cmpx_eq_u32_e32 54, v0
	s_cbranch_execz .LBB125_627
; %bb.621:
	v_mov_b32_e32 v4, s23
	s_clause 0x3
	buffer_load_dword v1, v4, s[0:3], 0 offen
	buffer_load_dword v2, v4, s[0:3], 0 offen offset:4
	buffer_load_dword v3, v4, s[0:3], 0 offen offset:8
	;; [unrolled: 1-line block ×3, first 2 shown]
	s_waitcnt vmcnt(0)
	ds_write2_b64 v255, v[1:2], v[3:4] offset1:1
	v_mov_b32_e32 v4, s22
	s_clause 0x3
	buffer_load_dword v1, v4, s[0:3], 0 offen
	buffer_load_dword v2, v4, s[0:3], 0 offen offset:4
	buffer_load_dword v3, v4, s[0:3], 0 offen offset:8
	buffer_load_dword v4, v4, s[0:3], 0 offen offset:12
	s_waitcnt vmcnt(0)
	ds_write2_b64 v249, v[1:2], v[3:4] offset0:110 offset1:111
	v_mov_b32_e32 v4, s21
	s_clause 0x3
	buffer_load_dword v1, v4, s[0:3], 0 offen
	buffer_load_dword v2, v4, s[0:3], 0 offen offset:4
	buffer_load_dword v3, v4, s[0:3], 0 offen offset:8
	buffer_load_dword v4, v4, s[0:3], 0 offen offset:12
	s_waitcnt vmcnt(0)
	ds_write2_b64 v249, v[1:2], v[3:4] offset0:112 offset1:113
	;; [unrolled: 8-line block ×8, first 2 shown]
	ds_read2_b64 v[217:220], v255 offset1:1
	s_waitcnt lgkmcnt(0)
	v_cmp_neq_f64_e32 vcc_lo, 0, v[217:218]
	v_cmp_neq_f64_e64 s5, 0, v[219:220]
	s_or_b32 s5, vcc_lo, s5
	s_and_b32 exec_lo, exec_lo, s5
	s_cbranch_execz .LBB125_627
; %bb.622:
	v_cmp_ngt_f64_e64 s5, |v[217:218]|, |v[219:220]|
                                        ; implicit-def: $vgpr1_vgpr2
	s_and_saveexec_b32 s7, s5
	s_xor_b32 s5, exec_lo, s7
                                        ; implicit-def: $vgpr3_vgpr4
	s_cbranch_execz .LBB125_624
; %bb.623:
	v_div_scale_f64 v[1:2], null, v[219:220], v[219:220], v[217:218]
	v_div_scale_f64 v[223:224], vcc_lo, v[217:218], v[219:220], v[217:218]
	v_rcp_f64_e32 v[3:4], v[1:2]
	v_fma_f64 v[221:222], -v[1:2], v[3:4], 1.0
	v_fma_f64 v[3:4], v[3:4], v[221:222], v[3:4]
	v_fma_f64 v[221:222], -v[1:2], v[3:4], 1.0
	v_fma_f64 v[3:4], v[3:4], v[221:222], v[3:4]
	v_mul_f64 v[221:222], v[223:224], v[3:4]
	v_fma_f64 v[1:2], -v[1:2], v[221:222], v[223:224]
	v_div_fmas_f64 v[1:2], v[1:2], v[3:4], v[221:222]
	v_div_fixup_f64 v[1:2], v[1:2], v[219:220], v[217:218]
	v_fma_f64 v[3:4], v[217:218], v[1:2], v[219:220]
	v_div_scale_f64 v[217:218], null, v[3:4], v[3:4], 1.0
	v_rcp_f64_e32 v[219:220], v[217:218]
	v_fma_f64 v[221:222], -v[217:218], v[219:220], 1.0
	v_fma_f64 v[219:220], v[219:220], v[221:222], v[219:220]
	v_fma_f64 v[221:222], -v[217:218], v[219:220], 1.0
	v_fma_f64 v[219:220], v[219:220], v[221:222], v[219:220]
	v_div_scale_f64 v[221:222], vcc_lo, 1.0, v[3:4], 1.0
	v_mul_f64 v[223:224], v[221:222], v[219:220]
	v_fma_f64 v[217:218], -v[217:218], v[223:224], v[221:222]
	v_div_fmas_f64 v[217:218], v[217:218], v[219:220], v[223:224]
	v_div_fixup_f64 v[3:4], v[217:218], v[3:4], 1.0
                                        ; implicit-def: $vgpr217_vgpr218
	v_mul_f64 v[1:2], v[1:2], v[3:4]
	v_xor_b32_e32 v4, 0x80000000, v4
.LBB125_624:
	s_andn2_saveexec_b32 s5, s5
	s_cbranch_execz .LBB125_626
; %bb.625:
	v_div_scale_f64 v[1:2], null, v[217:218], v[217:218], v[219:220]
	v_div_scale_f64 v[223:224], vcc_lo, v[219:220], v[217:218], v[219:220]
	v_rcp_f64_e32 v[3:4], v[1:2]
	v_fma_f64 v[221:222], -v[1:2], v[3:4], 1.0
	v_fma_f64 v[3:4], v[3:4], v[221:222], v[3:4]
	v_fma_f64 v[221:222], -v[1:2], v[3:4], 1.0
	v_fma_f64 v[3:4], v[3:4], v[221:222], v[3:4]
	v_mul_f64 v[221:222], v[223:224], v[3:4]
	v_fma_f64 v[1:2], -v[1:2], v[221:222], v[223:224]
	v_div_fmas_f64 v[1:2], v[1:2], v[3:4], v[221:222]
	v_div_fixup_f64 v[3:4], v[1:2], v[217:218], v[219:220]
	v_fma_f64 v[1:2], v[219:220], v[3:4], v[217:218]
	v_div_scale_f64 v[217:218], null, v[1:2], v[1:2], 1.0
	v_rcp_f64_e32 v[219:220], v[217:218]
	v_fma_f64 v[221:222], -v[217:218], v[219:220], 1.0
	v_fma_f64 v[219:220], v[219:220], v[221:222], v[219:220]
	v_fma_f64 v[221:222], -v[217:218], v[219:220], 1.0
	v_fma_f64 v[219:220], v[219:220], v[221:222], v[219:220]
	v_div_scale_f64 v[221:222], vcc_lo, 1.0, v[1:2], 1.0
	v_mul_f64 v[223:224], v[221:222], v[219:220]
	v_fma_f64 v[217:218], -v[217:218], v[223:224], v[221:222]
	v_div_fmas_f64 v[217:218], v[217:218], v[219:220], v[223:224]
	v_div_fixup_f64 v[1:2], v[217:218], v[1:2], 1.0
	v_mul_f64 v[3:4], v[3:4], -v[1:2]
.LBB125_626:
	s_or_b32 exec_lo, exec_lo, s5
	ds_write2_b64 v255, v[1:2], v[3:4] offset1:1
.LBB125_627:
	s_or_b32 exec_lo, exec_lo, s6
	s_waitcnt lgkmcnt(0)
	s_barrier
	buffer_gl0_inv
	ds_read2_b64 v[217:220], v255 offset1:1
	s_mov_b32 s5, exec_lo
	v_cmpx_lt_u32_e32 54, v0
	s_cbranch_execz .LBB125_629
; %bb.628:
	s_clause 0xf
	buffer_load_dword v1, off, s[0:3], 0 offset:864
	buffer_load_dword v2, off, s[0:3], 0 offset:868
	;; [unrolled: 1-line block ×16, first 2 shown]
	s_waitcnt vmcnt(12) lgkmcnt(0)
	v_mul_f64 v[233:234], v[219:220], v[3:4]
	v_mul_f64 v[3:4], v[217:218], v[3:4]
	v_fma_f64 v[233:234], v[217:218], v[1:2], -v[233:234]
	v_fma_f64 v[235:236], v[219:220], v[1:2], v[3:4]
	buffer_store_dword v233, off, s[0:3], 0 offset:864
	buffer_store_dword v234, off, s[0:3], 0 offset:868
	buffer_store_dword v235, off, s[0:3], 0 offset:872
	buffer_store_dword v236, off, s[0:3], 0 offset:876
	ds_read2_b64 v[1:4], v249 offset0:110 offset1:111
	s_waitcnt lgkmcnt(0)
	v_mul_f64 v[237:238], v[3:4], v[235:236]
	v_fma_f64 v[237:238], v[1:2], v[233:234], -v[237:238]
	v_mul_f64 v[1:2], v[1:2], v[235:236]
	v_fma_f64 v[1:2], v[3:4], v[233:234], v[1:2]
	s_waitcnt vmcnt(10)
	v_add_f64 v[3:4], v[221:222], -v[237:238]
	s_waitcnt vmcnt(8)
	v_add_f64 v[1:2], v[223:224], -v[1:2]
	buffer_store_dword v3, off, s[0:3], 0 offset:880
	buffer_store_dword v4, off, s[0:3], 0 offset:884
	buffer_store_dword v1, off, s[0:3], 0 offset:888
	buffer_store_dword v2, off, s[0:3], 0 offset:892
	ds_read2_b64 v[1:4], v249 offset0:112 offset1:113
	s_waitcnt lgkmcnt(0)
	v_mul_f64 v[221:222], v[3:4], v[235:236]
	v_fma_f64 v[221:222], v[1:2], v[233:234], -v[221:222]
	v_mul_f64 v[1:2], v[1:2], v[235:236]
	v_fma_f64 v[1:2], v[3:4], v[233:234], v[1:2]
	s_waitcnt vmcnt(6)
	v_add_f64 v[3:4], v[225:226], -v[221:222]
	s_waitcnt vmcnt(4)
	v_add_f64 v[1:2], v[227:228], -v[1:2]
	;; [unrolled: 14-line block ×3, first 2 shown]
	buffer_store_dword v4, off, s[0:3], 0 offset:916
	buffer_store_dword v3, off, s[0:3], 0 offset:912
	buffer_store_dword v1, off, s[0:3], 0 offset:920
	buffer_store_dword v2, off, s[0:3], 0 offset:924
	ds_read2_b64 v[1:4], v249 offset0:116 offset1:117
	s_waitcnt lgkmcnt(0)
	v_mul_f64 v[221:222], v[3:4], v[235:236]
	v_fma_f64 v[221:222], v[1:2], v[233:234], -v[221:222]
	v_mul_f64 v[1:2], v[1:2], v[235:236]
	v_fma_f64 v[1:2], v[3:4], v[233:234], v[1:2]
	s_clause 0x3
	buffer_load_dword v3, off, s[0:3], 0 offset:928
	buffer_load_dword v4, off, s[0:3], 0 offset:932
	buffer_load_dword v223, off, s[0:3], 0 offset:936
	buffer_load_dword v224, off, s[0:3], 0 offset:940
	s_waitcnt vmcnt(2)
	v_add_f64 v[3:4], v[3:4], -v[221:222]
	s_waitcnt vmcnt(0)
	v_add_f64 v[1:2], v[223:224], -v[1:2]
	buffer_store_dword v4, off, s[0:3], 0 offset:932
	buffer_store_dword v3, off, s[0:3], 0 offset:928
	buffer_store_dword v2, off, s[0:3], 0 offset:940
	buffer_store_dword v1, off, s[0:3], 0 offset:936
	ds_read2_b64 v[1:4], v249 offset0:118 offset1:119
	s_waitcnt lgkmcnt(0)
	v_mul_f64 v[221:222], v[3:4], v[235:236]
	v_fma_f64 v[221:222], v[1:2], v[233:234], -v[221:222]
	v_mul_f64 v[1:2], v[1:2], v[235:236]
	v_fma_f64 v[1:2], v[3:4], v[233:234], v[1:2]
	s_clause 0x3
	buffer_load_dword v3, off, s[0:3], 0 offset:944
	buffer_load_dword v4, off, s[0:3], 0 offset:948
	buffer_load_dword v223, off, s[0:3], 0 offset:952
	buffer_load_dword v224, off, s[0:3], 0 offset:956
	s_waitcnt vmcnt(2)
	v_add_f64 v[3:4], v[3:4], -v[221:222]
	s_waitcnt vmcnt(0)
	v_add_f64 v[1:2], v[223:224], -v[1:2]
	;; [unrolled: 19-line block ×3, first 2 shown]
	buffer_store_dword v4, off, s[0:3], 0 offset:964
	buffer_store_dword v3, off, s[0:3], 0 offset:960
	;; [unrolled: 1-line block ×4, first 2 shown]
	ds_read2_b64 v[1:4], v249 offset0:122 offset1:123
	s_clause 0x3
	buffer_load_dword v221, off, s[0:3], 0 offset:864
	buffer_load_dword v222, off, s[0:3], 0 offset:868
	;; [unrolled: 1-line block ×4, first 2 shown]
	s_waitcnt vmcnt(0) lgkmcnt(0)
	v_mul_f64 v[225:226], v[3:4], v[223:224]
	v_fma_f64 v[225:226], v[1:2], v[221:222], -v[225:226]
	v_mul_f64 v[1:2], v[1:2], v[223:224]
	v_fma_f64 v[1:2], v[3:4], v[221:222], v[1:2]
	s_clause 0x1
	buffer_load_dword v4, off, s[0:3], 0 offset:980
	buffer_load_dword v3, off, s[0:3], 0 offset:976
	s_waitcnt vmcnt(0)
	v_add_f64 v[3:4], v[3:4], -v[225:226]
	s_clause 0x1
	buffer_load_dword v226, off, s[0:3], 0 offset:988
	buffer_load_dword v225, off, s[0:3], 0 offset:984
	s_waitcnt vmcnt(0)
	v_add_f64 v[1:2], v[225:226], -v[1:2]
	buffer_store_dword v4, off, s[0:3], 0 offset:980
	buffer_store_dword v3, off, s[0:3], 0 offset:976
	;; [unrolled: 1-line block ×4, first 2 shown]
	ds_read2_b64 v[1:4], v249 offset0:124 offset1:125
	s_waitcnt lgkmcnt(0)
	v_mul_f64 v[225:226], v[3:4], v[223:224]
	v_fma_f64 v[225:226], v[1:2], v[221:222], -v[225:226]
	v_mul_f64 v[1:2], v[1:2], v[223:224]
	v_fma_f64 v[1:2], v[3:4], v[221:222], v[1:2]
	s_clause 0x3
	buffer_load_dword v3, off, s[0:3], 0 offset:992
	buffer_load_dword v4, off, s[0:3], 0 offset:996
	;; [unrolled: 1-line block ×4, first 2 shown]
	s_waitcnt vmcnt(2)
	v_add_f64 v[3:4], v[3:4], -v[225:226]
	s_waitcnt vmcnt(0)
	v_add_f64 v[1:2], v[221:222], -v[1:2]
	buffer_store_dword v4, off, s[0:3], 0 offset:996
	buffer_store_dword v3, off, s[0:3], 0 offset:992
	;; [unrolled: 1-line block ×4, first 2 shown]
.LBB125_629:
	s_or_b32 exec_lo, exec_lo, s5
	s_mov_b32 s6, exec_lo
	s_waitcnt lgkmcnt(0)
	s_waitcnt_vscnt null, 0x0
	s_barrier
	buffer_gl0_inv
	v_cmpx_eq_u32_e32 55, v0
	s_cbranch_execz .LBB125_636
; %bb.630:
	v_mov_b32_e32 v4, s22
	s_clause 0x3
	buffer_load_dword v1, v4, s[0:3], 0 offen
	buffer_load_dword v2, v4, s[0:3], 0 offen offset:4
	buffer_load_dword v3, v4, s[0:3], 0 offen offset:8
	;; [unrolled: 1-line block ×3, first 2 shown]
	s_waitcnt vmcnt(0)
	ds_write2_b64 v255, v[1:2], v[3:4] offset1:1
	v_mov_b32_e32 v4, s21
	s_clause 0x3
	buffer_load_dword v1, v4, s[0:3], 0 offen
	buffer_load_dword v2, v4, s[0:3], 0 offen offset:4
	buffer_load_dword v3, v4, s[0:3], 0 offen offset:8
	buffer_load_dword v4, v4, s[0:3], 0 offen offset:12
	s_waitcnt vmcnt(0)
	ds_write2_b64 v249, v[1:2], v[3:4] offset0:112 offset1:113
	v_mov_b32_e32 v4, s20
	s_clause 0x3
	buffer_load_dword v1, v4, s[0:3], 0 offen
	buffer_load_dword v2, v4, s[0:3], 0 offen offset:4
	buffer_load_dword v3, v4, s[0:3], 0 offen offset:8
	buffer_load_dword v4, v4, s[0:3], 0 offen offset:12
	s_waitcnt vmcnt(0)
	ds_write2_b64 v249, v[1:2], v[3:4] offset0:114 offset1:115
	;; [unrolled: 8-line block ×7, first 2 shown]
	ds_read2_b64 v[221:224], v255 offset1:1
	s_waitcnt lgkmcnt(0)
	v_cmp_neq_f64_e32 vcc_lo, 0, v[221:222]
	v_cmp_neq_f64_e64 s5, 0, v[223:224]
	s_or_b32 s5, vcc_lo, s5
	s_and_b32 exec_lo, exec_lo, s5
	s_cbranch_execz .LBB125_636
; %bb.631:
	v_cmp_ngt_f64_e64 s5, |v[221:222]|, |v[223:224]|
                                        ; implicit-def: $vgpr1_vgpr2
	s_and_saveexec_b32 s7, s5
	s_xor_b32 s5, exec_lo, s7
                                        ; implicit-def: $vgpr3_vgpr4
	s_cbranch_execz .LBB125_633
; %bb.632:
	v_div_scale_f64 v[1:2], null, v[223:224], v[223:224], v[221:222]
	v_div_scale_f64 v[227:228], vcc_lo, v[221:222], v[223:224], v[221:222]
	v_rcp_f64_e32 v[3:4], v[1:2]
	v_fma_f64 v[225:226], -v[1:2], v[3:4], 1.0
	v_fma_f64 v[3:4], v[3:4], v[225:226], v[3:4]
	v_fma_f64 v[225:226], -v[1:2], v[3:4], 1.0
	v_fma_f64 v[3:4], v[3:4], v[225:226], v[3:4]
	v_mul_f64 v[225:226], v[227:228], v[3:4]
	v_fma_f64 v[1:2], -v[1:2], v[225:226], v[227:228]
	v_div_fmas_f64 v[1:2], v[1:2], v[3:4], v[225:226]
	v_div_fixup_f64 v[1:2], v[1:2], v[223:224], v[221:222]
	v_fma_f64 v[3:4], v[221:222], v[1:2], v[223:224]
	v_div_scale_f64 v[221:222], null, v[3:4], v[3:4], 1.0
	v_rcp_f64_e32 v[223:224], v[221:222]
	v_fma_f64 v[225:226], -v[221:222], v[223:224], 1.0
	v_fma_f64 v[223:224], v[223:224], v[225:226], v[223:224]
	v_fma_f64 v[225:226], -v[221:222], v[223:224], 1.0
	v_fma_f64 v[223:224], v[223:224], v[225:226], v[223:224]
	v_div_scale_f64 v[225:226], vcc_lo, 1.0, v[3:4], 1.0
	v_mul_f64 v[227:228], v[225:226], v[223:224]
	v_fma_f64 v[221:222], -v[221:222], v[227:228], v[225:226]
	v_div_fmas_f64 v[221:222], v[221:222], v[223:224], v[227:228]
	v_div_fixup_f64 v[3:4], v[221:222], v[3:4], 1.0
                                        ; implicit-def: $vgpr221_vgpr222
	v_mul_f64 v[1:2], v[1:2], v[3:4]
	v_xor_b32_e32 v4, 0x80000000, v4
.LBB125_633:
	s_andn2_saveexec_b32 s5, s5
	s_cbranch_execz .LBB125_635
; %bb.634:
	v_div_scale_f64 v[1:2], null, v[221:222], v[221:222], v[223:224]
	v_div_scale_f64 v[227:228], vcc_lo, v[223:224], v[221:222], v[223:224]
	v_rcp_f64_e32 v[3:4], v[1:2]
	v_fma_f64 v[225:226], -v[1:2], v[3:4], 1.0
	v_fma_f64 v[3:4], v[3:4], v[225:226], v[3:4]
	v_fma_f64 v[225:226], -v[1:2], v[3:4], 1.0
	v_fma_f64 v[3:4], v[3:4], v[225:226], v[3:4]
	v_mul_f64 v[225:226], v[227:228], v[3:4]
	v_fma_f64 v[1:2], -v[1:2], v[225:226], v[227:228]
	v_div_fmas_f64 v[1:2], v[1:2], v[3:4], v[225:226]
	v_div_fixup_f64 v[3:4], v[1:2], v[221:222], v[223:224]
	v_fma_f64 v[1:2], v[223:224], v[3:4], v[221:222]
	v_div_scale_f64 v[221:222], null, v[1:2], v[1:2], 1.0
	v_rcp_f64_e32 v[223:224], v[221:222]
	v_fma_f64 v[225:226], -v[221:222], v[223:224], 1.0
	v_fma_f64 v[223:224], v[223:224], v[225:226], v[223:224]
	v_fma_f64 v[225:226], -v[221:222], v[223:224], 1.0
	v_fma_f64 v[223:224], v[223:224], v[225:226], v[223:224]
	v_div_scale_f64 v[225:226], vcc_lo, 1.0, v[1:2], 1.0
	v_mul_f64 v[227:228], v[225:226], v[223:224]
	v_fma_f64 v[221:222], -v[221:222], v[227:228], v[225:226]
	v_div_fmas_f64 v[221:222], v[221:222], v[223:224], v[227:228]
	v_div_fixup_f64 v[1:2], v[221:222], v[1:2], 1.0
	v_mul_f64 v[3:4], v[3:4], -v[1:2]
.LBB125_635:
	s_or_b32 exec_lo, exec_lo, s5
	ds_write2_b64 v255, v[1:2], v[3:4] offset1:1
.LBB125_636:
	s_or_b32 exec_lo, exec_lo, s6
	s_waitcnt lgkmcnt(0)
	s_barrier
	buffer_gl0_inv
	ds_read2_b64 v[221:224], v255 offset1:1
	s_mov_b32 s5, exec_lo
	v_cmpx_lt_u32_e32 55, v0
	s_cbranch_execz .LBB125_638
; %bb.637:
	s_clause 0xf
	buffer_load_dword v1, off, s[0:3], 0 offset:880
	buffer_load_dword v2, off, s[0:3], 0 offset:884
	;; [unrolled: 1-line block ×16, first 2 shown]
	s_waitcnt vmcnt(12) lgkmcnt(0)
	v_mul_f64 v[237:238], v[223:224], v[3:4]
	v_mul_f64 v[3:4], v[221:222], v[3:4]
	v_fma_f64 v[237:238], v[221:222], v[1:2], -v[237:238]
	v_fma_f64 v[239:240], v[223:224], v[1:2], v[3:4]
	buffer_store_dword v237, off, s[0:3], 0 offset:880
	buffer_store_dword v238, off, s[0:3], 0 offset:884
	buffer_store_dword v239, off, s[0:3], 0 offset:888
	buffer_store_dword v240, off, s[0:3], 0 offset:892
	ds_read2_b64 v[1:4], v249 offset0:112 offset1:113
	s_waitcnt lgkmcnt(0)
	v_mul_f64 v[241:242], v[3:4], v[239:240]
	v_fma_f64 v[241:242], v[1:2], v[237:238], -v[241:242]
	v_mul_f64 v[1:2], v[1:2], v[239:240]
	v_fma_f64 v[1:2], v[3:4], v[237:238], v[1:2]
	s_waitcnt vmcnt(10)
	v_add_f64 v[3:4], v[225:226], -v[241:242]
	s_waitcnt vmcnt(8)
	v_add_f64 v[1:2], v[227:228], -v[1:2]
	buffer_store_dword v3, off, s[0:3], 0 offset:896
	buffer_store_dword v4, off, s[0:3], 0 offset:900
	buffer_store_dword v1, off, s[0:3], 0 offset:904
	buffer_store_dword v2, off, s[0:3], 0 offset:908
	ds_read2_b64 v[1:4], v249 offset0:114 offset1:115
	s_waitcnt lgkmcnt(0)
	v_mul_f64 v[225:226], v[3:4], v[239:240]
	v_fma_f64 v[225:226], v[1:2], v[237:238], -v[225:226]
	v_mul_f64 v[1:2], v[1:2], v[239:240]
	v_fma_f64 v[1:2], v[3:4], v[237:238], v[1:2]
	s_waitcnt vmcnt(6)
	v_add_f64 v[3:4], v[229:230], -v[225:226]
	s_waitcnt vmcnt(4)
	v_add_f64 v[1:2], v[231:232], -v[1:2]
	;; [unrolled: 14-line block ×3, first 2 shown]
	buffer_store_dword v4, off, s[0:3], 0 offset:932
	buffer_store_dword v3, off, s[0:3], 0 offset:928
	buffer_store_dword v1, off, s[0:3], 0 offset:936
	buffer_store_dword v2, off, s[0:3], 0 offset:940
	ds_read2_b64 v[1:4], v249 offset0:118 offset1:119
	s_waitcnt lgkmcnt(0)
	v_mul_f64 v[225:226], v[3:4], v[239:240]
	v_fma_f64 v[225:226], v[1:2], v[237:238], -v[225:226]
	v_mul_f64 v[1:2], v[1:2], v[239:240]
	v_fma_f64 v[1:2], v[3:4], v[237:238], v[1:2]
	s_clause 0x3
	buffer_load_dword v3, off, s[0:3], 0 offset:944
	buffer_load_dword v4, off, s[0:3], 0 offset:948
	buffer_load_dword v227, off, s[0:3], 0 offset:952
	buffer_load_dword v228, off, s[0:3], 0 offset:956
	s_waitcnt vmcnt(2)
	v_add_f64 v[3:4], v[3:4], -v[225:226]
	s_waitcnt vmcnt(0)
	v_add_f64 v[1:2], v[227:228], -v[1:2]
	buffer_store_dword v4, off, s[0:3], 0 offset:948
	buffer_store_dword v3, off, s[0:3], 0 offset:944
	buffer_store_dword v2, off, s[0:3], 0 offset:956
	buffer_store_dword v1, off, s[0:3], 0 offset:952
	ds_read2_b64 v[1:4], v249 offset0:120 offset1:121
	s_waitcnt lgkmcnt(0)
	v_mul_f64 v[225:226], v[3:4], v[239:240]
	v_fma_f64 v[225:226], v[1:2], v[237:238], -v[225:226]
	v_mul_f64 v[1:2], v[1:2], v[239:240]
	v_fma_f64 v[1:2], v[3:4], v[237:238], v[1:2]
	s_clause 0x3
	buffer_load_dword v3, off, s[0:3], 0 offset:960
	buffer_load_dword v4, off, s[0:3], 0 offset:964
	buffer_load_dword v227, off, s[0:3], 0 offset:968
	buffer_load_dword v228, off, s[0:3], 0 offset:972
	s_waitcnt vmcnt(2)
	v_add_f64 v[3:4], v[3:4], -v[225:226]
	s_waitcnt vmcnt(0)
	v_add_f64 v[1:2], v[227:228], -v[1:2]
	;; [unrolled: 19-line block ×3, first 2 shown]
	buffer_store_dword v4, off, s[0:3], 0 offset:980
	buffer_store_dword v3, off, s[0:3], 0 offset:976
	;; [unrolled: 1-line block ×4, first 2 shown]
	ds_read2_b64 v[1:4], v249 offset0:124 offset1:125
	s_clause 0x3
	buffer_load_dword v225, off, s[0:3], 0 offset:880
	buffer_load_dword v226, off, s[0:3], 0 offset:884
	;; [unrolled: 1-line block ×4, first 2 shown]
	s_waitcnt vmcnt(0) lgkmcnt(0)
	v_mul_f64 v[229:230], v[3:4], v[227:228]
	v_fma_f64 v[229:230], v[1:2], v[225:226], -v[229:230]
	v_mul_f64 v[1:2], v[1:2], v[227:228]
	v_fma_f64 v[1:2], v[3:4], v[225:226], v[1:2]
	s_clause 0x3
	buffer_load_dword v4, off, s[0:3], 0 offset:996
	buffer_load_dword v3, off, s[0:3], 0 offset:992
	;; [unrolled: 1-line block ×4, first 2 shown]
	s_waitcnt vmcnt(2)
	v_add_f64 v[3:4], v[3:4], -v[229:230]
	s_waitcnt vmcnt(0)
	v_add_f64 v[1:2], v[225:226], -v[1:2]
	buffer_store_dword v4, off, s[0:3], 0 offset:996
	buffer_store_dword v3, off, s[0:3], 0 offset:992
	;; [unrolled: 1-line block ×4, first 2 shown]
.LBB125_638:
	s_or_b32 exec_lo, exec_lo, s5
	s_mov_b32 s6, exec_lo
	s_waitcnt lgkmcnt(0)
	s_waitcnt_vscnt null, 0x0
	s_barrier
	buffer_gl0_inv
	v_cmpx_eq_u32_e32 56, v0
	s_cbranch_execz .LBB125_645
; %bb.639:
	v_mov_b32_e32 v4, s21
	s_clause 0x3
	buffer_load_dword v1, v4, s[0:3], 0 offen
	buffer_load_dword v2, v4, s[0:3], 0 offen offset:4
	buffer_load_dword v3, v4, s[0:3], 0 offen offset:8
	;; [unrolled: 1-line block ×3, first 2 shown]
	s_waitcnt vmcnt(0)
	ds_write2_b64 v255, v[1:2], v[3:4] offset1:1
	v_mov_b32_e32 v4, s20
	s_clause 0x3
	buffer_load_dword v1, v4, s[0:3], 0 offen
	buffer_load_dword v2, v4, s[0:3], 0 offen offset:4
	buffer_load_dword v3, v4, s[0:3], 0 offen offset:8
	buffer_load_dword v4, v4, s[0:3], 0 offen offset:12
	s_waitcnt vmcnt(0)
	ds_write2_b64 v249, v[1:2], v[3:4] offset0:114 offset1:115
	v_mov_b32_e32 v4, s19
	s_clause 0x3
	buffer_load_dword v1, v4, s[0:3], 0 offen
	buffer_load_dword v2, v4, s[0:3], 0 offen offset:4
	buffer_load_dword v3, v4, s[0:3], 0 offen offset:8
	buffer_load_dword v4, v4, s[0:3], 0 offen offset:12
	s_waitcnt vmcnt(0)
	ds_write2_b64 v249, v[1:2], v[3:4] offset0:116 offset1:117
	;; [unrolled: 8-line block ×6, first 2 shown]
	ds_read2_b64 v[225:228], v255 offset1:1
	s_waitcnt lgkmcnt(0)
	v_cmp_neq_f64_e32 vcc_lo, 0, v[225:226]
	v_cmp_neq_f64_e64 s5, 0, v[227:228]
	s_or_b32 s5, vcc_lo, s5
	s_and_b32 exec_lo, exec_lo, s5
	s_cbranch_execz .LBB125_645
; %bb.640:
	v_cmp_ngt_f64_e64 s5, |v[225:226]|, |v[227:228]|
                                        ; implicit-def: $vgpr1_vgpr2
	s_and_saveexec_b32 s7, s5
	s_xor_b32 s5, exec_lo, s7
                                        ; implicit-def: $vgpr3_vgpr4
	s_cbranch_execz .LBB125_642
; %bb.641:
	v_div_scale_f64 v[1:2], null, v[227:228], v[227:228], v[225:226]
	v_div_scale_f64 v[231:232], vcc_lo, v[225:226], v[227:228], v[225:226]
	v_rcp_f64_e32 v[3:4], v[1:2]
	v_fma_f64 v[229:230], -v[1:2], v[3:4], 1.0
	v_fma_f64 v[3:4], v[3:4], v[229:230], v[3:4]
	v_fma_f64 v[229:230], -v[1:2], v[3:4], 1.0
	v_fma_f64 v[3:4], v[3:4], v[229:230], v[3:4]
	v_mul_f64 v[229:230], v[231:232], v[3:4]
	v_fma_f64 v[1:2], -v[1:2], v[229:230], v[231:232]
	v_div_fmas_f64 v[1:2], v[1:2], v[3:4], v[229:230]
	v_div_fixup_f64 v[1:2], v[1:2], v[227:228], v[225:226]
	v_fma_f64 v[3:4], v[225:226], v[1:2], v[227:228]
	v_div_scale_f64 v[225:226], null, v[3:4], v[3:4], 1.0
	v_rcp_f64_e32 v[227:228], v[225:226]
	v_fma_f64 v[229:230], -v[225:226], v[227:228], 1.0
	v_fma_f64 v[227:228], v[227:228], v[229:230], v[227:228]
	v_fma_f64 v[229:230], -v[225:226], v[227:228], 1.0
	v_fma_f64 v[227:228], v[227:228], v[229:230], v[227:228]
	v_div_scale_f64 v[229:230], vcc_lo, 1.0, v[3:4], 1.0
	v_mul_f64 v[231:232], v[229:230], v[227:228]
	v_fma_f64 v[225:226], -v[225:226], v[231:232], v[229:230]
	v_div_fmas_f64 v[225:226], v[225:226], v[227:228], v[231:232]
	v_div_fixup_f64 v[3:4], v[225:226], v[3:4], 1.0
                                        ; implicit-def: $vgpr225_vgpr226
	v_mul_f64 v[1:2], v[1:2], v[3:4]
	v_xor_b32_e32 v4, 0x80000000, v4
.LBB125_642:
	s_andn2_saveexec_b32 s5, s5
	s_cbranch_execz .LBB125_644
; %bb.643:
	v_div_scale_f64 v[1:2], null, v[225:226], v[225:226], v[227:228]
	v_div_scale_f64 v[231:232], vcc_lo, v[227:228], v[225:226], v[227:228]
	v_rcp_f64_e32 v[3:4], v[1:2]
	v_fma_f64 v[229:230], -v[1:2], v[3:4], 1.0
	v_fma_f64 v[3:4], v[3:4], v[229:230], v[3:4]
	v_fma_f64 v[229:230], -v[1:2], v[3:4], 1.0
	v_fma_f64 v[3:4], v[3:4], v[229:230], v[3:4]
	v_mul_f64 v[229:230], v[231:232], v[3:4]
	v_fma_f64 v[1:2], -v[1:2], v[229:230], v[231:232]
	v_div_fmas_f64 v[1:2], v[1:2], v[3:4], v[229:230]
	v_div_fixup_f64 v[3:4], v[1:2], v[225:226], v[227:228]
	v_fma_f64 v[1:2], v[227:228], v[3:4], v[225:226]
	v_div_scale_f64 v[225:226], null, v[1:2], v[1:2], 1.0
	v_rcp_f64_e32 v[227:228], v[225:226]
	v_fma_f64 v[229:230], -v[225:226], v[227:228], 1.0
	v_fma_f64 v[227:228], v[227:228], v[229:230], v[227:228]
	v_fma_f64 v[229:230], -v[225:226], v[227:228], 1.0
	v_fma_f64 v[227:228], v[227:228], v[229:230], v[227:228]
	v_div_scale_f64 v[229:230], vcc_lo, 1.0, v[1:2], 1.0
	v_mul_f64 v[231:232], v[229:230], v[227:228]
	v_fma_f64 v[225:226], -v[225:226], v[231:232], v[229:230]
	v_div_fmas_f64 v[225:226], v[225:226], v[227:228], v[231:232]
	v_div_fixup_f64 v[1:2], v[225:226], v[1:2], 1.0
	v_mul_f64 v[3:4], v[3:4], -v[1:2]
.LBB125_644:
	s_or_b32 exec_lo, exec_lo, s5
	ds_write2_b64 v255, v[1:2], v[3:4] offset1:1
.LBB125_645:
	s_or_b32 exec_lo, exec_lo, s6
	s_waitcnt lgkmcnt(0)
	s_barrier
	buffer_gl0_inv
	ds_read2_b64 v[225:228], v255 offset1:1
	s_mov_b32 s5, exec_lo
	v_cmpx_lt_u32_e32 56, v0
	s_cbranch_execz .LBB125_647
; %bb.646:
	s_clause 0xf
	buffer_load_dword v1, off, s[0:3], 0 offset:896
	buffer_load_dword v2, off, s[0:3], 0 offset:900
	;; [unrolled: 1-line block ×16, first 2 shown]
	s_waitcnt vmcnt(12) lgkmcnt(0)
	v_mul_f64 v[241:242], v[227:228], v[3:4]
	v_mul_f64 v[3:4], v[225:226], v[3:4]
	v_fma_f64 v[241:242], v[225:226], v[1:2], -v[241:242]
	v_fma_f64 v[243:244], v[227:228], v[1:2], v[3:4]
	buffer_store_dword v241, off, s[0:3], 0 offset:896
	buffer_store_dword v242, off, s[0:3], 0 offset:900
	buffer_store_dword v243, off, s[0:3], 0 offset:904
	buffer_store_dword v244, off, s[0:3], 0 offset:908
	ds_read2_b64 v[1:4], v249 offset0:114 offset1:115
	s_waitcnt lgkmcnt(0)
	v_mul_f64 v[245:246], v[3:4], v[243:244]
	v_fma_f64 v[245:246], v[1:2], v[241:242], -v[245:246]
	v_mul_f64 v[1:2], v[1:2], v[243:244]
	v_fma_f64 v[1:2], v[3:4], v[241:242], v[1:2]
	s_waitcnt vmcnt(10)
	v_add_f64 v[3:4], v[229:230], -v[245:246]
	s_waitcnt vmcnt(8)
	v_add_f64 v[1:2], v[231:232], -v[1:2]
	buffer_store_dword v3, off, s[0:3], 0 offset:912
	buffer_store_dword v4, off, s[0:3], 0 offset:916
	buffer_store_dword v1, off, s[0:3], 0 offset:920
	buffer_store_dword v2, off, s[0:3], 0 offset:924
	ds_read2_b64 v[1:4], v249 offset0:116 offset1:117
	s_waitcnt lgkmcnt(0)
	v_mul_f64 v[229:230], v[3:4], v[243:244]
	v_fma_f64 v[229:230], v[1:2], v[241:242], -v[229:230]
	v_mul_f64 v[1:2], v[1:2], v[243:244]
	v_fma_f64 v[1:2], v[3:4], v[241:242], v[1:2]
	s_waitcnt vmcnt(6)
	v_add_f64 v[3:4], v[233:234], -v[229:230]
	s_waitcnt vmcnt(4)
	v_add_f64 v[1:2], v[235:236], -v[1:2]
	;; [unrolled: 14-line block ×3, first 2 shown]
	buffer_store_dword v4, off, s[0:3], 0 offset:948
	buffer_store_dword v3, off, s[0:3], 0 offset:944
	buffer_store_dword v1, off, s[0:3], 0 offset:952
	buffer_store_dword v2, off, s[0:3], 0 offset:956
	ds_read2_b64 v[1:4], v249 offset0:120 offset1:121
	s_waitcnt lgkmcnt(0)
	v_mul_f64 v[229:230], v[3:4], v[243:244]
	v_fma_f64 v[229:230], v[1:2], v[241:242], -v[229:230]
	v_mul_f64 v[1:2], v[1:2], v[243:244]
	v_fma_f64 v[1:2], v[3:4], v[241:242], v[1:2]
	s_clause 0x3
	buffer_load_dword v3, off, s[0:3], 0 offset:960
	buffer_load_dword v4, off, s[0:3], 0 offset:964
	buffer_load_dword v231, off, s[0:3], 0 offset:968
	buffer_load_dword v232, off, s[0:3], 0 offset:972
	s_waitcnt vmcnt(2)
	v_add_f64 v[3:4], v[3:4], -v[229:230]
	s_waitcnt vmcnt(0)
	v_add_f64 v[1:2], v[231:232], -v[1:2]
	buffer_store_dword v4, off, s[0:3], 0 offset:964
	buffer_store_dword v3, off, s[0:3], 0 offset:960
	buffer_store_dword v2, off, s[0:3], 0 offset:972
	buffer_store_dword v1, off, s[0:3], 0 offset:968
	ds_read2_b64 v[1:4], v249 offset0:122 offset1:123
	s_waitcnt lgkmcnt(0)
	v_mul_f64 v[229:230], v[3:4], v[243:244]
	v_fma_f64 v[229:230], v[1:2], v[241:242], -v[229:230]
	v_mul_f64 v[1:2], v[1:2], v[243:244]
	v_fma_f64 v[1:2], v[3:4], v[241:242], v[1:2]
	s_clause 0x3
	buffer_load_dword v3, off, s[0:3], 0 offset:976
	buffer_load_dword v4, off, s[0:3], 0 offset:980
	buffer_load_dword v231, off, s[0:3], 0 offset:984
	buffer_load_dword v232, off, s[0:3], 0 offset:988
	s_waitcnt vmcnt(2)
	v_add_f64 v[3:4], v[3:4], -v[229:230]
	s_waitcnt vmcnt(0)
	v_add_f64 v[1:2], v[231:232], -v[1:2]
	;; [unrolled: 19-line block ×3, first 2 shown]
	buffer_store_dword v4, off, s[0:3], 0 offset:996
	buffer_store_dword v3, off, s[0:3], 0 offset:992
	;; [unrolled: 1-line block ×4, first 2 shown]
.LBB125_647:
	s_or_b32 exec_lo, exec_lo, s5
	s_mov_b32 s6, exec_lo
	s_waitcnt lgkmcnt(0)
	s_waitcnt_vscnt null, 0x0
	s_barrier
	buffer_gl0_inv
	v_cmpx_eq_u32_e32 57, v0
	s_cbranch_execz .LBB125_654
; %bb.648:
	v_mov_b32_e32 v4, s20
	s_clause 0x3
	buffer_load_dword v1, v4, s[0:3], 0 offen
	buffer_load_dword v2, v4, s[0:3], 0 offen offset:4
	buffer_load_dword v3, v4, s[0:3], 0 offen offset:8
	;; [unrolled: 1-line block ×3, first 2 shown]
	s_waitcnt vmcnt(0)
	ds_write2_b64 v255, v[1:2], v[3:4] offset1:1
	v_mov_b32_e32 v4, s19
	s_clause 0x3
	buffer_load_dword v1, v4, s[0:3], 0 offen
	buffer_load_dword v2, v4, s[0:3], 0 offen offset:4
	buffer_load_dword v3, v4, s[0:3], 0 offen offset:8
	buffer_load_dword v4, v4, s[0:3], 0 offen offset:12
	s_waitcnt vmcnt(0)
	ds_write2_b64 v249, v[1:2], v[3:4] offset0:116 offset1:117
	v_mov_b32_e32 v4, s18
	s_clause 0x3
	buffer_load_dword v1, v4, s[0:3], 0 offen
	buffer_load_dword v2, v4, s[0:3], 0 offen offset:4
	buffer_load_dword v3, v4, s[0:3], 0 offen offset:8
	buffer_load_dword v4, v4, s[0:3], 0 offen offset:12
	s_waitcnt vmcnt(0)
	ds_write2_b64 v249, v[1:2], v[3:4] offset0:118 offset1:119
	;; [unrolled: 8-line block ×5, first 2 shown]
	ds_read2_b64 v[229:232], v255 offset1:1
	s_waitcnt lgkmcnt(0)
	v_cmp_neq_f64_e32 vcc_lo, 0, v[229:230]
	v_cmp_neq_f64_e64 s5, 0, v[231:232]
	s_or_b32 s5, vcc_lo, s5
	s_and_b32 exec_lo, exec_lo, s5
	s_cbranch_execz .LBB125_654
; %bb.649:
	v_cmp_ngt_f64_e64 s5, |v[229:230]|, |v[231:232]|
                                        ; implicit-def: $vgpr1_vgpr2
	s_and_saveexec_b32 s7, s5
	s_xor_b32 s5, exec_lo, s7
                                        ; implicit-def: $vgpr3_vgpr4
	s_cbranch_execz .LBB125_651
; %bb.650:
	v_div_scale_f64 v[1:2], null, v[231:232], v[231:232], v[229:230]
	v_div_scale_f64 v[235:236], vcc_lo, v[229:230], v[231:232], v[229:230]
	v_rcp_f64_e32 v[3:4], v[1:2]
	v_fma_f64 v[233:234], -v[1:2], v[3:4], 1.0
	v_fma_f64 v[3:4], v[3:4], v[233:234], v[3:4]
	v_fma_f64 v[233:234], -v[1:2], v[3:4], 1.0
	v_fma_f64 v[3:4], v[3:4], v[233:234], v[3:4]
	v_mul_f64 v[233:234], v[235:236], v[3:4]
	v_fma_f64 v[1:2], -v[1:2], v[233:234], v[235:236]
	v_div_fmas_f64 v[1:2], v[1:2], v[3:4], v[233:234]
	v_div_fixup_f64 v[1:2], v[1:2], v[231:232], v[229:230]
	v_fma_f64 v[3:4], v[229:230], v[1:2], v[231:232]
	v_div_scale_f64 v[229:230], null, v[3:4], v[3:4], 1.0
	v_rcp_f64_e32 v[231:232], v[229:230]
	v_fma_f64 v[233:234], -v[229:230], v[231:232], 1.0
	v_fma_f64 v[231:232], v[231:232], v[233:234], v[231:232]
	v_fma_f64 v[233:234], -v[229:230], v[231:232], 1.0
	v_fma_f64 v[231:232], v[231:232], v[233:234], v[231:232]
	v_div_scale_f64 v[233:234], vcc_lo, 1.0, v[3:4], 1.0
	v_mul_f64 v[235:236], v[233:234], v[231:232]
	v_fma_f64 v[229:230], -v[229:230], v[235:236], v[233:234]
	v_div_fmas_f64 v[229:230], v[229:230], v[231:232], v[235:236]
	v_div_fixup_f64 v[3:4], v[229:230], v[3:4], 1.0
                                        ; implicit-def: $vgpr229_vgpr230
	v_mul_f64 v[1:2], v[1:2], v[3:4]
	v_xor_b32_e32 v4, 0x80000000, v4
.LBB125_651:
	s_andn2_saveexec_b32 s5, s5
	s_cbranch_execz .LBB125_653
; %bb.652:
	v_div_scale_f64 v[1:2], null, v[229:230], v[229:230], v[231:232]
	v_div_scale_f64 v[235:236], vcc_lo, v[231:232], v[229:230], v[231:232]
	v_rcp_f64_e32 v[3:4], v[1:2]
	v_fma_f64 v[233:234], -v[1:2], v[3:4], 1.0
	v_fma_f64 v[3:4], v[3:4], v[233:234], v[3:4]
	v_fma_f64 v[233:234], -v[1:2], v[3:4], 1.0
	v_fma_f64 v[3:4], v[3:4], v[233:234], v[3:4]
	v_mul_f64 v[233:234], v[235:236], v[3:4]
	v_fma_f64 v[1:2], -v[1:2], v[233:234], v[235:236]
	v_div_fmas_f64 v[1:2], v[1:2], v[3:4], v[233:234]
	v_div_fixup_f64 v[3:4], v[1:2], v[229:230], v[231:232]
	v_fma_f64 v[1:2], v[231:232], v[3:4], v[229:230]
	v_div_scale_f64 v[229:230], null, v[1:2], v[1:2], 1.0
	v_rcp_f64_e32 v[231:232], v[229:230]
	v_fma_f64 v[233:234], -v[229:230], v[231:232], 1.0
	v_fma_f64 v[231:232], v[231:232], v[233:234], v[231:232]
	v_fma_f64 v[233:234], -v[229:230], v[231:232], 1.0
	v_fma_f64 v[231:232], v[231:232], v[233:234], v[231:232]
	v_div_scale_f64 v[233:234], vcc_lo, 1.0, v[1:2], 1.0
	v_mul_f64 v[235:236], v[233:234], v[231:232]
	v_fma_f64 v[229:230], -v[229:230], v[235:236], v[233:234]
	v_div_fmas_f64 v[229:230], v[229:230], v[231:232], v[235:236]
	v_div_fixup_f64 v[1:2], v[229:230], v[1:2], 1.0
	v_mul_f64 v[3:4], v[3:4], -v[1:2]
.LBB125_653:
	s_or_b32 exec_lo, exec_lo, s5
	ds_write2_b64 v255, v[1:2], v[3:4] offset1:1
.LBB125_654:
	s_or_b32 exec_lo, exec_lo, s6
	s_waitcnt lgkmcnt(0)
	s_barrier
	buffer_gl0_inv
	ds_read2_b64 v[229:232], v255 offset1:1
	s_mov_b32 s5, exec_lo
	v_cmpx_lt_u32_e32 57, v0
	s_cbranch_execz .LBB125_656
; %bb.655:
	s_clause 0xf
	buffer_load_dword v1, off, s[0:3], 0 offset:912
	buffer_load_dword v2, off, s[0:3], 0 offset:916
	;; [unrolled: 1-line block ×16, first 2 shown]
	s_waitcnt vmcnt(12) lgkmcnt(0)
	v_mul_f64 v[245:246], v[231:232], v[3:4]
	v_mul_f64 v[3:4], v[229:230], v[3:4]
	v_fma_f64 v[245:246], v[229:230], v[1:2], -v[245:246]
	v_fma_f64 v[247:248], v[231:232], v[1:2], v[3:4]
	buffer_store_dword v245, off, s[0:3], 0 offset:912
	buffer_store_dword v246, off, s[0:3], 0 offset:916
	buffer_store_dword v247, off, s[0:3], 0 offset:920
	buffer_store_dword v248, off, s[0:3], 0 offset:924
	ds_read2_b64 v[1:4], v249 offset0:116 offset1:117
	s_waitcnt lgkmcnt(0)
	v_mul_f64 v[250:251], v[3:4], v[247:248]
	v_fma_f64 v[250:251], v[1:2], v[245:246], -v[250:251]
	v_mul_f64 v[1:2], v[1:2], v[247:248]
	v_fma_f64 v[1:2], v[3:4], v[245:246], v[1:2]
	s_waitcnt vmcnt(10)
	v_add_f64 v[3:4], v[233:234], -v[250:251]
	s_waitcnt vmcnt(8)
	v_add_f64 v[1:2], v[235:236], -v[1:2]
	buffer_store_dword v3, off, s[0:3], 0 offset:928
	buffer_store_dword v4, off, s[0:3], 0 offset:932
	buffer_store_dword v1, off, s[0:3], 0 offset:936
	buffer_store_dword v2, off, s[0:3], 0 offset:940
	ds_read2_b64 v[1:4], v249 offset0:118 offset1:119
	s_waitcnt lgkmcnt(0)
	v_mul_f64 v[233:234], v[3:4], v[247:248]
	v_fma_f64 v[233:234], v[1:2], v[245:246], -v[233:234]
	v_mul_f64 v[1:2], v[1:2], v[247:248]
	v_fma_f64 v[1:2], v[3:4], v[245:246], v[1:2]
	s_waitcnt vmcnt(6)
	v_add_f64 v[3:4], v[237:238], -v[233:234]
	s_waitcnt vmcnt(4)
	v_add_f64 v[1:2], v[239:240], -v[1:2]
	;; [unrolled: 14-line block ×3, first 2 shown]
	buffer_store_dword v4, off, s[0:3], 0 offset:964
	buffer_store_dword v3, off, s[0:3], 0 offset:960
	;; [unrolled: 1-line block ×4, first 2 shown]
	ds_read2_b64 v[1:4], v249 offset0:122 offset1:123
	s_waitcnt lgkmcnt(0)
	v_mul_f64 v[233:234], v[3:4], v[247:248]
	v_fma_f64 v[233:234], v[1:2], v[245:246], -v[233:234]
	v_mul_f64 v[1:2], v[1:2], v[247:248]
	v_fma_f64 v[1:2], v[3:4], v[245:246], v[1:2]
	s_clause 0x3
	buffer_load_dword v3, off, s[0:3], 0 offset:976
	buffer_load_dword v4, off, s[0:3], 0 offset:980
	;; [unrolled: 1-line block ×4, first 2 shown]
	s_waitcnt vmcnt(2)
	v_add_f64 v[3:4], v[3:4], -v[233:234]
	s_waitcnt vmcnt(0)
	v_add_f64 v[1:2], v[235:236], -v[1:2]
	buffer_store_dword v4, off, s[0:3], 0 offset:980
	buffer_store_dword v3, off, s[0:3], 0 offset:976
	;; [unrolled: 1-line block ×4, first 2 shown]
	ds_read2_b64 v[1:4], v249 offset0:124 offset1:125
	s_waitcnt lgkmcnt(0)
	v_mul_f64 v[233:234], v[3:4], v[247:248]
	v_fma_f64 v[233:234], v[1:2], v[245:246], -v[233:234]
	v_mul_f64 v[1:2], v[1:2], v[247:248]
	v_fma_f64 v[1:2], v[3:4], v[245:246], v[1:2]
	s_clause 0x3
	buffer_load_dword v3, off, s[0:3], 0 offset:992
	buffer_load_dword v4, off, s[0:3], 0 offset:996
	;; [unrolled: 1-line block ×4, first 2 shown]
	s_waitcnt vmcnt(2)
	v_add_f64 v[3:4], v[3:4], -v[233:234]
	s_waitcnt vmcnt(0)
	v_add_f64 v[1:2], v[235:236], -v[1:2]
	buffer_store_dword v4, off, s[0:3], 0 offset:996
	buffer_store_dword v3, off, s[0:3], 0 offset:992
	;; [unrolled: 1-line block ×4, first 2 shown]
.LBB125_656:
	s_or_b32 exec_lo, exec_lo, s5
	s_mov_b32 s6, exec_lo
	s_waitcnt lgkmcnt(0)
	s_waitcnt_vscnt null, 0x0
	s_barrier
	buffer_gl0_inv
	v_cmpx_eq_u32_e32 58, v0
	s_cbranch_execz .LBB125_663
; %bb.657:
	v_mov_b32_e32 v4, s19
	s_clause 0x3
	buffer_load_dword v1, v4, s[0:3], 0 offen
	buffer_load_dword v2, v4, s[0:3], 0 offen offset:4
	buffer_load_dword v3, v4, s[0:3], 0 offen offset:8
	;; [unrolled: 1-line block ×3, first 2 shown]
	s_waitcnt vmcnt(0)
	ds_write2_b64 v255, v[1:2], v[3:4] offset1:1
	v_mov_b32_e32 v4, s18
	s_clause 0x3
	buffer_load_dword v1, v4, s[0:3], 0 offen
	buffer_load_dword v2, v4, s[0:3], 0 offen offset:4
	buffer_load_dword v3, v4, s[0:3], 0 offen offset:8
	buffer_load_dword v4, v4, s[0:3], 0 offen offset:12
	s_waitcnt vmcnt(0)
	ds_write2_b64 v249, v[1:2], v[3:4] offset0:118 offset1:119
	v_mov_b32_e32 v4, s16
	s_clause 0x3
	buffer_load_dword v1, v4, s[0:3], 0 offen
	buffer_load_dword v2, v4, s[0:3], 0 offen offset:4
	buffer_load_dword v3, v4, s[0:3], 0 offen offset:8
	buffer_load_dword v4, v4, s[0:3], 0 offen offset:12
	s_waitcnt vmcnt(0)
	ds_write2_b64 v249, v[1:2], v[3:4] offset0:120 offset1:121
	;; [unrolled: 8-line block ×4, first 2 shown]
	ds_read2_b64 v[233:236], v255 offset1:1
	s_waitcnt lgkmcnt(0)
	v_cmp_neq_f64_e32 vcc_lo, 0, v[233:234]
	v_cmp_neq_f64_e64 s5, 0, v[235:236]
	s_or_b32 s5, vcc_lo, s5
	s_and_b32 exec_lo, exec_lo, s5
	s_cbranch_execz .LBB125_663
; %bb.658:
	v_cmp_ngt_f64_e64 s5, |v[233:234]|, |v[235:236]|
                                        ; implicit-def: $vgpr1_vgpr2
	s_and_saveexec_b32 s7, s5
	s_xor_b32 s5, exec_lo, s7
                                        ; implicit-def: $vgpr3_vgpr4
	s_cbranch_execz .LBB125_660
; %bb.659:
	v_div_scale_f64 v[1:2], null, v[235:236], v[235:236], v[233:234]
	v_div_scale_f64 v[239:240], vcc_lo, v[233:234], v[235:236], v[233:234]
	v_rcp_f64_e32 v[3:4], v[1:2]
	v_fma_f64 v[237:238], -v[1:2], v[3:4], 1.0
	v_fma_f64 v[3:4], v[3:4], v[237:238], v[3:4]
	v_fma_f64 v[237:238], -v[1:2], v[3:4], 1.0
	v_fma_f64 v[3:4], v[3:4], v[237:238], v[3:4]
	v_mul_f64 v[237:238], v[239:240], v[3:4]
	v_fma_f64 v[1:2], -v[1:2], v[237:238], v[239:240]
	v_div_fmas_f64 v[1:2], v[1:2], v[3:4], v[237:238]
	v_div_fixup_f64 v[1:2], v[1:2], v[235:236], v[233:234]
	v_fma_f64 v[3:4], v[233:234], v[1:2], v[235:236]
	v_div_scale_f64 v[233:234], null, v[3:4], v[3:4], 1.0
	v_rcp_f64_e32 v[235:236], v[233:234]
	v_fma_f64 v[237:238], -v[233:234], v[235:236], 1.0
	v_fma_f64 v[235:236], v[235:236], v[237:238], v[235:236]
	v_fma_f64 v[237:238], -v[233:234], v[235:236], 1.0
	v_fma_f64 v[235:236], v[235:236], v[237:238], v[235:236]
	v_div_scale_f64 v[237:238], vcc_lo, 1.0, v[3:4], 1.0
	v_mul_f64 v[239:240], v[237:238], v[235:236]
	v_fma_f64 v[233:234], -v[233:234], v[239:240], v[237:238]
	v_div_fmas_f64 v[233:234], v[233:234], v[235:236], v[239:240]
	v_div_fixup_f64 v[3:4], v[233:234], v[3:4], 1.0
                                        ; implicit-def: $vgpr233_vgpr234
	v_mul_f64 v[1:2], v[1:2], v[3:4]
	v_xor_b32_e32 v4, 0x80000000, v4
.LBB125_660:
	s_andn2_saveexec_b32 s5, s5
	s_cbranch_execz .LBB125_662
; %bb.661:
	v_div_scale_f64 v[1:2], null, v[233:234], v[233:234], v[235:236]
	v_div_scale_f64 v[239:240], vcc_lo, v[235:236], v[233:234], v[235:236]
	v_rcp_f64_e32 v[3:4], v[1:2]
	v_fma_f64 v[237:238], -v[1:2], v[3:4], 1.0
	v_fma_f64 v[3:4], v[3:4], v[237:238], v[3:4]
	v_fma_f64 v[237:238], -v[1:2], v[3:4], 1.0
	v_fma_f64 v[3:4], v[3:4], v[237:238], v[3:4]
	v_mul_f64 v[237:238], v[239:240], v[3:4]
	v_fma_f64 v[1:2], -v[1:2], v[237:238], v[239:240]
	v_div_fmas_f64 v[1:2], v[1:2], v[3:4], v[237:238]
	v_div_fixup_f64 v[3:4], v[1:2], v[233:234], v[235:236]
	v_fma_f64 v[1:2], v[235:236], v[3:4], v[233:234]
	v_div_scale_f64 v[233:234], null, v[1:2], v[1:2], 1.0
	v_rcp_f64_e32 v[235:236], v[233:234]
	v_fma_f64 v[237:238], -v[233:234], v[235:236], 1.0
	v_fma_f64 v[235:236], v[235:236], v[237:238], v[235:236]
	v_fma_f64 v[237:238], -v[233:234], v[235:236], 1.0
	v_fma_f64 v[235:236], v[235:236], v[237:238], v[235:236]
	v_div_scale_f64 v[237:238], vcc_lo, 1.0, v[1:2], 1.0
	v_mul_f64 v[239:240], v[237:238], v[235:236]
	v_fma_f64 v[233:234], -v[233:234], v[239:240], v[237:238]
	v_div_fmas_f64 v[233:234], v[233:234], v[235:236], v[239:240]
	v_div_fixup_f64 v[1:2], v[233:234], v[1:2], 1.0
	v_mul_f64 v[3:4], v[3:4], -v[1:2]
.LBB125_662:
	s_or_b32 exec_lo, exec_lo, s5
	ds_write2_b64 v255, v[1:2], v[3:4] offset1:1
.LBB125_663:
	s_or_b32 exec_lo, exec_lo, s6
	s_waitcnt lgkmcnt(0)
	s_barrier
	buffer_gl0_inv
	ds_read2_b64 v[233:236], v255 offset1:1
	s_mov_b32 s5, exec_lo
	v_cmpx_lt_u32_e32 58, v0
	s_cbranch_execz .LBB125_665
; %bb.664:
	s_clause 0xf
	buffer_load_dword v1, off, s[0:3], 0 offset:928
	buffer_load_dword v2, off, s[0:3], 0 offset:932
	;; [unrolled: 1-line block ×16, first 2 shown]
	s_waitcnt vmcnt(12) lgkmcnt(0)
	v_mul_f64 v[250:251], v[235:236], v[3:4]
	v_mul_f64 v[3:4], v[233:234], v[3:4]
	v_fma_f64 v[250:251], v[233:234], v[1:2], -v[250:251]
	v_fma_f64 v[5:6], v[235:236], v[1:2], v[3:4]
	buffer_store_dword v250, off, s[0:3], 0 offset:928
	buffer_store_dword v251, off, s[0:3], 0 offset:932
	buffer_store_dword v5, off, s[0:3], 0 offset:936
	buffer_store_dword v6, off, s[0:3], 0 offset:940
	ds_read2_b64 v[1:4], v249 offset0:118 offset1:119
	s_waitcnt lgkmcnt(0)
	v_mul_f64 v[7:8], v[3:4], v[5:6]
	v_fma_f64 v[7:8], v[1:2], v[250:251], -v[7:8]
	v_mul_f64 v[1:2], v[1:2], v[5:6]
	v_fma_f64 v[1:2], v[3:4], v[250:251], v[1:2]
	s_waitcnt vmcnt(10)
	v_add_f64 v[3:4], v[237:238], -v[7:8]
	s_waitcnt vmcnt(8)
	v_add_f64 v[1:2], v[239:240], -v[1:2]
	buffer_store_dword v3, off, s[0:3], 0 offset:944
	buffer_store_dword v4, off, s[0:3], 0 offset:948
	buffer_store_dword v1, off, s[0:3], 0 offset:952
	buffer_store_dword v2, off, s[0:3], 0 offset:956
	ds_read2_b64 v[1:4], v249 offset0:120 offset1:121
	s_waitcnt lgkmcnt(0)
	v_mul_f64 v[7:8], v[3:4], v[5:6]
	v_fma_f64 v[7:8], v[1:2], v[250:251], -v[7:8]
	v_mul_f64 v[1:2], v[1:2], v[5:6]
	v_fma_f64 v[1:2], v[3:4], v[250:251], v[1:2]
	s_waitcnt vmcnt(6)
	v_add_f64 v[3:4], v[241:242], -v[7:8]
	s_waitcnt vmcnt(4)
	v_add_f64 v[1:2], v[243:244], -v[1:2]
	;; [unrolled: 14-line block ×3, first 2 shown]
	buffer_store_dword v4, off, s[0:3], 0 offset:980
	buffer_store_dword v3, off, s[0:3], 0 offset:976
	;; [unrolled: 1-line block ×4, first 2 shown]
	ds_read2_b64 v[1:4], v249 offset0:124 offset1:125
	s_waitcnt lgkmcnt(0)
	v_mul_f64 v[7:8], v[3:4], v[5:6]
	v_fma_f64 v[7:8], v[1:2], v[250:251], -v[7:8]
	v_mul_f64 v[1:2], v[1:2], v[5:6]
	v_fma_f64 v[1:2], v[3:4], v[250:251], v[1:2]
	s_clause 0x3
	buffer_load_dword v3, off, s[0:3], 0 offset:992
	buffer_load_dword v4, off, s[0:3], 0 offset:996
	;; [unrolled: 1-line block ×4, first 2 shown]
	s_waitcnt vmcnt(2)
	v_add_f64 v[3:4], v[3:4], -v[7:8]
	s_waitcnt vmcnt(0)
	v_add_f64 v[1:2], v[5:6], -v[1:2]
	buffer_store_dword v4, off, s[0:3], 0 offset:996
	buffer_store_dword v3, off, s[0:3], 0 offset:992
	;; [unrolled: 1-line block ×4, first 2 shown]
.LBB125_665:
	s_or_b32 exec_lo, exec_lo, s5
	s_mov_b32 s6, exec_lo
	s_waitcnt lgkmcnt(0)
	s_waitcnt_vscnt null, 0x0
	s_barrier
	buffer_gl0_inv
	v_cmpx_eq_u32_e32 59, v0
	s_cbranch_execz .LBB125_672
; %bb.666:
	v_mov_b32_e32 v4, s18
	s_clause 0x3
	buffer_load_dword v1, v4, s[0:3], 0 offen
	buffer_load_dword v2, v4, s[0:3], 0 offen offset:4
	buffer_load_dword v3, v4, s[0:3], 0 offen offset:8
	;; [unrolled: 1-line block ×3, first 2 shown]
	s_waitcnt vmcnt(0)
	ds_write2_b64 v255, v[1:2], v[3:4] offset1:1
	v_mov_b32_e32 v4, s16
	s_clause 0x3
	buffer_load_dword v1, v4, s[0:3], 0 offen
	buffer_load_dword v2, v4, s[0:3], 0 offen offset:4
	buffer_load_dword v3, v4, s[0:3], 0 offen offset:8
	buffer_load_dword v4, v4, s[0:3], 0 offen offset:12
	s_waitcnt vmcnt(0)
	ds_write2_b64 v249, v[1:2], v[3:4] offset0:120 offset1:121
	v_mov_b32_e32 v4, s13
	s_clause 0x3
	buffer_load_dword v1, v4, s[0:3], 0 offen
	buffer_load_dword v2, v4, s[0:3], 0 offen offset:4
	buffer_load_dword v3, v4, s[0:3], 0 offen offset:8
	buffer_load_dword v4, v4, s[0:3], 0 offen offset:12
	s_waitcnt vmcnt(0)
	ds_write2_b64 v249, v[1:2], v[3:4] offset0:122 offset1:123
	;; [unrolled: 8-line block ×3, first 2 shown]
	ds_read2_b64 v[237:240], v255 offset1:1
	s_waitcnt lgkmcnt(0)
	v_cmp_neq_f64_e32 vcc_lo, 0, v[237:238]
	v_cmp_neq_f64_e64 s5, 0, v[239:240]
	s_or_b32 s5, vcc_lo, s5
	s_and_b32 exec_lo, exec_lo, s5
	s_cbranch_execz .LBB125_672
; %bb.667:
	v_cmp_ngt_f64_e64 s5, |v[237:238]|, |v[239:240]|
                                        ; implicit-def: $vgpr1_vgpr2
	s_and_saveexec_b32 s7, s5
	s_xor_b32 s5, exec_lo, s7
                                        ; implicit-def: $vgpr3_vgpr4
	s_cbranch_execz .LBB125_669
; %bb.668:
	v_div_scale_f64 v[1:2], null, v[239:240], v[239:240], v[237:238]
	v_div_scale_f64 v[7:8], vcc_lo, v[237:238], v[239:240], v[237:238]
	v_rcp_f64_e32 v[3:4], v[1:2]
	v_fma_f64 v[5:6], -v[1:2], v[3:4], 1.0
	v_fma_f64 v[3:4], v[3:4], v[5:6], v[3:4]
	v_fma_f64 v[5:6], -v[1:2], v[3:4], 1.0
	v_fma_f64 v[3:4], v[3:4], v[5:6], v[3:4]
	v_mul_f64 v[5:6], v[7:8], v[3:4]
	v_fma_f64 v[1:2], -v[1:2], v[5:6], v[7:8]
	v_div_fmas_f64 v[1:2], v[1:2], v[3:4], v[5:6]
	v_div_fixup_f64 v[1:2], v[1:2], v[239:240], v[237:238]
	v_fma_f64 v[3:4], v[237:238], v[1:2], v[239:240]
	v_div_scale_f64 v[5:6], null, v[3:4], v[3:4], 1.0
	v_rcp_f64_e32 v[7:8], v[5:6]
	v_fma_f64 v[237:238], -v[5:6], v[7:8], 1.0
	v_fma_f64 v[7:8], v[7:8], v[237:238], v[7:8]
	v_fma_f64 v[237:238], -v[5:6], v[7:8], 1.0
	v_fma_f64 v[7:8], v[7:8], v[237:238], v[7:8]
	v_div_scale_f64 v[237:238], vcc_lo, 1.0, v[3:4], 1.0
	v_mul_f64 v[239:240], v[237:238], v[7:8]
	v_fma_f64 v[5:6], -v[5:6], v[239:240], v[237:238]
	v_div_fmas_f64 v[5:6], v[5:6], v[7:8], v[239:240]
                                        ; implicit-def: $vgpr237_vgpr238
	v_div_fixup_f64 v[3:4], v[5:6], v[3:4], 1.0
	v_mul_f64 v[1:2], v[1:2], v[3:4]
	v_xor_b32_e32 v4, 0x80000000, v4
.LBB125_669:
	s_andn2_saveexec_b32 s5, s5
	s_cbranch_execz .LBB125_671
; %bb.670:
	v_div_scale_f64 v[1:2], null, v[237:238], v[237:238], v[239:240]
	v_div_scale_f64 v[7:8], vcc_lo, v[239:240], v[237:238], v[239:240]
	v_rcp_f64_e32 v[3:4], v[1:2]
	v_fma_f64 v[5:6], -v[1:2], v[3:4], 1.0
	v_fma_f64 v[3:4], v[3:4], v[5:6], v[3:4]
	v_fma_f64 v[5:6], -v[1:2], v[3:4], 1.0
	v_fma_f64 v[3:4], v[3:4], v[5:6], v[3:4]
	v_mul_f64 v[5:6], v[7:8], v[3:4]
	v_fma_f64 v[1:2], -v[1:2], v[5:6], v[7:8]
	v_div_fmas_f64 v[1:2], v[1:2], v[3:4], v[5:6]
	v_div_fixup_f64 v[3:4], v[1:2], v[237:238], v[239:240]
	v_fma_f64 v[1:2], v[239:240], v[3:4], v[237:238]
	v_div_scale_f64 v[5:6], null, v[1:2], v[1:2], 1.0
	v_rcp_f64_e32 v[7:8], v[5:6]
	v_fma_f64 v[237:238], -v[5:6], v[7:8], 1.0
	v_fma_f64 v[7:8], v[7:8], v[237:238], v[7:8]
	v_fma_f64 v[237:238], -v[5:6], v[7:8], 1.0
	v_fma_f64 v[7:8], v[7:8], v[237:238], v[7:8]
	v_div_scale_f64 v[237:238], vcc_lo, 1.0, v[1:2], 1.0
	v_mul_f64 v[239:240], v[237:238], v[7:8]
	v_fma_f64 v[5:6], -v[5:6], v[239:240], v[237:238]
	v_div_fmas_f64 v[5:6], v[5:6], v[7:8], v[239:240]
	v_div_fixup_f64 v[1:2], v[5:6], v[1:2], 1.0
	v_mul_f64 v[3:4], v[3:4], -v[1:2]
.LBB125_671:
	s_or_b32 exec_lo, exec_lo, s5
	ds_write2_b64 v255, v[1:2], v[3:4] offset1:1
.LBB125_672:
	s_or_b32 exec_lo, exec_lo, s6
	s_waitcnt lgkmcnt(0)
	s_barrier
	buffer_gl0_inv
	ds_read2_b64 v[237:240], v255 offset1:1
	s_mov_b32 s5, exec_lo
	v_cmpx_lt_u32_e32 59, v0
	s_cbranch_execz .LBB125_674
; %bb.673:
	s_clause 0xf
	buffer_load_dword v1, off, s[0:3], 0 offset:944
	buffer_load_dword v2, off, s[0:3], 0 offset:948
	;; [unrolled: 1-line block ×16, first 2 shown]
	s_waitcnt vmcnt(12) lgkmcnt(0)
	v_mul_f64 v[250:251], v[239:240], v[3:4]
	v_mul_f64 v[3:4], v[237:238], v[3:4]
	v_fma_f64 v[250:251], v[237:238], v[1:2], -v[250:251]
	v_fma_f64 v[9:10], v[239:240], v[1:2], v[3:4]
	buffer_store_dword v250, off, s[0:3], 0 offset:944
	buffer_store_dword v251, off, s[0:3], 0 offset:948
	buffer_store_dword v9, off, s[0:3], 0 offset:952
	buffer_store_dword v10, off, s[0:3], 0 offset:956
	ds_read2_b64 v[1:4], v249 offset0:120 offset1:121
	s_waitcnt lgkmcnt(0)
	v_mul_f64 v[11:12], v[3:4], v[9:10]
	v_fma_f64 v[11:12], v[1:2], v[250:251], -v[11:12]
	v_mul_f64 v[1:2], v[1:2], v[9:10]
	v_fma_f64 v[1:2], v[3:4], v[250:251], v[1:2]
	s_waitcnt vmcnt(10)
	v_add_f64 v[3:4], v[5:6], -v[11:12]
	s_waitcnt vmcnt(8)
	v_add_f64 v[1:2], v[7:8], -v[1:2]
	buffer_store_dword v3, off, s[0:3], 0 offset:960
	buffer_store_dword v4, off, s[0:3], 0 offset:964
	buffer_store_dword v1, off, s[0:3], 0 offset:968
	buffer_store_dword v2, off, s[0:3], 0 offset:972
	ds_read2_b64 v[1:4], v249 offset0:122 offset1:123
	s_waitcnt lgkmcnt(0)
	v_mul_f64 v[5:6], v[3:4], v[9:10]
	v_fma_f64 v[5:6], v[1:2], v[250:251], -v[5:6]
	v_mul_f64 v[1:2], v[1:2], v[9:10]
	v_fma_f64 v[1:2], v[3:4], v[250:251], v[1:2]
	s_waitcnt vmcnt(6)
	v_add_f64 v[3:4], v[241:242], -v[5:6]
	s_waitcnt vmcnt(4)
	v_add_f64 v[1:2], v[243:244], -v[1:2]
	;; [unrolled: 14-line block ×3, first 2 shown]
	buffer_store_dword v4, off, s[0:3], 0 offset:996
	buffer_store_dword v3, off, s[0:3], 0 offset:992
	;; [unrolled: 1-line block ×4, first 2 shown]
.LBB125_674:
	s_or_b32 exec_lo, exec_lo, s5
	s_mov_b32 s6, exec_lo
	s_waitcnt lgkmcnt(0)
	s_waitcnt_vscnt null, 0x0
	s_barrier
	buffer_gl0_inv
	v_cmpx_eq_u32_e32 60, v0
	s_cbranch_execz .LBB125_681
; %bb.675:
	v_mov_b32_e32 v4, s16
	s_clause 0x3
	buffer_load_dword v1, v4, s[0:3], 0 offen
	buffer_load_dword v2, v4, s[0:3], 0 offen offset:4
	buffer_load_dword v3, v4, s[0:3], 0 offen offset:8
	;; [unrolled: 1-line block ×3, first 2 shown]
	s_waitcnt vmcnt(0)
	ds_write2_b64 v255, v[1:2], v[3:4] offset1:1
	v_mov_b32_e32 v4, s13
	s_clause 0x3
	buffer_load_dword v1, v4, s[0:3], 0 offen
	buffer_load_dword v2, v4, s[0:3], 0 offen offset:4
	buffer_load_dword v3, v4, s[0:3], 0 offen offset:8
	;; [unrolled: 1-line block ×3, first 2 shown]
	s_waitcnt vmcnt(0)
	ds_write2_b64 v249, v[1:2], v[3:4] offset0:122 offset1:123
	v_mov_b32_e32 v4, s12
	s_clause 0x3
	buffer_load_dword v1, v4, s[0:3], 0 offen
	buffer_load_dword v2, v4, s[0:3], 0 offen offset:4
	buffer_load_dword v3, v4, s[0:3], 0 offen offset:8
	;; [unrolled: 1-line block ×3, first 2 shown]
	s_waitcnt vmcnt(0)
	ds_write2_b64 v249, v[1:2], v[3:4] offset0:124 offset1:125
	ds_read2_b64 v[241:244], v255 offset1:1
	s_waitcnt lgkmcnt(0)
	v_cmp_neq_f64_e32 vcc_lo, 0, v[241:242]
	v_cmp_neq_f64_e64 s5, 0, v[243:244]
	s_or_b32 s5, vcc_lo, s5
	s_and_b32 exec_lo, exec_lo, s5
	s_cbranch_execz .LBB125_681
; %bb.676:
	v_cmp_ngt_f64_e64 s5, |v[241:242]|, |v[243:244]|
                                        ; implicit-def: $vgpr1_vgpr2
	s_and_saveexec_b32 s7, s5
	s_xor_b32 s5, exec_lo, s7
                                        ; implicit-def: $vgpr3_vgpr4
	s_cbranch_execz .LBB125_678
; %bb.677:
	v_div_scale_f64 v[1:2], null, v[243:244], v[243:244], v[241:242]
	v_div_scale_f64 v[7:8], vcc_lo, v[241:242], v[243:244], v[241:242]
	v_rcp_f64_e32 v[3:4], v[1:2]
	v_fma_f64 v[5:6], -v[1:2], v[3:4], 1.0
	v_fma_f64 v[3:4], v[3:4], v[5:6], v[3:4]
	v_fma_f64 v[5:6], -v[1:2], v[3:4], 1.0
	v_fma_f64 v[3:4], v[3:4], v[5:6], v[3:4]
	v_mul_f64 v[5:6], v[7:8], v[3:4]
	v_fma_f64 v[1:2], -v[1:2], v[5:6], v[7:8]
	v_div_fmas_f64 v[1:2], v[1:2], v[3:4], v[5:6]
	v_div_fixup_f64 v[1:2], v[1:2], v[243:244], v[241:242]
	v_fma_f64 v[3:4], v[241:242], v[1:2], v[243:244]
                                        ; implicit-def: $vgpr241_vgpr242
	v_div_scale_f64 v[5:6], null, v[3:4], v[3:4], 1.0
	v_rcp_f64_e32 v[7:8], v[5:6]
	v_fma_f64 v[9:10], -v[5:6], v[7:8], 1.0
	v_fma_f64 v[7:8], v[7:8], v[9:10], v[7:8]
	v_fma_f64 v[9:10], -v[5:6], v[7:8], 1.0
	v_fma_f64 v[7:8], v[7:8], v[9:10], v[7:8]
	v_div_scale_f64 v[9:10], vcc_lo, 1.0, v[3:4], 1.0
	v_mul_f64 v[11:12], v[9:10], v[7:8]
	v_fma_f64 v[5:6], -v[5:6], v[11:12], v[9:10]
	v_div_fmas_f64 v[5:6], v[5:6], v[7:8], v[11:12]
	v_div_fixup_f64 v[3:4], v[5:6], v[3:4], 1.0
	v_mul_f64 v[1:2], v[1:2], v[3:4]
	v_xor_b32_e32 v4, 0x80000000, v4
.LBB125_678:
	s_andn2_saveexec_b32 s5, s5
	s_cbranch_execz .LBB125_680
; %bb.679:
	v_div_scale_f64 v[1:2], null, v[241:242], v[241:242], v[243:244]
	v_div_scale_f64 v[7:8], vcc_lo, v[243:244], v[241:242], v[243:244]
	v_rcp_f64_e32 v[3:4], v[1:2]
	v_fma_f64 v[5:6], -v[1:2], v[3:4], 1.0
	v_fma_f64 v[3:4], v[3:4], v[5:6], v[3:4]
	v_fma_f64 v[5:6], -v[1:2], v[3:4], 1.0
	v_fma_f64 v[3:4], v[3:4], v[5:6], v[3:4]
	v_mul_f64 v[5:6], v[7:8], v[3:4]
	v_fma_f64 v[1:2], -v[1:2], v[5:6], v[7:8]
	v_div_fmas_f64 v[1:2], v[1:2], v[3:4], v[5:6]
	v_div_fixup_f64 v[3:4], v[1:2], v[241:242], v[243:244]
	v_fma_f64 v[1:2], v[243:244], v[3:4], v[241:242]
	v_div_scale_f64 v[5:6], null, v[1:2], v[1:2], 1.0
	v_rcp_f64_e32 v[7:8], v[5:6]
	v_fma_f64 v[9:10], -v[5:6], v[7:8], 1.0
	v_fma_f64 v[7:8], v[7:8], v[9:10], v[7:8]
	v_fma_f64 v[9:10], -v[5:6], v[7:8], 1.0
	v_fma_f64 v[7:8], v[7:8], v[9:10], v[7:8]
	v_div_scale_f64 v[9:10], vcc_lo, 1.0, v[1:2], 1.0
	v_mul_f64 v[11:12], v[9:10], v[7:8]
	v_fma_f64 v[5:6], -v[5:6], v[11:12], v[9:10]
	v_div_fmas_f64 v[5:6], v[5:6], v[7:8], v[11:12]
	v_div_fixup_f64 v[1:2], v[5:6], v[1:2], 1.0
	v_mul_f64 v[3:4], v[3:4], -v[1:2]
.LBB125_680:
	s_or_b32 exec_lo, exec_lo, s5
	ds_write2_b64 v255, v[1:2], v[3:4] offset1:1
.LBB125_681:
	s_or_b32 exec_lo, exec_lo, s6
	s_waitcnt lgkmcnt(0)
	s_barrier
	buffer_gl0_inv
	ds_read2_b64 v[241:244], v255 offset1:1
	s_mov_b32 s5, exec_lo
	v_cmpx_lt_u32_e32 60, v0
	s_cbranch_execz .LBB125_683
; %bb.682:
	s_clause 0xb
	buffer_load_dword v1, off, s[0:3], 0 offset:960
	buffer_load_dword v2, off, s[0:3], 0 offset:964
	;; [unrolled: 1-line block ×12, first 2 shown]
	s_waitcnt vmcnt(8) lgkmcnt(0)
	v_mul_f64 v[245:246], v[243:244], v[3:4]
	v_mul_f64 v[3:4], v[241:242], v[3:4]
	v_fma_f64 v[245:246], v[241:242], v[1:2], -v[245:246]
	v_fma_f64 v[247:248], v[243:244], v[1:2], v[3:4]
	buffer_store_dword v245, off, s[0:3], 0 offset:960
	buffer_store_dword v246, off, s[0:3], 0 offset:964
	;; [unrolled: 1-line block ×4, first 2 shown]
	ds_read2_b64 v[1:4], v249 offset0:122 offset1:123
	s_waitcnt lgkmcnt(0)
	v_mul_f64 v[250:251], v[3:4], v[247:248]
	v_fma_f64 v[250:251], v[1:2], v[245:246], -v[250:251]
	v_mul_f64 v[1:2], v[1:2], v[247:248]
	v_fma_f64 v[1:2], v[3:4], v[245:246], v[1:2]
	s_waitcnt vmcnt(6)
	v_add_f64 v[3:4], v[5:6], -v[250:251]
	s_waitcnt vmcnt(4)
	v_add_f64 v[1:2], v[7:8], -v[1:2]
	buffer_store_dword v3, off, s[0:3], 0 offset:976
	buffer_store_dword v4, off, s[0:3], 0 offset:980
	;; [unrolled: 1-line block ×4, first 2 shown]
	ds_read2_b64 v[1:4], v249 offset0:124 offset1:125
	s_waitcnt lgkmcnt(0)
	v_mul_f64 v[5:6], v[3:4], v[247:248]
	v_fma_f64 v[5:6], v[1:2], v[245:246], -v[5:6]
	v_mul_f64 v[1:2], v[1:2], v[247:248]
	v_fma_f64 v[1:2], v[3:4], v[245:246], v[1:2]
	s_waitcnt vmcnt(2)
	v_add_f64 v[3:4], v[9:10], -v[5:6]
	s_waitcnt vmcnt(0)
	v_add_f64 v[1:2], v[11:12], -v[1:2]
	buffer_store_dword v3, off, s[0:3], 0 offset:992
	buffer_store_dword v4, off, s[0:3], 0 offset:996
	;; [unrolled: 1-line block ×4, first 2 shown]
.LBB125_683:
	s_or_b32 exec_lo, exec_lo, s5
	s_mov_b32 s6, exec_lo
	s_waitcnt lgkmcnt(0)
	s_waitcnt_vscnt null, 0x0
	s_barrier
	buffer_gl0_inv
	v_cmpx_eq_u32_e32 61, v0
	s_cbranch_execz .LBB125_690
; %bb.684:
	v_mov_b32_e32 v4, s13
	s_clause 0x3
	buffer_load_dword v1, v4, s[0:3], 0 offen
	buffer_load_dword v2, v4, s[0:3], 0 offen offset:4
	buffer_load_dword v3, v4, s[0:3], 0 offen offset:8
	;; [unrolled: 1-line block ×3, first 2 shown]
	s_waitcnt vmcnt(0)
	ds_write2_b64 v255, v[1:2], v[3:4] offset1:1
	v_mov_b32_e32 v4, s12
	s_clause 0x3
	buffer_load_dword v1, v4, s[0:3], 0 offen
	buffer_load_dword v2, v4, s[0:3], 0 offen offset:4
	buffer_load_dword v3, v4, s[0:3], 0 offen offset:8
	;; [unrolled: 1-line block ×3, first 2 shown]
	s_waitcnt vmcnt(0)
	ds_write2_b64 v249, v[1:2], v[3:4] offset0:124 offset1:125
	ds_read2_b64 v[245:248], v255 offset1:1
	s_waitcnt lgkmcnt(0)
	v_cmp_neq_f64_e32 vcc_lo, 0, v[245:246]
	v_cmp_neq_f64_e64 s5, 0, v[247:248]
	s_or_b32 s5, vcc_lo, s5
	s_and_b32 exec_lo, exec_lo, s5
	s_cbranch_execz .LBB125_690
; %bb.685:
	v_cmp_ngt_f64_e64 s5, |v[245:246]|, |v[247:248]|
                                        ; implicit-def: $vgpr1_vgpr2
	s_and_saveexec_b32 s7, s5
	s_xor_b32 s5, exec_lo, s7
                                        ; implicit-def: $vgpr3_vgpr4
	s_cbranch_execz .LBB125_687
; %bb.686:
	v_div_scale_f64 v[1:2], null, v[247:248], v[247:248], v[245:246]
	v_div_scale_f64 v[7:8], vcc_lo, v[245:246], v[247:248], v[245:246]
	v_rcp_f64_e32 v[3:4], v[1:2]
	v_fma_f64 v[5:6], -v[1:2], v[3:4], 1.0
	v_fma_f64 v[3:4], v[3:4], v[5:6], v[3:4]
	v_fma_f64 v[5:6], -v[1:2], v[3:4], 1.0
	v_fma_f64 v[3:4], v[3:4], v[5:6], v[3:4]
	v_mul_f64 v[5:6], v[7:8], v[3:4]
	v_fma_f64 v[1:2], -v[1:2], v[5:6], v[7:8]
	v_div_fmas_f64 v[1:2], v[1:2], v[3:4], v[5:6]
	v_div_fixup_f64 v[1:2], v[1:2], v[247:248], v[245:246]
	v_fma_f64 v[3:4], v[245:246], v[1:2], v[247:248]
                                        ; implicit-def: $vgpr245_vgpr246
	v_div_scale_f64 v[5:6], null, v[3:4], v[3:4], 1.0
	v_rcp_f64_e32 v[7:8], v[5:6]
	v_fma_f64 v[9:10], -v[5:6], v[7:8], 1.0
	v_fma_f64 v[7:8], v[7:8], v[9:10], v[7:8]
	v_fma_f64 v[9:10], -v[5:6], v[7:8], 1.0
	v_fma_f64 v[7:8], v[7:8], v[9:10], v[7:8]
	v_div_scale_f64 v[9:10], vcc_lo, 1.0, v[3:4], 1.0
	v_mul_f64 v[11:12], v[9:10], v[7:8]
	v_fma_f64 v[5:6], -v[5:6], v[11:12], v[9:10]
	v_div_fmas_f64 v[5:6], v[5:6], v[7:8], v[11:12]
	v_div_fixup_f64 v[3:4], v[5:6], v[3:4], 1.0
	v_mul_f64 v[1:2], v[1:2], v[3:4]
	v_xor_b32_e32 v4, 0x80000000, v4
.LBB125_687:
	s_andn2_saveexec_b32 s5, s5
	s_cbranch_execz .LBB125_689
; %bb.688:
	v_div_scale_f64 v[1:2], null, v[245:246], v[245:246], v[247:248]
	v_div_scale_f64 v[7:8], vcc_lo, v[247:248], v[245:246], v[247:248]
	v_rcp_f64_e32 v[3:4], v[1:2]
	v_fma_f64 v[5:6], -v[1:2], v[3:4], 1.0
	v_fma_f64 v[3:4], v[3:4], v[5:6], v[3:4]
	v_fma_f64 v[5:6], -v[1:2], v[3:4], 1.0
	v_fma_f64 v[3:4], v[3:4], v[5:6], v[3:4]
	v_mul_f64 v[5:6], v[7:8], v[3:4]
	v_fma_f64 v[1:2], -v[1:2], v[5:6], v[7:8]
	v_div_fmas_f64 v[1:2], v[1:2], v[3:4], v[5:6]
	v_div_fixup_f64 v[3:4], v[1:2], v[245:246], v[247:248]
	v_fma_f64 v[1:2], v[247:248], v[3:4], v[245:246]
	v_div_scale_f64 v[5:6], null, v[1:2], v[1:2], 1.0
	v_rcp_f64_e32 v[7:8], v[5:6]
	v_fma_f64 v[9:10], -v[5:6], v[7:8], 1.0
	v_fma_f64 v[7:8], v[7:8], v[9:10], v[7:8]
	v_fma_f64 v[9:10], -v[5:6], v[7:8], 1.0
	v_fma_f64 v[7:8], v[7:8], v[9:10], v[7:8]
	v_div_scale_f64 v[9:10], vcc_lo, 1.0, v[1:2], 1.0
	v_mul_f64 v[11:12], v[9:10], v[7:8]
	v_fma_f64 v[5:6], -v[5:6], v[11:12], v[9:10]
	v_div_fmas_f64 v[5:6], v[5:6], v[7:8], v[11:12]
	v_div_fixup_f64 v[1:2], v[5:6], v[1:2], 1.0
	v_mul_f64 v[3:4], v[3:4], -v[1:2]
.LBB125_689:
	s_or_b32 exec_lo, exec_lo, s5
	ds_write2_b64 v255, v[1:2], v[3:4] offset1:1
.LBB125_690:
	s_or_b32 exec_lo, exec_lo, s6
	s_waitcnt lgkmcnt(0)
	s_barrier
	buffer_gl0_inv
	ds_read2_b64 v[245:248], v255 offset1:1
	s_mov_b32 s5, exec_lo
	v_cmpx_lt_u32_e32 61, v0
	s_cbranch_execz .LBB125_692
; %bb.691:
	s_clause 0x7
	buffer_load_dword v1, off, s[0:3], 0 offset:976
	buffer_load_dword v2, off, s[0:3], 0 offset:980
	;; [unrolled: 1-line block ×8, first 2 shown]
	s_waitcnt vmcnt(4) lgkmcnt(0)
	v_mul_f64 v[9:10], v[247:248], v[3:4]
	v_mul_f64 v[3:4], v[245:246], v[3:4]
	v_fma_f64 v[9:10], v[245:246], v[1:2], -v[9:10]
	v_fma_f64 v[11:12], v[247:248], v[1:2], v[3:4]
	buffer_store_dword v9, off, s[0:3], 0 offset:976
	buffer_store_dword v10, off, s[0:3], 0 offset:980
	;; [unrolled: 1-line block ×4, first 2 shown]
	ds_read2_b64 v[1:4], v249 offset0:124 offset1:125
	s_waitcnt lgkmcnt(0)
	v_mul_f64 v[249:250], v[3:4], v[11:12]
	v_fma_f64 v[249:250], v[1:2], v[9:10], -v[249:250]
	v_mul_f64 v[1:2], v[1:2], v[11:12]
	v_fma_f64 v[1:2], v[3:4], v[9:10], v[1:2]
	s_waitcnt vmcnt(2)
	v_add_f64 v[3:4], v[5:6], -v[249:250]
	s_waitcnt vmcnt(0)
	v_add_f64 v[1:2], v[7:8], -v[1:2]
	buffer_store_dword v3, off, s[0:3], 0 offset:992
	buffer_store_dword v4, off, s[0:3], 0 offset:996
	;; [unrolled: 1-line block ×4, first 2 shown]
.LBB125_692:
	s_or_b32 exec_lo, exec_lo, s5
	s_mov_b32 s6, exec_lo
	s_waitcnt lgkmcnt(0)
	s_waitcnt_vscnt null, 0x0
	s_barrier
	buffer_gl0_inv
	v_cmpx_eq_u32_e32 62, v0
	s_cbranch_execz .LBB125_699
; %bb.693:
	v_mov_b32_e32 v1, s12
	s_clause 0x3
	buffer_load_dword v249, v1, s[0:3], 0 offen
	buffer_load_dword v250, v1, s[0:3], 0 offen offset:4
	buffer_load_dword v251, v1, s[0:3], 0 offen offset:8
	;; [unrolled: 1-line block ×3, first 2 shown]
	s_waitcnt vmcnt(2)
	v_cmp_neq_f64_e32 vcc_lo, 0, v[249:250]
	s_waitcnt vmcnt(0)
	v_cmp_neq_f64_e64 s5, 0, v[251:252]
	ds_write2_b64 v255, v[249:250], v[251:252] offset1:1
	s_or_b32 s5, vcc_lo, s5
	s_and_b32 exec_lo, exec_lo, s5
	s_cbranch_execz .LBB125_699
; %bb.694:
	v_cmp_ngt_f64_e64 s5, |v[249:250]|, |v[251:252]|
                                        ; implicit-def: $vgpr1_vgpr2
	s_and_saveexec_b32 s7, s5
	s_xor_b32 s5, exec_lo, s7
                                        ; implicit-def: $vgpr3_vgpr4
	s_cbranch_execz .LBB125_696
; %bb.695:
	v_div_scale_f64 v[1:2], null, v[251:252], v[251:252], v[249:250]
	v_div_scale_f64 v[7:8], vcc_lo, v[249:250], v[251:252], v[249:250]
	v_rcp_f64_e32 v[3:4], v[1:2]
	v_fma_f64 v[5:6], -v[1:2], v[3:4], 1.0
	v_fma_f64 v[3:4], v[3:4], v[5:6], v[3:4]
	v_fma_f64 v[5:6], -v[1:2], v[3:4], 1.0
	v_fma_f64 v[3:4], v[3:4], v[5:6], v[3:4]
	v_mul_f64 v[5:6], v[7:8], v[3:4]
	v_fma_f64 v[1:2], -v[1:2], v[5:6], v[7:8]
	v_div_fmas_f64 v[1:2], v[1:2], v[3:4], v[5:6]
	v_div_fixup_f64 v[1:2], v[1:2], v[251:252], v[249:250]
	v_fma_f64 v[3:4], v[249:250], v[1:2], v[251:252]
                                        ; implicit-def: $vgpr249_vgpr250
                                        ; implicit-def: $vgpr251_vgpr252
	v_div_scale_f64 v[5:6], null, v[3:4], v[3:4], 1.0
	v_rcp_f64_e32 v[7:8], v[5:6]
	v_fma_f64 v[9:10], -v[5:6], v[7:8], 1.0
	v_fma_f64 v[7:8], v[7:8], v[9:10], v[7:8]
	v_fma_f64 v[9:10], -v[5:6], v[7:8], 1.0
	v_fma_f64 v[7:8], v[7:8], v[9:10], v[7:8]
	v_div_scale_f64 v[9:10], vcc_lo, 1.0, v[3:4], 1.0
	v_mul_f64 v[11:12], v[9:10], v[7:8]
	v_fma_f64 v[5:6], -v[5:6], v[11:12], v[9:10]
	v_div_fmas_f64 v[5:6], v[5:6], v[7:8], v[11:12]
	v_div_fixup_f64 v[3:4], v[5:6], v[3:4], 1.0
	v_mul_f64 v[1:2], v[1:2], v[3:4]
	v_xor_b32_e32 v4, 0x80000000, v4
.LBB125_696:
	s_andn2_saveexec_b32 s5, s5
	s_cbranch_execz .LBB125_698
; %bb.697:
	v_div_scale_f64 v[1:2], null, v[249:250], v[249:250], v[251:252]
	v_div_scale_f64 v[7:8], vcc_lo, v[251:252], v[249:250], v[251:252]
	v_rcp_f64_e32 v[3:4], v[1:2]
	v_fma_f64 v[5:6], -v[1:2], v[3:4], 1.0
	v_fma_f64 v[3:4], v[3:4], v[5:6], v[3:4]
	v_fma_f64 v[5:6], -v[1:2], v[3:4], 1.0
	v_fma_f64 v[3:4], v[3:4], v[5:6], v[3:4]
	v_mul_f64 v[5:6], v[7:8], v[3:4]
	v_fma_f64 v[1:2], -v[1:2], v[5:6], v[7:8]
	v_div_fmas_f64 v[1:2], v[1:2], v[3:4], v[5:6]
	v_div_fixup_f64 v[3:4], v[1:2], v[249:250], v[251:252]
	v_fma_f64 v[1:2], v[251:252], v[3:4], v[249:250]
	v_div_scale_f64 v[5:6], null, v[1:2], v[1:2], 1.0
	v_rcp_f64_e32 v[7:8], v[5:6]
	v_fma_f64 v[9:10], -v[5:6], v[7:8], 1.0
	v_fma_f64 v[7:8], v[7:8], v[9:10], v[7:8]
	v_fma_f64 v[9:10], -v[5:6], v[7:8], 1.0
	v_fma_f64 v[7:8], v[7:8], v[9:10], v[7:8]
	v_div_scale_f64 v[9:10], vcc_lo, 1.0, v[1:2], 1.0
	v_mul_f64 v[11:12], v[9:10], v[7:8]
	v_fma_f64 v[5:6], -v[5:6], v[11:12], v[9:10]
	v_div_fmas_f64 v[5:6], v[5:6], v[7:8], v[11:12]
	v_div_fixup_f64 v[1:2], v[5:6], v[1:2], 1.0
	v_mul_f64 v[3:4], v[3:4], -v[1:2]
.LBB125_698:
	s_or_b32 exec_lo, exec_lo, s5
	ds_write2_b64 v255, v[1:2], v[3:4] offset1:1
.LBB125_699:
	s_or_b32 exec_lo, exec_lo, s6
	s_waitcnt lgkmcnt(0)
	s_barrier
	buffer_gl0_inv
	ds_read2_b64 v[249:252], v255 offset1:1
	s_mov_b32 s5, exec_lo
	v_cmpx_lt_u32_e32 62, v0
	s_cbranch_execz .LBB125_701
; %bb.700:
	s_clause 0x3
	buffer_load_dword v0, off, s[0:3], 0 offset:1000
	buffer_load_dword v1, off, s[0:3], 0 offset:1004
	;; [unrolled: 1-line block ×4, first 2 shown]
	s_waitcnt vmcnt(2) lgkmcnt(0)
	v_mul_f64 v[4:5], v[251:252], v[0:1]
	v_mul_f64 v[0:1], v[249:250], v[0:1]
	s_waitcnt vmcnt(0)
	v_fma_f64 v[4:5], v[249:250], v[2:3], -v[4:5]
	v_fma_f64 v[0:1], v[251:252], v[2:3], v[0:1]
	buffer_store_dword v4, off, s[0:3], 0 offset:992
	buffer_store_dword v5, off, s[0:3], 0 offset:996
	;; [unrolled: 1-line block ×4, first 2 shown]
.LBB125_701:
	s_or_b32 exec_lo, exec_lo, s5
	s_waitcnt lgkmcnt(0)
	s_waitcnt_vscnt null, 0x0
	s_barrier
	buffer_gl0_inv
	s_and_saveexec_b32 s78, s4
	s_cbranch_execz .LBB125_704
; %bb.702:
	s_clause 0x3
	buffer_load_dword v0, off, s[0:3], 0 offset:1512
	buffer_load_dword v1, off, s[0:3], 0 offset:1516
	;; [unrolled: 1-line block ×4, first 2 shown]
	v_cmp_eq_f64_e64 s9, 0, v[13:14]
	v_cmp_eq_f64_e64 s10, 0, v[125:126]
	;; [unrolled: 1-line block ×3, first 2 shown]
	s_waitcnt vmcnt(2)
	v_cmp_eq_f64_e32 vcc_lo, 0, v[0:1]
	s_waitcnt vmcnt(0)
	v_cmp_eq_f64_e64 s4, 0, v[2:3]
	s_clause 0x3
	buffer_load_dword v0, off, s[0:3], 0 offset:1528
	buffer_load_dword v1, off, s[0:3], 0 offset:1532
	;; [unrolled: 1-line block ×4, first 2 shown]
	s_and_b32 s4, vcc_lo, s4
	v_cmp_eq_f64_e32 vcc_lo, 0, v[15:16]
	s_and_b32 s9, s9, vcc_lo
	s_waitcnt vmcnt(2)
	v_cmp_neq_f64_e64 s5, 0, v[0:1]
	s_waitcnt vmcnt(0)
	v_cmp_neq_f64_e64 s6, 0, v[2:3]
	s_clause 0x3
	buffer_load_dword v0, off, s[0:3], 0 offset:1544
	buffer_load_dword v1, off, s[0:3], 0 offset:1548
	;; [unrolled: 1-line block ×4, first 2 shown]
	s_or_b32 s5, s5, s6
	v_cmp_eq_f64_e64 s6, 0, v[19:20]
	s_waitcnt vmcnt(2)
	v_cmp_eq_f64_e64 s7, 0, v[0:1]
	v_cndmask_b32_e64 v0, 0, 1, s4
	s_waitcnt vmcnt(0)
	v_cmp_eq_f64_e64 s8, 0, v[2:3]
	s_or_b32 s4, s5, s4
	v_cmp_eq_f64_e64 s5, 0, v[17:18]
	v_cndmask_b32_e64 v0, 2, v0, s4
	v_cmp_eq_u32_e64 s4, 0, v0
	s_and_b32 s7, s7, s8
	v_cmp_eq_f64_e64 s8, 0, v[23:24]
	s_and_b32 s4, s7, s4
	v_cmp_eq_f64_e64 s7, 0, v[21:22]
	v_cndmask_b32_e64 v0, v0, 3, s4
	s_and_b32 s5, s5, s6
	v_cmp_eq_f64_e64 s6, 0, v[31:32]
	v_cmp_eq_u32_e64 s4, 0, v0
	s_and_b32 s4, s9, s4
	v_cmp_eq_f64_e64 s9, 0, v[27:28]
	v_cndmask_b32_e64 v0, v0, 4, s4
	v_cmp_eq_f64_e64 s4, 0, v[25:26]
	v_cmp_eq_u32_e32 vcc_lo, 0, v0
	s_and_b32 s7, s7, s8
	s_and_b32 s5, s5, vcc_lo
	v_cmp_eq_f64_e64 s8, 0, v[35:36]
	v_cndmask_b32_e64 v0, v0, 5, s5
	v_cmp_eq_f64_e64 s5, 0, v[29:30]
	v_cmp_eq_u32_e32 vcc_lo, 0, v0
	s_and_b32 s7, s7, vcc_lo
	s_and_b32 s4, s4, s9
	v_cndmask_b32_e64 v0, v0, 6, s7
	v_cmp_eq_f64_e64 s7, 0, v[33:34]
	v_cmp_eq_f64_e64 s9, 0, v[39:40]
	v_cmp_eq_u32_e32 vcc_lo, 0, v0
	s_and_b32 s4, s4, vcc_lo
	s_and_b32 s5, s5, s6
	v_cndmask_b32_e64 v0, v0, 7, s4
	v_cmp_eq_f64_e64 s4, 0, v[37:38]
	;; [unrolled: 6-line block ×23, first 2 shown]
	v_cmp_eq_f64_e64 s6, 0, v[131:132]
	v_cmp_eq_u32_e32 vcc_lo, 0, v0
	s_and_b32 s5, s5, vcc_lo
	v_cndmask_b32_e64 v0, v0, 29, s5
	s_and_b32 s5, s7, s8
	v_cmp_eq_f64_e64 s7, 0, v[133:134]
	v_cmp_eq_f64_e64 s8, 0, v[135:136]
	v_cmp_eq_u32_e32 vcc_lo, 0, v0
	s_and_b32 s5, s5, vcc_lo
	s_and_b32 s4, s4, s9
	v_cndmask_b32_e64 v0, v0, 30, s5
	v_cmp_eq_f64_e64 s5, 0, v[129:130]
	v_cmp_eq_u32_e32 vcc_lo, 0, v0
	s_and_b32 s4, s4, vcc_lo
	v_cndmask_b32_e64 v0, v0, 31, s4
	s_and_b32 s4, s10, s11
	v_cmp_eq_u32_e32 vcc_lo, 0, v0
	s_and_b32 s4, s4, vcc_lo
	s_and_b32 s5, s5, s6
	v_cndmask_b32_e64 v0, v0, 32, s4
	v_cmp_eq_f64_e32 vcc_lo, 0, v[137:138]
	v_cmp_eq_f64_e64 s4, 0, v[139:140]
	v_cmp_eq_f64_e64 s6, 0, v[143:144]
	v_cmp_eq_u32_e64 s9, 0, v0
	s_and_b32 s5, s5, s9
	s_and_b32 s9, s7, s8
	v_cndmask_b32_e64 v2, v0, 33, s5
	v_cmp_eq_f64_e64 s5, 0, v[141:142]
	v_lshlrev_b64 v[0:1], 2, v[253:254]
	v_cmp_eq_u32_e64 s7, 0, v2
	v_add_co_u32 v0, s8, s14, v0
	s_and_b32 s7, s9, s7
	v_add_co_ci_u32_e64 v1, null, s15, v1, s8
	v_cndmask_b32_e64 v2, v2, 34, s7
	s_and_b32 s4, vcc_lo, s4
	v_cmp_eq_f64_e64 s8, 0, v[145:146]
	v_cmp_eq_f64_e64 s9, 0, v[147:148]
	global_load_dword v3, v[0:1], off
	v_cmp_eq_u32_e64 s7, 0, v2
	s_and_b32 s4, s4, s7
	s_and_b32 s5, s5, s6
	v_cndmask_b32_e64 v2, v2, 35, s4
	v_cmp_eq_f64_e64 s4, 0, v[149:150]
	v_cmp_eq_f64_e64 s7, 0, v[151:152]
	;; [unrolled: 1-line block ×3, first 2 shown]
	v_cmp_eq_u32_e32 vcc_lo, 0, v2
	s_and_b32 s5, s5, vcc_lo
	v_cndmask_b32_e64 v2, v2, 36, s5
	s_and_b32 s8, s8, s9
	v_cmp_eq_f64_e64 s5, 0, v[153:154]
	v_cmp_eq_f64_e64 s9, 0, v[159:160]
	v_cmp_eq_u32_e32 vcc_lo, 0, v2
	s_and_b32 s8, s8, vcc_lo
	v_cndmask_b32_e64 v2, v2, 37, s8
	s_and_b32 s4, s4, s7
	v_cmp_eq_f64_e64 s8, 0, v[157:158]
	v_cmp_eq_f64_e64 s7, 0, v[163:164]
	;; [unrolled: 6-line block ×24, first 2 shown]
	v_cmp_eq_u32_e32 vcc_lo, 0, v2
	s_and_b32 s5, s5, vcc_lo
	v_cndmask_b32_e64 v2, v2, 60, s5
	s_and_b32 s8, s8, s9
	v_cmp_eq_f64_e64 s5, 0, v[249:250]
	v_cmp_eq_u32_e32 vcc_lo, 0, v2
	s_and_b32 s8, s8, vcc_lo
	v_cndmask_b32_e64 v2, v2, 61, s8
	s_and_b32 s4, s4, s7
	v_cmp_eq_u32_e32 vcc_lo, 0, v2
	s_and_b32 s4, s4, vcc_lo
	v_cndmask_b32_e64 v2, v2, 62, s4
	s_and_b32 s4, s5, s6
	v_cmp_eq_u32_e32 vcc_lo, 0, v2
	s_and_b32 s4, s4, vcc_lo
	s_waitcnt vmcnt(0)
	v_cmp_eq_u32_e32 vcc_lo, 0, v3
	v_cndmask_b32_e64 v2, v2, 63, s4
	v_cmp_ne_u32_e64 s4, 0, v2
	s_and_b32 s4, vcc_lo, s4
	s_and_b32 exec_lo, exec_lo, s4
	s_cbranch_execz .LBB125_704
; %bb.703:
	v_add_nc_u32_e32 v2, s17, v2
	global_store_dword v[0:1], v2, off
.LBB125_704:
	s_or_b32 exec_lo, exec_lo, s78
	v_mov_b32_e32 v7, s76
	v_mov_b32_e32 v15, s75
	;; [unrolled: 1-line block ×20, first 2 shown]
	s_clause 0x3e
	buffer_load_dword v8, off, s[0:3], 0
	buffer_load_dword v9, off, s[0:3], 0 offset:4
	buffer_load_dword v10, off, s[0:3], 0 offset:8
	;; [unrolled: 1-line block ×3, first 2 shown]
	buffer_load_dword v0, v3, s[0:3], 0 offen
	buffer_load_dword v1, v3, s[0:3], 0 offen offset:4
	buffer_load_dword v2, v3, s[0:3], 0 offen offset:8
	buffer_load_dword v3, v3, s[0:3], 0 offen offset:12
	buffer_load_dword v4, v7, s[0:3], 0 offen
	buffer_load_dword v5, v7, s[0:3], 0 offen offset:4
	buffer_load_dword v6, v7, s[0:3], 0 offen offset:8
	buffer_load_dword v7, v7, s[0:3], 0 offen offset:12
	buffer_load_dword v12, v15, s[0:3], 0 offen
	buffer_load_dword v13, v15, s[0:3], 0 offen offset:4
	buffer_load_dword v14, v15, s[0:3], 0 offen offset:8
	buffer_load_dword v15, v15, s[0:3], 0 offen offset:12
	buffer_load_dword v16, v19, s[0:3], 0 offen
	buffer_load_dword v17, v19, s[0:3], 0 offen offset:4
	buffer_load_dword v18, v19, s[0:3], 0 offen offset:8
	buffer_load_dword v19, v19, s[0:3], 0 offen offset:12
	buffer_load_dword v20, v23, s[0:3], 0 offen
	buffer_load_dword v21, v23, s[0:3], 0 offen offset:4
	buffer_load_dword v22, v23, s[0:3], 0 offen offset:8
	buffer_load_dword v23, v23, s[0:3], 0 offen offset:12
	buffer_load_dword v24, v27, s[0:3], 0 offen
	buffer_load_dword v25, v27, s[0:3], 0 offen offset:4
	buffer_load_dword v26, v27, s[0:3], 0 offen offset:8
	buffer_load_dword v27, v27, s[0:3], 0 offen offset:12
	buffer_load_dword v28, v31, s[0:3], 0 offen
	buffer_load_dword v29, v31, s[0:3], 0 offen offset:4
	buffer_load_dword v30, v31, s[0:3], 0 offen offset:8
	buffer_load_dword v31, v31, s[0:3], 0 offen offset:12
	buffer_load_dword v32, v35, s[0:3], 0 offen
	buffer_load_dword v33, v35, s[0:3], 0 offen offset:4
	buffer_load_dword v34, v35, s[0:3], 0 offen offset:8
	buffer_load_dword v35, v35, s[0:3], 0 offen offset:12
	buffer_load_dword v36, v39, s[0:3], 0 offen
	buffer_load_dword v37, v39, s[0:3], 0 offen offset:4
	buffer_load_dword v38, v39, s[0:3], 0 offen offset:8
	buffer_load_dword v39, v39, s[0:3], 0 offen offset:12
	buffer_load_dword v40, v43, s[0:3], 0 offen
	buffer_load_dword v41, v43, s[0:3], 0 offen offset:4
	buffer_load_dword v42, v43, s[0:3], 0 offen offset:8
	buffer_load_dword v43, v43, s[0:3], 0 offen offset:12
	buffer_load_dword v44, v47, s[0:3], 0 offen
	buffer_load_dword v45, v47, s[0:3], 0 offen offset:4
	buffer_load_dword v46, v47, s[0:3], 0 offen offset:8
	buffer_load_dword v47, v47, s[0:3], 0 offen offset:12
	buffer_load_dword v48, v51, s[0:3], 0 offen
	buffer_load_dword v49, v51, s[0:3], 0 offen offset:4
	buffer_load_dword v50, v51, s[0:3], 0 offen offset:8
	buffer_load_dword v51, v51, s[0:3], 0 offen offset:12
	buffer_load_dword v52, v55, s[0:3], 0 offen
	buffer_load_dword v53, v55, s[0:3], 0 offen offset:4
	buffer_load_dword v54, v55, s[0:3], 0 offen offset:8
	buffer_load_dword v55, v55, s[0:3], 0 offen offset:12
	buffer_load_dword v56, v59, s[0:3], 0 offen
	buffer_load_dword v57, v59, s[0:3], 0 offen offset:4
	buffer_load_dword v58, v59, s[0:3], 0 offen offset:8
	buffer_load_dword v59, v59, s[0:3], 0 offen offset:12
	buffer_load_dword v60, v63, s[0:3], 0 offen
	buffer_load_dword v61, v63, s[0:3], 0 offen offset:4
	buffer_load_dword v62, v63, s[0:3], 0 offen offset:8
	s_clause 0x16
	buffer_load_dword v63, v63, s[0:3], 0 offen offset:12
	buffer_load_dword v64, v67, s[0:3], 0 offen
	buffer_load_dword v65, v67, s[0:3], 0 offen offset:4
	buffer_load_dword v66, v67, s[0:3], 0 offen offset:8
	buffer_load_dword v67, v67, s[0:3], 0 offen offset:12
	buffer_load_dword v68, v71, s[0:3], 0 offen
	buffer_load_dword v69, v71, s[0:3], 0 offen offset:4
	buffer_load_dword v70, v71, s[0:3], 0 offen offset:8
	;; [unrolled: 4-line block ×5, first 2 shown]
	buffer_load_dword v83, v83, s[0:3], 0 offen offset:12
	buffer_load_dword v89, off, s[0:3], 0 offset:1040
	buffer_load_dword v90, off, s[0:3], 0 offset:1044
	v_mov_b32_e32 v84, s57
	v_mov_b32_e32 v85, s56
	;; [unrolled: 1-line block ×42, first 2 shown]
	s_waitcnt vmcnt(0)
	global_store_dwordx4 v[89:90], v[8:11], off
	s_clause 0x5
	buffer_load_dword v8, v84, s[0:3], 0 offen
	buffer_load_dword v9, v84, s[0:3], 0 offen offset:4
	buffer_load_dword v10, v84, s[0:3], 0 offen offset:8
	buffer_load_dword v11, v84, s[0:3], 0 offen offset:12
	buffer_load_dword v89, off, s[0:3], 0 offset:1056
	buffer_load_dword v90, off, s[0:3], 0 offset:1060
	s_waitcnt vmcnt(0)
	global_store_dwordx4 v[89:90], v[0:3], off
	s_clause 0x9
	buffer_load_dword v0, v85, s[0:3], 0 offen
	buffer_load_dword v1, v85, s[0:3], 0 offen offset:4
	buffer_load_dword v2, v85, s[0:3], 0 offen offset:8
	buffer_load_dword v3, v85, s[0:3], 0 offen offset:12
	buffer_load_dword v84, v87, s[0:3], 0 offen
	buffer_load_dword v85, v87, s[0:3], 0 offen offset:4
	buffer_load_dword v86, v87, s[0:3], 0 offen offset:8
	buffer_load_dword v87, v87, s[0:3], 0 offen offset:12
	buffer_load_dword v89, off, s[0:3], 0 offset:1032
	buffer_load_dword v90, off, s[0:3], 0 offset:1036
	s_waitcnt vmcnt(0)
	global_store_dwordx4 v[89:90], v[4:7], off
	s_clause 0x9
	buffer_load_dword v4, v88, s[0:3], 0 offen
	buffer_load_dword v5, v88, s[0:3], 0 offen offset:4
	buffer_load_dword v6, v88, s[0:3], 0 offen offset:8
	buffer_load_dword v7, v88, s[0:3], 0 offen offset:12
	;; [unrolled: 13-line block ×20, first 2 shown]
	buffer_load_dword v160, v163, s[0:3], 0 offen
	buffer_load_dword v161, v163, s[0:3], 0 offen offset:4
	buffer_load_dword v162, v163, s[0:3], 0 offen offset:8
	;; [unrolled: 1-line block ×3, first 2 shown]
	buffer_load_dword v164, v167, s[0:3], 0 offen
	buffer_load_dword v165, v167, s[0:3], 0 offen offset:4
	buffer_load_dword v166, v167, s[0:3], 0 offen offset:8
	;; [unrolled: 1-line block ×3, first 2 shown]
	buffer_load_dword v168, off, s[0:3], 0 offset:1176
	buffer_load_dword v169, off, s[0:3], 0 offset:1180
	s_waitcnt vmcnt(0)
	global_store_dwordx4 v[168:169], v[8:11], off
	s_clause 0x1
	buffer_load_dword v8, off, s[0:3], 0 offset:1184
	buffer_load_dword v9, off, s[0:3], 0 offset:1188
	s_waitcnt vmcnt(0)
	global_store_dwordx4 v[8:9], v[0:3], off
	s_clause 0x1
	;; [unrolled: 5-line block ×41, first 2 shown]
	buffer_load_dword v0, off, s[0:3], 0 offset:1496
	buffer_load_dword v1, off, s[0:3], 0 offset:1500
	s_waitcnt vmcnt(0)
	global_store_dwordx4 v[0:1], v[164:167], off
.LBB125_705:
	s_endpgm
	.section	.rodata,"a",@progbits
	.p2align	6, 0x0
	.amdhsa_kernel _ZN9rocsolver6v33100L23getf2_npvt_small_kernelILi63E19rocblas_complex_numIdEiiPS3_EEvT1_T3_lS5_lPT2_S5_S5_
		.amdhsa_group_segment_fixed_size 0
		.amdhsa_private_segment_fixed_size 1568
		.amdhsa_kernarg_size 312
		.amdhsa_user_sgpr_count 6
		.amdhsa_user_sgpr_private_segment_buffer 1
		.amdhsa_user_sgpr_dispatch_ptr 0
		.amdhsa_user_sgpr_queue_ptr 0
		.amdhsa_user_sgpr_kernarg_segment_ptr 1
		.amdhsa_user_sgpr_dispatch_id 0
		.amdhsa_user_sgpr_flat_scratch_init 0
		.amdhsa_user_sgpr_private_segment_size 0
		.amdhsa_wavefront_size32 1
		.amdhsa_uses_dynamic_stack 0
		.amdhsa_system_sgpr_private_segment_wavefront_offset 1
		.amdhsa_system_sgpr_workgroup_id_x 1
		.amdhsa_system_sgpr_workgroup_id_y 1
		.amdhsa_system_sgpr_workgroup_id_z 0
		.amdhsa_system_sgpr_workgroup_info 0
		.amdhsa_system_vgpr_workitem_id 1
		.amdhsa_next_free_vgpr 256
		.amdhsa_next_free_sgpr 106
		.amdhsa_reserve_vcc 1
		.amdhsa_reserve_flat_scratch 0
		.amdhsa_float_round_mode_32 0
		.amdhsa_float_round_mode_16_64 0
		.amdhsa_float_denorm_mode_32 3
		.amdhsa_float_denorm_mode_16_64 3
		.amdhsa_dx10_clamp 1
		.amdhsa_ieee_mode 1
		.amdhsa_fp16_overflow 0
		.amdhsa_workgroup_processor_mode 1
		.amdhsa_memory_ordered 1
		.amdhsa_forward_progress 1
		.amdhsa_shared_vgpr_count 0
		.amdhsa_exception_fp_ieee_invalid_op 0
		.amdhsa_exception_fp_denorm_src 0
		.amdhsa_exception_fp_ieee_div_zero 0
		.amdhsa_exception_fp_ieee_overflow 0
		.amdhsa_exception_fp_ieee_underflow 0
		.amdhsa_exception_fp_ieee_inexact 0
		.amdhsa_exception_int_div_zero 0
	.end_amdhsa_kernel
	.section	.text._ZN9rocsolver6v33100L23getf2_npvt_small_kernelILi63E19rocblas_complex_numIdEiiPS3_EEvT1_T3_lS5_lPT2_S5_S5_,"axG",@progbits,_ZN9rocsolver6v33100L23getf2_npvt_small_kernelILi63E19rocblas_complex_numIdEiiPS3_EEvT1_T3_lS5_lPT2_S5_S5_,comdat
.Lfunc_end125:
	.size	_ZN9rocsolver6v33100L23getf2_npvt_small_kernelILi63E19rocblas_complex_numIdEiiPS3_EEvT1_T3_lS5_lPT2_S5_S5_, .Lfunc_end125-_ZN9rocsolver6v33100L23getf2_npvt_small_kernelILi63E19rocblas_complex_numIdEiiPS3_EEvT1_T3_lS5_lPT2_S5_S5_
                                        ; -- End function
	.set _ZN9rocsolver6v33100L23getf2_npvt_small_kernelILi63E19rocblas_complex_numIdEiiPS3_EEvT1_T3_lS5_lPT2_S5_S5_.num_vgpr, 256
	.set _ZN9rocsolver6v33100L23getf2_npvt_small_kernelILi63E19rocblas_complex_numIdEiiPS3_EEvT1_T3_lS5_lPT2_S5_S5_.num_agpr, 0
	.set _ZN9rocsolver6v33100L23getf2_npvt_small_kernelILi63E19rocblas_complex_numIdEiiPS3_EEvT1_T3_lS5_lPT2_S5_S5_.numbered_sgpr, 106
	.set _ZN9rocsolver6v33100L23getf2_npvt_small_kernelILi63E19rocblas_complex_numIdEiiPS3_EEvT1_T3_lS5_lPT2_S5_S5_.num_named_barrier, 0
	.set _ZN9rocsolver6v33100L23getf2_npvt_small_kernelILi63E19rocblas_complex_numIdEiiPS3_EEvT1_T3_lS5_lPT2_S5_S5_.private_seg_size, 1568
	.set _ZN9rocsolver6v33100L23getf2_npvt_small_kernelILi63E19rocblas_complex_numIdEiiPS3_EEvT1_T3_lS5_lPT2_S5_S5_.uses_vcc, 1
	.set _ZN9rocsolver6v33100L23getf2_npvt_small_kernelILi63E19rocblas_complex_numIdEiiPS3_EEvT1_T3_lS5_lPT2_S5_S5_.uses_flat_scratch, 0
	.set _ZN9rocsolver6v33100L23getf2_npvt_small_kernelILi63E19rocblas_complex_numIdEiiPS3_EEvT1_T3_lS5_lPT2_S5_S5_.has_dyn_sized_stack, 0
	.set _ZN9rocsolver6v33100L23getf2_npvt_small_kernelILi63E19rocblas_complex_numIdEiiPS3_EEvT1_T3_lS5_lPT2_S5_S5_.has_recursion, 0
	.set _ZN9rocsolver6v33100L23getf2_npvt_small_kernelILi63E19rocblas_complex_numIdEiiPS3_EEvT1_T3_lS5_lPT2_S5_S5_.has_indirect_call, 0
	.section	.AMDGPU.csdata,"",@progbits
; Kernel info:
; codeLenInByte = 157344
; TotalNumSgprs: 108
; NumVgprs: 256
; ScratchSize: 1568
; MemoryBound: 0
; FloatMode: 240
; IeeeMode: 1
; LDSByteSize: 0 bytes/workgroup (compile time only)
; SGPRBlocks: 0
; VGPRBlocks: 31
; NumSGPRsForWavesPerEU: 108
; NumVGPRsForWavesPerEU: 256
; Occupancy: 4
; WaveLimiterHint : 1
; COMPUTE_PGM_RSRC2:SCRATCH_EN: 1
; COMPUTE_PGM_RSRC2:USER_SGPR: 6
; COMPUTE_PGM_RSRC2:TRAP_HANDLER: 0
; COMPUTE_PGM_RSRC2:TGID_X_EN: 1
; COMPUTE_PGM_RSRC2:TGID_Y_EN: 1
; COMPUTE_PGM_RSRC2:TGID_Z_EN: 0
; COMPUTE_PGM_RSRC2:TIDIG_COMP_CNT: 1
	.section	.text._ZN9rocsolver6v33100L18getf2_small_kernelILi64E19rocblas_complex_numIdEiiPS3_EEvT1_T3_lS5_lPS5_llPT2_S5_S5_S7_l,"axG",@progbits,_ZN9rocsolver6v33100L18getf2_small_kernelILi64E19rocblas_complex_numIdEiiPS3_EEvT1_T3_lS5_lPS5_llPT2_S5_S5_S7_l,comdat
	.globl	_ZN9rocsolver6v33100L18getf2_small_kernelILi64E19rocblas_complex_numIdEiiPS3_EEvT1_T3_lS5_lPS5_llPT2_S5_S5_S7_l ; -- Begin function _ZN9rocsolver6v33100L18getf2_small_kernelILi64E19rocblas_complex_numIdEiiPS3_EEvT1_T3_lS5_lPS5_llPT2_S5_S5_S7_l
	.p2align	8
	.type	_ZN9rocsolver6v33100L18getf2_small_kernelILi64E19rocblas_complex_numIdEiiPS3_EEvT1_T3_lS5_lPS5_llPT2_S5_S5_S7_l,@function
_ZN9rocsolver6v33100L18getf2_small_kernelILi64E19rocblas_complex_numIdEiiPS3_EEvT1_T3_lS5_lPS5_llPT2_S5_S5_S7_l: ; @_ZN9rocsolver6v33100L18getf2_small_kernelILi64E19rocblas_complex_numIdEiiPS3_EEvT1_T3_lS5_lPS5_llPT2_S5_S5_S7_l
; %bb.0:
	s_clause 0x1
	s_load_dword s6, s[4:5], 0x6c
	s_load_dwordx2 s[12:13], s[4:5], 0x48
	s_add_u32 s0, s0, s8
	s_addc_u32 s1, s1, 0
	s_waitcnt lgkmcnt(0)
	s_lshr_b32 s6, s6, 16
	v_mad_u64_u32 v[6:7], null, s7, s6, v[1:2]
	s_mov_b32 s6, exec_lo
	v_cmpx_gt_i32_e64 s12, v6
	s_cbranch_execnz .LBB126_1
; %bb.1484:
	s_getpc_b64 s[102:103]
.Lpost_getpc28:
	s_add_u32 s102, s102, (.LBB126_1483-.Lpost_getpc28)&4294967295
	s_addc_u32 s103, s103, (.LBB126_1483-.Lpost_getpc28)>>32
	s_setpc_b64 s[102:103]
.LBB126_1:
	s_load_dwordx4 s[8:11], s[4:5], 0x50
	v_mov_b32_e32 v8, 0
	v_ashrrev_i32_e32 v7, 31, v6
	v_mov_b32_e32 v9, 0
	s_waitcnt lgkmcnt(0)
	s_cmp_eq_u64 s[8:9], 0
	s_cselect_b32 s20, -1, 0
	s_and_b32 vcc_lo, exec_lo, s20
	s_cbranch_vccnz .LBB126_3
; %bb.2:
	v_mul_lo_u32 v4, s11, v6
	v_mul_lo_u32 v5, s10, v7
	v_mad_u64_u32 v[2:3], null, s10, v6, 0
	v_add3_u32 v3, v3, v5, v4
	v_lshlrev_b64 v[2:3], 2, v[2:3]
	v_add_co_u32 v8, vcc_lo, s8, v2
	v_add_co_ci_u32_e64 v9, null, s9, v3, vcc_lo
.LBB126_3:
	s_clause 0x2
	s_load_dwordx8 s[36:43], s[4:5], 0x20
	s_load_dword s6, s[4:5], 0x18
	s_load_dwordx4 s[16:19], s[4:5], 0x8
                                        ; implicit-def: $vgpr162 : SGPR spill to VGPR lane
	v_lshlrev_b32_e32 v11, 4, v0
	s_clause 0x1
	s_load_dword s57, s[4:5], 0x0
	s_load_dwordx2 s[4:5], s[4:5], 0x40
	s_movk_i32 s28, 0xf0
	s_movk_i32 s29, 0x100
	;; [unrolled: 1-line block ×14, first 2 shown]
	s_waitcnt lgkmcnt(0)
	s_mov_b64 s[24:25], s[40:41]
	s_mov_b64 s[26:27], s[42:43]
	;; [unrolled: 1-line block ×3, first 2 shown]
	v_mul_lo_u32 v5, s37, v6
	v_mul_lo_u32 v10, s36, v7
	v_writelane_b32 v162, s20, 0
	v_mad_u64_u32 v[2:3], null, s36, v6, 0
	v_add3_u32 v4, s6, s6, v0
	s_lshl_b64 s[18:19], s[18:19], 4
	v_writelane_b32 v162, s21, 1
	s_ashr_i32 s7, s6, 31
	s_movk_i32 s36, 0x160
	v_add_nc_u32_e32 v12, s6, v4
	v_add3_u32 v3, v3, v10, v5
	v_writelane_b32 v162, s22, 2
	v_ashrrev_i32_e32 v5, 31, v4
	s_lshl_b64 s[8:9], s[6:7], 4
	v_add_nc_u32_e32 v14, s6, v12
	v_lshlrev_b64 v[2:3], 4, v[2:3]
	v_writelane_b32 v162, s23, 3
	v_ashrrev_i32_e32 v13, 31, v12
	v_lshlrev_b64 v[4:5], 4, v[4:5]
	v_add_nc_u32_e32 v16, s6, v14
	v_ashrrev_i32_e32 v15, 31, v14
	v_add_co_u32 v10, vcc_lo, s16, v2
	v_writelane_b32 v162, s24, 4
	v_add_co_ci_u32_e64 v18, null, s17, v3, vcc_lo
	v_add_co_u32 v148, vcc_lo, v10, s18
	v_writelane_b32 v162, s25, 5
	v_lshlrev_b64 v[12:13], 4, v[12:13]
	v_ashrrev_i32_e32 v17, 31, v16
	v_add_co_ci_u32_e64 v149, null, s19, v18, vcc_lo
	v_lshlrev_b64 v[2:3], 4, v[14:15]
	v_add_nc_u32_e32 v24, s6, v16
	v_add_co_u32 v124, vcc_lo, v148, v11
	v_writelane_b32 v162, s26, 6
	v_lshlrev_b64 v[14:15], 4, v[16:17]
	v_add_co_ci_u32_e64 v125, null, 0, v149, vcc_lo
	v_add_co_u32 v16, vcc_lo, v148, v12
	v_ashrrev_i32_e32 v25, 31, v24
	v_add_co_ci_u32_e64 v17, null, v149, v13, vcc_lo
	v_add_co_u32 v2, vcc_lo, v148, v2
	v_add_nc_u32_e32 v34, s6, v24
	v_writelane_b32 v162, s27, 7
	v_add_co_ci_u32_e64 v3, null, v149, v3, vcc_lo
	v_add_co_u32 v32, vcc_lo, v148, v14
	v_add_co_ci_u32_e64 v33, null, v149, v15, vcc_lo
	s_clause 0x2
	global_load_dwordx4 v[12:15], v[124:125], off
	global_load_dwordx4 v[16:19], v[16:17], off
	;; [unrolled: 1-line block ×3, first 2 shown]
	v_add_co_u32 v2, vcc_lo, v124, s8
	v_lshlrev_b64 v[25:26], 4, v[24:25]
	v_add_nc_u32_e32 v40, s6, v34
	v_writelane_b32 v162, s8, 8
	v_add_co_ci_u32_e64 v3, null, s9, v125, vcc_lo
	v_add_co_u32 v4, vcc_lo, v148, v4
	v_add_co_ci_u32_e64 v5, null, v149, v5, vcc_lo
	v_ashrrev_i32_e32 v35, 31, v34
	v_add_co_u32 v36, vcc_lo, v148, v25
	v_ashrrev_i32_e32 v41, 31, v40
	v_add_co_ci_u32_e64 v37, null, v149, v26, vcc_lo
	s_clause 0x1
	global_load_dwordx4 v[24:27], v[2:3], off
	global_load_dwordx4 v[28:31], v[4:5], off
	v_add_nc_u32_e32 v4, s6, v40
	v_lshlrev_b64 v[2:3], 4, v[34:35]
	v_lshlrev_b64 v[40:41], 4, v[40:41]
	s_clause 0x1
	global_load_dwordx4 v[32:35], v[32:33], off
	global_load_dwordx4 v[36:39], v[36:37], off
	s_max_i32 s7, s57, 64
	v_add_nc_u32_e32 v48, s6, v4
	v_ashrrev_i32_e32 v5, 31, v4
	v_add_co_u32 v2, vcc_lo, v148, v2
	v_add_co_ci_u32_e64 v3, null, v149, v3, vcc_lo
	v_add_co_u32 v44, vcc_lo, v148, v40
	v_add_nc_u32_e32 v50, s6, v48
	v_add_co_ci_u32_e64 v45, null, v149, v41, vcc_lo
	v_ashrrev_i32_e32 v49, 31, v48
	v_lshlrev_b64 v[4:5], 4, v[4:5]
	s_clause 0x1
	global_load_dwordx4 v[40:43], v[2:3], off
	global_load_dwordx4 v[44:47], v[44:45], off
	v_add_nc_u32_e32 v2, s6, v50
	v_ashrrev_i32_e32 v51, 31, v50
	v_lshlrev_b64 v[48:49], 4, v[48:49]
	v_writelane_b32 v162, s9, 9
	v_add_co_u32 v4, vcc_lo, v148, v4
	v_ashrrev_i32_e32 v3, 31, v2
	v_add_nc_u32_e32 v56, s6, v2
	v_add_co_ci_u32_e64 v5, null, v149, v5, vcc_lo
	v_add_co_u32 v52, vcc_lo, v148, v48
	v_lshlrev_b64 v[58:59], 4, v[50:51]
	v_add_co_ci_u32_e64 v53, null, v149, v49, vcc_lo
	v_lshlrev_b64 v[2:3], 4, v[2:3]
	v_add_nc_u32_e32 v64, s6, v56
	s_clause 0x1
	global_load_dwordx4 v[48:51], v[4:5], off
	global_load_dwordx4 v[52:55], v[52:53], off
	v_add_co_u32 v4, vcc_lo, v148, v58
	v_add_co_ci_u32_e64 v5, null, v149, v59, vcc_lo
	v_add_co_u32 v2, vcc_lo, v148, v2
	v_ashrrev_i32_e32 v57, 31, v56
	v_add_nc_u32_e32 v66, s6, v64
	v_add_co_ci_u32_e64 v3, null, v149, v3, vcc_lo
	v_ashrrev_i32_e32 v65, 31, v64
	v_lshlrev_b64 v[68:69], 4, v[56:57]
	s_clause 0x1
	global_load_dwordx4 v[56:59], v[4:5], off
	global_load_dwordx4 v[60:63], v[2:3], off
	v_add_nc_u32_e32 v4, s6, v66
	v_ashrrev_i32_e32 v67, 31, v66
	v_lshlrev_b64 v[2:3], 4, v[64:65]
	v_writelane_b32 v162, s4, 10
	v_add_co_u32 v64, vcc_lo, v148, v68
	v_ashrrev_i32_e32 v5, 31, v4
	v_add_nc_u32_e32 v72, s6, v4
	v_lshlrev_b64 v[66:67], 4, v[66:67]
	v_add_co_ci_u32_e64 v65, null, v149, v69, vcc_lo
	v_lshlrev_b64 v[4:5], 4, v[4:5]
	v_add_co_u32 v2, vcc_lo, v148, v2
	v_add_nc_u32_e32 v80, s6, v72
	v_add_co_ci_u32_e64 v3, null, v149, v3, vcc_lo
	v_add_co_u32 v74, vcc_lo, v148, v66
	v_add_co_ci_u32_e64 v75, null, v149, v67, vcc_lo
	v_add_co_u32 v4, vcc_lo, v148, v4
	v_ashrrev_i32_e32 v73, 31, v72
	v_ashrrev_i32_e32 v81, 31, v80
	v_add_co_ci_u32_e64 v5, null, v149, v5, vcc_lo
	s_clause 0x1
	global_load_dwordx4 v[64:67], v[64:65], off
	global_load_dwordx4 v[68:71], v[2:3], off
	v_lshlrev_b64 v[2:3], 4, v[72:73]
	s_clause 0x1
	global_load_dwordx4 v[72:75], v[74:75], off
	global_load_dwordx4 v[76:79], v[4:5], off
	v_lshlrev_b64 v[4:5], 4, v[80:81]
	v_add_nc_u32_e32 v80, s6, v80
	v_mov_b32_e32 v10, 0
	v_writelane_b32 v162, s5, 11
	v_add_co_u32 v2, vcc_lo, v148, v2
	v_add_nc_u32_e32 v88, s6, v80
	v_ashrrev_i32_e32 v81, 31, v80
	v_add_co_ci_u32_e64 v3, null, v149, v3, vcc_lo
	v_add_co_u32 v4, vcc_lo, v148, v4
	v_ashrrev_i32_e32 v89, 31, v88
	v_add_co_ci_u32_e64 v5, null, v149, v5, vcc_lo
	v_add_nc_u32_e32 v90, s6, v88
	v_lshlrev_b64 v[91:92], 4, v[80:81]
	s_clause 0x1
	global_load_dwordx4 v[80:83], v[2:3], off
	global_load_dwordx4 v[84:87], v[4:5], off
	v_lshlrev_b64 v[2:3], 4, v[88:89]
	s_movk_i32 s5, 0x50
	v_add_nc_u32_e32 v4, s6, v90
	s_movk_i32 s18, 0x70
	v_add_co_u32 v88, vcc_lo, v148, v91
	v_add_co_ci_u32_e64 v89, null, v149, v92, vcc_lo
	v_add_co_u32 v2, vcc_lo, v148, v2
	v_ashrrev_i32_e32 v91, 31, v90
	v_add_nc_u32_e32 v96, s6, v4
	v_add_co_ci_u32_e64 v3, null, v149, v3, vcc_lo
	v_ashrrev_i32_e32 v5, 31, v4
	v_lshlrev_b64 v[98:99], 4, v[90:91]
	s_clause 0x1
	global_load_dwordx4 v[88:91], v[88:89], off
	global_load_dwordx4 v[92:95], v[2:3], off
	v_add_nc_u32_e32 v2, s6, v96
	v_ashrrev_i32_e32 v97, 31, v96
	v_lshlrev_b64 v[4:5], 4, v[4:5]
	s_movk_i32 s19, 0x80
	v_add_co_u32 v98, vcc_lo, v148, v98
	v_add_nc_u32_e32 v104, s6, v2
	v_ashrrev_i32_e32 v3, 31, v2
	v_lshlrev_b64 v[96:97], 4, v[96:97]
	v_add_co_ci_u32_e64 v99, null, v149, v99, vcc_lo
	v_add_nc_u32_e32 v120, s6, v104
	v_add_co_u32 v4, vcc_lo, v148, v4
	v_ashrrev_i32_e32 v105, 31, v104
	v_lshlrev_b64 v[2:3], 4, v[2:3]
	v_add_co_ci_u32_e64 v5, null, v149, v5, vcc_lo
	v_ashrrev_i32_e32 v121, 31, v120
	v_add_co_u32 v106, vcc_lo, v148, v96
	v_add_co_ci_u32_e64 v107, null, v149, v97, vcc_lo
	s_clause 0x1
	global_load_dwordx4 v[96:99], v[98:99], off
	global_load_dwordx4 v[100:103], v[4:5], off
	v_lshlrev_b64 v[4:5], 4, v[104:105]
	v_add_co_u32 v2, vcc_lo, v148, v2
	v_lshlrev_b64 v[112:113], 4, v[120:121]
	v_add_co_ci_u32_e64 v3, null, v149, v3, vcc_lo
	v_add_co_u32 v4, vcc_lo, v148, v4
	s_clause 0x1
	global_load_dwordx4 v[104:107], v[106:107], off
	global_load_dwordx4 v[108:111], v[2:3], off
	v_add_co_ci_u32_e64 v5, null, v149, v5, vcc_lo
	v_add_co_u32 v2, vcc_lo, v148, v112
	v_add_co_ci_u32_e64 v3, null, v149, v113, vcc_lo
	s_clause 0x1
	global_load_dwordx4 v[112:115], v[4:5], off
	global_load_dwordx4 v[116:119], v[2:3], off
	v_add_nc_u32_e32 v2, s6, v120
	s_movk_i32 s22, 0x90
	s_movk_i32 s23, 0xa0
	;; [unrolled: 1-line block ×4, first 2 shown]
	v_ashrrev_i32_e32 v3, 31, v2
	s_movk_i32 s26, 0xd0
	s_movk_i32 s27, 0xe0
	;; [unrolled: 1-line block ×4, first 2 shown]
	v_lshlrev_b64 v[3:4], 4, v[2:3]
	v_add_nc_u32_e32 v2, s6, v2
	s_movk_i32 s39, 0x190
	s_movk_i32 s40, 0x1a0
	;; [unrolled: 1-line block ×4, first 2 shown]
	v_add_co_u32 v3, vcc_lo, v148, v3
	v_add_co_ci_u32_e64 v4, null, v149, v4, vcc_lo
	v_add_nc_u32_e32 v126, s6, v2
	s_movk_i32 s43, 0x1d0
	s_movk_i32 s85, 0x250
	global_load_dwordx4 v[120:123], v[3:4], off
	v_ashrrev_i32_e32 v3, 31, v2
	v_add_nc_u32_e32 v128, s6, v126
	v_ashrrev_i32_e32 v127, 31, v126
	s_movk_i32 s86, 0x260
	s_movk_i32 s87, 0x270
	v_lshlrev_b64 v[130:131], 4, v[2:3]
	v_add_nc_u32_e32 v132, s6, v128
	global_load_dwordx4 v[2:5], v[124:125], off
	v_lshlrev_b64 v[124:125], 4, v[126:127]
	v_ashrrev_i32_e32 v129, 31, v128
	s_movk_i32 s88, 0x280
	v_add_co_u32 v126, vcc_lo, v148, v130
	v_add_nc_u32_e32 v130, s6, v132
	v_ashrrev_i32_e32 v133, 31, v132
	v_add_co_ci_u32_e64 v127, null, v149, v131, vcc_lo
	v_lshlrev_b64 v[128:129], 4, v[128:129]
	v_add_nc_u32_e32 v136, s6, v130
	v_ashrrev_i32_e32 v131, 31, v130
	v_lshlrev_b64 v[132:133], 4, v[132:133]
	v_add_co_u32 v134, vcc_lo, v148, v124
	v_add_nc_u32_e32 v142, s6, v136
	v_ashrrev_i32_e32 v137, 31, v136
	v_lshlrev_b64 v[140:141], 4, v[130:131]
	v_add_co_ci_u32_e64 v135, null, v149, v125, vcc_lo
	v_add_nc_u32_e32 v146, s6, v142
	v_add_co_u32 v138, vcc_lo, v148, v128
	v_ashrrev_i32_e32 v143, 31, v142
	v_add_co_ci_u32_e64 v139, null, v149, v129, vcc_lo
	v_add_co_u32 v144, vcc_lo, v148, v132
	v_lshlrev_b64 v[136:137], 4, v[136:137]
	v_add_nc_u32_e32 v152, s6, v146
	v_add_co_ci_u32_e64 v145, null, v149, v133, vcc_lo
	v_add_co_u32 v140, vcc_lo, v148, v140
	v_ashrrev_i32_e32 v147, 31, v146
	v_add_co_ci_u32_e64 v141, null, v149, v141, vcc_lo
	v_lshlrev_b64 v[150:151], 4, v[142:143]
	v_add_co_u32 v154, vcc_lo, v148, v136
	v_add_nc_u32_e32 v156, s6, v152
	s_clause 0x2
	global_load_dwordx4 v[124:127], v[126:127], off
	global_load_dwordx4 v[128:131], v[134:135], off
	;; [unrolled: 1-line block ×3, first 2 shown]
	v_add_co_ci_u32_e64 v155, null, v149, v137, vcc_lo
	s_clause 0x1
	global_load_dwordx4 v[136:139], v[144:145], off
	global_load_dwordx4 v[140:143], v[140:141], off
	v_lshlrev_b64 v[144:145], 4, v[146:147]
	v_ashrrev_i32_e32 v153, 31, v152
	v_add_co_u32 v146, vcc_lo, v148, v150
	v_ashrrev_i32_e32 v157, 31, v156
	v_add_nc_u32_e32 v158, s6, v156
	v_add_co_ci_u32_e64 v147, null, v149, v151, vcc_lo
	v_lshlrev_b64 v[150:151], 4, v[152:153]
	v_add_co_u32 v152, vcc_lo, v148, v144
	v_add_co_ci_u32_e64 v153, null, v149, v145, vcc_lo
	v_ashrrev_i32_e32 v159, 31, v158
	v_add_co_u32 v150, vcc_lo, v148, v150
	v_add_co_ci_u32_e64 v151, null, v149, v151, vcc_lo
	s_movk_i32 s89, 0x290
	s_movk_i32 s90, 0x2a0
	;; [unrolled: 1-line block ×14, first 2 shown]
	s_movk_i32 vcc_hi, 0x370
	s_movk_i32 s16, 0x380
	s_movk_i32 s17, 0x390
	s_movk_i32 s56, 0x3a0
	s_movk_i32 s21, 0x3b0
	s_movk_i32 s79, 0x3c0
	s_movk_i32 s80, 0x3d0
	s_movk_i32 s81, 0x3e0
	s_cmp_lt_i32 s57, 2
	s_waitcnt vmcnt(33)
	buffer_store_dword v15, off, s[0:3], 0 offset:12
	buffer_store_dword v14, off, s[0:3], 0 offset:8
	;; [unrolled: 1-line block ×3, first 2 shown]
	buffer_store_dword v12, off, s[0:3], 0
	s_clause 0x1
	global_load_dwordx4 v[12:15], v[154:155], off
	global_load_dwordx4 v[144:147], v[146:147], off
	v_lshlrev_b64 v[154:155], 4, v[156:157]
	v_add_nc_u32_e32 v156, s6, v158
	v_lshlrev_b64 v[158:159], 4, v[158:159]
	s_waitcnt vmcnt(34)
	buffer_store_dword v19, off, s[0:3], 0 offset:60
	buffer_store_dword v18, off, s[0:3], 0 offset:56
	;; [unrolled: 1-line block ×4, first 2 shown]
	s_waitcnt vmcnt(33)
	buffer_store_dword v23, off, s[0:3], 0 offset:76
	buffer_store_dword v22, off, s[0:3], 0 offset:72
	;; [unrolled: 1-line block ×4, first 2 shown]
	s_clause 0x1
	global_load_dwordx4 v[16:19], v[152:153], off
	global_load_dwordx4 v[20:23], v[150:151], off
	v_add_nc_u32_e32 v160, s6, v156
	v_ashrrev_i32_e32 v157, 31, v156
	v_add_co_u32 v154, vcc_lo, v148, v154
	v_add_co_ci_u32_e64 v155, null, v149, v155, vcc_lo
	v_add_nc_u32_e32 v152, s6, v160
	v_ashrrev_i32_e32 v161, 31, v160
	s_waitcnt vmcnt(32)
	buffer_store_dword v35, off, s[0:3], 0 offset:92
	buffer_store_dword v34, off, s[0:3], 0 offset:88
	;; [unrolled: 1-line block ×4, first 2 shown]
	v_add_co_u32 v32, vcc_lo, v148, v158
	v_add_nc_u32_e32 v158, s6, v152
	v_lshlrev_b64 v[150:151], 4, v[156:157]
	v_add_co_ci_u32_e64 v33, null, v149, v159, vcc_lo
	v_ashrrev_i32_e32 v153, 31, v152
	v_lshlrev_b64 v[156:157], 4, v[160:161]
	buffer_store_dword v27, off, s[0:3], 0 offset:28
	buffer_store_dword v26, off, s[0:3], 0 offset:24
	;; [unrolled: 1-line block ×4, first 2 shown]
	s_clause 0x1
	global_load_dwordx4 v[24:27], v[154:155], off
	global_load_dwordx4 v[32:35], v[32:33], off
	v_add_nc_u32_e32 v154, s6, v158
	v_add_co_u32 v150, vcc_lo, v148, v150
	buffer_store_dword v31, off, s[0:3], 0 offset:44
	buffer_store_dword v30, off, s[0:3], 0 offset:40
	;; [unrolled: 1-line block ×4, first 2 shown]
	v_lshlrev_b64 v[28:29], 4, v[152:153]
	v_ashrrev_i32_e32 v159, 31, v158
	v_add_co_ci_u32_e64 v151, null, v149, v151, vcc_lo
	v_add_co_u32 v152, vcc_lo, v148, v156
	v_add_nc_u32_e32 v160, s6, v154
	v_add_co_ci_u32_e64 v153, null, v149, v157, vcc_lo
	v_lshlrev_b64 v[158:159], 4, v[158:159]
	v_ashrrev_i32_e32 v155, 31, v154
	v_add_co_u32 v156, vcc_lo, v148, v28
	s_waitcnt vmcnt(33)
	buffer_store_dword v39, off, s[0:3], 0 offset:108
	buffer_store_dword v38, off, s[0:3], 0 offset:104
	;; [unrolled: 1-line block ×4, first 2 shown]
	v_add_co_ci_u32_e64 v157, null, v149, v29, vcc_lo
	s_clause 0x1
	global_load_dwordx4 v[28:31], v[150:151], off
	global_load_dwordx4 v[36:39], v[152:153], off
	v_ashrrev_i32_e32 v161, 31, v160
	v_add_nc_u32_e32 v152, s6, v160
	v_lshlrev_b64 v[150:151], 4, v[154:155]
	v_add_co_u32 v154, vcc_lo, v148, v158
	v_add_co_ci_u32_e64 v155, null, v149, v159, vcc_lo
	v_lshlrev_b64 v[158:159], 4, v[160:161]
	v_add_nc_u32_e32 v160, s6, v152
	s_waitcnt vmcnt(34)
	buffer_store_dword v43, off, s[0:3], 0 offset:124
	buffer_store_dword v42, off, s[0:3], 0 offset:120
	;; [unrolled: 1-line block ×4, first 2 shown]
	s_waitcnt vmcnt(33)
	buffer_store_dword v47, off, s[0:3], 0 offset:140
	buffer_store_dword v46, off, s[0:3], 0 offset:136
	;; [unrolled: 1-line block ×4, first 2 shown]
	s_clause 0x1
	global_load_dwordx4 v[40:43], v[156:157], off
	global_load_dwordx4 v[44:47], v[154:155], off
	s_waitcnt vmcnt(34)
	buffer_store_dword v51, off, s[0:3], 0 offset:156
	buffer_store_dword v50, off, s[0:3], 0 offset:152
	;; [unrolled: 1-line block ×4, first 2 shown]
	v_add_nc_u32_e32 v154, s6, v160
	v_ashrrev_i32_e32 v153, 31, v152
	v_ashrrev_i32_e32 v161, 31, v160
	v_add_co_u32 v150, vcc_lo, v148, v150
	v_ashrrev_i32_e32 v155, 31, v154
	v_add_co_ci_u32_e64 v151, null, v149, v151, vcc_lo
	s_movk_i32 s82, 0x3f0
	s_waitcnt vmcnt(33)
	buffer_store_dword v55, off, s[0:3], 0 offset:172
	buffer_store_dword v54, off, s[0:3], 0 offset:168
	buffer_store_dword v53, off, s[0:3], 0 offset:164
	buffer_store_dword v52, off, s[0:3], 0 offset:160
	s_waitcnt vmcnt(32)
	buffer_store_dword v59, off, s[0:3], 0 offset:188
	buffer_store_dword v58, off, s[0:3], 0 offset:184
	buffer_store_dword v57, off, s[0:3], 0 offset:180
	buffer_store_dword v56, off, s[0:3], 0 offset:176
	;; [unrolled: 5-line block ×16, first 2 shown]
	s_waitcnt vmcnt(17)
	buffer_store_dword v119, off, s[0:3], 0 offset:428
	buffer_store_dword v118, off, s[0:3], 0 offset:424
	v_add_nc_u32_e32 v60, s6, v154
	v_lshlrev_b64 v[56:57], 4, v[152:153]
	v_lshlrev_b64 v[58:59], 4, v[160:161]
	v_add_co_u32 v52, vcc_lo, v148, v158
	v_add_nc_u32_e32 v64, s6, v60
	v_add_co_ci_u32_e64 v53, null, v149, v159, vcc_lo
	v_add_co_u32 v56, vcc_lo, v148, v56
	v_add_nc_u32_e32 v72, s6, v64
	v_lshlrev_b64 v[62:63], 4, v[154:155]
	v_ashrrev_i32_e32 v61, 31, v60
	v_add_co_ci_u32_e64 v57, null, v149, v57, vcc_lo
	v_add_nc_u32_e32 v76, s6, v72
	v_add_co_u32 v66, vcc_lo, v148, v58
	v_ashrrev_i32_e32 v65, 31, v64
	v_add_co_ci_u32_e64 v67, null, v149, v59, vcc_lo
	v_ashrrev_i32_e32 v77, 31, v76
	v_ashrrev_i32_e32 v73, 31, v72
	v_add_co_u32 v68, vcc_lo, v148, v62
	v_lshlrev_b64 v[70:71], 4, v[60:61]
	v_lshlrev_b64 v[80:81], 4, v[76:77]
	v_add_nc_u32_e32 v76, s6, v76
	s_clause 0x1
	global_load_dwordx4 v[48:51], v[150:151], off
	global_load_dwordx4 v[52:55], v[52:53], off
	v_add_co_ci_u32_e64 v69, null, v149, v63, vcc_lo
	s_clause 0x1
	global_load_dwordx4 v[56:59], v[56:57], off
	global_load_dwordx4 v[60:63], v[66:67], off
	v_add_nc_u32_e32 v84, s6, v76
	v_lshlrev_b64 v[65:66], 4, v[64:65]
	v_lshlrev_b64 v[78:79], 4, v[72:73]
	v_add_co_u32 v70, vcc_lo, v148, v70
	v_add_nc_u32_e32 v88, s6, v84
	v_ashrrev_i32_e32 v77, 31, v76
	v_add_co_ci_u32_e64 v71, null, v149, v71, vcc_lo
	v_add_co_u32 v74, vcc_lo, v148, v65
	v_ashrrev_i32_e32 v89, 31, v88
	v_ashrrev_i32_e32 v85, 31, v84
	v_add_co_ci_u32_e64 v75, null, v149, v66, vcc_lo
	v_add_co_u32 v78, vcc_lo, v148, v78
	v_lshlrev_b64 v[92:93], 4, v[88:89]
	v_add_nc_u32_e32 v88, s6, v88
	v_add_co_ci_u32_e64 v79, null, v149, v79, vcc_lo
	v_add_co_u32 v80, vcc_lo, v148, v80
	v_add_nc_u32_e32 v96, s6, v88
	v_lshlrev_b64 v[86:87], 4, v[76:77]
	v_ashrrev_i32_e32 v89, 31, v88
	v_add_co_ci_u32_e64 v81, null, v149, v81, vcc_lo
	v_ashrrev_i32_e32 v97, 31, v96
	v_lshlrev_b64 v[90:91], 4, v[84:85]
	s_clause 0x2
	global_load_dwordx4 v[64:67], v[68:69], off
	global_load_dwordx4 v[68:71], v[70:71], off
	;; [unrolled: 1-line block ×3, first 2 shown]
	buffer_store_dword v117, off, s[0:3], 0 offset:420
	s_clause 0x1
	global_load_dwordx4 v[76:79], v[78:79], off
	global_load_dwordx4 v[80:83], v[80:81], off
	v_lshlrev_b64 v[100:101], 4, v[96:97]
	v_add_nc_u32_e32 v96, s6, v96
	v_add_co_u32 v86, vcc_lo, v148, v86
	s_waitcnt vmcnt(25)
	buffer_store_dword v122, off, s[0:3], 0 offset:440
	v_lshlrev_b64 v[98:99], 4, v[88:89]
	v_add_nc_u32_e32 v104, s6, v96
	v_ashrrev_i32_e32 v97, 31, v96
	v_add_co_ci_u32_e64 v87, null, v149, v87, vcc_lo
	v_add_co_u32 v90, vcc_lo, v148, v90
	v_add_nc_u32_e32 v106, s6, v104
	v_ashrrev_i32_e32 v105, 31, v104
	v_add_co_ci_u32_e64 v91, null, v149, v91, vcc_lo
	v_add_co_u32 v92, vcc_lo, v148, v92
	v_add_nc_u32_e32 v110, s6, v106
	v_lshlrev_b64 v[108:109], 4, v[96:97]
	buffer_store_dword v123, off, s[0:3], 0 offset:444
	v_add_co_ci_u32_e64 v93, null, v149, v93, vcc_lo
	v_add_nc_u32_e32 v114, s6, v110
	v_add_co_u32 v98, vcc_lo, v148, v98
	v_lshlrev_b64 v[104:105], 4, v[104:105]
	v_ashrrev_i32_e32 v107, 31, v106
	v_add_nc_u32_e32 v122, s6, v114
	v_add_co_ci_u32_e64 v99, null, v149, v99, vcc_lo
	v_add_co_u32 v100, vcc_lo, v148, v100
	v_ashrrev_i32_e32 v123, 31, v122
	v_ashrrev_i32_e32 v111, 31, v110
	v_add_co_ci_u32_e64 v101, null, v149, v101, vcc_lo
	v_add_co_u32 v108, vcc_lo, v148, v108
	v_lshlrev_b64 v[152:153], 4, v[122:123]
	v_add_nc_u32_e32 v122, s6, v122
	v_ashrrev_i32_e32 v115, 31, v114
	v_add_co_ci_u32_e64 v109, null, v149, v109, vcc_lo
	v_lshlrev_b64 v[106:107], 4, v[106:107]
	v_add_co_u32 v112, vcc_lo, v148, v104
	v_add_co_ci_u32_e64 v113, null, v149, v105, vcc_lo
	v_lshlrev_b64 v[104:105], 4, v[110:111]
	v_ashrrev_i32_e32 v123, 31, v122
	v_lshlrev_b64 v[150:151], 4, v[114:115]
	buffer_store_dword v116, off, s[0:3], 0 offset:416
	v_add_co_u32 v116, vcc_lo, v148, v106
	v_add_co_ci_u32_e64 v117, null, v149, v107, vcc_lo
	v_add_co_u32 v118, vcc_lo, v148, v104
	v_lshlrev_b64 v[154:155], 4, v[122:123]
	v_add_co_ci_u32_e64 v119, null, v149, v105, vcc_lo
	v_add_co_u32 v150, vcc_lo, v148, v150
	v_add_co_ci_u32_e64 v151, null, v149, v151, vcc_lo
	v_add_co_u32 v152, vcc_lo, v148, v152
	v_add_co_ci_u32_e64 v153, null, v149, v153, vcc_lo
	v_add_co_u32 v154, vcc_lo, v148, v154
	v_add_co_ci_u32_e64 v155, null, v149, v155, vcc_lo
	s_clause 0x8
	global_load_dwordx4 v[84:87], v[86:87], off
	global_load_dwordx4 v[88:91], v[90:91], off
	;; [unrolled: 1-line block ×9, first 2 shown]
	buffer_store_dword v121, off, s[0:3], 0 offset:436
	buffer_store_dword v120, off, s[0:3], 0 offset:432
	s_clause 0x2
	global_load_dwordx4 v[120:123], v[150:151], off
	global_load_dwordx4 v[150:153], v[152:153], off
	;; [unrolled: 1-line block ×3, first 2 shown]
	s_waitcnt vmcnt(35)
	buffer_store_dword v127, off, s[0:3], 0 offset:460
	buffer_store_dword v126, off, s[0:3], 0 offset:456
	buffer_store_dword v125, off, s[0:3], 0 offset:452
	buffer_store_dword v124, off, s[0:3], 0 offset:448
	s_waitcnt vmcnt(34)
	buffer_store_dword v131, off, s[0:3], 0 offset:476
	buffer_store_dword v130, off, s[0:3], 0 offset:472
	buffer_store_dword v129, off, s[0:3], 0 offset:468
	buffer_store_dword v128, off, s[0:3], 0 offset:464
	;; [unrolled: 5-line block ×22, first 2 shown]
	s_waitcnt vmcnt(13)
	buffer_store_dword v79, off, s[0:3], 0 offset:812
	v_mul_lo_u32 v13, s7, v1
	buffer_store_dword v78, off, s[0:3], 0 offset:808
	buffer_store_dword v77, off, s[0:3], 0 offset:804
	;; [unrolled: 1-line block ×3, first 2 shown]
	s_waitcnt vmcnt(12)
	buffer_store_dword v83, off, s[0:3], 0 offset:828
	buffer_store_dword v82, off, s[0:3], 0 offset:824
	;; [unrolled: 1-line block ×4, first 2 shown]
	s_waitcnt vmcnt(11)
	buffer_store_dword v87, off, s[0:3], 0 offset:844
	buffer_store_dword v86, off, s[0:3], 0 offset:840
	;; [unrolled: 1-line block ×4, first 2 shown]
	v_lshl_add_u32 v12, v13, 4, 0
	s_waitcnt vmcnt(10)
	buffer_store_dword v91, off, s[0:3], 0 offset:860
	buffer_store_dword v90, off, s[0:3], 0 offset:856
	buffer_store_dword v89, off, s[0:3], 0 offset:852
	buffer_store_dword v88, off, s[0:3], 0 offset:848
	s_waitcnt vmcnt(9)
	buffer_store_dword v95, off, s[0:3], 0 offset:876
	buffer_store_dword v94, off, s[0:3], 0 offset:872
	buffer_store_dword v93, off, s[0:3], 0 offset:868
	buffer_store_dword v92, off, s[0:3], 0 offset:864
	;; [unrolled: 5-line block ×10, first 2 shown]
	v_add_nc_u32_e32 v1, v12, v11
	s_waitcnt vmcnt(0)
	buffer_store_dword v157, off, s[0:3], 0 offset:1020
	buffer_store_dword v156, off, s[0:3], 0 offset:1016
	;; [unrolled: 1-line block ×4, first 2 shown]
	v_lshlrev_b32_e32 v14, 4, v13
	s_movk_i32 s7, 0x60
	ds_write2_b64 v1, v[2:3], v[4:5] offset1:1
	s_waitcnt lgkmcnt(0)
	s_waitcnt_vscnt null, 0x0
	s_barrier
	buffer_gl0_inv
	ds_read2_b64 v[1:4], v12 offset1:1
	s_cbranch_scc1 .LBB126_6
; %bb.4:
	v_add3_u32 v5, v14, 0, 16
	v_mov_b32_e32 v10, 0
	s_mov_b32 s49, 1
	s_inst_prefetch 0x1
	.p2align	6
.LBB126_5:                              ; =>This Inner Loop Header: Depth=1
	s_waitcnt lgkmcnt(0)
	v_cmp_gt_f64_e32 vcc_lo, 0, v[3:4]
	v_cmp_gt_f64_e64 s4, 0, v[1:2]
	ds_read2_b64 v[15:18], v5 offset1:1
	v_xor_b32_e32 v11, 0x80000000, v2
	v_xor_b32_e32 v13, 0x80000000, v4
	v_mov_b32_e32 v19, v1
	v_mov_b32_e32 v21, v3
	v_add_nc_u32_e32 v5, 16, v5
	s_waitcnt lgkmcnt(0)
	v_mov_b32_e32 v23, v17
	v_cndmask_b32_e64 v20, v2, v11, s4
	v_cndmask_b32_e32 v22, v4, v13, vcc_lo
	v_cmp_gt_f64_e32 vcc_lo, 0, v[17:18]
	v_cmp_gt_f64_e64 s4, 0, v[15:16]
	v_xor_b32_e32 v11, 0x80000000, v16
	v_xor_b32_e32 v13, 0x80000000, v18
	v_add_f64 v[19:20], v[19:20], v[21:22]
	v_mov_b32_e32 v21, v15
	v_cndmask_b32_e32 v24, v18, v13, vcc_lo
	v_cndmask_b32_e64 v22, v16, v11, s4
	v_add_f64 v[21:22], v[21:22], v[23:24]
	v_cmp_lt_f64_e32 vcc_lo, v[19:20], v[21:22]
	v_cndmask_b32_e32 v2, v2, v16, vcc_lo
	v_cndmask_b32_e32 v1, v1, v15, vcc_lo
	;; [unrolled: 1-line block ×4, first 2 shown]
	v_cndmask_b32_e64 v10, v10, s49, vcc_lo
	s_add_i32 s49, s49, 1
	s_cmp_eq_u32 s57, s49
	s_cbranch_scc0 .LBB126_5
.LBB126_6:
	s_inst_prefetch 0x2
	s_waitcnt lgkmcnt(0)
	v_cmp_neq_f64_e32 vcc_lo, 0, v[1:2]
	v_cmp_neq_f64_e64 s4, 0, v[3:4]
	v_mov_b32_e32 v13, 1
	v_mov_b32_e32 v15, 1
	s_mov_b32 s51, 64
	s_mov_b32 s9, s5
	;; [unrolled: 1-line block ×50, first 2 shown]
	s_mov_b32 s26, vcc_hi
	s_mov_b32 s25, s16
	s_mov_b32 s24, s17
	;; [unrolled: 1-line block ×8, first 2 shown]
	s_or_b32 s16, vcc_lo, s4
	s_mov_b32 s12, 16
	s_mov_b32 s11, 32
	;; [unrolled: 1-line block ×3, first 2 shown]
	s_and_saveexec_b32 s4, s16
	s_mov_b32 s21, s13
	s_mov_b32 s79, s10
	;; [unrolled: 1-line block ×4, first 2 shown]
	s_cbranch_execz .LBB126_12
; %bb.7:
	v_cmp_ngt_f64_e64 s16, |v[1:2]|, |v[3:4]|
	s_and_saveexec_b32 s17, s16
	s_xor_b32 s16, exec_lo, s17
	s_cbranch_execz .LBB126_9
; %bb.8:
	v_div_scale_f64 v[15:16], null, v[3:4], v[3:4], v[1:2]
	v_div_scale_f64 v[21:22], vcc_lo, v[1:2], v[3:4], v[1:2]
	v_rcp_f64_e32 v[17:18], v[15:16]
	v_fma_f64 v[19:20], -v[15:16], v[17:18], 1.0
	v_fma_f64 v[17:18], v[17:18], v[19:20], v[17:18]
	v_fma_f64 v[19:20], -v[15:16], v[17:18], 1.0
	v_fma_f64 v[17:18], v[17:18], v[19:20], v[17:18]
	v_mul_f64 v[19:20], v[21:22], v[17:18]
	v_fma_f64 v[15:16], -v[15:16], v[19:20], v[21:22]
	v_div_fmas_f64 v[15:16], v[15:16], v[17:18], v[19:20]
	v_div_fixup_f64 v[15:16], v[15:16], v[3:4], v[1:2]
	v_fma_f64 v[1:2], v[1:2], v[15:16], v[3:4]
	v_div_scale_f64 v[3:4], null, v[1:2], v[1:2], 1.0
	v_rcp_f64_e32 v[17:18], v[3:4]
	v_fma_f64 v[19:20], -v[3:4], v[17:18], 1.0
	v_fma_f64 v[17:18], v[17:18], v[19:20], v[17:18]
	v_fma_f64 v[19:20], -v[3:4], v[17:18], 1.0
	v_fma_f64 v[17:18], v[17:18], v[19:20], v[17:18]
	v_div_scale_f64 v[19:20], vcc_lo, 1.0, v[1:2], 1.0
	v_mul_f64 v[21:22], v[19:20], v[17:18]
	v_fma_f64 v[3:4], -v[3:4], v[21:22], v[19:20]
	v_div_fmas_f64 v[3:4], v[3:4], v[17:18], v[21:22]
	v_div_fixup_f64 v[3:4], v[3:4], v[1:2], 1.0
	v_mul_f64 v[1:2], v[15:16], v[3:4]
	v_xor_b32_e32 v4, 0x80000000, v4
.LBB126_9:
	s_andn2_saveexec_b32 s16, s16
	s_cbranch_execz .LBB126_11
; %bb.10:
	v_div_scale_f64 v[15:16], null, v[1:2], v[1:2], v[3:4]
	v_div_scale_f64 v[21:22], vcc_lo, v[3:4], v[1:2], v[3:4]
	v_rcp_f64_e32 v[17:18], v[15:16]
	v_fma_f64 v[19:20], -v[15:16], v[17:18], 1.0
	v_fma_f64 v[17:18], v[17:18], v[19:20], v[17:18]
	v_fma_f64 v[19:20], -v[15:16], v[17:18], 1.0
	v_fma_f64 v[17:18], v[17:18], v[19:20], v[17:18]
	v_mul_f64 v[19:20], v[21:22], v[17:18]
	v_fma_f64 v[15:16], -v[15:16], v[19:20], v[21:22]
	v_div_fmas_f64 v[15:16], v[15:16], v[17:18], v[19:20]
	v_div_fixup_f64 v[15:16], v[15:16], v[1:2], v[3:4]
	v_fma_f64 v[1:2], v[3:4], v[15:16], v[1:2]
	v_div_scale_f64 v[3:4], null, v[1:2], v[1:2], 1.0
	v_rcp_f64_e32 v[17:18], v[3:4]
	v_fma_f64 v[19:20], -v[3:4], v[17:18], 1.0
	v_fma_f64 v[17:18], v[17:18], v[19:20], v[17:18]
	v_fma_f64 v[19:20], -v[3:4], v[17:18], 1.0
	v_fma_f64 v[17:18], v[17:18], v[19:20], v[17:18]
	v_div_scale_f64 v[19:20], vcc_lo, 1.0, v[1:2], 1.0
	v_mul_f64 v[21:22], v[19:20], v[17:18]
	v_fma_f64 v[3:4], -v[3:4], v[21:22], v[19:20]
	v_div_fmas_f64 v[3:4], v[3:4], v[17:18], v[21:22]
	v_div_fixup_f64 v[1:2], v[3:4], v[1:2], 1.0
	v_mul_f64 v[3:4], v[15:16], -v[1:2]
.LBB126_11:
	s_or_b32 exec_lo, exec_lo, s16
	v_mov_b32_e32 v15, 0
	v_mov_b32_e32 v13, 2
.LBB126_12:
	s_or_b32 exec_lo, exec_lo, s4
	s_mov_b32 s4, exec_lo
                                        ; implicit-def: $vgpr5
	v_cmpx_ne_u32_e64 v0, v10
	s_xor_b32 s4, exec_lo, s4
	s_cbranch_execz .LBB126_18
; %bb.13:
	s_mov_b32 s16, exec_lo
	v_cmpx_eq_u32_e32 0, v0
	s_cbranch_execz .LBB126_17
; %bb.14:
	v_cmp_ne_u32_e32 vcc_lo, 0, v10
	s_xor_b32 s17, s20, -1
	s_and_b32 s56, s17, vcc_lo
	s_and_saveexec_b32 s17, s56
	s_cbranch_execz .LBB126_16
; %bb.15:
	v_ashrrev_i32_e32 v11, 31, v10
	v_lshlrev_b64 v[16:17], 2, v[10:11]
	v_add_co_u32 v16, vcc_lo, v8, v16
	v_add_co_ci_u32_e64 v17, null, v9, v17, vcc_lo
	s_clause 0x1
	global_load_dword v0, v[16:17], off
	global_load_dword v5, v[8:9], off
	s_waitcnt vmcnt(1)
	global_store_dword v[8:9], v0, off
	s_waitcnt vmcnt(0)
	global_store_dword v[16:17], v5, off
.LBB126_16:
	s_or_b32 exec_lo, exec_lo, s17
	v_mov_b32_e32 v0, v10
.LBB126_17:
	s_or_b32 exec_lo, exec_lo, s16
	v_mov_b32_e32 v5, v0
                                        ; implicit-def: $vgpr0
.LBB126_18:
	s_or_saveexec_b32 s4, s4
	v_mov_b32_e32 v11, v5
	s_xor_b32 exec_lo, exec_lo, s4
	s_cbranch_execz .LBB126_22
; %bb.19:
	s_mov_b32 s16, 16
.LBB126_20:                             ; =>This Inner Loop Header: Depth=1
	v_mov_b32_e32 v5, s16
	s_clause 0x23
	buffer_load_dword v10, v5, s[0:3], 0 offen
	buffer_load_dword v11, v5, s[0:3], 0 offen offset:4
	buffer_load_dword v16, v5, s[0:3], 0 offen offset:8
	;; [unrolled: 1-line block ×35, first 2 shown]
	v_add_nc_u32_e32 v5, s16, v12
	s_addk_i32 s16, 0x90
	s_waitcnt vmcnt(32)
	ds_write2_b64 v5, v[10:11], v[16:17] offset1:1
	s_waitcnt vmcnt(28)
	ds_write2_b64 v5, v[18:19], v[20:21] offset0:2 offset1:3
	s_waitcnt vmcnt(24)
	ds_write2_b64 v5, v[22:23], v[24:25] offset0:4 offset1:5
	;; [unrolled: 2-line block ×4, first 2 shown]
	ds_write2_b64 v5, v[34:35], v[32:33] offset0:10 offset1:11
	s_waitcnt vmcnt(4)
	ds_write2_b64 v5, v[44:45], v[38:39] offset0:12 offset1:13
	ds_write2_b64 v5, v[42:43], v[40:41] offset0:14 offset1:15
	s_waitcnt vmcnt(0)
	ds_write2_b64 v5, v[46:47], v[48:49] offset0:16 offset1:17
	s_cmpk_eq_i32 s16, 0x400
	s_cbranch_scc0 .LBB126_20
; %bb.21:
	v_mov_b32_e32 v5, 0
	v_mov_b32_e32 v11, v0
.LBB126_22:
	s_or_b32 exec_lo, exec_lo, s4
	s_mov_b32 s4, exec_lo
	s_waitcnt lgkmcnt(0)
	s_waitcnt_vscnt null, 0x0
	s_barrier
	buffer_gl0_inv
	v_cmpx_lt_i32_e32 0, v5
	s_cbranch_execz .LBB126_25
; %bb.23:
	s_clause 0x3
	buffer_load_dword v16, off, s[0:3], 0 offset:8
	buffer_load_dword v17, off, s[0:3], 0 offset:12
	buffer_load_dword v18, off, s[0:3], 0
	buffer_load_dword v19, off, s[0:3], 0 offset:4
	s_mov_b32 s83, 16
	s_waitcnt vmcnt(2)
	v_mul_f64 v[20:21], v[3:4], v[16:17]
	v_mul_f64 v[16:17], v[1:2], v[16:17]
	s_waitcnt vmcnt(0)
	v_fma_f64 v[0:1], v[1:2], v[18:19], -v[20:21]
	v_fma_f64 v[2:3], v[3:4], v[18:19], v[16:17]
	buffer_store_dword v0, off, s[0:3], 0
	buffer_store_dword v1, off, s[0:3], 0 offset:4
	buffer_store_dword v2, off, s[0:3], 0 offset:8
	;; [unrolled: 1-line block ×3, first 2 shown]
.LBB126_24:                             ; =>This Inner Loop Header: Depth=1
	v_mov_b32_e32 v4, s83
	v_add_nc_u32_e32 v10, s83, v12
	s_addk_i32 s83, 0x70
	s_clause 0x1b
	buffer_load_dword v44, v4, s[0:3], 0 offen
	buffer_load_dword v45, v4, s[0:3], 0 offen offset:4
	buffer_load_dword v46, v4, s[0:3], 0 offen offset:8
	;; [unrolled: 1-line block ×27, first 2 shown]
	ds_read2_b64 v[16:19], v10 offset1:1
	ds_read2_b64 v[20:23], v10 offset0:2 offset1:3
	ds_read2_b64 v[24:27], v10 offset0:4 offset1:5
	;; [unrolled: 1-line block ×6, first 2 shown]
	s_cmpk_lg_i32 s83, 0x400
	s_waitcnt lgkmcnt(6)
	v_mul_f64 v[72:73], v[18:19], v[2:3]
	v_mul_f64 v[74:75], v[16:17], v[2:3]
	s_waitcnt lgkmcnt(5)
	v_mul_f64 v[76:77], v[22:23], v[2:3]
	v_mul_f64 v[78:79], v[20:21], v[2:3]
	;; [unrolled: 3-line block ×7, first 2 shown]
	v_fma_f64 v[16:17], v[16:17], v[0:1], -v[72:73]
	v_fma_f64 v[18:19], v[18:19], v[0:1], v[74:75]
	v_fma_f64 v[20:21], v[20:21], v[0:1], -v[76:77]
	v_fma_f64 v[22:23], v[22:23], v[0:1], v[78:79]
	;; [unrolled: 2-line block ×7, first 2 shown]
	s_waitcnt vmcnt(26)
	v_add_f64 v[16:17], v[44:45], -v[16:17]
	s_waitcnt vmcnt(24)
	v_add_f64 v[18:19], v[46:47], -v[18:19]
	s_waitcnt vmcnt(22)
	v_add_f64 v[20:21], v[48:49], -v[20:21]
	s_waitcnt vmcnt(20)
	v_add_f64 v[22:23], v[50:51], -v[22:23]
	s_waitcnt vmcnt(18)
	v_add_f64 v[24:25], v[52:53], -v[24:25]
	s_waitcnt vmcnt(16)
	v_add_f64 v[26:27], v[54:55], -v[26:27]
	s_waitcnt vmcnt(14)
	v_add_f64 v[28:29], v[56:57], -v[28:29]
	s_waitcnt vmcnt(12)
	v_add_f64 v[30:31], v[58:59], -v[30:31]
	s_waitcnt vmcnt(10)
	v_add_f64 v[32:33], v[60:61], -v[32:33]
	s_waitcnt vmcnt(8)
	v_add_f64 v[34:35], v[62:63], -v[34:35]
	s_waitcnt vmcnt(6)
	v_add_f64 v[36:37], v[64:65], -v[36:37]
	s_waitcnt vmcnt(4)
	v_add_f64 v[38:39], v[66:67], -v[38:39]
	s_waitcnt vmcnt(2)
	v_add_f64 v[40:41], v[68:69], -v[40:41]
	s_waitcnt vmcnt(0)
	v_add_f64 v[42:43], v[70:71], -v[42:43]
	buffer_store_dword v16, v4, s[0:3], 0 offen
	buffer_store_dword v17, v4, s[0:3], 0 offen offset:4
	buffer_store_dword v18, v4, s[0:3], 0 offen offset:8
	;; [unrolled: 1-line block ×27, first 2 shown]
	s_cbranch_scc1 .LBB126_24
.LBB126_25:
	s_or_b32 exec_lo, exec_lo, s4
	v_mov_b32_e32 v3, s89
	s_waitcnt_vscnt null, 0x0
	s_barrier
	buffer_gl0_inv
	v_lshl_add_u32 v4, v5, 4, v12
	s_clause 0x3
	buffer_load_dword v0, v3, s[0:3], 0 offen
	buffer_load_dword v1, v3, s[0:3], 0 offen offset:4
	buffer_load_dword v2, v3, s[0:3], 0 offen offset:8
	;; [unrolled: 1-line block ×3, first 2 shown]
	s_cmp_lt_i32 s57, 3
	s_waitcnt vmcnt(0)
	ds_write2_b64 v4, v[0:1], v[2:3] offset1:1
	s_waitcnt lgkmcnt(0)
	s_barrier
	buffer_gl0_inv
	ds_read2_b64 v[0:3], v12 offset0:2 offset1:3
	v_mov_b32_e32 v4, 1
	s_cbranch_scc1 .LBB126_28
; %bb.26:
	v_add3_u32 v10, v14, 0, 32
	v_mov_b32_e32 v4, 1
	s_mov_b32 s16, 2
	s_inst_prefetch 0x1
	.p2align	6
.LBB126_27:                             ; =>This Inner Loop Header: Depth=1
	s_waitcnt lgkmcnt(0)
	v_cmp_gt_f64_e32 vcc_lo, 0, v[2:3]
	v_cmp_gt_f64_e64 s4, 0, v[0:1]
	ds_read2_b64 v[16:19], v10 offset1:1
	v_xor_b32_e32 v21, 0x80000000, v1
	v_xor_b32_e32 v23, 0x80000000, v3
	v_mov_b32_e32 v20, v0
	v_mov_b32_e32 v22, v2
	v_add_nc_u32_e32 v10, 16, v10
	s_waitcnt lgkmcnt(0)
	v_xor_b32_e32 v25, 0x80000000, v19
	v_cndmask_b32_e64 v21, v1, v21, s4
	v_cndmask_b32_e32 v23, v3, v23, vcc_lo
	v_cmp_gt_f64_e32 vcc_lo, 0, v[18:19]
	v_cmp_gt_f64_e64 s4, 0, v[16:17]
	v_mov_b32_e32 v24, v18
	v_add_f64 v[20:21], v[20:21], v[22:23]
	v_xor_b32_e32 v23, 0x80000000, v17
	v_mov_b32_e32 v22, v16
	v_cndmask_b32_e32 v25, v19, v25, vcc_lo
	v_cndmask_b32_e64 v23, v17, v23, s4
	v_add_f64 v[22:23], v[22:23], v[24:25]
	v_cmp_lt_f64_e32 vcc_lo, v[20:21], v[22:23]
	v_cndmask_b32_e32 v1, v1, v17, vcc_lo
	v_cndmask_b32_e32 v0, v0, v16, vcc_lo
	;; [unrolled: 1-line block ×4, first 2 shown]
	v_cndmask_b32_e64 v4, v4, s16, vcc_lo
	s_add_i32 s16, s16, 1
	s_cmp_lg_u32 s57, s16
	s_cbranch_scc1 .LBB126_27
.LBB126_28:
	s_inst_prefetch 0x2
	s_waitcnt lgkmcnt(0)
	v_cmp_neq_f64_e32 vcc_lo, 0, v[0:1]
	v_cmp_neq_f64_e64 s4, 0, v[2:3]
	s_or_b32 s16, vcc_lo, s4
	s_and_saveexec_b32 s4, s16
	s_cbranch_execz .LBB126_34
; %bb.29:
	v_cmp_ngt_f64_e64 s16, |v[0:1]|, |v[2:3]|
	s_and_saveexec_b32 s17, s16
	s_xor_b32 s16, exec_lo, s17
	s_cbranch_execz .LBB126_31
; %bb.30:
	v_div_scale_f64 v[16:17], null, v[2:3], v[2:3], v[0:1]
	v_div_scale_f64 v[22:23], vcc_lo, v[0:1], v[2:3], v[0:1]
	v_rcp_f64_e32 v[18:19], v[16:17]
	v_fma_f64 v[20:21], -v[16:17], v[18:19], 1.0
	v_fma_f64 v[18:19], v[18:19], v[20:21], v[18:19]
	v_fma_f64 v[20:21], -v[16:17], v[18:19], 1.0
	v_fma_f64 v[18:19], v[18:19], v[20:21], v[18:19]
	v_mul_f64 v[20:21], v[22:23], v[18:19]
	v_fma_f64 v[16:17], -v[16:17], v[20:21], v[22:23]
	v_div_fmas_f64 v[16:17], v[16:17], v[18:19], v[20:21]
	v_div_fixup_f64 v[16:17], v[16:17], v[2:3], v[0:1]
	v_fma_f64 v[0:1], v[0:1], v[16:17], v[2:3]
	v_div_scale_f64 v[2:3], null, v[0:1], v[0:1], 1.0
	v_rcp_f64_e32 v[18:19], v[2:3]
	v_fma_f64 v[20:21], -v[2:3], v[18:19], 1.0
	v_fma_f64 v[18:19], v[18:19], v[20:21], v[18:19]
	v_fma_f64 v[20:21], -v[2:3], v[18:19], 1.0
	v_fma_f64 v[18:19], v[18:19], v[20:21], v[18:19]
	v_div_scale_f64 v[20:21], vcc_lo, 1.0, v[0:1], 1.0
	v_mul_f64 v[22:23], v[20:21], v[18:19]
	v_fma_f64 v[2:3], -v[2:3], v[22:23], v[20:21]
	v_div_fmas_f64 v[2:3], v[2:3], v[18:19], v[22:23]
	v_div_fixup_f64 v[2:3], v[2:3], v[0:1], 1.0
	v_mul_f64 v[0:1], v[16:17], v[2:3]
	v_xor_b32_e32 v3, 0x80000000, v3
.LBB126_31:
	s_andn2_saveexec_b32 s16, s16
	s_cbranch_execz .LBB126_33
; %bb.32:
	v_div_scale_f64 v[16:17], null, v[0:1], v[0:1], v[2:3]
	v_div_scale_f64 v[22:23], vcc_lo, v[2:3], v[0:1], v[2:3]
	v_rcp_f64_e32 v[18:19], v[16:17]
	v_fma_f64 v[20:21], -v[16:17], v[18:19], 1.0
	v_fma_f64 v[18:19], v[18:19], v[20:21], v[18:19]
	v_fma_f64 v[20:21], -v[16:17], v[18:19], 1.0
	v_fma_f64 v[18:19], v[18:19], v[20:21], v[18:19]
	v_mul_f64 v[20:21], v[22:23], v[18:19]
	v_fma_f64 v[16:17], -v[16:17], v[20:21], v[22:23]
	v_div_fmas_f64 v[16:17], v[16:17], v[18:19], v[20:21]
	v_div_fixup_f64 v[16:17], v[16:17], v[0:1], v[2:3]
	v_fma_f64 v[0:1], v[2:3], v[16:17], v[0:1]
	v_div_scale_f64 v[2:3], null, v[0:1], v[0:1], 1.0
	v_rcp_f64_e32 v[18:19], v[2:3]
	v_fma_f64 v[20:21], -v[2:3], v[18:19], 1.0
	v_fma_f64 v[18:19], v[18:19], v[20:21], v[18:19]
	v_fma_f64 v[20:21], -v[2:3], v[18:19], 1.0
	v_fma_f64 v[18:19], v[18:19], v[20:21], v[18:19]
	v_div_scale_f64 v[20:21], vcc_lo, 1.0, v[0:1], 1.0
	v_mul_f64 v[22:23], v[20:21], v[18:19]
	v_fma_f64 v[2:3], -v[2:3], v[22:23], v[20:21]
	v_div_fmas_f64 v[2:3], v[2:3], v[18:19], v[22:23]
	v_div_fixup_f64 v[0:1], v[2:3], v[0:1], 1.0
	v_mul_f64 v[2:3], v[16:17], -v[0:1]
.LBB126_33:
	s_or_b32 exec_lo, exec_lo, s16
	v_mov_b32_e32 v13, v15
.LBB126_34:
	s_or_b32 exec_lo, exec_lo, s4
	s_mov_b32 s4, exec_lo
	v_cmpx_ne_u32_e64 v5, v4
	s_xor_b32 s4, exec_lo, s4
	s_cbranch_execz .LBB126_40
; %bb.35:
	s_mov_b32 s16, exec_lo
	v_cmpx_eq_u32_e32 1, v5
	s_cbranch_execz .LBB126_39
; %bb.36:
	v_cmp_ne_u32_e32 vcc_lo, 1, v4
	s_xor_b32 s17, s20, -1
	s_and_b32 s56, s17, vcc_lo
	s_and_saveexec_b32 s17, s56
	s_cbranch_execz .LBB126_38
; %bb.37:
	v_ashrrev_i32_e32 v5, 31, v4
	v_lshlrev_b64 v[10:11], 2, v[4:5]
	v_add_co_u32 v10, vcc_lo, v8, v10
	v_add_co_ci_u32_e64 v11, null, v9, v11, vcc_lo
	s_clause 0x1
	global_load_dword v5, v[10:11], off
	global_load_dword v15, v[8:9], off offset:4
	s_waitcnt vmcnt(1)
	global_store_dword v[8:9], v5, off offset:4
	s_waitcnt vmcnt(0)
	global_store_dword v[10:11], v15, off
.LBB126_38:
	s_or_b32 exec_lo, exec_lo, s17
	v_mov_b32_e32 v5, v4
	v_mov_b32_e32 v11, v4
.LBB126_39:
	s_or_b32 exec_lo, exec_lo, s16
.LBB126_40:
	s_andn2_saveexec_b32 s4, s4
	s_cbranch_execz .LBB126_44
; %bb.41:
	s_mov_b32 s16, 32
	.p2align	6
.LBB126_42:                             ; =>This Inner Loop Header: Depth=1
	v_mov_b32_e32 v10, s16
	s_clause 0x7
	buffer_load_dword v4, v10, s[0:3], 0 offen
	buffer_load_dword v5, v10, s[0:3], 0 offen offset:4
	buffer_load_dword v15, v10, s[0:3], 0 offen offset:8
	;; [unrolled: 1-line block ×7, first 2 shown]
	v_add_nc_u32_e32 v10, s16, v12
	s_add_i32 s16, s16, 32
	s_waitcnt vmcnt(4)
	ds_write2_b64 v10, v[4:5], v[15:16] offset1:1
	s_waitcnt vmcnt(0)
	ds_write2_b64 v10, v[17:18], v[19:20] offset0:2 offset1:3
	s_cmpk_eq_i32 s16, 0x400
	s_cbranch_scc0 .LBB126_42
; %bb.43:
	v_mov_b32_e32 v5, 1
.LBB126_44:
	s_or_b32 exec_lo, exec_lo, s4
	s_mov_b32 s4, exec_lo
	s_waitcnt lgkmcnt(0)
	s_waitcnt_vscnt null, 0x0
	s_barrier
	buffer_gl0_inv
	v_cmpx_lt_i32_e32 1, v5
	s_cbranch_execz .LBB126_47
; %bb.45:
	s_clause 0x3
	buffer_load_dword v15, off, s[0:3], 0 offset:24
	buffer_load_dword v16, off, s[0:3], 0 offset:28
	;; [unrolled: 1-line block ×4, first 2 shown]
	s_mov_b32 s16, 32
	s_waitcnt vmcnt(2)
	v_mul_f64 v[19:20], v[2:3], v[15:16]
	v_mul_f64 v[15:16], v[0:1], v[15:16]
	s_waitcnt vmcnt(0)
	v_fma_f64 v[0:1], v[0:1], v[17:18], -v[19:20]
	v_fma_f64 v[2:3], v[2:3], v[17:18], v[15:16]
	buffer_store_dword v0, off, s[0:3], 0 offset:16
	buffer_store_dword v1, off, s[0:3], 0 offset:20
	;; [unrolled: 1-line block ×4, first 2 shown]
.LBB126_46:                             ; =>This Inner Loop Header: Depth=1
	v_mov_b32_e32 v4, s16
	v_add_nc_u32_e32 v10, s16, v12
	s_add_i32 s16, s16, 32
	s_clause 0x3
	buffer_load_dword v23, v4, s[0:3], 0 offen
	buffer_load_dword v24, v4, s[0:3], 0 offen offset:4
	buffer_load_dword v25, v4, s[0:3], 0 offen offset:8
	;; [unrolled: 1-line block ×3, first 2 shown]
	ds_read2_b64 v[15:18], v10 offset1:1
	ds_read2_b64 v[19:22], v10 offset0:2 offset1:3
	s_cmpk_lg_i32 s16, 0x400
	s_waitcnt lgkmcnt(1)
	v_mul_f64 v[27:28], v[17:18], v[2:3]
	v_mul_f64 v[2:3], v[15:16], v[2:3]
	v_fma_f64 v[15:16], v[15:16], v[0:1], -v[27:28]
	v_fma_f64 v[0:1], v[17:18], v[0:1], v[2:3]
	s_clause 0x1
	buffer_load_dword v17, v4, s[0:3], 0 offen offset:20
	buffer_load_dword v27, v4, s[0:3], 0 offen offset:28
	s_waitcnt vmcnt(4)
	v_add_f64 v[2:3], v[23:24], -v[15:16]
	s_waitcnt vmcnt(2)
	v_add_f64 v[0:1], v[25:26], -v[0:1]
	s_clause 0x1
	buffer_load_dword v16, v4, s[0:3], 0 offen offset:16
	buffer_load_dword v26, v4, s[0:3], 0 offen offset:24
	buffer_store_dword v3, v4, s[0:3], 0 offen offset:4
	buffer_store_dword v2, v4, s[0:3], 0 offen
	buffer_store_dword v1, v4, s[0:3], 0 offen offset:12
	buffer_store_dword v0, v4, s[0:3], 0 offen offset:8
	s_clause 0x3
	buffer_load_dword v3, off, s[0:3], 0 offset:28
	buffer_load_dword v2, off, s[0:3], 0 offset:24
	;; [unrolled: 1-line block ×4, first 2 shown]
	s_waitcnt vmcnt(2) lgkmcnt(0)
	v_mul_f64 v[23:24], v[21:22], v[2:3]
	v_mul_f64 v[28:29], v[19:20], v[2:3]
	s_waitcnt vmcnt(0)
	v_fma_f64 v[18:19], v[19:20], v[0:1], -v[23:24]
	v_fma_f64 v[20:21], v[21:22], v[0:1], v[28:29]
	v_add_f64 v[15:16], v[16:17], -v[18:19]
	v_add_f64 v[17:18], v[26:27], -v[20:21]
	buffer_store_dword v15, v4, s[0:3], 0 offen offset:16
	buffer_store_dword v16, v4, s[0:3], 0 offen offset:20
	;; [unrolled: 1-line block ×4, first 2 shown]
	s_cbranch_scc1 .LBB126_46
.LBB126_47:
	s_or_b32 exec_lo, exec_lo, s4
	v_mov_b32_e32 v3, s88
	s_waitcnt_vscnt null, 0x0
	s_barrier
	buffer_gl0_inv
	v_lshl_add_u32 v4, v5, 4, v12
	s_clause 0x3
	buffer_load_dword v0, v3, s[0:3], 0 offen
	buffer_load_dword v1, v3, s[0:3], 0 offen offset:4
	buffer_load_dword v2, v3, s[0:3], 0 offen offset:8
	;; [unrolled: 1-line block ×3, first 2 shown]
	s_cmp_lt_i32 s57, 4
	s_waitcnt vmcnt(0)
	ds_write2_b64 v4, v[0:1], v[2:3] offset1:1
	s_waitcnt lgkmcnt(0)
	s_barrier
	buffer_gl0_inv
	ds_read2_b64 v[0:3], v12 offset0:4 offset1:5
	v_mov_b32_e32 v4, 2
	s_cbranch_scc1 .LBB126_50
; %bb.48:
	v_add3_u32 v10, v14, 0, 48
	v_mov_b32_e32 v4, 2
	s_mov_b32 s16, 3
	s_inst_prefetch 0x1
	.p2align	6
.LBB126_49:                             ; =>This Inner Loop Header: Depth=1
	s_waitcnt lgkmcnt(0)
	v_cmp_gt_f64_e32 vcc_lo, 0, v[2:3]
	v_cmp_gt_f64_e64 s4, 0, v[0:1]
	ds_read2_b64 v[15:18], v10 offset1:1
	v_xor_b32_e32 v20, 0x80000000, v1
	v_xor_b32_e32 v22, 0x80000000, v3
	v_mov_b32_e32 v19, v0
	v_mov_b32_e32 v21, v2
	v_add_nc_u32_e32 v10, 16, v10
	s_waitcnt lgkmcnt(0)
	v_xor_b32_e32 v24, 0x80000000, v18
	v_cndmask_b32_e64 v20, v1, v20, s4
	v_cndmask_b32_e32 v22, v3, v22, vcc_lo
	v_cmp_gt_f64_e32 vcc_lo, 0, v[17:18]
	v_cmp_gt_f64_e64 s4, 0, v[15:16]
	v_mov_b32_e32 v23, v17
	v_add_f64 v[19:20], v[19:20], v[21:22]
	v_xor_b32_e32 v22, 0x80000000, v16
	v_mov_b32_e32 v21, v15
	v_cndmask_b32_e32 v24, v18, v24, vcc_lo
	v_cndmask_b32_e64 v22, v16, v22, s4
	v_add_f64 v[21:22], v[21:22], v[23:24]
	v_cmp_lt_f64_e32 vcc_lo, v[19:20], v[21:22]
	v_cndmask_b32_e32 v1, v1, v16, vcc_lo
	v_cndmask_b32_e32 v0, v0, v15, vcc_lo
	;; [unrolled: 1-line block ×4, first 2 shown]
	v_cndmask_b32_e64 v4, v4, s16, vcc_lo
	s_add_i32 s16, s16, 1
	s_cmp_lg_u32 s57, s16
	s_cbranch_scc1 .LBB126_49
.LBB126_50:
	s_inst_prefetch 0x2
	s_waitcnt lgkmcnt(0)
	v_cmp_eq_f64_e32 vcc_lo, 0, v[0:1]
	v_cmp_eq_f64_e64 s4, 0, v[2:3]
	s_and_b32 s4, vcc_lo, s4
	s_and_saveexec_b32 s16, s4
	s_xor_b32 s4, exec_lo, s16
; %bb.51:
	v_cmp_ne_u32_e32 vcc_lo, 0, v13
	v_cndmask_b32_e32 v13, 3, v13, vcc_lo
; %bb.52:
	s_andn2_saveexec_b32 s4, s4
	s_cbranch_execz .LBB126_58
; %bb.53:
	v_cmp_ngt_f64_e64 s16, |v[0:1]|, |v[2:3]|
	s_and_saveexec_b32 s17, s16
	s_xor_b32 s16, exec_lo, s17
	s_cbranch_execz .LBB126_55
; %bb.54:
	v_div_scale_f64 v[15:16], null, v[2:3], v[2:3], v[0:1]
	v_div_scale_f64 v[21:22], vcc_lo, v[0:1], v[2:3], v[0:1]
	v_rcp_f64_e32 v[17:18], v[15:16]
	v_fma_f64 v[19:20], -v[15:16], v[17:18], 1.0
	v_fma_f64 v[17:18], v[17:18], v[19:20], v[17:18]
	v_fma_f64 v[19:20], -v[15:16], v[17:18], 1.0
	v_fma_f64 v[17:18], v[17:18], v[19:20], v[17:18]
	v_mul_f64 v[19:20], v[21:22], v[17:18]
	v_fma_f64 v[15:16], -v[15:16], v[19:20], v[21:22]
	v_div_fmas_f64 v[15:16], v[15:16], v[17:18], v[19:20]
	v_div_fixup_f64 v[15:16], v[15:16], v[2:3], v[0:1]
	v_fma_f64 v[0:1], v[0:1], v[15:16], v[2:3]
	v_div_scale_f64 v[2:3], null, v[0:1], v[0:1], 1.0
	v_rcp_f64_e32 v[17:18], v[2:3]
	v_fma_f64 v[19:20], -v[2:3], v[17:18], 1.0
	v_fma_f64 v[17:18], v[17:18], v[19:20], v[17:18]
	v_fma_f64 v[19:20], -v[2:3], v[17:18], 1.0
	v_fma_f64 v[17:18], v[17:18], v[19:20], v[17:18]
	v_div_scale_f64 v[19:20], vcc_lo, 1.0, v[0:1], 1.0
	v_mul_f64 v[21:22], v[19:20], v[17:18]
	v_fma_f64 v[2:3], -v[2:3], v[21:22], v[19:20]
	v_div_fmas_f64 v[2:3], v[2:3], v[17:18], v[21:22]
	v_div_fixup_f64 v[2:3], v[2:3], v[0:1], 1.0
	v_mul_f64 v[0:1], v[15:16], v[2:3]
	v_xor_b32_e32 v3, 0x80000000, v3
.LBB126_55:
	s_andn2_saveexec_b32 s16, s16
	s_cbranch_execz .LBB126_57
; %bb.56:
	v_div_scale_f64 v[15:16], null, v[0:1], v[0:1], v[2:3]
	v_div_scale_f64 v[21:22], vcc_lo, v[2:3], v[0:1], v[2:3]
	v_rcp_f64_e32 v[17:18], v[15:16]
	v_fma_f64 v[19:20], -v[15:16], v[17:18], 1.0
	v_fma_f64 v[17:18], v[17:18], v[19:20], v[17:18]
	v_fma_f64 v[19:20], -v[15:16], v[17:18], 1.0
	v_fma_f64 v[17:18], v[17:18], v[19:20], v[17:18]
	v_mul_f64 v[19:20], v[21:22], v[17:18]
	v_fma_f64 v[15:16], -v[15:16], v[19:20], v[21:22]
	v_div_fmas_f64 v[15:16], v[15:16], v[17:18], v[19:20]
	v_div_fixup_f64 v[15:16], v[15:16], v[0:1], v[2:3]
	v_fma_f64 v[0:1], v[2:3], v[15:16], v[0:1]
	v_div_scale_f64 v[2:3], null, v[0:1], v[0:1], 1.0
	v_rcp_f64_e32 v[17:18], v[2:3]
	v_fma_f64 v[19:20], -v[2:3], v[17:18], 1.0
	v_fma_f64 v[17:18], v[17:18], v[19:20], v[17:18]
	v_fma_f64 v[19:20], -v[2:3], v[17:18], 1.0
	v_fma_f64 v[17:18], v[17:18], v[19:20], v[17:18]
	v_div_scale_f64 v[19:20], vcc_lo, 1.0, v[0:1], 1.0
	v_mul_f64 v[21:22], v[19:20], v[17:18]
	v_fma_f64 v[2:3], -v[2:3], v[21:22], v[19:20]
	v_div_fmas_f64 v[2:3], v[2:3], v[17:18], v[21:22]
	v_div_fixup_f64 v[0:1], v[2:3], v[0:1], 1.0
	v_mul_f64 v[2:3], v[15:16], -v[0:1]
.LBB126_57:
	s_or_b32 exec_lo, exec_lo, s16
.LBB126_58:
	s_or_b32 exec_lo, exec_lo, s4
	s_mov_b32 s4, exec_lo
	v_cmpx_ne_u32_e64 v5, v4
	s_xor_b32 s4, exec_lo, s4
	s_cbranch_execz .LBB126_64
; %bb.59:
	s_mov_b32 s16, exec_lo
	v_cmpx_eq_u32_e32 2, v5
	s_cbranch_execz .LBB126_63
; %bb.60:
	v_cmp_ne_u32_e32 vcc_lo, 2, v4
	s_xor_b32 s17, s20, -1
	s_and_b32 s56, s17, vcc_lo
	s_and_saveexec_b32 s17, s56
	s_cbranch_execz .LBB126_62
; %bb.61:
	v_ashrrev_i32_e32 v5, 31, v4
	v_lshlrev_b64 v[10:11], 2, v[4:5]
	v_add_co_u32 v10, vcc_lo, v8, v10
	v_add_co_ci_u32_e64 v11, null, v9, v11, vcc_lo
	s_clause 0x1
	global_load_dword v5, v[10:11], off
	global_load_dword v15, v[8:9], off offset:8
	s_waitcnt vmcnt(1)
	global_store_dword v[8:9], v5, off offset:8
	s_waitcnt vmcnt(0)
	global_store_dword v[10:11], v15, off
.LBB126_62:
	s_or_b32 exec_lo, exec_lo, s17
	v_mov_b32_e32 v5, v4
	v_mov_b32_e32 v11, v4
.LBB126_63:
	s_or_b32 exec_lo, exec_lo, s16
.LBB126_64:
	s_andn2_saveexec_b32 s4, s4
	s_cbranch_execz .LBB126_70
; %bb.65:
	s_mov_b32 s16, 48
	s_branch .LBB126_67
.LBB126_66:                             ;   in Loop: Header=BB126_67 Depth=1
	s_andn2_b32 vcc_lo, exec_lo, s56
	s_cbranch_vccz .LBB126_69
.LBB126_67:                             ; =>This Inner Loop Header: Depth=1
	v_mov_b32_e32 v4, s16
	s_mov_b32 s17, s16
	s_mov_b32 s56, -1
	s_cmpk_eq_i32 s16, 0x3b0
	s_clause 0x13
	buffer_load_dword v15, v4, s[0:3], 0 offen
	buffer_load_dword v16, v4, s[0:3], 0 offen offset:4
	buffer_load_dword v17, v4, s[0:3], 0 offen offset:8
	;; [unrolled: 1-line block ×19, first 2 shown]
	v_add_nc_u32_e32 v4, s16, v12
	s_waitcnt vmcnt(16)
	ds_write2_b64 v4, v[15:16], v[17:18] offset1:1
	s_waitcnt vmcnt(12)
	ds_write2_b64 v4, v[19:20], v[21:22] offset0:2 offset1:3
	s_waitcnt vmcnt(8)
	ds_write2_b64 v4, v[23:24], v[25:26] offset0:4 offset1:5
	;; [unrolled: 2-line block ×4, first 2 shown]
	s_cbranch_scc1 .LBB126_66
; %bb.68:                               ;   in Loop: Header=BB126_67 Depth=1
	v_mov_b32_e32 v5, s17
	s_addk_i32 s16, 0x80
	s_mov_b32 s56, 0
	s_clause 0xb
	buffer_load_dword v15, v5, s[0:3], 0 offen offset:80
	buffer_load_dword v16, v5, s[0:3], 0 offen offset:84
	;; [unrolled: 1-line block ×12, first 2 shown]
	s_waitcnt vmcnt(8)
	ds_write2_b64 v4, v[15:16], v[17:18] offset0:10 offset1:11
	s_waitcnt vmcnt(4)
	ds_write2_b64 v4, v[19:20], v[21:22] offset0:12 offset1:13
	;; [unrolled: 2-line block ×3, first 2 shown]
	s_branch .LBB126_66
.LBB126_69:
	v_mov_b32_e32 v5, 2
.LBB126_70:
	s_or_b32 exec_lo, exec_lo, s4
	s_mov_b32 s4, exec_lo
	s_waitcnt lgkmcnt(0)
	s_waitcnt_vscnt null, 0x0
	s_barrier
	buffer_gl0_inv
	v_cmpx_lt_i32_e32 2, v5
	s_cbranch_execz .LBB126_75
; %bb.71:
	s_clause 0x3
	buffer_load_dword v15, off, s[0:3], 0 offset:40
	buffer_load_dword v16, off, s[0:3], 0 offset:44
	;; [unrolled: 1-line block ×4, first 2 shown]
	s_mov_b32 s83, 48
	s_waitcnt vmcnt(2)
	v_mul_f64 v[19:20], v[2:3], v[15:16]
	v_mul_f64 v[15:16], v[0:1], v[15:16]
	s_waitcnt vmcnt(0)
	v_fma_f64 v[0:1], v[0:1], v[17:18], -v[19:20]
	v_fma_f64 v[2:3], v[2:3], v[17:18], v[15:16]
	buffer_store_dword v0, off, s[0:3], 0 offset:32
	buffer_store_dword v1, off, s[0:3], 0 offset:36
	;; [unrolled: 1-line block ×4, first 2 shown]
	s_branch .LBB126_73
.LBB126_72:                             ;   in Loop: Header=BB126_73 Depth=1
	s_andn2_b32 vcc_lo, exec_lo, s17
	s_cbranch_vccz .LBB126_75
.LBB126_73:                             ; =>This Inner Loop Header: Depth=1
	v_mov_b32_e32 v10, s83
	v_add_nc_u32_e32 v4, s83, v12
	s_mov_b32 s16, s83
	s_mov_b32 s17, -1
	s_cmpk_eq_i32 s83, 0x3f0
	s_clause 0x3
	buffer_load_dword v19, v10, s[0:3], 0 offen
	buffer_load_dword v20, v10, s[0:3], 0 offen offset:4
	buffer_load_dword v21, v10, s[0:3], 0 offen offset:8
	;; [unrolled: 1-line block ×3, first 2 shown]
	ds_read2_b64 v[15:18], v4 offset1:1
	s_waitcnt lgkmcnt(0)
	v_mul_f64 v[23:24], v[17:18], v[2:3]
	v_mul_f64 v[2:3], v[15:16], v[2:3]
	v_fma_f64 v[15:16], v[15:16], v[0:1], -v[23:24]
	v_fma_f64 v[0:1], v[17:18], v[0:1], v[2:3]
	s_waitcnt vmcnt(2)
	v_add_f64 v[2:3], v[19:20], -v[15:16]
	s_waitcnt vmcnt(0)
	v_add_f64 v[0:1], v[21:22], -v[0:1]
	buffer_store_dword v2, v10, s[0:3], 0 offen
	buffer_store_dword v3, v10, s[0:3], 0 offen offset:4
	buffer_store_dword v0, v10, s[0:3], 0 offen offset:8
	;; [unrolled: 1-line block ×3, first 2 shown]
                                        ; implicit-def: $vgpr0_vgpr1
                                        ; implicit-def: $vgpr2_vgpr3
	s_cbranch_scc1 .LBB126_72
; %bb.74:                               ;   in Loop: Header=BB126_73 Depth=1
	s_clause 0x3
	buffer_load_dword v19, off, s[0:3], 0 offset:40
	buffer_load_dword v20, off, s[0:3], 0 offset:44
	;; [unrolled: 1-line block ×4, first 2 shown]
	v_mov_b32_e32 v10, s16
	s_add_i32 s83, s83, 64
	s_mov_b32 s17, 0
	s_clause 0x3
	buffer_load_dword v23, v10, s[0:3], 0 offen offset:16
	buffer_load_dword v24, v10, s[0:3], 0 offen offset:20
	;; [unrolled: 1-line block ×4, first 2 shown]
	ds_read2_b64 v[0:3], v4 offset0:2 offset1:3
	ds_read2_b64 v[15:18], v4 offset0:4 offset1:5
	s_waitcnt vmcnt(6) lgkmcnt(1)
	v_mul_f64 v[27:28], v[2:3], v[19:20]
	v_mul_f64 v[19:20], v[0:1], v[19:20]
	s_waitcnt vmcnt(4)
	v_fma_f64 v[0:1], v[0:1], v[21:22], -v[27:28]
	v_fma_f64 v[2:3], v[2:3], v[21:22], v[19:20]
	s_waitcnt vmcnt(2)
	v_add_f64 v[0:1], v[23:24], -v[0:1]
	s_waitcnt vmcnt(0)
	v_add_f64 v[2:3], v[25:26], -v[2:3]
	buffer_store_dword v1, v10, s[0:3], 0 offen offset:20
	buffer_store_dword v0, v10, s[0:3], 0 offen offset:16
	;; [unrolled: 1-line block ×4, first 2 shown]
	s_clause 0xb
	buffer_load_dword v24, v10, s[0:3], 0 offen offset:36
	buffer_load_dword v25, v10, s[0:3], 0 offen offset:40
	;; [unrolled: 1-line block ×3, first 2 shown]
	buffer_load_dword v3, off, s[0:3], 0 offset:44
	buffer_load_dword v2, off, s[0:3], 0 offset:40
	;; [unrolled: 1-line block ×4, first 2 shown]
	buffer_load_dword v23, v10, s[0:3], 0 offen offset:32
	buffer_load_dword v27, v10, s[0:3], 0 offen offset:48
	;; [unrolled: 1-line block ×5, first 2 shown]
	ds_read2_b64 v[19:22], v4 offset0:6 offset1:7
	s_waitcnt vmcnt(7) lgkmcnt(1)
	v_mul_f64 v[31:32], v[17:18], v[2:3]
	v_mul_f64 v[33:34], v[15:16], v[2:3]
	s_waitcnt lgkmcnt(0)
	v_mul_f64 v[35:36], v[21:22], v[2:3]
	v_mul_f64 v[37:38], v[19:20], v[2:3]
	s_waitcnt vmcnt(5)
	v_fma_f64 v[15:16], v[15:16], v[0:1], -v[31:32]
	v_fma_f64 v[17:18], v[17:18], v[0:1], v[33:34]
	v_fma_f64 v[19:20], v[19:20], v[0:1], -v[35:36]
	v_fma_f64 v[21:22], v[21:22], v[0:1], v[37:38]
	s_waitcnt vmcnt(4)
	v_add_f64 v[15:16], v[23:24], -v[15:16]
	v_add_f64 v[17:18], v[25:26], -v[17:18]
	s_waitcnt vmcnt(2)
	v_add_f64 v[19:20], v[27:28], -v[19:20]
	s_waitcnt vmcnt(0)
	v_add_f64 v[21:22], v[29:30], -v[21:22]
	buffer_store_dword v16, v10, s[0:3], 0 offen offset:36
	buffer_store_dword v15, v10, s[0:3], 0 offen offset:32
	;; [unrolled: 1-line block ×8, first 2 shown]
	s_branch .LBB126_72
.LBB126_75:
	s_or_b32 exec_lo, exec_lo, s4
	v_mov_b32_e32 v3, s79
	s_waitcnt_vscnt null, 0x0
	s_barrier
	buffer_gl0_inv
	v_lshl_add_u32 v4, v5, 4, v12
	s_clause 0x3
	buffer_load_dword v0, v3, s[0:3], 0 offen
	buffer_load_dword v1, v3, s[0:3], 0 offen offset:4
	buffer_load_dword v2, v3, s[0:3], 0 offen offset:8
	;; [unrolled: 1-line block ×3, first 2 shown]
	s_cmp_lt_i32 s57, 5
	s_mov_b32 s16, 4
	s_waitcnt vmcnt(0)
	ds_write2_b64 v4, v[0:1], v[2:3] offset1:1
	s_waitcnt lgkmcnt(0)
	s_barrier
	buffer_gl0_inv
	ds_read2_b64 v[0:3], v12 offset0:6 offset1:7
	v_mov_b32_e32 v4, 3
	s_cbranch_scc1 .LBB126_78
; %bb.76:
	v_add3_u32 v10, v14, 0, 64
	v_mov_b32_e32 v4, 3
	s_inst_prefetch 0x1
	.p2align	6
.LBB126_77:                             ; =>This Inner Loop Header: Depth=1
	s_waitcnt lgkmcnt(0)
	v_cmp_gt_f64_e32 vcc_lo, 0, v[2:3]
	v_cmp_gt_f64_e64 s4, 0, v[0:1]
	ds_read2_b64 v[15:18], v10 offset1:1
	v_xor_b32_e32 v20, 0x80000000, v1
	v_xor_b32_e32 v22, 0x80000000, v3
	v_mov_b32_e32 v19, v0
	v_mov_b32_e32 v21, v2
	v_add_nc_u32_e32 v10, 16, v10
	s_waitcnt lgkmcnt(0)
	v_xor_b32_e32 v24, 0x80000000, v18
	v_cndmask_b32_e64 v20, v1, v20, s4
	v_cndmask_b32_e32 v22, v3, v22, vcc_lo
	v_cmp_gt_f64_e32 vcc_lo, 0, v[17:18]
	v_cmp_gt_f64_e64 s4, 0, v[15:16]
	v_mov_b32_e32 v23, v17
	v_add_f64 v[19:20], v[19:20], v[21:22]
	v_xor_b32_e32 v22, 0x80000000, v16
	v_mov_b32_e32 v21, v15
	v_cndmask_b32_e32 v24, v18, v24, vcc_lo
	v_cndmask_b32_e64 v22, v16, v22, s4
	v_add_f64 v[21:22], v[21:22], v[23:24]
	v_cmp_lt_f64_e32 vcc_lo, v[19:20], v[21:22]
	v_cndmask_b32_e32 v1, v1, v16, vcc_lo
	v_cndmask_b32_e32 v0, v0, v15, vcc_lo
	;; [unrolled: 1-line block ×4, first 2 shown]
	v_cndmask_b32_e64 v4, v4, s16, vcc_lo
	s_add_i32 s16, s16, 1
	s_cmp_lg_u32 s57, s16
	s_cbranch_scc1 .LBB126_77
.LBB126_78:
	s_inst_prefetch 0x2
	s_waitcnt lgkmcnt(0)
	v_cmp_eq_f64_e32 vcc_lo, 0, v[0:1]
	v_cmp_eq_f64_e64 s4, 0, v[2:3]
	s_and_b32 s4, vcc_lo, s4
	s_and_saveexec_b32 s16, s4
	s_xor_b32 s4, exec_lo, s16
; %bb.79:
	v_cmp_ne_u32_e32 vcc_lo, 0, v13
	v_cndmask_b32_e32 v13, 4, v13, vcc_lo
; %bb.80:
	s_andn2_saveexec_b32 s4, s4
	s_cbranch_execz .LBB126_86
; %bb.81:
	v_cmp_ngt_f64_e64 s16, |v[0:1]|, |v[2:3]|
	s_and_saveexec_b32 s17, s16
	s_xor_b32 s16, exec_lo, s17
	s_cbranch_execz .LBB126_83
; %bb.82:
	v_div_scale_f64 v[15:16], null, v[2:3], v[2:3], v[0:1]
	v_div_scale_f64 v[21:22], vcc_lo, v[0:1], v[2:3], v[0:1]
	v_rcp_f64_e32 v[17:18], v[15:16]
	v_fma_f64 v[19:20], -v[15:16], v[17:18], 1.0
	v_fma_f64 v[17:18], v[17:18], v[19:20], v[17:18]
	v_fma_f64 v[19:20], -v[15:16], v[17:18], 1.0
	v_fma_f64 v[17:18], v[17:18], v[19:20], v[17:18]
	v_mul_f64 v[19:20], v[21:22], v[17:18]
	v_fma_f64 v[15:16], -v[15:16], v[19:20], v[21:22]
	v_div_fmas_f64 v[15:16], v[15:16], v[17:18], v[19:20]
	v_div_fixup_f64 v[15:16], v[15:16], v[2:3], v[0:1]
	v_fma_f64 v[0:1], v[0:1], v[15:16], v[2:3]
	v_div_scale_f64 v[2:3], null, v[0:1], v[0:1], 1.0
	v_rcp_f64_e32 v[17:18], v[2:3]
	v_fma_f64 v[19:20], -v[2:3], v[17:18], 1.0
	v_fma_f64 v[17:18], v[17:18], v[19:20], v[17:18]
	v_fma_f64 v[19:20], -v[2:3], v[17:18], 1.0
	v_fma_f64 v[17:18], v[17:18], v[19:20], v[17:18]
	v_div_scale_f64 v[19:20], vcc_lo, 1.0, v[0:1], 1.0
	v_mul_f64 v[21:22], v[19:20], v[17:18]
	v_fma_f64 v[2:3], -v[2:3], v[21:22], v[19:20]
	v_div_fmas_f64 v[2:3], v[2:3], v[17:18], v[21:22]
	v_div_fixup_f64 v[2:3], v[2:3], v[0:1], 1.0
	v_mul_f64 v[0:1], v[15:16], v[2:3]
	v_xor_b32_e32 v3, 0x80000000, v3
.LBB126_83:
	s_andn2_saveexec_b32 s16, s16
	s_cbranch_execz .LBB126_85
; %bb.84:
	v_div_scale_f64 v[15:16], null, v[0:1], v[0:1], v[2:3]
	v_div_scale_f64 v[21:22], vcc_lo, v[2:3], v[0:1], v[2:3]
	v_rcp_f64_e32 v[17:18], v[15:16]
	v_fma_f64 v[19:20], -v[15:16], v[17:18], 1.0
	v_fma_f64 v[17:18], v[17:18], v[19:20], v[17:18]
	v_fma_f64 v[19:20], -v[15:16], v[17:18], 1.0
	v_fma_f64 v[17:18], v[17:18], v[19:20], v[17:18]
	v_mul_f64 v[19:20], v[21:22], v[17:18]
	v_fma_f64 v[15:16], -v[15:16], v[19:20], v[21:22]
	v_div_fmas_f64 v[15:16], v[15:16], v[17:18], v[19:20]
	v_div_fixup_f64 v[15:16], v[15:16], v[0:1], v[2:3]
	v_fma_f64 v[0:1], v[2:3], v[15:16], v[0:1]
	v_div_scale_f64 v[2:3], null, v[0:1], v[0:1], 1.0
	v_rcp_f64_e32 v[17:18], v[2:3]
	v_fma_f64 v[19:20], -v[2:3], v[17:18], 1.0
	v_fma_f64 v[17:18], v[17:18], v[19:20], v[17:18]
	v_fma_f64 v[19:20], -v[2:3], v[17:18], 1.0
	v_fma_f64 v[17:18], v[17:18], v[19:20], v[17:18]
	v_div_scale_f64 v[19:20], vcc_lo, 1.0, v[0:1], 1.0
	v_mul_f64 v[21:22], v[19:20], v[17:18]
	v_fma_f64 v[2:3], -v[2:3], v[21:22], v[19:20]
	v_div_fmas_f64 v[2:3], v[2:3], v[17:18], v[21:22]
	v_div_fixup_f64 v[0:1], v[2:3], v[0:1], 1.0
	v_mul_f64 v[2:3], v[15:16], -v[0:1]
.LBB126_85:
	s_or_b32 exec_lo, exec_lo, s16
.LBB126_86:
	s_or_b32 exec_lo, exec_lo, s4
	s_mov_b32 s4, exec_lo
	v_cmpx_ne_u32_e64 v5, v4
	s_xor_b32 s4, exec_lo, s4
	s_cbranch_execz .LBB126_92
; %bb.87:
	s_mov_b32 s16, exec_lo
	v_cmpx_eq_u32_e32 3, v5
	s_cbranch_execz .LBB126_91
; %bb.88:
	v_cmp_ne_u32_e32 vcc_lo, 3, v4
	s_xor_b32 s17, s20, -1
	s_and_b32 s56, s17, vcc_lo
	s_and_saveexec_b32 s17, s56
	s_cbranch_execz .LBB126_90
; %bb.89:
	v_ashrrev_i32_e32 v5, 31, v4
	v_lshlrev_b64 v[10:11], 2, v[4:5]
	v_add_co_u32 v10, vcc_lo, v8, v10
	v_add_co_ci_u32_e64 v11, null, v9, v11, vcc_lo
	s_clause 0x1
	global_load_dword v5, v[10:11], off
	global_load_dword v15, v[8:9], off offset:12
	s_waitcnt vmcnt(1)
	global_store_dword v[8:9], v5, off offset:12
	s_waitcnt vmcnt(0)
	global_store_dword v[10:11], v15, off
.LBB126_90:
	s_or_b32 exec_lo, exec_lo, s17
	v_mov_b32_e32 v5, v4
	v_mov_b32_e32 v11, v4
.LBB126_91:
	s_or_b32 exec_lo, exec_lo, s16
.LBB126_92:
	s_andn2_saveexec_b32 s4, s4
	s_cbranch_execz .LBB126_96
; %bb.93:
	s_mov_b32 s16, 64
.LBB126_94:                             ; =>This Inner Loop Header: Depth=1
	v_mov_b32_e32 v10, s16
	s_clause 0x3b
	buffer_load_dword v4, v10, s[0:3], 0 offen
	buffer_load_dword v5, v10, s[0:3], 0 offen offset:4
	buffer_load_dword v15, v10, s[0:3], 0 offen offset:8
	;; [unrolled: 1-line block ×59, first 2 shown]
	v_add_nc_u32_e32 v10, s16, v12
	s_addk_i32 s16, 0xf0
	s_waitcnt vmcnt(56)
	ds_write2_b64 v10, v[4:5], v[15:16] offset1:1
	s_waitcnt vmcnt(52)
	ds_write2_b64 v10, v[17:18], v[19:20] offset0:2 offset1:3
	s_waitcnt vmcnt(48)
	ds_write2_b64 v10, v[21:22], v[23:24] offset0:4 offset1:5
	;; [unrolled: 2-line block ×4, first 2 shown]
	ds_write2_b64 v10, v[33:34], v[31:32] offset0:10 offset1:11
	s_waitcnt vmcnt(28)
	ds_write2_b64 v10, v[43:44], v[37:38] offset0:12 offset1:13
	ds_write2_b64 v10, v[41:42], v[39:40] offset0:14 offset1:15
	s_waitcnt vmcnt(24)
	ds_write2_b64 v10, v[45:46], v[47:48] offset0:16 offset1:17
	s_waitcnt vmcnt(20)
	;; [unrolled: 2-line block ×7, first 2 shown]
	ds_write2_b64 v10, v[69:70], v[71:72] offset0:28 offset1:29
	s_cmpk_eq_i32 s16, 0x400
	s_cbranch_scc0 .LBB126_94
; %bb.95:
	v_mov_b32_e32 v5, 3
.LBB126_96:
	s_or_b32 exec_lo, exec_lo, s4
	s_mov_b32 s4, exec_lo
	s_waitcnt lgkmcnt(0)
	s_waitcnt_vscnt null, 0x0
	s_barrier
	buffer_gl0_inv
	v_cmpx_lt_i32_e32 3, v5
	s_cbranch_execz .LBB126_99
; %bb.97:
	s_clause 0x3
	buffer_load_dword v15, off, s[0:3], 0 offset:56
	buffer_load_dword v16, off, s[0:3], 0 offset:60
	;; [unrolled: 1-line block ×4, first 2 shown]
	s_mov_b32 s83, 64
	s_waitcnt vmcnt(2)
	v_mul_f64 v[19:20], v[2:3], v[15:16]
	v_mul_f64 v[15:16], v[0:1], v[15:16]
	s_waitcnt vmcnt(0)
	v_fma_f64 v[0:1], v[0:1], v[17:18], -v[19:20]
	v_fma_f64 v[2:3], v[2:3], v[17:18], v[15:16]
	buffer_store_dword v0, off, s[0:3], 0 offset:48
	buffer_store_dword v1, off, s[0:3], 0 offset:52
	;; [unrolled: 1-line block ×4, first 2 shown]
.LBB126_98:                             ; =>This Inner Loop Header: Depth=1
	v_mov_b32_e32 v4, s83
	v_add_nc_u32_e32 v10, s83, v12
	s_addk_i32 s83, 0x60
	s_clause 0x3
	buffer_load_dword v23, v4, s[0:3], 0 offen
	buffer_load_dword v24, v4, s[0:3], 0 offen offset:4
	buffer_load_dword v25, v4, s[0:3], 0 offen offset:8
	;; [unrolled: 1-line block ×3, first 2 shown]
	ds_read2_b64 v[15:18], v10 offset1:1
	ds_read2_b64 v[19:22], v10 offset0:2 offset1:3
	s_clause 0x7
	buffer_load_dword v27, v4, s[0:3], 0 offen offset:16
	buffer_load_dword v29, v4, s[0:3], 0 offen offset:24
	;; [unrolled: 1-line block ×8, first 2 shown]
	s_cmpk_lg_i32 s83, 0x400
	s_waitcnt lgkmcnt(1)
	v_mul_f64 v[37:38], v[17:18], v[2:3]
	v_mul_f64 v[2:3], v[15:16], v[2:3]
	v_fma_f64 v[15:16], v[15:16], v[0:1], -v[37:38]
	v_fma_f64 v[0:1], v[17:18], v[0:1], v[2:3]
	s_waitcnt vmcnt(10)
	v_add_f64 v[2:3], v[23:24], -v[15:16]
	s_waitcnt vmcnt(8)
	v_add_f64 v[0:1], v[25:26], -v[0:1]
	buffer_store_dword v3, v4, s[0:3], 0 offen offset:4
	buffer_store_dword v2, v4, s[0:3], 0 offen
	buffer_store_dword v1, v4, s[0:3], 0 offen offset:12
	buffer_store_dword v0, v4, s[0:3], 0 offen offset:8
	s_clause 0x5
	buffer_load_dword v1, off, s[0:3], 0 offset:60
	buffer_load_dword v0, off, s[0:3], 0 offset:56
	;; [unrolled: 1-line block ×4, first 2 shown]
	buffer_load_dword v31, v4, s[0:3], 0 offen offset:32
	buffer_load_dword v35, v4, s[0:3], 0 offen offset:44
	s_waitcnt vmcnt(4) lgkmcnt(0)
	v_mul_f64 v[15:16], v[21:22], v[0:1]
	v_mul_f64 v[0:1], v[19:20], v[0:1]
	s_waitcnt vmcnt(2)
	v_fma_f64 v[15:16], v[19:20], v[2:3], -v[15:16]
	v_fma_f64 v[0:1], v[21:22], v[2:3], v[0:1]
	v_add_f64 v[2:3], v[27:28], -v[15:16]
	v_add_f64 v[0:1], v[29:30], -v[0:1]
	s_clause 0x1
	buffer_load_dword v37, v4, s[0:3], 0 offen offset:60
	buffer_load_dword v28, v4, s[0:3], 0 offen offset:68
	buffer_store_dword v3, v4, s[0:3], 0 offen offset:20
	buffer_store_dword v2, v4, s[0:3], 0 offen offset:16
	;; [unrolled: 1-line block ×4, first 2 shown]
	s_clause 0x3
	buffer_load_dword v19, off, s[0:3], 0 offset:56
	buffer_load_dword v20, off, s[0:3], 0 offset:60
	;; [unrolled: 1-line block ×4, first 2 shown]
	ds_read2_b64 v[0:3], v10 offset0:4 offset1:5
	ds_read2_b64 v[15:18], v10 offset0:6 offset1:7
	s_waitcnt vmcnt(2) lgkmcnt(1)
	v_mul_f64 v[23:24], v[2:3], v[19:20]
	v_mul_f64 v[19:20], v[0:1], v[19:20]
	s_waitcnt vmcnt(0)
	v_fma_f64 v[0:1], v[0:1], v[21:22], -v[23:24]
	v_fma_f64 v[2:3], v[2:3], v[21:22], v[19:20]
	v_add_f64 v[0:1], v[31:32], -v[0:1]
	v_add_f64 v[2:3], v[34:35], -v[2:3]
	buffer_store_dword v1, v4, s[0:3], 0 offen offset:36
	buffer_store_dword v0, v4, s[0:3], 0 offen offset:32
	buffer_store_dword v3, v4, s[0:3], 0 offen offset:44
	buffer_store_dword v2, v4, s[0:3], 0 offen offset:40
	s_clause 0xb
	buffer_load_dword v2, off, s[0:3], 0 offset:56
	buffer_load_dword v3, off, s[0:3], 0 offset:60
	;; [unrolled: 1-line block ×4, first 2 shown]
	buffer_load_dword v29, v4, s[0:3], 0 offen offset:80
	buffer_load_dword v30, v4, s[0:3], 0 offen offset:84
	;; [unrolled: 1-line block ×8, first 2 shown]
	ds_read2_b64 v[19:22], v10 offset0:8 offset1:9
	ds_read2_b64 v[23:26], v10 offset0:10 offset1:11
	s_waitcnt vmcnt(10) lgkmcnt(2)
	v_mul_f64 v[40:41], v[17:18], v[2:3]
	v_mul_f64 v[42:43], v[15:16], v[2:3]
	s_waitcnt lgkmcnt(1)
	v_mul_f64 v[44:45], v[21:22], v[2:3]
	v_mul_f64 v[46:47], v[19:20], v[2:3]
	s_waitcnt lgkmcnt(0)
	v_mul_f64 v[48:49], v[25:26], v[2:3]
	v_mul_f64 v[50:51], v[23:24], v[2:3]
	s_waitcnt vmcnt(8)
	v_fma_f64 v[15:16], v[15:16], v[0:1], -v[40:41]
	v_fma_f64 v[17:18], v[17:18], v[0:1], v[42:43]
	v_fma_f64 v[19:20], v[19:20], v[0:1], -v[44:45]
	v_fma_f64 v[21:22], v[21:22], v[0:1], v[46:47]
	;; [unrolled: 2-line block ×3, first 2 shown]
	s_waitcnt vmcnt(3)
	v_add_f64 v[15:16], v[32:33], -v[15:16]
	v_add_f64 v[17:18], v[36:37], -v[17:18]
	s_waitcnt vmcnt(2)
	v_add_f64 v[19:20], v[27:28], -v[19:20]
	s_waitcnt vmcnt(0)
	v_add_f64 v[21:22], v[38:39], -v[21:22]
	v_add_f64 v[23:24], v[29:30], -v[23:24]
	v_add_f64 v[25:26], v[34:35], -v[25:26]
	buffer_store_dword v16, v4, s[0:3], 0 offen offset:52
	buffer_store_dword v15, v4, s[0:3], 0 offen offset:48
	;; [unrolled: 1-line block ×12, first 2 shown]
	s_cbranch_scc1 .LBB126_98
.LBB126_99:
	s_or_b32 exec_lo, exec_lo, s4
	v_mov_b32_e32 v3, s51
	s_waitcnt_vscnt null, 0x0
	s_barrier
	buffer_gl0_inv
	v_lshl_add_u32 v4, v5, 4, v12
	s_clause 0x3
	buffer_load_dword v0, v3, s[0:3], 0 offen
	buffer_load_dword v1, v3, s[0:3], 0 offen offset:4
	buffer_load_dword v2, v3, s[0:3], 0 offen offset:8
	buffer_load_dword v3, v3, s[0:3], 0 offen offset:12
	s_cmp_lt_i32 s57, 6
	s_waitcnt vmcnt(0)
	ds_write2_b64 v4, v[0:1], v[2:3] offset1:1
	s_waitcnt lgkmcnt(0)
	s_barrier
	buffer_gl0_inv
	ds_read2_b64 v[0:3], v12 offset0:8 offset1:9
	v_mov_b32_e32 v4, 4
	s_cbranch_scc1 .LBB126_102
; %bb.100:
	v_mov_b32_e32 v4, 4
	v_add3_u32 v10, v14, 0, 0x50
	s_mov_b32 s16, 5
	s_inst_prefetch 0x1
	.p2align	6
.LBB126_101:                            ; =>This Inner Loop Header: Depth=1
	s_waitcnt lgkmcnt(0)
	v_cmp_gt_f64_e32 vcc_lo, 0, v[2:3]
	v_cmp_gt_f64_e64 s4, 0, v[0:1]
	ds_read2_b64 v[15:18], v10 offset1:1
	v_xor_b32_e32 v20, 0x80000000, v1
	v_xor_b32_e32 v22, 0x80000000, v3
	v_mov_b32_e32 v19, v0
	v_mov_b32_e32 v21, v2
	v_add_nc_u32_e32 v10, 16, v10
	s_waitcnt lgkmcnt(0)
	v_xor_b32_e32 v24, 0x80000000, v18
	v_cndmask_b32_e64 v20, v1, v20, s4
	v_cndmask_b32_e32 v22, v3, v22, vcc_lo
	v_cmp_gt_f64_e32 vcc_lo, 0, v[17:18]
	v_cmp_gt_f64_e64 s4, 0, v[15:16]
	v_mov_b32_e32 v23, v17
	v_add_f64 v[19:20], v[19:20], v[21:22]
	v_xor_b32_e32 v22, 0x80000000, v16
	v_mov_b32_e32 v21, v15
	v_cndmask_b32_e32 v24, v18, v24, vcc_lo
	v_cndmask_b32_e64 v22, v16, v22, s4
	v_add_f64 v[21:22], v[21:22], v[23:24]
	v_cmp_lt_f64_e32 vcc_lo, v[19:20], v[21:22]
	v_cndmask_b32_e32 v1, v1, v16, vcc_lo
	v_cndmask_b32_e32 v0, v0, v15, vcc_lo
	;; [unrolled: 1-line block ×4, first 2 shown]
	v_cndmask_b32_e64 v4, v4, s16, vcc_lo
	s_add_i32 s16, s16, 1
	s_cmp_lg_u32 s57, s16
	s_cbranch_scc1 .LBB126_101
.LBB126_102:
	s_inst_prefetch 0x2
	s_waitcnt lgkmcnt(0)
	v_cmp_eq_f64_e32 vcc_lo, 0, v[0:1]
	v_cmp_eq_f64_e64 s4, 0, v[2:3]
	s_and_b32 s4, vcc_lo, s4
	s_and_saveexec_b32 s16, s4
	s_xor_b32 s4, exec_lo, s16
; %bb.103:
	v_cmp_ne_u32_e32 vcc_lo, 0, v13
	v_cndmask_b32_e32 v13, 5, v13, vcc_lo
; %bb.104:
	s_andn2_saveexec_b32 s4, s4
	s_cbranch_execz .LBB126_110
; %bb.105:
	v_cmp_ngt_f64_e64 s16, |v[0:1]|, |v[2:3]|
	s_and_saveexec_b32 s17, s16
	s_xor_b32 s16, exec_lo, s17
	s_cbranch_execz .LBB126_107
; %bb.106:
	v_div_scale_f64 v[15:16], null, v[2:3], v[2:3], v[0:1]
	v_div_scale_f64 v[21:22], vcc_lo, v[0:1], v[2:3], v[0:1]
	v_rcp_f64_e32 v[17:18], v[15:16]
	v_fma_f64 v[19:20], -v[15:16], v[17:18], 1.0
	v_fma_f64 v[17:18], v[17:18], v[19:20], v[17:18]
	v_fma_f64 v[19:20], -v[15:16], v[17:18], 1.0
	v_fma_f64 v[17:18], v[17:18], v[19:20], v[17:18]
	v_mul_f64 v[19:20], v[21:22], v[17:18]
	v_fma_f64 v[15:16], -v[15:16], v[19:20], v[21:22]
	v_div_fmas_f64 v[15:16], v[15:16], v[17:18], v[19:20]
	v_div_fixup_f64 v[15:16], v[15:16], v[2:3], v[0:1]
	v_fma_f64 v[0:1], v[0:1], v[15:16], v[2:3]
	v_div_scale_f64 v[2:3], null, v[0:1], v[0:1], 1.0
	v_rcp_f64_e32 v[17:18], v[2:3]
	v_fma_f64 v[19:20], -v[2:3], v[17:18], 1.0
	v_fma_f64 v[17:18], v[17:18], v[19:20], v[17:18]
	v_fma_f64 v[19:20], -v[2:3], v[17:18], 1.0
	v_fma_f64 v[17:18], v[17:18], v[19:20], v[17:18]
	v_div_scale_f64 v[19:20], vcc_lo, 1.0, v[0:1], 1.0
	v_mul_f64 v[21:22], v[19:20], v[17:18]
	v_fma_f64 v[2:3], -v[2:3], v[21:22], v[19:20]
	v_div_fmas_f64 v[2:3], v[2:3], v[17:18], v[21:22]
	v_div_fixup_f64 v[2:3], v[2:3], v[0:1], 1.0
	v_mul_f64 v[0:1], v[15:16], v[2:3]
	v_xor_b32_e32 v3, 0x80000000, v3
.LBB126_107:
	s_andn2_saveexec_b32 s16, s16
	s_cbranch_execz .LBB126_109
; %bb.108:
	v_div_scale_f64 v[15:16], null, v[0:1], v[0:1], v[2:3]
	v_div_scale_f64 v[21:22], vcc_lo, v[2:3], v[0:1], v[2:3]
	v_rcp_f64_e32 v[17:18], v[15:16]
	v_fma_f64 v[19:20], -v[15:16], v[17:18], 1.0
	v_fma_f64 v[17:18], v[17:18], v[19:20], v[17:18]
	v_fma_f64 v[19:20], -v[15:16], v[17:18], 1.0
	v_fma_f64 v[17:18], v[17:18], v[19:20], v[17:18]
	v_mul_f64 v[19:20], v[21:22], v[17:18]
	v_fma_f64 v[15:16], -v[15:16], v[19:20], v[21:22]
	v_div_fmas_f64 v[15:16], v[15:16], v[17:18], v[19:20]
	v_div_fixup_f64 v[15:16], v[15:16], v[0:1], v[2:3]
	v_fma_f64 v[0:1], v[2:3], v[15:16], v[0:1]
	v_div_scale_f64 v[2:3], null, v[0:1], v[0:1], 1.0
	v_rcp_f64_e32 v[17:18], v[2:3]
	v_fma_f64 v[19:20], -v[2:3], v[17:18], 1.0
	v_fma_f64 v[17:18], v[17:18], v[19:20], v[17:18]
	v_fma_f64 v[19:20], -v[2:3], v[17:18], 1.0
	v_fma_f64 v[17:18], v[17:18], v[19:20], v[17:18]
	v_div_scale_f64 v[19:20], vcc_lo, 1.0, v[0:1], 1.0
	v_mul_f64 v[21:22], v[19:20], v[17:18]
	v_fma_f64 v[2:3], -v[2:3], v[21:22], v[19:20]
	v_div_fmas_f64 v[2:3], v[2:3], v[17:18], v[21:22]
	v_div_fixup_f64 v[0:1], v[2:3], v[0:1], 1.0
	v_mul_f64 v[2:3], v[15:16], -v[0:1]
.LBB126_109:
	s_or_b32 exec_lo, exec_lo, s16
.LBB126_110:
	s_or_b32 exec_lo, exec_lo, s4
	s_mov_b32 s4, exec_lo
	v_cmpx_ne_u32_e64 v5, v4
	s_xor_b32 s4, exec_lo, s4
	s_cbranch_execz .LBB126_116
; %bb.111:
	s_mov_b32 s16, exec_lo
	v_cmpx_eq_u32_e32 4, v5
	s_cbranch_execz .LBB126_115
; %bb.112:
	v_cmp_ne_u32_e32 vcc_lo, 4, v4
	s_xor_b32 s17, s20, -1
	s_and_b32 s56, s17, vcc_lo
	s_and_saveexec_b32 s17, s56
	s_cbranch_execz .LBB126_114
; %bb.113:
	v_ashrrev_i32_e32 v5, 31, v4
	v_lshlrev_b64 v[10:11], 2, v[4:5]
	v_add_co_u32 v10, vcc_lo, v8, v10
	v_add_co_ci_u32_e64 v11, null, v9, v11, vcc_lo
	s_clause 0x1
	global_load_dword v5, v[10:11], off
	global_load_dword v15, v[8:9], off offset:16
	s_waitcnt vmcnt(1)
	global_store_dword v[8:9], v5, off offset:16
	s_waitcnt vmcnt(0)
	global_store_dword v[10:11], v15, off
.LBB126_114:
	s_or_b32 exec_lo, exec_lo, s17
	v_mov_b32_e32 v5, v4
	v_mov_b32_e32 v11, v4
.LBB126_115:
	s_or_b32 exec_lo, exec_lo, s16
.LBB126_116:
	s_andn2_saveexec_b32 s4, s4
	s_cbranch_execz .LBB126_122
; %bb.117:
	s_movk_i32 s16, 0x50
	s_branch .LBB126_119
.LBB126_118:                            ;   in Loop: Header=BB126_119 Depth=1
	s_andn2_b32 vcc_lo, exec_lo, s56
	s_cbranch_vccz .LBB126_121
.LBB126_119:                            ; =>This Inner Loop Header: Depth=1
	v_mov_b32_e32 v4, s16
	s_mov_b32 s17, s16
	s_mov_b32 s56, -1
	s_cmpk_eq_i32 s16, 0x3d0
	s_clause 0xb
	buffer_load_dword v15, v4, s[0:3], 0 offen
	buffer_load_dword v16, v4, s[0:3], 0 offen offset:4
	buffer_load_dword v17, v4, s[0:3], 0 offen offset:8
	;; [unrolled: 1-line block ×11, first 2 shown]
	v_add_nc_u32_e32 v4, s16, v12
	s_waitcnt vmcnt(8)
	ds_write2_b64 v4, v[15:16], v[17:18] offset1:1
	s_waitcnt vmcnt(4)
	ds_write2_b64 v4, v[19:20], v[21:22] offset0:2 offset1:3
	s_waitcnt vmcnt(0)
	ds_write2_b64 v4, v[23:24], v[25:26] offset0:4 offset1:5
	s_cbranch_scc1 .LBB126_118
; %bb.120:                              ;   in Loop: Header=BB126_119 Depth=1
	v_mov_b32_e32 v5, s17
	s_addk_i32 s16, 0x80
	s_mov_b32 s56, 0
	s_clause 0x13
	buffer_load_dword v15, v5, s[0:3], 0 offen offset:48
	buffer_load_dword v16, v5, s[0:3], 0 offen offset:52
	;; [unrolled: 1-line block ×20, first 2 shown]
	s_waitcnt vmcnt(16)
	ds_write2_b64 v4, v[15:16], v[17:18] offset0:6 offset1:7
	s_waitcnt vmcnt(12)
	ds_write2_b64 v4, v[19:20], v[21:22] offset0:8 offset1:9
	;; [unrolled: 2-line block ×5, first 2 shown]
	s_branch .LBB126_118
.LBB126_121:
	v_mov_b32_e32 v5, 4
.LBB126_122:
	s_or_b32 exec_lo, exec_lo, s4
	s_mov_b32 s4, exec_lo
	s_waitcnt lgkmcnt(0)
	s_waitcnt_vscnt null, 0x0
	s_barrier
	buffer_gl0_inv
	v_cmpx_lt_i32_e32 4, v5
	s_cbranch_execz .LBB126_127
; %bb.123:
	s_clause 0x3
	buffer_load_dword v15, off, s[0:3], 0 offset:72
	buffer_load_dword v16, off, s[0:3], 0 offset:76
	;; [unrolled: 1-line block ×4, first 2 shown]
	s_movk_i32 s83, 0x50
	s_waitcnt vmcnt(2)
	v_mul_f64 v[19:20], v[2:3], v[15:16]
	v_mul_f64 v[15:16], v[0:1], v[15:16]
	s_waitcnt vmcnt(0)
	v_fma_f64 v[0:1], v[0:1], v[17:18], -v[19:20]
	v_fma_f64 v[2:3], v[2:3], v[17:18], v[15:16]
	buffer_store_dword v0, off, s[0:3], 0 offset:64
	buffer_store_dword v1, off, s[0:3], 0 offset:68
	;; [unrolled: 1-line block ×4, first 2 shown]
	s_branch .LBB126_125
.LBB126_124:                            ;   in Loop: Header=BB126_125 Depth=1
	s_andn2_b32 vcc_lo, exec_lo, s17
	s_cbranch_vccz .LBB126_127
.LBB126_125:                            ; =>This Inner Loop Header: Depth=1
	v_mov_b32_e32 v10, s83
	v_add_nc_u32_e32 v4, s83, v12
	s_mov_b32 s16, s83
	s_mov_b32 s17, -1
	s_cmpk_eq_i32 s83, 0x3d0
	s_clause 0x3
	buffer_load_dword v23, v10, s[0:3], 0 offen
	buffer_load_dword v24, v10, s[0:3], 0 offen offset:4
	buffer_load_dword v25, v10, s[0:3], 0 offen offset:8
	;; [unrolled: 1-line block ×3, first 2 shown]
	ds_read2_b64 v[15:18], v4 offset1:1
	ds_read2_b64 v[19:22], v4 offset0:2 offset1:3
	s_waitcnt vmcnt(5) lgkmcnt(1)
	v_mul_f64 v[27:28], v[17:18], v[2:3]
	v_mul_f64 v[2:3], v[15:16], v[2:3]
	s_waitcnt vmcnt(4)
	v_fma_f64 v[15:16], v[15:16], v[0:1], -v[27:28]
	v_fma_f64 v[0:1], v[17:18], v[0:1], v[2:3]
	s_clause 0x2
	buffer_load_dword v2, v10, s[0:3], 0 offen offset:20
	buffer_load_dword v17, v10, s[0:3], 0 offen offset:28
	;; [unrolled: 1-line block ×3, first 2 shown]
	s_waitcnt vmcnt(5)
	v_add_f64 v[15:16], v[23:24], -v[15:16]
	s_waitcnt vmcnt(3)
	v_add_f64 v[0:1], v[25:26], -v[0:1]
	buffer_store_dword v16, v10, s[0:3], 0 offen offset:4
	buffer_store_dword v15, v10, s[0:3], 0 offen
	buffer_store_dword v1, v10, s[0:3], 0 offen offset:12
	buffer_store_dword v0, v10, s[0:3], 0 offen offset:8
	s_clause 0x6
	buffer_load_dword v16, v10, s[0:3], 0 offen offset:24
	buffer_load_dword v23, v10, s[0:3], 0 offen offset:36
	buffer_load_dword v25, off, s[0:3], 0 offset:76
	buffer_load_dword v24, off, s[0:3], 0 offset:72
	;; [unrolled: 1-line block ×4, first 2 shown]
	buffer_load_dword v1, v10, s[0:3], 0 offen offset:16
	s_waitcnt vmcnt(3) lgkmcnt(0)
	v_mul_f64 v[28:29], v[21:22], v[24:25]
	v_mul_f64 v[24:25], v[19:20], v[24:25]
	s_waitcnt vmcnt(1)
	v_fma_f64 v[19:20], v[19:20], v[26:27], -v[28:29]
	v_fma_f64 v[21:22], v[21:22], v[26:27], v[24:25]
	s_waitcnt vmcnt(0)
	v_add_f64 v[0:1], v[1:2], -v[19:20]
	v_add_f64 v[2:3], v[16:17], -v[21:22]
	buffer_store_dword v1, v10, s[0:3], 0 offen offset:20
	buffer_store_dword v0, v10, s[0:3], 0 offen offset:16
	;; [unrolled: 1-line block ×4, first 2 shown]
	s_clause 0x5
	buffer_load_dword v19, v10, s[0:3], 0 offen offset:44
	buffer_load_dword v15, off, s[0:3], 0 offset:72
	buffer_load_dword v16, off, s[0:3], 0 offset:76
	;; [unrolled: 1-line block ×4, first 2 shown]
	buffer_load_dword v22, v10, s[0:3], 0 offen offset:32
	ds_read2_b64 v[0:3], v4 offset0:4 offset1:5
	s_waitcnt vmcnt(3) lgkmcnt(0)
	v_mul_f64 v[24:25], v[2:3], v[15:16]
	v_mul_f64 v[15:16], v[0:1], v[15:16]
	s_waitcnt vmcnt(1)
	v_fma_f64 v[0:1], v[0:1], v[20:21], -v[24:25]
	v_fma_f64 v[2:3], v[2:3], v[20:21], v[15:16]
	s_waitcnt vmcnt(0)
	v_add_f64 v[0:1], v[22:23], -v[0:1]
	v_add_f64 v[2:3], v[18:19], -v[2:3]
	buffer_store_dword v1, v10, s[0:3], 0 offen offset:36
	buffer_store_dword v0, v10, s[0:3], 0 offen offset:32
	;; [unrolled: 1-line block ×4, first 2 shown]
                                        ; implicit-def: $vgpr0_vgpr1
                                        ; implicit-def: $vgpr2_vgpr3
	s_cbranch_scc1 .LBB126_124
; %bb.126:                              ;   in Loop: Header=BB126_125 Depth=1
	s_clause 0x3
	buffer_load_dword v15, off, s[0:3], 0 offset:72
	buffer_load_dword v16, off, s[0:3], 0 offset:76
	;; [unrolled: 1-line block ×4, first 2 shown]
	v_mov_b32_e32 v10, s16
	s_add_i32 s83, s83, 64
	s_mov_b32 s17, 0
	s_clause 0x3
	buffer_load_dword v19, v10, s[0:3], 0 offen offset:48
	buffer_load_dword v20, v10, s[0:3], 0 offen offset:52
	;; [unrolled: 1-line block ×4, first 2 shown]
	ds_read2_b64 v[0:3], v4 offset0:6 offset1:7
	s_waitcnt vmcnt(6) lgkmcnt(0)
	v_mul_f64 v[23:24], v[2:3], v[15:16]
	v_mul_f64 v[15:16], v[0:1], v[15:16]
	s_waitcnt vmcnt(4)
	v_fma_f64 v[0:1], v[0:1], v[17:18], -v[23:24]
	v_fma_f64 v[2:3], v[2:3], v[17:18], v[15:16]
	s_waitcnt vmcnt(2)
	v_add_f64 v[0:1], v[19:20], -v[0:1]
	s_waitcnt vmcnt(0)
	v_add_f64 v[2:3], v[21:22], -v[2:3]
	buffer_store_dword v1, v10, s[0:3], 0 offen offset:52
	buffer_store_dword v0, v10, s[0:3], 0 offen offset:48
	;; [unrolled: 1-line block ×4, first 2 shown]
	s_clause 0x3
	buffer_load_dword v1, off, s[0:3], 0 offset:68
	buffer_load_dword v3, off, s[0:3], 0 offset:76
	;; [unrolled: 1-line block ×4, first 2 shown]
	s_branch .LBB126_124
.LBB126_127:
	s_or_b32 exec_lo, exec_lo, s4
	s_waitcnt vmcnt(2)
	v_mov_b32_e32 v3, s9
	s_waitcnt vmcnt(0)
	s_waitcnt_vscnt null, 0x0
	s_barrier
	buffer_gl0_inv
	v_lshl_add_u32 v4, v5, 4, v12
	s_clause 0x3
	buffer_load_dword v0, v3, s[0:3], 0 offen
	buffer_load_dword v1, v3, s[0:3], 0 offen offset:4
	buffer_load_dword v2, v3, s[0:3], 0 offen offset:8
	;; [unrolled: 1-line block ×3, first 2 shown]
	s_cmp_lt_i32 s57, 7
	s_waitcnt vmcnt(0)
	ds_write2_b64 v4, v[0:1], v[2:3] offset1:1
	s_waitcnt lgkmcnt(0)
	s_barrier
	buffer_gl0_inv
	ds_read2_b64 v[0:3], v12 offset0:10 offset1:11
	v_mov_b32_e32 v4, 5
	s_cbranch_scc1 .LBB126_130
; %bb.128:
	v_add3_u32 v10, v14, 0, 0x60
	v_mov_b32_e32 v4, 5
	s_mov_b32 s16, 6
	s_inst_prefetch 0x1
	.p2align	6
.LBB126_129:                            ; =>This Inner Loop Header: Depth=1
	s_waitcnt lgkmcnt(0)
	v_cmp_gt_f64_e32 vcc_lo, 0, v[2:3]
	v_cmp_gt_f64_e64 s4, 0, v[0:1]
	ds_read2_b64 v[15:18], v10 offset1:1
	v_xor_b32_e32 v20, 0x80000000, v1
	v_xor_b32_e32 v22, 0x80000000, v3
	v_mov_b32_e32 v19, v0
	v_mov_b32_e32 v21, v2
	v_add_nc_u32_e32 v10, 16, v10
	s_waitcnt lgkmcnt(0)
	v_xor_b32_e32 v24, 0x80000000, v18
	v_cndmask_b32_e64 v20, v1, v20, s4
	v_cndmask_b32_e32 v22, v3, v22, vcc_lo
	v_cmp_gt_f64_e32 vcc_lo, 0, v[17:18]
	v_cmp_gt_f64_e64 s4, 0, v[15:16]
	v_mov_b32_e32 v23, v17
	v_add_f64 v[19:20], v[19:20], v[21:22]
	v_xor_b32_e32 v22, 0x80000000, v16
	v_mov_b32_e32 v21, v15
	v_cndmask_b32_e32 v24, v18, v24, vcc_lo
	v_cndmask_b32_e64 v22, v16, v22, s4
	v_add_f64 v[21:22], v[21:22], v[23:24]
	v_cmp_lt_f64_e32 vcc_lo, v[19:20], v[21:22]
	v_cndmask_b32_e32 v1, v1, v16, vcc_lo
	v_cndmask_b32_e32 v0, v0, v15, vcc_lo
	;; [unrolled: 1-line block ×4, first 2 shown]
	v_cndmask_b32_e64 v4, v4, s16, vcc_lo
	s_add_i32 s16, s16, 1
	s_cmp_lg_u32 s57, s16
	s_cbranch_scc1 .LBB126_129
.LBB126_130:
	s_inst_prefetch 0x2
	s_waitcnt lgkmcnt(0)
	v_cmp_eq_f64_e32 vcc_lo, 0, v[0:1]
	v_cmp_eq_f64_e64 s4, 0, v[2:3]
	s_and_b32 s4, vcc_lo, s4
	s_and_saveexec_b32 s16, s4
	s_xor_b32 s4, exec_lo, s16
; %bb.131:
	v_cmp_ne_u32_e32 vcc_lo, 0, v13
	v_cndmask_b32_e32 v13, 6, v13, vcc_lo
; %bb.132:
	s_andn2_saveexec_b32 s4, s4
	s_cbranch_execz .LBB126_138
; %bb.133:
	v_cmp_ngt_f64_e64 s16, |v[0:1]|, |v[2:3]|
	s_and_saveexec_b32 s17, s16
	s_xor_b32 s16, exec_lo, s17
	s_cbranch_execz .LBB126_135
; %bb.134:
	v_div_scale_f64 v[15:16], null, v[2:3], v[2:3], v[0:1]
	v_div_scale_f64 v[21:22], vcc_lo, v[0:1], v[2:3], v[0:1]
	v_rcp_f64_e32 v[17:18], v[15:16]
	v_fma_f64 v[19:20], -v[15:16], v[17:18], 1.0
	v_fma_f64 v[17:18], v[17:18], v[19:20], v[17:18]
	v_fma_f64 v[19:20], -v[15:16], v[17:18], 1.0
	v_fma_f64 v[17:18], v[17:18], v[19:20], v[17:18]
	v_mul_f64 v[19:20], v[21:22], v[17:18]
	v_fma_f64 v[15:16], -v[15:16], v[19:20], v[21:22]
	v_div_fmas_f64 v[15:16], v[15:16], v[17:18], v[19:20]
	v_div_fixup_f64 v[15:16], v[15:16], v[2:3], v[0:1]
	v_fma_f64 v[0:1], v[0:1], v[15:16], v[2:3]
	v_div_scale_f64 v[2:3], null, v[0:1], v[0:1], 1.0
	v_rcp_f64_e32 v[17:18], v[2:3]
	v_fma_f64 v[19:20], -v[2:3], v[17:18], 1.0
	v_fma_f64 v[17:18], v[17:18], v[19:20], v[17:18]
	v_fma_f64 v[19:20], -v[2:3], v[17:18], 1.0
	v_fma_f64 v[17:18], v[17:18], v[19:20], v[17:18]
	v_div_scale_f64 v[19:20], vcc_lo, 1.0, v[0:1], 1.0
	v_mul_f64 v[21:22], v[19:20], v[17:18]
	v_fma_f64 v[2:3], -v[2:3], v[21:22], v[19:20]
	v_div_fmas_f64 v[2:3], v[2:3], v[17:18], v[21:22]
	v_div_fixup_f64 v[2:3], v[2:3], v[0:1], 1.0
	v_mul_f64 v[0:1], v[15:16], v[2:3]
	v_xor_b32_e32 v3, 0x80000000, v3
.LBB126_135:
	s_andn2_saveexec_b32 s16, s16
	s_cbranch_execz .LBB126_137
; %bb.136:
	v_div_scale_f64 v[15:16], null, v[0:1], v[0:1], v[2:3]
	v_div_scale_f64 v[21:22], vcc_lo, v[2:3], v[0:1], v[2:3]
	v_rcp_f64_e32 v[17:18], v[15:16]
	v_fma_f64 v[19:20], -v[15:16], v[17:18], 1.0
	v_fma_f64 v[17:18], v[17:18], v[19:20], v[17:18]
	v_fma_f64 v[19:20], -v[15:16], v[17:18], 1.0
	v_fma_f64 v[17:18], v[17:18], v[19:20], v[17:18]
	v_mul_f64 v[19:20], v[21:22], v[17:18]
	v_fma_f64 v[15:16], -v[15:16], v[19:20], v[21:22]
	v_div_fmas_f64 v[15:16], v[15:16], v[17:18], v[19:20]
	v_div_fixup_f64 v[15:16], v[15:16], v[0:1], v[2:3]
	v_fma_f64 v[0:1], v[2:3], v[15:16], v[0:1]
	v_div_scale_f64 v[2:3], null, v[0:1], v[0:1], 1.0
	v_rcp_f64_e32 v[17:18], v[2:3]
	v_fma_f64 v[19:20], -v[2:3], v[17:18], 1.0
	v_fma_f64 v[17:18], v[17:18], v[19:20], v[17:18]
	v_fma_f64 v[19:20], -v[2:3], v[17:18], 1.0
	v_fma_f64 v[17:18], v[17:18], v[19:20], v[17:18]
	v_div_scale_f64 v[19:20], vcc_lo, 1.0, v[0:1], 1.0
	v_mul_f64 v[21:22], v[19:20], v[17:18]
	v_fma_f64 v[2:3], -v[2:3], v[21:22], v[19:20]
	v_div_fmas_f64 v[2:3], v[2:3], v[17:18], v[21:22]
	v_div_fixup_f64 v[0:1], v[2:3], v[0:1], 1.0
	v_mul_f64 v[2:3], v[15:16], -v[0:1]
.LBB126_137:
	s_or_b32 exec_lo, exec_lo, s16
.LBB126_138:
	s_or_b32 exec_lo, exec_lo, s4
	s_mov_b32 s4, exec_lo
	v_cmpx_ne_u32_e64 v5, v4
	s_xor_b32 s4, exec_lo, s4
	s_cbranch_execz .LBB126_144
; %bb.139:
	s_mov_b32 s16, exec_lo
	v_cmpx_eq_u32_e32 5, v5
	s_cbranch_execz .LBB126_143
; %bb.140:
	v_cmp_ne_u32_e32 vcc_lo, 5, v4
	s_xor_b32 s17, s20, -1
	s_and_b32 s56, s17, vcc_lo
	s_and_saveexec_b32 s17, s56
	s_cbranch_execz .LBB126_142
; %bb.141:
	v_ashrrev_i32_e32 v5, 31, v4
	v_lshlrev_b64 v[10:11], 2, v[4:5]
	v_add_co_u32 v10, vcc_lo, v8, v10
	v_add_co_ci_u32_e64 v11, null, v9, v11, vcc_lo
	s_clause 0x1
	global_load_dword v5, v[10:11], off
	global_load_dword v15, v[8:9], off offset:20
	s_waitcnt vmcnt(1)
	global_store_dword v[8:9], v5, off offset:20
	s_waitcnt vmcnt(0)
	global_store_dword v[10:11], v15, off
.LBB126_142:
	s_or_b32 exec_lo, exec_lo, s17
	v_mov_b32_e32 v5, v4
	v_mov_b32_e32 v11, v4
.LBB126_143:
	s_or_b32 exec_lo, exec_lo, s16
.LBB126_144:
	s_andn2_saveexec_b32 s4, s4
	s_cbranch_execz .LBB126_148
; %bb.145:
	s_movk_i32 s16, 0x60
	.p2align	6
.LBB126_146:                            ; =>This Inner Loop Header: Depth=1
	v_mov_b32_e32 v10, s16
	s_clause 0x7
	buffer_load_dword v4, v10, s[0:3], 0 offen
	buffer_load_dword v5, v10, s[0:3], 0 offen offset:4
	buffer_load_dword v15, v10, s[0:3], 0 offen offset:8
	;; [unrolled: 1-line block ×7, first 2 shown]
	v_add_nc_u32_e32 v10, s16, v12
	s_add_i32 s16, s16, 32
	s_waitcnt vmcnt(4)
	ds_write2_b64 v10, v[4:5], v[15:16] offset1:1
	s_waitcnt vmcnt(0)
	ds_write2_b64 v10, v[17:18], v[19:20] offset0:2 offset1:3
	s_cmpk_eq_i32 s16, 0x400
	s_cbranch_scc0 .LBB126_146
; %bb.147:
	v_mov_b32_e32 v5, 5
.LBB126_148:
	s_or_b32 exec_lo, exec_lo, s4
	s_mov_b32 s4, exec_lo
	s_waitcnt lgkmcnt(0)
	s_waitcnt_vscnt null, 0x0
	s_barrier
	buffer_gl0_inv
	v_cmpx_lt_i32_e32 5, v5
	s_cbranch_execz .LBB126_151
; %bb.149:
	s_clause 0x3
	buffer_load_dword v15, off, s[0:3], 0 offset:88
	buffer_load_dword v16, off, s[0:3], 0 offset:92
	;; [unrolled: 1-line block ×4, first 2 shown]
	s_movk_i32 s16, 0x60
	s_waitcnt vmcnt(2)
	v_mul_f64 v[19:20], v[2:3], v[15:16]
	v_mul_f64 v[15:16], v[0:1], v[15:16]
	s_waitcnt vmcnt(0)
	v_fma_f64 v[0:1], v[0:1], v[17:18], -v[19:20]
	v_fma_f64 v[2:3], v[2:3], v[17:18], v[15:16]
	buffer_store_dword v0, off, s[0:3], 0 offset:80
	buffer_store_dword v1, off, s[0:3], 0 offset:84
	;; [unrolled: 1-line block ×4, first 2 shown]
.LBB126_150:                            ; =>This Inner Loop Header: Depth=1
	s_clause 0x3
	buffer_load_dword v19, off, s[0:3], 0 offset:88
	buffer_load_dword v20, off, s[0:3], 0 offset:92
	;; [unrolled: 1-line block ×4, first 2 shown]
	v_mov_b32_e32 v4, s16
	v_add_nc_u32_e32 v10, s16, v12
	s_add_i32 s16, s16, 32
	s_clause 0x3
	buffer_load_dword v23, v4, s[0:3], 0 offen
	buffer_load_dword v24, v4, s[0:3], 0 offen offset:4
	buffer_load_dword v25, v4, s[0:3], 0 offen offset:8
	;; [unrolled: 1-line block ×3, first 2 shown]
	ds_read2_b64 v[0:3], v10 offset1:1
	ds_read2_b64 v[15:18], v10 offset0:2 offset1:3
	s_cmpk_lg_i32 s16, 0x400
	s_waitcnt vmcnt(6) lgkmcnt(1)
	v_mul_f64 v[27:28], v[2:3], v[19:20]
	v_mul_f64 v[19:20], v[0:1], v[19:20]
	s_waitcnt vmcnt(4)
	v_fma_f64 v[0:1], v[0:1], v[21:22], -v[27:28]
	v_fma_f64 v[2:3], v[2:3], v[21:22], v[19:20]
	s_clause 0x3
	buffer_load_dword v19, v4, s[0:3], 0 offen offset:16
	buffer_load_dword v20, v4, s[0:3], 0 offen offset:20
	buffer_load_dword v21, v4, s[0:3], 0 offen offset:24
	buffer_load_dword v22, v4, s[0:3], 0 offen offset:28
	s_waitcnt vmcnt(6)
	v_add_f64 v[0:1], v[23:24], -v[0:1]
	s_waitcnt vmcnt(4)
	v_add_f64 v[2:3], v[25:26], -v[2:3]
	buffer_store_dword v1, v4, s[0:3], 0 offen offset:4
	buffer_store_dword v0, v4, s[0:3], 0 offen
	buffer_store_dword v3, v4, s[0:3], 0 offen offset:12
	buffer_store_dword v2, v4, s[0:3], 0 offen offset:8
	s_clause 0x3
	buffer_load_dword v1, off, s[0:3], 0 offset:92
	buffer_load_dword v0, off, s[0:3], 0 offset:88
	;; [unrolled: 1-line block ×4, first 2 shown]
	s_waitcnt vmcnt(2) lgkmcnt(0)
	v_mul_f64 v[23:24], v[17:18], v[0:1]
	v_mul_f64 v[0:1], v[15:16], v[0:1]
	s_waitcnt vmcnt(0)
	v_fma_f64 v[15:16], v[15:16], v[2:3], -v[23:24]
	v_fma_f64 v[0:1], v[17:18], v[2:3], v[0:1]
	v_add_f64 v[2:3], v[19:20], -v[15:16]
	v_add_f64 v[0:1], v[21:22], -v[0:1]
	buffer_store_dword v3, v4, s[0:3], 0 offen offset:20
	buffer_store_dword v2, v4, s[0:3], 0 offen offset:16
	;; [unrolled: 1-line block ×4, first 2 shown]
	s_cbranch_scc1 .LBB126_150
.LBB126_151:
	s_or_b32 exec_lo, exec_lo, s4
	v_mov_b32_e32 v3, s78
	s_waitcnt_vscnt null, 0x0
	s_barrier
	buffer_gl0_inv
	v_lshl_add_u32 v4, v5, 4, v12
	s_clause 0x3
	buffer_load_dword v0, v3, s[0:3], 0 offen
	buffer_load_dword v1, v3, s[0:3], 0 offen offset:4
	buffer_load_dword v2, v3, s[0:3], 0 offen offset:8
	;; [unrolled: 1-line block ×3, first 2 shown]
	s_cmp_lt_i32 s57, 8
	s_waitcnt vmcnt(0)
	ds_write2_b64 v4, v[0:1], v[2:3] offset1:1
	s_waitcnt lgkmcnt(0)
	s_barrier
	buffer_gl0_inv
	ds_read2_b64 v[0:3], v12 offset0:12 offset1:13
	v_mov_b32_e32 v4, 6
	s_cbranch_scc1 .LBB126_154
; %bb.152:
	v_add3_u32 v10, v14, 0, 0x70
	v_mov_b32_e32 v4, 6
	s_mov_b32 s16, 7
	s_inst_prefetch 0x1
	.p2align	6
.LBB126_153:                            ; =>This Inner Loop Header: Depth=1
	s_waitcnt lgkmcnt(0)
	v_cmp_gt_f64_e32 vcc_lo, 0, v[2:3]
	v_cmp_gt_f64_e64 s4, 0, v[0:1]
	ds_read2_b64 v[15:18], v10 offset1:1
	v_xor_b32_e32 v20, 0x80000000, v1
	v_xor_b32_e32 v22, 0x80000000, v3
	v_mov_b32_e32 v19, v0
	v_mov_b32_e32 v21, v2
	v_add_nc_u32_e32 v10, 16, v10
	s_waitcnt lgkmcnt(0)
	v_xor_b32_e32 v24, 0x80000000, v18
	v_cndmask_b32_e64 v20, v1, v20, s4
	v_cndmask_b32_e32 v22, v3, v22, vcc_lo
	v_cmp_gt_f64_e32 vcc_lo, 0, v[17:18]
	v_cmp_gt_f64_e64 s4, 0, v[15:16]
	v_mov_b32_e32 v23, v17
	v_add_f64 v[19:20], v[19:20], v[21:22]
	v_xor_b32_e32 v22, 0x80000000, v16
	v_mov_b32_e32 v21, v15
	v_cndmask_b32_e32 v24, v18, v24, vcc_lo
	v_cndmask_b32_e64 v22, v16, v22, s4
	v_add_f64 v[21:22], v[21:22], v[23:24]
	v_cmp_lt_f64_e32 vcc_lo, v[19:20], v[21:22]
	v_cndmask_b32_e32 v1, v1, v16, vcc_lo
	v_cndmask_b32_e32 v0, v0, v15, vcc_lo
	v_cndmask_b32_e32 v3, v3, v18, vcc_lo
	v_cndmask_b32_e32 v2, v2, v17, vcc_lo
	v_cndmask_b32_e64 v4, v4, s16, vcc_lo
	s_add_i32 s16, s16, 1
	s_cmp_lg_u32 s57, s16
	s_cbranch_scc1 .LBB126_153
.LBB126_154:
	s_inst_prefetch 0x2
	s_waitcnt lgkmcnt(0)
	v_cmp_eq_f64_e32 vcc_lo, 0, v[0:1]
	v_cmp_eq_f64_e64 s4, 0, v[2:3]
	s_and_b32 s4, vcc_lo, s4
	s_and_saveexec_b32 s16, s4
	s_xor_b32 s4, exec_lo, s16
; %bb.155:
	v_cmp_ne_u32_e32 vcc_lo, 0, v13
	v_cndmask_b32_e32 v13, 7, v13, vcc_lo
; %bb.156:
	s_andn2_saveexec_b32 s4, s4
	s_cbranch_execz .LBB126_162
; %bb.157:
	v_cmp_ngt_f64_e64 s16, |v[0:1]|, |v[2:3]|
	s_and_saveexec_b32 s17, s16
	s_xor_b32 s16, exec_lo, s17
	s_cbranch_execz .LBB126_159
; %bb.158:
	v_div_scale_f64 v[15:16], null, v[2:3], v[2:3], v[0:1]
	v_div_scale_f64 v[21:22], vcc_lo, v[0:1], v[2:3], v[0:1]
	v_rcp_f64_e32 v[17:18], v[15:16]
	v_fma_f64 v[19:20], -v[15:16], v[17:18], 1.0
	v_fma_f64 v[17:18], v[17:18], v[19:20], v[17:18]
	v_fma_f64 v[19:20], -v[15:16], v[17:18], 1.0
	v_fma_f64 v[17:18], v[17:18], v[19:20], v[17:18]
	v_mul_f64 v[19:20], v[21:22], v[17:18]
	v_fma_f64 v[15:16], -v[15:16], v[19:20], v[21:22]
	v_div_fmas_f64 v[15:16], v[15:16], v[17:18], v[19:20]
	v_div_fixup_f64 v[15:16], v[15:16], v[2:3], v[0:1]
	v_fma_f64 v[0:1], v[0:1], v[15:16], v[2:3]
	v_div_scale_f64 v[2:3], null, v[0:1], v[0:1], 1.0
	v_rcp_f64_e32 v[17:18], v[2:3]
	v_fma_f64 v[19:20], -v[2:3], v[17:18], 1.0
	v_fma_f64 v[17:18], v[17:18], v[19:20], v[17:18]
	v_fma_f64 v[19:20], -v[2:3], v[17:18], 1.0
	v_fma_f64 v[17:18], v[17:18], v[19:20], v[17:18]
	v_div_scale_f64 v[19:20], vcc_lo, 1.0, v[0:1], 1.0
	v_mul_f64 v[21:22], v[19:20], v[17:18]
	v_fma_f64 v[2:3], -v[2:3], v[21:22], v[19:20]
	v_div_fmas_f64 v[2:3], v[2:3], v[17:18], v[21:22]
	v_div_fixup_f64 v[2:3], v[2:3], v[0:1], 1.0
	v_mul_f64 v[0:1], v[15:16], v[2:3]
	v_xor_b32_e32 v3, 0x80000000, v3
.LBB126_159:
	s_andn2_saveexec_b32 s16, s16
	s_cbranch_execz .LBB126_161
; %bb.160:
	v_div_scale_f64 v[15:16], null, v[0:1], v[0:1], v[2:3]
	v_div_scale_f64 v[21:22], vcc_lo, v[2:3], v[0:1], v[2:3]
	v_rcp_f64_e32 v[17:18], v[15:16]
	v_fma_f64 v[19:20], -v[15:16], v[17:18], 1.0
	v_fma_f64 v[17:18], v[17:18], v[19:20], v[17:18]
	v_fma_f64 v[19:20], -v[15:16], v[17:18], 1.0
	v_fma_f64 v[17:18], v[17:18], v[19:20], v[17:18]
	v_mul_f64 v[19:20], v[21:22], v[17:18]
	v_fma_f64 v[15:16], -v[15:16], v[19:20], v[21:22]
	v_div_fmas_f64 v[15:16], v[15:16], v[17:18], v[19:20]
	v_div_fixup_f64 v[15:16], v[15:16], v[0:1], v[2:3]
	v_fma_f64 v[0:1], v[2:3], v[15:16], v[0:1]
	v_div_scale_f64 v[2:3], null, v[0:1], v[0:1], 1.0
	v_rcp_f64_e32 v[17:18], v[2:3]
	v_fma_f64 v[19:20], -v[2:3], v[17:18], 1.0
	v_fma_f64 v[17:18], v[17:18], v[19:20], v[17:18]
	v_fma_f64 v[19:20], -v[2:3], v[17:18], 1.0
	v_fma_f64 v[17:18], v[17:18], v[19:20], v[17:18]
	v_div_scale_f64 v[19:20], vcc_lo, 1.0, v[0:1], 1.0
	v_mul_f64 v[21:22], v[19:20], v[17:18]
	v_fma_f64 v[2:3], -v[2:3], v[21:22], v[19:20]
	v_div_fmas_f64 v[2:3], v[2:3], v[17:18], v[21:22]
	v_div_fixup_f64 v[0:1], v[2:3], v[0:1], 1.0
	v_mul_f64 v[2:3], v[15:16], -v[0:1]
.LBB126_161:
	s_or_b32 exec_lo, exec_lo, s16
.LBB126_162:
	s_or_b32 exec_lo, exec_lo, s4
	s_mov_b32 s4, exec_lo
	v_cmpx_ne_u32_e64 v5, v4
	s_xor_b32 s4, exec_lo, s4
	s_cbranch_execz .LBB126_168
; %bb.163:
	s_mov_b32 s16, exec_lo
	v_cmpx_eq_u32_e32 6, v5
	s_cbranch_execz .LBB126_167
; %bb.164:
	v_cmp_ne_u32_e32 vcc_lo, 6, v4
	s_xor_b32 s17, s20, -1
	s_and_b32 s56, s17, vcc_lo
	s_and_saveexec_b32 s17, s56
	s_cbranch_execz .LBB126_166
; %bb.165:
	v_ashrrev_i32_e32 v5, 31, v4
	v_lshlrev_b64 v[10:11], 2, v[4:5]
	v_add_co_u32 v10, vcc_lo, v8, v10
	v_add_co_ci_u32_e64 v11, null, v9, v11, vcc_lo
	s_clause 0x1
	global_load_dword v5, v[10:11], off
	global_load_dword v15, v[8:9], off offset:24
	s_waitcnt vmcnt(1)
	global_store_dword v[8:9], v5, off offset:24
	s_waitcnt vmcnt(0)
	global_store_dword v[10:11], v15, off
.LBB126_166:
	s_or_b32 exec_lo, exec_lo, s17
	v_mov_b32_e32 v5, v4
	v_mov_b32_e32 v11, v4
.LBB126_167:
	s_or_b32 exec_lo, exec_lo, s16
.LBB126_168:
	s_andn2_saveexec_b32 s4, s4
	s_cbranch_execz .LBB126_172
; %bb.169:
	s_movk_i32 s16, 0x70
	s_inst_prefetch 0x1
	.p2align	6
.LBB126_170:                            ; =>This Inner Loop Header: Depth=1
	v_mov_b32_e32 v10, s16
	s_clause 0xb
	buffer_load_dword v4, v10, s[0:3], 0 offen
	buffer_load_dword v5, v10, s[0:3], 0 offen offset:4
	buffer_load_dword v15, v10, s[0:3], 0 offen offset:8
	;; [unrolled: 1-line block ×11, first 2 shown]
	v_add_nc_u32_e32 v10, s16, v12
	s_add_i32 s16, s16, 48
	s_waitcnt vmcnt(8)
	ds_write2_b64 v10, v[4:5], v[15:16] offset1:1
	s_waitcnt vmcnt(4)
	ds_write2_b64 v10, v[17:18], v[19:20] offset0:2 offset1:3
	s_waitcnt vmcnt(0)
	ds_write2_b64 v10, v[21:22], v[23:24] offset0:4 offset1:5
	s_cmpk_eq_i32 s16, 0x400
	s_cbranch_scc0 .LBB126_170
; %bb.171:
	s_inst_prefetch 0x2
	v_mov_b32_e32 v5, 6
.LBB126_172:
	s_or_b32 exec_lo, exec_lo, s4
	s_mov_b32 s4, exec_lo
	s_waitcnt lgkmcnt(0)
	s_waitcnt_vscnt null, 0x0
	s_barrier
	buffer_gl0_inv
	v_cmpx_lt_i32_e32 6, v5
	s_cbranch_execz .LBB126_175
; %bb.173:
	s_clause 0x3
	buffer_load_dword v15, off, s[0:3], 0 offset:104
	buffer_load_dword v16, off, s[0:3], 0 offset:108
	;; [unrolled: 1-line block ×4, first 2 shown]
	s_movk_i32 s16, 0x70
	s_waitcnt vmcnt(2)
	v_mul_f64 v[19:20], v[2:3], v[15:16]
	v_mul_f64 v[15:16], v[0:1], v[15:16]
	s_waitcnt vmcnt(0)
	v_fma_f64 v[0:1], v[0:1], v[17:18], -v[19:20]
	v_fma_f64 v[2:3], v[2:3], v[17:18], v[15:16]
	buffer_store_dword v0, off, s[0:3], 0 offset:96
	buffer_store_dword v1, off, s[0:3], 0 offset:100
	;; [unrolled: 1-line block ×4, first 2 shown]
.LBB126_174:                            ; =>This Inner Loop Header: Depth=1
	s_clause 0x3
	buffer_load_dword v19, off, s[0:3], 0 offset:104
	buffer_load_dword v20, off, s[0:3], 0 offset:108
	;; [unrolled: 1-line block ×4, first 2 shown]
	v_mov_b32_e32 v4, s16
	v_add_nc_u32_e32 v10, s16, v12
	s_add_i32 s16, s16, 48
	s_clause 0x3
	buffer_load_dword v23, v4, s[0:3], 0 offen
	buffer_load_dword v24, v4, s[0:3], 0 offen offset:4
	buffer_load_dword v25, v4, s[0:3], 0 offen offset:8
	;; [unrolled: 1-line block ×3, first 2 shown]
	ds_read2_b64 v[0:3], v10 offset1:1
	ds_read2_b64 v[15:18], v10 offset0:2 offset1:3
	s_cmpk_lg_i32 s16, 0x400
	s_waitcnt vmcnt(6) lgkmcnt(1)
	v_mul_f64 v[27:28], v[2:3], v[19:20]
	v_mul_f64 v[19:20], v[0:1], v[19:20]
	s_waitcnt vmcnt(4)
	v_fma_f64 v[0:1], v[0:1], v[21:22], -v[27:28]
	v_fma_f64 v[2:3], v[2:3], v[21:22], v[19:20]
	s_clause 0x3
	buffer_load_dword v19, v4, s[0:3], 0 offen offset:16
	buffer_load_dword v20, v4, s[0:3], 0 offen offset:20
	;; [unrolled: 1-line block ×4, first 2 shown]
	s_waitcnt vmcnt(6)
	v_add_f64 v[0:1], v[23:24], -v[0:1]
	s_waitcnt vmcnt(4)
	v_add_f64 v[2:3], v[25:26], -v[2:3]
	buffer_store_dword v1, v4, s[0:3], 0 offen offset:4
	buffer_store_dword v0, v4, s[0:3], 0 offen
	buffer_store_dword v3, v4, s[0:3], 0 offen offset:12
	buffer_store_dword v2, v4, s[0:3], 0 offen offset:8
	s_clause 0x3
	buffer_load_dword v1, off, s[0:3], 0 offset:108
	buffer_load_dword v0, off, s[0:3], 0 offset:104
	;; [unrolled: 1-line block ×4, first 2 shown]
	s_waitcnt vmcnt(2) lgkmcnt(0)
	v_mul_f64 v[23:24], v[17:18], v[0:1]
	v_mul_f64 v[0:1], v[15:16], v[0:1]
	s_waitcnt vmcnt(0)
	v_fma_f64 v[15:16], v[15:16], v[2:3], -v[23:24]
	v_fma_f64 v[0:1], v[17:18], v[2:3], v[0:1]
	v_add_f64 v[2:3], v[19:20], -v[15:16]
	v_add_f64 v[0:1], v[21:22], -v[0:1]
	s_clause 0x3
	buffer_load_dword v15, v4, s[0:3], 0 offen offset:32
	buffer_load_dword v16, v4, s[0:3], 0 offen offset:36
	;; [unrolled: 1-line block ×4, first 2 shown]
	buffer_store_dword v3, v4, s[0:3], 0 offen offset:20
	buffer_store_dword v2, v4, s[0:3], 0 offen offset:16
	;; [unrolled: 1-line block ×4, first 2 shown]
	s_clause 0x3
	buffer_load_dword v19, off, s[0:3], 0 offset:104
	buffer_load_dword v20, off, s[0:3], 0 offset:108
	buffer_load_dword v21, off, s[0:3], 0 offset:96
	buffer_load_dword v22, off, s[0:3], 0 offset:100
	ds_read2_b64 v[0:3], v10 offset0:4 offset1:5
	s_waitcnt vmcnt(2) lgkmcnt(0)
	v_mul_f64 v[23:24], v[2:3], v[19:20]
	v_mul_f64 v[19:20], v[0:1], v[19:20]
	s_waitcnt vmcnt(0)
	v_fma_f64 v[0:1], v[0:1], v[21:22], -v[23:24]
	v_fma_f64 v[2:3], v[2:3], v[21:22], v[19:20]
	v_add_f64 v[0:1], v[15:16], -v[0:1]
	v_add_f64 v[2:3], v[17:18], -v[2:3]
	buffer_store_dword v1, v4, s[0:3], 0 offen offset:36
	buffer_store_dword v0, v4, s[0:3], 0 offen offset:32
	;; [unrolled: 1-line block ×4, first 2 shown]
	s_cbranch_scc1 .LBB126_174
.LBB126_175:
	s_or_b32 exec_lo, exec_lo, s4
	v_mov_b32_e32 v3, s77
	s_waitcnt_vscnt null, 0x0
	s_barrier
	buffer_gl0_inv
	v_lshl_add_u32 v4, v5, 4, v12
	s_clause 0x3
	buffer_load_dword v0, v3, s[0:3], 0 offen
	buffer_load_dword v1, v3, s[0:3], 0 offen offset:4
	buffer_load_dword v2, v3, s[0:3], 0 offen offset:8
	;; [unrolled: 1-line block ×3, first 2 shown]
	s_cmp_lt_i32 s57, 9
	s_waitcnt vmcnt(0)
	ds_write2_b64 v4, v[0:1], v[2:3] offset1:1
	s_waitcnt lgkmcnt(0)
	s_barrier
	buffer_gl0_inv
	ds_read2_b64 v[0:3], v12 offset0:14 offset1:15
	v_mov_b32_e32 v4, 7
	s_cbranch_scc1 .LBB126_178
; %bb.176:
	v_add3_u32 v10, v14, 0, 0x80
	v_mov_b32_e32 v4, 7
	s_mov_b32 s16, 8
	s_inst_prefetch 0x1
	.p2align	6
.LBB126_177:                            ; =>This Inner Loop Header: Depth=1
	s_waitcnt lgkmcnt(0)
	v_cmp_gt_f64_e32 vcc_lo, 0, v[2:3]
	v_cmp_gt_f64_e64 s4, 0, v[0:1]
	ds_read2_b64 v[15:18], v10 offset1:1
	v_xor_b32_e32 v20, 0x80000000, v1
	v_xor_b32_e32 v22, 0x80000000, v3
	v_mov_b32_e32 v19, v0
	v_mov_b32_e32 v21, v2
	v_add_nc_u32_e32 v10, 16, v10
	s_waitcnt lgkmcnt(0)
	v_xor_b32_e32 v24, 0x80000000, v18
	v_cndmask_b32_e64 v20, v1, v20, s4
	v_cndmask_b32_e32 v22, v3, v22, vcc_lo
	v_cmp_gt_f64_e32 vcc_lo, 0, v[17:18]
	v_cmp_gt_f64_e64 s4, 0, v[15:16]
	v_mov_b32_e32 v23, v17
	v_add_f64 v[19:20], v[19:20], v[21:22]
	v_xor_b32_e32 v22, 0x80000000, v16
	v_mov_b32_e32 v21, v15
	v_cndmask_b32_e32 v24, v18, v24, vcc_lo
	v_cndmask_b32_e64 v22, v16, v22, s4
	v_add_f64 v[21:22], v[21:22], v[23:24]
	v_cmp_lt_f64_e32 vcc_lo, v[19:20], v[21:22]
	v_cndmask_b32_e32 v1, v1, v16, vcc_lo
	v_cndmask_b32_e32 v0, v0, v15, vcc_lo
	;; [unrolled: 1-line block ×4, first 2 shown]
	v_cndmask_b32_e64 v4, v4, s16, vcc_lo
	s_add_i32 s16, s16, 1
	s_cmp_lg_u32 s57, s16
	s_cbranch_scc1 .LBB126_177
.LBB126_178:
	s_inst_prefetch 0x2
	s_waitcnt lgkmcnt(0)
	v_cmp_eq_f64_e32 vcc_lo, 0, v[0:1]
	v_cmp_eq_f64_e64 s4, 0, v[2:3]
	s_and_b32 s4, vcc_lo, s4
	s_and_saveexec_b32 s16, s4
	s_xor_b32 s4, exec_lo, s16
; %bb.179:
	v_cmp_ne_u32_e32 vcc_lo, 0, v13
	v_cndmask_b32_e32 v13, 8, v13, vcc_lo
; %bb.180:
	s_andn2_saveexec_b32 s4, s4
	s_cbranch_execz .LBB126_186
; %bb.181:
	v_cmp_ngt_f64_e64 s16, |v[0:1]|, |v[2:3]|
	s_and_saveexec_b32 s17, s16
	s_xor_b32 s16, exec_lo, s17
	s_cbranch_execz .LBB126_183
; %bb.182:
	v_div_scale_f64 v[15:16], null, v[2:3], v[2:3], v[0:1]
	v_div_scale_f64 v[21:22], vcc_lo, v[0:1], v[2:3], v[0:1]
	v_rcp_f64_e32 v[17:18], v[15:16]
	v_fma_f64 v[19:20], -v[15:16], v[17:18], 1.0
	v_fma_f64 v[17:18], v[17:18], v[19:20], v[17:18]
	v_fma_f64 v[19:20], -v[15:16], v[17:18], 1.0
	v_fma_f64 v[17:18], v[17:18], v[19:20], v[17:18]
	v_mul_f64 v[19:20], v[21:22], v[17:18]
	v_fma_f64 v[15:16], -v[15:16], v[19:20], v[21:22]
	v_div_fmas_f64 v[15:16], v[15:16], v[17:18], v[19:20]
	v_div_fixup_f64 v[15:16], v[15:16], v[2:3], v[0:1]
	v_fma_f64 v[0:1], v[0:1], v[15:16], v[2:3]
	v_div_scale_f64 v[2:3], null, v[0:1], v[0:1], 1.0
	v_rcp_f64_e32 v[17:18], v[2:3]
	v_fma_f64 v[19:20], -v[2:3], v[17:18], 1.0
	v_fma_f64 v[17:18], v[17:18], v[19:20], v[17:18]
	v_fma_f64 v[19:20], -v[2:3], v[17:18], 1.0
	v_fma_f64 v[17:18], v[17:18], v[19:20], v[17:18]
	v_div_scale_f64 v[19:20], vcc_lo, 1.0, v[0:1], 1.0
	v_mul_f64 v[21:22], v[19:20], v[17:18]
	v_fma_f64 v[2:3], -v[2:3], v[21:22], v[19:20]
	v_div_fmas_f64 v[2:3], v[2:3], v[17:18], v[21:22]
	v_div_fixup_f64 v[2:3], v[2:3], v[0:1], 1.0
	v_mul_f64 v[0:1], v[15:16], v[2:3]
	v_xor_b32_e32 v3, 0x80000000, v3
.LBB126_183:
	s_andn2_saveexec_b32 s16, s16
	s_cbranch_execz .LBB126_185
; %bb.184:
	v_div_scale_f64 v[15:16], null, v[0:1], v[0:1], v[2:3]
	v_div_scale_f64 v[21:22], vcc_lo, v[2:3], v[0:1], v[2:3]
	v_rcp_f64_e32 v[17:18], v[15:16]
	v_fma_f64 v[19:20], -v[15:16], v[17:18], 1.0
	v_fma_f64 v[17:18], v[17:18], v[19:20], v[17:18]
	v_fma_f64 v[19:20], -v[15:16], v[17:18], 1.0
	v_fma_f64 v[17:18], v[17:18], v[19:20], v[17:18]
	v_mul_f64 v[19:20], v[21:22], v[17:18]
	v_fma_f64 v[15:16], -v[15:16], v[19:20], v[21:22]
	v_div_fmas_f64 v[15:16], v[15:16], v[17:18], v[19:20]
	v_div_fixup_f64 v[15:16], v[15:16], v[0:1], v[2:3]
	v_fma_f64 v[0:1], v[2:3], v[15:16], v[0:1]
	v_div_scale_f64 v[2:3], null, v[0:1], v[0:1], 1.0
	v_rcp_f64_e32 v[17:18], v[2:3]
	v_fma_f64 v[19:20], -v[2:3], v[17:18], 1.0
	v_fma_f64 v[17:18], v[17:18], v[19:20], v[17:18]
	v_fma_f64 v[19:20], -v[2:3], v[17:18], 1.0
	v_fma_f64 v[17:18], v[17:18], v[19:20], v[17:18]
	v_div_scale_f64 v[19:20], vcc_lo, 1.0, v[0:1], 1.0
	v_mul_f64 v[21:22], v[19:20], v[17:18]
	v_fma_f64 v[2:3], -v[2:3], v[21:22], v[19:20]
	v_div_fmas_f64 v[2:3], v[2:3], v[17:18], v[21:22]
	v_div_fixup_f64 v[0:1], v[2:3], v[0:1], 1.0
	v_mul_f64 v[2:3], v[15:16], -v[0:1]
.LBB126_185:
	s_or_b32 exec_lo, exec_lo, s16
.LBB126_186:
	s_or_b32 exec_lo, exec_lo, s4
	s_mov_b32 s4, exec_lo
	v_cmpx_ne_u32_e64 v5, v4
	s_xor_b32 s4, exec_lo, s4
	s_cbranch_execz .LBB126_192
; %bb.187:
	s_mov_b32 s16, exec_lo
	v_cmpx_eq_u32_e32 7, v5
	s_cbranch_execz .LBB126_191
; %bb.188:
	v_cmp_ne_u32_e32 vcc_lo, 7, v4
	s_xor_b32 s17, s20, -1
	s_and_b32 s56, s17, vcc_lo
	s_and_saveexec_b32 s17, s56
	s_cbranch_execz .LBB126_190
; %bb.189:
	v_ashrrev_i32_e32 v5, 31, v4
	v_lshlrev_b64 v[10:11], 2, v[4:5]
	v_add_co_u32 v10, vcc_lo, v8, v10
	v_add_co_ci_u32_e64 v11, null, v9, v11, vcc_lo
	s_clause 0x1
	global_load_dword v5, v[10:11], off
	global_load_dword v15, v[8:9], off offset:28
	s_waitcnt vmcnt(1)
	global_store_dword v[8:9], v5, off offset:28
	s_waitcnt vmcnt(0)
	global_store_dword v[10:11], v15, off
.LBB126_190:
	s_or_b32 exec_lo, exec_lo, s17
	v_mov_b32_e32 v5, v4
	v_mov_b32_e32 v11, v4
.LBB126_191:
	s_or_b32 exec_lo, exec_lo, s16
.LBB126_192:
	s_andn2_saveexec_b32 s4, s4
	s_cbranch_execz .LBB126_196
; %bb.193:
	s_movk_i32 s16, 0x80
.LBB126_194:                            ; =>This Inner Loop Header: Depth=1
	v_mov_b32_e32 v10, s16
	s_clause 0x37
	buffer_load_dword v4, v10, s[0:3], 0 offen
	buffer_load_dword v5, v10, s[0:3], 0 offen offset:4
	buffer_load_dword v15, v10, s[0:3], 0 offen offset:8
	;; [unrolled: 1-line block ×55, first 2 shown]
	v_add_nc_u32_e32 v10, s16, v12
	s_addk_i32 s16, 0xe0
	s_waitcnt vmcnt(52)
	ds_write2_b64 v10, v[4:5], v[15:16] offset1:1
	s_waitcnt vmcnt(48)
	ds_write2_b64 v10, v[17:18], v[19:20] offset0:2 offset1:3
	s_waitcnt vmcnt(44)
	ds_write2_b64 v10, v[21:22], v[23:24] offset0:4 offset1:5
	;; [unrolled: 2-line block ×4, first 2 shown]
	ds_write2_b64 v10, v[33:34], v[31:32] offset0:10 offset1:11
	s_waitcnt vmcnt(24)
	ds_write2_b64 v10, v[43:44], v[37:38] offset0:12 offset1:13
	ds_write2_b64 v10, v[41:42], v[39:40] offset0:14 offset1:15
	s_waitcnt vmcnt(20)
	ds_write2_b64 v10, v[45:46], v[47:48] offset0:16 offset1:17
	s_waitcnt vmcnt(16)
	;; [unrolled: 2-line block ×6, first 2 shown]
	ds_write2_b64 v10, v[65:66], v[67:68] offset0:26 offset1:27
	s_cmpk_eq_i32 s16, 0x400
	s_cbranch_scc0 .LBB126_194
; %bb.195:
	v_mov_b32_e32 v5, 7
.LBB126_196:
	s_or_b32 exec_lo, exec_lo, s4
	s_mov_b32 s4, exec_lo
	s_waitcnt lgkmcnt(0)
	s_waitcnt_vscnt null, 0x0
	s_barrier
	buffer_gl0_inv
	v_cmpx_lt_i32_e32 7, v5
	s_cbranch_execz .LBB126_199
; %bb.197:
	s_clause 0x3
	buffer_load_dword v15, off, s[0:3], 0 offset:120
	buffer_load_dword v16, off, s[0:3], 0 offset:124
	buffer_load_dword v17, off, s[0:3], 0 offset:112
	buffer_load_dword v18, off, s[0:3], 0 offset:116
	s_movk_i32 s83, 0x80
	s_waitcnt vmcnt(2)
	v_mul_f64 v[19:20], v[2:3], v[15:16]
	v_mul_f64 v[15:16], v[0:1], v[15:16]
	s_waitcnt vmcnt(0)
	v_fma_f64 v[0:1], v[0:1], v[17:18], -v[19:20]
	v_fma_f64 v[2:3], v[2:3], v[17:18], v[15:16]
	buffer_store_dword v0, off, s[0:3], 0 offset:112
	buffer_store_dword v1, off, s[0:3], 0 offset:116
	buffer_store_dword v2, off, s[0:3], 0 offset:120
	buffer_store_dword v3, off, s[0:3], 0 offset:124
.LBB126_198:                            ; =>This Inner Loop Header: Depth=1
	s_clause 0x3
	buffer_load_dword v19, off, s[0:3], 0 offset:120
	buffer_load_dword v20, off, s[0:3], 0 offset:124
	;; [unrolled: 1-line block ×4, first 2 shown]
	v_mov_b32_e32 v4, s83
	v_add_nc_u32_e32 v10, s83, v12
	s_addk_i32 s83, 0x70
	s_clause 0x3
	buffer_load_dword v23, v4, s[0:3], 0 offen
	buffer_load_dword v24, v4, s[0:3], 0 offen offset:4
	buffer_load_dword v25, v4, s[0:3], 0 offen offset:8
	;; [unrolled: 1-line block ×3, first 2 shown]
	ds_read2_b64 v[0:3], v10 offset1:1
	s_clause 0x3
	buffer_load_dword v27, v4, s[0:3], 0 offen offset:16
	buffer_load_dword v28, v4, s[0:3], 0 offen offset:20
	;; [unrolled: 1-line block ×4, first 2 shown]
	ds_read2_b64 v[15:18], v10 offset0:2 offset1:3
	s_cmpk_lg_i32 s83, 0x400
	s_waitcnt vmcnt(10) lgkmcnt(1)
	v_mul_f64 v[31:32], v[2:3], v[19:20]
	v_mul_f64 v[19:20], v[0:1], v[19:20]
	s_waitcnt vmcnt(8)
	v_fma_f64 v[0:1], v[0:1], v[21:22], -v[31:32]
	v_fma_f64 v[2:3], v[2:3], v[21:22], v[19:20]
	s_waitcnt vmcnt(6)
	v_add_f64 v[0:1], v[23:24], -v[0:1]
	s_waitcnt vmcnt(4)
	v_add_f64 v[2:3], v[25:26], -v[2:3]
	buffer_store_dword v1, v4, s[0:3], 0 offen offset:4
	buffer_store_dword v0, v4, s[0:3], 0 offen
	buffer_store_dword v3, v4, s[0:3], 0 offen offset:12
	buffer_store_dword v2, v4, s[0:3], 0 offen offset:8
	s_clause 0x7
	buffer_load_dword v1, off, s[0:3], 0 offset:124
	buffer_load_dword v0, off, s[0:3], 0 offset:120
	;; [unrolled: 1-line block ×4, first 2 shown]
	buffer_load_dword v19, v4, s[0:3], 0 offen offset:32
	buffer_load_dword v20, v4, s[0:3], 0 offen offset:36
	;; [unrolled: 1-line block ×4, first 2 shown]
	s_waitcnt vmcnt(6) lgkmcnt(0)
	v_mul_f64 v[23:24], v[17:18], v[0:1]
	v_mul_f64 v[0:1], v[15:16], v[0:1]
	s_waitcnt vmcnt(4)
	v_fma_f64 v[15:16], v[15:16], v[2:3], -v[23:24]
	v_fma_f64 v[0:1], v[17:18], v[2:3], v[0:1]
	v_add_f64 v[2:3], v[27:28], -v[15:16]
	v_add_f64 v[0:1], v[29:30], -v[0:1]
	buffer_store_dword v3, v4, s[0:3], 0 offen offset:20
	buffer_store_dword v2, v4, s[0:3], 0 offen offset:16
	;; [unrolled: 1-line block ×4, first 2 shown]
	s_clause 0x3
	buffer_load_dword v23, off, s[0:3], 0 offset:120
	buffer_load_dword v24, off, s[0:3], 0 offset:124
	;; [unrolled: 1-line block ×4, first 2 shown]
	ds_read2_b64 v[0:3], v10 offset0:4 offset1:5
	ds_read2_b64 v[15:18], v10 offset0:6 offset1:7
	s_waitcnt vmcnt(2) lgkmcnt(1)
	v_mul_f64 v[27:28], v[2:3], v[23:24]
	v_mul_f64 v[23:24], v[0:1], v[23:24]
	s_waitcnt vmcnt(0)
	v_fma_f64 v[0:1], v[0:1], v[25:26], -v[27:28]
	v_fma_f64 v[2:3], v[2:3], v[25:26], v[23:24]
	v_add_f64 v[0:1], v[19:20], -v[0:1]
	v_add_f64 v[2:3], v[21:22], -v[2:3]
	buffer_store_dword v1, v4, s[0:3], 0 offen offset:36
	buffer_store_dword v0, v4, s[0:3], 0 offen offset:32
	;; [unrolled: 1-line block ×4, first 2 shown]
	s_clause 0x7
	buffer_load_dword v0, off, s[0:3], 0 offset:120
	buffer_load_dword v1, off, s[0:3], 0 offset:124
	;; [unrolled: 1-line block ×4, first 2 shown]
	buffer_load_dword v19, v4, s[0:3], 0 offen offset:48
	buffer_load_dword v20, v4, s[0:3], 0 offen offset:52
	;; [unrolled: 1-line block ×4, first 2 shown]
	s_waitcnt vmcnt(6) lgkmcnt(0)
	v_mul_f64 v[23:24], v[17:18], v[0:1]
	v_mul_f64 v[0:1], v[15:16], v[0:1]
	s_waitcnt vmcnt(4)
	v_fma_f64 v[15:16], v[15:16], v[2:3], -v[23:24]
	v_fma_f64 v[0:1], v[17:18], v[2:3], v[0:1]
	s_waitcnt vmcnt(2)
	v_add_f64 v[2:3], v[19:20], -v[15:16]
	s_waitcnt vmcnt(0)
	v_add_f64 v[0:1], v[21:22], -v[0:1]
	buffer_store_dword v3, v4, s[0:3], 0 offen offset:52
	buffer_store_dword v2, v4, s[0:3], 0 offen offset:48
	;; [unrolled: 1-line block ×4, first 2 shown]
	s_clause 0x7
	buffer_load_dword v19, off, s[0:3], 0 offset:120
	buffer_load_dword v20, off, s[0:3], 0 offset:124
	;; [unrolled: 1-line block ×4, first 2 shown]
	buffer_load_dword v23, v4, s[0:3], 0 offen offset:64
	buffer_load_dword v24, v4, s[0:3], 0 offen offset:68
	;; [unrolled: 1-line block ×4, first 2 shown]
	ds_read2_b64 v[0:3], v10 offset0:8 offset1:9
	ds_read2_b64 v[15:18], v10 offset0:10 offset1:11
	s_waitcnt vmcnt(6) lgkmcnt(1)
	v_mul_f64 v[27:28], v[2:3], v[19:20]
	v_mul_f64 v[19:20], v[0:1], v[19:20]
	s_waitcnt vmcnt(4)
	v_fma_f64 v[0:1], v[0:1], v[21:22], -v[27:28]
	v_fma_f64 v[2:3], v[2:3], v[21:22], v[19:20]
	s_waitcnt vmcnt(2)
	v_add_f64 v[0:1], v[23:24], -v[0:1]
	s_waitcnt vmcnt(0)
	v_add_f64 v[2:3], v[25:26], -v[2:3]
	buffer_store_dword v1, v4, s[0:3], 0 offen offset:68
	buffer_store_dword v0, v4, s[0:3], 0 offen offset:64
	;; [unrolled: 1-line block ×4, first 2 shown]
	s_clause 0x7
	buffer_load_dword v0, off, s[0:3], 0 offset:120
	buffer_load_dword v1, off, s[0:3], 0 offset:124
	buffer_load_dword v2, off, s[0:3], 0 offset:112
	buffer_load_dword v3, off, s[0:3], 0 offset:116
	buffer_load_dword v19, v4, s[0:3], 0 offen offset:80
	buffer_load_dword v20, v4, s[0:3], 0 offen offset:84
	;; [unrolled: 1-line block ×4, first 2 shown]
	s_waitcnt vmcnt(6) lgkmcnt(0)
	v_mul_f64 v[23:24], v[17:18], v[0:1]
	v_mul_f64 v[0:1], v[15:16], v[0:1]
	s_waitcnt vmcnt(4)
	v_fma_f64 v[15:16], v[15:16], v[2:3], -v[23:24]
	v_fma_f64 v[0:1], v[17:18], v[2:3], v[0:1]
	s_waitcnt vmcnt(2)
	v_add_f64 v[2:3], v[19:20], -v[15:16]
	s_waitcnt vmcnt(0)
	v_add_f64 v[0:1], v[21:22], -v[0:1]
	buffer_store_dword v3, v4, s[0:3], 0 offen offset:84
	buffer_store_dword v2, v4, s[0:3], 0 offen offset:80
	;; [unrolled: 1-line block ×4, first 2 shown]
	s_clause 0x7
	buffer_load_dword v15, off, s[0:3], 0 offset:120
	buffer_load_dword v16, off, s[0:3], 0 offset:124
	;; [unrolled: 1-line block ×4, first 2 shown]
	buffer_load_dword v19, v4, s[0:3], 0 offen offset:96
	buffer_load_dword v20, v4, s[0:3], 0 offen offset:100
	buffer_load_dword v21, v4, s[0:3], 0 offen offset:104
	buffer_load_dword v22, v4, s[0:3], 0 offen offset:108
	ds_read2_b64 v[0:3], v10 offset0:12 offset1:13
	s_waitcnt vmcnt(6) lgkmcnt(0)
	v_mul_f64 v[23:24], v[2:3], v[15:16]
	v_mul_f64 v[15:16], v[0:1], v[15:16]
	s_waitcnt vmcnt(4)
	v_fma_f64 v[0:1], v[0:1], v[17:18], -v[23:24]
	v_fma_f64 v[2:3], v[2:3], v[17:18], v[15:16]
	s_waitcnt vmcnt(2)
	v_add_f64 v[0:1], v[19:20], -v[0:1]
	s_waitcnt vmcnt(0)
	v_add_f64 v[2:3], v[21:22], -v[2:3]
	buffer_store_dword v1, v4, s[0:3], 0 offen offset:100
	buffer_store_dword v0, v4, s[0:3], 0 offen offset:96
	;; [unrolled: 1-line block ×4, first 2 shown]
	s_cbranch_scc1 .LBB126_198
.LBB126_199:
	s_or_b32 exec_lo, exec_lo, s4
	v_mov_b32_e32 v3, s76
	s_waitcnt_vscnt null, 0x0
	s_barrier
	buffer_gl0_inv
	v_lshl_add_u32 v4, v5, 4, v12
	s_clause 0x3
	buffer_load_dword v0, v3, s[0:3], 0 offen
	buffer_load_dword v1, v3, s[0:3], 0 offen offset:4
	buffer_load_dword v2, v3, s[0:3], 0 offen offset:8
	;; [unrolled: 1-line block ×3, first 2 shown]
	s_cmp_lt_i32 s57, 10
	s_waitcnt vmcnt(0)
	ds_write2_b64 v4, v[0:1], v[2:3] offset1:1
	s_waitcnt lgkmcnt(0)
	s_barrier
	buffer_gl0_inv
	ds_read2_b64 v[0:3], v12 offset0:16 offset1:17
	v_mov_b32_e32 v4, 8
	s_cbranch_scc1 .LBB126_202
; %bb.200:
	v_add3_u32 v10, v14, 0, 0x90
	v_mov_b32_e32 v4, 8
	s_mov_b32 s16, 9
	s_inst_prefetch 0x1
	.p2align	6
.LBB126_201:                            ; =>This Inner Loop Header: Depth=1
	s_waitcnt lgkmcnt(0)
	v_cmp_gt_f64_e32 vcc_lo, 0, v[2:3]
	v_cmp_gt_f64_e64 s4, 0, v[0:1]
	ds_read2_b64 v[15:18], v10 offset1:1
	v_xor_b32_e32 v20, 0x80000000, v1
	v_xor_b32_e32 v22, 0x80000000, v3
	v_mov_b32_e32 v19, v0
	v_mov_b32_e32 v21, v2
	v_add_nc_u32_e32 v10, 16, v10
	s_waitcnt lgkmcnt(0)
	v_xor_b32_e32 v24, 0x80000000, v18
	v_cndmask_b32_e64 v20, v1, v20, s4
	v_cndmask_b32_e32 v22, v3, v22, vcc_lo
	v_cmp_gt_f64_e32 vcc_lo, 0, v[17:18]
	v_cmp_gt_f64_e64 s4, 0, v[15:16]
	v_mov_b32_e32 v23, v17
	v_add_f64 v[19:20], v[19:20], v[21:22]
	v_xor_b32_e32 v22, 0x80000000, v16
	v_mov_b32_e32 v21, v15
	v_cndmask_b32_e32 v24, v18, v24, vcc_lo
	v_cndmask_b32_e64 v22, v16, v22, s4
	v_add_f64 v[21:22], v[21:22], v[23:24]
	v_cmp_lt_f64_e32 vcc_lo, v[19:20], v[21:22]
	v_cndmask_b32_e32 v1, v1, v16, vcc_lo
	v_cndmask_b32_e32 v0, v0, v15, vcc_lo
	;; [unrolled: 1-line block ×4, first 2 shown]
	v_cndmask_b32_e64 v4, v4, s16, vcc_lo
	s_add_i32 s16, s16, 1
	s_cmp_lg_u32 s57, s16
	s_cbranch_scc1 .LBB126_201
.LBB126_202:
	s_inst_prefetch 0x2
	s_waitcnt lgkmcnt(0)
	v_cmp_eq_f64_e32 vcc_lo, 0, v[0:1]
	v_cmp_eq_f64_e64 s4, 0, v[2:3]
	s_and_b32 s4, vcc_lo, s4
	s_and_saveexec_b32 s16, s4
	s_xor_b32 s4, exec_lo, s16
; %bb.203:
	v_cmp_ne_u32_e32 vcc_lo, 0, v13
	v_cndmask_b32_e32 v13, 9, v13, vcc_lo
; %bb.204:
	s_andn2_saveexec_b32 s4, s4
	s_cbranch_execz .LBB126_210
; %bb.205:
	v_cmp_ngt_f64_e64 s16, |v[0:1]|, |v[2:3]|
	s_and_saveexec_b32 s17, s16
	s_xor_b32 s16, exec_lo, s17
	s_cbranch_execz .LBB126_207
; %bb.206:
	v_div_scale_f64 v[15:16], null, v[2:3], v[2:3], v[0:1]
	v_div_scale_f64 v[21:22], vcc_lo, v[0:1], v[2:3], v[0:1]
	v_rcp_f64_e32 v[17:18], v[15:16]
	v_fma_f64 v[19:20], -v[15:16], v[17:18], 1.0
	v_fma_f64 v[17:18], v[17:18], v[19:20], v[17:18]
	v_fma_f64 v[19:20], -v[15:16], v[17:18], 1.0
	v_fma_f64 v[17:18], v[17:18], v[19:20], v[17:18]
	v_mul_f64 v[19:20], v[21:22], v[17:18]
	v_fma_f64 v[15:16], -v[15:16], v[19:20], v[21:22]
	v_div_fmas_f64 v[15:16], v[15:16], v[17:18], v[19:20]
	v_div_fixup_f64 v[15:16], v[15:16], v[2:3], v[0:1]
	v_fma_f64 v[0:1], v[0:1], v[15:16], v[2:3]
	v_div_scale_f64 v[2:3], null, v[0:1], v[0:1], 1.0
	v_rcp_f64_e32 v[17:18], v[2:3]
	v_fma_f64 v[19:20], -v[2:3], v[17:18], 1.0
	v_fma_f64 v[17:18], v[17:18], v[19:20], v[17:18]
	v_fma_f64 v[19:20], -v[2:3], v[17:18], 1.0
	v_fma_f64 v[17:18], v[17:18], v[19:20], v[17:18]
	v_div_scale_f64 v[19:20], vcc_lo, 1.0, v[0:1], 1.0
	v_mul_f64 v[21:22], v[19:20], v[17:18]
	v_fma_f64 v[2:3], -v[2:3], v[21:22], v[19:20]
	v_div_fmas_f64 v[2:3], v[2:3], v[17:18], v[21:22]
	v_div_fixup_f64 v[2:3], v[2:3], v[0:1], 1.0
	v_mul_f64 v[0:1], v[15:16], v[2:3]
	v_xor_b32_e32 v3, 0x80000000, v3
.LBB126_207:
	s_andn2_saveexec_b32 s16, s16
	s_cbranch_execz .LBB126_209
; %bb.208:
	v_div_scale_f64 v[15:16], null, v[0:1], v[0:1], v[2:3]
	v_div_scale_f64 v[21:22], vcc_lo, v[2:3], v[0:1], v[2:3]
	v_rcp_f64_e32 v[17:18], v[15:16]
	v_fma_f64 v[19:20], -v[15:16], v[17:18], 1.0
	v_fma_f64 v[17:18], v[17:18], v[19:20], v[17:18]
	v_fma_f64 v[19:20], -v[15:16], v[17:18], 1.0
	v_fma_f64 v[17:18], v[17:18], v[19:20], v[17:18]
	v_mul_f64 v[19:20], v[21:22], v[17:18]
	v_fma_f64 v[15:16], -v[15:16], v[19:20], v[21:22]
	v_div_fmas_f64 v[15:16], v[15:16], v[17:18], v[19:20]
	v_div_fixup_f64 v[15:16], v[15:16], v[0:1], v[2:3]
	v_fma_f64 v[0:1], v[2:3], v[15:16], v[0:1]
	v_div_scale_f64 v[2:3], null, v[0:1], v[0:1], 1.0
	v_rcp_f64_e32 v[17:18], v[2:3]
	v_fma_f64 v[19:20], -v[2:3], v[17:18], 1.0
	v_fma_f64 v[17:18], v[17:18], v[19:20], v[17:18]
	v_fma_f64 v[19:20], -v[2:3], v[17:18], 1.0
	v_fma_f64 v[17:18], v[17:18], v[19:20], v[17:18]
	v_div_scale_f64 v[19:20], vcc_lo, 1.0, v[0:1], 1.0
	v_mul_f64 v[21:22], v[19:20], v[17:18]
	v_fma_f64 v[2:3], -v[2:3], v[21:22], v[19:20]
	v_div_fmas_f64 v[2:3], v[2:3], v[17:18], v[21:22]
	v_div_fixup_f64 v[0:1], v[2:3], v[0:1], 1.0
	v_mul_f64 v[2:3], v[15:16], -v[0:1]
.LBB126_209:
	s_or_b32 exec_lo, exec_lo, s16
.LBB126_210:
	s_or_b32 exec_lo, exec_lo, s4
	s_mov_b32 s4, exec_lo
	v_cmpx_ne_u32_e64 v5, v4
	s_xor_b32 s4, exec_lo, s4
	s_cbranch_execz .LBB126_216
; %bb.211:
	s_mov_b32 s16, exec_lo
	v_cmpx_eq_u32_e32 8, v5
	s_cbranch_execz .LBB126_215
; %bb.212:
	v_cmp_ne_u32_e32 vcc_lo, 8, v4
	s_xor_b32 s17, s20, -1
	s_and_b32 s56, s17, vcc_lo
	s_and_saveexec_b32 s17, s56
	s_cbranch_execz .LBB126_214
; %bb.213:
	v_ashrrev_i32_e32 v5, 31, v4
	v_lshlrev_b64 v[10:11], 2, v[4:5]
	v_add_co_u32 v10, vcc_lo, v8, v10
	v_add_co_ci_u32_e64 v11, null, v9, v11, vcc_lo
	s_clause 0x1
	global_load_dword v5, v[10:11], off
	global_load_dword v15, v[8:9], off offset:32
	s_waitcnt vmcnt(1)
	global_store_dword v[8:9], v5, off offset:32
	s_waitcnt vmcnt(0)
	global_store_dword v[10:11], v15, off
.LBB126_214:
	s_or_b32 exec_lo, exec_lo, s17
	v_mov_b32_e32 v5, v4
	v_mov_b32_e32 v11, v4
.LBB126_215:
	s_or_b32 exec_lo, exec_lo, s16
.LBB126_216:
	s_andn2_saveexec_b32 s4, s4
	s_cbranch_execz .LBB126_220
; %bb.217:
	s_movk_i32 s16, 0x90
.LBB126_218:                            ; =>This Inner Loop Header: Depth=1
	v_mov_b32_e32 v10, s16
	s_clause 0x2b
	buffer_load_dword v4, v10, s[0:3], 0 offen
	buffer_load_dword v5, v10, s[0:3], 0 offen offset:4
	buffer_load_dword v15, v10, s[0:3], 0 offen offset:8
	;; [unrolled: 1-line block ×43, first 2 shown]
	v_add_nc_u32_e32 v10, s16, v12
	s_addk_i32 s16, 0xb0
	s_waitcnt vmcnt(40)
	ds_write2_b64 v10, v[4:5], v[15:16] offset1:1
	s_waitcnt vmcnt(36)
	ds_write2_b64 v10, v[17:18], v[19:20] offset0:2 offset1:3
	s_waitcnt vmcnt(32)
	ds_write2_b64 v10, v[21:22], v[23:24] offset0:4 offset1:5
	s_waitcnt vmcnt(28)
	ds_write2_b64 v10, v[25:26], v[27:28] offset0:6 offset1:7
	s_waitcnt vmcnt(20)
	ds_write2_b64 v10, v[35:36], v[29:30] offset0:8 offset1:9
	ds_write2_b64 v10, v[33:34], v[31:32] offset0:10 offset1:11
	s_waitcnt vmcnt(12)
	ds_write2_b64 v10, v[43:44], v[37:38] offset0:12 offset1:13
	ds_write2_b64 v10, v[41:42], v[39:40] offset0:14 offset1:15
	s_waitcnt vmcnt(8)
	ds_write2_b64 v10, v[45:46], v[47:48] offset0:16 offset1:17
	s_waitcnt vmcnt(4)
	;; [unrolled: 2-line block ×3, first 2 shown]
	ds_write2_b64 v10, v[53:54], v[55:56] offset0:20 offset1:21
	s_cmpk_eq_i32 s16, 0x400
	s_cbranch_scc0 .LBB126_218
; %bb.219:
	v_mov_b32_e32 v5, 8
.LBB126_220:
	s_or_b32 exec_lo, exec_lo, s4
	s_mov_b32 s4, exec_lo
	s_waitcnt lgkmcnt(0)
	s_waitcnt_vscnt null, 0x0
	s_barrier
	buffer_gl0_inv
	v_cmpx_lt_i32_e32 8, v5
	s_cbranch_execz .LBB126_223
; %bb.221:
	s_clause 0x3
	buffer_load_dword v15, off, s[0:3], 0 offset:136
	buffer_load_dword v16, off, s[0:3], 0 offset:140
	;; [unrolled: 1-line block ×4, first 2 shown]
	s_movk_i32 s83, 0x90
	s_waitcnt vmcnt(2)
	v_mul_f64 v[19:20], v[2:3], v[15:16]
	v_mul_f64 v[15:16], v[0:1], v[15:16]
	s_waitcnt vmcnt(0)
	v_fma_f64 v[0:1], v[0:1], v[17:18], -v[19:20]
	v_fma_f64 v[2:3], v[2:3], v[17:18], v[15:16]
	buffer_store_dword v0, off, s[0:3], 0 offset:128
	buffer_store_dword v1, off, s[0:3], 0 offset:132
	;; [unrolled: 1-line block ×4, first 2 shown]
.LBB126_222:                            ; =>This Inner Loop Header: Depth=1
	s_clause 0x3
	buffer_load_dword v19, off, s[0:3], 0 offset:136
	buffer_load_dword v20, off, s[0:3], 0 offset:140
	;; [unrolled: 1-line block ×4, first 2 shown]
	v_mov_b32_e32 v4, s83
	v_add_nc_u32_e32 v10, s83, v12
	s_addk_i32 s83, 0x50
	s_clause 0x3
	buffer_load_dword v23, v4, s[0:3], 0 offen
	buffer_load_dword v24, v4, s[0:3], 0 offen offset:4
	buffer_load_dword v25, v4, s[0:3], 0 offen offset:8
	;; [unrolled: 1-line block ×3, first 2 shown]
	ds_read2_b64 v[0:3], v10 offset1:1
	ds_read2_b64 v[15:18], v10 offset0:2 offset1:3
	s_cmpk_lg_i32 s83, 0x400
	s_waitcnt vmcnt(6) lgkmcnt(1)
	v_mul_f64 v[27:28], v[2:3], v[19:20]
	v_mul_f64 v[19:20], v[0:1], v[19:20]
	s_waitcnt vmcnt(4)
	v_fma_f64 v[0:1], v[0:1], v[21:22], -v[27:28]
	v_fma_f64 v[2:3], v[2:3], v[21:22], v[19:20]
	s_clause 0x3
	buffer_load_dword v19, v4, s[0:3], 0 offen offset:16
	buffer_load_dword v20, v4, s[0:3], 0 offen offset:20
	;; [unrolled: 1-line block ×4, first 2 shown]
	s_waitcnt vmcnt(6)
	v_add_f64 v[0:1], v[23:24], -v[0:1]
	s_waitcnt vmcnt(4)
	v_add_f64 v[2:3], v[25:26], -v[2:3]
	buffer_store_dword v1, v4, s[0:3], 0 offen offset:4
	buffer_store_dword v0, v4, s[0:3], 0 offen
	buffer_store_dword v3, v4, s[0:3], 0 offen offset:12
	buffer_store_dword v2, v4, s[0:3], 0 offen offset:8
	s_clause 0x3
	buffer_load_dword v1, off, s[0:3], 0 offset:140
	buffer_load_dword v0, off, s[0:3], 0 offset:136
	;; [unrolled: 1-line block ×4, first 2 shown]
	s_waitcnt vmcnt(2) lgkmcnt(0)
	v_mul_f64 v[23:24], v[17:18], v[0:1]
	v_mul_f64 v[0:1], v[15:16], v[0:1]
	s_waitcnt vmcnt(0)
	v_fma_f64 v[15:16], v[15:16], v[2:3], -v[23:24]
	v_fma_f64 v[0:1], v[17:18], v[2:3], v[0:1]
	v_add_f64 v[2:3], v[19:20], -v[15:16]
	v_add_f64 v[0:1], v[21:22], -v[0:1]
	s_clause 0x3
	buffer_load_dword v19, v4, s[0:3], 0 offen offset:32
	buffer_load_dword v20, v4, s[0:3], 0 offen offset:36
	;; [unrolled: 1-line block ×4, first 2 shown]
	buffer_store_dword v3, v4, s[0:3], 0 offen offset:20
	buffer_store_dword v2, v4, s[0:3], 0 offen offset:16
	;; [unrolled: 1-line block ×4, first 2 shown]
	s_clause 0x3
	buffer_load_dword v23, off, s[0:3], 0 offset:136
	buffer_load_dword v24, off, s[0:3], 0 offset:140
	;; [unrolled: 1-line block ×4, first 2 shown]
	ds_read2_b64 v[0:3], v10 offset0:4 offset1:5
	ds_read2_b64 v[15:18], v10 offset0:6 offset1:7
	s_waitcnt vmcnt(2) lgkmcnt(1)
	v_mul_f64 v[27:28], v[2:3], v[23:24]
	v_mul_f64 v[23:24], v[0:1], v[23:24]
	s_waitcnt vmcnt(0)
	v_fma_f64 v[0:1], v[0:1], v[25:26], -v[27:28]
	v_fma_f64 v[2:3], v[2:3], v[25:26], v[23:24]
	v_add_f64 v[0:1], v[19:20], -v[0:1]
	v_add_f64 v[2:3], v[21:22], -v[2:3]
	buffer_store_dword v1, v4, s[0:3], 0 offen offset:36
	buffer_store_dword v0, v4, s[0:3], 0 offen offset:32
	;; [unrolled: 1-line block ×4, first 2 shown]
	s_clause 0x7
	buffer_load_dword v0, off, s[0:3], 0 offset:136
	buffer_load_dword v1, off, s[0:3], 0 offset:140
	;; [unrolled: 1-line block ×4, first 2 shown]
	buffer_load_dword v19, v4, s[0:3], 0 offen offset:48
	buffer_load_dword v20, v4, s[0:3], 0 offen offset:52
	;; [unrolled: 1-line block ×4, first 2 shown]
	s_waitcnt vmcnt(6) lgkmcnt(0)
	v_mul_f64 v[23:24], v[17:18], v[0:1]
	v_mul_f64 v[0:1], v[15:16], v[0:1]
	s_waitcnt vmcnt(4)
	v_fma_f64 v[15:16], v[15:16], v[2:3], -v[23:24]
	v_fma_f64 v[0:1], v[17:18], v[2:3], v[0:1]
	s_waitcnt vmcnt(2)
	v_add_f64 v[2:3], v[19:20], -v[15:16]
	s_waitcnt vmcnt(0)
	v_add_f64 v[0:1], v[21:22], -v[0:1]
	buffer_store_dword v3, v4, s[0:3], 0 offen offset:52
	buffer_store_dword v2, v4, s[0:3], 0 offen offset:48
	;; [unrolled: 1-line block ×4, first 2 shown]
	s_clause 0x7
	buffer_load_dword v15, off, s[0:3], 0 offset:136
	buffer_load_dword v16, off, s[0:3], 0 offset:140
	;; [unrolled: 1-line block ×4, first 2 shown]
	buffer_load_dword v19, v4, s[0:3], 0 offen offset:64
	buffer_load_dword v20, v4, s[0:3], 0 offen offset:68
	;; [unrolled: 1-line block ×4, first 2 shown]
	ds_read2_b64 v[0:3], v10 offset0:8 offset1:9
	s_waitcnt vmcnt(6) lgkmcnt(0)
	v_mul_f64 v[23:24], v[2:3], v[15:16]
	v_mul_f64 v[15:16], v[0:1], v[15:16]
	s_waitcnt vmcnt(4)
	v_fma_f64 v[0:1], v[0:1], v[17:18], -v[23:24]
	v_fma_f64 v[2:3], v[2:3], v[17:18], v[15:16]
	s_waitcnt vmcnt(2)
	v_add_f64 v[0:1], v[19:20], -v[0:1]
	s_waitcnt vmcnt(0)
	v_add_f64 v[2:3], v[21:22], -v[2:3]
	buffer_store_dword v1, v4, s[0:3], 0 offen offset:68
	buffer_store_dword v0, v4, s[0:3], 0 offen offset:64
	;; [unrolled: 1-line block ×4, first 2 shown]
	s_cbranch_scc1 .LBB126_222
.LBB126_223:
	s_or_b32 exec_lo, exec_lo, s4
	v_mov_b32_e32 v3, s75
	s_waitcnt_vscnt null, 0x0
	s_barrier
	buffer_gl0_inv
	v_lshl_add_u32 v4, v5, 4, v12
	s_clause 0x3
	buffer_load_dword v0, v3, s[0:3], 0 offen
	buffer_load_dword v1, v3, s[0:3], 0 offen offset:4
	buffer_load_dword v2, v3, s[0:3], 0 offen offset:8
	;; [unrolled: 1-line block ×3, first 2 shown]
	s_cmp_lt_i32 s57, 11
	s_waitcnt vmcnt(0)
	ds_write2_b64 v4, v[0:1], v[2:3] offset1:1
	s_waitcnt lgkmcnt(0)
	s_barrier
	buffer_gl0_inv
	ds_read2_b64 v[0:3], v12 offset0:18 offset1:19
	v_mov_b32_e32 v4, 9
	s_cbranch_scc1 .LBB126_226
; %bb.224:
	v_add3_u32 v10, v14, 0, 0xa0
	v_mov_b32_e32 v4, 9
	s_mov_b32 s16, 10
	s_inst_prefetch 0x1
	.p2align	6
.LBB126_225:                            ; =>This Inner Loop Header: Depth=1
	s_waitcnt lgkmcnt(0)
	v_cmp_gt_f64_e32 vcc_lo, 0, v[2:3]
	v_cmp_gt_f64_e64 s4, 0, v[0:1]
	ds_read2_b64 v[15:18], v10 offset1:1
	v_xor_b32_e32 v20, 0x80000000, v1
	v_xor_b32_e32 v22, 0x80000000, v3
	v_mov_b32_e32 v19, v0
	v_mov_b32_e32 v21, v2
	v_add_nc_u32_e32 v10, 16, v10
	s_waitcnt lgkmcnt(0)
	v_xor_b32_e32 v24, 0x80000000, v18
	v_cndmask_b32_e64 v20, v1, v20, s4
	v_cndmask_b32_e32 v22, v3, v22, vcc_lo
	v_cmp_gt_f64_e32 vcc_lo, 0, v[17:18]
	v_cmp_gt_f64_e64 s4, 0, v[15:16]
	v_mov_b32_e32 v23, v17
	v_add_f64 v[19:20], v[19:20], v[21:22]
	v_xor_b32_e32 v22, 0x80000000, v16
	v_mov_b32_e32 v21, v15
	v_cndmask_b32_e32 v24, v18, v24, vcc_lo
	v_cndmask_b32_e64 v22, v16, v22, s4
	v_add_f64 v[21:22], v[21:22], v[23:24]
	v_cmp_lt_f64_e32 vcc_lo, v[19:20], v[21:22]
	v_cndmask_b32_e32 v1, v1, v16, vcc_lo
	v_cndmask_b32_e32 v0, v0, v15, vcc_lo
	;; [unrolled: 1-line block ×4, first 2 shown]
	v_cndmask_b32_e64 v4, v4, s16, vcc_lo
	s_add_i32 s16, s16, 1
	s_cmp_lg_u32 s57, s16
	s_cbranch_scc1 .LBB126_225
.LBB126_226:
	s_inst_prefetch 0x2
	s_waitcnt lgkmcnt(0)
	v_cmp_eq_f64_e32 vcc_lo, 0, v[0:1]
	v_cmp_eq_f64_e64 s4, 0, v[2:3]
	s_and_b32 s4, vcc_lo, s4
	s_and_saveexec_b32 s16, s4
	s_xor_b32 s4, exec_lo, s16
; %bb.227:
	v_cmp_ne_u32_e32 vcc_lo, 0, v13
	v_cndmask_b32_e32 v13, 10, v13, vcc_lo
; %bb.228:
	s_andn2_saveexec_b32 s4, s4
	s_cbranch_execz .LBB126_234
; %bb.229:
	v_cmp_ngt_f64_e64 s16, |v[0:1]|, |v[2:3]|
	s_and_saveexec_b32 s17, s16
	s_xor_b32 s16, exec_lo, s17
	s_cbranch_execz .LBB126_231
; %bb.230:
	v_div_scale_f64 v[15:16], null, v[2:3], v[2:3], v[0:1]
	v_div_scale_f64 v[21:22], vcc_lo, v[0:1], v[2:3], v[0:1]
	v_rcp_f64_e32 v[17:18], v[15:16]
	v_fma_f64 v[19:20], -v[15:16], v[17:18], 1.0
	v_fma_f64 v[17:18], v[17:18], v[19:20], v[17:18]
	v_fma_f64 v[19:20], -v[15:16], v[17:18], 1.0
	v_fma_f64 v[17:18], v[17:18], v[19:20], v[17:18]
	v_mul_f64 v[19:20], v[21:22], v[17:18]
	v_fma_f64 v[15:16], -v[15:16], v[19:20], v[21:22]
	v_div_fmas_f64 v[15:16], v[15:16], v[17:18], v[19:20]
	v_div_fixup_f64 v[15:16], v[15:16], v[2:3], v[0:1]
	v_fma_f64 v[0:1], v[0:1], v[15:16], v[2:3]
	v_div_scale_f64 v[2:3], null, v[0:1], v[0:1], 1.0
	v_rcp_f64_e32 v[17:18], v[2:3]
	v_fma_f64 v[19:20], -v[2:3], v[17:18], 1.0
	v_fma_f64 v[17:18], v[17:18], v[19:20], v[17:18]
	v_fma_f64 v[19:20], -v[2:3], v[17:18], 1.0
	v_fma_f64 v[17:18], v[17:18], v[19:20], v[17:18]
	v_div_scale_f64 v[19:20], vcc_lo, 1.0, v[0:1], 1.0
	v_mul_f64 v[21:22], v[19:20], v[17:18]
	v_fma_f64 v[2:3], -v[2:3], v[21:22], v[19:20]
	v_div_fmas_f64 v[2:3], v[2:3], v[17:18], v[21:22]
	v_div_fixup_f64 v[2:3], v[2:3], v[0:1], 1.0
	v_mul_f64 v[0:1], v[15:16], v[2:3]
	v_xor_b32_e32 v3, 0x80000000, v3
.LBB126_231:
	s_andn2_saveexec_b32 s16, s16
	s_cbranch_execz .LBB126_233
; %bb.232:
	v_div_scale_f64 v[15:16], null, v[0:1], v[0:1], v[2:3]
	v_div_scale_f64 v[21:22], vcc_lo, v[2:3], v[0:1], v[2:3]
	v_rcp_f64_e32 v[17:18], v[15:16]
	v_fma_f64 v[19:20], -v[15:16], v[17:18], 1.0
	v_fma_f64 v[17:18], v[17:18], v[19:20], v[17:18]
	v_fma_f64 v[19:20], -v[15:16], v[17:18], 1.0
	v_fma_f64 v[17:18], v[17:18], v[19:20], v[17:18]
	v_mul_f64 v[19:20], v[21:22], v[17:18]
	v_fma_f64 v[15:16], -v[15:16], v[19:20], v[21:22]
	v_div_fmas_f64 v[15:16], v[15:16], v[17:18], v[19:20]
	v_div_fixup_f64 v[15:16], v[15:16], v[0:1], v[2:3]
	v_fma_f64 v[0:1], v[2:3], v[15:16], v[0:1]
	v_div_scale_f64 v[2:3], null, v[0:1], v[0:1], 1.0
	v_rcp_f64_e32 v[17:18], v[2:3]
	v_fma_f64 v[19:20], -v[2:3], v[17:18], 1.0
	v_fma_f64 v[17:18], v[17:18], v[19:20], v[17:18]
	v_fma_f64 v[19:20], -v[2:3], v[17:18], 1.0
	v_fma_f64 v[17:18], v[17:18], v[19:20], v[17:18]
	v_div_scale_f64 v[19:20], vcc_lo, 1.0, v[0:1], 1.0
	v_mul_f64 v[21:22], v[19:20], v[17:18]
	v_fma_f64 v[2:3], -v[2:3], v[21:22], v[19:20]
	v_div_fmas_f64 v[2:3], v[2:3], v[17:18], v[21:22]
	v_div_fixup_f64 v[0:1], v[2:3], v[0:1], 1.0
	v_mul_f64 v[2:3], v[15:16], -v[0:1]
.LBB126_233:
	s_or_b32 exec_lo, exec_lo, s16
.LBB126_234:
	s_or_b32 exec_lo, exec_lo, s4
	s_mov_b32 s4, exec_lo
	v_cmpx_ne_u32_e64 v5, v4
	s_xor_b32 s4, exec_lo, s4
	s_cbranch_execz .LBB126_240
; %bb.235:
	s_mov_b32 s16, exec_lo
	v_cmpx_eq_u32_e32 9, v5
	s_cbranch_execz .LBB126_239
; %bb.236:
	v_cmp_ne_u32_e32 vcc_lo, 9, v4
	s_xor_b32 s17, s20, -1
	s_and_b32 s56, s17, vcc_lo
	s_and_saveexec_b32 s17, s56
	s_cbranch_execz .LBB126_238
; %bb.237:
	v_ashrrev_i32_e32 v5, 31, v4
	v_lshlrev_b64 v[10:11], 2, v[4:5]
	v_add_co_u32 v10, vcc_lo, v8, v10
	v_add_co_ci_u32_e64 v11, null, v9, v11, vcc_lo
	s_clause 0x1
	global_load_dword v5, v[10:11], off
	global_load_dword v15, v[8:9], off offset:36
	s_waitcnt vmcnt(1)
	global_store_dword v[8:9], v5, off offset:36
	s_waitcnt vmcnt(0)
	global_store_dword v[10:11], v15, off
.LBB126_238:
	s_or_b32 exec_lo, exec_lo, s17
	v_mov_b32_e32 v5, v4
	v_mov_b32_e32 v11, v4
.LBB126_239:
	s_or_b32 exec_lo, exec_lo, s16
.LBB126_240:
	s_andn2_saveexec_b32 s4, s4
	s_cbranch_execz .LBB126_244
; %bb.241:
	s_movk_i32 s83, 0xa0
.LBB126_242:                            ; =>This Inner Loop Header: Depth=1
	v_mov_b32_e32 v10, s83
	s_clause 0x3e
	buffer_load_dword v4, v10, s[0:3], 0 offen
	buffer_load_dword v5, v10, s[0:3], 0 offen offset:4
	buffer_load_dword v15, v10, s[0:3], 0 offen offset:8
	;; [unrolled: 1-line block ×62, first 2 shown]
	s_clause 0x8
	buffer_load_dword v76, v10, s[0:3], 0 offen offset:252
	buffer_load_dword v77, v10, s[0:3], 0 offen offset:256
	;; [unrolled: 1-line block ×9, first 2 shown]
	v_add_nc_u32_e32 v10, s83, v12
	s_addk_i32 s83, 0x120
	s_waitcnt vmcnt(62)
	ds_write2_b64 v10, v[4:5], v[15:16] offset1:1
	ds_write2_b64 v10, v[17:18], v[19:20] offset0:2 offset1:3
	s_waitcnt vmcnt(60)
	ds_write2_b64 v10, v[21:22], v[23:24] offset0:4 offset1:5
	s_waitcnt vmcnt(56)
	;; [unrolled: 2-line block ×3, first 2 shown]
	ds_write2_b64 v10, v[35:36], v[29:30] offset0:8 offset1:9
	ds_write2_b64 v10, v[33:34], v[31:32] offset0:10 offset1:11
	s_waitcnt vmcnt(40)
	ds_write2_b64 v10, v[43:44], v[37:38] offset0:12 offset1:13
	ds_write2_b64 v10, v[41:42], v[39:40] offset0:14 offset1:15
	s_waitcnt vmcnt(36)
	ds_write2_b64 v10, v[45:46], v[47:48] offset0:16 offset1:17
	s_waitcnt vmcnt(32)
	;; [unrolled: 2-line block ×10, first 2 shown]
	ds_write2_b64 v10, v[81:82], v[83:84] offset0:34 offset1:35
	s_cmpk_eq_i32 s83, 0x400
	s_cbranch_scc0 .LBB126_242
; %bb.243:
	v_mov_b32_e32 v5, 9
.LBB126_244:
	s_or_b32 exec_lo, exec_lo, s4
	s_mov_b32 s4, exec_lo
	s_waitcnt lgkmcnt(0)
	s_waitcnt_vscnt null, 0x0
	s_barrier
	buffer_gl0_inv
	v_cmpx_lt_i32_e32 9, v5
	s_cbranch_execz .LBB126_247
; %bb.245:
	s_clause 0x3
	buffer_load_dword v15, off, s[0:3], 0 offset:152
	buffer_load_dword v16, off, s[0:3], 0 offset:156
	;; [unrolled: 1-line block ×4, first 2 shown]
	s_movk_i32 s83, 0xa0
	s_waitcnt vmcnt(2)
	v_mul_f64 v[19:20], v[2:3], v[15:16]
	v_mul_f64 v[15:16], v[0:1], v[15:16]
	s_waitcnt vmcnt(0)
	v_fma_f64 v[0:1], v[0:1], v[17:18], -v[19:20]
	v_fma_f64 v[2:3], v[2:3], v[17:18], v[15:16]
	buffer_store_dword v0, off, s[0:3], 0 offset:144
	buffer_store_dword v1, off, s[0:3], 0 offset:148
	;; [unrolled: 1-line block ×4, first 2 shown]
.LBB126_246:                            ; =>This Inner Loop Header: Depth=1
	s_clause 0x3
	buffer_load_dword v19, off, s[0:3], 0 offset:152
	buffer_load_dword v20, off, s[0:3], 0 offset:156
	;; [unrolled: 1-line block ×4, first 2 shown]
	v_mov_b32_e32 v4, s83
	v_add_nc_u32_e32 v10, s83, v12
	s_addk_i32 s83, 0x60
	s_clause 0x3
	buffer_load_dword v23, v4, s[0:3], 0 offen
	buffer_load_dword v24, v4, s[0:3], 0 offen offset:4
	buffer_load_dword v25, v4, s[0:3], 0 offen offset:8
	;; [unrolled: 1-line block ×3, first 2 shown]
	ds_read2_b64 v[0:3], v10 offset1:1
	s_clause 0x3
	buffer_load_dword v27, v4, s[0:3], 0 offen offset:16
	buffer_load_dword v28, v4, s[0:3], 0 offen offset:20
	;; [unrolled: 1-line block ×4, first 2 shown]
	ds_read2_b64 v[15:18], v10 offset0:2 offset1:3
	s_cmpk_lg_i32 s83, 0x400
	s_waitcnt vmcnt(10) lgkmcnt(1)
	v_mul_f64 v[31:32], v[2:3], v[19:20]
	v_mul_f64 v[19:20], v[0:1], v[19:20]
	s_waitcnt vmcnt(8)
	v_fma_f64 v[0:1], v[0:1], v[21:22], -v[31:32]
	v_fma_f64 v[2:3], v[2:3], v[21:22], v[19:20]
	s_waitcnt vmcnt(6)
	v_add_f64 v[0:1], v[23:24], -v[0:1]
	s_waitcnt vmcnt(4)
	v_add_f64 v[2:3], v[25:26], -v[2:3]
	buffer_store_dword v1, v4, s[0:3], 0 offen offset:4
	buffer_store_dword v0, v4, s[0:3], 0 offen
	buffer_store_dword v3, v4, s[0:3], 0 offen offset:12
	buffer_store_dword v2, v4, s[0:3], 0 offen offset:8
	s_clause 0x3
	buffer_load_dword v1, off, s[0:3], 0 offset:156
	buffer_load_dword v0, off, s[0:3], 0 offset:152
	;; [unrolled: 1-line block ×4, first 2 shown]
	s_waitcnt vmcnt(2) lgkmcnt(0)
	v_mul_f64 v[19:20], v[17:18], v[0:1]
	v_mul_f64 v[0:1], v[15:16], v[0:1]
	s_waitcnt vmcnt(0)
	v_fma_f64 v[15:16], v[15:16], v[2:3], -v[19:20]
	v_fma_f64 v[0:1], v[17:18], v[2:3], v[0:1]
	s_clause 0x3
	buffer_load_dword v19, v4, s[0:3], 0 offen offset:32
	buffer_load_dword v20, v4, s[0:3], 0 offen offset:36
	;; [unrolled: 1-line block ×4, first 2 shown]
	v_add_f64 v[2:3], v[27:28], -v[15:16]
	v_add_f64 v[0:1], v[29:30], -v[0:1]
	buffer_store_dword v3, v4, s[0:3], 0 offen offset:20
	buffer_store_dword v2, v4, s[0:3], 0 offen offset:16
	;; [unrolled: 1-line block ×4, first 2 shown]
	s_clause 0x3
	buffer_load_dword v23, off, s[0:3], 0 offset:152
	buffer_load_dword v24, off, s[0:3], 0 offset:156
	buffer_load_dword v25, off, s[0:3], 0 offset:144
	buffer_load_dword v26, off, s[0:3], 0 offset:148
	ds_read2_b64 v[0:3], v10 offset0:4 offset1:5
	ds_read2_b64 v[15:18], v10 offset0:6 offset1:7
	s_waitcnt vmcnt(2) lgkmcnt(1)
	v_mul_f64 v[27:28], v[2:3], v[23:24]
	v_mul_f64 v[23:24], v[0:1], v[23:24]
	s_waitcnt vmcnt(0)
	v_fma_f64 v[0:1], v[0:1], v[25:26], -v[27:28]
	v_fma_f64 v[2:3], v[2:3], v[25:26], v[23:24]
	v_add_f64 v[0:1], v[19:20], -v[0:1]
	v_add_f64 v[2:3], v[21:22], -v[2:3]
	buffer_store_dword v1, v4, s[0:3], 0 offen offset:36
	buffer_store_dword v0, v4, s[0:3], 0 offen offset:32
	;; [unrolled: 1-line block ×4, first 2 shown]
	s_clause 0x7
	buffer_load_dword v0, off, s[0:3], 0 offset:152
	buffer_load_dword v1, off, s[0:3], 0 offset:156
	;; [unrolled: 1-line block ×4, first 2 shown]
	buffer_load_dword v19, v4, s[0:3], 0 offen offset:48
	buffer_load_dword v20, v4, s[0:3], 0 offen offset:52
	;; [unrolled: 1-line block ×4, first 2 shown]
	s_waitcnt vmcnt(6) lgkmcnt(0)
	v_mul_f64 v[23:24], v[17:18], v[0:1]
	v_mul_f64 v[0:1], v[15:16], v[0:1]
	s_waitcnt vmcnt(4)
	v_fma_f64 v[15:16], v[15:16], v[2:3], -v[23:24]
	v_fma_f64 v[0:1], v[17:18], v[2:3], v[0:1]
	s_waitcnt vmcnt(2)
	v_add_f64 v[2:3], v[19:20], -v[15:16]
	s_waitcnt vmcnt(0)
	v_add_f64 v[0:1], v[21:22], -v[0:1]
	buffer_store_dword v3, v4, s[0:3], 0 offen offset:52
	buffer_store_dword v2, v4, s[0:3], 0 offen offset:48
	;; [unrolled: 1-line block ×4, first 2 shown]
	s_clause 0x7
	buffer_load_dword v19, off, s[0:3], 0 offset:152
	buffer_load_dword v20, off, s[0:3], 0 offset:156
	;; [unrolled: 1-line block ×4, first 2 shown]
	buffer_load_dword v23, v4, s[0:3], 0 offen offset:64
	buffer_load_dword v24, v4, s[0:3], 0 offen offset:68
	;; [unrolled: 1-line block ×4, first 2 shown]
	ds_read2_b64 v[0:3], v10 offset0:8 offset1:9
	ds_read2_b64 v[15:18], v10 offset0:10 offset1:11
	s_waitcnt vmcnt(6) lgkmcnt(1)
	v_mul_f64 v[27:28], v[2:3], v[19:20]
	v_mul_f64 v[19:20], v[0:1], v[19:20]
	s_waitcnt vmcnt(4)
	v_fma_f64 v[0:1], v[0:1], v[21:22], -v[27:28]
	v_fma_f64 v[2:3], v[2:3], v[21:22], v[19:20]
	s_waitcnt vmcnt(2)
	v_add_f64 v[0:1], v[23:24], -v[0:1]
	s_waitcnt vmcnt(0)
	v_add_f64 v[2:3], v[25:26], -v[2:3]
	buffer_store_dword v1, v4, s[0:3], 0 offen offset:68
	buffer_store_dword v0, v4, s[0:3], 0 offen offset:64
	;; [unrolled: 1-line block ×4, first 2 shown]
	s_clause 0x7
	buffer_load_dword v0, off, s[0:3], 0 offset:152
	buffer_load_dword v1, off, s[0:3], 0 offset:156
	;; [unrolled: 1-line block ×4, first 2 shown]
	buffer_load_dword v19, v4, s[0:3], 0 offen offset:80
	buffer_load_dword v20, v4, s[0:3], 0 offen offset:84
	;; [unrolled: 1-line block ×4, first 2 shown]
	s_waitcnt vmcnt(6) lgkmcnt(0)
	v_mul_f64 v[23:24], v[17:18], v[0:1]
	v_mul_f64 v[0:1], v[15:16], v[0:1]
	s_waitcnt vmcnt(4)
	v_fma_f64 v[15:16], v[15:16], v[2:3], -v[23:24]
	v_fma_f64 v[0:1], v[17:18], v[2:3], v[0:1]
	s_waitcnt vmcnt(2)
	v_add_f64 v[2:3], v[19:20], -v[15:16]
	s_waitcnt vmcnt(0)
	v_add_f64 v[0:1], v[21:22], -v[0:1]
	buffer_store_dword v3, v4, s[0:3], 0 offen offset:84
	buffer_store_dword v2, v4, s[0:3], 0 offen offset:80
	;; [unrolled: 1-line block ×4, first 2 shown]
	s_cbranch_scc1 .LBB126_246
.LBB126_247:
	s_or_b32 exec_lo, exec_lo, s4
	v_mov_b32_e32 v3, s74
	s_waitcnt_vscnt null, 0x0
	s_barrier
	buffer_gl0_inv
	v_lshl_add_u32 v4, v5, 4, v12
	s_clause 0x3
	buffer_load_dword v0, v3, s[0:3], 0 offen
	buffer_load_dword v1, v3, s[0:3], 0 offen offset:4
	buffer_load_dword v2, v3, s[0:3], 0 offen offset:8
	;; [unrolled: 1-line block ×3, first 2 shown]
	s_cmp_lt_i32 s57, 12
	s_waitcnt vmcnt(0)
	ds_write2_b64 v4, v[0:1], v[2:3] offset1:1
	s_waitcnt lgkmcnt(0)
	s_barrier
	buffer_gl0_inv
	ds_read2_b64 v[0:3], v12 offset0:20 offset1:21
	v_mov_b32_e32 v4, 10
	s_cbranch_scc1 .LBB126_250
; %bb.248:
	v_add3_u32 v10, v14, 0, 0xb0
	v_mov_b32_e32 v4, 10
	s_mov_b32 s16, 11
	s_inst_prefetch 0x1
	.p2align	6
.LBB126_249:                            ; =>This Inner Loop Header: Depth=1
	s_waitcnt lgkmcnt(0)
	v_cmp_gt_f64_e32 vcc_lo, 0, v[2:3]
	v_cmp_gt_f64_e64 s4, 0, v[0:1]
	ds_read2_b64 v[15:18], v10 offset1:1
	v_xor_b32_e32 v20, 0x80000000, v1
	v_xor_b32_e32 v22, 0x80000000, v3
	v_mov_b32_e32 v19, v0
	v_mov_b32_e32 v21, v2
	v_add_nc_u32_e32 v10, 16, v10
	s_waitcnt lgkmcnt(0)
	v_xor_b32_e32 v24, 0x80000000, v18
	v_cndmask_b32_e64 v20, v1, v20, s4
	v_cndmask_b32_e32 v22, v3, v22, vcc_lo
	v_cmp_gt_f64_e32 vcc_lo, 0, v[17:18]
	v_cmp_gt_f64_e64 s4, 0, v[15:16]
	v_mov_b32_e32 v23, v17
	v_add_f64 v[19:20], v[19:20], v[21:22]
	v_xor_b32_e32 v22, 0x80000000, v16
	v_mov_b32_e32 v21, v15
	v_cndmask_b32_e32 v24, v18, v24, vcc_lo
	v_cndmask_b32_e64 v22, v16, v22, s4
	v_add_f64 v[21:22], v[21:22], v[23:24]
	v_cmp_lt_f64_e32 vcc_lo, v[19:20], v[21:22]
	v_cndmask_b32_e32 v1, v1, v16, vcc_lo
	v_cndmask_b32_e32 v0, v0, v15, vcc_lo
	;; [unrolled: 1-line block ×4, first 2 shown]
	v_cndmask_b32_e64 v4, v4, s16, vcc_lo
	s_add_i32 s16, s16, 1
	s_cmp_lg_u32 s57, s16
	s_cbranch_scc1 .LBB126_249
.LBB126_250:
	s_inst_prefetch 0x2
	s_waitcnt lgkmcnt(0)
	v_cmp_eq_f64_e32 vcc_lo, 0, v[0:1]
	v_cmp_eq_f64_e64 s4, 0, v[2:3]
	s_and_b32 s4, vcc_lo, s4
	s_and_saveexec_b32 s16, s4
	s_xor_b32 s4, exec_lo, s16
; %bb.251:
	v_cmp_ne_u32_e32 vcc_lo, 0, v13
	v_cndmask_b32_e32 v13, 11, v13, vcc_lo
; %bb.252:
	s_andn2_saveexec_b32 s4, s4
	s_cbranch_execz .LBB126_258
; %bb.253:
	v_cmp_ngt_f64_e64 s16, |v[0:1]|, |v[2:3]|
	s_and_saveexec_b32 s17, s16
	s_xor_b32 s16, exec_lo, s17
	s_cbranch_execz .LBB126_255
; %bb.254:
	v_div_scale_f64 v[15:16], null, v[2:3], v[2:3], v[0:1]
	v_div_scale_f64 v[21:22], vcc_lo, v[0:1], v[2:3], v[0:1]
	v_rcp_f64_e32 v[17:18], v[15:16]
	v_fma_f64 v[19:20], -v[15:16], v[17:18], 1.0
	v_fma_f64 v[17:18], v[17:18], v[19:20], v[17:18]
	v_fma_f64 v[19:20], -v[15:16], v[17:18], 1.0
	v_fma_f64 v[17:18], v[17:18], v[19:20], v[17:18]
	v_mul_f64 v[19:20], v[21:22], v[17:18]
	v_fma_f64 v[15:16], -v[15:16], v[19:20], v[21:22]
	v_div_fmas_f64 v[15:16], v[15:16], v[17:18], v[19:20]
	v_div_fixup_f64 v[15:16], v[15:16], v[2:3], v[0:1]
	v_fma_f64 v[0:1], v[0:1], v[15:16], v[2:3]
	v_div_scale_f64 v[2:3], null, v[0:1], v[0:1], 1.0
	v_rcp_f64_e32 v[17:18], v[2:3]
	v_fma_f64 v[19:20], -v[2:3], v[17:18], 1.0
	v_fma_f64 v[17:18], v[17:18], v[19:20], v[17:18]
	v_fma_f64 v[19:20], -v[2:3], v[17:18], 1.0
	v_fma_f64 v[17:18], v[17:18], v[19:20], v[17:18]
	v_div_scale_f64 v[19:20], vcc_lo, 1.0, v[0:1], 1.0
	v_mul_f64 v[21:22], v[19:20], v[17:18]
	v_fma_f64 v[2:3], -v[2:3], v[21:22], v[19:20]
	v_div_fmas_f64 v[2:3], v[2:3], v[17:18], v[21:22]
	v_div_fixup_f64 v[2:3], v[2:3], v[0:1], 1.0
	v_mul_f64 v[0:1], v[15:16], v[2:3]
	v_xor_b32_e32 v3, 0x80000000, v3
.LBB126_255:
	s_andn2_saveexec_b32 s16, s16
	s_cbranch_execz .LBB126_257
; %bb.256:
	v_div_scale_f64 v[15:16], null, v[0:1], v[0:1], v[2:3]
	v_div_scale_f64 v[21:22], vcc_lo, v[2:3], v[0:1], v[2:3]
	v_rcp_f64_e32 v[17:18], v[15:16]
	v_fma_f64 v[19:20], -v[15:16], v[17:18], 1.0
	v_fma_f64 v[17:18], v[17:18], v[19:20], v[17:18]
	v_fma_f64 v[19:20], -v[15:16], v[17:18], 1.0
	v_fma_f64 v[17:18], v[17:18], v[19:20], v[17:18]
	v_mul_f64 v[19:20], v[21:22], v[17:18]
	v_fma_f64 v[15:16], -v[15:16], v[19:20], v[21:22]
	v_div_fmas_f64 v[15:16], v[15:16], v[17:18], v[19:20]
	v_div_fixup_f64 v[15:16], v[15:16], v[0:1], v[2:3]
	v_fma_f64 v[0:1], v[2:3], v[15:16], v[0:1]
	v_div_scale_f64 v[2:3], null, v[0:1], v[0:1], 1.0
	v_rcp_f64_e32 v[17:18], v[2:3]
	v_fma_f64 v[19:20], -v[2:3], v[17:18], 1.0
	v_fma_f64 v[17:18], v[17:18], v[19:20], v[17:18]
	v_fma_f64 v[19:20], -v[2:3], v[17:18], 1.0
	v_fma_f64 v[17:18], v[17:18], v[19:20], v[17:18]
	v_div_scale_f64 v[19:20], vcc_lo, 1.0, v[0:1], 1.0
	v_mul_f64 v[21:22], v[19:20], v[17:18]
	v_fma_f64 v[2:3], -v[2:3], v[21:22], v[19:20]
	v_div_fmas_f64 v[2:3], v[2:3], v[17:18], v[21:22]
	v_div_fixup_f64 v[0:1], v[2:3], v[0:1], 1.0
	v_mul_f64 v[2:3], v[15:16], -v[0:1]
.LBB126_257:
	s_or_b32 exec_lo, exec_lo, s16
.LBB126_258:
	s_or_b32 exec_lo, exec_lo, s4
	s_mov_b32 s4, exec_lo
	v_cmpx_ne_u32_e64 v5, v4
	s_xor_b32 s4, exec_lo, s4
	s_cbranch_execz .LBB126_264
; %bb.259:
	s_mov_b32 s16, exec_lo
	v_cmpx_eq_u32_e32 10, v5
	s_cbranch_execz .LBB126_263
; %bb.260:
	v_cmp_ne_u32_e32 vcc_lo, 10, v4
	s_xor_b32 s17, s20, -1
	s_and_b32 s56, s17, vcc_lo
	s_and_saveexec_b32 s17, s56
	s_cbranch_execz .LBB126_262
; %bb.261:
	v_ashrrev_i32_e32 v5, 31, v4
	v_lshlrev_b64 v[10:11], 2, v[4:5]
	v_add_co_u32 v10, vcc_lo, v8, v10
	v_add_co_ci_u32_e64 v11, null, v9, v11, vcc_lo
	s_clause 0x1
	global_load_dword v5, v[10:11], off
	global_load_dword v15, v[8:9], off offset:40
	s_waitcnt vmcnt(1)
	global_store_dword v[8:9], v5, off offset:40
	s_waitcnt vmcnt(0)
	global_store_dword v[10:11], v15, off
.LBB126_262:
	s_or_b32 exec_lo, exec_lo, s17
	v_mov_b32_e32 v5, v4
	v_mov_b32_e32 v11, v4
.LBB126_263:
	s_or_b32 exec_lo, exec_lo, s16
.LBB126_264:
	s_andn2_saveexec_b32 s4, s4
	s_cbranch_execz .LBB126_270
; %bb.265:
	s_movk_i32 s16, 0xb0
	s_branch .LBB126_267
.LBB126_266:                            ;   in Loop: Header=BB126_267 Depth=1
	s_andn2_b32 vcc_lo, exec_lo, s56
	s_cbranch_vccz .LBB126_269
.LBB126_267:                            ; =>This Inner Loop Header: Depth=1
	v_mov_b32_e32 v4, s16
	s_mov_b32 s17, s16
	s_mov_b32 s56, -1
	s_cmpk_eq_i32 s16, 0x3b0
	s_clause 0x13
	buffer_load_dword v15, v4, s[0:3], 0 offen
	buffer_load_dword v16, v4, s[0:3], 0 offen offset:4
	buffer_load_dword v17, v4, s[0:3], 0 offen offset:8
	;; [unrolled: 1-line block ×19, first 2 shown]
	v_add_nc_u32_e32 v4, s16, v12
	s_waitcnt vmcnt(16)
	ds_write2_b64 v4, v[15:16], v[17:18] offset1:1
	s_waitcnt vmcnt(12)
	ds_write2_b64 v4, v[19:20], v[21:22] offset0:2 offset1:3
	s_waitcnt vmcnt(8)
	ds_write2_b64 v4, v[23:24], v[25:26] offset0:4 offset1:5
	s_waitcnt vmcnt(4)
	ds_write2_b64 v4, v[27:28], v[29:30] offset0:6 offset1:7
	s_waitcnt vmcnt(0)
	ds_write2_b64 v4, v[33:34], v[31:32] offset0:8 offset1:9
	s_cbranch_scc1 .LBB126_266
; %bb.268:                              ;   in Loop: Header=BB126_267 Depth=1
	v_mov_b32_e32 v5, s17
	s_addk_i32 s16, 0x80
	s_mov_b32 s56, 0
	s_clause 0xb
	buffer_load_dword v15, v5, s[0:3], 0 offen offset:80
	buffer_load_dword v16, v5, s[0:3], 0 offen offset:84
	;; [unrolled: 1-line block ×12, first 2 shown]
	s_waitcnt vmcnt(8)
	ds_write2_b64 v4, v[15:16], v[17:18] offset0:10 offset1:11
	s_waitcnt vmcnt(4)
	ds_write2_b64 v4, v[19:20], v[21:22] offset0:12 offset1:13
	;; [unrolled: 2-line block ×3, first 2 shown]
	s_branch .LBB126_266
.LBB126_269:
	v_mov_b32_e32 v5, 10
.LBB126_270:
	s_or_b32 exec_lo, exec_lo, s4
	s_mov_b32 s4, exec_lo
	s_waitcnt lgkmcnt(0)
	s_waitcnt_vscnt null, 0x0
	s_barrier
	buffer_gl0_inv
	v_cmpx_lt_i32_e32 10, v5
	s_cbranch_execz .LBB126_275
; %bb.271:
	s_clause 0x3
	buffer_load_dword v15, off, s[0:3], 0 offset:168
	buffer_load_dword v16, off, s[0:3], 0 offset:172
	;; [unrolled: 1-line block ×4, first 2 shown]
	s_movk_i32 s83, 0xb0
	s_waitcnt vmcnt(2)
	v_mul_f64 v[19:20], v[2:3], v[15:16]
	v_mul_f64 v[15:16], v[0:1], v[15:16]
	s_waitcnt vmcnt(0)
	v_fma_f64 v[0:1], v[0:1], v[17:18], -v[19:20]
	v_fma_f64 v[2:3], v[2:3], v[17:18], v[15:16]
	buffer_store_dword v0, off, s[0:3], 0 offset:160
	buffer_store_dword v1, off, s[0:3], 0 offset:164
	;; [unrolled: 1-line block ×4, first 2 shown]
	s_branch .LBB126_273
.LBB126_272:                            ;   in Loop: Header=BB126_273 Depth=1
	s_andn2_b32 vcc_lo, exec_lo, s17
	s_cbranch_vccz .LBB126_275
.LBB126_273:                            ; =>This Inner Loop Header: Depth=1
	v_mov_b32_e32 v10, s83
	v_add_nc_u32_e32 v4, s83, v12
	s_mov_b32 s16, s83
	s_mov_b32 s17, -1
	s_cmpk_eq_i32 s83, 0x3f0
	s_clause 0x3
	buffer_load_dword v19, v10, s[0:3], 0 offen
	buffer_load_dword v20, v10, s[0:3], 0 offen offset:4
	buffer_load_dword v21, v10, s[0:3], 0 offen offset:8
	;; [unrolled: 1-line block ×3, first 2 shown]
	ds_read2_b64 v[15:18], v4 offset1:1
	s_waitcnt vmcnt(4) lgkmcnt(0)
	v_mul_f64 v[23:24], v[17:18], v[2:3]
	v_mul_f64 v[2:3], v[15:16], v[2:3]
	v_fma_f64 v[15:16], v[15:16], v[0:1], -v[23:24]
	v_fma_f64 v[0:1], v[17:18], v[0:1], v[2:3]
	s_waitcnt vmcnt(2)
	v_add_f64 v[2:3], v[19:20], -v[15:16]
	s_waitcnt vmcnt(0)
	v_add_f64 v[0:1], v[21:22], -v[0:1]
	buffer_store_dword v2, v10, s[0:3], 0 offen
	buffer_store_dword v3, v10, s[0:3], 0 offen offset:4
	buffer_store_dword v0, v10, s[0:3], 0 offen offset:8
	;; [unrolled: 1-line block ×3, first 2 shown]
                                        ; implicit-def: $vgpr0_vgpr1
                                        ; implicit-def: $vgpr2_vgpr3
	s_cbranch_scc1 .LBB126_272
; %bb.274:                              ;   in Loop: Header=BB126_273 Depth=1
	s_clause 0x3
	buffer_load_dword v19, off, s[0:3], 0 offset:168
	buffer_load_dword v20, off, s[0:3], 0 offset:172
	;; [unrolled: 1-line block ×4, first 2 shown]
	v_mov_b32_e32 v10, s16
	s_add_i32 s83, s83, 64
	s_mov_b32 s17, 0
	s_clause 0x3
	buffer_load_dword v23, v10, s[0:3], 0 offen offset:16
	buffer_load_dword v24, v10, s[0:3], 0 offen offset:20
	;; [unrolled: 1-line block ×4, first 2 shown]
	ds_read2_b64 v[0:3], v4 offset0:2 offset1:3
	ds_read2_b64 v[15:18], v4 offset0:4 offset1:5
	s_waitcnt vmcnt(6) lgkmcnt(1)
	v_mul_f64 v[27:28], v[2:3], v[19:20]
	v_mul_f64 v[19:20], v[0:1], v[19:20]
	s_waitcnt vmcnt(4)
	v_fma_f64 v[0:1], v[0:1], v[21:22], -v[27:28]
	v_fma_f64 v[2:3], v[2:3], v[21:22], v[19:20]
	s_waitcnt vmcnt(2)
	v_add_f64 v[0:1], v[23:24], -v[0:1]
	s_waitcnt vmcnt(0)
	v_add_f64 v[2:3], v[25:26], -v[2:3]
	buffer_store_dword v1, v10, s[0:3], 0 offen offset:20
	buffer_store_dword v0, v10, s[0:3], 0 offen offset:16
	;; [unrolled: 1-line block ×4, first 2 shown]
	s_clause 0x7
	buffer_load_dword v1, v10, s[0:3], 0 offen offset:36
	buffer_load_dword v2, v10, s[0:3], 0 offen offset:40
	;; [unrolled: 1-line block ×3, first 2 shown]
	buffer_load_dword v20, off, s[0:3], 0 offset:172
	buffer_load_dword v19, off, s[0:3], 0 offset:168
	;; [unrolled: 1-line block ×4, first 2 shown]
	buffer_load_dword v0, v10, s[0:3], 0 offen offset:32
	s_waitcnt vmcnt(3) lgkmcnt(0)
	v_mul_f64 v[23:24], v[17:18], v[19:20]
	v_mul_f64 v[19:20], v[15:16], v[19:20]
	s_waitcnt vmcnt(1)
	v_fma_f64 v[15:16], v[15:16], v[21:22], -v[23:24]
	v_fma_f64 v[17:18], v[17:18], v[21:22], v[19:20]
	s_waitcnt vmcnt(0)
	v_add_f64 v[0:1], v[0:1], -v[15:16]
	v_add_f64 v[2:3], v[2:3], -v[17:18]
	buffer_store_dword v1, v10, s[0:3], 0 offen offset:36
	buffer_store_dword v0, v10, s[0:3], 0 offen offset:32
	;; [unrolled: 1-line block ×4, first 2 shown]
	s_clause 0x7
	buffer_load_dword v16, v10, s[0:3], 0 offen offset:52
	buffer_load_dword v17, v10, s[0:3], 0 offen offset:56
	;; [unrolled: 1-line block ×3, first 2 shown]
	buffer_load_dword v19, off, s[0:3], 0 offset:168
	buffer_load_dword v20, off, s[0:3], 0 offset:172
	;; [unrolled: 1-line block ×4, first 2 shown]
	buffer_load_dword v15, v10, s[0:3], 0 offen offset:48
	ds_read2_b64 v[0:3], v4 offset0:6 offset1:7
	s_waitcnt vmcnt(3) lgkmcnt(0)
	v_mul_f64 v[23:24], v[2:3], v[19:20]
	v_mul_f64 v[19:20], v[0:1], v[19:20]
	s_waitcnt vmcnt(1)
	v_fma_f64 v[0:1], v[0:1], v[21:22], -v[23:24]
	v_fma_f64 v[2:3], v[2:3], v[21:22], v[19:20]
	s_waitcnt vmcnt(0)
	v_add_f64 v[0:1], v[15:16], -v[0:1]
	v_add_f64 v[2:3], v[17:18], -v[2:3]
	buffer_store_dword v1, v10, s[0:3], 0 offen offset:52
	buffer_store_dword v0, v10, s[0:3], 0 offen offset:48
	;; [unrolled: 1-line block ×4, first 2 shown]
	s_clause 0x3
	buffer_load_dword v0, off, s[0:3], 0 offset:160
	buffer_load_dword v1, off, s[0:3], 0 offset:164
	buffer_load_dword v2, off, s[0:3], 0 offset:168
	buffer_load_dword v3, off, s[0:3], 0 offset:172
	s_branch .LBB126_272
.LBB126_275:
	s_or_b32 exec_lo, exec_lo, s4
	s_waitcnt vmcnt(0)
	v_mov_b32_e32 v3, s73
	s_waitcnt_vscnt null, 0x0
	s_barrier
	buffer_gl0_inv
	v_lshl_add_u32 v4, v5, 4, v12
	s_clause 0x3
	buffer_load_dword v0, v3, s[0:3], 0 offen
	buffer_load_dword v1, v3, s[0:3], 0 offen offset:4
	buffer_load_dword v2, v3, s[0:3], 0 offen offset:8
	;; [unrolled: 1-line block ×3, first 2 shown]
	s_cmp_lt_i32 s57, 13
	s_waitcnt vmcnt(0)
	ds_write2_b64 v4, v[0:1], v[2:3] offset1:1
	s_waitcnt lgkmcnt(0)
	s_barrier
	buffer_gl0_inv
	ds_read2_b64 v[0:3], v12 offset0:22 offset1:23
	v_mov_b32_e32 v4, 11
	s_cbranch_scc1 .LBB126_278
; %bb.276:
	v_add3_u32 v10, v14, 0, 0xc0
	v_mov_b32_e32 v4, 11
	s_mov_b32 s16, 12
	s_inst_prefetch 0x1
	.p2align	6
.LBB126_277:                            ; =>This Inner Loop Header: Depth=1
	s_waitcnt lgkmcnt(0)
	v_cmp_gt_f64_e32 vcc_lo, 0, v[2:3]
	v_cmp_gt_f64_e64 s4, 0, v[0:1]
	ds_read2_b64 v[15:18], v10 offset1:1
	v_xor_b32_e32 v20, 0x80000000, v1
	v_xor_b32_e32 v22, 0x80000000, v3
	v_mov_b32_e32 v19, v0
	v_mov_b32_e32 v21, v2
	v_add_nc_u32_e32 v10, 16, v10
	s_waitcnt lgkmcnt(0)
	v_xor_b32_e32 v24, 0x80000000, v18
	v_cndmask_b32_e64 v20, v1, v20, s4
	v_cndmask_b32_e32 v22, v3, v22, vcc_lo
	v_cmp_gt_f64_e32 vcc_lo, 0, v[17:18]
	v_cmp_gt_f64_e64 s4, 0, v[15:16]
	v_mov_b32_e32 v23, v17
	v_add_f64 v[19:20], v[19:20], v[21:22]
	v_xor_b32_e32 v22, 0x80000000, v16
	v_mov_b32_e32 v21, v15
	v_cndmask_b32_e32 v24, v18, v24, vcc_lo
	v_cndmask_b32_e64 v22, v16, v22, s4
	v_add_f64 v[21:22], v[21:22], v[23:24]
	v_cmp_lt_f64_e32 vcc_lo, v[19:20], v[21:22]
	v_cndmask_b32_e32 v1, v1, v16, vcc_lo
	v_cndmask_b32_e32 v0, v0, v15, vcc_lo
	;; [unrolled: 1-line block ×4, first 2 shown]
	v_cndmask_b32_e64 v4, v4, s16, vcc_lo
	s_add_i32 s16, s16, 1
	s_cmp_lg_u32 s57, s16
	s_cbranch_scc1 .LBB126_277
.LBB126_278:
	s_inst_prefetch 0x2
	s_waitcnt lgkmcnt(0)
	v_cmp_eq_f64_e32 vcc_lo, 0, v[0:1]
	v_cmp_eq_f64_e64 s4, 0, v[2:3]
	s_and_b32 s4, vcc_lo, s4
	s_and_saveexec_b32 s16, s4
	s_xor_b32 s4, exec_lo, s16
; %bb.279:
	v_cmp_ne_u32_e32 vcc_lo, 0, v13
	v_cndmask_b32_e32 v13, 12, v13, vcc_lo
; %bb.280:
	s_andn2_saveexec_b32 s4, s4
	s_cbranch_execz .LBB126_286
; %bb.281:
	v_cmp_ngt_f64_e64 s16, |v[0:1]|, |v[2:3]|
	s_and_saveexec_b32 s17, s16
	s_xor_b32 s16, exec_lo, s17
	s_cbranch_execz .LBB126_283
; %bb.282:
	v_div_scale_f64 v[15:16], null, v[2:3], v[2:3], v[0:1]
	v_div_scale_f64 v[21:22], vcc_lo, v[0:1], v[2:3], v[0:1]
	v_rcp_f64_e32 v[17:18], v[15:16]
	v_fma_f64 v[19:20], -v[15:16], v[17:18], 1.0
	v_fma_f64 v[17:18], v[17:18], v[19:20], v[17:18]
	v_fma_f64 v[19:20], -v[15:16], v[17:18], 1.0
	v_fma_f64 v[17:18], v[17:18], v[19:20], v[17:18]
	v_mul_f64 v[19:20], v[21:22], v[17:18]
	v_fma_f64 v[15:16], -v[15:16], v[19:20], v[21:22]
	v_div_fmas_f64 v[15:16], v[15:16], v[17:18], v[19:20]
	v_div_fixup_f64 v[15:16], v[15:16], v[2:3], v[0:1]
	v_fma_f64 v[0:1], v[0:1], v[15:16], v[2:3]
	v_div_scale_f64 v[2:3], null, v[0:1], v[0:1], 1.0
	v_rcp_f64_e32 v[17:18], v[2:3]
	v_fma_f64 v[19:20], -v[2:3], v[17:18], 1.0
	v_fma_f64 v[17:18], v[17:18], v[19:20], v[17:18]
	v_fma_f64 v[19:20], -v[2:3], v[17:18], 1.0
	v_fma_f64 v[17:18], v[17:18], v[19:20], v[17:18]
	v_div_scale_f64 v[19:20], vcc_lo, 1.0, v[0:1], 1.0
	v_mul_f64 v[21:22], v[19:20], v[17:18]
	v_fma_f64 v[2:3], -v[2:3], v[21:22], v[19:20]
	v_div_fmas_f64 v[2:3], v[2:3], v[17:18], v[21:22]
	v_div_fixup_f64 v[2:3], v[2:3], v[0:1], 1.0
	v_mul_f64 v[0:1], v[15:16], v[2:3]
	v_xor_b32_e32 v3, 0x80000000, v3
.LBB126_283:
	s_andn2_saveexec_b32 s16, s16
	s_cbranch_execz .LBB126_285
; %bb.284:
	v_div_scale_f64 v[15:16], null, v[0:1], v[0:1], v[2:3]
	v_div_scale_f64 v[21:22], vcc_lo, v[2:3], v[0:1], v[2:3]
	v_rcp_f64_e32 v[17:18], v[15:16]
	v_fma_f64 v[19:20], -v[15:16], v[17:18], 1.0
	v_fma_f64 v[17:18], v[17:18], v[19:20], v[17:18]
	v_fma_f64 v[19:20], -v[15:16], v[17:18], 1.0
	v_fma_f64 v[17:18], v[17:18], v[19:20], v[17:18]
	v_mul_f64 v[19:20], v[21:22], v[17:18]
	v_fma_f64 v[15:16], -v[15:16], v[19:20], v[21:22]
	v_div_fmas_f64 v[15:16], v[15:16], v[17:18], v[19:20]
	v_div_fixup_f64 v[15:16], v[15:16], v[0:1], v[2:3]
	v_fma_f64 v[0:1], v[2:3], v[15:16], v[0:1]
	v_div_scale_f64 v[2:3], null, v[0:1], v[0:1], 1.0
	v_rcp_f64_e32 v[17:18], v[2:3]
	v_fma_f64 v[19:20], -v[2:3], v[17:18], 1.0
	v_fma_f64 v[17:18], v[17:18], v[19:20], v[17:18]
	v_fma_f64 v[19:20], -v[2:3], v[17:18], 1.0
	v_fma_f64 v[17:18], v[17:18], v[19:20], v[17:18]
	v_div_scale_f64 v[19:20], vcc_lo, 1.0, v[0:1], 1.0
	v_mul_f64 v[21:22], v[19:20], v[17:18]
	v_fma_f64 v[2:3], -v[2:3], v[21:22], v[19:20]
	v_div_fmas_f64 v[2:3], v[2:3], v[17:18], v[21:22]
	v_div_fixup_f64 v[0:1], v[2:3], v[0:1], 1.0
	v_mul_f64 v[2:3], v[15:16], -v[0:1]
.LBB126_285:
	s_or_b32 exec_lo, exec_lo, s16
.LBB126_286:
	s_or_b32 exec_lo, exec_lo, s4
	s_mov_b32 s4, exec_lo
	v_cmpx_ne_u32_e64 v5, v4
	s_xor_b32 s4, exec_lo, s4
	s_cbranch_execz .LBB126_292
; %bb.287:
	s_mov_b32 s16, exec_lo
	v_cmpx_eq_u32_e32 11, v5
	s_cbranch_execz .LBB126_291
; %bb.288:
	v_cmp_ne_u32_e32 vcc_lo, 11, v4
	s_xor_b32 s17, s20, -1
	s_and_b32 s56, s17, vcc_lo
	s_and_saveexec_b32 s17, s56
	s_cbranch_execz .LBB126_290
; %bb.289:
	v_ashrrev_i32_e32 v5, 31, v4
	v_lshlrev_b64 v[10:11], 2, v[4:5]
	v_add_co_u32 v10, vcc_lo, v8, v10
	v_add_co_ci_u32_e64 v11, null, v9, v11, vcc_lo
	s_clause 0x1
	global_load_dword v5, v[10:11], off
	global_load_dword v15, v[8:9], off offset:44
	s_waitcnt vmcnt(1)
	global_store_dword v[8:9], v5, off offset:44
	s_waitcnt vmcnt(0)
	global_store_dword v[10:11], v15, off
.LBB126_290:
	s_or_b32 exec_lo, exec_lo, s17
	v_mov_b32_e32 v5, v4
	v_mov_b32_e32 v11, v4
.LBB126_291:
	s_or_b32 exec_lo, exec_lo, s16
.LBB126_292:
	s_andn2_saveexec_b32 s4, s4
	s_cbranch_execz .LBB126_296
; %bb.293:
	s_movk_i32 s16, 0xc0
.LBB126_294:                            ; =>This Inner Loop Header: Depth=1
	v_mov_b32_e32 v10, s16
	s_clause 0x33
	buffer_load_dword v4, v10, s[0:3], 0 offen
	buffer_load_dword v5, v10, s[0:3], 0 offen offset:4
	buffer_load_dword v15, v10, s[0:3], 0 offen offset:8
	;; [unrolled: 1-line block ×51, first 2 shown]
	v_add_nc_u32_e32 v10, s16, v12
	s_addk_i32 s16, 0xd0
	s_waitcnt vmcnt(48)
	ds_write2_b64 v10, v[4:5], v[15:16] offset1:1
	s_waitcnt vmcnt(44)
	ds_write2_b64 v10, v[17:18], v[19:20] offset0:2 offset1:3
	s_waitcnt vmcnt(40)
	ds_write2_b64 v10, v[21:22], v[23:24] offset0:4 offset1:5
	;; [unrolled: 2-line block ×4, first 2 shown]
	ds_write2_b64 v10, v[33:34], v[31:32] offset0:10 offset1:11
	s_waitcnt vmcnt(20)
	ds_write2_b64 v10, v[43:44], v[37:38] offset0:12 offset1:13
	ds_write2_b64 v10, v[41:42], v[39:40] offset0:14 offset1:15
	s_waitcnt vmcnt(16)
	ds_write2_b64 v10, v[45:46], v[47:48] offset0:16 offset1:17
	s_waitcnt vmcnt(12)
	;; [unrolled: 2-line block ×5, first 2 shown]
	ds_write2_b64 v10, v[61:62], v[63:64] offset0:24 offset1:25
	s_cmpk_eq_i32 s16, 0x400
	s_cbranch_scc0 .LBB126_294
; %bb.295:
	v_mov_b32_e32 v5, 11
.LBB126_296:
	s_or_b32 exec_lo, exec_lo, s4
	s_mov_b32 s4, exec_lo
	s_waitcnt lgkmcnt(0)
	s_waitcnt_vscnt null, 0x0
	s_barrier
	buffer_gl0_inv
	v_cmpx_lt_i32_e32 11, v5
	s_cbranch_execz .LBB126_299
; %bb.297:
	s_clause 0x3
	buffer_load_dword v15, off, s[0:3], 0 offset:184
	buffer_load_dword v16, off, s[0:3], 0 offset:188
	;; [unrolled: 1-line block ×4, first 2 shown]
	s_movk_i32 s83, 0xc0
	s_waitcnt vmcnt(2)
	v_mul_f64 v[19:20], v[2:3], v[15:16]
	v_mul_f64 v[15:16], v[0:1], v[15:16]
	s_waitcnt vmcnt(0)
	v_fma_f64 v[0:1], v[0:1], v[17:18], -v[19:20]
	v_fma_f64 v[2:3], v[2:3], v[17:18], v[15:16]
	buffer_store_dword v0, off, s[0:3], 0 offset:176
	buffer_store_dword v1, off, s[0:3], 0 offset:180
	;; [unrolled: 1-line block ×4, first 2 shown]
.LBB126_298:                            ; =>This Inner Loop Header: Depth=1
	s_clause 0x3
	buffer_load_dword v19, off, s[0:3], 0 offset:184
	buffer_load_dword v20, off, s[0:3], 0 offset:188
	;; [unrolled: 1-line block ×4, first 2 shown]
	v_mov_b32_e32 v4, s83
	v_add_nc_u32_e32 v10, s83, v12
	s_add_i32 s83, s83, 64
	s_clause 0x3
	buffer_load_dword v23, v4, s[0:3], 0 offen
	buffer_load_dword v24, v4, s[0:3], 0 offen offset:4
	buffer_load_dword v25, v4, s[0:3], 0 offen offset:8
	;; [unrolled: 1-line block ×3, first 2 shown]
	ds_read2_b64 v[0:3], v10 offset1:1
	ds_read2_b64 v[15:18], v10 offset0:2 offset1:3
	s_cmpk_lg_i32 s83, 0x400
	s_waitcnt vmcnt(6) lgkmcnt(1)
	v_mul_f64 v[27:28], v[2:3], v[19:20]
	v_mul_f64 v[19:20], v[0:1], v[19:20]
	s_waitcnt vmcnt(4)
	v_fma_f64 v[0:1], v[0:1], v[21:22], -v[27:28]
	v_fma_f64 v[2:3], v[2:3], v[21:22], v[19:20]
	s_clause 0x3
	buffer_load_dword v19, v4, s[0:3], 0 offen offset:16
	buffer_load_dword v20, v4, s[0:3], 0 offen offset:20
	;; [unrolled: 1-line block ×4, first 2 shown]
	s_waitcnt vmcnt(6)
	v_add_f64 v[0:1], v[23:24], -v[0:1]
	s_waitcnt vmcnt(4)
	v_add_f64 v[2:3], v[25:26], -v[2:3]
	buffer_store_dword v1, v4, s[0:3], 0 offen offset:4
	buffer_store_dword v0, v4, s[0:3], 0 offen
	buffer_store_dword v3, v4, s[0:3], 0 offen offset:12
	buffer_store_dword v2, v4, s[0:3], 0 offen offset:8
	s_clause 0x3
	buffer_load_dword v1, off, s[0:3], 0 offset:188
	buffer_load_dword v0, off, s[0:3], 0 offset:184
	;; [unrolled: 1-line block ×4, first 2 shown]
	s_waitcnt vmcnt(2) lgkmcnt(0)
	v_mul_f64 v[23:24], v[17:18], v[0:1]
	v_mul_f64 v[0:1], v[15:16], v[0:1]
	s_waitcnt vmcnt(0)
	v_fma_f64 v[15:16], v[15:16], v[2:3], -v[23:24]
	v_fma_f64 v[0:1], v[17:18], v[2:3], v[0:1]
	v_add_f64 v[2:3], v[19:20], -v[15:16]
	v_add_f64 v[0:1], v[21:22], -v[0:1]
	s_clause 0x3
	buffer_load_dword v19, v4, s[0:3], 0 offen offset:32
	buffer_load_dword v20, v4, s[0:3], 0 offen offset:36
	;; [unrolled: 1-line block ×4, first 2 shown]
	buffer_store_dword v3, v4, s[0:3], 0 offen offset:20
	buffer_store_dword v2, v4, s[0:3], 0 offen offset:16
	;; [unrolled: 1-line block ×4, first 2 shown]
	s_clause 0x3
	buffer_load_dword v23, off, s[0:3], 0 offset:184
	buffer_load_dword v24, off, s[0:3], 0 offset:188
	;; [unrolled: 1-line block ×4, first 2 shown]
	ds_read2_b64 v[0:3], v10 offset0:4 offset1:5
	ds_read2_b64 v[15:18], v10 offset0:6 offset1:7
	s_waitcnt vmcnt(2) lgkmcnt(1)
	v_mul_f64 v[27:28], v[2:3], v[23:24]
	v_mul_f64 v[23:24], v[0:1], v[23:24]
	s_waitcnt vmcnt(0)
	v_fma_f64 v[0:1], v[0:1], v[25:26], -v[27:28]
	v_fma_f64 v[2:3], v[2:3], v[25:26], v[23:24]
	v_add_f64 v[0:1], v[19:20], -v[0:1]
	v_add_f64 v[2:3], v[21:22], -v[2:3]
	buffer_store_dword v1, v4, s[0:3], 0 offen offset:36
	buffer_store_dword v0, v4, s[0:3], 0 offen offset:32
	buffer_store_dword v3, v4, s[0:3], 0 offen offset:44
	buffer_store_dword v2, v4, s[0:3], 0 offen offset:40
	s_clause 0x7
	buffer_load_dword v0, off, s[0:3], 0 offset:184
	buffer_load_dword v1, off, s[0:3], 0 offset:188
	;; [unrolled: 1-line block ×4, first 2 shown]
	buffer_load_dword v19, v4, s[0:3], 0 offen offset:48
	buffer_load_dword v20, v4, s[0:3], 0 offen offset:52
	;; [unrolled: 1-line block ×4, first 2 shown]
	s_waitcnt vmcnt(6) lgkmcnt(0)
	v_mul_f64 v[23:24], v[17:18], v[0:1]
	v_mul_f64 v[0:1], v[15:16], v[0:1]
	s_waitcnt vmcnt(4)
	v_fma_f64 v[15:16], v[15:16], v[2:3], -v[23:24]
	v_fma_f64 v[0:1], v[17:18], v[2:3], v[0:1]
	s_waitcnt vmcnt(2)
	v_add_f64 v[2:3], v[19:20], -v[15:16]
	s_waitcnt vmcnt(0)
	v_add_f64 v[0:1], v[21:22], -v[0:1]
	buffer_store_dword v3, v4, s[0:3], 0 offen offset:52
	buffer_store_dword v2, v4, s[0:3], 0 offen offset:48
	;; [unrolled: 1-line block ×4, first 2 shown]
	s_cbranch_scc1 .LBB126_298
.LBB126_299:
	s_or_b32 exec_lo, exec_lo, s4
	v_mov_b32_e32 v3, s72
	s_waitcnt_vscnt null, 0x0
	s_barrier
	buffer_gl0_inv
	v_lshl_add_u32 v4, v5, 4, v12
	s_clause 0x3
	buffer_load_dword v0, v3, s[0:3], 0 offen
	buffer_load_dword v1, v3, s[0:3], 0 offen offset:4
	buffer_load_dword v2, v3, s[0:3], 0 offen offset:8
	;; [unrolled: 1-line block ×3, first 2 shown]
	s_cmp_lt_i32 s57, 14
	s_waitcnt vmcnt(0)
	ds_write2_b64 v4, v[0:1], v[2:3] offset1:1
	s_waitcnt lgkmcnt(0)
	s_barrier
	buffer_gl0_inv
	ds_read2_b64 v[0:3], v12 offset0:24 offset1:25
	v_mov_b32_e32 v4, 12
	s_cbranch_scc1 .LBB126_302
; %bb.300:
	v_add3_u32 v10, v14, 0, 0xd0
	v_mov_b32_e32 v4, 12
	s_mov_b32 s16, 13
	s_inst_prefetch 0x1
	.p2align	6
.LBB126_301:                            ; =>This Inner Loop Header: Depth=1
	s_waitcnt lgkmcnt(0)
	v_cmp_gt_f64_e32 vcc_lo, 0, v[2:3]
	v_cmp_gt_f64_e64 s4, 0, v[0:1]
	ds_read2_b64 v[15:18], v10 offset1:1
	v_xor_b32_e32 v20, 0x80000000, v1
	v_xor_b32_e32 v22, 0x80000000, v3
	v_mov_b32_e32 v19, v0
	v_mov_b32_e32 v21, v2
	v_add_nc_u32_e32 v10, 16, v10
	s_waitcnt lgkmcnt(0)
	v_xor_b32_e32 v24, 0x80000000, v18
	v_cndmask_b32_e64 v20, v1, v20, s4
	v_cndmask_b32_e32 v22, v3, v22, vcc_lo
	v_cmp_gt_f64_e32 vcc_lo, 0, v[17:18]
	v_cmp_gt_f64_e64 s4, 0, v[15:16]
	v_mov_b32_e32 v23, v17
	v_add_f64 v[19:20], v[19:20], v[21:22]
	v_xor_b32_e32 v22, 0x80000000, v16
	v_mov_b32_e32 v21, v15
	v_cndmask_b32_e32 v24, v18, v24, vcc_lo
	v_cndmask_b32_e64 v22, v16, v22, s4
	v_add_f64 v[21:22], v[21:22], v[23:24]
	v_cmp_lt_f64_e32 vcc_lo, v[19:20], v[21:22]
	v_cndmask_b32_e32 v1, v1, v16, vcc_lo
	v_cndmask_b32_e32 v0, v0, v15, vcc_lo
	;; [unrolled: 1-line block ×4, first 2 shown]
	v_cndmask_b32_e64 v4, v4, s16, vcc_lo
	s_add_i32 s16, s16, 1
	s_cmp_lg_u32 s57, s16
	s_cbranch_scc1 .LBB126_301
.LBB126_302:
	s_inst_prefetch 0x2
	s_waitcnt lgkmcnt(0)
	v_cmp_eq_f64_e32 vcc_lo, 0, v[0:1]
	v_cmp_eq_f64_e64 s4, 0, v[2:3]
	s_and_b32 s4, vcc_lo, s4
	s_and_saveexec_b32 s16, s4
	s_xor_b32 s4, exec_lo, s16
; %bb.303:
	v_cmp_ne_u32_e32 vcc_lo, 0, v13
	v_cndmask_b32_e32 v13, 13, v13, vcc_lo
; %bb.304:
	s_andn2_saveexec_b32 s4, s4
	s_cbranch_execz .LBB126_310
; %bb.305:
	v_cmp_ngt_f64_e64 s16, |v[0:1]|, |v[2:3]|
	s_and_saveexec_b32 s17, s16
	s_xor_b32 s16, exec_lo, s17
	s_cbranch_execz .LBB126_307
; %bb.306:
	v_div_scale_f64 v[15:16], null, v[2:3], v[2:3], v[0:1]
	v_div_scale_f64 v[21:22], vcc_lo, v[0:1], v[2:3], v[0:1]
	v_rcp_f64_e32 v[17:18], v[15:16]
	v_fma_f64 v[19:20], -v[15:16], v[17:18], 1.0
	v_fma_f64 v[17:18], v[17:18], v[19:20], v[17:18]
	v_fma_f64 v[19:20], -v[15:16], v[17:18], 1.0
	v_fma_f64 v[17:18], v[17:18], v[19:20], v[17:18]
	v_mul_f64 v[19:20], v[21:22], v[17:18]
	v_fma_f64 v[15:16], -v[15:16], v[19:20], v[21:22]
	v_div_fmas_f64 v[15:16], v[15:16], v[17:18], v[19:20]
	v_div_fixup_f64 v[15:16], v[15:16], v[2:3], v[0:1]
	v_fma_f64 v[0:1], v[0:1], v[15:16], v[2:3]
	v_div_scale_f64 v[2:3], null, v[0:1], v[0:1], 1.0
	v_rcp_f64_e32 v[17:18], v[2:3]
	v_fma_f64 v[19:20], -v[2:3], v[17:18], 1.0
	v_fma_f64 v[17:18], v[17:18], v[19:20], v[17:18]
	v_fma_f64 v[19:20], -v[2:3], v[17:18], 1.0
	v_fma_f64 v[17:18], v[17:18], v[19:20], v[17:18]
	v_div_scale_f64 v[19:20], vcc_lo, 1.0, v[0:1], 1.0
	v_mul_f64 v[21:22], v[19:20], v[17:18]
	v_fma_f64 v[2:3], -v[2:3], v[21:22], v[19:20]
	v_div_fmas_f64 v[2:3], v[2:3], v[17:18], v[21:22]
	v_div_fixup_f64 v[2:3], v[2:3], v[0:1], 1.0
	v_mul_f64 v[0:1], v[15:16], v[2:3]
	v_xor_b32_e32 v3, 0x80000000, v3
.LBB126_307:
	s_andn2_saveexec_b32 s16, s16
	s_cbranch_execz .LBB126_309
; %bb.308:
	v_div_scale_f64 v[15:16], null, v[0:1], v[0:1], v[2:3]
	v_div_scale_f64 v[21:22], vcc_lo, v[2:3], v[0:1], v[2:3]
	v_rcp_f64_e32 v[17:18], v[15:16]
	v_fma_f64 v[19:20], -v[15:16], v[17:18], 1.0
	v_fma_f64 v[17:18], v[17:18], v[19:20], v[17:18]
	v_fma_f64 v[19:20], -v[15:16], v[17:18], 1.0
	v_fma_f64 v[17:18], v[17:18], v[19:20], v[17:18]
	v_mul_f64 v[19:20], v[21:22], v[17:18]
	v_fma_f64 v[15:16], -v[15:16], v[19:20], v[21:22]
	v_div_fmas_f64 v[15:16], v[15:16], v[17:18], v[19:20]
	v_div_fixup_f64 v[15:16], v[15:16], v[0:1], v[2:3]
	v_fma_f64 v[0:1], v[2:3], v[15:16], v[0:1]
	v_div_scale_f64 v[2:3], null, v[0:1], v[0:1], 1.0
	v_rcp_f64_e32 v[17:18], v[2:3]
	v_fma_f64 v[19:20], -v[2:3], v[17:18], 1.0
	v_fma_f64 v[17:18], v[17:18], v[19:20], v[17:18]
	v_fma_f64 v[19:20], -v[2:3], v[17:18], 1.0
	v_fma_f64 v[17:18], v[17:18], v[19:20], v[17:18]
	v_div_scale_f64 v[19:20], vcc_lo, 1.0, v[0:1], 1.0
	v_mul_f64 v[21:22], v[19:20], v[17:18]
	v_fma_f64 v[2:3], -v[2:3], v[21:22], v[19:20]
	v_div_fmas_f64 v[2:3], v[2:3], v[17:18], v[21:22]
	v_div_fixup_f64 v[0:1], v[2:3], v[0:1], 1.0
	v_mul_f64 v[2:3], v[15:16], -v[0:1]
.LBB126_309:
	s_or_b32 exec_lo, exec_lo, s16
.LBB126_310:
	s_or_b32 exec_lo, exec_lo, s4
	s_mov_b32 s4, exec_lo
	v_cmpx_ne_u32_e64 v5, v4
	s_xor_b32 s4, exec_lo, s4
	s_cbranch_execz .LBB126_316
; %bb.311:
	s_mov_b32 s16, exec_lo
	v_cmpx_eq_u32_e32 12, v5
	s_cbranch_execz .LBB126_315
; %bb.312:
	v_cmp_ne_u32_e32 vcc_lo, 12, v4
	s_xor_b32 s17, s20, -1
	s_and_b32 s56, s17, vcc_lo
	s_and_saveexec_b32 s17, s56
	s_cbranch_execz .LBB126_314
; %bb.313:
	v_ashrrev_i32_e32 v5, 31, v4
	v_lshlrev_b64 v[10:11], 2, v[4:5]
	v_add_co_u32 v10, vcc_lo, v8, v10
	v_add_co_ci_u32_e64 v11, null, v9, v11, vcc_lo
	s_clause 0x1
	global_load_dword v5, v[10:11], off
	global_load_dword v15, v[8:9], off offset:48
	s_waitcnt vmcnt(1)
	global_store_dword v[8:9], v5, off offset:48
	s_waitcnt vmcnt(0)
	global_store_dword v[10:11], v15, off
.LBB126_314:
	s_or_b32 exec_lo, exec_lo, s17
	v_mov_b32_e32 v5, v4
	v_mov_b32_e32 v11, v4
.LBB126_315:
	s_or_b32 exec_lo, exec_lo, s16
.LBB126_316:
	s_andn2_saveexec_b32 s4, s4
	s_cbranch_execz .LBB126_320
; %bb.317:
	s_movk_i32 s83, 0xd0
.LBB126_318:                            ; =>This Inner Loop Header: Depth=1
	v_mov_b32_e32 v10, s83
	s_clause 0x3e
	buffer_load_dword v4, v10, s[0:3], 0 offen
	buffer_load_dword v5, v10, s[0:3], 0 offen offset:4
	buffer_load_dword v15, v10, s[0:3], 0 offen offset:8
	;; [unrolled: 1-line block ×62, first 2 shown]
	s_clause 0x4
	buffer_load_dword v76, v10, s[0:3], 0 offen offset:252
	buffer_load_dword v77, v10, s[0:3], 0 offen offset:256
	;; [unrolled: 1-line block ×5, first 2 shown]
	v_add_nc_u32_e32 v10, s83, v12
	s_addk_i32 s83, 0x110
	s_waitcnt vmcnt(62)
	ds_write2_b64 v10, v[4:5], v[15:16] offset1:1
	s_waitcnt vmcnt(60)
	ds_write2_b64 v10, v[17:18], v[19:20] offset0:2 offset1:3
	s_waitcnt vmcnt(56)
	ds_write2_b64 v10, v[21:22], v[23:24] offset0:4 offset1:5
	;; [unrolled: 2-line block ×4, first 2 shown]
	ds_write2_b64 v10, v[33:34], v[31:32] offset0:10 offset1:11
	s_waitcnt vmcnt(36)
	ds_write2_b64 v10, v[43:44], v[37:38] offset0:12 offset1:13
	ds_write2_b64 v10, v[41:42], v[39:40] offset0:14 offset1:15
	s_waitcnt vmcnt(32)
	ds_write2_b64 v10, v[45:46], v[47:48] offset0:16 offset1:17
	s_waitcnt vmcnt(28)
	;; [unrolled: 2-line block ×9, first 2 shown]
	ds_write2_b64 v10, v[77:78], v[79:80] offset0:32 offset1:33
	s_cmpk_eq_i32 s83, 0x400
	s_cbranch_scc0 .LBB126_318
; %bb.319:
	v_mov_b32_e32 v5, 12
.LBB126_320:
	s_or_b32 exec_lo, exec_lo, s4
	s_mov_b32 s4, exec_lo
	s_waitcnt lgkmcnt(0)
	s_waitcnt_vscnt null, 0x0
	s_barrier
	buffer_gl0_inv
	v_cmpx_lt_i32_e32 12, v5
	s_cbranch_execz .LBB126_323
; %bb.321:
	s_clause 0x3
	buffer_load_dword v15, off, s[0:3], 0 offset:200
	buffer_load_dword v16, off, s[0:3], 0 offset:204
	;; [unrolled: 1-line block ×4, first 2 shown]
	s_movk_i32 s16, 0xd0
	s_waitcnt vmcnt(2)
	v_mul_f64 v[19:20], v[2:3], v[15:16]
	v_mul_f64 v[15:16], v[0:1], v[15:16]
	s_waitcnt vmcnt(0)
	v_fma_f64 v[0:1], v[0:1], v[17:18], -v[19:20]
	v_fma_f64 v[2:3], v[2:3], v[17:18], v[15:16]
	buffer_store_dword v0, off, s[0:3], 0 offset:192
	buffer_store_dword v1, off, s[0:3], 0 offset:196
	buffer_store_dword v2, off, s[0:3], 0 offset:200
	buffer_store_dword v3, off, s[0:3], 0 offset:204
.LBB126_322:                            ; =>This Inner Loop Header: Depth=1
	s_clause 0x3
	buffer_load_dword v19, off, s[0:3], 0 offset:200
	buffer_load_dword v20, off, s[0:3], 0 offset:204
	;; [unrolled: 1-line block ×4, first 2 shown]
	v_mov_b32_e32 v4, s16
	v_add_nc_u32_e32 v10, s16, v12
	s_add_i32 s16, s16, 48
	s_clause 0x3
	buffer_load_dword v23, v4, s[0:3], 0 offen
	buffer_load_dword v24, v4, s[0:3], 0 offen offset:4
	buffer_load_dword v25, v4, s[0:3], 0 offen offset:8
	;; [unrolled: 1-line block ×3, first 2 shown]
	ds_read2_b64 v[0:3], v10 offset1:1
	ds_read2_b64 v[15:18], v10 offset0:2 offset1:3
	s_cmpk_lg_i32 s16, 0x400
	s_waitcnt vmcnt(6) lgkmcnt(1)
	v_mul_f64 v[27:28], v[2:3], v[19:20]
	v_mul_f64 v[19:20], v[0:1], v[19:20]
	s_waitcnt vmcnt(4)
	v_fma_f64 v[0:1], v[0:1], v[21:22], -v[27:28]
	v_fma_f64 v[2:3], v[2:3], v[21:22], v[19:20]
	s_clause 0x3
	buffer_load_dword v19, v4, s[0:3], 0 offen offset:16
	buffer_load_dword v20, v4, s[0:3], 0 offen offset:20
	;; [unrolled: 1-line block ×4, first 2 shown]
	s_waitcnt vmcnt(6)
	v_add_f64 v[0:1], v[23:24], -v[0:1]
	s_waitcnt vmcnt(4)
	v_add_f64 v[2:3], v[25:26], -v[2:3]
	buffer_store_dword v1, v4, s[0:3], 0 offen offset:4
	buffer_store_dword v0, v4, s[0:3], 0 offen
	buffer_store_dword v3, v4, s[0:3], 0 offen offset:12
	buffer_store_dword v2, v4, s[0:3], 0 offen offset:8
	s_clause 0x3
	buffer_load_dword v1, off, s[0:3], 0 offset:204
	buffer_load_dword v0, off, s[0:3], 0 offset:200
	;; [unrolled: 1-line block ×4, first 2 shown]
	s_waitcnt vmcnt(2) lgkmcnt(0)
	v_mul_f64 v[23:24], v[17:18], v[0:1]
	v_mul_f64 v[0:1], v[15:16], v[0:1]
	s_waitcnt vmcnt(0)
	v_fma_f64 v[15:16], v[15:16], v[2:3], -v[23:24]
	v_fma_f64 v[0:1], v[17:18], v[2:3], v[0:1]
	v_add_f64 v[2:3], v[19:20], -v[15:16]
	v_add_f64 v[0:1], v[21:22], -v[0:1]
	s_clause 0x3
	buffer_load_dword v15, v4, s[0:3], 0 offen offset:32
	buffer_load_dword v16, v4, s[0:3], 0 offen offset:36
	;; [unrolled: 1-line block ×4, first 2 shown]
	buffer_store_dword v3, v4, s[0:3], 0 offen offset:20
	buffer_store_dword v2, v4, s[0:3], 0 offen offset:16
	;; [unrolled: 1-line block ×4, first 2 shown]
	s_clause 0x3
	buffer_load_dword v19, off, s[0:3], 0 offset:200
	buffer_load_dword v20, off, s[0:3], 0 offset:204
	;; [unrolled: 1-line block ×4, first 2 shown]
	ds_read2_b64 v[0:3], v10 offset0:4 offset1:5
	s_waitcnt vmcnt(2) lgkmcnt(0)
	v_mul_f64 v[23:24], v[2:3], v[19:20]
	v_mul_f64 v[19:20], v[0:1], v[19:20]
	s_waitcnt vmcnt(0)
	v_fma_f64 v[0:1], v[0:1], v[21:22], -v[23:24]
	v_fma_f64 v[2:3], v[2:3], v[21:22], v[19:20]
	v_add_f64 v[0:1], v[15:16], -v[0:1]
	v_add_f64 v[2:3], v[17:18], -v[2:3]
	buffer_store_dword v1, v4, s[0:3], 0 offen offset:36
	buffer_store_dword v0, v4, s[0:3], 0 offen offset:32
	;; [unrolled: 1-line block ×4, first 2 shown]
	s_cbranch_scc1 .LBB126_322
.LBB126_323:
	s_or_b32 exec_lo, exec_lo, s4
	v_mov_b32_e32 v3, s71
	s_waitcnt_vscnt null, 0x0
	s_barrier
	buffer_gl0_inv
	v_lshl_add_u32 v4, v5, 4, v12
	s_clause 0x3
	buffer_load_dword v0, v3, s[0:3], 0 offen
	buffer_load_dword v1, v3, s[0:3], 0 offen offset:4
	buffer_load_dword v2, v3, s[0:3], 0 offen offset:8
	;; [unrolled: 1-line block ×3, first 2 shown]
	s_cmp_lt_i32 s57, 15
	s_waitcnt vmcnt(0)
	ds_write2_b64 v4, v[0:1], v[2:3] offset1:1
	s_waitcnt lgkmcnt(0)
	s_barrier
	buffer_gl0_inv
	ds_read2_b64 v[0:3], v12 offset0:26 offset1:27
	v_mov_b32_e32 v4, 13
	s_cbranch_scc1 .LBB126_326
; %bb.324:
	v_add3_u32 v10, v14, 0, 0xe0
	v_mov_b32_e32 v4, 13
	s_mov_b32 s16, 14
	s_inst_prefetch 0x1
	.p2align	6
.LBB126_325:                            ; =>This Inner Loop Header: Depth=1
	s_waitcnt lgkmcnt(0)
	v_cmp_gt_f64_e32 vcc_lo, 0, v[2:3]
	v_cmp_gt_f64_e64 s4, 0, v[0:1]
	ds_read2_b64 v[15:18], v10 offset1:1
	v_xor_b32_e32 v20, 0x80000000, v1
	v_xor_b32_e32 v22, 0x80000000, v3
	v_mov_b32_e32 v19, v0
	v_mov_b32_e32 v21, v2
	v_add_nc_u32_e32 v10, 16, v10
	s_waitcnt lgkmcnt(0)
	v_xor_b32_e32 v24, 0x80000000, v18
	v_cndmask_b32_e64 v20, v1, v20, s4
	v_cndmask_b32_e32 v22, v3, v22, vcc_lo
	v_cmp_gt_f64_e32 vcc_lo, 0, v[17:18]
	v_cmp_gt_f64_e64 s4, 0, v[15:16]
	v_mov_b32_e32 v23, v17
	v_add_f64 v[19:20], v[19:20], v[21:22]
	v_xor_b32_e32 v22, 0x80000000, v16
	v_mov_b32_e32 v21, v15
	v_cndmask_b32_e32 v24, v18, v24, vcc_lo
	v_cndmask_b32_e64 v22, v16, v22, s4
	v_add_f64 v[21:22], v[21:22], v[23:24]
	v_cmp_lt_f64_e32 vcc_lo, v[19:20], v[21:22]
	v_cndmask_b32_e32 v1, v1, v16, vcc_lo
	v_cndmask_b32_e32 v0, v0, v15, vcc_lo
	;; [unrolled: 1-line block ×4, first 2 shown]
	v_cndmask_b32_e64 v4, v4, s16, vcc_lo
	s_add_i32 s16, s16, 1
	s_cmp_lg_u32 s57, s16
	s_cbranch_scc1 .LBB126_325
.LBB126_326:
	s_inst_prefetch 0x2
	s_waitcnt lgkmcnt(0)
	v_cmp_eq_f64_e32 vcc_lo, 0, v[0:1]
	v_cmp_eq_f64_e64 s4, 0, v[2:3]
	s_and_b32 s4, vcc_lo, s4
	s_and_saveexec_b32 s16, s4
	s_xor_b32 s4, exec_lo, s16
; %bb.327:
	v_cmp_ne_u32_e32 vcc_lo, 0, v13
	v_cndmask_b32_e32 v13, 14, v13, vcc_lo
; %bb.328:
	s_andn2_saveexec_b32 s4, s4
	s_cbranch_execz .LBB126_334
; %bb.329:
	v_cmp_ngt_f64_e64 s16, |v[0:1]|, |v[2:3]|
	s_and_saveexec_b32 s17, s16
	s_xor_b32 s16, exec_lo, s17
	s_cbranch_execz .LBB126_331
; %bb.330:
	v_div_scale_f64 v[15:16], null, v[2:3], v[2:3], v[0:1]
	v_div_scale_f64 v[21:22], vcc_lo, v[0:1], v[2:3], v[0:1]
	v_rcp_f64_e32 v[17:18], v[15:16]
	v_fma_f64 v[19:20], -v[15:16], v[17:18], 1.0
	v_fma_f64 v[17:18], v[17:18], v[19:20], v[17:18]
	v_fma_f64 v[19:20], -v[15:16], v[17:18], 1.0
	v_fma_f64 v[17:18], v[17:18], v[19:20], v[17:18]
	v_mul_f64 v[19:20], v[21:22], v[17:18]
	v_fma_f64 v[15:16], -v[15:16], v[19:20], v[21:22]
	v_div_fmas_f64 v[15:16], v[15:16], v[17:18], v[19:20]
	v_div_fixup_f64 v[15:16], v[15:16], v[2:3], v[0:1]
	v_fma_f64 v[0:1], v[0:1], v[15:16], v[2:3]
	v_div_scale_f64 v[2:3], null, v[0:1], v[0:1], 1.0
	v_rcp_f64_e32 v[17:18], v[2:3]
	v_fma_f64 v[19:20], -v[2:3], v[17:18], 1.0
	v_fma_f64 v[17:18], v[17:18], v[19:20], v[17:18]
	v_fma_f64 v[19:20], -v[2:3], v[17:18], 1.0
	v_fma_f64 v[17:18], v[17:18], v[19:20], v[17:18]
	v_div_scale_f64 v[19:20], vcc_lo, 1.0, v[0:1], 1.0
	v_mul_f64 v[21:22], v[19:20], v[17:18]
	v_fma_f64 v[2:3], -v[2:3], v[21:22], v[19:20]
	v_div_fmas_f64 v[2:3], v[2:3], v[17:18], v[21:22]
	v_div_fixup_f64 v[2:3], v[2:3], v[0:1], 1.0
	v_mul_f64 v[0:1], v[15:16], v[2:3]
	v_xor_b32_e32 v3, 0x80000000, v3
.LBB126_331:
	s_andn2_saveexec_b32 s16, s16
	s_cbranch_execz .LBB126_333
; %bb.332:
	v_div_scale_f64 v[15:16], null, v[0:1], v[0:1], v[2:3]
	v_div_scale_f64 v[21:22], vcc_lo, v[2:3], v[0:1], v[2:3]
	v_rcp_f64_e32 v[17:18], v[15:16]
	v_fma_f64 v[19:20], -v[15:16], v[17:18], 1.0
	v_fma_f64 v[17:18], v[17:18], v[19:20], v[17:18]
	v_fma_f64 v[19:20], -v[15:16], v[17:18], 1.0
	v_fma_f64 v[17:18], v[17:18], v[19:20], v[17:18]
	v_mul_f64 v[19:20], v[21:22], v[17:18]
	v_fma_f64 v[15:16], -v[15:16], v[19:20], v[21:22]
	v_div_fmas_f64 v[15:16], v[15:16], v[17:18], v[19:20]
	v_div_fixup_f64 v[15:16], v[15:16], v[0:1], v[2:3]
	v_fma_f64 v[0:1], v[2:3], v[15:16], v[0:1]
	v_div_scale_f64 v[2:3], null, v[0:1], v[0:1], 1.0
	v_rcp_f64_e32 v[17:18], v[2:3]
	v_fma_f64 v[19:20], -v[2:3], v[17:18], 1.0
	v_fma_f64 v[17:18], v[17:18], v[19:20], v[17:18]
	v_fma_f64 v[19:20], -v[2:3], v[17:18], 1.0
	v_fma_f64 v[17:18], v[17:18], v[19:20], v[17:18]
	v_div_scale_f64 v[19:20], vcc_lo, 1.0, v[0:1], 1.0
	v_mul_f64 v[21:22], v[19:20], v[17:18]
	v_fma_f64 v[2:3], -v[2:3], v[21:22], v[19:20]
	v_div_fmas_f64 v[2:3], v[2:3], v[17:18], v[21:22]
	v_div_fixup_f64 v[0:1], v[2:3], v[0:1], 1.0
	v_mul_f64 v[2:3], v[15:16], -v[0:1]
.LBB126_333:
	s_or_b32 exec_lo, exec_lo, s16
.LBB126_334:
	s_or_b32 exec_lo, exec_lo, s4
	s_mov_b32 s4, exec_lo
	v_cmpx_ne_u32_e64 v5, v4
	s_xor_b32 s4, exec_lo, s4
	s_cbranch_execz .LBB126_340
; %bb.335:
	s_mov_b32 s16, exec_lo
	v_cmpx_eq_u32_e32 13, v5
	s_cbranch_execz .LBB126_339
; %bb.336:
	v_cmp_ne_u32_e32 vcc_lo, 13, v4
	s_xor_b32 s17, s20, -1
	s_and_b32 s56, s17, vcc_lo
	s_and_saveexec_b32 s17, s56
	s_cbranch_execz .LBB126_338
; %bb.337:
	v_ashrrev_i32_e32 v5, 31, v4
	v_lshlrev_b64 v[10:11], 2, v[4:5]
	v_add_co_u32 v10, vcc_lo, v8, v10
	v_add_co_ci_u32_e64 v11, null, v9, v11, vcc_lo
	s_clause 0x1
	global_load_dword v5, v[10:11], off
	global_load_dword v15, v[8:9], off offset:52
	s_waitcnt vmcnt(1)
	global_store_dword v[8:9], v5, off offset:52
	s_waitcnt vmcnt(0)
	global_store_dword v[10:11], v15, off
.LBB126_338:
	s_or_b32 exec_lo, exec_lo, s17
	v_mov_b32_e32 v5, v4
	v_mov_b32_e32 v11, v4
.LBB126_339:
	s_or_b32 exec_lo, exec_lo, s16
.LBB126_340:
	s_andn2_saveexec_b32 s4, s4
	s_cbranch_execz .LBB126_344
; %bb.341:
	s_movk_i32 s16, 0xe0
.LBB126_342:                            ; =>This Inner Loop Header: Depth=1
	v_mov_b32_e32 v10, s16
	s_clause 0x27
	buffer_load_dword v4, v10, s[0:3], 0 offen
	buffer_load_dword v5, v10, s[0:3], 0 offen offset:4
	buffer_load_dword v15, v10, s[0:3], 0 offen offset:8
	;; [unrolled: 1-line block ×39, first 2 shown]
	v_add_nc_u32_e32 v10, s16, v12
	s_addk_i32 s16, 0xa0
	s_waitcnt vmcnt(36)
	ds_write2_b64 v10, v[4:5], v[15:16] offset1:1
	s_waitcnt vmcnt(32)
	ds_write2_b64 v10, v[17:18], v[19:20] offset0:2 offset1:3
	s_waitcnt vmcnt(28)
	ds_write2_b64 v10, v[21:22], v[23:24] offset0:4 offset1:5
	;; [unrolled: 2-line block ×4, first 2 shown]
	ds_write2_b64 v10, v[33:34], v[31:32] offset0:10 offset1:11
	s_waitcnt vmcnt(8)
	ds_write2_b64 v10, v[43:44], v[37:38] offset0:12 offset1:13
	ds_write2_b64 v10, v[41:42], v[39:40] offset0:14 offset1:15
	s_waitcnt vmcnt(4)
	ds_write2_b64 v10, v[45:46], v[47:48] offset0:16 offset1:17
	s_waitcnt vmcnt(0)
	ds_write2_b64 v10, v[49:50], v[51:52] offset0:18 offset1:19
	s_cmpk_eq_i32 s16, 0x400
	s_cbranch_scc0 .LBB126_342
; %bb.343:
	v_mov_b32_e32 v5, 13
.LBB126_344:
	s_or_b32 exec_lo, exec_lo, s4
	s_mov_b32 s4, exec_lo
	s_waitcnt lgkmcnt(0)
	s_waitcnt_vscnt null, 0x0
	s_barrier
	buffer_gl0_inv
	v_cmpx_lt_i32_e32 13, v5
	s_cbranch_execz .LBB126_347
; %bb.345:
	s_clause 0x3
	buffer_load_dword v15, off, s[0:3], 0 offset:216
	buffer_load_dword v16, off, s[0:3], 0 offset:220
	;; [unrolled: 1-line block ×4, first 2 shown]
	s_movk_i32 s83, 0xe0
	s_waitcnt vmcnt(2)
	v_mul_f64 v[19:20], v[2:3], v[15:16]
	v_mul_f64 v[15:16], v[0:1], v[15:16]
	s_waitcnt vmcnt(0)
	v_fma_f64 v[0:1], v[0:1], v[17:18], -v[19:20]
	v_fma_f64 v[2:3], v[2:3], v[17:18], v[15:16]
	buffer_store_dword v0, off, s[0:3], 0 offset:208
	buffer_store_dword v1, off, s[0:3], 0 offset:212
	buffer_store_dword v2, off, s[0:3], 0 offset:216
	buffer_store_dword v3, off, s[0:3], 0 offset:220
.LBB126_346:                            ; =>This Inner Loop Header: Depth=1
	s_clause 0x3
	buffer_load_dword v19, off, s[0:3], 0 offset:216
	buffer_load_dword v20, off, s[0:3], 0 offset:220
	;; [unrolled: 1-line block ×4, first 2 shown]
	v_mov_b32_e32 v4, s83
	v_add_nc_u32_e32 v10, s83, v12
	s_addk_i32 s83, 0x50
	s_clause 0x3
	buffer_load_dword v23, v4, s[0:3], 0 offen
	buffer_load_dword v24, v4, s[0:3], 0 offen offset:4
	buffer_load_dword v25, v4, s[0:3], 0 offen offset:8
	;; [unrolled: 1-line block ×3, first 2 shown]
	ds_read2_b64 v[0:3], v10 offset1:1
	ds_read2_b64 v[15:18], v10 offset0:2 offset1:3
	s_cmpk_lg_i32 s83, 0x400
	s_waitcnt vmcnt(6) lgkmcnt(1)
	v_mul_f64 v[27:28], v[2:3], v[19:20]
	v_mul_f64 v[19:20], v[0:1], v[19:20]
	s_waitcnt vmcnt(4)
	v_fma_f64 v[0:1], v[0:1], v[21:22], -v[27:28]
	v_fma_f64 v[2:3], v[2:3], v[21:22], v[19:20]
	s_clause 0x3
	buffer_load_dword v19, v4, s[0:3], 0 offen offset:16
	buffer_load_dword v20, v4, s[0:3], 0 offen offset:20
	;; [unrolled: 1-line block ×4, first 2 shown]
	s_waitcnt vmcnt(6)
	v_add_f64 v[0:1], v[23:24], -v[0:1]
	s_waitcnt vmcnt(4)
	v_add_f64 v[2:3], v[25:26], -v[2:3]
	buffer_store_dword v1, v4, s[0:3], 0 offen offset:4
	buffer_store_dword v0, v4, s[0:3], 0 offen
	buffer_store_dword v3, v4, s[0:3], 0 offen offset:12
	buffer_store_dword v2, v4, s[0:3], 0 offen offset:8
	s_clause 0x3
	buffer_load_dword v1, off, s[0:3], 0 offset:220
	buffer_load_dword v0, off, s[0:3], 0 offset:216
	;; [unrolled: 1-line block ×4, first 2 shown]
	s_waitcnt vmcnt(2) lgkmcnt(0)
	v_mul_f64 v[23:24], v[17:18], v[0:1]
	v_mul_f64 v[0:1], v[15:16], v[0:1]
	s_waitcnt vmcnt(0)
	v_fma_f64 v[15:16], v[15:16], v[2:3], -v[23:24]
	v_fma_f64 v[0:1], v[17:18], v[2:3], v[0:1]
	v_add_f64 v[2:3], v[19:20], -v[15:16]
	v_add_f64 v[0:1], v[21:22], -v[0:1]
	s_clause 0x3
	buffer_load_dword v19, v4, s[0:3], 0 offen offset:32
	buffer_load_dword v20, v4, s[0:3], 0 offen offset:36
	;; [unrolled: 1-line block ×4, first 2 shown]
	buffer_store_dword v3, v4, s[0:3], 0 offen offset:20
	buffer_store_dword v2, v4, s[0:3], 0 offen offset:16
	;; [unrolled: 1-line block ×4, first 2 shown]
	s_clause 0x3
	buffer_load_dword v23, off, s[0:3], 0 offset:216
	buffer_load_dword v24, off, s[0:3], 0 offset:220
	;; [unrolled: 1-line block ×4, first 2 shown]
	ds_read2_b64 v[0:3], v10 offset0:4 offset1:5
	ds_read2_b64 v[15:18], v10 offset0:6 offset1:7
	s_waitcnt vmcnt(2) lgkmcnt(1)
	v_mul_f64 v[27:28], v[2:3], v[23:24]
	v_mul_f64 v[23:24], v[0:1], v[23:24]
	s_waitcnt vmcnt(0)
	v_fma_f64 v[0:1], v[0:1], v[25:26], -v[27:28]
	v_fma_f64 v[2:3], v[2:3], v[25:26], v[23:24]
	v_add_f64 v[0:1], v[19:20], -v[0:1]
	v_add_f64 v[2:3], v[21:22], -v[2:3]
	buffer_store_dword v1, v4, s[0:3], 0 offen offset:36
	buffer_store_dword v0, v4, s[0:3], 0 offen offset:32
	;; [unrolled: 1-line block ×4, first 2 shown]
	s_clause 0x7
	buffer_load_dword v0, off, s[0:3], 0 offset:216
	buffer_load_dword v1, off, s[0:3], 0 offset:220
	;; [unrolled: 1-line block ×4, first 2 shown]
	buffer_load_dword v19, v4, s[0:3], 0 offen offset:48
	buffer_load_dword v20, v4, s[0:3], 0 offen offset:52
	;; [unrolled: 1-line block ×4, first 2 shown]
	s_waitcnt vmcnt(6) lgkmcnt(0)
	v_mul_f64 v[23:24], v[17:18], v[0:1]
	v_mul_f64 v[0:1], v[15:16], v[0:1]
	s_waitcnt vmcnt(4)
	v_fma_f64 v[15:16], v[15:16], v[2:3], -v[23:24]
	v_fma_f64 v[0:1], v[17:18], v[2:3], v[0:1]
	s_waitcnt vmcnt(2)
	v_add_f64 v[2:3], v[19:20], -v[15:16]
	s_waitcnt vmcnt(0)
	v_add_f64 v[0:1], v[21:22], -v[0:1]
	buffer_store_dword v3, v4, s[0:3], 0 offen offset:52
	buffer_store_dword v2, v4, s[0:3], 0 offen offset:48
	;; [unrolled: 1-line block ×4, first 2 shown]
	s_clause 0x7
	buffer_load_dword v15, off, s[0:3], 0 offset:216
	buffer_load_dword v16, off, s[0:3], 0 offset:220
	;; [unrolled: 1-line block ×4, first 2 shown]
	buffer_load_dword v19, v4, s[0:3], 0 offen offset:64
	buffer_load_dword v20, v4, s[0:3], 0 offen offset:68
	buffer_load_dword v21, v4, s[0:3], 0 offen offset:72
	buffer_load_dword v22, v4, s[0:3], 0 offen offset:76
	ds_read2_b64 v[0:3], v10 offset0:8 offset1:9
	s_waitcnt vmcnt(6) lgkmcnt(0)
	v_mul_f64 v[23:24], v[2:3], v[15:16]
	v_mul_f64 v[15:16], v[0:1], v[15:16]
	s_waitcnt vmcnt(4)
	v_fma_f64 v[0:1], v[0:1], v[17:18], -v[23:24]
	v_fma_f64 v[2:3], v[2:3], v[17:18], v[15:16]
	s_waitcnt vmcnt(2)
	v_add_f64 v[0:1], v[19:20], -v[0:1]
	s_waitcnt vmcnt(0)
	v_add_f64 v[2:3], v[21:22], -v[2:3]
	buffer_store_dword v1, v4, s[0:3], 0 offen offset:68
	buffer_store_dword v0, v4, s[0:3], 0 offen offset:64
	buffer_store_dword v3, v4, s[0:3], 0 offen offset:76
	buffer_store_dword v2, v4, s[0:3], 0 offen offset:72
	s_cbranch_scc1 .LBB126_346
.LBB126_347:
	s_or_b32 exec_lo, exec_lo, s4
	v_mov_b32_e32 v3, s70
	s_waitcnt_vscnt null, 0x0
	s_barrier
	buffer_gl0_inv
	v_lshl_add_u32 v4, v5, 4, v12
	s_clause 0x3
	buffer_load_dword v0, v3, s[0:3], 0 offen
	buffer_load_dword v1, v3, s[0:3], 0 offen offset:4
	buffer_load_dword v2, v3, s[0:3], 0 offen offset:8
	;; [unrolled: 1-line block ×3, first 2 shown]
	s_cmp_lt_i32 s57, 16
	s_waitcnt vmcnt(0)
	ds_write2_b64 v4, v[0:1], v[2:3] offset1:1
	s_waitcnt lgkmcnt(0)
	s_barrier
	buffer_gl0_inv
	ds_read2_b64 v[0:3], v12 offset0:28 offset1:29
	v_mov_b32_e32 v4, 14
	s_cbranch_scc1 .LBB126_350
; %bb.348:
	v_add3_u32 v10, v14, 0, 0xf0
	v_mov_b32_e32 v4, 14
	s_mov_b32 s16, 15
	s_inst_prefetch 0x1
	.p2align	6
.LBB126_349:                            ; =>This Inner Loop Header: Depth=1
	s_waitcnt lgkmcnt(0)
	v_cmp_gt_f64_e32 vcc_lo, 0, v[2:3]
	v_cmp_gt_f64_e64 s4, 0, v[0:1]
	ds_read2_b64 v[15:18], v10 offset1:1
	v_xor_b32_e32 v20, 0x80000000, v1
	v_xor_b32_e32 v22, 0x80000000, v3
	v_mov_b32_e32 v19, v0
	v_mov_b32_e32 v21, v2
	v_add_nc_u32_e32 v10, 16, v10
	s_waitcnt lgkmcnt(0)
	v_xor_b32_e32 v24, 0x80000000, v18
	v_cndmask_b32_e64 v20, v1, v20, s4
	v_cndmask_b32_e32 v22, v3, v22, vcc_lo
	v_cmp_gt_f64_e32 vcc_lo, 0, v[17:18]
	v_cmp_gt_f64_e64 s4, 0, v[15:16]
	v_mov_b32_e32 v23, v17
	v_add_f64 v[19:20], v[19:20], v[21:22]
	v_xor_b32_e32 v22, 0x80000000, v16
	v_mov_b32_e32 v21, v15
	v_cndmask_b32_e32 v24, v18, v24, vcc_lo
	v_cndmask_b32_e64 v22, v16, v22, s4
	v_add_f64 v[21:22], v[21:22], v[23:24]
	v_cmp_lt_f64_e32 vcc_lo, v[19:20], v[21:22]
	v_cndmask_b32_e32 v1, v1, v16, vcc_lo
	v_cndmask_b32_e32 v0, v0, v15, vcc_lo
	;; [unrolled: 1-line block ×4, first 2 shown]
	v_cndmask_b32_e64 v4, v4, s16, vcc_lo
	s_add_i32 s16, s16, 1
	s_cmp_lg_u32 s57, s16
	s_cbranch_scc1 .LBB126_349
.LBB126_350:
	s_inst_prefetch 0x2
	s_waitcnt lgkmcnt(0)
	v_cmp_eq_f64_e32 vcc_lo, 0, v[0:1]
	v_cmp_eq_f64_e64 s4, 0, v[2:3]
	s_and_b32 s4, vcc_lo, s4
	s_and_saveexec_b32 s16, s4
	s_xor_b32 s4, exec_lo, s16
; %bb.351:
	v_cmp_ne_u32_e32 vcc_lo, 0, v13
	v_cndmask_b32_e32 v13, 15, v13, vcc_lo
; %bb.352:
	s_andn2_saveexec_b32 s4, s4
	s_cbranch_execz .LBB126_358
; %bb.353:
	v_cmp_ngt_f64_e64 s16, |v[0:1]|, |v[2:3]|
	s_and_saveexec_b32 s17, s16
	s_xor_b32 s16, exec_lo, s17
	s_cbranch_execz .LBB126_355
; %bb.354:
	v_div_scale_f64 v[15:16], null, v[2:3], v[2:3], v[0:1]
	v_div_scale_f64 v[21:22], vcc_lo, v[0:1], v[2:3], v[0:1]
	v_rcp_f64_e32 v[17:18], v[15:16]
	v_fma_f64 v[19:20], -v[15:16], v[17:18], 1.0
	v_fma_f64 v[17:18], v[17:18], v[19:20], v[17:18]
	v_fma_f64 v[19:20], -v[15:16], v[17:18], 1.0
	v_fma_f64 v[17:18], v[17:18], v[19:20], v[17:18]
	v_mul_f64 v[19:20], v[21:22], v[17:18]
	v_fma_f64 v[15:16], -v[15:16], v[19:20], v[21:22]
	v_div_fmas_f64 v[15:16], v[15:16], v[17:18], v[19:20]
	v_div_fixup_f64 v[15:16], v[15:16], v[2:3], v[0:1]
	v_fma_f64 v[0:1], v[0:1], v[15:16], v[2:3]
	v_div_scale_f64 v[2:3], null, v[0:1], v[0:1], 1.0
	v_rcp_f64_e32 v[17:18], v[2:3]
	v_fma_f64 v[19:20], -v[2:3], v[17:18], 1.0
	v_fma_f64 v[17:18], v[17:18], v[19:20], v[17:18]
	v_fma_f64 v[19:20], -v[2:3], v[17:18], 1.0
	v_fma_f64 v[17:18], v[17:18], v[19:20], v[17:18]
	v_div_scale_f64 v[19:20], vcc_lo, 1.0, v[0:1], 1.0
	v_mul_f64 v[21:22], v[19:20], v[17:18]
	v_fma_f64 v[2:3], -v[2:3], v[21:22], v[19:20]
	v_div_fmas_f64 v[2:3], v[2:3], v[17:18], v[21:22]
	v_div_fixup_f64 v[2:3], v[2:3], v[0:1], 1.0
	v_mul_f64 v[0:1], v[15:16], v[2:3]
	v_xor_b32_e32 v3, 0x80000000, v3
.LBB126_355:
	s_andn2_saveexec_b32 s16, s16
	s_cbranch_execz .LBB126_357
; %bb.356:
	v_div_scale_f64 v[15:16], null, v[0:1], v[0:1], v[2:3]
	v_div_scale_f64 v[21:22], vcc_lo, v[2:3], v[0:1], v[2:3]
	v_rcp_f64_e32 v[17:18], v[15:16]
	v_fma_f64 v[19:20], -v[15:16], v[17:18], 1.0
	v_fma_f64 v[17:18], v[17:18], v[19:20], v[17:18]
	v_fma_f64 v[19:20], -v[15:16], v[17:18], 1.0
	v_fma_f64 v[17:18], v[17:18], v[19:20], v[17:18]
	v_mul_f64 v[19:20], v[21:22], v[17:18]
	v_fma_f64 v[15:16], -v[15:16], v[19:20], v[21:22]
	v_div_fmas_f64 v[15:16], v[15:16], v[17:18], v[19:20]
	v_div_fixup_f64 v[15:16], v[15:16], v[0:1], v[2:3]
	v_fma_f64 v[0:1], v[2:3], v[15:16], v[0:1]
	v_div_scale_f64 v[2:3], null, v[0:1], v[0:1], 1.0
	v_rcp_f64_e32 v[17:18], v[2:3]
	v_fma_f64 v[19:20], -v[2:3], v[17:18], 1.0
	v_fma_f64 v[17:18], v[17:18], v[19:20], v[17:18]
	v_fma_f64 v[19:20], -v[2:3], v[17:18], 1.0
	v_fma_f64 v[17:18], v[17:18], v[19:20], v[17:18]
	v_div_scale_f64 v[19:20], vcc_lo, 1.0, v[0:1], 1.0
	v_mul_f64 v[21:22], v[19:20], v[17:18]
	v_fma_f64 v[2:3], -v[2:3], v[21:22], v[19:20]
	v_div_fmas_f64 v[2:3], v[2:3], v[17:18], v[21:22]
	v_div_fixup_f64 v[0:1], v[2:3], v[0:1], 1.0
	v_mul_f64 v[2:3], v[15:16], -v[0:1]
.LBB126_357:
	s_or_b32 exec_lo, exec_lo, s16
.LBB126_358:
	s_or_b32 exec_lo, exec_lo, s4
	s_mov_b32 s4, exec_lo
	v_cmpx_ne_u32_e64 v5, v4
	s_xor_b32 s4, exec_lo, s4
	s_cbranch_execz .LBB126_364
; %bb.359:
	s_mov_b32 s16, exec_lo
	v_cmpx_eq_u32_e32 14, v5
	s_cbranch_execz .LBB126_363
; %bb.360:
	v_cmp_ne_u32_e32 vcc_lo, 14, v4
	s_xor_b32 s17, s20, -1
	s_and_b32 s56, s17, vcc_lo
	s_and_saveexec_b32 s17, s56
	s_cbranch_execz .LBB126_362
; %bb.361:
	v_ashrrev_i32_e32 v5, 31, v4
	v_lshlrev_b64 v[10:11], 2, v[4:5]
	v_add_co_u32 v10, vcc_lo, v8, v10
	v_add_co_ci_u32_e64 v11, null, v9, v11, vcc_lo
	s_clause 0x1
	global_load_dword v5, v[10:11], off
	global_load_dword v15, v[8:9], off offset:56
	s_waitcnt vmcnt(1)
	global_store_dword v[8:9], v5, off offset:56
	s_waitcnt vmcnt(0)
	global_store_dword v[10:11], v15, off
.LBB126_362:
	s_or_b32 exec_lo, exec_lo, s17
	v_mov_b32_e32 v5, v4
	v_mov_b32_e32 v11, v4
.LBB126_363:
	s_or_b32 exec_lo, exec_lo, s16
.LBB126_364:
	s_andn2_saveexec_b32 s4, s4
	s_cbranch_execz .LBB126_368
; %bb.365:
	s_movk_i32 s16, 0xf0
.LBB126_366:                            ; =>This Inner Loop Header: Depth=1
	v_mov_b32_e32 v10, s16
	s_clause 0x1b
	buffer_load_dword v4, v10, s[0:3], 0 offen
	buffer_load_dword v5, v10, s[0:3], 0 offen offset:4
	buffer_load_dword v15, v10, s[0:3], 0 offen offset:8
	;; [unrolled: 1-line block ×27, first 2 shown]
	v_add_nc_u32_e32 v10, s16, v12
	s_addk_i32 s16, 0x70
	s_waitcnt vmcnt(24)
	ds_write2_b64 v10, v[4:5], v[15:16] offset1:1
	s_waitcnt vmcnt(20)
	ds_write2_b64 v10, v[17:18], v[19:20] offset0:2 offset1:3
	s_waitcnt vmcnt(16)
	ds_write2_b64 v10, v[21:22], v[23:24] offset0:4 offset1:5
	;; [unrolled: 2-line block ×4, first 2 shown]
	ds_write2_b64 v10, v[33:34], v[31:32] offset0:10 offset1:11
	s_waitcnt vmcnt(0)
	ds_write2_b64 v10, v[39:40], v[37:38] offset0:12 offset1:13
	s_cmpk_eq_i32 s16, 0x400
	s_cbranch_scc0 .LBB126_366
; %bb.367:
	v_mov_b32_e32 v5, 14
.LBB126_368:
	s_or_b32 exec_lo, exec_lo, s4
	s_mov_b32 s4, exec_lo
	s_waitcnt lgkmcnt(0)
	s_waitcnt_vscnt null, 0x0
	s_barrier
	buffer_gl0_inv
	v_cmpx_lt_i32_e32 14, v5
	s_cbranch_execz .LBB126_371
; %bb.369:
	s_clause 0x3
	buffer_load_dword v15, off, s[0:3], 0 offset:232
	buffer_load_dword v16, off, s[0:3], 0 offset:236
	;; [unrolled: 1-line block ×4, first 2 shown]
	s_movk_i32 s83, 0xf0
	s_waitcnt vmcnt(2)
	v_mul_f64 v[19:20], v[2:3], v[15:16]
	v_mul_f64 v[15:16], v[0:1], v[15:16]
	s_waitcnt vmcnt(0)
	v_fma_f64 v[0:1], v[0:1], v[17:18], -v[19:20]
	v_fma_f64 v[2:3], v[2:3], v[17:18], v[15:16]
	buffer_store_dword v0, off, s[0:3], 0 offset:224
	buffer_store_dword v1, off, s[0:3], 0 offset:228
	buffer_store_dword v2, off, s[0:3], 0 offset:232
	buffer_store_dword v3, off, s[0:3], 0 offset:236
.LBB126_370:                            ; =>This Inner Loop Header: Depth=1
	s_clause 0x3
	buffer_load_dword v19, off, s[0:3], 0 offset:232
	buffer_load_dword v20, off, s[0:3], 0 offset:236
	;; [unrolled: 1-line block ×4, first 2 shown]
	v_mov_b32_e32 v4, s83
	v_add_nc_u32_e32 v10, s83, v12
	s_addk_i32 s83, 0x70
	s_clause 0x3
	buffer_load_dword v23, v4, s[0:3], 0 offen
	buffer_load_dword v24, v4, s[0:3], 0 offen offset:4
	buffer_load_dword v25, v4, s[0:3], 0 offen offset:8
	;; [unrolled: 1-line block ×3, first 2 shown]
	ds_read2_b64 v[0:3], v10 offset1:1
	s_clause 0x3
	buffer_load_dword v27, v4, s[0:3], 0 offen offset:16
	buffer_load_dword v28, v4, s[0:3], 0 offen offset:20
	;; [unrolled: 1-line block ×4, first 2 shown]
	ds_read2_b64 v[15:18], v10 offset0:2 offset1:3
	s_cmpk_lg_i32 s83, 0x400
	s_waitcnt vmcnt(10) lgkmcnt(1)
	v_mul_f64 v[31:32], v[2:3], v[19:20]
	v_mul_f64 v[19:20], v[0:1], v[19:20]
	s_waitcnt vmcnt(8)
	v_fma_f64 v[0:1], v[0:1], v[21:22], -v[31:32]
	v_fma_f64 v[2:3], v[2:3], v[21:22], v[19:20]
	s_waitcnt vmcnt(6)
	v_add_f64 v[0:1], v[23:24], -v[0:1]
	s_waitcnt vmcnt(4)
	v_add_f64 v[2:3], v[25:26], -v[2:3]
	buffer_store_dword v1, v4, s[0:3], 0 offen offset:4
	buffer_store_dword v0, v4, s[0:3], 0 offen
	buffer_store_dword v3, v4, s[0:3], 0 offen offset:12
	buffer_store_dword v2, v4, s[0:3], 0 offen offset:8
	s_clause 0x7
	buffer_load_dword v1, off, s[0:3], 0 offset:236
	buffer_load_dword v0, off, s[0:3], 0 offset:232
	buffer_load_dword v3, off, s[0:3], 0 offset:228
	buffer_load_dword v2, off, s[0:3], 0 offset:224
	buffer_load_dword v19, v4, s[0:3], 0 offen offset:32
	buffer_load_dword v20, v4, s[0:3], 0 offen offset:36
	;; [unrolled: 1-line block ×4, first 2 shown]
	s_waitcnt vmcnt(6) lgkmcnt(0)
	v_mul_f64 v[23:24], v[17:18], v[0:1]
	v_mul_f64 v[0:1], v[15:16], v[0:1]
	s_waitcnt vmcnt(4)
	v_fma_f64 v[15:16], v[15:16], v[2:3], -v[23:24]
	v_fma_f64 v[0:1], v[17:18], v[2:3], v[0:1]
	v_add_f64 v[2:3], v[27:28], -v[15:16]
	v_add_f64 v[0:1], v[29:30], -v[0:1]
	buffer_store_dword v3, v4, s[0:3], 0 offen offset:20
	buffer_store_dword v2, v4, s[0:3], 0 offen offset:16
	;; [unrolled: 1-line block ×4, first 2 shown]
	s_clause 0x3
	buffer_load_dword v23, off, s[0:3], 0 offset:232
	buffer_load_dword v24, off, s[0:3], 0 offset:236
	;; [unrolled: 1-line block ×4, first 2 shown]
	ds_read2_b64 v[0:3], v10 offset0:4 offset1:5
	ds_read2_b64 v[15:18], v10 offset0:6 offset1:7
	s_waitcnt vmcnt(2) lgkmcnt(1)
	v_mul_f64 v[27:28], v[2:3], v[23:24]
	v_mul_f64 v[23:24], v[0:1], v[23:24]
	s_waitcnt vmcnt(0)
	v_fma_f64 v[0:1], v[0:1], v[25:26], -v[27:28]
	v_fma_f64 v[2:3], v[2:3], v[25:26], v[23:24]
	v_add_f64 v[0:1], v[19:20], -v[0:1]
	v_add_f64 v[2:3], v[21:22], -v[2:3]
	buffer_store_dword v1, v4, s[0:3], 0 offen offset:36
	buffer_store_dword v0, v4, s[0:3], 0 offen offset:32
	;; [unrolled: 1-line block ×4, first 2 shown]
	s_clause 0x7
	buffer_load_dword v0, off, s[0:3], 0 offset:232
	buffer_load_dword v1, off, s[0:3], 0 offset:236
	;; [unrolled: 1-line block ×4, first 2 shown]
	buffer_load_dword v19, v4, s[0:3], 0 offen offset:48
	buffer_load_dword v20, v4, s[0:3], 0 offen offset:52
	;; [unrolled: 1-line block ×4, first 2 shown]
	s_waitcnt vmcnt(6) lgkmcnt(0)
	v_mul_f64 v[23:24], v[17:18], v[0:1]
	v_mul_f64 v[0:1], v[15:16], v[0:1]
	s_waitcnt vmcnt(4)
	v_fma_f64 v[15:16], v[15:16], v[2:3], -v[23:24]
	v_fma_f64 v[0:1], v[17:18], v[2:3], v[0:1]
	s_waitcnt vmcnt(2)
	v_add_f64 v[2:3], v[19:20], -v[15:16]
	s_waitcnt vmcnt(0)
	v_add_f64 v[0:1], v[21:22], -v[0:1]
	buffer_store_dword v3, v4, s[0:3], 0 offen offset:52
	buffer_store_dword v2, v4, s[0:3], 0 offen offset:48
	;; [unrolled: 1-line block ×4, first 2 shown]
	s_clause 0x7
	buffer_load_dword v19, off, s[0:3], 0 offset:232
	buffer_load_dword v20, off, s[0:3], 0 offset:236
	buffer_load_dword v21, off, s[0:3], 0 offset:224
	buffer_load_dword v22, off, s[0:3], 0 offset:228
	buffer_load_dword v23, v4, s[0:3], 0 offen offset:64
	buffer_load_dword v24, v4, s[0:3], 0 offen offset:68
	;; [unrolled: 1-line block ×4, first 2 shown]
	ds_read2_b64 v[0:3], v10 offset0:8 offset1:9
	ds_read2_b64 v[15:18], v10 offset0:10 offset1:11
	s_waitcnt vmcnt(6) lgkmcnt(1)
	v_mul_f64 v[27:28], v[2:3], v[19:20]
	v_mul_f64 v[19:20], v[0:1], v[19:20]
	s_waitcnt vmcnt(4)
	v_fma_f64 v[0:1], v[0:1], v[21:22], -v[27:28]
	v_fma_f64 v[2:3], v[2:3], v[21:22], v[19:20]
	s_waitcnt vmcnt(2)
	v_add_f64 v[0:1], v[23:24], -v[0:1]
	s_waitcnt vmcnt(0)
	v_add_f64 v[2:3], v[25:26], -v[2:3]
	buffer_store_dword v1, v4, s[0:3], 0 offen offset:68
	buffer_store_dword v0, v4, s[0:3], 0 offen offset:64
	;; [unrolled: 1-line block ×4, first 2 shown]
	s_clause 0x7
	buffer_load_dword v0, off, s[0:3], 0 offset:232
	buffer_load_dword v1, off, s[0:3], 0 offset:236
	;; [unrolled: 1-line block ×4, first 2 shown]
	buffer_load_dword v19, v4, s[0:3], 0 offen offset:80
	buffer_load_dword v20, v4, s[0:3], 0 offen offset:84
	;; [unrolled: 1-line block ×4, first 2 shown]
	s_waitcnt vmcnt(6) lgkmcnt(0)
	v_mul_f64 v[23:24], v[17:18], v[0:1]
	v_mul_f64 v[0:1], v[15:16], v[0:1]
	s_waitcnt vmcnt(4)
	v_fma_f64 v[15:16], v[15:16], v[2:3], -v[23:24]
	v_fma_f64 v[0:1], v[17:18], v[2:3], v[0:1]
	s_waitcnt vmcnt(2)
	v_add_f64 v[2:3], v[19:20], -v[15:16]
	s_waitcnt vmcnt(0)
	v_add_f64 v[0:1], v[21:22], -v[0:1]
	buffer_store_dword v3, v4, s[0:3], 0 offen offset:84
	buffer_store_dword v2, v4, s[0:3], 0 offen offset:80
	;; [unrolled: 1-line block ×4, first 2 shown]
	s_clause 0x7
	buffer_load_dword v15, off, s[0:3], 0 offset:232
	buffer_load_dword v16, off, s[0:3], 0 offset:236
	;; [unrolled: 1-line block ×4, first 2 shown]
	buffer_load_dword v19, v4, s[0:3], 0 offen offset:96
	buffer_load_dword v20, v4, s[0:3], 0 offen offset:100
	;; [unrolled: 1-line block ×4, first 2 shown]
	ds_read2_b64 v[0:3], v10 offset0:12 offset1:13
	s_waitcnt vmcnt(6) lgkmcnt(0)
	v_mul_f64 v[23:24], v[2:3], v[15:16]
	v_mul_f64 v[15:16], v[0:1], v[15:16]
	s_waitcnt vmcnt(4)
	v_fma_f64 v[0:1], v[0:1], v[17:18], -v[23:24]
	v_fma_f64 v[2:3], v[2:3], v[17:18], v[15:16]
	s_waitcnt vmcnt(2)
	v_add_f64 v[0:1], v[19:20], -v[0:1]
	s_waitcnt vmcnt(0)
	v_add_f64 v[2:3], v[21:22], -v[2:3]
	buffer_store_dword v1, v4, s[0:3], 0 offen offset:100
	buffer_store_dword v0, v4, s[0:3], 0 offen offset:96
	;; [unrolled: 1-line block ×4, first 2 shown]
	s_cbranch_scc1 .LBB126_370
.LBB126_371:
	s_or_b32 exec_lo, exec_lo, s4
	v_mov_b32_e32 v3, s69
	s_waitcnt_vscnt null, 0x0
	s_barrier
	buffer_gl0_inv
	v_lshl_add_u32 v4, v5, 4, v12
	s_clause 0x3
	buffer_load_dword v0, v3, s[0:3], 0 offen
	buffer_load_dword v1, v3, s[0:3], 0 offen offset:4
	buffer_load_dword v2, v3, s[0:3], 0 offen offset:8
	;; [unrolled: 1-line block ×3, first 2 shown]
	s_cmp_lt_i32 s57, 17
	s_waitcnt vmcnt(0)
	ds_write2_b64 v4, v[0:1], v[2:3] offset1:1
	s_waitcnt lgkmcnt(0)
	s_barrier
	buffer_gl0_inv
	ds_read2_b64 v[0:3], v12 offset0:30 offset1:31
	v_mov_b32_e32 v4, 15
	s_cbranch_scc1 .LBB126_374
; %bb.372:
	v_add3_u32 v10, v14, 0, 0x100
	v_mov_b32_e32 v4, 15
	s_mov_b32 s16, 16
	s_inst_prefetch 0x1
	.p2align	6
.LBB126_373:                            ; =>This Inner Loop Header: Depth=1
	s_waitcnt lgkmcnt(0)
	v_cmp_gt_f64_e32 vcc_lo, 0, v[2:3]
	v_cmp_gt_f64_e64 s4, 0, v[0:1]
	ds_read2_b64 v[15:18], v10 offset1:1
	v_xor_b32_e32 v20, 0x80000000, v1
	v_xor_b32_e32 v22, 0x80000000, v3
	v_mov_b32_e32 v19, v0
	v_mov_b32_e32 v21, v2
	v_add_nc_u32_e32 v10, 16, v10
	s_waitcnt lgkmcnt(0)
	v_xor_b32_e32 v24, 0x80000000, v18
	v_cndmask_b32_e64 v20, v1, v20, s4
	v_cndmask_b32_e32 v22, v3, v22, vcc_lo
	v_cmp_gt_f64_e32 vcc_lo, 0, v[17:18]
	v_cmp_gt_f64_e64 s4, 0, v[15:16]
	v_mov_b32_e32 v23, v17
	v_add_f64 v[19:20], v[19:20], v[21:22]
	v_xor_b32_e32 v22, 0x80000000, v16
	v_mov_b32_e32 v21, v15
	v_cndmask_b32_e32 v24, v18, v24, vcc_lo
	v_cndmask_b32_e64 v22, v16, v22, s4
	v_add_f64 v[21:22], v[21:22], v[23:24]
	v_cmp_lt_f64_e32 vcc_lo, v[19:20], v[21:22]
	v_cndmask_b32_e32 v1, v1, v16, vcc_lo
	v_cndmask_b32_e32 v0, v0, v15, vcc_lo
	;; [unrolled: 1-line block ×4, first 2 shown]
	v_cndmask_b32_e64 v4, v4, s16, vcc_lo
	s_add_i32 s16, s16, 1
	s_cmp_lg_u32 s57, s16
	s_cbranch_scc1 .LBB126_373
.LBB126_374:
	s_inst_prefetch 0x2
	s_waitcnt lgkmcnt(0)
	v_cmp_eq_f64_e32 vcc_lo, 0, v[0:1]
	v_cmp_eq_f64_e64 s4, 0, v[2:3]
	s_and_b32 s4, vcc_lo, s4
	s_and_saveexec_b32 s16, s4
	s_xor_b32 s4, exec_lo, s16
; %bb.375:
	v_cmp_ne_u32_e32 vcc_lo, 0, v13
	v_cndmask_b32_e32 v13, 16, v13, vcc_lo
; %bb.376:
	s_andn2_saveexec_b32 s4, s4
	s_cbranch_execz .LBB126_382
; %bb.377:
	v_cmp_ngt_f64_e64 s16, |v[0:1]|, |v[2:3]|
	s_and_saveexec_b32 s17, s16
	s_xor_b32 s16, exec_lo, s17
	s_cbranch_execz .LBB126_379
; %bb.378:
	v_div_scale_f64 v[15:16], null, v[2:3], v[2:3], v[0:1]
	v_div_scale_f64 v[21:22], vcc_lo, v[0:1], v[2:3], v[0:1]
	v_rcp_f64_e32 v[17:18], v[15:16]
	v_fma_f64 v[19:20], -v[15:16], v[17:18], 1.0
	v_fma_f64 v[17:18], v[17:18], v[19:20], v[17:18]
	v_fma_f64 v[19:20], -v[15:16], v[17:18], 1.0
	v_fma_f64 v[17:18], v[17:18], v[19:20], v[17:18]
	v_mul_f64 v[19:20], v[21:22], v[17:18]
	v_fma_f64 v[15:16], -v[15:16], v[19:20], v[21:22]
	v_div_fmas_f64 v[15:16], v[15:16], v[17:18], v[19:20]
	v_div_fixup_f64 v[15:16], v[15:16], v[2:3], v[0:1]
	v_fma_f64 v[0:1], v[0:1], v[15:16], v[2:3]
	v_div_scale_f64 v[2:3], null, v[0:1], v[0:1], 1.0
	v_rcp_f64_e32 v[17:18], v[2:3]
	v_fma_f64 v[19:20], -v[2:3], v[17:18], 1.0
	v_fma_f64 v[17:18], v[17:18], v[19:20], v[17:18]
	v_fma_f64 v[19:20], -v[2:3], v[17:18], 1.0
	v_fma_f64 v[17:18], v[17:18], v[19:20], v[17:18]
	v_div_scale_f64 v[19:20], vcc_lo, 1.0, v[0:1], 1.0
	v_mul_f64 v[21:22], v[19:20], v[17:18]
	v_fma_f64 v[2:3], -v[2:3], v[21:22], v[19:20]
	v_div_fmas_f64 v[2:3], v[2:3], v[17:18], v[21:22]
	v_div_fixup_f64 v[2:3], v[2:3], v[0:1], 1.0
	v_mul_f64 v[0:1], v[15:16], v[2:3]
	v_xor_b32_e32 v3, 0x80000000, v3
.LBB126_379:
	s_andn2_saveexec_b32 s16, s16
	s_cbranch_execz .LBB126_381
; %bb.380:
	v_div_scale_f64 v[15:16], null, v[0:1], v[0:1], v[2:3]
	v_div_scale_f64 v[21:22], vcc_lo, v[2:3], v[0:1], v[2:3]
	v_rcp_f64_e32 v[17:18], v[15:16]
	v_fma_f64 v[19:20], -v[15:16], v[17:18], 1.0
	v_fma_f64 v[17:18], v[17:18], v[19:20], v[17:18]
	v_fma_f64 v[19:20], -v[15:16], v[17:18], 1.0
	v_fma_f64 v[17:18], v[17:18], v[19:20], v[17:18]
	v_mul_f64 v[19:20], v[21:22], v[17:18]
	v_fma_f64 v[15:16], -v[15:16], v[19:20], v[21:22]
	v_div_fmas_f64 v[15:16], v[15:16], v[17:18], v[19:20]
	v_div_fixup_f64 v[15:16], v[15:16], v[0:1], v[2:3]
	v_fma_f64 v[0:1], v[2:3], v[15:16], v[0:1]
	v_div_scale_f64 v[2:3], null, v[0:1], v[0:1], 1.0
	v_rcp_f64_e32 v[17:18], v[2:3]
	v_fma_f64 v[19:20], -v[2:3], v[17:18], 1.0
	v_fma_f64 v[17:18], v[17:18], v[19:20], v[17:18]
	v_fma_f64 v[19:20], -v[2:3], v[17:18], 1.0
	v_fma_f64 v[17:18], v[17:18], v[19:20], v[17:18]
	v_div_scale_f64 v[19:20], vcc_lo, 1.0, v[0:1], 1.0
	v_mul_f64 v[21:22], v[19:20], v[17:18]
	v_fma_f64 v[2:3], -v[2:3], v[21:22], v[19:20]
	v_div_fmas_f64 v[2:3], v[2:3], v[17:18], v[21:22]
	v_div_fixup_f64 v[0:1], v[2:3], v[0:1], 1.0
	v_mul_f64 v[2:3], v[15:16], -v[0:1]
.LBB126_381:
	s_or_b32 exec_lo, exec_lo, s16
.LBB126_382:
	s_or_b32 exec_lo, exec_lo, s4
	s_mov_b32 s4, exec_lo
	v_cmpx_ne_u32_e64 v5, v4
	s_xor_b32 s4, exec_lo, s4
	s_cbranch_execz .LBB126_388
; %bb.383:
	s_mov_b32 s16, exec_lo
	v_cmpx_eq_u32_e32 15, v5
	s_cbranch_execz .LBB126_387
; %bb.384:
	v_cmp_ne_u32_e32 vcc_lo, 15, v4
	s_xor_b32 s17, s20, -1
	s_and_b32 s56, s17, vcc_lo
	s_and_saveexec_b32 s17, s56
	s_cbranch_execz .LBB126_386
; %bb.385:
	v_ashrrev_i32_e32 v5, 31, v4
	v_lshlrev_b64 v[10:11], 2, v[4:5]
	v_add_co_u32 v10, vcc_lo, v8, v10
	v_add_co_ci_u32_e64 v11, null, v9, v11, vcc_lo
	s_clause 0x1
	global_load_dword v5, v[10:11], off
	global_load_dword v15, v[8:9], off offset:60
	s_waitcnt vmcnt(1)
	global_store_dword v[8:9], v5, off offset:60
	s_waitcnt vmcnt(0)
	global_store_dword v[10:11], v15, off
.LBB126_386:
	s_or_b32 exec_lo, exec_lo, s17
	v_mov_b32_e32 v5, v4
	v_mov_b32_e32 v11, v4
.LBB126_387:
	s_or_b32 exec_lo, exec_lo, s16
.LBB126_388:
	s_andn2_saveexec_b32 s4, s4
	s_cbranch_execz .LBB126_392
; %bb.389:
	s_movk_i32 s83, 0x100
.LBB126_390:                            ; =>This Inner Loop Header: Depth=1
	v_mov_b32_e32 v10, s83
	s_clause 0x3e
	buffer_load_dword v4, v10, s[0:3], 0 offen
	buffer_load_dword v5, v10, s[0:3], 0 offen offset:4
	buffer_load_dword v15, v10, s[0:3], 0 offen offset:8
	buffer_load_dword v16, v10, s[0:3], 0 offen offset:12
	buffer_load_dword v17, v10, s[0:3], 0 offen offset:16
	buffer_load_dword v18, v10, s[0:3], 0 offen offset:20
	buffer_load_dword v19, v10, s[0:3], 0 offen offset:24
	buffer_load_dword v20, v10, s[0:3], 0 offen offset:28
	buffer_load_dword v21, v10, s[0:3], 0 offen offset:32
	buffer_load_dword v22, v10, s[0:3], 0 offen offset:36
	buffer_load_dword v23, v10, s[0:3], 0 offen offset:40
	buffer_load_dword v24, v10, s[0:3], 0 offen offset:44
	buffer_load_dword v25, v10, s[0:3], 0 offen offset:48
	buffer_load_dword v26, v10, s[0:3], 0 offen offset:52
	buffer_load_dword v27, v10, s[0:3], 0 offen offset:56
	buffer_load_dword v28, v10, s[0:3], 0 offen offset:60
	buffer_load_dword v30, v10, s[0:3], 0 offen offset:76
	buffer_load_dword v32, v10, s[0:3], 0 offen offset:92
	buffer_load_dword v31, v10, s[0:3], 0 offen offset:88
	buffer_load_dword v34, v10, s[0:3], 0 offen offset:84
	buffer_load_dword v33, v10, s[0:3], 0 offen offset:80
	buffer_load_dword v29, v10, s[0:3], 0 offen offset:72
	buffer_load_dword v36, v10, s[0:3], 0 offen offset:68
	buffer_load_dword v35, v10, s[0:3], 0 offen offset:64
	buffer_load_dword v38, v10, s[0:3], 0 offen offset:108
	buffer_load_dword v40, v10, s[0:3], 0 offen offset:124
	buffer_load_dword v39, v10, s[0:3], 0 offen offset:120
	buffer_load_dword v42, v10, s[0:3], 0 offen offset:116
	buffer_load_dword v41, v10, s[0:3], 0 offen offset:112
	buffer_load_dword v37, v10, s[0:3], 0 offen offset:104
	buffer_load_dword v44, v10, s[0:3], 0 offen offset:100
	buffer_load_dword v43, v10, s[0:3], 0 offen offset:96
	buffer_load_dword v45, v10, s[0:3], 0 offen offset:128
	buffer_load_dword v46, v10, s[0:3], 0 offen offset:132
	buffer_load_dword v47, v10, s[0:3], 0 offen offset:136
	buffer_load_dword v48, v10, s[0:3], 0 offen offset:140
	buffer_load_dword v49, v10, s[0:3], 0 offen offset:144
	buffer_load_dword v50, v10, s[0:3], 0 offen offset:148
	buffer_load_dword v51, v10, s[0:3], 0 offen offset:152
	buffer_load_dword v52, v10, s[0:3], 0 offen offset:156
	buffer_load_dword v53, v10, s[0:3], 0 offen offset:160
	buffer_load_dword v54, v10, s[0:3], 0 offen offset:164
	buffer_load_dword v55, v10, s[0:3], 0 offen offset:168
	buffer_load_dword v56, v10, s[0:3], 0 offen offset:172
	buffer_load_dword v57, v10, s[0:3], 0 offen offset:176
	buffer_load_dword v58, v10, s[0:3], 0 offen offset:180
	buffer_load_dword v59, v10, s[0:3], 0 offen offset:184
	buffer_load_dword v60, v10, s[0:3], 0 offen offset:188
	buffer_load_dword v61, v10, s[0:3], 0 offen offset:192
	buffer_load_dword v62, v10, s[0:3], 0 offen offset:196
	buffer_load_dword v63, v10, s[0:3], 0 offen offset:200
	buffer_load_dword v64, v10, s[0:3], 0 offen offset:204
	buffer_load_dword v65, v10, s[0:3], 0 offen offset:208
	buffer_load_dword v66, v10, s[0:3], 0 offen offset:212
	buffer_load_dword v67, v10, s[0:3], 0 offen offset:216
	buffer_load_dword v68, v10, s[0:3], 0 offen offset:220
	buffer_load_dword v69, v10, s[0:3], 0 offen offset:224
	buffer_load_dword v70, v10, s[0:3], 0 offen offset:228
	buffer_load_dword v71, v10, s[0:3], 0 offen offset:232
	buffer_load_dword v72, v10, s[0:3], 0 offen offset:236
	buffer_load_dword v73, v10, s[0:3], 0 offen offset:240
	buffer_load_dword v74, v10, s[0:3], 0 offen offset:244
	buffer_load_dword v75, v10, s[0:3], 0 offen offset:248
	buffer_load_dword v76, v10, s[0:3], 0 offen offset:252
	v_add_nc_u32_e32 v10, s83, v12
	s_addk_i32 s83, 0x100
	s_waitcnt vmcnt(60)
	ds_write2_b64 v10, v[4:5], v[15:16] offset1:1
	s_waitcnt vmcnt(56)
	ds_write2_b64 v10, v[17:18], v[19:20] offset0:2 offset1:3
	s_waitcnt vmcnt(52)
	ds_write2_b64 v10, v[21:22], v[23:24] offset0:4 offset1:5
	;; [unrolled: 2-line block ×4, first 2 shown]
	ds_write2_b64 v10, v[33:34], v[31:32] offset0:10 offset1:11
	s_waitcnt vmcnt(32)
	ds_write2_b64 v10, v[43:44], v[37:38] offset0:12 offset1:13
	ds_write2_b64 v10, v[41:42], v[39:40] offset0:14 offset1:15
	s_waitcnt vmcnt(28)
	ds_write2_b64 v10, v[45:46], v[47:48] offset0:16 offset1:17
	s_waitcnt vmcnt(24)
	;; [unrolled: 2-line block ×8, first 2 shown]
	ds_write2_b64 v10, v[73:74], v[75:76] offset0:30 offset1:31
	s_cmpk_eq_i32 s83, 0x400
	s_cbranch_scc0 .LBB126_390
; %bb.391:
	v_mov_b32_e32 v5, 15
.LBB126_392:
	s_or_b32 exec_lo, exec_lo, s4
	s_mov_b32 s4, exec_lo
	s_waitcnt lgkmcnt(0)
	s_waitcnt_vscnt null, 0x0
	s_barrier
	buffer_gl0_inv
	v_cmpx_lt_i32_e32 15, v5
	s_cbranch_execz .LBB126_395
; %bb.393:
	s_clause 0x3
	buffer_load_dword v15, off, s[0:3], 0 offset:248
	buffer_load_dword v16, off, s[0:3], 0 offset:252
	;; [unrolled: 1-line block ×4, first 2 shown]
	s_movk_i32 s83, 0x100
	s_waitcnt vmcnt(2)
	v_mul_f64 v[19:20], v[2:3], v[15:16]
	v_mul_f64 v[15:16], v[0:1], v[15:16]
	s_waitcnt vmcnt(0)
	v_fma_f64 v[0:1], v[0:1], v[17:18], -v[19:20]
	v_fma_f64 v[2:3], v[2:3], v[17:18], v[15:16]
	buffer_store_dword v0, off, s[0:3], 0 offset:240
	buffer_store_dword v1, off, s[0:3], 0 offset:244
	;; [unrolled: 1-line block ×4, first 2 shown]
.LBB126_394:                            ; =>This Inner Loop Header: Depth=1
	s_clause 0x3
	buffer_load_dword v19, off, s[0:3], 0 offset:248
	buffer_load_dword v20, off, s[0:3], 0 offset:252
	;; [unrolled: 1-line block ×4, first 2 shown]
	v_mov_b32_e32 v4, s83
	v_add_nc_u32_e32 v10, s83, v12
	s_addk_i32 s83, 0x60
	s_clause 0x3
	buffer_load_dword v23, v4, s[0:3], 0 offen
	buffer_load_dword v24, v4, s[0:3], 0 offen offset:4
	buffer_load_dword v25, v4, s[0:3], 0 offen offset:8
	;; [unrolled: 1-line block ×3, first 2 shown]
	ds_read2_b64 v[0:3], v10 offset1:1
	s_clause 0x3
	buffer_load_dword v27, v4, s[0:3], 0 offen offset:16
	buffer_load_dword v28, v4, s[0:3], 0 offen offset:20
	;; [unrolled: 1-line block ×4, first 2 shown]
	ds_read2_b64 v[15:18], v10 offset0:2 offset1:3
	s_cmpk_lg_i32 s83, 0x400
	s_waitcnt vmcnt(10) lgkmcnt(1)
	v_mul_f64 v[31:32], v[2:3], v[19:20]
	v_mul_f64 v[19:20], v[0:1], v[19:20]
	s_waitcnt vmcnt(8)
	v_fma_f64 v[0:1], v[0:1], v[21:22], -v[31:32]
	v_fma_f64 v[2:3], v[2:3], v[21:22], v[19:20]
	s_waitcnt vmcnt(6)
	v_add_f64 v[0:1], v[23:24], -v[0:1]
	s_waitcnt vmcnt(4)
	v_add_f64 v[2:3], v[25:26], -v[2:3]
	buffer_store_dword v1, v4, s[0:3], 0 offen offset:4
	buffer_store_dword v0, v4, s[0:3], 0 offen
	buffer_store_dword v3, v4, s[0:3], 0 offen offset:12
	buffer_store_dword v2, v4, s[0:3], 0 offen offset:8
	s_clause 0x3
	buffer_load_dword v1, off, s[0:3], 0 offset:252
	buffer_load_dword v0, off, s[0:3], 0 offset:248
	;; [unrolled: 1-line block ×4, first 2 shown]
	s_waitcnt vmcnt(2) lgkmcnt(0)
	v_mul_f64 v[19:20], v[17:18], v[0:1]
	v_mul_f64 v[0:1], v[15:16], v[0:1]
	s_waitcnt vmcnt(0)
	v_fma_f64 v[15:16], v[15:16], v[2:3], -v[19:20]
	v_fma_f64 v[0:1], v[17:18], v[2:3], v[0:1]
	s_clause 0x3
	buffer_load_dword v19, v4, s[0:3], 0 offen offset:32
	buffer_load_dword v20, v4, s[0:3], 0 offen offset:36
	buffer_load_dword v21, v4, s[0:3], 0 offen offset:40
	buffer_load_dword v22, v4, s[0:3], 0 offen offset:44
	v_add_f64 v[2:3], v[27:28], -v[15:16]
	v_add_f64 v[0:1], v[29:30], -v[0:1]
	buffer_store_dword v3, v4, s[0:3], 0 offen offset:20
	buffer_store_dword v2, v4, s[0:3], 0 offen offset:16
	;; [unrolled: 1-line block ×4, first 2 shown]
	s_clause 0x3
	buffer_load_dword v23, off, s[0:3], 0 offset:248
	buffer_load_dword v24, off, s[0:3], 0 offset:252
	buffer_load_dword v25, off, s[0:3], 0 offset:240
	buffer_load_dword v26, off, s[0:3], 0 offset:244
	ds_read2_b64 v[0:3], v10 offset0:4 offset1:5
	ds_read2_b64 v[15:18], v10 offset0:6 offset1:7
	s_waitcnt vmcnt(2) lgkmcnt(1)
	v_mul_f64 v[27:28], v[2:3], v[23:24]
	v_mul_f64 v[23:24], v[0:1], v[23:24]
	s_waitcnt vmcnt(0)
	v_fma_f64 v[0:1], v[0:1], v[25:26], -v[27:28]
	v_fma_f64 v[2:3], v[2:3], v[25:26], v[23:24]
	v_add_f64 v[0:1], v[19:20], -v[0:1]
	v_add_f64 v[2:3], v[21:22], -v[2:3]
	buffer_store_dword v1, v4, s[0:3], 0 offen offset:36
	buffer_store_dword v0, v4, s[0:3], 0 offen offset:32
	;; [unrolled: 1-line block ×4, first 2 shown]
	s_clause 0x7
	buffer_load_dword v0, off, s[0:3], 0 offset:248
	buffer_load_dword v1, off, s[0:3], 0 offset:252
	buffer_load_dword v2, off, s[0:3], 0 offset:240
	buffer_load_dword v3, off, s[0:3], 0 offset:244
	buffer_load_dword v19, v4, s[0:3], 0 offen offset:48
	buffer_load_dword v20, v4, s[0:3], 0 offen offset:52
	;; [unrolled: 1-line block ×4, first 2 shown]
	s_waitcnt vmcnt(6) lgkmcnt(0)
	v_mul_f64 v[23:24], v[17:18], v[0:1]
	v_mul_f64 v[0:1], v[15:16], v[0:1]
	s_waitcnt vmcnt(4)
	v_fma_f64 v[15:16], v[15:16], v[2:3], -v[23:24]
	v_fma_f64 v[0:1], v[17:18], v[2:3], v[0:1]
	s_waitcnt vmcnt(2)
	v_add_f64 v[2:3], v[19:20], -v[15:16]
	s_waitcnt vmcnt(0)
	v_add_f64 v[0:1], v[21:22], -v[0:1]
	buffer_store_dword v3, v4, s[0:3], 0 offen offset:52
	buffer_store_dword v2, v4, s[0:3], 0 offen offset:48
	buffer_store_dword v1, v4, s[0:3], 0 offen offset:60
	buffer_store_dword v0, v4, s[0:3], 0 offen offset:56
	s_clause 0x7
	buffer_load_dword v19, off, s[0:3], 0 offset:248
	buffer_load_dword v20, off, s[0:3], 0 offset:252
	;; [unrolled: 1-line block ×4, first 2 shown]
	buffer_load_dword v23, v4, s[0:3], 0 offen offset:64
	buffer_load_dword v24, v4, s[0:3], 0 offen offset:68
	;; [unrolled: 1-line block ×4, first 2 shown]
	ds_read2_b64 v[0:3], v10 offset0:8 offset1:9
	ds_read2_b64 v[15:18], v10 offset0:10 offset1:11
	s_waitcnt vmcnt(6) lgkmcnt(1)
	v_mul_f64 v[27:28], v[2:3], v[19:20]
	v_mul_f64 v[19:20], v[0:1], v[19:20]
	s_waitcnt vmcnt(4)
	v_fma_f64 v[0:1], v[0:1], v[21:22], -v[27:28]
	v_fma_f64 v[2:3], v[2:3], v[21:22], v[19:20]
	s_waitcnt vmcnt(2)
	v_add_f64 v[0:1], v[23:24], -v[0:1]
	s_waitcnt vmcnt(0)
	v_add_f64 v[2:3], v[25:26], -v[2:3]
	buffer_store_dword v1, v4, s[0:3], 0 offen offset:68
	buffer_store_dword v0, v4, s[0:3], 0 offen offset:64
	;; [unrolled: 1-line block ×4, first 2 shown]
	s_clause 0x7
	buffer_load_dword v0, off, s[0:3], 0 offset:248
	buffer_load_dword v1, off, s[0:3], 0 offset:252
	;; [unrolled: 1-line block ×4, first 2 shown]
	buffer_load_dword v19, v4, s[0:3], 0 offen offset:80
	buffer_load_dword v20, v4, s[0:3], 0 offen offset:84
	;; [unrolled: 1-line block ×4, first 2 shown]
	s_waitcnt vmcnt(6) lgkmcnt(0)
	v_mul_f64 v[23:24], v[17:18], v[0:1]
	v_mul_f64 v[0:1], v[15:16], v[0:1]
	s_waitcnt vmcnt(4)
	v_fma_f64 v[15:16], v[15:16], v[2:3], -v[23:24]
	v_fma_f64 v[0:1], v[17:18], v[2:3], v[0:1]
	s_waitcnt vmcnt(2)
	v_add_f64 v[2:3], v[19:20], -v[15:16]
	s_waitcnt vmcnt(0)
	v_add_f64 v[0:1], v[21:22], -v[0:1]
	buffer_store_dword v3, v4, s[0:3], 0 offen offset:84
	buffer_store_dword v2, v4, s[0:3], 0 offen offset:80
	;; [unrolled: 1-line block ×4, first 2 shown]
	s_cbranch_scc1 .LBB126_394
.LBB126_395:
	s_or_b32 exec_lo, exec_lo, s4
	v_mov_b32_e32 v3, s68
	s_waitcnt_vscnt null, 0x0
	s_barrier
	buffer_gl0_inv
	v_lshl_add_u32 v4, v5, 4, v12
	s_clause 0x3
	buffer_load_dword v0, v3, s[0:3], 0 offen
	buffer_load_dword v1, v3, s[0:3], 0 offen offset:4
	buffer_load_dword v2, v3, s[0:3], 0 offen offset:8
	;; [unrolled: 1-line block ×3, first 2 shown]
	s_cmp_lt_i32 s57, 18
	s_waitcnt vmcnt(0)
	ds_write2_b64 v4, v[0:1], v[2:3] offset1:1
	s_waitcnt lgkmcnt(0)
	s_barrier
	buffer_gl0_inv
	ds_read2_b64 v[0:3], v12 offset0:32 offset1:33
	v_mov_b32_e32 v4, 16
	s_cbranch_scc1 .LBB126_398
; %bb.396:
	v_add3_u32 v10, v14, 0, 0x110
	v_mov_b32_e32 v4, 16
	s_mov_b32 s16, 17
	s_inst_prefetch 0x1
	.p2align	6
.LBB126_397:                            ; =>This Inner Loop Header: Depth=1
	s_waitcnt lgkmcnt(0)
	v_cmp_gt_f64_e32 vcc_lo, 0, v[2:3]
	v_cmp_gt_f64_e64 s4, 0, v[0:1]
	ds_read2_b64 v[15:18], v10 offset1:1
	v_xor_b32_e32 v20, 0x80000000, v1
	v_xor_b32_e32 v22, 0x80000000, v3
	v_mov_b32_e32 v19, v0
	v_mov_b32_e32 v21, v2
	v_add_nc_u32_e32 v10, 16, v10
	s_waitcnt lgkmcnt(0)
	v_xor_b32_e32 v24, 0x80000000, v18
	v_cndmask_b32_e64 v20, v1, v20, s4
	v_cndmask_b32_e32 v22, v3, v22, vcc_lo
	v_cmp_gt_f64_e32 vcc_lo, 0, v[17:18]
	v_cmp_gt_f64_e64 s4, 0, v[15:16]
	v_mov_b32_e32 v23, v17
	v_add_f64 v[19:20], v[19:20], v[21:22]
	v_xor_b32_e32 v22, 0x80000000, v16
	v_mov_b32_e32 v21, v15
	v_cndmask_b32_e32 v24, v18, v24, vcc_lo
	v_cndmask_b32_e64 v22, v16, v22, s4
	v_add_f64 v[21:22], v[21:22], v[23:24]
	v_cmp_lt_f64_e32 vcc_lo, v[19:20], v[21:22]
	v_cndmask_b32_e32 v1, v1, v16, vcc_lo
	v_cndmask_b32_e32 v0, v0, v15, vcc_lo
	;; [unrolled: 1-line block ×4, first 2 shown]
	v_cndmask_b32_e64 v4, v4, s16, vcc_lo
	s_add_i32 s16, s16, 1
	s_cmp_lg_u32 s57, s16
	s_cbranch_scc1 .LBB126_397
.LBB126_398:
	s_inst_prefetch 0x2
	s_waitcnt lgkmcnt(0)
	v_cmp_eq_f64_e32 vcc_lo, 0, v[0:1]
	v_cmp_eq_f64_e64 s4, 0, v[2:3]
	s_and_b32 s4, vcc_lo, s4
	s_and_saveexec_b32 s16, s4
	s_xor_b32 s4, exec_lo, s16
; %bb.399:
	v_cmp_ne_u32_e32 vcc_lo, 0, v13
	v_cndmask_b32_e32 v13, 17, v13, vcc_lo
; %bb.400:
	s_andn2_saveexec_b32 s4, s4
	s_cbranch_execz .LBB126_406
; %bb.401:
	v_cmp_ngt_f64_e64 s16, |v[0:1]|, |v[2:3]|
	s_and_saveexec_b32 s17, s16
	s_xor_b32 s16, exec_lo, s17
	s_cbranch_execz .LBB126_403
; %bb.402:
	v_div_scale_f64 v[15:16], null, v[2:3], v[2:3], v[0:1]
	v_div_scale_f64 v[21:22], vcc_lo, v[0:1], v[2:3], v[0:1]
	v_rcp_f64_e32 v[17:18], v[15:16]
	v_fma_f64 v[19:20], -v[15:16], v[17:18], 1.0
	v_fma_f64 v[17:18], v[17:18], v[19:20], v[17:18]
	v_fma_f64 v[19:20], -v[15:16], v[17:18], 1.0
	v_fma_f64 v[17:18], v[17:18], v[19:20], v[17:18]
	v_mul_f64 v[19:20], v[21:22], v[17:18]
	v_fma_f64 v[15:16], -v[15:16], v[19:20], v[21:22]
	v_div_fmas_f64 v[15:16], v[15:16], v[17:18], v[19:20]
	v_div_fixup_f64 v[15:16], v[15:16], v[2:3], v[0:1]
	v_fma_f64 v[0:1], v[0:1], v[15:16], v[2:3]
	v_div_scale_f64 v[2:3], null, v[0:1], v[0:1], 1.0
	v_rcp_f64_e32 v[17:18], v[2:3]
	v_fma_f64 v[19:20], -v[2:3], v[17:18], 1.0
	v_fma_f64 v[17:18], v[17:18], v[19:20], v[17:18]
	v_fma_f64 v[19:20], -v[2:3], v[17:18], 1.0
	v_fma_f64 v[17:18], v[17:18], v[19:20], v[17:18]
	v_div_scale_f64 v[19:20], vcc_lo, 1.0, v[0:1], 1.0
	v_mul_f64 v[21:22], v[19:20], v[17:18]
	v_fma_f64 v[2:3], -v[2:3], v[21:22], v[19:20]
	v_div_fmas_f64 v[2:3], v[2:3], v[17:18], v[21:22]
	v_div_fixup_f64 v[2:3], v[2:3], v[0:1], 1.0
	v_mul_f64 v[0:1], v[15:16], v[2:3]
	v_xor_b32_e32 v3, 0x80000000, v3
.LBB126_403:
	s_andn2_saveexec_b32 s16, s16
	s_cbranch_execz .LBB126_405
; %bb.404:
	v_div_scale_f64 v[15:16], null, v[0:1], v[0:1], v[2:3]
	v_div_scale_f64 v[21:22], vcc_lo, v[2:3], v[0:1], v[2:3]
	v_rcp_f64_e32 v[17:18], v[15:16]
	v_fma_f64 v[19:20], -v[15:16], v[17:18], 1.0
	v_fma_f64 v[17:18], v[17:18], v[19:20], v[17:18]
	v_fma_f64 v[19:20], -v[15:16], v[17:18], 1.0
	v_fma_f64 v[17:18], v[17:18], v[19:20], v[17:18]
	v_mul_f64 v[19:20], v[21:22], v[17:18]
	v_fma_f64 v[15:16], -v[15:16], v[19:20], v[21:22]
	v_div_fmas_f64 v[15:16], v[15:16], v[17:18], v[19:20]
	v_div_fixup_f64 v[15:16], v[15:16], v[0:1], v[2:3]
	v_fma_f64 v[0:1], v[2:3], v[15:16], v[0:1]
	v_div_scale_f64 v[2:3], null, v[0:1], v[0:1], 1.0
	v_rcp_f64_e32 v[17:18], v[2:3]
	v_fma_f64 v[19:20], -v[2:3], v[17:18], 1.0
	v_fma_f64 v[17:18], v[17:18], v[19:20], v[17:18]
	v_fma_f64 v[19:20], -v[2:3], v[17:18], 1.0
	v_fma_f64 v[17:18], v[17:18], v[19:20], v[17:18]
	v_div_scale_f64 v[19:20], vcc_lo, 1.0, v[0:1], 1.0
	v_mul_f64 v[21:22], v[19:20], v[17:18]
	v_fma_f64 v[2:3], -v[2:3], v[21:22], v[19:20]
	v_div_fmas_f64 v[2:3], v[2:3], v[17:18], v[21:22]
	v_div_fixup_f64 v[0:1], v[2:3], v[0:1], 1.0
	v_mul_f64 v[2:3], v[15:16], -v[0:1]
.LBB126_405:
	s_or_b32 exec_lo, exec_lo, s16
.LBB126_406:
	s_or_b32 exec_lo, exec_lo, s4
	s_mov_b32 s4, exec_lo
	v_cmpx_ne_u32_e64 v5, v4
	s_xor_b32 s4, exec_lo, s4
	s_cbranch_execz .LBB126_412
; %bb.407:
	s_mov_b32 s16, exec_lo
	v_cmpx_eq_u32_e32 16, v5
	s_cbranch_execz .LBB126_411
; %bb.408:
	v_cmp_ne_u32_e32 vcc_lo, 16, v4
	s_xor_b32 s17, s20, -1
	s_and_b32 s56, s17, vcc_lo
	s_and_saveexec_b32 s17, s56
	s_cbranch_execz .LBB126_410
; %bb.409:
	v_ashrrev_i32_e32 v5, 31, v4
	v_lshlrev_b64 v[10:11], 2, v[4:5]
	v_add_co_u32 v10, vcc_lo, v8, v10
	v_add_co_ci_u32_e64 v11, null, v9, v11, vcc_lo
	s_clause 0x1
	global_load_dword v5, v[10:11], off
	global_load_dword v15, v[8:9], off offset:64
	s_waitcnt vmcnt(1)
	global_store_dword v[8:9], v5, off offset:64
	s_waitcnt vmcnt(0)
	global_store_dword v[10:11], v15, off
.LBB126_410:
	s_or_b32 exec_lo, exec_lo, s17
	v_mov_b32_e32 v5, v4
	v_mov_b32_e32 v11, v4
.LBB126_411:
	s_or_b32 exec_lo, exec_lo, s16
.LBB126_412:
	s_andn2_saveexec_b32 s4, s4
	s_cbranch_execz .LBB126_418
; %bb.413:
	s_movk_i32 s16, 0x110
	s_branch .LBB126_415
.LBB126_414:                            ;   in Loop: Header=BB126_415 Depth=1
	s_andn2_b32 vcc_lo, exec_lo, s56
	s_cbranch_vccz .LBB126_417
.LBB126_415:                            ; =>This Inner Loop Header: Depth=1
	v_mov_b32_e32 v4, s16
	s_mov_b32 s17, s16
	s_mov_b32 s56, -1
	s_cmpk_eq_i32 s16, 0x390
	s_clause 0x1b
	buffer_load_dword v15, v4, s[0:3], 0 offen
	buffer_load_dword v16, v4, s[0:3], 0 offen offset:4
	buffer_load_dword v17, v4, s[0:3], 0 offen offset:8
	buffer_load_dword v18, v4, s[0:3], 0 offen offset:12
	buffer_load_dword v19, v4, s[0:3], 0 offen offset:16
	buffer_load_dword v20, v4, s[0:3], 0 offen offset:20
	buffer_load_dword v21, v4, s[0:3], 0 offen offset:24
	buffer_load_dword v22, v4, s[0:3], 0 offen offset:28
	buffer_load_dword v23, v4, s[0:3], 0 offen offset:32
	buffer_load_dword v24, v4, s[0:3], 0 offen offset:36
	buffer_load_dword v25, v4, s[0:3], 0 offen offset:40
	buffer_load_dword v26, v4, s[0:3], 0 offen offset:44
	buffer_load_dword v27, v4, s[0:3], 0 offen offset:48
	buffer_load_dword v28, v4, s[0:3], 0 offen offset:52
	buffer_load_dword v29, v4, s[0:3], 0 offen offset:56
	buffer_load_dword v30, v4, s[0:3], 0 offen offset:60
	buffer_load_dword v32, v4, s[0:3], 0 offen offset:76
	buffer_load_dword v34, v4, s[0:3], 0 offen offset:92
	buffer_load_dword v33, v4, s[0:3], 0 offen offset:88
	buffer_load_dword v36, v4, s[0:3], 0 offen offset:84
	buffer_load_dword v35, v4, s[0:3], 0 offen offset:80
	buffer_load_dword v31, v4, s[0:3], 0 offen offset:72
	buffer_load_dword v38, v4, s[0:3], 0 offen offset:68
	buffer_load_dword v37, v4, s[0:3], 0 offen offset:64
	buffer_load_dword v40, v4, s[0:3], 0 offen offset:108
	buffer_load_dword v39, v4, s[0:3], 0 offen offset:104
	buffer_load_dword v42, v4, s[0:3], 0 offen offset:100
	buffer_load_dword v41, v4, s[0:3], 0 offen offset:96
	v_add_nc_u32_e32 v4, s16, v12
	s_waitcnt vmcnt(24)
	ds_write2_b64 v4, v[15:16], v[17:18] offset1:1
	s_waitcnt vmcnt(20)
	ds_write2_b64 v4, v[19:20], v[21:22] offset0:2 offset1:3
	s_waitcnt vmcnt(16)
	ds_write2_b64 v4, v[23:24], v[25:26] offset0:4 offset1:5
	;; [unrolled: 2-line block ×4, first 2 shown]
	ds_write2_b64 v4, v[35:36], v[33:34] offset0:10 offset1:11
	s_waitcnt vmcnt(0)
	ds_write2_b64 v4, v[41:42], v[39:40] offset0:12 offset1:13
	s_cbranch_scc1 .LBB126_414
; %bb.416:                              ;   in Loop: Header=BB126_415 Depth=1
	v_mov_b32_e32 v5, s17
	s_addk_i32 s16, 0x80
	s_mov_b32 s56, 0
	s_clause 0x3
	buffer_load_dword v15, v5, s[0:3], 0 offen offset:112
	buffer_load_dword v16, v5, s[0:3], 0 offen offset:116
	;; [unrolled: 1-line block ×4, first 2 shown]
	s_waitcnt vmcnt(0)
	ds_write2_b64 v4, v[15:16], v[17:18] offset0:14 offset1:15
	s_branch .LBB126_414
.LBB126_417:
	v_mov_b32_e32 v5, 16
.LBB126_418:
	s_or_b32 exec_lo, exec_lo, s4
	s_mov_b32 s4, exec_lo
	s_waitcnt lgkmcnt(0)
	s_waitcnt_vscnt null, 0x0
	s_barrier
	buffer_gl0_inv
	v_cmpx_lt_i32_e32 16, v5
	s_cbranch_execz .LBB126_423
; %bb.419:
	s_clause 0x3
	buffer_load_dword v15, off, s[0:3], 0 offset:264
	buffer_load_dword v16, off, s[0:3], 0 offset:268
	;; [unrolled: 1-line block ×4, first 2 shown]
	s_movk_i32 s83, 0x110
	s_waitcnt vmcnt(2)
	v_mul_f64 v[19:20], v[2:3], v[15:16]
	v_mul_f64 v[15:16], v[0:1], v[15:16]
	s_waitcnt vmcnt(0)
	v_fma_f64 v[0:1], v[0:1], v[17:18], -v[19:20]
	v_fma_f64 v[2:3], v[2:3], v[17:18], v[15:16]
	buffer_store_dword v0, off, s[0:3], 0 offset:256
	buffer_store_dword v1, off, s[0:3], 0 offset:260
	;; [unrolled: 1-line block ×4, first 2 shown]
	s_branch .LBB126_421
.LBB126_420:                            ;   in Loop: Header=BB126_421 Depth=1
	s_andn2_b32 vcc_lo, exec_lo, s17
	s_cbranch_vccz .LBB126_423
.LBB126_421:                            ; =>This Inner Loop Header: Depth=1
	v_mov_b32_e32 v10, s83
	v_add_nc_u32_e32 v4, s83, v12
	s_mov_b32 s16, s83
	s_mov_b32 s17, -1
	s_cmpk_eq_i32 s83, 0x3d0
	s_clause 0x3
	buffer_load_dword v23, v10, s[0:3], 0 offen
	buffer_load_dword v24, v10, s[0:3], 0 offen offset:4
	buffer_load_dword v25, v10, s[0:3], 0 offen offset:8
	;; [unrolled: 1-line block ×3, first 2 shown]
	ds_read2_b64 v[15:18], v4 offset1:1
	ds_read2_b64 v[19:22], v4 offset0:2 offset1:3
	s_waitcnt vmcnt(5) lgkmcnt(1)
	v_mul_f64 v[27:28], v[17:18], v[2:3]
	v_mul_f64 v[2:3], v[15:16], v[2:3]
	s_waitcnt vmcnt(4)
	v_fma_f64 v[15:16], v[15:16], v[0:1], -v[27:28]
	v_fma_f64 v[0:1], v[17:18], v[0:1], v[2:3]
	s_clause 0x2
	buffer_load_dword v2, v10, s[0:3], 0 offen offset:20
	buffer_load_dword v17, v10, s[0:3], 0 offen offset:28
	;; [unrolled: 1-line block ×3, first 2 shown]
	s_waitcnt vmcnt(5)
	v_add_f64 v[15:16], v[23:24], -v[15:16]
	s_waitcnt vmcnt(3)
	v_add_f64 v[0:1], v[25:26], -v[0:1]
	buffer_store_dword v16, v10, s[0:3], 0 offen offset:4
	buffer_store_dword v15, v10, s[0:3], 0 offen
	buffer_store_dword v1, v10, s[0:3], 0 offen offset:12
	buffer_store_dword v0, v10, s[0:3], 0 offen offset:8
	s_clause 0x6
	buffer_load_dword v16, v10, s[0:3], 0 offen offset:24
	buffer_load_dword v23, v10, s[0:3], 0 offen offset:36
	buffer_load_dword v25, off, s[0:3], 0 offset:268
	buffer_load_dword v24, off, s[0:3], 0 offset:264
	;; [unrolled: 1-line block ×4, first 2 shown]
	buffer_load_dword v1, v10, s[0:3], 0 offen offset:16
	s_waitcnt vmcnt(3) lgkmcnt(0)
	v_mul_f64 v[28:29], v[21:22], v[24:25]
	v_mul_f64 v[24:25], v[19:20], v[24:25]
	s_waitcnt vmcnt(1)
	v_fma_f64 v[19:20], v[19:20], v[26:27], -v[28:29]
	v_fma_f64 v[21:22], v[21:22], v[26:27], v[24:25]
	s_waitcnt vmcnt(0)
	v_add_f64 v[0:1], v[1:2], -v[19:20]
	v_add_f64 v[2:3], v[16:17], -v[21:22]
	buffer_store_dword v1, v10, s[0:3], 0 offen offset:20
	buffer_store_dword v0, v10, s[0:3], 0 offen offset:16
	;; [unrolled: 1-line block ×4, first 2 shown]
	s_clause 0x5
	buffer_load_dword v19, v10, s[0:3], 0 offen offset:44
	buffer_load_dword v15, off, s[0:3], 0 offset:264
	buffer_load_dword v16, off, s[0:3], 0 offset:268
	;; [unrolled: 1-line block ×4, first 2 shown]
	buffer_load_dword v22, v10, s[0:3], 0 offen offset:32
	ds_read2_b64 v[0:3], v4 offset0:4 offset1:5
	s_waitcnt vmcnt(3) lgkmcnt(0)
	v_mul_f64 v[24:25], v[2:3], v[15:16]
	v_mul_f64 v[15:16], v[0:1], v[15:16]
	s_waitcnt vmcnt(1)
	v_fma_f64 v[0:1], v[0:1], v[20:21], -v[24:25]
	v_fma_f64 v[2:3], v[2:3], v[20:21], v[15:16]
	s_waitcnt vmcnt(0)
	v_add_f64 v[0:1], v[22:23], -v[0:1]
	v_add_f64 v[2:3], v[18:19], -v[2:3]
	buffer_store_dword v1, v10, s[0:3], 0 offen offset:36
	buffer_store_dword v0, v10, s[0:3], 0 offen offset:32
	buffer_store_dword v3, v10, s[0:3], 0 offen offset:44
	buffer_store_dword v2, v10, s[0:3], 0 offen offset:40
                                        ; implicit-def: $vgpr0_vgpr1
                                        ; implicit-def: $vgpr2_vgpr3
	s_cbranch_scc1 .LBB126_420
; %bb.422:                              ;   in Loop: Header=BB126_421 Depth=1
	s_clause 0x3
	buffer_load_dword v15, off, s[0:3], 0 offset:264
	buffer_load_dword v16, off, s[0:3], 0 offset:268
	;; [unrolled: 1-line block ×4, first 2 shown]
	v_mov_b32_e32 v10, s16
	s_add_i32 s83, s83, 64
	s_mov_b32 s17, 0
	s_clause 0x3
	buffer_load_dword v19, v10, s[0:3], 0 offen offset:48
	buffer_load_dword v20, v10, s[0:3], 0 offen offset:52
	;; [unrolled: 1-line block ×4, first 2 shown]
	ds_read2_b64 v[0:3], v4 offset0:6 offset1:7
	s_waitcnt vmcnt(6) lgkmcnt(0)
	v_mul_f64 v[23:24], v[2:3], v[15:16]
	v_mul_f64 v[15:16], v[0:1], v[15:16]
	s_waitcnt vmcnt(4)
	v_fma_f64 v[0:1], v[0:1], v[17:18], -v[23:24]
	v_fma_f64 v[2:3], v[2:3], v[17:18], v[15:16]
	s_waitcnt vmcnt(2)
	v_add_f64 v[0:1], v[19:20], -v[0:1]
	s_waitcnt vmcnt(0)
	v_add_f64 v[2:3], v[21:22], -v[2:3]
	buffer_store_dword v1, v10, s[0:3], 0 offen offset:52
	buffer_store_dword v0, v10, s[0:3], 0 offen offset:48
	;; [unrolled: 1-line block ×4, first 2 shown]
	s_clause 0x3
	buffer_load_dword v1, off, s[0:3], 0 offset:260
	buffer_load_dword v3, off, s[0:3], 0 offset:268
	;; [unrolled: 1-line block ×4, first 2 shown]
	s_branch .LBB126_420
.LBB126_423:
	s_or_b32 exec_lo, exec_lo, s4
	s_waitcnt vmcnt(2)
	v_mov_b32_e32 v3, s67
	s_waitcnt vmcnt(0)
	s_waitcnt_vscnt null, 0x0
	s_barrier
	buffer_gl0_inv
	v_lshl_add_u32 v4, v5, 4, v12
	s_clause 0x3
	buffer_load_dword v0, v3, s[0:3], 0 offen
	buffer_load_dword v1, v3, s[0:3], 0 offen offset:4
	buffer_load_dword v2, v3, s[0:3], 0 offen offset:8
	;; [unrolled: 1-line block ×3, first 2 shown]
	s_cmp_lt_i32 s57, 19
	s_waitcnt vmcnt(0)
	ds_write2_b64 v4, v[0:1], v[2:3] offset1:1
	s_waitcnt lgkmcnt(0)
	s_barrier
	buffer_gl0_inv
	ds_read2_b64 v[0:3], v12 offset0:34 offset1:35
	v_mov_b32_e32 v4, 17
	s_cbranch_scc1 .LBB126_426
; %bb.424:
	v_add3_u32 v10, v14, 0, 0x120
	v_mov_b32_e32 v4, 17
	s_mov_b32 s16, 18
	s_inst_prefetch 0x1
	.p2align	6
.LBB126_425:                            ; =>This Inner Loop Header: Depth=1
	s_waitcnt lgkmcnt(0)
	v_cmp_gt_f64_e32 vcc_lo, 0, v[2:3]
	v_cmp_gt_f64_e64 s4, 0, v[0:1]
	ds_read2_b64 v[15:18], v10 offset1:1
	v_xor_b32_e32 v20, 0x80000000, v1
	v_xor_b32_e32 v22, 0x80000000, v3
	v_mov_b32_e32 v19, v0
	v_mov_b32_e32 v21, v2
	v_add_nc_u32_e32 v10, 16, v10
	s_waitcnt lgkmcnt(0)
	v_xor_b32_e32 v24, 0x80000000, v18
	v_cndmask_b32_e64 v20, v1, v20, s4
	v_cndmask_b32_e32 v22, v3, v22, vcc_lo
	v_cmp_gt_f64_e32 vcc_lo, 0, v[17:18]
	v_cmp_gt_f64_e64 s4, 0, v[15:16]
	v_mov_b32_e32 v23, v17
	v_add_f64 v[19:20], v[19:20], v[21:22]
	v_xor_b32_e32 v22, 0x80000000, v16
	v_mov_b32_e32 v21, v15
	v_cndmask_b32_e32 v24, v18, v24, vcc_lo
	v_cndmask_b32_e64 v22, v16, v22, s4
	v_add_f64 v[21:22], v[21:22], v[23:24]
	v_cmp_lt_f64_e32 vcc_lo, v[19:20], v[21:22]
	v_cndmask_b32_e32 v1, v1, v16, vcc_lo
	v_cndmask_b32_e32 v0, v0, v15, vcc_lo
	v_cndmask_b32_e32 v3, v3, v18, vcc_lo
	v_cndmask_b32_e32 v2, v2, v17, vcc_lo
	v_cndmask_b32_e64 v4, v4, s16, vcc_lo
	s_add_i32 s16, s16, 1
	s_cmp_lg_u32 s57, s16
	s_cbranch_scc1 .LBB126_425
.LBB126_426:
	s_inst_prefetch 0x2
	s_waitcnt lgkmcnt(0)
	v_cmp_eq_f64_e32 vcc_lo, 0, v[0:1]
	v_cmp_eq_f64_e64 s4, 0, v[2:3]
	s_and_b32 s4, vcc_lo, s4
	s_and_saveexec_b32 s16, s4
	s_xor_b32 s4, exec_lo, s16
; %bb.427:
	v_cmp_ne_u32_e32 vcc_lo, 0, v13
	v_cndmask_b32_e32 v13, 18, v13, vcc_lo
; %bb.428:
	s_andn2_saveexec_b32 s4, s4
	s_cbranch_execz .LBB126_434
; %bb.429:
	v_cmp_ngt_f64_e64 s16, |v[0:1]|, |v[2:3]|
	s_and_saveexec_b32 s17, s16
	s_xor_b32 s16, exec_lo, s17
	s_cbranch_execz .LBB126_431
; %bb.430:
	v_div_scale_f64 v[15:16], null, v[2:3], v[2:3], v[0:1]
	v_div_scale_f64 v[21:22], vcc_lo, v[0:1], v[2:3], v[0:1]
	v_rcp_f64_e32 v[17:18], v[15:16]
	v_fma_f64 v[19:20], -v[15:16], v[17:18], 1.0
	v_fma_f64 v[17:18], v[17:18], v[19:20], v[17:18]
	v_fma_f64 v[19:20], -v[15:16], v[17:18], 1.0
	v_fma_f64 v[17:18], v[17:18], v[19:20], v[17:18]
	v_mul_f64 v[19:20], v[21:22], v[17:18]
	v_fma_f64 v[15:16], -v[15:16], v[19:20], v[21:22]
	v_div_fmas_f64 v[15:16], v[15:16], v[17:18], v[19:20]
	v_div_fixup_f64 v[15:16], v[15:16], v[2:3], v[0:1]
	v_fma_f64 v[0:1], v[0:1], v[15:16], v[2:3]
	v_div_scale_f64 v[2:3], null, v[0:1], v[0:1], 1.0
	v_rcp_f64_e32 v[17:18], v[2:3]
	v_fma_f64 v[19:20], -v[2:3], v[17:18], 1.0
	v_fma_f64 v[17:18], v[17:18], v[19:20], v[17:18]
	v_fma_f64 v[19:20], -v[2:3], v[17:18], 1.0
	v_fma_f64 v[17:18], v[17:18], v[19:20], v[17:18]
	v_div_scale_f64 v[19:20], vcc_lo, 1.0, v[0:1], 1.0
	v_mul_f64 v[21:22], v[19:20], v[17:18]
	v_fma_f64 v[2:3], -v[2:3], v[21:22], v[19:20]
	v_div_fmas_f64 v[2:3], v[2:3], v[17:18], v[21:22]
	v_div_fixup_f64 v[2:3], v[2:3], v[0:1], 1.0
	v_mul_f64 v[0:1], v[15:16], v[2:3]
	v_xor_b32_e32 v3, 0x80000000, v3
.LBB126_431:
	s_andn2_saveexec_b32 s16, s16
	s_cbranch_execz .LBB126_433
; %bb.432:
	v_div_scale_f64 v[15:16], null, v[0:1], v[0:1], v[2:3]
	v_div_scale_f64 v[21:22], vcc_lo, v[2:3], v[0:1], v[2:3]
	v_rcp_f64_e32 v[17:18], v[15:16]
	v_fma_f64 v[19:20], -v[15:16], v[17:18], 1.0
	v_fma_f64 v[17:18], v[17:18], v[19:20], v[17:18]
	v_fma_f64 v[19:20], -v[15:16], v[17:18], 1.0
	v_fma_f64 v[17:18], v[17:18], v[19:20], v[17:18]
	v_mul_f64 v[19:20], v[21:22], v[17:18]
	v_fma_f64 v[15:16], -v[15:16], v[19:20], v[21:22]
	v_div_fmas_f64 v[15:16], v[15:16], v[17:18], v[19:20]
	v_div_fixup_f64 v[15:16], v[15:16], v[0:1], v[2:3]
	v_fma_f64 v[0:1], v[2:3], v[15:16], v[0:1]
	v_div_scale_f64 v[2:3], null, v[0:1], v[0:1], 1.0
	v_rcp_f64_e32 v[17:18], v[2:3]
	v_fma_f64 v[19:20], -v[2:3], v[17:18], 1.0
	v_fma_f64 v[17:18], v[17:18], v[19:20], v[17:18]
	v_fma_f64 v[19:20], -v[2:3], v[17:18], 1.0
	v_fma_f64 v[17:18], v[17:18], v[19:20], v[17:18]
	v_div_scale_f64 v[19:20], vcc_lo, 1.0, v[0:1], 1.0
	v_mul_f64 v[21:22], v[19:20], v[17:18]
	v_fma_f64 v[2:3], -v[2:3], v[21:22], v[19:20]
	v_div_fmas_f64 v[2:3], v[2:3], v[17:18], v[21:22]
	v_div_fixup_f64 v[0:1], v[2:3], v[0:1], 1.0
	v_mul_f64 v[2:3], v[15:16], -v[0:1]
.LBB126_433:
	s_or_b32 exec_lo, exec_lo, s16
.LBB126_434:
	s_or_b32 exec_lo, exec_lo, s4
	s_mov_b32 s4, exec_lo
	v_cmpx_ne_u32_e64 v5, v4
	s_xor_b32 s4, exec_lo, s4
	s_cbranch_execz .LBB126_440
; %bb.435:
	s_mov_b32 s16, exec_lo
	v_cmpx_eq_u32_e32 17, v5
	s_cbranch_execz .LBB126_439
; %bb.436:
	v_cmp_ne_u32_e32 vcc_lo, 17, v4
	s_xor_b32 s17, s20, -1
	s_and_b32 s56, s17, vcc_lo
	s_and_saveexec_b32 s17, s56
	s_cbranch_execz .LBB126_438
; %bb.437:
	v_ashrrev_i32_e32 v5, 31, v4
	v_lshlrev_b64 v[10:11], 2, v[4:5]
	v_add_co_u32 v10, vcc_lo, v8, v10
	v_add_co_ci_u32_e64 v11, null, v9, v11, vcc_lo
	s_clause 0x1
	global_load_dword v5, v[10:11], off
	global_load_dword v15, v[8:9], off offset:68
	s_waitcnt vmcnt(1)
	global_store_dword v[8:9], v5, off offset:68
	s_waitcnt vmcnt(0)
	global_store_dword v[10:11], v15, off
.LBB126_438:
	s_or_b32 exec_lo, exec_lo, s17
	v_mov_b32_e32 v5, v4
	v_mov_b32_e32 v11, v4
.LBB126_439:
	s_or_b32 exec_lo, exec_lo, s16
.LBB126_440:
	s_andn2_saveexec_b32 s4, s4
	s_cbranch_execz .LBB126_444
; %bb.441:
	s_movk_i32 s16, 0x120
	.p2align	6
.LBB126_442:                            ; =>This Inner Loop Header: Depth=1
	v_mov_b32_e32 v10, s16
	s_clause 0x7
	buffer_load_dword v4, v10, s[0:3], 0 offen
	buffer_load_dword v5, v10, s[0:3], 0 offen offset:4
	buffer_load_dword v15, v10, s[0:3], 0 offen offset:8
	buffer_load_dword v16, v10, s[0:3], 0 offen offset:12
	buffer_load_dword v17, v10, s[0:3], 0 offen offset:16
	buffer_load_dword v18, v10, s[0:3], 0 offen offset:20
	buffer_load_dword v19, v10, s[0:3], 0 offen offset:24
	buffer_load_dword v20, v10, s[0:3], 0 offen offset:28
	v_add_nc_u32_e32 v10, s16, v12
	s_add_i32 s16, s16, 32
	s_waitcnt vmcnt(4)
	ds_write2_b64 v10, v[4:5], v[15:16] offset1:1
	s_waitcnt vmcnt(0)
	ds_write2_b64 v10, v[17:18], v[19:20] offset0:2 offset1:3
	s_cmpk_eq_i32 s16, 0x400
	s_cbranch_scc0 .LBB126_442
; %bb.443:
	v_mov_b32_e32 v5, 17
.LBB126_444:
	s_or_b32 exec_lo, exec_lo, s4
	s_mov_b32 s4, exec_lo
	s_waitcnt lgkmcnt(0)
	s_waitcnt_vscnt null, 0x0
	s_barrier
	buffer_gl0_inv
	v_cmpx_lt_i32_e32 17, v5
	s_cbranch_execz .LBB126_447
; %bb.445:
	s_clause 0x3
	buffer_load_dword v15, off, s[0:3], 0 offset:280
	buffer_load_dword v16, off, s[0:3], 0 offset:284
	;; [unrolled: 1-line block ×4, first 2 shown]
	s_movk_i32 s16, 0x120
	s_waitcnt vmcnt(2)
	v_mul_f64 v[19:20], v[2:3], v[15:16]
	v_mul_f64 v[15:16], v[0:1], v[15:16]
	s_waitcnt vmcnt(0)
	v_fma_f64 v[0:1], v[0:1], v[17:18], -v[19:20]
	v_fma_f64 v[2:3], v[2:3], v[17:18], v[15:16]
	buffer_store_dword v0, off, s[0:3], 0 offset:272
	buffer_store_dword v1, off, s[0:3], 0 offset:276
	;; [unrolled: 1-line block ×4, first 2 shown]
.LBB126_446:                            ; =>This Inner Loop Header: Depth=1
	s_clause 0x3
	buffer_load_dword v19, off, s[0:3], 0 offset:280
	buffer_load_dword v20, off, s[0:3], 0 offset:284
	;; [unrolled: 1-line block ×4, first 2 shown]
	v_mov_b32_e32 v4, s16
	v_add_nc_u32_e32 v10, s16, v12
	s_add_i32 s16, s16, 32
	s_clause 0x3
	buffer_load_dword v23, v4, s[0:3], 0 offen
	buffer_load_dword v24, v4, s[0:3], 0 offen offset:4
	buffer_load_dword v25, v4, s[0:3], 0 offen offset:8
	;; [unrolled: 1-line block ×3, first 2 shown]
	ds_read2_b64 v[0:3], v10 offset1:1
	ds_read2_b64 v[15:18], v10 offset0:2 offset1:3
	s_cmpk_lg_i32 s16, 0x400
	s_waitcnt vmcnt(6) lgkmcnt(1)
	v_mul_f64 v[27:28], v[2:3], v[19:20]
	v_mul_f64 v[19:20], v[0:1], v[19:20]
	s_waitcnt vmcnt(4)
	v_fma_f64 v[0:1], v[0:1], v[21:22], -v[27:28]
	v_fma_f64 v[2:3], v[2:3], v[21:22], v[19:20]
	s_clause 0x3
	buffer_load_dword v19, v4, s[0:3], 0 offen offset:16
	buffer_load_dword v20, v4, s[0:3], 0 offen offset:20
	;; [unrolled: 1-line block ×4, first 2 shown]
	s_waitcnt vmcnt(6)
	v_add_f64 v[0:1], v[23:24], -v[0:1]
	s_waitcnt vmcnt(4)
	v_add_f64 v[2:3], v[25:26], -v[2:3]
	buffer_store_dword v1, v4, s[0:3], 0 offen offset:4
	buffer_store_dword v0, v4, s[0:3], 0 offen
	buffer_store_dword v3, v4, s[0:3], 0 offen offset:12
	buffer_store_dword v2, v4, s[0:3], 0 offen offset:8
	s_clause 0x3
	buffer_load_dword v1, off, s[0:3], 0 offset:284
	buffer_load_dword v0, off, s[0:3], 0 offset:280
	;; [unrolled: 1-line block ×4, first 2 shown]
	s_waitcnt vmcnt(2) lgkmcnt(0)
	v_mul_f64 v[23:24], v[17:18], v[0:1]
	v_mul_f64 v[0:1], v[15:16], v[0:1]
	s_waitcnt vmcnt(0)
	v_fma_f64 v[15:16], v[15:16], v[2:3], -v[23:24]
	v_fma_f64 v[0:1], v[17:18], v[2:3], v[0:1]
	v_add_f64 v[2:3], v[19:20], -v[15:16]
	v_add_f64 v[0:1], v[21:22], -v[0:1]
	buffer_store_dword v3, v4, s[0:3], 0 offen offset:20
	buffer_store_dword v2, v4, s[0:3], 0 offen offset:16
	;; [unrolled: 1-line block ×4, first 2 shown]
	s_cbranch_scc1 .LBB126_446
.LBB126_447:
	s_or_b32 exec_lo, exec_lo, s4
	v_mov_b32_e32 v3, s66
	s_waitcnt_vscnt null, 0x0
	s_barrier
	buffer_gl0_inv
	v_lshl_add_u32 v4, v5, 4, v12
	s_clause 0x3
	buffer_load_dword v0, v3, s[0:3], 0 offen
	buffer_load_dword v1, v3, s[0:3], 0 offen offset:4
	buffer_load_dword v2, v3, s[0:3], 0 offen offset:8
	;; [unrolled: 1-line block ×3, first 2 shown]
	s_cmp_lt_i32 s57, 20
	s_waitcnt vmcnt(0)
	ds_write2_b64 v4, v[0:1], v[2:3] offset1:1
	s_waitcnt lgkmcnt(0)
	s_barrier
	buffer_gl0_inv
	ds_read2_b64 v[0:3], v12 offset0:36 offset1:37
	v_mov_b32_e32 v4, 18
	s_cbranch_scc1 .LBB126_450
; %bb.448:
	v_add3_u32 v10, v14, 0, 0x130
	v_mov_b32_e32 v4, 18
	s_mov_b32 s16, 19
	s_inst_prefetch 0x1
	.p2align	6
.LBB126_449:                            ; =>This Inner Loop Header: Depth=1
	s_waitcnt lgkmcnt(0)
	v_cmp_gt_f64_e32 vcc_lo, 0, v[2:3]
	v_cmp_gt_f64_e64 s4, 0, v[0:1]
	ds_read2_b64 v[15:18], v10 offset1:1
	v_xor_b32_e32 v20, 0x80000000, v1
	v_xor_b32_e32 v22, 0x80000000, v3
	v_mov_b32_e32 v19, v0
	v_mov_b32_e32 v21, v2
	v_add_nc_u32_e32 v10, 16, v10
	s_waitcnt lgkmcnt(0)
	v_xor_b32_e32 v24, 0x80000000, v18
	v_cndmask_b32_e64 v20, v1, v20, s4
	v_cndmask_b32_e32 v22, v3, v22, vcc_lo
	v_cmp_gt_f64_e32 vcc_lo, 0, v[17:18]
	v_cmp_gt_f64_e64 s4, 0, v[15:16]
	v_mov_b32_e32 v23, v17
	v_add_f64 v[19:20], v[19:20], v[21:22]
	v_xor_b32_e32 v22, 0x80000000, v16
	v_mov_b32_e32 v21, v15
	v_cndmask_b32_e32 v24, v18, v24, vcc_lo
	v_cndmask_b32_e64 v22, v16, v22, s4
	v_add_f64 v[21:22], v[21:22], v[23:24]
	v_cmp_lt_f64_e32 vcc_lo, v[19:20], v[21:22]
	v_cndmask_b32_e32 v1, v1, v16, vcc_lo
	v_cndmask_b32_e32 v0, v0, v15, vcc_lo
	;; [unrolled: 1-line block ×4, first 2 shown]
	v_cndmask_b32_e64 v4, v4, s16, vcc_lo
	s_add_i32 s16, s16, 1
	s_cmp_lg_u32 s57, s16
	s_cbranch_scc1 .LBB126_449
.LBB126_450:
	s_inst_prefetch 0x2
	s_waitcnt lgkmcnt(0)
	v_cmp_eq_f64_e32 vcc_lo, 0, v[0:1]
	v_cmp_eq_f64_e64 s4, 0, v[2:3]
	s_and_b32 s4, vcc_lo, s4
	s_and_saveexec_b32 s16, s4
	s_xor_b32 s4, exec_lo, s16
; %bb.451:
	v_cmp_ne_u32_e32 vcc_lo, 0, v13
	v_cndmask_b32_e32 v13, 19, v13, vcc_lo
; %bb.452:
	s_andn2_saveexec_b32 s4, s4
	s_cbranch_execz .LBB126_458
; %bb.453:
	v_cmp_ngt_f64_e64 s16, |v[0:1]|, |v[2:3]|
	s_and_saveexec_b32 s17, s16
	s_xor_b32 s16, exec_lo, s17
	s_cbranch_execz .LBB126_455
; %bb.454:
	v_div_scale_f64 v[15:16], null, v[2:3], v[2:3], v[0:1]
	v_div_scale_f64 v[21:22], vcc_lo, v[0:1], v[2:3], v[0:1]
	v_rcp_f64_e32 v[17:18], v[15:16]
	v_fma_f64 v[19:20], -v[15:16], v[17:18], 1.0
	v_fma_f64 v[17:18], v[17:18], v[19:20], v[17:18]
	v_fma_f64 v[19:20], -v[15:16], v[17:18], 1.0
	v_fma_f64 v[17:18], v[17:18], v[19:20], v[17:18]
	v_mul_f64 v[19:20], v[21:22], v[17:18]
	v_fma_f64 v[15:16], -v[15:16], v[19:20], v[21:22]
	v_div_fmas_f64 v[15:16], v[15:16], v[17:18], v[19:20]
	v_div_fixup_f64 v[15:16], v[15:16], v[2:3], v[0:1]
	v_fma_f64 v[0:1], v[0:1], v[15:16], v[2:3]
	v_div_scale_f64 v[2:3], null, v[0:1], v[0:1], 1.0
	v_rcp_f64_e32 v[17:18], v[2:3]
	v_fma_f64 v[19:20], -v[2:3], v[17:18], 1.0
	v_fma_f64 v[17:18], v[17:18], v[19:20], v[17:18]
	v_fma_f64 v[19:20], -v[2:3], v[17:18], 1.0
	v_fma_f64 v[17:18], v[17:18], v[19:20], v[17:18]
	v_div_scale_f64 v[19:20], vcc_lo, 1.0, v[0:1], 1.0
	v_mul_f64 v[21:22], v[19:20], v[17:18]
	v_fma_f64 v[2:3], -v[2:3], v[21:22], v[19:20]
	v_div_fmas_f64 v[2:3], v[2:3], v[17:18], v[21:22]
	v_div_fixup_f64 v[2:3], v[2:3], v[0:1], 1.0
	v_mul_f64 v[0:1], v[15:16], v[2:3]
	v_xor_b32_e32 v3, 0x80000000, v3
.LBB126_455:
	s_andn2_saveexec_b32 s16, s16
	s_cbranch_execz .LBB126_457
; %bb.456:
	v_div_scale_f64 v[15:16], null, v[0:1], v[0:1], v[2:3]
	v_div_scale_f64 v[21:22], vcc_lo, v[2:3], v[0:1], v[2:3]
	v_rcp_f64_e32 v[17:18], v[15:16]
	v_fma_f64 v[19:20], -v[15:16], v[17:18], 1.0
	v_fma_f64 v[17:18], v[17:18], v[19:20], v[17:18]
	v_fma_f64 v[19:20], -v[15:16], v[17:18], 1.0
	v_fma_f64 v[17:18], v[17:18], v[19:20], v[17:18]
	v_mul_f64 v[19:20], v[21:22], v[17:18]
	v_fma_f64 v[15:16], -v[15:16], v[19:20], v[21:22]
	v_div_fmas_f64 v[15:16], v[15:16], v[17:18], v[19:20]
	v_div_fixup_f64 v[15:16], v[15:16], v[0:1], v[2:3]
	v_fma_f64 v[0:1], v[2:3], v[15:16], v[0:1]
	v_div_scale_f64 v[2:3], null, v[0:1], v[0:1], 1.0
	v_rcp_f64_e32 v[17:18], v[2:3]
	v_fma_f64 v[19:20], -v[2:3], v[17:18], 1.0
	v_fma_f64 v[17:18], v[17:18], v[19:20], v[17:18]
	v_fma_f64 v[19:20], -v[2:3], v[17:18], 1.0
	v_fma_f64 v[17:18], v[17:18], v[19:20], v[17:18]
	v_div_scale_f64 v[19:20], vcc_lo, 1.0, v[0:1], 1.0
	v_mul_f64 v[21:22], v[19:20], v[17:18]
	v_fma_f64 v[2:3], -v[2:3], v[21:22], v[19:20]
	v_div_fmas_f64 v[2:3], v[2:3], v[17:18], v[21:22]
	v_div_fixup_f64 v[0:1], v[2:3], v[0:1], 1.0
	v_mul_f64 v[2:3], v[15:16], -v[0:1]
.LBB126_457:
	s_or_b32 exec_lo, exec_lo, s16
.LBB126_458:
	s_or_b32 exec_lo, exec_lo, s4
	s_mov_b32 s4, exec_lo
	v_cmpx_ne_u32_e64 v5, v4
	s_xor_b32 s4, exec_lo, s4
	s_cbranch_execz .LBB126_464
; %bb.459:
	s_mov_b32 s16, exec_lo
	v_cmpx_eq_u32_e32 18, v5
	s_cbranch_execz .LBB126_463
; %bb.460:
	v_cmp_ne_u32_e32 vcc_lo, 18, v4
	s_xor_b32 s17, s20, -1
	s_and_b32 s56, s17, vcc_lo
	s_and_saveexec_b32 s17, s56
	s_cbranch_execz .LBB126_462
; %bb.461:
	v_ashrrev_i32_e32 v5, 31, v4
	v_lshlrev_b64 v[10:11], 2, v[4:5]
	v_add_co_u32 v10, vcc_lo, v8, v10
	v_add_co_ci_u32_e64 v11, null, v9, v11, vcc_lo
	s_clause 0x1
	global_load_dword v5, v[10:11], off
	global_load_dword v15, v[8:9], off offset:72
	s_waitcnt vmcnt(1)
	global_store_dword v[8:9], v5, off offset:72
	s_waitcnt vmcnt(0)
	global_store_dword v[10:11], v15, off
.LBB126_462:
	s_or_b32 exec_lo, exec_lo, s17
	v_mov_b32_e32 v5, v4
	v_mov_b32_e32 v11, v4
.LBB126_463:
	s_or_b32 exec_lo, exec_lo, s16
.LBB126_464:
	s_andn2_saveexec_b32 s4, s4
	s_cbranch_execz .LBB126_468
; %bb.465:
	s_movk_i32 s16, 0x130
.LBB126_466:                            ; =>This Inner Loop Header: Depth=1
	v_mov_b32_e32 v10, s16
	s_clause 0x3b
	buffer_load_dword v4, v10, s[0:3], 0 offen
	buffer_load_dword v5, v10, s[0:3], 0 offen offset:4
	buffer_load_dword v15, v10, s[0:3], 0 offen offset:8
	;; [unrolled: 1-line block ×59, first 2 shown]
	v_add_nc_u32_e32 v10, s16, v12
	s_addk_i32 s16, 0xf0
	s_waitcnt vmcnt(56)
	ds_write2_b64 v10, v[4:5], v[15:16] offset1:1
	s_waitcnt vmcnt(52)
	ds_write2_b64 v10, v[17:18], v[19:20] offset0:2 offset1:3
	s_waitcnt vmcnt(48)
	ds_write2_b64 v10, v[21:22], v[23:24] offset0:4 offset1:5
	;; [unrolled: 2-line block ×4, first 2 shown]
	ds_write2_b64 v10, v[33:34], v[31:32] offset0:10 offset1:11
	s_waitcnt vmcnt(28)
	ds_write2_b64 v10, v[43:44], v[37:38] offset0:12 offset1:13
	ds_write2_b64 v10, v[41:42], v[39:40] offset0:14 offset1:15
	s_waitcnt vmcnt(24)
	ds_write2_b64 v10, v[45:46], v[47:48] offset0:16 offset1:17
	s_waitcnt vmcnt(20)
	;; [unrolled: 2-line block ×7, first 2 shown]
	ds_write2_b64 v10, v[69:70], v[71:72] offset0:28 offset1:29
	s_cmpk_eq_i32 s16, 0x400
	s_cbranch_scc0 .LBB126_466
; %bb.467:
	v_mov_b32_e32 v5, 18
.LBB126_468:
	s_or_b32 exec_lo, exec_lo, s4
	s_mov_b32 s4, exec_lo
	s_waitcnt lgkmcnt(0)
	s_waitcnt_vscnt null, 0x0
	s_barrier
	buffer_gl0_inv
	v_cmpx_lt_i32_e32 18, v5
	s_cbranch_execz .LBB126_471
; %bb.469:
	s_clause 0x3
	buffer_load_dword v15, off, s[0:3], 0 offset:296
	buffer_load_dword v16, off, s[0:3], 0 offset:300
	;; [unrolled: 1-line block ×4, first 2 shown]
	s_movk_i32 s83, 0x130
	s_waitcnt vmcnt(2)
	v_mul_f64 v[19:20], v[2:3], v[15:16]
	v_mul_f64 v[15:16], v[0:1], v[15:16]
	s_waitcnt vmcnt(0)
	v_fma_f64 v[0:1], v[0:1], v[17:18], -v[19:20]
	v_fma_f64 v[2:3], v[2:3], v[17:18], v[15:16]
	buffer_store_dword v0, off, s[0:3], 0 offset:288
	buffer_store_dword v1, off, s[0:3], 0 offset:292
	;; [unrolled: 1-line block ×4, first 2 shown]
.LBB126_470:                            ; =>This Inner Loop Header: Depth=1
	s_clause 0x3
	buffer_load_dword v19, off, s[0:3], 0 offset:296
	buffer_load_dword v20, off, s[0:3], 0 offset:300
	;; [unrolled: 1-line block ×4, first 2 shown]
	v_mov_b32_e32 v4, s83
	v_add_nc_u32_e32 v10, s83, v12
	s_addk_i32 s83, 0x50
	s_clause 0x3
	buffer_load_dword v23, v4, s[0:3], 0 offen
	buffer_load_dword v24, v4, s[0:3], 0 offen offset:4
	buffer_load_dword v25, v4, s[0:3], 0 offen offset:8
	;; [unrolled: 1-line block ×3, first 2 shown]
	ds_read2_b64 v[0:3], v10 offset1:1
	ds_read2_b64 v[15:18], v10 offset0:2 offset1:3
	s_cmpk_lg_i32 s83, 0x400
	s_waitcnt vmcnt(6) lgkmcnt(1)
	v_mul_f64 v[27:28], v[2:3], v[19:20]
	v_mul_f64 v[19:20], v[0:1], v[19:20]
	s_waitcnt vmcnt(4)
	v_fma_f64 v[0:1], v[0:1], v[21:22], -v[27:28]
	v_fma_f64 v[2:3], v[2:3], v[21:22], v[19:20]
	s_clause 0x3
	buffer_load_dword v19, v4, s[0:3], 0 offen offset:16
	buffer_load_dword v20, v4, s[0:3], 0 offen offset:20
	;; [unrolled: 1-line block ×4, first 2 shown]
	s_waitcnt vmcnt(6)
	v_add_f64 v[0:1], v[23:24], -v[0:1]
	s_waitcnt vmcnt(4)
	v_add_f64 v[2:3], v[25:26], -v[2:3]
	buffer_store_dword v1, v4, s[0:3], 0 offen offset:4
	buffer_store_dword v0, v4, s[0:3], 0 offen
	buffer_store_dword v3, v4, s[0:3], 0 offen offset:12
	buffer_store_dword v2, v4, s[0:3], 0 offen offset:8
	s_clause 0x3
	buffer_load_dword v1, off, s[0:3], 0 offset:300
	buffer_load_dword v0, off, s[0:3], 0 offset:296
	buffer_load_dword v3, off, s[0:3], 0 offset:292
	buffer_load_dword v2, off, s[0:3], 0 offset:288
	s_waitcnt vmcnt(2) lgkmcnt(0)
	v_mul_f64 v[23:24], v[17:18], v[0:1]
	v_mul_f64 v[0:1], v[15:16], v[0:1]
	s_waitcnt vmcnt(0)
	v_fma_f64 v[15:16], v[15:16], v[2:3], -v[23:24]
	v_fma_f64 v[0:1], v[17:18], v[2:3], v[0:1]
	v_add_f64 v[2:3], v[19:20], -v[15:16]
	v_add_f64 v[0:1], v[21:22], -v[0:1]
	s_clause 0x3
	buffer_load_dword v19, v4, s[0:3], 0 offen offset:32
	buffer_load_dword v20, v4, s[0:3], 0 offen offset:36
	;; [unrolled: 1-line block ×4, first 2 shown]
	buffer_store_dword v3, v4, s[0:3], 0 offen offset:20
	buffer_store_dword v2, v4, s[0:3], 0 offen offset:16
	;; [unrolled: 1-line block ×4, first 2 shown]
	s_clause 0x3
	buffer_load_dword v23, off, s[0:3], 0 offset:296
	buffer_load_dword v24, off, s[0:3], 0 offset:300
	;; [unrolled: 1-line block ×4, first 2 shown]
	ds_read2_b64 v[0:3], v10 offset0:4 offset1:5
	ds_read2_b64 v[15:18], v10 offset0:6 offset1:7
	s_waitcnt vmcnt(2) lgkmcnt(1)
	v_mul_f64 v[27:28], v[2:3], v[23:24]
	v_mul_f64 v[23:24], v[0:1], v[23:24]
	s_waitcnt vmcnt(0)
	v_fma_f64 v[0:1], v[0:1], v[25:26], -v[27:28]
	v_fma_f64 v[2:3], v[2:3], v[25:26], v[23:24]
	v_add_f64 v[0:1], v[19:20], -v[0:1]
	v_add_f64 v[2:3], v[21:22], -v[2:3]
	buffer_store_dword v1, v4, s[0:3], 0 offen offset:36
	buffer_store_dword v0, v4, s[0:3], 0 offen offset:32
	;; [unrolled: 1-line block ×4, first 2 shown]
	s_clause 0x7
	buffer_load_dword v0, off, s[0:3], 0 offset:296
	buffer_load_dword v1, off, s[0:3], 0 offset:300
	;; [unrolled: 1-line block ×4, first 2 shown]
	buffer_load_dword v19, v4, s[0:3], 0 offen offset:48
	buffer_load_dword v20, v4, s[0:3], 0 offen offset:52
	;; [unrolled: 1-line block ×4, first 2 shown]
	s_waitcnt vmcnt(6) lgkmcnt(0)
	v_mul_f64 v[23:24], v[17:18], v[0:1]
	v_mul_f64 v[0:1], v[15:16], v[0:1]
	s_waitcnt vmcnt(4)
	v_fma_f64 v[15:16], v[15:16], v[2:3], -v[23:24]
	v_fma_f64 v[0:1], v[17:18], v[2:3], v[0:1]
	s_waitcnt vmcnt(2)
	v_add_f64 v[2:3], v[19:20], -v[15:16]
	s_waitcnt vmcnt(0)
	v_add_f64 v[0:1], v[21:22], -v[0:1]
	buffer_store_dword v3, v4, s[0:3], 0 offen offset:52
	buffer_store_dword v2, v4, s[0:3], 0 offen offset:48
	;; [unrolled: 1-line block ×4, first 2 shown]
	s_clause 0x7
	buffer_load_dword v15, off, s[0:3], 0 offset:296
	buffer_load_dword v16, off, s[0:3], 0 offset:300
	buffer_load_dword v17, off, s[0:3], 0 offset:288
	buffer_load_dword v18, off, s[0:3], 0 offset:292
	buffer_load_dword v19, v4, s[0:3], 0 offen offset:64
	buffer_load_dword v20, v4, s[0:3], 0 offen offset:68
	;; [unrolled: 1-line block ×4, first 2 shown]
	ds_read2_b64 v[0:3], v10 offset0:8 offset1:9
	s_waitcnt vmcnt(6) lgkmcnt(0)
	v_mul_f64 v[23:24], v[2:3], v[15:16]
	v_mul_f64 v[15:16], v[0:1], v[15:16]
	s_waitcnt vmcnt(4)
	v_fma_f64 v[0:1], v[0:1], v[17:18], -v[23:24]
	v_fma_f64 v[2:3], v[2:3], v[17:18], v[15:16]
	s_waitcnt vmcnt(2)
	v_add_f64 v[0:1], v[19:20], -v[0:1]
	s_waitcnt vmcnt(0)
	v_add_f64 v[2:3], v[21:22], -v[2:3]
	buffer_store_dword v1, v4, s[0:3], 0 offen offset:68
	buffer_store_dword v0, v4, s[0:3], 0 offen offset:64
	;; [unrolled: 1-line block ×4, first 2 shown]
	s_cbranch_scc1 .LBB126_470
.LBB126_471:
	s_or_b32 exec_lo, exec_lo, s4
	v_mov_b32_e32 v3, s65
	s_waitcnt_vscnt null, 0x0
	s_barrier
	buffer_gl0_inv
	v_lshl_add_u32 v4, v5, 4, v12
	s_clause 0x3
	buffer_load_dword v0, v3, s[0:3], 0 offen
	buffer_load_dword v1, v3, s[0:3], 0 offen offset:4
	buffer_load_dword v2, v3, s[0:3], 0 offen offset:8
	;; [unrolled: 1-line block ×3, first 2 shown]
	s_cmp_lt_i32 s57, 21
	s_waitcnt vmcnt(0)
	ds_write2_b64 v4, v[0:1], v[2:3] offset1:1
	s_waitcnt lgkmcnt(0)
	s_barrier
	buffer_gl0_inv
	ds_read2_b64 v[0:3], v12 offset0:38 offset1:39
	v_mov_b32_e32 v4, 19
	s_cbranch_scc1 .LBB126_474
; %bb.472:
	v_add3_u32 v10, v14, 0, 0x140
	v_mov_b32_e32 v4, 19
	s_mov_b32 s16, 20
	s_inst_prefetch 0x1
	.p2align	6
.LBB126_473:                            ; =>This Inner Loop Header: Depth=1
	s_waitcnt lgkmcnt(0)
	v_cmp_gt_f64_e32 vcc_lo, 0, v[2:3]
	v_cmp_gt_f64_e64 s4, 0, v[0:1]
	ds_read2_b64 v[15:18], v10 offset1:1
	v_xor_b32_e32 v20, 0x80000000, v1
	v_xor_b32_e32 v22, 0x80000000, v3
	v_mov_b32_e32 v19, v0
	v_mov_b32_e32 v21, v2
	v_add_nc_u32_e32 v10, 16, v10
	s_waitcnt lgkmcnt(0)
	v_xor_b32_e32 v24, 0x80000000, v18
	v_cndmask_b32_e64 v20, v1, v20, s4
	v_cndmask_b32_e32 v22, v3, v22, vcc_lo
	v_cmp_gt_f64_e32 vcc_lo, 0, v[17:18]
	v_cmp_gt_f64_e64 s4, 0, v[15:16]
	v_mov_b32_e32 v23, v17
	v_add_f64 v[19:20], v[19:20], v[21:22]
	v_xor_b32_e32 v22, 0x80000000, v16
	v_mov_b32_e32 v21, v15
	v_cndmask_b32_e32 v24, v18, v24, vcc_lo
	v_cndmask_b32_e64 v22, v16, v22, s4
	v_add_f64 v[21:22], v[21:22], v[23:24]
	v_cmp_lt_f64_e32 vcc_lo, v[19:20], v[21:22]
	v_cndmask_b32_e32 v1, v1, v16, vcc_lo
	v_cndmask_b32_e32 v0, v0, v15, vcc_lo
	;; [unrolled: 1-line block ×4, first 2 shown]
	v_cndmask_b32_e64 v4, v4, s16, vcc_lo
	s_add_i32 s16, s16, 1
	s_cmp_lg_u32 s57, s16
	s_cbranch_scc1 .LBB126_473
.LBB126_474:
	s_inst_prefetch 0x2
	s_waitcnt lgkmcnt(0)
	v_cmp_eq_f64_e32 vcc_lo, 0, v[0:1]
	v_cmp_eq_f64_e64 s4, 0, v[2:3]
	s_and_b32 s4, vcc_lo, s4
	s_and_saveexec_b32 s16, s4
	s_xor_b32 s4, exec_lo, s16
; %bb.475:
	v_cmp_ne_u32_e32 vcc_lo, 0, v13
	v_cndmask_b32_e32 v13, 20, v13, vcc_lo
; %bb.476:
	s_andn2_saveexec_b32 s4, s4
	s_cbranch_execz .LBB126_482
; %bb.477:
	v_cmp_ngt_f64_e64 s16, |v[0:1]|, |v[2:3]|
	s_and_saveexec_b32 s17, s16
	s_xor_b32 s16, exec_lo, s17
	s_cbranch_execz .LBB126_479
; %bb.478:
	v_div_scale_f64 v[15:16], null, v[2:3], v[2:3], v[0:1]
	v_div_scale_f64 v[21:22], vcc_lo, v[0:1], v[2:3], v[0:1]
	v_rcp_f64_e32 v[17:18], v[15:16]
	v_fma_f64 v[19:20], -v[15:16], v[17:18], 1.0
	v_fma_f64 v[17:18], v[17:18], v[19:20], v[17:18]
	v_fma_f64 v[19:20], -v[15:16], v[17:18], 1.0
	v_fma_f64 v[17:18], v[17:18], v[19:20], v[17:18]
	v_mul_f64 v[19:20], v[21:22], v[17:18]
	v_fma_f64 v[15:16], -v[15:16], v[19:20], v[21:22]
	v_div_fmas_f64 v[15:16], v[15:16], v[17:18], v[19:20]
	v_div_fixup_f64 v[15:16], v[15:16], v[2:3], v[0:1]
	v_fma_f64 v[0:1], v[0:1], v[15:16], v[2:3]
	v_div_scale_f64 v[2:3], null, v[0:1], v[0:1], 1.0
	v_rcp_f64_e32 v[17:18], v[2:3]
	v_fma_f64 v[19:20], -v[2:3], v[17:18], 1.0
	v_fma_f64 v[17:18], v[17:18], v[19:20], v[17:18]
	v_fma_f64 v[19:20], -v[2:3], v[17:18], 1.0
	v_fma_f64 v[17:18], v[17:18], v[19:20], v[17:18]
	v_div_scale_f64 v[19:20], vcc_lo, 1.0, v[0:1], 1.0
	v_mul_f64 v[21:22], v[19:20], v[17:18]
	v_fma_f64 v[2:3], -v[2:3], v[21:22], v[19:20]
	v_div_fmas_f64 v[2:3], v[2:3], v[17:18], v[21:22]
	v_div_fixup_f64 v[2:3], v[2:3], v[0:1], 1.0
	v_mul_f64 v[0:1], v[15:16], v[2:3]
	v_xor_b32_e32 v3, 0x80000000, v3
.LBB126_479:
	s_andn2_saveexec_b32 s16, s16
	s_cbranch_execz .LBB126_481
; %bb.480:
	v_div_scale_f64 v[15:16], null, v[0:1], v[0:1], v[2:3]
	v_div_scale_f64 v[21:22], vcc_lo, v[2:3], v[0:1], v[2:3]
	v_rcp_f64_e32 v[17:18], v[15:16]
	v_fma_f64 v[19:20], -v[15:16], v[17:18], 1.0
	v_fma_f64 v[17:18], v[17:18], v[19:20], v[17:18]
	v_fma_f64 v[19:20], -v[15:16], v[17:18], 1.0
	v_fma_f64 v[17:18], v[17:18], v[19:20], v[17:18]
	v_mul_f64 v[19:20], v[21:22], v[17:18]
	v_fma_f64 v[15:16], -v[15:16], v[19:20], v[21:22]
	v_div_fmas_f64 v[15:16], v[15:16], v[17:18], v[19:20]
	v_div_fixup_f64 v[15:16], v[15:16], v[0:1], v[2:3]
	v_fma_f64 v[0:1], v[2:3], v[15:16], v[0:1]
	v_div_scale_f64 v[2:3], null, v[0:1], v[0:1], 1.0
	v_rcp_f64_e32 v[17:18], v[2:3]
	v_fma_f64 v[19:20], -v[2:3], v[17:18], 1.0
	v_fma_f64 v[17:18], v[17:18], v[19:20], v[17:18]
	v_fma_f64 v[19:20], -v[2:3], v[17:18], 1.0
	v_fma_f64 v[17:18], v[17:18], v[19:20], v[17:18]
	v_div_scale_f64 v[19:20], vcc_lo, 1.0, v[0:1], 1.0
	v_mul_f64 v[21:22], v[19:20], v[17:18]
	v_fma_f64 v[2:3], -v[2:3], v[21:22], v[19:20]
	v_div_fmas_f64 v[2:3], v[2:3], v[17:18], v[21:22]
	v_div_fixup_f64 v[0:1], v[2:3], v[0:1], 1.0
	v_mul_f64 v[2:3], v[15:16], -v[0:1]
.LBB126_481:
	s_or_b32 exec_lo, exec_lo, s16
.LBB126_482:
	s_or_b32 exec_lo, exec_lo, s4
	s_mov_b32 s4, exec_lo
	v_cmpx_ne_u32_e64 v5, v4
	s_xor_b32 s4, exec_lo, s4
	s_cbranch_execz .LBB126_488
; %bb.483:
	s_mov_b32 s16, exec_lo
	v_cmpx_eq_u32_e32 19, v5
	s_cbranch_execz .LBB126_487
; %bb.484:
	v_cmp_ne_u32_e32 vcc_lo, 19, v4
	s_xor_b32 s17, s20, -1
	s_and_b32 s56, s17, vcc_lo
	s_and_saveexec_b32 s17, s56
	s_cbranch_execz .LBB126_486
; %bb.485:
	v_ashrrev_i32_e32 v5, 31, v4
	v_lshlrev_b64 v[10:11], 2, v[4:5]
	v_add_co_u32 v10, vcc_lo, v8, v10
	v_add_co_ci_u32_e64 v11, null, v9, v11, vcc_lo
	s_clause 0x1
	global_load_dword v5, v[10:11], off
	global_load_dword v15, v[8:9], off offset:76
	s_waitcnt vmcnt(1)
	global_store_dword v[8:9], v5, off offset:76
	s_waitcnt vmcnt(0)
	global_store_dword v[10:11], v15, off
.LBB126_486:
	s_or_b32 exec_lo, exec_lo, s17
	v_mov_b32_e32 v5, v4
	v_mov_b32_e32 v11, v4
.LBB126_487:
	s_or_b32 exec_lo, exec_lo, s16
.LBB126_488:
	s_andn2_saveexec_b32 s4, s4
	s_cbranch_execz .LBB126_492
; %bb.489:
	s_movk_i32 s16, 0x140
.LBB126_490:                            ; =>This Inner Loop Header: Depth=1
	v_mov_b32_e32 v10, s16
	s_clause 0x2b
	buffer_load_dword v4, v10, s[0:3], 0 offen
	buffer_load_dword v5, v10, s[0:3], 0 offen offset:4
	buffer_load_dword v15, v10, s[0:3], 0 offen offset:8
	;; [unrolled: 1-line block ×43, first 2 shown]
	v_add_nc_u32_e32 v10, s16, v12
	s_addk_i32 s16, 0xb0
	s_waitcnt vmcnt(40)
	ds_write2_b64 v10, v[4:5], v[15:16] offset1:1
	s_waitcnt vmcnt(36)
	ds_write2_b64 v10, v[17:18], v[19:20] offset0:2 offset1:3
	s_waitcnt vmcnt(32)
	ds_write2_b64 v10, v[21:22], v[23:24] offset0:4 offset1:5
	;; [unrolled: 2-line block ×4, first 2 shown]
	ds_write2_b64 v10, v[33:34], v[31:32] offset0:10 offset1:11
	s_waitcnt vmcnt(12)
	ds_write2_b64 v10, v[43:44], v[37:38] offset0:12 offset1:13
	ds_write2_b64 v10, v[41:42], v[39:40] offset0:14 offset1:15
	s_waitcnt vmcnt(8)
	ds_write2_b64 v10, v[45:46], v[47:48] offset0:16 offset1:17
	s_waitcnt vmcnt(4)
	;; [unrolled: 2-line block ×3, first 2 shown]
	ds_write2_b64 v10, v[53:54], v[55:56] offset0:20 offset1:21
	s_cmpk_eq_i32 s16, 0x400
	s_cbranch_scc0 .LBB126_490
; %bb.491:
	v_mov_b32_e32 v5, 19
.LBB126_492:
	s_or_b32 exec_lo, exec_lo, s4
	s_mov_b32 s4, exec_lo
	s_waitcnt lgkmcnt(0)
	s_waitcnt_vscnt null, 0x0
	s_barrier
	buffer_gl0_inv
	v_cmpx_lt_i32_e32 19, v5
	s_cbranch_execz .LBB126_495
; %bb.493:
	s_clause 0x3
	buffer_load_dword v15, off, s[0:3], 0 offset:312
	buffer_load_dword v16, off, s[0:3], 0 offset:316
	buffer_load_dword v17, off, s[0:3], 0 offset:304
	buffer_load_dword v18, off, s[0:3], 0 offset:308
	s_movk_i32 s83, 0x140
	s_waitcnt vmcnt(2)
	v_mul_f64 v[19:20], v[2:3], v[15:16]
	v_mul_f64 v[15:16], v[0:1], v[15:16]
	s_waitcnt vmcnt(0)
	v_fma_f64 v[0:1], v[0:1], v[17:18], -v[19:20]
	v_fma_f64 v[2:3], v[2:3], v[17:18], v[15:16]
	buffer_store_dword v0, off, s[0:3], 0 offset:304
	buffer_store_dword v1, off, s[0:3], 0 offset:308
	;; [unrolled: 1-line block ×4, first 2 shown]
.LBB126_494:                            ; =>This Inner Loop Header: Depth=1
	s_clause 0x3
	buffer_load_dword v19, off, s[0:3], 0 offset:312
	buffer_load_dword v20, off, s[0:3], 0 offset:316
	buffer_load_dword v21, off, s[0:3], 0 offset:304
	buffer_load_dword v22, off, s[0:3], 0 offset:308
	v_mov_b32_e32 v4, s83
	v_add_nc_u32_e32 v10, s83, v12
	s_add_i32 s83, s83, 64
	s_clause 0x3
	buffer_load_dword v23, v4, s[0:3], 0 offen
	buffer_load_dword v24, v4, s[0:3], 0 offen offset:4
	buffer_load_dword v25, v4, s[0:3], 0 offen offset:8
	buffer_load_dword v26, v4, s[0:3], 0 offen offset:12
	ds_read2_b64 v[0:3], v10 offset1:1
	ds_read2_b64 v[15:18], v10 offset0:2 offset1:3
	s_cmpk_lg_i32 s83, 0x400
	s_waitcnt vmcnt(6) lgkmcnt(1)
	v_mul_f64 v[27:28], v[2:3], v[19:20]
	v_mul_f64 v[19:20], v[0:1], v[19:20]
	s_waitcnt vmcnt(4)
	v_fma_f64 v[0:1], v[0:1], v[21:22], -v[27:28]
	v_fma_f64 v[2:3], v[2:3], v[21:22], v[19:20]
	s_clause 0x3
	buffer_load_dword v19, v4, s[0:3], 0 offen offset:16
	buffer_load_dword v20, v4, s[0:3], 0 offen offset:20
	;; [unrolled: 1-line block ×4, first 2 shown]
	s_waitcnt vmcnt(6)
	v_add_f64 v[0:1], v[23:24], -v[0:1]
	s_waitcnt vmcnt(4)
	v_add_f64 v[2:3], v[25:26], -v[2:3]
	buffer_store_dword v1, v4, s[0:3], 0 offen offset:4
	buffer_store_dword v0, v4, s[0:3], 0 offen
	buffer_store_dword v3, v4, s[0:3], 0 offen offset:12
	buffer_store_dword v2, v4, s[0:3], 0 offen offset:8
	s_clause 0x3
	buffer_load_dword v1, off, s[0:3], 0 offset:316
	buffer_load_dword v0, off, s[0:3], 0 offset:312
	;; [unrolled: 1-line block ×4, first 2 shown]
	s_waitcnt vmcnt(2) lgkmcnt(0)
	v_mul_f64 v[23:24], v[17:18], v[0:1]
	v_mul_f64 v[0:1], v[15:16], v[0:1]
	s_waitcnt vmcnt(0)
	v_fma_f64 v[15:16], v[15:16], v[2:3], -v[23:24]
	v_fma_f64 v[0:1], v[17:18], v[2:3], v[0:1]
	v_add_f64 v[2:3], v[19:20], -v[15:16]
	v_add_f64 v[0:1], v[21:22], -v[0:1]
	s_clause 0x3
	buffer_load_dword v19, v4, s[0:3], 0 offen offset:32
	buffer_load_dword v20, v4, s[0:3], 0 offen offset:36
	;; [unrolled: 1-line block ×4, first 2 shown]
	buffer_store_dword v3, v4, s[0:3], 0 offen offset:20
	buffer_store_dword v2, v4, s[0:3], 0 offen offset:16
	;; [unrolled: 1-line block ×4, first 2 shown]
	s_clause 0x3
	buffer_load_dword v23, off, s[0:3], 0 offset:312
	buffer_load_dword v24, off, s[0:3], 0 offset:316
	;; [unrolled: 1-line block ×4, first 2 shown]
	ds_read2_b64 v[0:3], v10 offset0:4 offset1:5
	ds_read2_b64 v[15:18], v10 offset0:6 offset1:7
	s_waitcnt vmcnt(2) lgkmcnt(1)
	v_mul_f64 v[27:28], v[2:3], v[23:24]
	v_mul_f64 v[23:24], v[0:1], v[23:24]
	s_waitcnt vmcnt(0)
	v_fma_f64 v[0:1], v[0:1], v[25:26], -v[27:28]
	v_fma_f64 v[2:3], v[2:3], v[25:26], v[23:24]
	v_add_f64 v[0:1], v[19:20], -v[0:1]
	v_add_f64 v[2:3], v[21:22], -v[2:3]
	buffer_store_dword v1, v4, s[0:3], 0 offen offset:36
	buffer_store_dword v0, v4, s[0:3], 0 offen offset:32
	;; [unrolled: 1-line block ×4, first 2 shown]
	s_clause 0x7
	buffer_load_dword v0, off, s[0:3], 0 offset:312
	buffer_load_dword v1, off, s[0:3], 0 offset:316
	;; [unrolled: 1-line block ×4, first 2 shown]
	buffer_load_dword v19, v4, s[0:3], 0 offen offset:48
	buffer_load_dword v20, v4, s[0:3], 0 offen offset:52
	;; [unrolled: 1-line block ×4, first 2 shown]
	s_waitcnt vmcnt(6) lgkmcnt(0)
	v_mul_f64 v[23:24], v[17:18], v[0:1]
	v_mul_f64 v[0:1], v[15:16], v[0:1]
	s_waitcnt vmcnt(4)
	v_fma_f64 v[15:16], v[15:16], v[2:3], -v[23:24]
	v_fma_f64 v[0:1], v[17:18], v[2:3], v[0:1]
	s_waitcnt vmcnt(2)
	v_add_f64 v[2:3], v[19:20], -v[15:16]
	s_waitcnt vmcnt(0)
	v_add_f64 v[0:1], v[21:22], -v[0:1]
	buffer_store_dword v3, v4, s[0:3], 0 offen offset:52
	buffer_store_dword v2, v4, s[0:3], 0 offen offset:48
	;; [unrolled: 1-line block ×4, first 2 shown]
	s_cbranch_scc1 .LBB126_494
.LBB126_495:
	s_or_b32 exec_lo, exec_lo, s4
	v_mov_b32_e32 v3, s64
	s_waitcnt_vscnt null, 0x0
	s_barrier
	buffer_gl0_inv
	v_lshl_add_u32 v4, v5, 4, v12
	s_clause 0x3
	buffer_load_dword v0, v3, s[0:3], 0 offen
	buffer_load_dword v1, v3, s[0:3], 0 offen offset:4
	buffer_load_dword v2, v3, s[0:3], 0 offen offset:8
	;; [unrolled: 1-line block ×3, first 2 shown]
	s_cmp_lt_i32 s57, 22
	s_waitcnt vmcnt(0)
	ds_write2_b64 v4, v[0:1], v[2:3] offset1:1
	s_waitcnt lgkmcnt(0)
	s_barrier
	buffer_gl0_inv
	ds_read2_b64 v[0:3], v12 offset0:40 offset1:41
	v_mov_b32_e32 v4, 20
	s_cbranch_scc1 .LBB126_498
; %bb.496:
	v_add3_u32 v10, v14, 0, 0x150
	v_mov_b32_e32 v4, 20
	s_mov_b32 s16, 21
	s_inst_prefetch 0x1
	.p2align	6
.LBB126_497:                            ; =>This Inner Loop Header: Depth=1
	s_waitcnt lgkmcnt(0)
	v_cmp_gt_f64_e32 vcc_lo, 0, v[2:3]
	v_cmp_gt_f64_e64 s4, 0, v[0:1]
	ds_read2_b64 v[15:18], v10 offset1:1
	v_xor_b32_e32 v20, 0x80000000, v1
	v_xor_b32_e32 v22, 0x80000000, v3
	v_mov_b32_e32 v19, v0
	v_mov_b32_e32 v21, v2
	v_add_nc_u32_e32 v10, 16, v10
	s_waitcnt lgkmcnt(0)
	v_xor_b32_e32 v24, 0x80000000, v18
	v_cndmask_b32_e64 v20, v1, v20, s4
	v_cndmask_b32_e32 v22, v3, v22, vcc_lo
	v_cmp_gt_f64_e32 vcc_lo, 0, v[17:18]
	v_cmp_gt_f64_e64 s4, 0, v[15:16]
	v_mov_b32_e32 v23, v17
	v_add_f64 v[19:20], v[19:20], v[21:22]
	v_xor_b32_e32 v22, 0x80000000, v16
	v_mov_b32_e32 v21, v15
	v_cndmask_b32_e32 v24, v18, v24, vcc_lo
	v_cndmask_b32_e64 v22, v16, v22, s4
	v_add_f64 v[21:22], v[21:22], v[23:24]
	v_cmp_lt_f64_e32 vcc_lo, v[19:20], v[21:22]
	v_cndmask_b32_e32 v1, v1, v16, vcc_lo
	v_cndmask_b32_e32 v0, v0, v15, vcc_lo
	;; [unrolled: 1-line block ×4, first 2 shown]
	v_cndmask_b32_e64 v4, v4, s16, vcc_lo
	s_add_i32 s16, s16, 1
	s_cmp_lg_u32 s57, s16
	s_cbranch_scc1 .LBB126_497
.LBB126_498:
	s_inst_prefetch 0x2
	s_waitcnt lgkmcnt(0)
	v_cmp_eq_f64_e32 vcc_lo, 0, v[0:1]
	v_cmp_eq_f64_e64 s4, 0, v[2:3]
	s_and_b32 s4, vcc_lo, s4
	s_and_saveexec_b32 s16, s4
	s_xor_b32 s4, exec_lo, s16
; %bb.499:
	v_cmp_ne_u32_e32 vcc_lo, 0, v13
	v_cndmask_b32_e32 v13, 21, v13, vcc_lo
; %bb.500:
	s_andn2_saveexec_b32 s4, s4
	s_cbranch_execz .LBB126_506
; %bb.501:
	v_cmp_ngt_f64_e64 s16, |v[0:1]|, |v[2:3]|
	s_and_saveexec_b32 s17, s16
	s_xor_b32 s16, exec_lo, s17
	s_cbranch_execz .LBB126_503
; %bb.502:
	v_div_scale_f64 v[15:16], null, v[2:3], v[2:3], v[0:1]
	v_div_scale_f64 v[21:22], vcc_lo, v[0:1], v[2:3], v[0:1]
	v_rcp_f64_e32 v[17:18], v[15:16]
	v_fma_f64 v[19:20], -v[15:16], v[17:18], 1.0
	v_fma_f64 v[17:18], v[17:18], v[19:20], v[17:18]
	v_fma_f64 v[19:20], -v[15:16], v[17:18], 1.0
	v_fma_f64 v[17:18], v[17:18], v[19:20], v[17:18]
	v_mul_f64 v[19:20], v[21:22], v[17:18]
	v_fma_f64 v[15:16], -v[15:16], v[19:20], v[21:22]
	v_div_fmas_f64 v[15:16], v[15:16], v[17:18], v[19:20]
	v_div_fixup_f64 v[15:16], v[15:16], v[2:3], v[0:1]
	v_fma_f64 v[0:1], v[0:1], v[15:16], v[2:3]
	v_div_scale_f64 v[2:3], null, v[0:1], v[0:1], 1.0
	v_rcp_f64_e32 v[17:18], v[2:3]
	v_fma_f64 v[19:20], -v[2:3], v[17:18], 1.0
	v_fma_f64 v[17:18], v[17:18], v[19:20], v[17:18]
	v_fma_f64 v[19:20], -v[2:3], v[17:18], 1.0
	v_fma_f64 v[17:18], v[17:18], v[19:20], v[17:18]
	v_div_scale_f64 v[19:20], vcc_lo, 1.0, v[0:1], 1.0
	v_mul_f64 v[21:22], v[19:20], v[17:18]
	v_fma_f64 v[2:3], -v[2:3], v[21:22], v[19:20]
	v_div_fmas_f64 v[2:3], v[2:3], v[17:18], v[21:22]
	v_div_fixup_f64 v[2:3], v[2:3], v[0:1], 1.0
	v_mul_f64 v[0:1], v[15:16], v[2:3]
	v_xor_b32_e32 v3, 0x80000000, v3
.LBB126_503:
	s_andn2_saveexec_b32 s16, s16
	s_cbranch_execz .LBB126_505
; %bb.504:
	v_div_scale_f64 v[15:16], null, v[0:1], v[0:1], v[2:3]
	v_div_scale_f64 v[21:22], vcc_lo, v[2:3], v[0:1], v[2:3]
	v_rcp_f64_e32 v[17:18], v[15:16]
	v_fma_f64 v[19:20], -v[15:16], v[17:18], 1.0
	v_fma_f64 v[17:18], v[17:18], v[19:20], v[17:18]
	v_fma_f64 v[19:20], -v[15:16], v[17:18], 1.0
	v_fma_f64 v[17:18], v[17:18], v[19:20], v[17:18]
	v_mul_f64 v[19:20], v[21:22], v[17:18]
	v_fma_f64 v[15:16], -v[15:16], v[19:20], v[21:22]
	v_div_fmas_f64 v[15:16], v[15:16], v[17:18], v[19:20]
	v_div_fixup_f64 v[15:16], v[15:16], v[0:1], v[2:3]
	v_fma_f64 v[0:1], v[2:3], v[15:16], v[0:1]
	v_div_scale_f64 v[2:3], null, v[0:1], v[0:1], 1.0
	v_rcp_f64_e32 v[17:18], v[2:3]
	v_fma_f64 v[19:20], -v[2:3], v[17:18], 1.0
	v_fma_f64 v[17:18], v[17:18], v[19:20], v[17:18]
	v_fma_f64 v[19:20], -v[2:3], v[17:18], 1.0
	v_fma_f64 v[17:18], v[17:18], v[19:20], v[17:18]
	v_div_scale_f64 v[19:20], vcc_lo, 1.0, v[0:1], 1.0
	v_mul_f64 v[21:22], v[19:20], v[17:18]
	v_fma_f64 v[2:3], -v[2:3], v[21:22], v[19:20]
	v_div_fmas_f64 v[2:3], v[2:3], v[17:18], v[21:22]
	v_div_fixup_f64 v[0:1], v[2:3], v[0:1], 1.0
	v_mul_f64 v[2:3], v[15:16], -v[0:1]
.LBB126_505:
	s_or_b32 exec_lo, exec_lo, s16
.LBB126_506:
	s_or_b32 exec_lo, exec_lo, s4
	s_mov_b32 s4, exec_lo
	v_cmpx_ne_u32_e64 v5, v4
	s_xor_b32 s4, exec_lo, s4
	s_cbranch_execz .LBB126_512
; %bb.507:
	s_mov_b32 s16, exec_lo
	v_cmpx_eq_u32_e32 20, v5
	s_cbranch_execz .LBB126_511
; %bb.508:
	v_cmp_ne_u32_e32 vcc_lo, 20, v4
	s_xor_b32 s17, s20, -1
	s_and_b32 s56, s17, vcc_lo
	s_and_saveexec_b32 s17, s56
	s_cbranch_execz .LBB126_510
; %bb.509:
	v_ashrrev_i32_e32 v5, 31, v4
	v_lshlrev_b64 v[10:11], 2, v[4:5]
	v_add_co_u32 v10, vcc_lo, v8, v10
	v_add_co_ci_u32_e64 v11, null, v9, v11, vcc_lo
	s_clause 0x1
	global_load_dword v5, v[10:11], off
	global_load_dword v15, v[8:9], off offset:80
	s_waitcnt vmcnt(1)
	global_store_dword v[8:9], v5, off offset:80
	s_waitcnt vmcnt(0)
	global_store_dword v[10:11], v15, off
.LBB126_510:
	s_or_b32 exec_lo, exec_lo, s17
	v_mov_b32_e32 v5, v4
	v_mov_b32_e32 v11, v4
.LBB126_511:
	s_or_b32 exec_lo, exec_lo, s16
.LBB126_512:
	s_andn2_saveexec_b32 s4, s4
	s_cbranch_execz .LBB126_518
; %bb.513:
	s_movk_i32 s16, 0x150
	s_branch .LBB126_515
.LBB126_514:                            ;   in Loop: Header=BB126_515 Depth=1
	s_andn2_b32 vcc_lo, exec_lo, s56
	s_cbranch_vccz .LBB126_517
.LBB126_515:                            ; =>This Inner Loop Header: Depth=1
	v_mov_b32_e32 v4, s16
	s_mov_b32 s17, s16
	s_mov_b32 s56, -1
	s_cmpk_eq_i32 s16, 0x3d0
	s_clause 0xb
	buffer_load_dword v15, v4, s[0:3], 0 offen
	buffer_load_dword v16, v4, s[0:3], 0 offen offset:4
	buffer_load_dword v17, v4, s[0:3], 0 offen offset:8
	;; [unrolled: 1-line block ×11, first 2 shown]
	v_add_nc_u32_e32 v4, s16, v12
	s_waitcnt vmcnt(8)
	ds_write2_b64 v4, v[15:16], v[17:18] offset1:1
	s_waitcnt vmcnt(4)
	ds_write2_b64 v4, v[19:20], v[21:22] offset0:2 offset1:3
	s_waitcnt vmcnt(0)
	ds_write2_b64 v4, v[23:24], v[25:26] offset0:4 offset1:5
	s_cbranch_scc1 .LBB126_514
; %bb.516:                              ;   in Loop: Header=BB126_515 Depth=1
	v_mov_b32_e32 v5, s17
	s_addk_i32 s16, 0x80
	s_mov_b32 s56, 0
	s_clause 0x13
	buffer_load_dword v15, v5, s[0:3], 0 offen offset:48
	buffer_load_dword v16, v5, s[0:3], 0 offen offset:52
	;; [unrolled: 1-line block ×20, first 2 shown]
	s_waitcnt vmcnt(16)
	ds_write2_b64 v4, v[15:16], v[17:18] offset0:6 offset1:7
	s_waitcnt vmcnt(12)
	ds_write2_b64 v4, v[19:20], v[21:22] offset0:8 offset1:9
	;; [unrolled: 2-line block ×5, first 2 shown]
	s_branch .LBB126_514
.LBB126_517:
	v_mov_b32_e32 v5, 20
.LBB126_518:
	s_or_b32 exec_lo, exec_lo, s4
	s_mov_b32 s4, exec_lo
	s_waitcnt lgkmcnt(0)
	s_waitcnt_vscnt null, 0x0
	s_barrier
	buffer_gl0_inv
	v_cmpx_lt_i32_e32 20, v5
	s_cbranch_execz .LBB126_523
; %bb.519:
	s_clause 0x3
	buffer_load_dword v15, off, s[0:3], 0 offset:328
	buffer_load_dword v16, off, s[0:3], 0 offset:332
	;; [unrolled: 1-line block ×4, first 2 shown]
	s_movk_i32 s83, 0x150
	s_waitcnt vmcnt(2)
	v_mul_f64 v[19:20], v[2:3], v[15:16]
	v_mul_f64 v[15:16], v[0:1], v[15:16]
	s_waitcnt vmcnt(0)
	v_fma_f64 v[0:1], v[0:1], v[17:18], -v[19:20]
	v_fma_f64 v[2:3], v[2:3], v[17:18], v[15:16]
	buffer_store_dword v0, off, s[0:3], 0 offset:320
	buffer_store_dword v1, off, s[0:3], 0 offset:324
	;; [unrolled: 1-line block ×4, first 2 shown]
	s_branch .LBB126_521
.LBB126_520:                            ;   in Loop: Header=BB126_521 Depth=1
	s_andn2_b32 vcc_lo, exec_lo, s17
	s_cbranch_vccz .LBB126_523
.LBB126_521:                            ; =>This Inner Loop Header: Depth=1
	v_mov_b32_e32 v10, s83
	v_add_nc_u32_e32 v4, s83, v12
	s_mov_b32 s16, s83
	s_mov_b32 s17, -1
	s_cmpk_eq_i32 s83, 0x3d0
	s_clause 0x3
	buffer_load_dword v23, v10, s[0:3], 0 offen
	buffer_load_dword v24, v10, s[0:3], 0 offen offset:4
	buffer_load_dword v25, v10, s[0:3], 0 offen offset:8
	;; [unrolled: 1-line block ×3, first 2 shown]
	ds_read2_b64 v[15:18], v4 offset1:1
	ds_read2_b64 v[19:22], v4 offset0:2 offset1:3
	s_waitcnt vmcnt(5) lgkmcnt(1)
	v_mul_f64 v[27:28], v[17:18], v[2:3]
	v_mul_f64 v[2:3], v[15:16], v[2:3]
	s_waitcnt vmcnt(4)
	v_fma_f64 v[15:16], v[15:16], v[0:1], -v[27:28]
	v_fma_f64 v[0:1], v[17:18], v[0:1], v[2:3]
	s_clause 0x2
	buffer_load_dword v2, v10, s[0:3], 0 offen offset:20
	buffer_load_dword v17, v10, s[0:3], 0 offen offset:28
	;; [unrolled: 1-line block ×3, first 2 shown]
	s_waitcnt vmcnt(5)
	v_add_f64 v[15:16], v[23:24], -v[15:16]
	s_waitcnt vmcnt(3)
	v_add_f64 v[0:1], v[25:26], -v[0:1]
	buffer_store_dword v16, v10, s[0:3], 0 offen offset:4
	buffer_store_dword v15, v10, s[0:3], 0 offen
	buffer_store_dword v1, v10, s[0:3], 0 offen offset:12
	buffer_store_dword v0, v10, s[0:3], 0 offen offset:8
	s_clause 0x6
	buffer_load_dword v16, v10, s[0:3], 0 offen offset:24
	buffer_load_dword v23, v10, s[0:3], 0 offen offset:36
	buffer_load_dword v25, off, s[0:3], 0 offset:332
	buffer_load_dword v24, off, s[0:3], 0 offset:328
	;; [unrolled: 1-line block ×4, first 2 shown]
	buffer_load_dword v1, v10, s[0:3], 0 offen offset:16
	s_waitcnt vmcnt(3) lgkmcnt(0)
	v_mul_f64 v[28:29], v[21:22], v[24:25]
	v_mul_f64 v[24:25], v[19:20], v[24:25]
	s_waitcnt vmcnt(1)
	v_fma_f64 v[19:20], v[19:20], v[26:27], -v[28:29]
	v_fma_f64 v[21:22], v[21:22], v[26:27], v[24:25]
	s_waitcnt vmcnt(0)
	v_add_f64 v[0:1], v[1:2], -v[19:20]
	v_add_f64 v[2:3], v[16:17], -v[21:22]
	buffer_store_dword v1, v10, s[0:3], 0 offen offset:20
	buffer_store_dword v0, v10, s[0:3], 0 offen offset:16
	;; [unrolled: 1-line block ×4, first 2 shown]
	s_clause 0x5
	buffer_load_dword v19, v10, s[0:3], 0 offen offset:44
	buffer_load_dword v15, off, s[0:3], 0 offset:328
	buffer_load_dword v16, off, s[0:3], 0 offset:332
	;; [unrolled: 1-line block ×4, first 2 shown]
	buffer_load_dword v22, v10, s[0:3], 0 offen offset:32
	ds_read2_b64 v[0:3], v4 offset0:4 offset1:5
	s_waitcnt vmcnt(3) lgkmcnt(0)
	v_mul_f64 v[24:25], v[2:3], v[15:16]
	v_mul_f64 v[15:16], v[0:1], v[15:16]
	s_waitcnt vmcnt(1)
	v_fma_f64 v[0:1], v[0:1], v[20:21], -v[24:25]
	v_fma_f64 v[2:3], v[2:3], v[20:21], v[15:16]
	s_waitcnt vmcnt(0)
	v_add_f64 v[0:1], v[22:23], -v[0:1]
	v_add_f64 v[2:3], v[18:19], -v[2:3]
	buffer_store_dword v1, v10, s[0:3], 0 offen offset:36
	buffer_store_dword v0, v10, s[0:3], 0 offen offset:32
	;; [unrolled: 1-line block ×4, first 2 shown]
                                        ; implicit-def: $vgpr0_vgpr1
                                        ; implicit-def: $vgpr2_vgpr3
	s_cbranch_scc1 .LBB126_520
; %bb.522:                              ;   in Loop: Header=BB126_521 Depth=1
	s_clause 0x3
	buffer_load_dword v15, off, s[0:3], 0 offset:328
	buffer_load_dword v16, off, s[0:3], 0 offset:332
	;; [unrolled: 1-line block ×4, first 2 shown]
	v_mov_b32_e32 v10, s16
	s_add_i32 s83, s83, 64
	s_mov_b32 s17, 0
	s_clause 0x3
	buffer_load_dword v19, v10, s[0:3], 0 offen offset:48
	buffer_load_dword v20, v10, s[0:3], 0 offen offset:52
	;; [unrolled: 1-line block ×4, first 2 shown]
	ds_read2_b64 v[0:3], v4 offset0:6 offset1:7
	s_waitcnt vmcnt(6) lgkmcnt(0)
	v_mul_f64 v[23:24], v[2:3], v[15:16]
	v_mul_f64 v[15:16], v[0:1], v[15:16]
	s_waitcnt vmcnt(4)
	v_fma_f64 v[0:1], v[0:1], v[17:18], -v[23:24]
	v_fma_f64 v[2:3], v[2:3], v[17:18], v[15:16]
	s_waitcnt vmcnt(2)
	v_add_f64 v[0:1], v[19:20], -v[0:1]
	s_waitcnt vmcnt(0)
	v_add_f64 v[2:3], v[21:22], -v[2:3]
	buffer_store_dword v1, v10, s[0:3], 0 offen offset:52
	buffer_store_dword v0, v10, s[0:3], 0 offen offset:48
	;; [unrolled: 1-line block ×4, first 2 shown]
	s_clause 0x3
	buffer_load_dword v1, off, s[0:3], 0 offset:324
	buffer_load_dword v3, off, s[0:3], 0 offset:332
	;; [unrolled: 1-line block ×4, first 2 shown]
	s_branch .LBB126_520
.LBB126_523:
	s_or_b32 exec_lo, exec_lo, s4
	s_waitcnt vmcnt(2)
	v_mov_b32_e32 v3, s63
	s_waitcnt vmcnt(0)
	s_waitcnt_vscnt null, 0x0
	s_barrier
	buffer_gl0_inv
	v_lshl_add_u32 v4, v5, 4, v12
	s_clause 0x3
	buffer_load_dword v0, v3, s[0:3], 0 offen
	buffer_load_dword v1, v3, s[0:3], 0 offen offset:4
	buffer_load_dword v2, v3, s[0:3], 0 offen offset:8
	;; [unrolled: 1-line block ×3, first 2 shown]
	s_cmp_lt_i32 s57, 23
	s_waitcnt vmcnt(0)
	ds_write2_b64 v4, v[0:1], v[2:3] offset1:1
	s_waitcnt lgkmcnt(0)
	s_barrier
	buffer_gl0_inv
	ds_read2_b64 v[0:3], v12 offset0:42 offset1:43
	v_mov_b32_e32 v4, 21
	s_cbranch_scc1 .LBB126_526
; %bb.524:
	v_add3_u32 v10, v14, 0, 0x160
	v_mov_b32_e32 v4, 21
	s_mov_b32 s16, 22
	s_inst_prefetch 0x1
	.p2align	6
.LBB126_525:                            ; =>This Inner Loop Header: Depth=1
	s_waitcnt lgkmcnt(0)
	v_cmp_gt_f64_e32 vcc_lo, 0, v[2:3]
	v_cmp_gt_f64_e64 s4, 0, v[0:1]
	ds_read2_b64 v[15:18], v10 offset1:1
	v_xor_b32_e32 v20, 0x80000000, v1
	v_xor_b32_e32 v22, 0x80000000, v3
	v_mov_b32_e32 v19, v0
	v_mov_b32_e32 v21, v2
	v_add_nc_u32_e32 v10, 16, v10
	s_waitcnt lgkmcnt(0)
	v_xor_b32_e32 v24, 0x80000000, v18
	v_cndmask_b32_e64 v20, v1, v20, s4
	v_cndmask_b32_e32 v22, v3, v22, vcc_lo
	v_cmp_gt_f64_e32 vcc_lo, 0, v[17:18]
	v_cmp_gt_f64_e64 s4, 0, v[15:16]
	v_mov_b32_e32 v23, v17
	v_add_f64 v[19:20], v[19:20], v[21:22]
	v_xor_b32_e32 v22, 0x80000000, v16
	v_mov_b32_e32 v21, v15
	v_cndmask_b32_e32 v24, v18, v24, vcc_lo
	v_cndmask_b32_e64 v22, v16, v22, s4
	v_add_f64 v[21:22], v[21:22], v[23:24]
	v_cmp_lt_f64_e32 vcc_lo, v[19:20], v[21:22]
	v_cndmask_b32_e32 v1, v1, v16, vcc_lo
	v_cndmask_b32_e32 v0, v0, v15, vcc_lo
	v_cndmask_b32_e32 v3, v3, v18, vcc_lo
	v_cndmask_b32_e32 v2, v2, v17, vcc_lo
	v_cndmask_b32_e64 v4, v4, s16, vcc_lo
	s_add_i32 s16, s16, 1
	s_cmp_lg_u32 s57, s16
	s_cbranch_scc1 .LBB126_525
.LBB126_526:
	s_inst_prefetch 0x2
	s_waitcnt lgkmcnt(0)
	v_cmp_eq_f64_e32 vcc_lo, 0, v[0:1]
	v_cmp_eq_f64_e64 s4, 0, v[2:3]
	s_and_b32 s4, vcc_lo, s4
	s_and_saveexec_b32 s16, s4
	s_xor_b32 s4, exec_lo, s16
; %bb.527:
	v_cmp_ne_u32_e32 vcc_lo, 0, v13
	v_cndmask_b32_e32 v13, 22, v13, vcc_lo
; %bb.528:
	s_andn2_saveexec_b32 s4, s4
	s_cbranch_execz .LBB126_534
; %bb.529:
	v_cmp_ngt_f64_e64 s16, |v[0:1]|, |v[2:3]|
	s_and_saveexec_b32 s17, s16
	s_xor_b32 s16, exec_lo, s17
	s_cbranch_execz .LBB126_531
; %bb.530:
	v_div_scale_f64 v[15:16], null, v[2:3], v[2:3], v[0:1]
	v_div_scale_f64 v[21:22], vcc_lo, v[0:1], v[2:3], v[0:1]
	v_rcp_f64_e32 v[17:18], v[15:16]
	v_fma_f64 v[19:20], -v[15:16], v[17:18], 1.0
	v_fma_f64 v[17:18], v[17:18], v[19:20], v[17:18]
	v_fma_f64 v[19:20], -v[15:16], v[17:18], 1.0
	v_fma_f64 v[17:18], v[17:18], v[19:20], v[17:18]
	v_mul_f64 v[19:20], v[21:22], v[17:18]
	v_fma_f64 v[15:16], -v[15:16], v[19:20], v[21:22]
	v_div_fmas_f64 v[15:16], v[15:16], v[17:18], v[19:20]
	v_div_fixup_f64 v[15:16], v[15:16], v[2:3], v[0:1]
	v_fma_f64 v[0:1], v[0:1], v[15:16], v[2:3]
	v_div_scale_f64 v[2:3], null, v[0:1], v[0:1], 1.0
	v_rcp_f64_e32 v[17:18], v[2:3]
	v_fma_f64 v[19:20], -v[2:3], v[17:18], 1.0
	v_fma_f64 v[17:18], v[17:18], v[19:20], v[17:18]
	v_fma_f64 v[19:20], -v[2:3], v[17:18], 1.0
	v_fma_f64 v[17:18], v[17:18], v[19:20], v[17:18]
	v_div_scale_f64 v[19:20], vcc_lo, 1.0, v[0:1], 1.0
	v_mul_f64 v[21:22], v[19:20], v[17:18]
	v_fma_f64 v[2:3], -v[2:3], v[21:22], v[19:20]
	v_div_fmas_f64 v[2:3], v[2:3], v[17:18], v[21:22]
	v_div_fixup_f64 v[2:3], v[2:3], v[0:1], 1.0
	v_mul_f64 v[0:1], v[15:16], v[2:3]
	v_xor_b32_e32 v3, 0x80000000, v3
.LBB126_531:
	s_andn2_saveexec_b32 s16, s16
	s_cbranch_execz .LBB126_533
; %bb.532:
	v_div_scale_f64 v[15:16], null, v[0:1], v[0:1], v[2:3]
	v_div_scale_f64 v[21:22], vcc_lo, v[2:3], v[0:1], v[2:3]
	v_rcp_f64_e32 v[17:18], v[15:16]
	v_fma_f64 v[19:20], -v[15:16], v[17:18], 1.0
	v_fma_f64 v[17:18], v[17:18], v[19:20], v[17:18]
	v_fma_f64 v[19:20], -v[15:16], v[17:18], 1.0
	v_fma_f64 v[17:18], v[17:18], v[19:20], v[17:18]
	v_mul_f64 v[19:20], v[21:22], v[17:18]
	v_fma_f64 v[15:16], -v[15:16], v[19:20], v[21:22]
	v_div_fmas_f64 v[15:16], v[15:16], v[17:18], v[19:20]
	v_div_fixup_f64 v[15:16], v[15:16], v[0:1], v[2:3]
	v_fma_f64 v[0:1], v[2:3], v[15:16], v[0:1]
	v_div_scale_f64 v[2:3], null, v[0:1], v[0:1], 1.0
	v_rcp_f64_e32 v[17:18], v[2:3]
	v_fma_f64 v[19:20], -v[2:3], v[17:18], 1.0
	v_fma_f64 v[17:18], v[17:18], v[19:20], v[17:18]
	v_fma_f64 v[19:20], -v[2:3], v[17:18], 1.0
	v_fma_f64 v[17:18], v[17:18], v[19:20], v[17:18]
	v_div_scale_f64 v[19:20], vcc_lo, 1.0, v[0:1], 1.0
	v_mul_f64 v[21:22], v[19:20], v[17:18]
	v_fma_f64 v[2:3], -v[2:3], v[21:22], v[19:20]
	v_div_fmas_f64 v[2:3], v[2:3], v[17:18], v[21:22]
	v_div_fixup_f64 v[0:1], v[2:3], v[0:1], 1.0
	v_mul_f64 v[2:3], v[15:16], -v[0:1]
.LBB126_533:
	s_or_b32 exec_lo, exec_lo, s16
.LBB126_534:
	s_or_b32 exec_lo, exec_lo, s4
	s_mov_b32 s4, exec_lo
	v_cmpx_ne_u32_e64 v5, v4
	s_xor_b32 s4, exec_lo, s4
	s_cbranch_execz .LBB126_540
; %bb.535:
	s_mov_b32 s16, exec_lo
	v_cmpx_eq_u32_e32 21, v5
	s_cbranch_execz .LBB126_539
; %bb.536:
	v_cmp_ne_u32_e32 vcc_lo, 21, v4
	s_xor_b32 s17, s20, -1
	s_and_b32 s56, s17, vcc_lo
	s_and_saveexec_b32 s17, s56
	s_cbranch_execz .LBB126_538
; %bb.537:
	v_ashrrev_i32_e32 v5, 31, v4
	v_lshlrev_b64 v[10:11], 2, v[4:5]
	v_add_co_u32 v10, vcc_lo, v8, v10
	v_add_co_ci_u32_e64 v11, null, v9, v11, vcc_lo
	s_clause 0x1
	global_load_dword v5, v[10:11], off
	global_load_dword v15, v[8:9], off offset:84
	s_waitcnt vmcnt(1)
	global_store_dword v[8:9], v5, off offset:84
	s_waitcnt vmcnt(0)
	global_store_dword v[10:11], v15, off
.LBB126_538:
	s_or_b32 exec_lo, exec_lo, s17
	v_mov_b32_e32 v5, v4
	v_mov_b32_e32 v11, v4
.LBB126_539:
	s_or_b32 exec_lo, exec_lo, s16
.LBB126_540:
	s_andn2_saveexec_b32 s4, s4
	s_cbranch_execz .LBB126_544
; %bb.541:
	s_movk_i32 s16, 0x160
.LBB126_542:                            ; =>This Inner Loop Header: Depth=1
	v_mov_b32_e32 v10, s16
	s_clause 0x37
	buffer_load_dword v4, v10, s[0:3], 0 offen
	buffer_load_dword v5, v10, s[0:3], 0 offen offset:4
	buffer_load_dword v15, v10, s[0:3], 0 offen offset:8
	;; [unrolled: 1-line block ×55, first 2 shown]
	v_add_nc_u32_e32 v10, s16, v12
	s_addk_i32 s16, 0xe0
	s_waitcnt vmcnt(52)
	ds_write2_b64 v10, v[4:5], v[15:16] offset1:1
	s_waitcnt vmcnt(48)
	ds_write2_b64 v10, v[17:18], v[19:20] offset0:2 offset1:3
	s_waitcnt vmcnt(44)
	ds_write2_b64 v10, v[21:22], v[23:24] offset0:4 offset1:5
	;; [unrolled: 2-line block ×4, first 2 shown]
	ds_write2_b64 v10, v[33:34], v[31:32] offset0:10 offset1:11
	s_waitcnt vmcnt(24)
	ds_write2_b64 v10, v[43:44], v[37:38] offset0:12 offset1:13
	ds_write2_b64 v10, v[41:42], v[39:40] offset0:14 offset1:15
	s_waitcnt vmcnt(20)
	ds_write2_b64 v10, v[45:46], v[47:48] offset0:16 offset1:17
	s_waitcnt vmcnt(16)
	;; [unrolled: 2-line block ×6, first 2 shown]
	ds_write2_b64 v10, v[65:66], v[67:68] offset0:26 offset1:27
	s_cmpk_eq_i32 s16, 0x400
	s_cbranch_scc0 .LBB126_542
; %bb.543:
	v_mov_b32_e32 v5, 21
.LBB126_544:
	s_or_b32 exec_lo, exec_lo, s4
	s_mov_b32 s4, exec_lo
	s_waitcnt lgkmcnt(0)
	s_waitcnt_vscnt null, 0x0
	s_barrier
	buffer_gl0_inv
	v_cmpx_lt_i32_e32 21, v5
	s_cbranch_execz .LBB126_547
; %bb.545:
	s_clause 0x3
	buffer_load_dword v15, off, s[0:3], 0 offset:344
	buffer_load_dword v16, off, s[0:3], 0 offset:348
	;; [unrolled: 1-line block ×4, first 2 shown]
	s_movk_i32 s83, 0x160
	s_waitcnt vmcnt(2)
	v_mul_f64 v[19:20], v[2:3], v[15:16]
	v_mul_f64 v[15:16], v[0:1], v[15:16]
	s_waitcnt vmcnt(0)
	v_fma_f64 v[0:1], v[0:1], v[17:18], -v[19:20]
	v_fma_f64 v[2:3], v[2:3], v[17:18], v[15:16]
	buffer_store_dword v0, off, s[0:3], 0 offset:336
	buffer_store_dword v1, off, s[0:3], 0 offset:340
	buffer_store_dword v2, off, s[0:3], 0 offset:344
	buffer_store_dword v3, off, s[0:3], 0 offset:348
.LBB126_546:                            ; =>This Inner Loop Header: Depth=1
	s_clause 0x3
	buffer_load_dword v19, off, s[0:3], 0 offset:344
	buffer_load_dword v20, off, s[0:3], 0 offset:348
	;; [unrolled: 1-line block ×4, first 2 shown]
	v_mov_b32_e32 v4, s83
	v_add_nc_u32_e32 v10, s83, v12
	s_addk_i32 s83, 0x70
	s_clause 0x3
	buffer_load_dword v23, v4, s[0:3], 0 offen
	buffer_load_dword v24, v4, s[0:3], 0 offen offset:4
	buffer_load_dword v25, v4, s[0:3], 0 offen offset:8
	;; [unrolled: 1-line block ×3, first 2 shown]
	ds_read2_b64 v[0:3], v10 offset1:1
	s_clause 0x3
	buffer_load_dword v27, v4, s[0:3], 0 offen offset:16
	buffer_load_dword v28, v4, s[0:3], 0 offen offset:20
	;; [unrolled: 1-line block ×4, first 2 shown]
	ds_read2_b64 v[15:18], v10 offset0:2 offset1:3
	s_cmpk_lg_i32 s83, 0x400
	s_waitcnt vmcnt(10) lgkmcnt(1)
	v_mul_f64 v[31:32], v[2:3], v[19:20]
	v_mul_f64 v[19:20], v[0:1], v[19:20]
	s_waitcnt vmcnt(8)
	v_fma_f64 v[0:1], v[0:1], v[21:22], -v[31:32]
	v_fma_f64 v[2:3], v[2:3], v[21:22], v[19:20]
	s_waitcnt vmcnt(6)
	v_add_f64 v[0:1], v[23:24], -v[0:1]
	s_waitcnt vmcnt(4)
	v_add_f64 v[2:3], v[25:26], -v[2:3]
	buffer_store_dword v1, v4, s[0:3], 0 offen offset:4
	buffer_store_dword v0, v4, s[0:3], 0 offen
	buffer_store_dword v3, v4, s[0:3], 0 offen offset:12
	buffer_store_dword v2, v4, s[0:3], 0 offen offset:8
	s_clause 0x7
	buffer_load_dword v1, off, s[0:3], 0 offset:348
	buffer_load_dword v0, off, s[0:3], 0 offset:344
	;; [unrolled: 1-line block ×4, first 2 shown]
	buffer_load_dword v19, v4, s[0:3], 0 offen offset:32
	buffer_load_dword v20, v4, s[0:3], 0 offen offset:36
	;; [unrolled: 1-line block ×4, first 2 shown]
	s_waitcnt vmcnt(6) lgkmcnt(0)
	v_mul_f64 v[23:24], v[17:18], v[0:1]
	v_mul_f64 v[0:1], v[15:16], v[0:1]
	s_waitcnt vmcnt(4)
	v_fma_f64 v[15:16], v[15:16], v[2:3], -v[23:24]
	v_fma_f64 v[0:1], v[17:18], v[2:3], v[0:1]
	v_add_f64 v[2:3], v[27:28], -v[15:16]
	v_add_f64 v[0:1], v[29:30], -v[0:1]
	buffer_store_dword v3, v4, s[0:3], 0 offen offset:20
	buffer_store_dword v2, v4, s[0:3], 0 offen offset:16
	;; [unrolled: 1-line block ×4, first 2 shown]
	s_clause 0x3
	buffer_load_dword v23, off, s[0:3], 0 offset:344
	buffer_load_dword v24, off, s[0:3], 0 offset:348
	;; [unrolled: 1-line block ×4, first 2 shown]
	ds_read2_b64 v[0:3], v10 offset0:4 offset1:5
	ds_read2_b64 v[15:18], v10 offset0:6 offset1:7
	s_waitcnt vmcnt(2) lgkmcnt(1)
	v_mul_f64 v[27:28], v[2:3], v[23:24]
	v_mul_f64 v[23:24], v[0:1], v[23:24]
	s_waitcnt vmcnt(0)
	v_fma_f64 v[0:1], v[0:1], v[25:26], -v[27:28]
	v_fma_f64 v[2:3], v[2:3], v[25:26], v[23:24]
	v_add_f64 v[0:1], v[19:20], -v[0:1]
	v_add_f64 v[2:3], v[21:22], -v[2:3]
	buffer_store_dword v1, v4, s[0:3], 0 offen offset:36
	buffer_store_dword v0, v4, s[0:3], 0 offen offset:32
	;; [unrolled: 1-line block ×4, first 2 shown]
	s_clause 0x7
	buffer_load_dword v0, off, s[0:3], 0 offset:344
	buffer_load_dword v1, off, s[0:3], 0 offset:348
	;; [unrolled: 1-line block ×4, first 2 shown]
	buffer_load_dword v19, v4, s[0:3], 0 offen offset:48
	buffer_load_dword v20, v4, s[0:3], 0 offen offset:52
	;; [unrolled: 1-line block ×4, first 2 shown]
	s_waitcnt vmcnt(6) lgkmcnt(0)
	v_mul_f64 v[23:24], v[17:18], v[0:1]
	v_mul_f64 v[0:1], v[15:16], v[0:1]
	s_waitcnt vmcnt(4)
	v_fma_f64 v[15:16], v[15:16], v[2:3], -v[23:24]
	v_fma_f64 v[0:1], v[17:18], v[2:3], v[0:1]
	s_waitcnt vmcnt(2)
	v_add_f64 v[2:3], v[19:20], -v[15:16]
	s_waitcnt vmcnt(0)
	v_add_f64 v[0:1], v[21:22], -v[0:1]
	buffer_store_dword v3, v4, s[0:3], 0 offen offset:52
	buffer_store_dword v2, v4, s[0:3], 0 offen offset:48
	;; [unrolled: 1-line block ×4, first 2 shown]
	s_clause 0x7
	buffer_load_dword v19, off, s[0:3], 0 offset:344
	buffer_load_dword v20, off, s[0:3], 0 offset:348
	;; [unrolled: 1-line block ×4, first 2 shown]
	buffer_load_dword v23, v4, s[0:3], 0 offen offset:64
	buffer_load_dword v24, v4, s[0:3], 0 offen offset:68
	;; [unrolled: 1-line block ×4, first 2 shown]
	ds_read2_b64 v[0:3], v10 offset0:8 offset1:9
	ds_read2_b64 v[15:18], v10 offset0:10 offset1:11
	s_waitcnt vmcnt(6) lgkmcnt(1)
	v_mul_f64 v[27:28], v[2:3], v[19:20]
	v_mul_f64 v[19:20], v[0:1], v[19:20]
	s_waitcnt vmcnt(4)
	v_fma_f64 v[0:1], v[0:1], v[21:22], -v[27:28]
	v_fma_f64 v[2:3], v[2:3], v[21:22], v[19:20]
	s_waitcnt vmcnt(2)
	v_add_f64 v[0:1], v[23:24], -v[0:1]
	s_waitcnt vmcnt(0)
	v_add_f64 v[2:3], v[25:26], -v[2:3]
	buffer_store_dword v1, v4, s[0:3], 0 offen offset:68
	buffer_store_dword v0, v4, s[0:3], 0 offen offset:64
	;; [unrolled: 1-line block ×4, first 2 shown]
	s_clause 0x7
	buffer_load_dword v0, off, s[0:3], 0 offset:344
	buffer_load_dword v1, off, s[0:3], 0 offset:348
	;; [unrolled: 1-line block ×4, first 2 shown]
	buffer_load_dword v19, v4, s[0:3], 0 offen offset:80
	buffer_load_dword v20, v4, s[0:3], 0 offen offset:84
	;; [unrolled: 1-line block ×4, first 2 shown]
	s_waitcnt vmcnt(6) lgkmcnt(0)
	v_mul_f64 v[23:24], v[17:18], v[0:1]
	v_mul_f64 v[0:1], v[15:16], v[0:1]
	s_waitcnt vmcnt(4)
	v_fma_f64 v[15:16], v[15:16], v[2:3], -v[23:24]
	v_fma_f64 v[0:1], v[17:18], v[2:3], v[0:1]
	s_waitcnt vmcnt(2)
	v_add_f64 v[2:3], v[19:20], -v[15:16]
	s_waitcnt vmcnt(0)
	v_add_f64 v[0:1], v[21:22], -v[0:1]
	buffer_store_dword v3, v4, s[0:3], 0 offen offset:84
	buffer_store_dword v2, v4, s[0:3], 0 offen offset:80
	;; [unrolled: 1-line block ×4, first 2 shown]
	s_clause 0x7
	buffer_load_dword v15, off, s[0:3], 0 offset:344
	buffer_load_dword v16, off, s[0:3], 0 offset:348
	;; [unrolled: 1-line block ×4, first 2 shown]
	buffer_load_dword v19, v4, s[0:3], 0 offen offset:96
	buffer_load_dword v20, v4, s[0:3], 0 offen offset:100
	;; [unrolled: 1-line block ×4, first 2 shown]
	ds_read2_b64 v[0:3], v10 offset0:12 offset1:13
	s_waitcnt vmcnt(6) lgkmcnt(0)
	v_mul_f64 v[23:24], v[2:3], v[15:16]
	v_mul_f64 v[15:16], v[0:1], v[15:16]
	s_waitcnt vmcnt(4)
	v_fma_f64 v[0:1], v[0:1], v[17:18], -v[23:24]
	v_fma_f64 v[2:3], v[2:3], v[17:18], v[15:16]
	s_waitcnt vmcnt(2)
	v_add_f64 v[0:1], v[19:20], -v[0:1]
	s_waitcnt vmcnt(0)
	v_add_f64 v[2:3], v[21:22], -v[2:3]
	buffer_store_dword v1, v4, s[0:3], 0 offen offset:100
	buffer_store_dword v0, v4, s[0:3], 0 offen offset:96
	;; [unrolled: 1-line block ×4, first 2 shown]
	s_cbranch_scc1 .LBB126_546
.LBB126_547:
	s_or_b32 exec_lo, exec_lo, s4
	v_mov_b32_e32 v3, s62
	s_waitcnt_vscnt null, 0x0
	s_barrier
	buffer_gl0_inv
	v_lshl_add_u32 v4, v5, 4, v12
	s_clause 0x3
	buffer_load_dword v0, v3, s[0:3], 0 offen
	buffer_load_dword v1, v3, s[0:3], 0 offen offset:4
	buffer_load_dword v2, v3, s[0:3], 0 offen offset:8
	;; [unrolled: 1-line block ×3, first 2 shown]
	s_cmp_lt_i32 s57, 24
	s_waitcnt vmcnt(0)
	ds_write2_b64 v4, v[0:1], v[2:3] offset1:1
	s_waitcnt lgkmcnt(0)
	s_barrier
	buffer_gl0_inv
	ds_read2_b64 v[0:3], v12 offset0:44 offset1:45
	v_mov_b32_e32 v4, 22
	s_cbranch_scc1 .LBB126_550
; %bb.548:
	v_add3_u32 v10, v14, 0, 0x170
	v_mov_b32_e32 v4, 22
	s_mov_b32 s16, 23
	s_inst_prefetch 0x1
	.p2align	6
.LBB126_549:                            ; =>This Inner Loop Header: Depth=1
	s_waitcnt lgkmcnt(0)
	v_cmp_gt_f64_e32 vcc_lo, 0, v[2:3]
	v_cmp_gt_f64_e64 s4, 0, v[0:1]
	ds_read2_b64 v[15:18], v10 offset1:1
	v_xor_b32_e32 v20, 0x80000000, v1
	v_xor_b32_e32 v22, 0x80000000, v3
	v_mov_b32_e32 v19, v0
	v_mov_b32_e32 v21, v2
	v_add_nc_u32_e32 v10, 16, v10
	s_waitcnt lgkmcnt(0)
	v_xor_b32_e32 v24, 0x80000000, v18
	v_cndmask_b32_e64 v20, v1, v20, s4
	v_cndmask_b32_e32 v22, v3, v22, vcc_lo
	v_cmp_gt_f64_e32 vcc_lo, 0, v[17:18]
	v_cmp_gt_f64_e64 s4, 0, v[15:16]
	v_mov_b32_e32 v23, v17
	v_add_f64 v[19:20], v[19:20], v[21:22]
	v_xor_b32_e32 v22, 0x80000000, v16
	v_mov_b32_e32 v21, v15
	v_cndmask_b32_e32 v24, v18, v24, vcc_lo
	v_cndmask_b32_e64 v22, v16, v22, s4
	v_add_f64 v[21:22], v[21:22], v[23:24]
	v_cmp_lt_f64_e32 vcc_lo, v[19:20], v[21:22]
	v_cndmask_b32_e32 v1, v1, v16, vcc_lo
	v_cndmask_b32_e32 v0, v0, v15, vcc_lo
	;; [unrolled: 1-line block ×4, first 2 shown]
	v_cndmask_b32_e64 v4, v4, s16, vcc_lo
	s_add_i32 s16, s16, 1
	s_cmp_lg_u32 s57, s16
	s_cbranch_scc1 .LBB126_549
.LBB126_550:
	s_inst_prefetch 0x2
	s_waitcnt lgkmcnt(0)
	v_cmp_eq_f64_e32 vcc_lo, 0, v[0:1]
	v_cmp_eq_f64_e64 s4, 0, v[2:3]
	s_and_b32 s4, vcc_lo, s4
	s_and_saveexec_b32 s16, s4
	s_xor_b32 s4, exec_lo, s16
; %bb.551:
	v_cmp_ne_u32_e32 vcc_lo, 0, v13
	v_cndmask_b32_e32 v13, 23, v13, vcc_lo
; %bb.552:
	s_andn2_saveexec_b32 s4, s4
	s_cbranch_execz .LBB126_558
; %bb.553:
	v_cmp_ngt_f64_e64 s16, |v[0:1]|, |v[2:3]|
	s_and_saveexec_b32 s17, s16
	s_xor_b32 s16, exec_lo, s17
	s_cbranch_execz .LBB126_555
; %bb.554:
	v_div_scale_f64 v[15:16], null, v[2:3], v[2:3], v[0:1]
	v_div_scale_f64 v[21:22], vcc_lo, v[0:1], v[2:3], v[0:1]
	v_rcp_f64_e32 v[17:18], v[15:16]
	v_fma_f64 v[19:20], -v[15:16], v[17:18], 1.0
	v_fma_f64 v[17:18], v[17:18], v[19:20], v[17:18]
	v_fma_f64 v[19:20], -v[15:16], v[17:18], 1.0
	v_fma_f64 v[17:18], v[17:18], v[19:20], v[17:18]
	v_mul_f64 v[19:20], v[21:22], v[17:18]
	v_fma_f64 v[15:16], -v[15:16], v[19:20], v[21:22]
	v_div_fmas_f64 v[15:16], v[15:16], v[17:18], v[19:20]
	v_div_fixup_f64 v[15:16], v[15:16], v[2:3], v[0:1]
	v_fma_f64 v[0:1], v[0:1], v[15:16], v[2:3]
	v_div_scale_f64 v[2:3], null, v[0:1], v[0:1], 1.0
	v_rcp_f64_e32 v[17:18], v[2:3]
	v_fma_f64 v[19:20], -v[2:3], v[17:18], 1.0
	v_fma_f64 v[17:18], v[17:18], v[19:20], v[17:18]
	v_fma_f64 v[19:20], -v[2:3], v[17:18], 1.0
	v_fma_f64 v[17:18], v[17:18], v[19:20], v[17:18]
	v_div_scale_f64 v[19:20], vcc_lo, 1.0, v[0:1], 1.0
	v_mul_f64 v[21:22], v[19:20], v[17:18]
	v_fma_f64 v[2:3], -v[2:3], v[21:22], v[19:20]
	v_div_fmas_f64 v[2:3], v[2:3], v[17:18], v[21:22]
	v_div_fixup_f64 v[2:3], v[2:3], v[0:1], 1.0
	v_mul_f64 v[0:1], v[15:16], v[2:3]
	v_xor_b32_e32 v3, 0x80000000, v3
.LBB126_555:
	s_andn2_saveexec_b32 s16, s16
	s_cbranch_execz .LBB126_557
; %bb.556:
	v_div_scale_f64 v[15:16], null, v[0:1], v[0:1], v[2:3]
	v_div_scale_f64 v[21:22], vcc_lo, v[2:3], v[0:1], v[2:3]
	v_rcp_f64_e32 v[17:18], v[15:16]
	v_fma_f64 v[19:20], -v[15:16], v[17:18], 1.0
	v_fma_f64 v[17:18], v[17:18], v[19:20], v[17:18]
	v_fma_f64 v[19:20], -v[15:16], v[17:18], 1.0
	v_fma_f64 v[17:18], v[17:18], v[19:20], v[17:18]
	v_mul_f64 v[19:20], v[21:22], v[17:18]
	v_fma_f64 v[15:16], -v[15:16], v[19:20], v[21:22]
	v_div_fmas_f64 v[15:16], v[15:16], v[17:18], v[19:20]
	v_div_fixup_f64 v[15:16], v[15:16], v[0:1], v[2:3]
	v_fma_f64 v[0:1], v[2:3], v[15:16], v[0:1]
	v_div_scale_f64 v[2:3], null, v[0:1], v[0:1], 1.0
	v_rcp_f64_e32 v[17:18], v[2:3]
	v_fma_f64 v[19:20], -v[2:3], v[17:18], 1.0
	v_fma_f64 v[17:18], v[17:18], v[19:20], v[17:18]
	v_fma_f64 v[19:20], -v[2:3], v[17:18], 1.0
	v_fma_f64 v[17:18], v[17:18], v[19:20], v[17:18]
	v_div_scale_f64 v[19:20], vcc_lo, 1.0, v[0:1], 1.0
	v_mul_f64 v[21:22], v[19:20], v[17:18]
	v_fma_f64 v[2:3], -v[2:3], v[21:22], v[19:20]
	v_div_fmas_f64 v[2:3], v[2:3], v[17:18], v[21:22]
	v_div_fixup_f64 v[0:1], v[2:3], v[0:1], 1.0
	v_mul_f64 v[2:3], v[15:16], -v[0:1]
.LBB126_557:
	s_or_b32 exec_lo, exec_lo, s16
.LBB126_558:
	s_or_b32 exec_lo, exec_lo, s4
	s_mov_b32 s4, exec_lo
	v_cmpx_ne_u32_e64 v5, v4
	s_xor_b32 s4, exec_lo, s4
	s_cbranch_execz .LBB126_564
; %bb.559:
	s_mov_b32 s16, exec_lo
	v_cmpx_eq_u32_e32 22, v5
	s_cbranch_execz .LBB126_563
; %bb.560:
	v_cmp_ne_u32_e32 vcc_lo, 22, v4
	s_xor_b32 s17, s20, -1
	s_and_b32 s56, s17, vcc_lo
	s_and_saveexec_b32 s17, s56
	s_cbranch_execz .LBB126_562
; %bb.561:
	v_ashrrev_i32_e32 v5, 31, v4
	v_lshlrev_b64 v[10:11], 2, v[4:5]
	v_add_co_u32 v10, vcc_lo, v8, v10
	v_add_co_ci_u32_e64 v11, null, v9, v11, vcc_lo
	s_clause 0x1
	global_load_dword v5, v[10:11], off
	global_load_dword v15, v[8:9], off offset:88
	s_waitcnt vmcnt(1)
	global_store_dword v[8:9], v5, off offset:88
	s_waitcnt vmcnt(0)
	global_store_dword v[10:11], v15, off
.LBB126_562:
	s_or_b32 exec_lo, exec_lo, s17
	v_mov_b32_e32 v5, v4
	v_mov_b32_e32 v11, v4
.LBB126_563:
	s_or_b32 exec_lo, exec_lo, s16
.LBB126_564:
	s_andn2_saveexec_b32 s4, s4
	s_cbranch_execz .LBB126_570
; %bb.565:
	s_movk_i32 s16, 0x170
	s_branch .LBB126_567
.LBB126_566:                            ;   in Loop: Header=BB126_567 Depth=1
	s_andn2_b32 vcc_lo, exec_lo, s56
	s_cbranch_vccz .LBB126_569
.LBB126_567:                            ; =>This Inner Loop Header: Depth=1
	v_mov_b32_e32 v4, s16
	s_mov_b32 s17, s16
	s_cmpk_eq_i32 s16, 0x3f0
	s_mov_b32 s56, -1
	s_clause 0x3
	buffer_load_dword v15, v4, s[0:3], 0 offen
	buffer_load_dword v16, v4, s[0:3], 0 offen offset:4
	buffer_load_dword v17, v4, s[0:3], 0 offen offset:8
	buffer_load_dword v18, v4, s[0:3], 0 offen offset:12
	v_add_nc_u32_e32 v4, s16, v12
	s_waitcnt vmcnt(0)
	ds_write2_b64 v4, v[15:16], v[17:18] offset1:1
	s_cbranch_scc1 .LBB126_566
; %bb.568:                              ;   in Loop: Header=BB126_567 Depth=1
	v_mov_b32_e32 v5, s17
	s_addk_i32 s16, 0x80
	s_mov_b32 s56, 0
	s_clause 0x1b
	buffer_load_dword v15, v5, s[0:3], 0 offen offset:16
	buffer_load_dword v16, v5, s[0:3], 0 offen offset:20
	buffer_load_dword v17, v5, s[0:3], 0 offen offset:24
	buffer_load_dword v18, v5, s[0:3], 0 offen offset:28
	buffer_load_dword v19, v5, s[0:3], 0 offen offset:32
	buffer_load_dword v20, v5, s[0:3], 0 offen offset:36
	buffer_load_dword v21, v5, s[0:3], 0 offen offset:40
	buffer_load_dword v22, v5, s[0:3], 0 offen offset:44
	buffer_load_dword v23, v5, s[0:3], 0 offen offset:48
	buffer_load_dword v24, v5, s[0:3], 0 offen offset:52
	buffer_load_dword v25, v5, s[0:3], 0 offen offset:56
	buffer_load_dword v26, v5, s[0:3], 0 offen offset:60
	buffer_load_dword v27, v5, s[0:3], 0 offen offset:64
	buffer_load_dword v28, v5, s[0:3], 0 offen offset:68
	buffer_load_dword v29, v5, s[0:3], 0 offen offset:72
	buffer_load_dword v30, v5, s[0:3], 0 offen offset:76
	buffer_load_dword v32, v5, s[0:3], 0 offen offset:92
	buffer_load_dword v34, v5, s[0:3], 0 offen offset:108
	buffer_load_dword v33, v5, s[0:3], 0 offen offset:104
	buffer_load_dword v36, v5, s[0:3], 0 offen offset:100
	buffer_load_dword v35, v5, s[0:3], 0 offen offset:96
	buffer_load_dword v31, v5, s[0:3], 0 offen offset:88
	buffer_load_dword v38, v5, s[0:3], 0 offen offset:84
	buffer_load_dword v37, v5, s[0:3], 0 offen offset:80
	buffer_load_dword v40, v5, s[0:3], 0 offen offset:124
	buffer_load_dword v39, v5, s[0:3], 0 offen offset:120
	buffer_load_dword v42, v5, s[0:3], 0 offen offset:116
	buffer_load_dword v41, v5, s[0:3], 0 offen offset:112
	s_waitcnt vmcnt(24)
	ds_write2_b64 v4, v[15:16], v[17:18] offset0:2 offset1:3
	s_waitcnt vmcnt(20)
	ds_write2_b64 v4, v[19:20], v[21:22] offset0:4 offset1:5
	;; [unrolled: 2-line block ×5, first 2 shown]
	ds_write2_b64 v4, v[35:36], v[33:34] offset0:12 offset1:13
	s_waitcnt vmcnt(0)
	ds_write2_b64 v4, v[41:42], v[39:40] offset0:14 offset1:15
	s_branch .LBB126_566
.LBB126_569:
	v_mov_b32_e32 v5, 22
.LBB126_570:
	s_or_b32 exec_lo, exec_lo, s4
	s_mov_b32 s4, exec_lo
	s_waitcnt lgkmcnt(0)
	s_waitcnt_vscnt null, 0x0
	s_barrier
	buffer_gl0_inv
	v_cmpx_lt_i32_e32 22, v5
	s_cbranch_execz .LBB126_575
; %bb.571:
	s_clause 0x3
	buffer_load_dword v15, off, s[0:3], 0 offset:360
	buffer_load_dword v16, off, s[0:3], 0 offset:364
	;; [unrolled: 1-line block ×4, first 2 shown]
	s_movk_i32 s83, 0x170
	s_waitcnt vmcnt(2)
	v_mul_f64 v[19:20], v[2:3], v[15:16]
	v_mul_f64 v[15:16], v[0:1], v[15:16]
	s_waitcnt vmcnt(0)
	v_fma_f64 v[0:1], v[0:1], v[17:18], -v[19:20]
	v_fma_f64 v[2:3], v[2:3], v[17:18], v[15:16]
	buffer_store_dword v0, off, s[0:3], 0 offset:352
	buffer_store_dword v1, off, s[0:3], 0 offset:356
	;; [unrolled: 1-line block ×4, first 2 shown]
	s_branch .LBB126_573
.LBB126_572:                            ;   in Loop: Header=BB126_573 Depth=1
	s_andn2_b32 vcc_lo, exec_lo, s17
	s_cbranch_vccz .LBB126_575
.LBB126_573:                            ; =>This Inner Loop Header: Depth=1
	v_mov_b32_e32 v10, s83
	v_add_nc_u32_e32 v4, s83, v12
	s_mov_b32 s16, s83
	s_mov_b32 s17, -1
	s_cmpk_eq_i32 s83, 0x3f0
	s_clause 0x3
	buffer_load_dword v19, v10, s[0:3], 0 offen
	buffer_load_dword v20, v10, s[0:3], 0 offen offset:4
	buffer_load_dword v21, v10, s[0:3], 0 offen offset:8
	;; [unrolled: 1-line block ×3, first 2 shown]
	ds_read2_b64 v[15:18], v4 offset1:1
	s_waitcnt vmcnt(4) lgkmcnt(0)
	v_mul_f64 v[23:24], v[17:18], v[2:3]
	v_mul_f64 v[2:3], v[15:16], v[2:3]
	v_fma_f64 v[15:16], v[15:16], v[0:1], -v[23:24]
	v_fma_f64 v[0:1], v[17:18], v[0:1], v[2:3]
	s_waitcnt vmcnt(2)
	v_add_f64 v[2:3], v[19:20], -v[15:16]
	s_waitcnt vmcnt(0)
	v_add_f64 v[0:1], v[21:22], -v[0:1]
	buffer_store_dword v2, v10, s[0:3], 0 offen
	buffer_store_dword v3, v10, s[0:3], 0 offen offset:4
	buffer_store_dword v0, v10, s[0:3], 0 offen offset:8
	;; [unrolled: 1-line block ×3, first 2 shown]
                                        ; implicit-def: $vgpr0_vgpr1
                                        ; implicit-def: $vgpr2_vgpr3
	s_cbranch_scc1 .LBB126_572
; %bb.574:                              ;   in Loop: Header=BB126_573 Depth=1
	s_clause 0x3
	buffer_load_dword v19, off, s[0:3], 0 offset:360
	buffer_load_dword v20, off, s[0:3], 0 offset:364
	;; [unrolled: 1-line block ×4, first 2 shown]
	v_mov_b32_e32 v10, s16
	s_add_i32 s83, s83, 64
	s_mov_b32 s17, 0
	s_clause 0x3
	buffer_load_dword v23, v10, s[0:3], 0 offen offset:16
	buffer_load_dword v24, v10, s[0:3], 0 offen offset:20
	;; [unrolled: 1-line block ×4, first 2 shown]
	ds_read2_b64 v[0:3], v4 offset0:2 offset1:3
	ds_read2_b64 v[15:18], v4 offset0:4 offset1:5
	s_waitcnt vmcnt(6) lgkmcnt(1)
	v_mul_f64 v[27:28], v[2:3], v[19:20]
	v_mul_f64 v[19:20], v[0:1], v[19:20]
	s_waitcnt vmcnt(4)
	v_fma_f64 v[0:1], v[0:1], v[21:22], -v[27:28]
	v_fma_f64 v[2:3], v[2:3], v[21:22], v[19:20]
	s_waitcnt vmcnt(2)
	v_add_f64 v[0:1], v[23:24], -v[0:1]
	s_waitcnt vmcnt(0)
	v_add_f64 v[2:3], v[25:26], -v[2:3]
	buffer_store_dword v1, v10, s[0:3], 0 offen offset:20
	buffer_store_dword v0, v10, s[0:3], 0 offen offset:16
	;; [unrolled: 1-line block ×4, first 2 shown]
	s_clause 0x7
	buffer_load_dword v1, v10, s[0:3], 0 offen offset:36
	buffer_load_dword v2, v10, s[0:3], 0 offen offset:40
	;; [unrolled: 1-line block ×3, first 2 shown]
	buffer_load_dword v20, off, s[0:3], 0 offset:364
	buffer_load_dword v19, off, s[0:3], 0 offset:360
	;; [unrolled: 1-line block ×4, first 2 shown]
	buffer_load_dword v0, v10, s[0:3], 0 offen offset:32
	s_waitcnt vmcnt(3) lgkmcnt(0)
	v_mul_f64 v[23:24], v[17:18], v[19:20]
	v_mul_f64 v[19:20], v[15:16], v[19:20]
	s_waitcnt vmcnt(1)
	v_fma_f64 v[15:16], v[15:16], v[21:22], -v[23:24]
	v_fma_f64 v[17:18], v[17:18], v[21:22], v[19:20]
	s_waitcnt vmcnt(0)
	v_add_f64 v[0:1], v[0:1], -v[15:16]
	v_add_f64 v[2:3], v[2:3], -v[17:18]
	buffer_store_dword v1, v10, s[0:3], 0 offen offset:36
	buffer_store_dword v0, v10, s[0:3], 0 offen offset:32
	;; [unrolled: 1-line block ×4, first 2 shown]
	s_clause 0x7
	buffer_load_dword v16, v10, s[0:3], 0 offen offset:52
	buffer_load_dword v17, v10, s[0:3], 0 offen offset:56
	;; [unrolled: 1-line block ×3, first 2 shown]
	buffer_load_dword v19, off, s[0:3], 0 offset:360
	buffer_load_dword v20, off, s[0:3], 0 offset:364
	;; [unrolled: 1-line block ×4, first 2 shown]
	buffer_load_dword v15, v10, s[0:3], 0 offen offset:48
	ds_read2_b64 v[0:3], v4 offset0:6 offset1:7
	s_waitcnt vmcnt(3) lgkmcnt(0)
	v_mul_f64 v[23:24], v[2:3], v[19:20]
	v_mul_f64 v[19:20], v[0:1], v[19:20]
	s_waitcnt vmcnt(1)
	v_fma_f64 v[0:1], v[0:1], v[21:22], -v[23:24]
	v_fma_f64 v[2:3], v[2:3], v[21:22], v[19:20]
	s_waitcnt vmcnt(0)
	v_add_f64 v[0:1], v[15:16], -v[0:1]
	v_add_f64 v[2:3], v[17:18], -v[2:3]
	buffer_store_dword v1, v10, s[0:3], 0 offen offset:52
	buffer_store_dword v0, v10, s[0:3], 0 offen offset:48
	buffer_store_dword v3, v10, s[0:3], 0 offen offset:60
	buffer_store_dword v2, v10, s[0:3], 0 offen offset:56
	s_clause 0x3
	buffer_load_dword v0, off, s[0:3], 0 offset:352
	buffer_load_dword v1, off, s[0:3], 0 offset:356
	;; [unrolled: 1-line block ×4, first 2 shown]
	s_branch .LBB126_572
.LBB126_575:
	s_or_b32 exec_lo, exec_lo, s4
	s_waitcnt vmcnt(0)
	v_mov_b32_e32 v3, s61
	s_waitcnt_vscnt null, 0x0
	s_barrier
	buffer_gl0_inv
	v_lshl_add_u32 v4, v5, 4, v12
	s_clause 0x3
	buffer_load_dword v0, v3, s[0:3], 0 offen
	buffer_load_dword v1, v3, s[0:3], 0 offen offset:4
	buffer_load_dword v2, v3, s[0:3], 0 offen offset:8
	;; [unrolled: 1-line block ×3, first 2 shown]
	s_cmp_lt_i32 s57, 25
	s_waitcnt vmcnt(0)
	ds_write2_b64 v4, v[0:1], v[2:3] offset1:1
	s_waitcnt lgkmcnt(0)
	s_barrier
	buffer_gl0_inv
	ds_read2_b64 v[0:3], v12 offset0:46 offset1:47
	v_mov_b32_e32 v4, 23
	s_cbranch_scc1 .LBB126_578
; %bb.576:
	v_add3_u32 v10, v14, 0, 0x180
	v_mov_b32_e32 v4, 23
	s_mov_b32 s16, 24
	s_inst_prefetch 0x1
	.p2align	6
.LBB126_577:                            ; =>This Inner Loop Header: Depth=1
	s_waitcnt lgkmcnt(0)
	v_cmp_gt_f64_e32 vcc_lo, 0, v[2:3]
	v_cmp_gt_f64_e64 s4, 0, v[0:1]
	ds_read2_b64 v[15:18], v10 offset1:1
	v_xor_b32_e32 v20, 0x80000000, v1
	v_xor_b32_e32 v22, 0x80000000, v3
	v_mov_b32_e32 v19, v0
	v_mov_b32_e32 v21, v2
	v_add_nc_u32_e32 v10, 16, v10
	s_waitcnt lgkmcnt(0)
	v_xor_b32_e32 v24, 0x80000000, v18
	v_cndmask_b32_e64 v20, v1, v20, s4
	v_cndmask_b32_e32 v22, v3, v22, vcc_lo
	v_cmp_gt_f64_e32 vcc_lo, 0, v[17:18]
	v_cmp_gt_f64_e64 s4, 0, v[15:16]
	v_mov_b32_e32 v23, v17
	v_add_f64 v[19:20], v[19:20], v[21:22]
	v_xor_b32_e32 v22, 0x80000000, v16
	v_mov_b32_e32 v21, v15
	v_cndmask_b32_e32 v24, v18, v24, vcc_lo
	v_cndmask_b32_e64 v22, v16, v22, s4
	v_add_f64 v[21:22], v[21:22], v[23:24]
	v_cmp_lt_f64_e32 vcc_lo, v[19:20], v[21:22]
	v_cndmask_b32_e32 v1, v1, v16, vcc_lo
	v_cndmask_b32_e32 v0, v0, v15, vcc_lo
	v_cndmask_b32_e32 v3, v3, v18, vcc_lo
	v_cndmask_b32_e32 v2, v2, v17, vcc_lo
	v_cndmask_b32_e64 v4, v4, s16, vcc_lo
	s_add_i32 s16, s16, 1
	s_cmp_lg_u32 s57, s16
	s_cbranch_scc1 .LBB126_577
.LBB126_578:
	s_inst_prefetch 0x2
	s_waitcnt lgkmcnt(0)
	v_cmp_eq_f64_e32 vcc_lo, 0, v[0:1]
	v_cmp_eq_f64_e64 s4, 0, v[2:3]
	s_and_b32 s4, vcc_lo, s4
	s_and_saveexec_b32 s16, s4
	s_xor_b32 s4, exec_lo, s16
; %bb.579:
	v_cmp_ne_u32_e32 vcc_lo, 0, v13
	v_cndmask_b32_e32 v13, 24, v13, vcc_lo
; %bb.580:
	s_andn2_saveexec_b32 s4, s4
	s_cbranch_execz .LBB126_586
; %bb.581:
	v_cmp_ngt_f64_e64 s16, |v[0:1]|, |v[2:3]|
	s_and_saveexec_b32 s17, s16
	s_xor_b32 s16, exec_lo, s17
	s_cbranch_execz .LBB126_583
; %bb.582:
	v_div_scale_f64 v[15:16], null, v[2:3], v[2:3], v[0:1]
	v_div_scale_f64 v[21:22], vcc_lo, v[0:1], v[2:3], v[0:1]
	v_rcp_f64_e32 v[17:18], v[15:16]
	v_fma_f64 v[19:20], -v[15:16], v[17:18], 1.0
	v_fma_f64 v[17:18], v[17:18], v[19:20], v[17:18]
	v_fma_f64 v[19:20], -v[15:16], v[17:18], 1.0
	v_fma_f64 v[17:18], v[17:18], v[19:20], v[17:18]
	v_mul_f64 v[19:20], v[21:22], v[17:18]
	v_fma_f64 v[15:16], -v[15:16], v[19:20], v[21:22]
	v_div_fmas_f64 v[15:16], v[15:16], v[17:18], v[19:20]
	v_div_fixup_f64 v[15:16], v[15:16], v[2:3], v[0:1]
	v_fma_f64 v[0:1], v[0:1], v[15:16], v[2:3]
	v_div_scale_f64 v[2:3], null, v[0:1], v[0:1], 1.0
	v_rcp_f64_e32 v[17:18], v[2:3]
	v_fma_f64 v[19:20], -v[2:3], v[17:18], 1.0
	v_fma_f64 v[17:18], v[17:18], v[19:20], v[17:18]
	v_fma_f64 v[19:20], -v[2:3], v[17:18], 1.0
	v_fma_f64 v[17:18], v[17:18], v[19:20], v[17:18]
	v_div_scale_f64 v[19:20], vcc_lo, 1.0, v[0:1], 1.0
	v_mul_f64 v[21:22], v[19:20], v[17:18]
	v_fma_f64 v[2:3], -v[2:3], v[21:22], v[19:20]
	v_div_fmas_f64 v[2:3], v[2:3], v[17:18], v[21:22]
	v_div_fixup_f64 v[2:3], v[2:3], v[0:1], 1.0
	v_mul_f64 v[0:1], v[15:16], v[2:3]
	v_xor_b32_e32 v3, 0x80000000, v3
.LBB126_583:
	s_andn2_saveexec_b32 s16, s16
	s_cbranch_execz .LBB126_585
; %bb.584:
	v_div_scale_f64 v[15:16], null, v[0:1], v[0:1], v[2:3]
	v_div_scale_f64 v[21:22], vcc_lo, v[2:3], v[0:1], v[2:3]
	v_rcp_f64_e32 v[17:18], v[15:16]
	v_fma_f64 v[19:20], -v[15:16], v[17:18], 1.0
	v_fma_f64 v[17:18], v[17:18], v[19:20], v[17:18]
	v_fma_f64 v[19:20], -v[15:16], v[17:18], 1.0
	v_fma_f64 v[17:18], v[17:18], v[19:20], v[17:18]
	v_mul_f64 v[19:20], v[21:22], v[17:18]
	v_fma_f64 v[15:16], -v[15:16], v[19:20], v[21:22]
	v_div_fmas_f64 v[15:16], v[15:16], v[17:18], v[19:20]
	v_div_fixup_f64 v[15:16], v[15:16], v[0:1], v[2:3]
	v_fma_f64 v[0:1], v[2:3], v[15:16], v[0:1]
	v_div_scale_f64 v[2:3], null, v[0:1], v[0:1], 1.0
	v_rcp_f64_e32 v[17:18], v[2:3]
	v_fma_f64 v[19:20], -v[2:3], v[17:18], 1.0
	v_fma_f64 v[17:18], v[17:18], v[19:20], v[17:18]
	v_fma_f64 v[19:20], -v[2:3], v[17:18], 1.0
	v_fma_f64 v[17:18], v[17:18], v[19:20], v[17:18]
	v_div_scale_f64 v[19:20], vcc_lo, 1.0, v[0:1], 1.0
	v_mul_f64 v[21:22], v[19:20], v[17:18]
	v_fma_f64 v[2:3], -v[2:3], v[21:22], v[19:20]
	v_div_fmas_f64 v[2:3], v[2:3], v[17:18], v[21:22]
	v_div_fixup_f64 v[0:1], v[2:3], v[0:1], 1.0
	v_mul_f64 v[2:3], v[15:16], -v[0:1]
.LBB126_585:
	s_or_b32 exec_lo, exec_lo, s16
.LBB126_586:
	s_or_b32 exec_lo, exec_lo, s4
	s_mov_b32 s4, exec_lo
	v_cmpx_ne_u32_e64 v5, v4
	s_xor_b32 s4, exec_lo, s4
	s_cbranch_execz .LBB126_592
; %bb.587:
	s_mov_b32 s16, exec_lo
	v_cmpx_eq_u32_e32 23, v5
	s_cbranch_execz .LBB126_591
; %bb.588:
	v_cmp_ne_u32_e32 vcc_lo, 23, v4
	s_xor_b32 s17, s20, -1
	s_and_b32 s56, s17, vcc_lo
	s_and_saveexec_b32 s17, s56
	s_cbranch_execz .LBB126_590
; %bb.589:
	v_ashrrev_i32_e32 v5, 31, v4
	v_lshlrev_b64 v[10:11], 2, v[4:5]
	v_add_co_u32 v10, vcc_lo, v8, v10
	v_add_co_ci_u32_e64 v11, null, v9, v11, vcc_lo
	s_clause 0x1
	global_load_dword v5, v[10:11], off
	global_load_dword v15, v[8:9], off offset:92
	s_waitcnt vmcnt(1)
	global_store_dword v[8:9], v5, off offset:92
	s_waitcnt vmcnt(0)
	global_store_dword v[10:11], v15, off
.LBB126_590:
	s_or_b32 exec_lo, exec_lo, s17
	v_mov_b32_e32 v5, v4
	v_mov_b32_e32 v11, v4
.LBB126_591:
	s_or_b32 exec_lo, exec_lo, s16
.LBB126_592:
	s_andn2_saveexec_b32 s4, s4
	s_cbranch_execz .LBB126_596
; %bb.593:
	s_movk_i32 s16, 0x180
.LBB126_594:                            ; =>This Inner Loop Header: Depth=1
	v_mov_b32_e32 v10, s16
	s_clause 0x27
	buffer_load_dword v4, v10, s[0:3], 0 offen
	buffer_load_dword v5, v10, s[0:3], 0 offen offset:4
	buffer_load_dword v15, v10, s[0:3], 0 offen offset:8
	;; [unrolled: 1-line block ×39, first 2 shown]
	v_add_nc_u32_e32 v10, s16, v12
	s_addk_i32 s16, 0xa0
	s_waitcnt vmcnt(36)
	ds_write2_b64 v10, v[4:5], v[15:16] offset1:1
	s_waitcnt vmcnt(32)
	ds_write2_b64 v10, v[17:18], v[19:20] offset0:2 offset1:3
	s_waitcnt vmcnt(28)
	ds_write2_b64 v10, v[21:22], v[23:24] offset0:4 offset1:5
	;; [unrolled: 2-line block ×4, first 2 shown]
	ds_write2_b64 v10, v[33:34], v[31:32] offset0:10 offset1:11
	s_waitcnt vmcnt(8)
	ds_write2_b64 v10, v[43:44], v[37:38] offset0:12 offset1:13
	ds_write2_b64 v10, v[41:42], v[39:40] offset0:14 offset1:15
	s_waitcnt vmcnt(4)
	ds_write2_b64 v10, v[45:46], v[47:48] offset0:16 offset1:17
	s_waitcnt vmcnt(0)
	ds_write2_b64 v10, v[49:50], v[51:52] offset0:18 offset1:19
	s_cmpk_eq_i32 s16, 0x400
	s_cbranch_scc0 .LBB126_594
; %bb.595:
	v_mov_b32_e32 v5, 23
.LBB126_596:
	s_or_b32 exec_lo, exec_lo, s4
	s_mov_b32 s4, exec_lo
	s_waitcnt lgkmcnt(0)
	s_waitcnt_vscnt null, 0x0
	s_barrier
	buffer_gl0_inv
	v_cmpx_lt_i32_e32 23, v5
	s_cbranch_execz .LBB126_599
; %bb.597:
	s_clause 0x3
	buffer_load_dword v15, off, s[0:3], 0 offset:376
	buffer_load_dword v16, off, s[0:3], 0 offset:380
	buffer_load_dword v17, off, s[0:3], 0 offset:368
	buffer_load_dword v18, off, s[0:3], 0 offset:372
	s_movk_i32 s83, 0x180
	s_waitcnt vmcnt(2)
	v_mul_f64 v[19:20], v[2:3], v[15:16]
	v_mul_f64 v[15:16], v[0:1], v[15:16]
	s_waitcnt vmcnt(0)
	v_fma_f64 v[0:1], v[0:1], v[17:18], -v[19:20]
	v_fma_f64 v[2:3], v[2:3], v[17:18], v[15:16]
	buffer_store_dword v0, off, s[0:3], 0 offset:368
	buffer_store_dword v1, off, s[0:3], 0 offset:372
	;; [unrolled: 1-line block ×4, first 2 shown]
.LBB126_598:                            ; =>This Inner Loop Header: Depth=1
	s_clause 0x3
	buffer_load_dword v19, off, s[0:3], 0 offset:376
	buffer_load_dword v20, off, s[0:3], 0 offset:380
	;; [unrolled: 1-line block ×4, first 2 shown]
	v_mov_b32_e32 v4, s83
	v_add_nc_u32_e32 v10, s83, v12
	s_addk_i32 s83, 0x50
	s_clause 0x3
	buffer_load_dword v23, v4, s[0:3], 0 offen
	buffer_load_dword v24, v4, s[0:3], 0 offen offset:4
	buffer_load_dword v25, v4, s[0:3], 0 offen offset:8
	;; [unrolled: 1-line block ×3, first 2 shown]
	ds_read2_b64 v[0:3], v10 offset1:1
	ds_read2_b64 v[15:18], v10 offset0:2 offset1:3
	s_cmpk_lg_i32 s83, 0x400
	s_waitcnt vmcnt(6) lgkmcnt(1)
	v_mul_f64 v[27:28], v[2:3], v[19:20]
	v_mul_f64 v[19:20], v[0:1], v[19:20]
	s_waitcnt vmcnt(4)
	v_fma_f64 v[0:1], v[0:1], v[21:22], -v[27:28]
	v_fma_f64 v[2:3], v[2:3], v[21:22], v[19:20]
	s_clause 0x3
	buffer_load_dword v19, v4, s[0:3], 0 offen offset:16
	buffer_load_dword v20, v4, s[0:3], 0 offen offset:20
	;; [unrolled: 1-line block ×4, first 2 shown]
	s_waitcnt vmcnt(6)
	v_add_f64 v[0:1], v[23:24], -v[0:1]
	s_waitcnt vmcnt(4)
	v_add_f64 v[2:3], v[25:26], -v[2:3]
	buffer_store_dword v1, v4, s[0:3], 0 offen offset:4
	buffer_store_dword v0, v4, s[0:3], 0 offen
	buffer_store_dword v3, v4, s[0:3], 0 offen offset:12
	buffer_store_dword v2, v4, s[0:3], 0 offen offset:8
	s_clause 0x3
	buffer_load_dword v1, off, s[0:3], 0 offset:380
	buffer_load_dword v0, off, s[0:3], 0 offset:376
	;; [unrolled: 1-line block ×4, first 2 shown]
	s_waitcnt vmcnt(2) lgkmcnt(0)
	v_mul_f64 v[23:24], v[17:18], v[0:1]
	v_mul_f64 v[0:1], v[15:16], v[0:1]
	s_waitcnt vmcnt(0)
	v_fma_f64 v[15:16], v[15:16], v[2:3], -v[23:24]
	v_fma_f64 v[0:1], v[17:18], v[2:3], v[0:1]
	v_add_f64 v[2:3], v[19:20], -v[15:16]
	v_add_f64 v[0:1], v[21:22], -v[0:1]
	s_clause 0x3
	buffer_load_dword v19, v4, s[0:3], 0 offen offset:32
	buffer_load_dword v20, v4, s[0:3], 0 offen offset:36
	;; [unrolled: 1-line block ×4, first 2 shown]
	buffer_store_dword v3, v4, s[0:3], 0 offen offset:20
	buffer_store_dword v2, v4, s[0:3], 0 offen offset:16
	;; [unrolled: 1-line block ×4, first 2 shown]
	s_clause 0x3
	buffer_load_dword v23, off, s[0:3], 0 offset:376
	buffer_load_dword v24, off, s[0:3], 0 offset:380
	;; [unrolled: 1-line block ×4, first 2 shown]
	ds_read2_b64 v[0:3], v10 offset0:4 offset1:5
	ds_read2_b64 v[15:18], v10 offset0:6 offset1:7
	s_waitcnt vmcnt(2) lgkmcnt(1)
	v_mul_f64 v[27:28], v[2:3], v[23:24]
	v_mul_f64 v[23:24], v[0:1], v[23:24]
	s_waitcnt vmcnt(0)
	v_fma_f64 v[0:1], v[0:1], v[25:26], -v[27:28]
	v_fma_f64 v[2:3], v[2:3], v[25:26], v[23:24]
	v_add_f64 v[0:1], v[19:20], -v[0:1]
	v_add_f64 v[2:3], v[21:22], -v[2:3]
	buffer_store_dword v1, v4, s[0:3], 0 offen offset:36
	buffer_store_dword v0, v4, s[0:3], 0 offen offset:32
	;; [unrolled: 1-line block ×4, first 2 shown]
	s_clause 0x7
	buffer_load_dword v0, off, s[0:3], 0 offset:376
	buffer_load_dword v1, off, s[0:3], 0 offset:380
	;; [unrolled: 1-line block ×4, first 2 shown]
	buffer_load_dword v19, v4, s[0:3], 0 offen offset:48
	buffer_load_dword v20, v4, s[0:3], 0 offen offset:52
	;; [unrolled: 1-line block ×4, first 2 shown]
	s_waitcnt vmcnt(6) lgkmcnt(0)
	v_mul_f64 v[23:24], v[17:18], v[0:1]
	v_mul_f64 v[0:1], v[15:16], v[0:1]
	s_waitcnt vmcnt(4)
	v_fma_f64 v[15:16], v[15:16], v[2:3], -v[23:24]
	v_fma_f64 v[0:1], v[17:18], v[2:3], v[0:1]
	s_waitcnt vmcnt(2)
	v_add_f64 v[2:3], v[19:20], -v[15:16]
	s_waitcnt vmcnt(0)
	v_add_f64 v[0:1], v[21:22], -v[0:1]
	buffer_store_dword v3, v4, s[0:3], 0 offen offset:52
	buffer_store_dword v2, v4, s[0:3], 0 offen offset:48
	;; [unrolled: 1-line block ×4, first 2 shown]
	s_clause 0x7
	buffer_load_dword v15, off, s[0:3], 0 offset:376
	buffer_load_dword v16, off, s[0:3], 0 offset:380
	;; [unrolled: 1-line block ×4, first 2 shown]
	buffer_load_dword v19, v4, s[0:3], 0 offen offset:64
	buffer_load_dword v20, v4, s[0:3], 0 offen offset:68
	;; [unrolled: 1-line block ×4, first 2 shown]
	ds_read2_b64 v[0:3], v10 offset0:8 offset1:9
	s_waitcnt vmcnt(6) lgkmcnt(0)
	v_mul_f64 v[23:24], v[2:3], v[15:16]
	v_mul_f64 v[15:16], v[0:1], v[15:16]
	s_waitcnt vmcnt(4)
	v_fma_f64 v[0:1], v[0:1], v[17:18], -v[23:24]
	v_fma_f64 v[2:3], v[2:3], v[17:18], v[15:16]
	s_waitcnt vmcnt(2)
	v_add_f64 v[0:1], v[19:20], -v[0:1]
	s_waitcnt vmcnt(0)
	v_add_f64 v[2:3], v[21:22], -v[2:3]
	buffer_store_dword v1, v4, s[0:3], 0 offen offset:68
	buffer_store_dword v0, v4, s[0:3], 0 offen offset:64
	;; [unrolled: 1-line block ×4, first 2 shown]
	s_cbranch_scc1 .LBB126_598
.LBB126_599:
	s_or_b32 exec_lo, exec_lo, s4
	v_mov_b32_e32 v3, s60
	s_waitcnt_vscnt null, 0x0
	s_barrier
	buffer_gl0_inv
	v_lshl_add_u32 v4, v5, 4, v12
	s_clause 0x3
	buffer_load_dword v0, v3, s[0:3], 0 offen
	buffer_load_dword v1, v3, s[0:3], 0 offen offset:4
	buffer_load_dword v2, v3, s[0:3], 0 offen offset:8
	buffer_load_dword v3, v3, s[0:3], 0 offen offset:12
	s_cmp_lt_i32 s57, 26
	s_waitcnt vmcnt(0)
	ds_write2_b64 v4, v[0:1], v[2:3] offset1:1
	s_waitcnt lgkmcnt(0)
	s_barrier
	buffer_gl0_inv
	ds_read2_b64 v[0:3], v12 offset0:48 offset1:49
	v_mov_b32_e32 v4, 24
	s_cbranch_scc1 .LBB126_602
; %bb.600:
	v_add3_u32 v10, v14, 0, 0x190
	v_mov_b32_e32 v4, 24
	s_mov_b32 s16, 25
	s_inst_prefetch 0x1
	.p2align	6
.LBB126_601:                            ; =>This Inner Loop Header: Depth=1
	s_waitcnt lgkmcnt(0)
	v_cmp_gt_f64_e32 vcc_lo, 0, v[2:3]
	v_cmp_gt_f64_e64 s4, 0, v[0:1]
	ds_read2_b64 v[15:18], v10 offset1:1
	v_xor_b32_e32 v20, 0x80000000, v1
	v_xor_b32_e32 v22, 0x80000000, v3
	v_mov_b32_e32 v19, v0
	v_mov_b32_e32 v21, v2
	v_add_nc_u32_e32 v10, 16, v10
	s_waitcnt lgkmcnt(0)
	v_xor_b32_e32 v24, 0x80000000, v18
	v_cndmask_b32_e64 v20, v1, v20, s4
	v_cndmask_b32_e32 v22, v3, v22, vcc_lo
	v_cmp_gt_f64_e32 vcc_lo, 0, v[17:18]
	v_cmp_gt_f64_e64 s4, 0, v[15:16]
	v_mov_b32_e32 v23, v17
	v_add_f64 v[19:20], v[19:20], v[21:22]
	v_xor_b32_e32 v22, 0x80000000, v16
	v_mov_b32_e32 v21, v15
	v_cndmask_b32_e32 v24, v18, v24, vcc_lo
	v_cndmask_b32_e64 v22, v16, v22, s4
	v_add_f64 v[21:22], v[21:22], v[23:24]
	v_cmp_lt_f64_e32 vcc_lo, v[19:20], v[21:22]
	v_cndmask_b32_e32 v1, v1, v16, vcc_lo
	v_cndmask_b32_e32 v0, v0, v15, vcc_lo
	;; [unrolled: 1-line block ×4, first 2 shown]
	v_cndmask_b32_e64 v4, v4, s16, vcc_lo
	s_add_i32 s16, s16, 1
	s_cmp_lg_u32 s57, s16
	s_cbranch_scc1 .LBB126_601
.LBB126_602:
	s_inst_prefetch 0x2
	s_waitcnt lgkmcnt(0)
	v_cmp_eq_f64_e32 vcc_lo, 0, v[0:1]
	v_cmp_eq_f64_e64 s4, 0, v[2:3]
	s_and_b32 s4, vcc_lo, s4
	s_and_saveexec_b32 s16, s4
	s_xor_b32 s4, exec_lo, s16
; %bb.603:
	v_cmp_ne_u32_e32 vcc_lo, 0, v13
	v_cndmask_b32_e32 v13, 25, v13, vcc_lo
; %bb.604:
	s_andn2_saveexec_b32 s4, s4
	s_cbranch_execz .LBB126_610
; %bb.605:
	v_cmp_ngt_f64_e64 s16, |v[0:1]|, |v[2:3]|
	s_and_saveexec_b32 s17, s16
	s_xor_b32 s16, exec_lo, s17
	s_cbranch_execz .LBB126_607
; %bb.606:
	v_div_scale_f64 v[15:16], null, v[2:3], v[2:3], v[0:1]
	v_div_scale_f64 v[21:22], vcc_lo, v[0:1], v[2:3], v[0:1]
	v_rcp_f64_e32 v[17:18], v[15:16]
	v_fma_f64 v[19:20], -v[15:16], v[17:18], 1.0
	v_fma_f64 v[17:18], v[17:18], v[19:20], v[17:18]
	v_fma_f64 v[19:20], -v[15:16], v[17:18], 1.0
	v_fma_f64 v[17:18], v[17:18], v[19:20], v[17:18]
	v_mul_f64 v[19:20], v[21:22], v[17:18]
	v_fma_f64 v[15:16], -v[15:16], v[19:20], v[21:22]
	v_div_fmas_f64 v[15:16], v[15:16], v[17:18], v[19:20]
	v_div_fixup_f64 v[15:16], v[15:16], v[2:3], v[0:1]
	v_fma_f64 v[0:1], v[0:1], v[15:16], v[2:3]
	v_div_scale_f64 v[2:3], null, v[0:1], v[0:1], 1.0
	v_rcp_f64_e32 v[17:18], v[2:3]
	v_fma_f64 v[19:20], -v[2:3], v[17:18], 1.0
	v_fma_f64 v[17:18], v[17:18], v[19:20], v[17:18]
	v_fma_f64 v[19:20], -v[2:3], v[17:18], 1.0
	v_fma_f64 v[17:18], v[17:18], v[19:20], v[17:18]
	v_div_scale_f64 v[19:20], vcc_lo, 1.0, v[0:1], 1.0
	v_mul_f64 v[21:22], v[19:20], v[17:18]
	v_fma_f64 v[2:3], -v[2:3], v[21:22], v[19:20]
	v_div_fmas_f64 v[2:3], v[2:3], v[17:18], v[21:22]
	v_div_fixup_f64 v[2:3], v[2:3], v[0:1], 1.0
	v_mul_f64 v[0:1], v[15:16], v[2:3]
	v_xor_b32_e32 v3, 0x80000000, v3
.LBB126_607:
	s_andn2_saveexec_b32 s16, s16
	s_cbranch_execz .LBB126_609
; %bb.608:
	v_div_scale_f64 v[15:16], null, v[0:1], v[0:1], v[2:3]
	v_div_scale_f64 v[21:22], vcc_lo, v[2:3], v[0:1], v[2:3]
	v_rcp_f64_e32 v[17:18], v[15:16]
	v_fma_f64 v[19:20], -v[15:16], v[17:18], 1.0
	v_fma_f64 v[17:18], v[17:18], v[19:20], v[17:18]
	v_fma_f64 v[19:20], -v[15:16], v[17:18], 1.0
	v_fma_f64 v[17:18], v[17:18], v[19:20], v[17:18]
	v_mul_f64 v[19:20], v[21:22], v[17:18]
	v_fma_f64 v[15:16], -v[15:16], v[19:20], v[21:22]
	v_div_fmas_f64 v[15:16], v[15:16], v[17:18], v[19:20]
	v_div_fixup_f64 v[15:16], v[15:16], v[0:1], v[2:3]
	v_fma_f64 v[0:1], v[2:3], v[15:16], v[0:1]
	v_div_scale_f64 v[2:3], null, v[0:1], v[0:1], 1.0
	v_rcp_f64_e32 v[17:18], v[2:3]
	v_fma_f64 v[19:20], -v[2:3], v[17:18], 1.0
	v_fma_f64 v[17:18], v[17:18], v[19:20], v[17:18]
	v_fma_f64 v[19:20], -v[2:3], v[17:18], 1.0
	v_fma_f64 v[17:18], v[17:18], v[19:20], v[17:18]
	v_div_scale_f64 v[19:20], vcc_lo, 1.0, v[0:1], 1.0
	v_mul_f64 v[21:22], v[19:20], v[17:18]
	v_fma_f64 v[2:3], -v[2:3], v[21:22], v[19:20]
	v_div_fmas_f64 v[2:3], v[2:3], v[17:18], v[21:22]
	v_div_fixup_f64 v[0:1], v[2:3], v[0:1], 1.0
	v_mul_f64 v[2:3], v[15:16], -v[0:1]
.LBB126_609:
	s_or_b32 exec_lo, exec_lo, s16
.LBB126_610:
	s_or_b32 exec_lo, exec_lo, s4
	s_mov_b32 s4, exec_lo
	v_cmpx_ne_u32_e64 v5, v4
	s_xor_b32 s4, exec_lo, s4
	s_cbranch_execz .LBB126_616
; %bb.611:
	s_mov_b32 s16, exec_lo
	v_cmpx_eq_u32_e32 24, v5
	s_cbranch_execz .LBB126_615
; %bb.612:
	v_cmp_ne_u32_e32 vcc_lo, 24, v4
	s_xor_b32 s17, s20, -1
	s_and_b32 s56, s17, vcc_lo
	s_and_saveexec_b32 s17, s56
	s_cbranch_execz .LBB126_614
; %bb.613:
	v_ashrrev_i32_e32 v5, 31, v4
	v_lshlrev_b64 v[10:11], 2, v[4:5]
	v_add_co_u32 v10, vcc_lo, v8, v10
	v_add_co_ci_u32_e64 v11, null, v9, v11, vcc_lo
	s_clause 0x1
	global_load_dword v5, v[10:11], off
	global_load_dword v15, v[8:9], off offset:96
	s_waitcnt vmcnt(1)
	global_store_dword v[8:9], v5, off offset:96
	s_waitcnt vmcnt(0)
	global_store_dword v[10:11], v15, off
.LBB126_614:
	s_or_b32 exec_lo, exec_lo, s17
	v_mov_b32_e32 v5, v4
	v_mov_b32_e32 v11, v4
.LBB126_615:
	s_or_b32 exec_lo, exec_lo, s16
.LBB126_616:
	s_andn2_saveexec_b32 s4, s4
	s_cbranch_execz .LBB126_620
; %bb.617:
	s_movk_i32 s16, 0x190
.LBB126_618:                            ; =>This Inner Loop Header: Depth=1
	v_mov_b32_e32 v10, s16
	s_clause 0x33
	buffer_load_dword v4, v10, s[0:3], 0 offen
	buffer_load_dword v5, v10, s[0:3], 0 offen offset:4
	buffer_load_dword v15, v10, s[0:3], 0 offen offset:8
	buffer_load_dword v16, v10, s[0:3], 0 offen offset:12
	buffer_load_dword v17, v10, s[0:3], 0 offen offset:16
	buffer_load_dword v18, v10, s[0:3], 0 offen offset:20
	buffer_load_dword v19, v10, s[0:3], 0 offen offset:24
	buffer_load_dword v20, v10, s[0:3], 0 offen offset:28
	buffer_load_dword v21, v10, s[0:3], 0 offen offset:32
	buffer_load_dword v22, v10, s[0:3], 0 offen offset:36
	buffer_load_dword v23, v10, s[0:3], 0 offen offset:40
	buffer_load_dword v24, v10, s[0:3], 0 offen offset:44
	buffer_load_dword v25, v10, s[0:3], 0 offen offset:48
	buffer_load_dword v26, v10, s[0:3], 0 offen offset:52
	buffer_load_dword v27, v10, s[0:3], 0 offen offset:56
	buffer_load_dword v28, v10, s[0:3], 0 offen offset:60
	buffer_load_dword v30, v10, s[0:3], 0 offen offset:76
	buffer_load_dword v32, v10, s[0:3], 0 offen offset:92
	buffer_load_dword v31, v10, s[0:3], 0 offen offset:88
	buffer_load_dword v34, v10, s[0:3], 0 offen offset:84
	buffer_load_dword v33, v10, s[0:3], 0 offen offset:80
	buffer_load_dword v29, v10, s[0:3], 0 offen offset:72
	buffer_load_dword v36, v10, s[0:3], 0 offen offset:68
	buffer_load_dword v35, v10, s[0:3], 0 offen offset:64
	buffer_load_dword v38, v10, s[0:3], 0 offen offset:108
	buffer_load_dword v40, v10, s[0:3], 0 offen offset:124
	buffer_load_dword v39, v10, s[0:3], 0 offen offset:120
	buffer_load_dword v42, v10, s[0:3], 0 offen offset:116
	buffer_load_dword v41, v10, s[0:3], 0 offen offset:112
	buffer_load_dword v37, v10, s[0:3], 0 offen offset:104
	buffer_load_dword v44, v10, s[0:3], 0 offen offset:100
	buffer_load_dword v43, v10, s[0:3], 0 offen offset:96
	buffer_load_dword v45, v10, s[0:3], 0 offen offset:128
	buffer_load_dword v46, v10, s[0:3], 0 offen offset:132
	buffer_load_dword v47, v10, s[0:3], 0 offen offset:136
	buffer_load_dword v48, v10, s[0:3], 0 offen offset:140
	buffer_load_dword v49, v10, s[0:3], 0 offen offset:144
	buffer_load_dword v50, v10, s[0:3], 0 offen offset:148
	buffer_load_dword v51, v10, s[0:3], 0 offen offset:152
	buffer_load_dword v52, v10, s[0:3], 0 offen offset:156
	buffer_load_dword v53, v10, s[0:3], 0 offen offset:160
	buffer_load_dword v54, v10, s[0:3], 0 offen offset:164
	buffer_load_dword v55, v10, s[0:3], 0 offen offset:168
	buffer_load_dword v56, v10, s[0:3], 0 offen offset:172
	buffer_load_dword v57, v10, s[0:3], 0 offen offset:176
	buffer_load_dword v58, v10, s[0:3], 0 offen offset:180
	buffer_load_dword v59, v10, s[0:3], 0 offen offset:184
	buffer_load_dword v60, v10, s[0:3], 0 offen offset:188
	buffer_load_dword v61, v10, s[0:3], 0 offen offset:192
	buffer_load_dword v62, v10, s[0:3], 0 offen offset:196
	buffer_load_dword v63, v10, s[0:3], 0 offen offset:200
	buffer_load_dword v64, v10, s[0:3], 0 offen offset:204
	v_add_nc_u32_e32 v10, s16, v12
	s_addk_i32 s16, 0xd0
	s_waitcnt vmcnt(48)
	ds_write2_b64 v10, v[4:5], v[15:16] offset1:1
	s_waitcnt vmcnt(44)
	ds_write2_b64 v10, v[17:18], v[19:20] offset0:2 offset1:3
	s_waitcnt vmcnt(40)
	ds_write2_b64 v10, v[21:22], v[23:24] offset0:4 offset1:5
	;; [unrolled: 2-line block ×4, first 2 shown]
	ds_write2_b64 v10, v[33:34], v[31:32] offset0:10 offset1:11
	s_waitcnt vmcnt(20)
	ds_write2_b64 v10, v[43:44], v[37:38] offset0:12 offset1:13
	ds_write2_b64 v10, v[41:42], v[39:40] offset0:14 offset1:15
	s_waitcnt vmcnt(16)
	ds_write2_b64 v10, v[45:46], v[47:48] offset0:16 offset1:17
	s_waitcnt vmcnt(12)
	;; [unrolled: 2-line block ×5, first 2 shown]
	ds_write2_b64 v10, v[61:62], v[63:64] offset0:24 offset1:25
	s_cmpk_eq_i32 s16, 0x400
	s_cbranch_scc0 .LBB126_618
; %bb.619:
	v_mov_b32_e32 v5, 24
.LBB126_620:
	s_or_b32 exec_lo, exec_lo, s4
	s_mov_b32 s4, exec_lo
	s_waitcnt lgkmcnt(0)
	s_waitcnt_vscnt null, 0x0
	s_barrier
	buffer_gl0_inv
	v_cmpx_lt_i32_e32 24, v5
	s_cbranch_execz .LBB126_623
; %bb.621:
	s_clause 0x3
	buffer_load_dword v15, off, s[0:3], 0 offset:392
	buffer_load_dword v16, off, s[0:3], 0 offset:396
	;; [unrolled: 1-line block ×4, first 2 shown]
	s_movk_i32 s16, 0x190
	s_waitcnt vmcnt(2)
	v_mul_f64 v[19:20], v[2:3], v[15:16]
	v_mul_f64 v[15:16], v[0:1], v[15:16]
	s_waitcnt vmcnt(0)
	v_fma_f64 v[0:1], v[0:1], v[17:18], -v[19:20]
	v_fma_f64 v[2:3], v[2:3], v[17:18], v[15:16]
	buffer_store_dword v0, off, s[0:3], 0 offset:384
	buffer_store_dword v1, off, s[0:3], 0 offset:388
	;; [unrolled: 1-line block ×4, first 2 shown]
.LBB126_622:                            ; =>This Inner Loop Header: Depth=1
	s_clause 0x3
	buffer_load_dword v19, off, s[0:3], 0 offset:392
	buffer_load_dword v20, off, s[0:3], 0 offset:396
	;; [unrolled: 1-line block ×4, first 2 shown]
	v_mov_b32_e32 v4, s16
	v_add_nc_u32_e32 v10, s16, v12
	s_add_i32 s16, s16, 48
	s_clause 0x3
	buffer_load_dword v23, v4, s[0:3], 0 offen
	buffer_load_dword v24, v4, s[0:3], 0 offen offset:4
	buffer_load_dword v25, v4, s[0:3], 0 offen offset:8
	;; [unrolled: 1-line block ×3, first 2 shown]
	ds_read2_b64 v[0:3], v10 offset1:1
	ds_read2_b64 v[15:18], v10 offset0:2 offset1:3
	s_cmpk_lg_i32 s16, 0x400
	s_waitcnt vmcnt(6) lgkmcnt(1)
	v_mul_f64 v[27:28], v[2:3], v[19:20]
	v_mul_f64 v[19:20], v[0:1], v[19:20]
	s_waitcnt vmcnt(4)
	v_fma_f64 v[0:1], v[0:1], v[21:22], -v[27:28]
	v_fma_f64 v[2:3], v[2:3], v[21:22], v[19:20]
	s_clause 0x3
	buffer_load_dword v19, v4, s[0:3], 0 offen offset:16
	buffer_load_dword v20, v4, s[0:3], 0 offen offset:20
	buffer_load_dword v21, v4, s[0:3], 0 offen offset:24
	buffer_load_dword v22, v4, s[0:3], 0 offen offset:28
	s_waitcnt vmcnt(6)
	v_add_f64 v[0:1], v[23:24], -v[0:1]
	s_waitcnt vmcnt(4)
	v_add_f64 v[2:3], v[25:26], -v[2:3]
	buffer_store_dword v1, v4, s[0:3], 0 offen offset:4
	buffer_store_dword v0, v4, s[0:3], 0 offen
	buffer_store_dword v3, v4, s[0:3], 0 offen offset:12
	buffer_store_dword v2, v4, s[0:3], 0 offen offset:8
	s_clause 0x3
	buffer_load_dword v1, off, s[0:3], 0 offset:396
	buffer_load_dword v0, off, s[0:3], 0 offset:392
	;; [unrolled: 1-line block ×4, first 2 shown]
	s_waitcnt vmcnt(2) lgkmcnt(0)
	v_mul_f64 v[23:24], v[17:18], v[0:1]
	v_mul_f64 v[0:1], v[15:16], v[0:1]
	s_waitcnt vmcnt(0)
	v_fma_f64 v[15:16], v[15:16], v[2:3], -v[23:24]
	v_fma_f64 v[0:1], v[17:18], v[2:3], v[0:1]
	v_add_f64 v[2:3], v[19:20], -v[15:16]
	v_add_f64 v[0:1], v[21:22], -v[0:1]
	s_clause 0x3
	buffer_load_dword v15, v4, s[0:3], 0 offen offset:32
	buffer_load_dword v16, v4, s[0:3], 0 offen offset:36
	;; [unrolled: 1-line block ×4, first 2 shown]
	buffer_store_dword v3, v4, s[0:3], 0 offen offset:20
	buffer_store_dword v2, v4, s[0:3], 0 offen offset:16
	;; [unrolled: 1-line block ×4, first 2 shown]
	s_clause 0x3
	buffer_load_dword v19, off, s[0:3], 0 offset:392
	buffer_load_dword v20, off, s[0:3], 0 offset:396
	;; [unrolled: 1-line block ×4, first 2 shown]
	ds_read2_b64 v[0:3], v10 offset0:4 offset1:5
	s_waitcnt vmcnt(2) lgkmcnt(0)
	v_mul_f64 v[23:24], v[2:3], v[19:20]
	v_mul_f64 v[19:20], v[0:1], v[19:20]
	s_waitcnt vmcnt(0)
	v_fma_f64 v[0:1], v[0:1], v[21:22], -v[23:24]
	v_fma_f64 v[2:3], v[2:3], v[21:22], v[19:20]
	v_add_f64 v[0:1], v[15:16], -v[0:1]
	v_add_f64 v[2:3], v[17:18], -v[2:3]
	buffer_store_dword v1, v4, s[0:3], 0 offen offset:36
	buffer_store_dword v0, v4, s[0:3], 0 offen offset:32
	;; [unrolled: 1-line block ×4, first 2 shown]
	s_cbranch_scc1 .LBB126_622
.LBB126_623:
	s_or_b32 exec_lo, exec_lo, s4
	v_mov_b32_e32 v3, s59
	s_waitcnt_vscnt null, 0x0
	s_barrier
	buffer_gl0_inv
	v_lshl_add_u32 v4, v5, 4, v12
	s_clause 0x3
	buffer_load_dword v0, v3, s[0:3], 0 offen
	buffer_load_dword v1, v3, s[0:3], 0 offen offset:4
	buffer_load_dword v2, v3, s[0:3], 0 offen offset:8
	;; [unrolled: 1-line block ×3, first 2 shown]
	s_cmp_lt_i32 s57, 27
	s_waitcnt vmcnt(0)
	ds_write2_b64 v4, v[0:1], v[2:3] offset1:1
	s_waitcnt lgkmcnt(0)
	s_barrier
	buffer_gl0_inv
	ds_read2_b64 v[0:3], v12 offset0:50 offset1:51
	v_mov_b32_e32 v4, 25
	s_cbranch_scc1 .LBB126_626
; %bb.624:
	v_add3_u32 v10, v14, 0, 0x1a0
	v_mov_b32_e32 v4, 25
	s_mov_b32 s16, 26
	s_inst_prefetch 0x1
	.p2align	6
.LBB126_625:                            ; =>This Inner Loop Header: Depth=1
	s_waitcnt lgkmcnt(0)
	v_cmp_gt_f64_e32 vcc_lo, 0, v[2:3]
	v_cmp_gt_f64_e64 s4, 0, v[0:1]
	ds_read2_b64 v[15:18], v10 offset1:1
	v_xor_b32_e32 v20, 0x80000000, v1
	v_xor_b32_e32 v22, 0x80000000, v3
	v_mov_b32_e32 v19, v0
	v_mov_b32_e32 v21, v2
	v_add_nc_u32_e32 v10, 16, v10
	s_waitcnt lgkmcnt(0)
	v_xor_b32_e32 v24, 0x80000000, v18
	v_cndmask_b32_e64 v20, v1, v20, s4
	v_cndmask_b32_e32 v22, v3, v22, vcc_lo
	v_cmp_gt_f64_e32 vcc_lo, 0, v[17:18]
	v_cmp_gt_f64_e64 s4, 0, v[15:16]
	v_mov_b32_e32 v23, v17
	v_add_f64 v[19:20], v[19:20], v[21:22]
	v_xor_b32_e32 v22, 0x80000000, v16
	v_mov_b32_e32 v21, v15
	v_cndmask_b32_e32 v24, v18, v24, vcc_lo
	v_cndmask_b32_e64 v22, v16, v22, s4
	v_add_f64 v[21:22], v[21:22], v[23:24]
	v_cmp_lt_f64_e32 vcc_lo, v[19:20], v[21:22]
	v_cndmask_b32_e32 v1, v1, v16, vcc_lo
	v_cndmask_b32_e32 v0, v0, v15, vcc_lo
	;; [unrolled: 1-line block ×4, first 2 shown]
	v_cndmask_b32_e64 v4, v4, s16, vcc_lo
	s_add_i32 s16, s16, 1
	s_cmp_lg_u32 s57, s16
	s_cbranch_scc1 .LBB126_625
.LBB126_626:
	s_inst_prefetch 0x2
	s_waitcnt lgkmcnt(0)
	v_cmp_eq_f64_e32 vcc_lo, 0, v[0:1]
	v_cmp_eq_f64_e64 s4, 0, v[2:3]
	s_and_b32 s4, vcc_lo, s4
	s_and_saveexec_b32 s16, s4
	s_xor_b32 s4, exec_lo, s16
; %bb.627:
	v_cmp_ne_u32_e32 vcc_lo, 0, v13
	v_cndmask_b32_e32 v13, 26, v13, vcc_lo
; %bb.628:
	s_andn2_saveexec_b32 s4, s4
	s_cbranch_execz .LBB126_634
; %bb.629:
	v_cmp_ngt_f64_e64 s16, |v[0:1]|, |v[2:3]|
	s_and_saveexec_b32 s17, s16
	s_xor_b32 s16, exec_lo, s17
	s_cbranch_execz .LBB126_631
; %bb.630:
	v_div_scale_f64 v[15:16], null, v[2:3], v[2:3], v[0:1]
	v_div_scale_f64 v[21:22], vcc_lo, v[0:1], v[2:3], v[0:1]
	v_rcp_f64_e32 v[17:18], v[15:16]
	v_fma_f64 v[19:20], -v[15:16], v[17:18], 1.0
	v_fma_f64 v[17:18], v[17:18], v[19:20], v[17:18]
	v_fma_f64 v[19:20], -v[15:16], v[17:18], 1.0
	v_fma_f64 v[17:18], v[17:18], v[19:20], v[17:18]
	v_mul_f64 v[19:20], v[21:22], v[17:18]
	v_fma_f64 v[15:16], -v[15:16], v[19:20], v[21:22]
	v_div_fmas_f64 v[15:16], v[15:16], v[17:18], v[19:20]
	v_div_fixup_f64 v[15:16], v[15:16], v[2:3], v[0:1]
	v_fma_f64 v[0:1], v[0:1], v[15:16], v[2:3]
	v_div_scale_f64 v[2:3], null, v[0:1], v[0:1], 1.0
	v_rcp_f64_e32 v[17:18], v[2:3]
	v_fma_f64 v[19:20], -v[2:3], v[17:18], 1.0
	v_fma_f64 v[17:18], v[17:18], v[19:20], v[17:18]
	v_fma_f64 v[19:20], -v[2:3], v[17:18], 1.0
	v_fma_f64 v[17:18], v[17:18], v[19:20], v[17:18]
	v_div_scale_f64 v[19:20], vcc_lo, 1.0, v[0:1], 1.0
	v_mul_f64 v[21:22], v[19:20], v[17:18]
	v_fma_f64 v[2:3], -v[2:3], v[21:22], v[19:20]
	v_div_fmas_f64 v[2:3], v[2:3], v[17:18], v[21:22]
	v_div_fixup_f64 v[2:3], v[2:3], v[0:1], 1.0
	v_mul_f64 v[0:1], v[15:16], v[2:3]
	v_xor_b32_e32 v3, 0x80000000, v3
.LBB126_631:
	s_andn2_saveexec_b32 s16, s16
	s_cbranch_execz .LBB126_633
; %bb.632:
	v_div_scale_f64 v[15:16], null, v[0:1], v[0:1], v[2:3]
	v_div_scale_f64 v[21:22], vcc_lo, v[2:3], v[0:1], v[2:3]
	v_rcp_f64_e32 v[17:18], v[15:16]
	v_fma_f64 v[19:20], -v[15:16], v[17:18], 1.0
	v_fma_f64 v[17:18], v[17:18], v[19:20], v[17:18]
	v_fma_f64 v[19:20], -v[15:16], v[17:18], 1.0
	v_fma_f64 v[17:18], v[17:18], v[19:20], v[17:18]
	v_mul_f64 v[19:20], v[21:22], v[17:18]
	v_fma_f64 v[15:16], -v[15:16], v[19:20], v[21:22]
	v_div_fmas_f64 v[15:16], v[15:16], v[17:18], v[19:20]
	v_div_fixup_f64 v[15:16], v[15:16], v[0:1], v[2:3]
	v_fma_f64 v[0:1], v[2:3], v[15:16], v[0:1]
	v_div_scale_f64 v[2:3], null, v[0:1], v[0:1], 1.0
	v_rcp_f64_e32 v[17:18], v[2:3]
	v_fma_f64 v[19:20], -v[2:3], v[17:18], 1.0
	v_fma_f64 v[17:18], v[17:18], v[19:20], v[17:18]
	v_fma_f64 v[19:20], -v[2:3], v[17:18], 1.0
	v_fma_f64 v[17:18], v[17:18], v[19:20], v[17:18]
	v_div_scale_f64 v[19:20], vcc_lo, 1.0, v[0:1], 1.0
	v_mul_f64 v[21:22], v[19:20], v[17:18]
	v_fma_f64 v[2:3], -v[2:3], v[21:22], v[19:20]
	v_div_fmas_f64 v[2:3], v[2:3], v[17:18], v[21:22]
	v_div_fixup_f64 v[0:1], v[2:3], v[0:1], 1.0
	v_mul_f64 v[2:3], v[15:16], -v[0:1]
.LBB126_633:
	s_or_b32 exec_lo, exec_lo, s16
.LBB126_634:
	s_or_b32 exec_lo, exec_lo, s4
	s_mov_b32 s4, exec_lo
	v_cmpx_ne_u32_e64 v5, v4
	s_xor_b32 s4, exec_lo, s4
	s_cbranch_execz .LBB126_640
; %bb.635:
	s_mov_b32 s16, exec_lo
	v_cmpx_eq_u32_e32 25, v5
	s_cbranch_execz .LBB126_639
; %bb.636:
	v_cmp_ne_u32_e32 vcc_lo, 25, v4
	s_xor_b32 s17, s20, -1
	s_and_b32 s56, s17, vcc_lo
	s_and_saveexec_b32 s17, s56
	s_cbranch_execz .LBB126_638
; %bb.637:
	v_ashrrev_i32_e32 v5, 31, v4
	v_lshlrev_b64 v[10:11], 2, v[4:5]
	v_add_co_u32 v10, vcc_lo, v8, v10
	v_add_co_ci_u32_e64 v11, null, v9, v11, vcc_lo
	s_clause 0x1
	global_load_dword v5, v[10:11], off
	global_load_dword v15, v[8:9], off offset:100
	s_waitcnt vmcnt(1)
	global_store_dword v[8:9], v5, off offset:100
	s_waitcnt vmcnt(0)
	global_store_dword v[10:11], v15, off
.LBB126_638:
	s_or_b32 exec_lo, exec_lo, s17
	v_mov_b32_e32 v5, v4
	v_mov_b32_e32 v11, v4
.LBB126_639:
	s_or_b32 exec_lo, exec_lo, s16
.LBB126_640:
	s_andn2_saveexec_b32 s4, s4
	s_cbranch_execz .LBB126_644
; %bb.641:
	s_movk_i32 s16, 0x1a0
	.p2align	6
.LBB126_642:                            ; =>This Inner Loop Header: Depth=1
	v_mov_b32_e32 v10, s16
	s_clause 0x7
	buffer_load_dword v4, v10, s[0:3], 0 offen
	buffer_load_dword v5, v10, s[0:3], 0 offen offset:4
	buffer_load_dword v15, v10, s[0:3], 0 offen offset:8
	;; [unrolled: 1-line block ×7, first 2 shown]
	v_add_nc_u32_e32 v10, s16, v12
	s_add_i32 s16, s16, 32
	s_waitcnt vmcnt(4)
	ds_write2_b64 v10, v[4:5], v[15:16] offset1:1
	s_waitcnt vmcnt(0)
	ds_write2_b64 v10, v[17:18], v[19:20] offset0:2 offset1:3
	s_cmpk_eq_i32 s16, 0x400
	s_cbranch_scc0 .LBB126_642
; %bb.643:
	v_mov_b32_e32 v5, 25
.LBB126_644:
	s_or_b32 exec_lo, exec_lo, s4
	s_mov_b32 s4, exec_lo
	s_waitcnt lgkmcnt(0)
	s_waitcnt_vscnt null, 0x0
	s_barrier
	buffer_gl0_inv
	v_cmpx_lt_i32_e32 25, v5
	s_cbranch_execz .LBB126_647
; %bb.645:
	s_clause 0x3
	buffer_load_dword v15, off, s[0:3], 0 offset:408
	buffer_load_dword v16, off, s[0:3], 0 offset:412
	;; [unrolled: 1-line block ×4, first 2 shown]
	s_movk_i32 s16, 0x1a0
	s_waitcnt vmcnt(2)
	v_mul_f64 v[19:20], v[2:3], v[15:16]
	v_mul_f64 v[15:16], v[0:1], v[15:16]
	s_waitcnt vmcnt(0)
	v_fma_f64 v[0:1], v[0:1], v[17:18], -v[19:20]
	v_fma_f64 v[2:3], v[2:3], v[17:18], v[15:16]
	buffer_store_dword v0, off, s[0:3], 0 offset:400
	buffer_store_dword v1, off, s[0:3], 0 offset:404
	;; [unrolled: 1-line block ×4, first 2 shown]
.LBB126_646:                            ; =>This Inner Loop Header: Depth=1
	s_clause 0x3
	buffer_load_dword v19, off, s[0:3], 0 offset:408
	buffer_load_dword v20, off, s[0:3], 0 offset:412
	;; [unrolled: 1-line block ×4, first 2 shown]
	v_mov_b32_e32 v4, s16
	v_add_nc_u32_e32 v10, s16, v12
	s_add_i32 s16, s16, 32
	s_clause 0x3
	buffer_load_dword v23, v4, s[0:3], 0 offen
	buffer_load_dword v24, v4, s[0:3], 0 offen offset:4
	buffer_load_dword v25, v4, s[0:3], 0 offen offset:8
	buffer_load_dword v26, v4, s[0:3], 0 offen offset:12
	ds_read2_b64 v[0:3], v10 offset1:1
	ds_read2_b64 v[15:18], v10 offset0:2 offset1:3
	s_cmpk_lg_i32 s16, 0x400
	s_waitcnt vmcnt(6) lgkmcnt(1)
	v_mul_f64 v[27:28], v[2:3], v[19:20]
	v_mul_f64 v[19:20], v[0:1], v[19:20]
	s_waitcnt vmcnt(4)
	v_fma_f64 v[0:1], v[0:1], v[21:22], -v[27:28]
	v_fma_f64 v[2:3], v[2:3], v[21:22], v[19:20]
	s_clause 0x3
	buffer_load_dword v19, v4, s[0:3], 0 offen offset:16
	buffer_load_dword v20, v4, s[0:3], 0 offen offset:20
	;; [unrolled: 1-line block ×4, first 2 shown]
	s_waitcnt vmcnt(6)
	v_add_f64 v[0:1], v[23:24], -v[0:1]
	s_waitcnt vmcnt(4)
	v_add_f64 v[2:3], v[25:26], -v[2:3]
	buffer_store_dword v1, v4, s[0:3], 0 offen offset:4
	buffer_store_dword v0, v4, s[0:3], 0 offen
	buffer_store_dword v3, v4, s[0:3], 0 offen offset:12
	buffer_store_dword v2, v4, s[0:3], 0 offen offset:8
	s_clause 0x3
	buffer_load_dword v1, off, s[0:3], 0 offset:412
	buffer_load_dword v0, off, s[0:3], 0 offset:408
	;; [unrolled: 1-line block ×4, first 2 shown]
	s_waitcnt vmcnt(2) lgkmcnt(0)
	v_mul_f64 v[23:24], v[17:18], v[0:1]
	v_mul_f64 v[0:1], v[15:16], v[0:1]
	s_waitcnt vmcnt(0)
	v_fma_f64 v[15:16], v[15:16], v[2:3], -v[23:24]
	v_fma_f64 v[0:1], v[17:18], v[2:3], v[0:1]
	v_add_f64 v[2:3], v[19:20], -v[15:16]
	v_add_f64 v[0:1], v[21:22], -v[0:1]
	buffer_store_dword v3, v4, s[0:3], 0 offen offset:20
	buffer_store_dword v2, v4, s[0:3], 0 offen offset:16
	;; [unrolled: 1-line block ×4, first 2 shown]
	s_cbranch_scc1 .LBB126_646
.LBB126_647:
	s_or_b32 exec_lo, exec_lo, s4
	v_mov_b32_e32 v3, s58
	s_waitcnt_vscnt null, 0x0
	s_barrier
	buffer_gl0_inv
	v_lshl_add_u32 v4, v5, 4, v12
	s_clause 0x3
	buffer_load_dword v0, v3, s[0:3], 0 offen
	buffer_load_dword v1, v3, s[0:3], 0 offen offset:4
	buffer_load_dword v2, v3, s[0:3], 0 offen offset:8
	;; [unrolled: 1-line block ×3, first 2 shown]
	s_cmp_lt_i32 s57, 28
	s_waitcnt vmcnt(0)
	ds_write2_b64 v4, v[0:1], v[2:3] offset1:1
	s_waitcnt lgkmcnt(0)
	s_barrier
	buffer_gl0_inv
	ds_read2_b64 v[0:3], v12 offset0:52 offset1:53
	v_mov_b32_e32 v4, 26
	s_cbranch_scc1 .LBB126_650
; %bb.648:
	v_add3_u32 v10, v14, 0, 0x1b0
	v_mov_b32_e32 v4, 26
	s_mov_b32 s16, 27
	s_inst_prefetch 0x1
	.p2align	6
.LBB126_649:                            ; =>This Inner Loop Header: Depth=1
	s_waitcnt lgkmcnt(0)
	v_cmp_gt_f64_e32 vcc_lo, 0, v[2:3]
	v_cmp_gt_f64_e64 s4, 0, v[0:1]
	ds_read2_b64 v[15:18], v10 offset1:1
	v_xor_b32_e32 v20, 0x80000000, v1
	v_xor_b32_e32 v22, 0x80000000, v3
	v_mov_b32_e32 v19, v0
	v_mov_b32_e32 v21, v2
	v_add_nc_u32_e32 v10, 16, v10
	s_waitcnt lgkmcnt(0)
	v_xor_b32_e32 v24, 0x80000000, v18
	v_cndmask_b32_e64 v20, v1, v20, s4
	v_cndmask_b32_e32 v22, v3, v22, vcc_lo
	v_cmp_gt_f64_e32 vcc_lo, 0, v[17:18]
	v_cmp_gt_f64_e64 s4, 0, v[15:16]
	v_mov_b32_e32 v23, v17
	v_add_f64 v[19:20], v[19:20], v[21:22]
	v_xor_b32_e32 v22, 0x80000000, v16
	v_mov_b32_e32 v21, v15
	v_cndmask_b32_e32 v24, v18, v24, vcc_lo
	v_cndmask_b32_e64 v22, v16, v22, s4
	v_add_f64 v[21:22], v[21:22], v[23:24]
	v_cmp_lt_f64_e32 vcc_lo, v[19:20], v[21:22]
	v_cndmask_b32_e32 v1, v1, v16, vcc_lo
	v_cndmask_b32_e32 v0, v0, v15, vcc_lo
	;; [unrolled: 1-line block ×4, first 2 shown]
	v_cndmask_b32_e64 v4, v4, s16, vcc_lo
	s_add_i32 s16, s16, 1
	s_cmp_lg_u32 s57, s16
	s_cbranch_scc1 .LBB126_649
.LBB126_650:
	s_inst_prefetch 0x2
	s_waitcnt lgkmcnt(0)
	v_cmp_eq_f64_e32 vcc_lo, 0, v[0:1]
	v_cmp_eq_f64_e64 s4, 0, v[2:3]
	s_and_b32 s4, vcc_lo, s4
	s_and_saveexec_b32 s16, s4
	s_xor_b32 s4, exec_lo, s16
; %bb.651:
	v_cmp_ne_u32_e32 vcc_lo, 0, v13
	v_cndmask_b32_e32 v13, 27, v13, vcc_lo
; %bb.652:
	s_andn2_saveexec_b32 s4, s4
	s_cbranch_execz .LBB126_658
; %bb.653:
	v_cmp_ngt_f64_e64 s16, |v[0:1]|, |v[2:3]|
	s_and_saveexec_b32 s17, s16
	s_xor_b32 s16, exec_lo, s17
	s_cbranch_execz .LBB126_655
; %bb.654:
	v_div_scale_f64 v[15:16], null, v[2:3], v[2:3], v[0:1]
	v_div_scale_f64 v[21:22], vcc_lo, v[0:1], v[2:3], v[0:1]
	v_rcp_f64_e32 v[17:18], v[15:16]
	v_fma_f64 v[19:20], -v[15:16], v[17:18], 1.0
	v_fma_f64 v[17:18], v[17:18], v[19:20], v[17:18]
	v_fma_f64 v[19:20], -v[15:16], v[17:18], 1.0
	v_fma_f64 v[17:18], v[17:18], v[19:20], v[17:18]
	v_mul_f64 v[19:20], v[21:22], v[17:18]
	v_fma_f64 v[15:16], -v[15:16], v[19:20], v[21:22]
	v_div_fmas_f64 v[15:16], v[15:16], v[17:18], v[19:20]
	v_div_fixup_f64 v[15:16], v[15:16], v[2:3], v[0:1]
	v_fma_f64 v[0:1], v[0:1], v[15:16], v[2:3]
	v_div_scale_f64 v[2:3], null, v[0:1], v[0:1], 1.0
	v_rcp_f64_e32 v[17:18], v[2:3]
	v_fma_f64 v[19:20], -v[2:3], v[17:18], 1.0
	v_fma_f64 v[17:18], v[17:18], v[19:20], v[17:18]
	v_fma_f64 v[19:20], -v[2:3], v[17:18], 1.0
	v_fma_f64 v[17:18], v[17:18], v[19:20], v[17:18]
	v_div_scale_f64 v[19:20], vcc_lo, 1.0, v[0:1], 1.0
	v_mul_f64 v[21:22], v[19:20], v[17:18]
	v_fma_f64 v[2:3], -v[2:3], v[21:22], v[19:20]
	v_div_fmas_f64 v[2:3], v[2:3], v[17:18], v[21:22]
	v_div_fixup_f64 v[2:3], v[2:3], v[0:1], 1.0
	v_mul_f64 v[0:1], v[15:16], v[2:3]
	v_xor_b32_e32 v3, 0x80000000, v3
.LBB126_655:
	s_andn2_saveexec_b32 s16, s16
	s_cbranch_execz .LBB126_657
; %bb.656:
	v_div_scale_f64 v[15:16], null, v[0:1], v[0:1], v[2:3]
	v_div_scale_f64 v[21:22], vcc_lo, v[2:3], v[0:1], v[2:3]
	v_rcp_f64_e32 v[17:18], v[15:16]
	v_fma_f64 v[19:20], -v[15:16], v[17:18], 1.0
	v_fma_f64 v[17:18], v[17:18], v[19:20], v[17:18]
	v_fma_f64 v[19:20], -v[15:16], v[17:18], 1.0
	v_fma_f64 v[17:18], v[17:18], v[19:20], v[17:18]
	v_mul_f64 v[19:20], v[21:22], v[17:18]
	v_fma_f64 v[15:16], -v[15:16], v[19:20], v[21:22]
	v_div_fmas_f64 v[15:16], v[15:16], v[17:18], v[19:20]
	v_div_fixup_f64 v[15:16], v[15:16], v[0:1], v[2:3]
	v_fma_f64 v[0:1], v[2:3], v[15:16], v[0:1]
	v_div_scale_f64 v[2:3], null, v[0:1], v[0:1], 1.0
	v_rcp_f64_e32 v[17:18], v[2:3]
	v_fma_f64 v[19:20], -v[2:3], v[17:18], 1.0
	v_fma_f64 v[17:18], v[17:18], v[19:20], v[17:18]
	v_fma_f64 v[19:20], -v[2:3], v[17:18], 1.0
	v_fma_f64 v[17:18], v[17:18], v[19:20], v[17:18]
	v_div_scale_f64 v[19:20], vcc_lo, 1.0, v[0:1], 1.0
	v_mul_f64 v[21:22], v[19:20], v[17:18]
	v_fma_f64 v[2:3], -v[2:3], v[21:22], v[19:20]
	v_div_fmas_f64 v[2:3], v[2:3], v[17:18], v[21:22]
	v_div_fixup_f64 v[0:1], v[2:3], v[0:1], 1.0
	v_mul_f64 v[2:3], v[15:16], -v[0:1]
.LBB126_657:
	s_or_b32 exec_lo, exec_lo, s16
.LBB126_658:
	s_or_b32 exec_lo, exec_lo, s4
	s_mov_b32 s4, exec_lo
	v_cmpx_ne_u32_e64 v5, v4
	s_xor_b32 s4, exec_lo, s4
	s_cbranch_execz .LBB126_664
; %bb.659:
	s_mov_b32 s16, exec_lo
	v_cmpx_eq_u32_e32 26, v5
	s_cbranch_execz .LBB126_663
; %bb.660:
	v_cmp_ne_u32_e32 vcc_lo, 26, v4
	s_xor_b32 s17, s20, -1
	s_and_b32 s56, s17, vcc_lo
	s_and_saveexec_b32 s17, s56
	s_cbranch_execz .LBB126_662
; %bb.661:
	v_ashrrev_i32_e32 v5, 31, v4
	v_lshlrev_b64 v[10:11], 2, v[4:5]
	v_add_co_u32 v10, vcc_lo, v8, v10
	v_add_co_ci_u32_e64 v11, null, v9, v11, vcc_lo
	s_clause 0x1
	global_load_dword v5, v[10:11], off
	global_load_dword v15, v[8:9], off offset:104
	s_waitcnt vmcnt(1)
	global_store_dword v[8:9], v5, off offset:104
	s_waitcnt vmcnt(0)
	global_store_dword v[10:11], v15, off
.LBB126_662:
	s_or_b32 exec_lo, exec_lo, s17
	v_mov_b32_e32 v5, v4
	v_mov_b32_e32 v11, v4
.LBB126_663:
	s_or_b32 exec_lo, exec_lo, s16
.LBB126_664:
	s_andn2_saveexec_b32 s4, s4
	s_cbranch_execz .LBB126_670
; %bb.665:
	v_add3_u32 v4, v14, 0, 0x1b0
	s_mov_b32 s16, 0
	s_branch .LBB126_667
.LBB126_666:                            ;   in Loop: Header=BB126_667 Depth=1
	s_andn2_b32 vcc_lo, exec_lo, s56
	s_cbranch_vccz .LBB126_669
.LBB126_667:                            ; =>This Inner Loop Header: Depth=1
	s_add_i32 s17, s55, s16
	s_mov_b32 s56, -1
	v_mov_b32_e32 v5, s17
	s_cmpk_eq_i32 s16, 0x200
	s_clause 0x13
	buffer_load_dword v15, v5, s[0:3], 0 offen
	buffer_load_dword v16, v5, s[0:3], 0 offen offset:4
	buffer_load_dword v17, v5, s[0:3], 0 offen offset:8
	buffer_load_dword v18, v5, s[0:3], 0 offen offset:12
	buffer_load_dword v19, v5, s[0:3], 0 offen offset:16
	buffer_load_dword v20, v5, s[0:3], 0 offen offset:20
	buffer_load_dword v21, v5, s[0:3], 0 offen offset:24
	buffer_load_dword v22, v5, s[0:3], 0 offen offset:28
	buffer_load_dword v23, v5, s[0:3], 0 offen offset:32
	buffer_load_dword v24, v5, s[0:3], 0 offen offset:36
	buffer_load_dword v25, v5, s[0:3], 0 offen offset:40
	buffer_load_dword v26, v5, s[0:3], 0 offen offset:44
	buffer_load_dword v27, v5, s[0:3], 0 offen offset:48
	buffer_load_dword v28, v5, s[0:3], 0 offen offset:52
	buffer_load_dword v29, v5, s[0:3], 0 offen offset:56
	buffer_load_dword v30, v5, s[0:3], 0 offen offset:60
	buffer_load_dword v32, v5, s[0:3], 0 offen offset:76
	buffer_load_dword v31, v5, s[0:3], 0 offen offset:72
	buffer_load_dword v34, v5, s[0:3], 0 offen offset:68
	buffer_load_dword v33, v5, s[0:3], 0 offen offset:64
	v_add_nc_u32_e32 v5, s16, v4
	s_waitcnt vmcnt(16)
	ds_write2_b64 v5, v[15:16], v[17:18] offset1:1
	s_waitcnt vmcnt(12)
	ds_write2_b64 v5, v[19:20], v[21:22] offset0:2 offset1:3
	s_waitcnt vmcnt(8)
	ds_write2_b64 v5, v[23:24], v[25:26] offset0:4 offset1:5
	s_waitcnt vmcnt(4)
	ds_write2_b64 v5, v[27:28], v[29:30] offset0:6 offset1:7
	s_waitcnt vmcnt(0)
	ds_write2_b64 v5, v[33:34], v[31:32] offset0:8 offset1:9
	s_cbranch_scc1 .LBB126_666
; %bb.668:                              ;   in Loop: Header=BB126_667 Depth=1
	v_mov_b32_e32 v10, s17
	s_addk_i32 s16, 0x80
	s_mov_b32 s56, 0
	s_clause 0xb
	buffer_load_dword v15, v10, s[0:3], 0 offen offset:80
	buffer_load_dword v16, v10, s[0:3], 0 offen offset:84
	;; [unrolled: 1-line block ×12, first 2 shown]
	s_waitcnt vmcnt(8)
	ds_write2_b64 v5, v[15:16], v[17:18] offset0:10 offset1:11
	s_waitcnt vmcnt(4)
	ds_write2_b64 v5, v[19:20], v[21:22] offset0:12 offset1:13
	;; [unrolled: 2-line block ×3, first 2 shown]
	s_branch .LBB126_666
.LBB126_669:
	v_mov_b32_e32 v5, 26
.LBB126_670:
	s_or_b32 exec_lo, exec_lo, s4
	s_mov_b32 s4, exec_lo
	s_waitcnt lgkmcnt(0)
	s_waitcnt_vscnt null, 0x0
	s_barrier
	buffer_gl0_inv
	v_cmpx_lt_i32_e32 26, v5
	s_cbranch_execz .LBB126_675
; %bb.671:
	s_clause 0x3
	buffer_load_dword v15, off, s[0:3], 0 offset:424
	buffer_load_dword v16, off, s[0:3], 0 offset:428
	;; [unrolled: 1-line block ×4, first 2 shown]
	s_movk_i32 s83, 0x1b0
	s_waitcnt vmcnt(2)
	v_mul_f64 v[19:20], v[2:3], v[15:16]
	v_mul_f64 v[15:16], v[0:1], v[15:16]
	s_waitcnt vmcnt(0)
	v_fma_f64 v[0:1], v[0:1], v[17:18], -v[19:20]
	v_fma_f64 v[2:3], v[2:3], v[17:18], v[15:16]
	buffer_store_dword v0, off, s[0:3], 0 offset:416
	buffer_store_dword v1, off, s[0:3], 0 offset:420
	;; [unrolled: 1-line block ×4, first 2 shown]
	s_branch .LBB126_673
.LBB126_672:                            ;   in Loop: Header=BB126_673 Depth=1
	s_andn2_b32 vcc_lo, exec_lo, s17
	s_cbranch_vccz .LBB126_675
.LBB126_673:                            ; =>This Inner Loop Header: Depth=1
	v_mov_b32_e32 v10, s83
	v_add_nc_u32_e32 v4, s83, v12
	s_mov_b32 s16, s83
	s_mov_b32 s17, -1
	s_cmpk_eq_i32 s83, 0x3f0
	s_clause 0x3
	buffer_load_dword v19, v10, s[0:3], 0 offen
	buffer_load_dword v20, v10, s[0:3], 0 offen offset:4
	buffer_load_dword v21, v10, s[0:3], 0 offen offset:8
	;; [unrolled: 1-line block ×3, first 2 shown]
	ds_read2_b64 v[15:18], v4 offset1:1
	s_waitcnt vmcnt(4) lgkmcnt(0)
	v_mul_f64 v[23:24], v[17:18], v[2:3]
	v_mul_f64 v[2:3], v[15:16], v[2:3]
	v_fma_f64 v[15:16], v[15:16], v[0:1], -v[23:24]
	v_fma_f64 v[0:1], v[17:18], v[0:1], v[2:3]
	s_waitcnt vmcnt(2)
	v_add_f64 v[2:3], v[19:20], -v[15:16]
	s_waitcnt vmcnt(0)
	v_add_f64 v[0:1], v[21:22], -v[0:1]
	buffer_store_dword v2, v10, s[0:3], 0 offen
	buffer_store_dword v3, v10, s[0:3], 0 offen offset:4
	buffer_store_dword v0, v10, s[0:3], 0 offen offset:8
	;; [unrolled: 1-line block ×3, first 2 shown]
                                        ; implicit-def: $vgpr0_vgpr1
                                        ; implicit-def: $vgpr2_vgpr3
	s_cbranch_scc1 .LBB126_672
; %bb.674:                              ;   in Loop: Header=BB126_673 Depth=1
	s_clause 0x3
	buffer_load_dword v19, off, s[0:3], 0 offset:424
	buffer_load_dword v20, off, s[0:3], 0 offset:428
	;; [unrolled: 1-line block ×4, first 2 shown]
	v_mov_b32_e32 v10, s16
	s_add_i32 s83, s83, 64
	s_mov_b32 s17, 0
	s_clause 0x3
	buffer_load_dword v23, v10, s[0:3], 0 offen offset:16
	buffer_load_dword v24, v10, s[0:3], 0 offen offset:20
	;; [unrolled: 1-line block ×4, first 2 shown]
	ds_read2_b64 v[0:3], v4 offset0:2 offset1:3
	ds_read2_b64 v[15:18], v4 offset0:4 offset1:5
	s_waitcnt vmcnt(6) lgkmcnt(1)
	v_mul_f64 v[27:28], v[2:3], v[19:20]
	v_mul_f64 v[19:20], v[0:1], v[19:20]
	s_waitcnt vmcnt(4)
	v_fma_f64 v[0:1], v[0:1], v[21:22], -v[27:28]
	v_fma_f64 v[2:3], v[2:3], v[21:22], v[19:20]
	s_waitcnt vmcnt(2)
	v_add_f64 v[0:1], v[23:24], -v[0:1]
	s_waitcnt vmcnt(0)
	v_add_f64 v[2:3], v[25:26], -v[2:3]
	buffer_store_dword v1, v10, s[0:3], 0 offen offset:20
	buffer_store_dword v0, v10, s[0:3], 0 offen offset:16
	;; [unrolled: 1-line block ×4, first 2 shown]
	s_clause 0x7
	buffer_load_dword v1, v10, s[0:3], 0 offen offset:36
	buffer_load_dword v2, v10, s[0:3], 0 offen offset:40
	;; [unrolled: 1-line block ×3, first 2 shown]
	buffer_load_dword v20, off, s[0:3], 0 offset:428
	buffer_load_dword v19, off, s[0:3], 0 offset:424
	;; [unrolled: 1-line block ×4, first 2 shown]
	buffer_load_dword v0, v10, s[0:3], 0 offen offset:32
	s_waitcnt vmcnt(3) lgkmcnt(0)
	v_mul_f64 v[23:24], v[17:18], v[19:20]
	v_mul_f64 v[19:20], v[15:16], v[19:20]
	s_waitcnt vmcnt(1)
	v_fma_f64 v[15:16], v[15:16], v[21:22], -v[23:24]
	v_fma_f64 v[17:18], v[17:18], v[21:22], v[19:20]
	s_waitcnt vmcnt(0)
	v_add_f64 v[0:1], v[0:1], -v[15:16]
	v_add_f64 v[2:3], v[2:3], -v[17:18]
	buffer_store_dword v1, v10, s[0:3], 0 offen offset:36
	buffer_store_dword v0, v10, s[0:3], 0 offen offset:32
	;; [unrolled: 1-line block ×4, first 2 shown]
	s_clause 0x7
	buffer_load_dword v16, v10, s[0:3], 0 offen offset:52
	buffer_load_dword v17, v10, s[0:3], 0 offen offset:56
	buffer_load_dword v18, v10, s[0:3], 0 offen offset:60
	buffer_load_dword v19, off, s[0:3], 0 offset:424
	buffer_load_dword v20, off, s[0:3], 0 offset:428
	;; [unrolled: 1-line block ×4, first 2 shown]
	buffer_load_dword v15, v10, s[0:3], 0 offen offset:48
	ds_read2_b64 v[0:3], v4 offset0:6 offset1:7
	s_waitcnt vmcnt(3) lgkmcnt(0)
	v_mul_f64 v[23:24], v[2:3], v[19:20]
	v_mul_f64 v[19:20], v[0:1], v[19:20]
	s_waitcnt vmcnt(1)
	v_fma_f64 v[0:1], v[0:1], v[21:22], -v[23:24]
	v_fma_f64 v[2:3], v[2:3], v[21:22], v[19:20]
	s_waitcnt vmcnt(0)
	v_add_f64 v[0:1], v[15:16], -v[0:1]
	v_add_f64 v[2:3], v[17:18], -v[2:3]
	buffer_store_dword v1, v10, s[0:3], 0 offen offset:52
	buffer_store_dword v0, v10, s[0:3], 0 offen offset:48
	;; [unrolled: 1-line block ×4, first 2 shown]
	s_clause 0x3
	buffer_load_dword v0, off, s[0:3], 0 offset:416
	buffer_load_dword v1, off, s[0:3], 0 offset:420
	;; [unrolled: 1-line block ×4, first 2 shown]
	s_branch .LBB126_672
.LBB126_675:
	s_or_b32 exec_lo, exec_lo, s4
	s_waitcnt vmcnt(0)
	v_mov_b32_e32 v3, s55
	s_waitcnt_vscnt null, 0x0
	s_barrier
	buffer_gl0_inv
	v_lshl_add_u32 v4, v5, 4, v12
	s_clause 0x3
	buffer_load_dword v0, v3, s[0:3], 0 offen
	buffer_load_dword v1, v3, s[0:3], 0 offen offset:4
	buffer_load_dword v2, v3, s[0:3], 0 offen offset:8
	;; [unrolled: 1-line block ×3, first 2 shown]
	s_cmp_lt_i32 s57, 29
	s_waitcnt vmcnt(0)
	ds_write2_b64 v4, v[0:1], v[2:3] offset1:1
	s_waitcnt lgkmcnt(0)
	s_barrier
	buffer_gl0_inv
	ds_read2_b64 v[0:3], v12 offset0:54 offset1:55
	v_mov_b32_e32 v4, 27
	s_cbranch_scc1 .LBB126_678
; %bb.676:
	v_add3_u32 v10, v14, 0, 0x1c0
	v_mov_b32_e32 v4, 27
	s_mov_b32 s16, 28
	s_inst_prefetch 0x1
	.p2align	6
.LBB126_677:                            ; =>This Inner Loop Header: Depth=1
	s_waitcnt lgkmcnt(0)
	v_cmp_gt_f64_e32 vcc_lo, 0, v[2:3]
	v_cmp_gt_f64_e64 s4, 0, v[0:1]
	ds_read2_b64 v[15:18], v10 offset1:1
	v_xor_b32_e32 v20, 0x80000000, v1
	v_xor_b32_e32 v22, 0x80000000, v3
	v_mov_b32_e32 v19, v0
	v_mov_b32_e32 v21, v2
	v_add_nc_u32_e32 v10, 16, v10
	s_waitcnt lgkmcnt(0)
	v_xor_b32_e32 v24, 0x80000000, v18
	v_cndmask_b32_e64 v20, v1, v20, s4
	v_cndmask_b32_e32 v22, v3, v22, vcc_lo
	v_cmp_gt_f64_e32 vcc_lo, 0, v[17:18]
	v_cmp_gt_f64_e64 s4, 0, v[15:16]
	v_mov_b32_e32 v23, v17
	v_add_f64 v[19:20], v[19:20], v[21:22]
	v_xor_b32_e32 v22, 0x80000000, v16
	v_mov_b32_e32 v21, v15
	v_cndmask_b32_e32 v24, v18, v24, vcc_lo
	v_cndmask_b32_e64 v22, v16, v22, s4
	v_add_f64 v[21:22], v[21:22], v[23:24]
	v_cmp_lt_f64_e32 vcc_lo, v[19:20], v[21:22]
	v_cndmask_b32_e32 v1, v1, v16, vcc_lo
	v_cndmask_b32_e32 v0, v0, v15, vcc_lo
	v_cndmask_b32_e32 v3, v3, v18, vcc_lo
	v_cndmask_b32_e32 v2, v2, v17, vcc_lo
	v_cndmask_b32_e64 v4, v4, s16, vcc_lo
	s_add_i32 s16, s16, 1
	s_cmp_lg_u32 s57, s16
	s_cbranch_scc1 .LBB126_677
.LBB126_678:
	s_inst_prefetch 0x2
	s_waitcnt lgkmcnt(0)
	v_cmp_eq_f64_e32 vcc_lo, 0, v[0:1]
	v_cmp_eq_f64_e64 s4, 0, v[2:3]
	s_and_b32 s4, vcc_lo, s4
	s_and_saveexec_b32 s16, s4
	s_xor_b32 s4, exec_lo, s16
; %bb.679:
	v_cmp_ne_u32_e32 vcc_lo, 0, v13
	v_cndmask_b32_e32 v13, 28, v13, vcc_lo
; %bb.680:
	s_andn2_saveexec_b32 s4, s4
	s_cbranch_execz .LBB126_686
; %bb.681:
	v_cmp_ngt_f64_e64 s16, |v[0:1]|, |v[2:3]|
	s_and_saveexec_b32 s17, s16
	s_xor_b32 s16, exec_lo, s17
	s_cbranch_execz .LBB126_683
; %bb.682:
	v_div_scale_f64 v[15:16], null, v[2:3], v[2:3], v[0:1]
	v_div_scale_f64 v[21:22], vcc_lo, v[0:1], v[2:3], v[0:1]
	v_rcp_f64_e32 v[17:18], v[15:16]
	v_fma_f64 v[19:20], -v[15:16], v[17:18], 1.0
	v_fma_f64 v[17:18], v[17:18], v[19:20], v[17:18]
	v_fma_f64 v[19:20], -v[15:16], v[17:18], 1.0
	v_fma_f64 v[17:18], v[17:18], v[19:20], v[17:18]
	v_mul_f64 v[19:20], v[21:22], v[17:18]
	v_fma_f64 v[15:16], -v[15:16], v[19:20], v[21:22]
	v_div_fmas_f64 v[15:16], v[15:16], v[17:18], v[19:20]
	v_div_fixup_f64 v[15:16], v[15:16], v[2:3], v[0:1]
	v_fma_f64 v[0:1], v[0:1], v[15:16], v[2:3]
	v_div_scale_f64 v[2:3], null, v[0:1], v[0:1], 1.0
	v_rcp_f64_e32 v[17:18], v[2:3]
	v_fma_f64 v[19:20], -v[2:3], v[17:18], 1.0
	v_fma_f64 v[17:18], v[17:18], v[19:20], v[17:18]
	v_fma_f64 v[19:20], -v[2:3], v[17:18], 1.0
	v_fma_f64 v[17:18], v[17:18], v[19:20], v[17:18]
	v_div_scale_f64 v[19:20], vcc_lo, 1.0, v[0:1], 1.0
	v_mul_f64 v[21:22], v[19:20], v[17:18]
	v_fma_f64 v[2:3], -v[2:3], v[21:22], v[19:20]
	v_div_fmas_f64 v[2:3], v[2:3], v[17:18], v[21:22]
	v_div_fixup_f64 v[2:3], v[2:3], v[0:1], 1.0
	v_mul_f64 v[0:1], v[15:16], v[2:3]
	v_xor_b32_e32 v3, 0x80000000, v3
.LBB126_683:
	s_andn2_saveexec_b32 s16, s16
	s_cbranch_execz .LBB126_685
; %bb.684:
	v_div_scale_f64 v[15:16], null, v[0:1], v[0:1], v[2:3]
	v_div_scale_f64 v[21:22], vcc_lo, v[2:3], v[0:1], v[2:3]
	v_rcp_f64_e32 v[17:18], v[15:16]
	v_fma_f64 v[19:20], -v[15:16], v[17:18], 1.0
	v_fma_f64 v[17:18], v[17:18], v[19:20], v[17:18]
	v_fma_f64 v[19:20], -v[15:16], v[17:18], 1.0
	v_fma_f64 v[17:18], v[17:18], v[19:20], v[17:18]
	v_mul_f64 v[19:20], v[21:22], v[17:18]
	v_fma_f64 v[15:16], -v[15:16], v[19:20], v[21:22]
	v_div_fmas_f64 v[15:16], v[15:16], v[17:18], v[19:20]
	v_div_fixup_f64 v[15:16], v[15:16], v[0:1], v[2:3]
	v_fma_f64 v[0:1], v[2:3], v[15:16], v[0:1]
	v_div_scale_f64 v[2:3], null, v[0:1], v[0:1], 1.0
	v_rcp_f64_e32 v[17:18], v[2:3]
	v_fma_f64 v[19:20], -v[2:3], v[17:18], 1.0
	v_fma_f64 v[17:18], v[17:18], v[19:20], v[17:18]
	v_fma_f64 v[19:20], -v[2:3], v[17:18], 1.0
	v_fma_f64 v[17:18], v[17:18], v[19:20], v[17:18]
	v_div_scale_f64 v[19:20], vcc_lo, 1.0, v[0:1], 1.0
	v_mul_f64 v[21:22], v[19:20], v[17:18]
	v_fma_f64 v[2:3], -v[2:3], v[21:22], v[19:20]
	v_div_fmas_f64 v[2:3], v[2:3], v[17:18], v[21:22]
	v_div_fixup_f64 v[0:1], v[2:3], v[0:1], 1.0
	v_mul_f64 v[2:3], v[15:16], -v[0:1]
.LBB126_685:
	s_or_b32 exec_lo, exec_lo, s16
.LBB126_686:
	s_or_b32 exec_lo, exec_lo, s4
	s_mov_b32 s4, exec_lo
	v_cmpx_ne_u32_e64 v5, v4
	s_xor_b32 s4, exec_lo, s4
	s_cbranch_execz .LBB126_692
; %bb.687:
	s_mov_b32 s16, exec_lo
	v_cmpx_eq_u32_e32 27, v5
	s_cbranch_execz .LBB126_691
; %bb.688:
	v_cmp_ne_u32_e32 vcc_lo, 27, v4
	s_xor_b32 s17, s20, -1
	s_and_b32 s56, s17, vcc_lo
	s_and_saveexec_b32 s17, s56
	s_cbranch_execz .LBB126_690
; %bb.689:
	v_ashrrev_i32_e32 v5, 31, v4
	v_lshlrev_b64 v[10:11], 2, v[4:5]
	v_add_co_u32 v10, vcc_lo, v8, v10
	v_add_co_ci_u32_e64 v11, null, v9, v11, vcc_lo
	s_clause 0x1
	global_load_dword v5, v[10:11], off
	global_load_dword v15, v[8:9], off offset:108
	s_waitcnt vmcnt(1)
	global_store_dword v[8:9], v5, off offset:108
	s_waitcnt vmcnt(0)
	global_store_dword v[10:11], v15, off
.LBB126_690:
	s_or_b32 exec_lo, exec_lo, s17
	v_mov_b32_e32 v5, v4
	v_mov_b32_e32 v11, v4
.LBB126_691:
	s_or_b32 exec_lo, exec_lo, s16
.LBB126_692:
	s_andn2_saveexec_b32 s4, s4
	s_cbranch_execz .LBB126_694
; %bb.693:
	v_mov_b32_e32 v4, s54
	v_mov_b32_e32 v5, s53
	;; [unrolled: 1-line block ×5, first 2 shown]
	s_clause 0x7
	buffer_load_dword v15, v4, s[0:3], 0 offen
	buffer_load_dword v16, v4, s[0:3], 0 offen offset:4
	buffer_load_dword v17, v4, s[0:3], 0 offen offset:8
	buffer_load_dword v18, v4, s[0:3], 0 offen offset:12
	buffer_load_dword v19, v5, s[0:3], 0 offen
	buffer_load_dword v20, v5, s[0:3], 0 offen offset:4
	buffer_load_dword v21, v5, s[0:3], 0 offen offset:8
	buffer_load_dword v22, v5, s[0:3], 0 offen offset:12
	v_mov_b32_e32 v5, s50
	v_mov_b32_e32 v4, s8
	s_clause 0x7
	buffer_load_dword v23, v10, s[0:3], 0 offen
	buffer_load_dword v24, v10, s[0:3], 0 offen offset:4
	buffer_load_dword v25, v10, s[0:3], 0 offen offset:8
	buffer_load_dword v26, v10, s[0:3], 0 offen offset:12
	buffer_load_dword v27, v4, s[0:3], 0 offen
	buffer_load_dword v28, v4, s[0:3], 0 offen offset:4
	buffer_load_dword v29, v4, s[0:3], 0 offen offset:8
	buffer_load_dword v30, v4, s[0:3], 0 offen offset:12
	v_mov_b32_e32 v4, s49
	v_mov_b32_e32 v10, s48
	s_clause 0x7
	buffer_load_dword v31, v5, s[0:3], 0 offen
	buffer_load_dword v32, v5, s[0:3], 0 offen offset:4
	buffer_load_dword v33, v5, s[0:3], 0 offen offset:8
	buffer_load_dword v34, v5, s[0:3], 0 offen offset:12
	buffer_load_dword v35, v4, s[0:3], 0 offen
	buffer_load_dword v36, v4, s[0:3], 0 offen offset:4
	buffer_load_dword v37, v4, s[0:3], 0 offen offset:8
	buffer_load_dword v38, v4, s[0:3], 0 offen offset:12
	v_mov_b32_e32 v5, s46
	v_mov_b32_e32 v4, s47
	s_clause 0x7
	buffer_load_dword v39, v10, s[0:3], 0 offen
	buffer_load_dword v40, v10, s[0:3], 0 offen offset:4
	buffer_load_dword v41, v10, s[0:3], 0 offen offset:8
	buffer_load_dword v42, v10, s[0:3], 0 offen offset:12
	buffer_load_dword v43, v4, s[0:3], 0 offen
	buffer_load_dword v44, v4, s[0:3], 0 offen offset:4
	buffer_load_dword v45, v4, s[0:3], 0 offen offset:8
	buffer_load_dword v46, v4, s[0:3], 0 offen offset:12
	v_mov_b32_e32 v4, s45
	v_mov_b32_e32 v10, s44
	s_clause 0x7
	buffer_load_dword v47, v5, s[0:3], 0 offen
	buffer_load_dword v48, v5, s[0:3], 0 offen offset:4
	buffer_load_dword v49, v5, s[0:3], 0 offen offset:8
	buffer_load_dword v50, v5, s[0:3], 0 offen offset:12
	buffer_load_dword v51, v4, s[0:3], 0 offen
	buffer_load_dword v52, v4, s[0:3], 0 offen offset:4
	buffer_load_dword v53, v4, s[0:3], 0 offen offset:8
	buffer_load_dword v54, v4, s[0:3], 0 offen offset:12
	v_mov_b32_e32 v5, s42
	v_mov_b32_e32 v4, s43
	s_clause 0x7
	buffer_load_dword v55, v10, s[0:3], 0 offen
	buffer_load_dword v56, v10, s[0:3], 0 offen offset:4
	buffer_load_dword v57, v10, s[0:3], 0 offen offset:8
	;; [unrolled: 1-line block ×3, first 2 shown]
	buffer_load_dword v59, v4, s[0:3], 0 offen
	buffer_load_dword v60, v4, s[0:3], 0 offen offset:4
	buffer_load_dword v61, v4, s[0:3], 0 offen offset:8
	buffer_load_dword v62, v4, s[0:3], 0 offen offset:12
	v_mov_b32_e32 v4, s41
	s_clause 0x7
	buffer_load_dword v63, v5, s[0:3], 0 offen
	buffer_load_dword v64, v5, s[0:3], 0 offen offset:4
	buffer_load_dword v65, v5, s[0:3], 0 offen offset:8
	;; [unrolled: 1-line block ×3, first 2 shown]
	buffer_load_dword v67, v4, s[0:3], 0 offen
	buffer_load_dword v68, v4, s[0:3], 0 offen offset:4
	buffer_load_dword v69, v4, s[0:3], 0 offen offset:8
	;; [unrolled: 1-line block ×3, first 2 shown]
	v_mov_b32_e32 v4, s40
	v_mov_b32_e32 v5, s39
	;; [unrolled: 1-line block ×20, first 2 shown]
	s_clause 0x3e
	buffer_load_dword v71, v4, s[0:3], 0 offen
	buffer_load_dword v72, v4, s[0:3], 0 offen offset:4
	buffer_load_dword v73, v4, s[0:3], 0 offen offset:8
	buffer_load_dword v74, v4, s[0:3], 0 offen offset:12
	buffer_load_dword v75, v5, s[0:3], 0 offen
	buffer_load_dword v76, v5, s[0:3], 0 offen offset:4
	buffer_load_dword v77, v5, s[0:3], 0 offen offset:8
	buffer_load_dword v78, v5, s[0:3], 0 offen offset:12
	;; [unrolled: 4-line block ×15, first 2 shown]
	buffer_load_dword v131, v134, s[0:3], 0 offen
	buffer_load_dword v132, v134, s[0:3], 0 offen offset:4
	buffer_load_dword v133, v134, s[0:3], 0 offen offset:8
	s_clause 0x18
	buffer_load_dword v134, v134, s[0:3], 0 offen offset:12
	buffer_load_dword v135, v138, s[0:3], 0 offen
	buffer_load_dword v136, v138, s[0:3], 0 offen offset:4
	buffer_load_dword v137, v138, s[0:3], 0 offen offset:8
	buffer_load_dword v138, v138, s[0:3], 0 offen offset:12
	buffer_load_dword v139, v142, s[0:3], 0 offen
	buffer_load_dword v140, v142, s[0:3], 0 offen offset:4
	buffer_load_dword v141, v142, s[0:3], 0 offen offset:8
	;; [unrolled: 4-line block ×6, first 2 shown]
	buffer_load_dword v161, v161, s[0:3], 0 offen offset:12
	v_mov_b32_e32 v5, 27
	s_waitcnt vmcnt(62)
	ds_write2_b64 v12, v[15:16], v[17:18] offset0:56 offset1:57
	ds_write2_b64 v12, v[19:20], v[21:22] offset0:58 offset1:59
	;; [unrolled: 1-line block ×20, first 2 shown]
	s_waitcnt vmcnt(60)
	ds_write2_b64 v12, v[95:96], v[97:98] offset0:96 offset1:97
	s_waitcnt vmcnt(56)
	ds_write2_b64 v12, v[99:100], v[101:102] offset0:98 offset1:99
	;; [unrolled: 2-line block ×16, first 2 shown]
.LBB126_694:
	s_or_b32 exec_lo, exec_lo, s4
	s_mov_b32 s4, exec_lo
	s_waitcnt lgkmcnt(0)
	s_waitcnt_vscnt null, 0x0
	s_barrier
	buffer_gl0_inv
	v_cmpx_lt_i32_e32 27, v5
	s_cbranch_execz .LBB126_697
; %bb.695:
	s_clause 0x3
	buffer_load_dword v15, off, s[0:3], 0 offset:440
	buffer_load_dword v16, off, s[0:3], 0 offset:444
	;; [unrolled: 1-line block ×4, first 2 shown]
	s_movk_i32 s83, 0x1c0
	s_waitcnt vmcnt(2)
	v_mul_f64 v[19:20], v[2:3], v[15:16]
	v_mul_f64 v[15:16], v[0:1], v[15:16]
	s_waitcnt vmcnt(0)
	v_fma_f64 v[0:1], v[0:1], v[17:18], -v[19:20]
	v_fma_f64 v[2:3], v[2:3], v[17:18], v[15:16]
	buffer_store_dword v0, off, s[0:3], 0 offset:432
	buffer_store_dword v1, off, s[0:3], 0 offset:436
	;; [unrolled: 1-line block ×4, first 2 shown]
.LBB126_696:                            ; =>This Inner Loop Header: Depth=1
	s_clause 0x3
	buffer_load_dword v19, off, s[0:3], 0 offset:440
	buffer_load_dword v20, off, s[0:3], 0 offset:444
	;; [unrolled: 1-line block ×4, first 2 shown]
	v_mov_b32_e32 v4, s83
	v_add_nc_u32_e32 v10, s83, v12
	s_addk_i32 s83, 0x60
	s_clause 0x3
	buffer_load_dword v23, v4, s[0:3], 0 offen
	buffer_load_dword v24, v4, s[0:3], 0 offen offset:4
	buffer_load_dword v25, v4, s[0:3], 0 offen offset:8
	;; [unrolled: 1-line block ×3, first 2 shown]
	ds_read2_b64 v[0:3], v10 offset1:1
	s_clause 0x3
	buffer_load_dword v27, v4, s[0:3], 0 offen offset:16
	buffer_load_dword v28, v4, s[0:3], 0 offen offset:20
	;; [unrolled: 1-line block ×4, first 2 shown]
	ds_read2_b64 v[15:18], v10 offset0:2 offset1:3
	s_cmpk_lg_i32 s83, 0x400
	s_waitcnt vmcnt(10) lgkmcnt(1)
	v_mul_f64 v[31:32], v[2:3], v[19:20]
	v_mul_f64 v[19:20], v[0:1], v[19:20]
	s_waitcnt vmcnt(8)
	v_fma_f64 v[0:1], v[0:1], v[21:22], -v[31:32]
	v_fma_f64 v[2:3], v[2:3], v[21:22], v[19:20]
	s_waitcnt vmcnt(6)
	v_add_f64 v[0:1], v[23:24], -v[0:1]
	s_waitcnt vmcnt(4)
	v_add_f64 v[2:3], v[25:26], -v[2:3]
	buffer_store_dword v1, v4, s[0:3], 0 offen offset:4
	buffer_store_dword v0, v4, s[0:3], 0 offen
	buffer_store_dword v3, v4, s[0:3], 0 offen offset:12
	buffer_store_dword v2, v4, s[0:3], 0 offen offset:8
	s_clause 0x3
	buffer_load_dword v1, off, s[0:3], 0 offset:444
	buffer_load_dword v0, off, s[0:3], 0 offset:440
	;; [unrolled: 1-line block ×4, first 2 shown]
	s_waitcnt vmcnt(2) lgkmcnt(0)
	v_mul_f64 v[19:20], v[17:18], v[0:1]
	v_mul_f64 v[0:1], v[15:16], v[0:1]
	s_waitcnt vmcnt(0)
	v_fma_f64 v[15:16], v[15:16], v[2:3], -v[19:20]
	v_fma_f64 v[0:1], v[17:18], v[2:3], v[0:1]
	s_clause 0x3
	buffer_load_dword v19, v4, s[0:3], 0 offen offset:32
	buffer_load_dword v20, v4, s[0:3], 0 offen offset:36
	;; [unrolled: 1-line block ×4, first 2 shown]
	v_add_f64 v[2:3], v[27:28], -v[15:16]
	v_add_f64 v[0:1], v[29:30], -v[0:1]
	buffer_store_dword v3, v4, s[0:3], 0 offen offset:20
	buffer_store_dword v2, v4, s[0:3], 0 offen offset:16
	;; [unrolled: 1-line block ×4, first 2 shown]
	s_clause 0x3
	buffer_load_dword v23, off, s[0:3], 0 offset:440
	buffer_load_dword v24, off, s[0:3], 0 offset:444
	buffer_load_dword v25, off, s[0:3], 0 offset:432
	buffer_load_dword v26, off, s[0:3], 0 offset:436
	ds_read2_b64 v[0:3], v10 offset0:4 offset1:5
	ds_read2_b64 v[15:18], v10 offset0:6 offset1:7
	s_waitcnt vmcnt(2) lgkmcnt(1)
	v_mul_f64 v[27:28], v[2:3], v[23:24]
	v_mul_f64 v[23:24], v[0:1], v[23:24]
	s_waitcnt vmcnt(0)
	v_fma_f64 v[0:1], v[0:1], v[25:26], -v[27:28]
	v_fma_f64 v[2:3], v[2:3], v[25:26], v[23:24]
	v_add_f64 v[0:1], v[19:20], -v[0:1]
	v_add_f64 v[2:3], v[21:22], -v[2:3]
	buffer_store_dword v1, v4, s[0:3], 0 offen offset:36
	buffer_store_dword v0, v4, s[0:3], 0 offen offset:32
	;; [unrolled: 1-line block ×4, first 2 shown]
	s_clause 0x7
	buffer_load_dword v0, off, s[0:3], 0 offset:440
	buffer_load_dword v1, off, s[0:3], 0 offset:444
	;; [unrolled: 1-line block ×4, first 2 shown]
	buffer_load_dword v19, v4, s[0:3], 0 offen offset:48
	buffer_load_dword v20, v4, s[0:3], 0 offen offset:52
	;; [unrolled: 1-line block ×4, first 2 shown]
	s_waitcnt vmcnt(6) lgkmcnt(0)
	v_mul_f64 v[23:24], v[17:18], v[0:1]
	v_mul_f64 v[0:1], v[15:16], v[0:1]
	s_waitcnt vmcnt(4)
	v_fma_f64 v[15:16], v[15:16], v[2:3], -v[23:24]
	v_fma_f64 v[0:1], v[17:18], v[2:3], v[0:1]
	s_waitcnt vmcnt(2)
	v_add_f64 v[2:3], v[19:20], -v[15:16]
	s_waitcnt vmcnt(0)
	v_add_f64 v[0:1], v[21:22], -v[0:1]
	buffer_store_dword v3, v4, s[0:3], 0 offen offset:52
	buffer_store_dword v2, v4, s[0:3], 0 offen offset:48
	;; [unrolled: 1-line block ×4, first 2 shown]
	s_clause 0x7
	buffer_load_dword v19, off, s[0:3], 0 offset:440
	buffer_load_dword v20, off, s[0:3], 0 offset:444
	;; [unrolled: 1-line block ×4, first 2 shown]
	buffer_load_dword v23, v4, s[0:3], 0 offen offset:64
	buffer_load_dword v24, v4, s[0:3], 0 offen offset:68
	;; [unrolled: 1-line block ×4, first 2 shown]
	ds_read2_b64 v[0:3], v10 offset0:8 offset1:9
	ds_read2_b64 v[15:18], v10 offset0:10 offset1:11
	s_waitcnt vmcnt(6) lgkmcnt(1)
	v_mul_f64 v[27:28], v[2:3], v[19:20]
	v_mul_f64 v[19:20], v[0:1], v[19:20]
	s_waitcnt vmcnt(4)
	v_fma_f64 v[0:1], v[0:1], v[21:22], -v[27:28]
	v_fma_f64 v[2:3], v[2:3], v[21:22], v[19:20]
	s_waitcnt vmcnt(2)
	v_add_f64 v[0:1], v[23:24], -v[0:1]
	s_waitcnt vmcnt(0)
	v_add_f64 v[2:3], v[25:26], -v[2:3]
	buffer_store_dword v1, v4, s[0:3], 0 offen offset:68
	buffer_store_dword v0, v4, s[0:3], 0 offen offset:64
	;; [unrolled: 1-line block ×4, first 2 shown]
	s_clause 0x7
	buffer_load_dword v0, off, s[0:3], 0 offset:440
	buffer_load_dword v1, off, s[0:3], 0 offset:444
	;; [unrolled: 1-line block ×4, first 2 shown]
	buffer_load_dword v19, v4, s[0:3], 0 offen offset:80
	buffer_load_dword v20, v4, s[0:3], 0 offen offset:84
	;; [unrolled: 1-line block ×4, first 2 shown]
	s_waitcnt vmcnt(6) lgkmcnt(0)
	v_mul_f64 v[23:24], v[17:18], v[0:1]
	v_mul_f64 v[0:1], v[15:16], v[0:1]
	s_waitcnt vmcnt(4)
	v_fma_f64 v[15:16], v[15:16], v[2:3], -v[23:24]
	v_fma_f64 v[0:1], v[17:18], v[2:3], v[0:1]
	s_waitcnt vmcnt(2)
	v_add_f64 v[2:3], v[19:20], -v[15:16]
	s_waitcnt vmcnt(0)
	v_add_f64 v[0:1], v[21:22], -v[0:1]
	buffer_store_dword v3, v4, s[0:3], 0 offen offset:84
	buffer_store_dword v2, v4, s[0:3], 0 offen offset:80
	;; [unrolled: 1-line block ×4, first 2 shown]
	s_cbranch_scc1 .LBB126_696
.LBB126_697:
	s_or_b32 exec_lo, exec_lo, s4
	v_mov_b32_e32 v3, s54
	s_waitcnt_vscnt null, 0x0
	s_barrier
	buffer_gl0_inv
	v_lshl_add_u32 v4, v5, 4, v12
	s_clause 0x3
	buffer_load_dword v0, v3, s[0:3], 0 offen
	buffer_load_dword v1, v3, s[0:3], 0 offen offset:4
	buffer_load_dword v2, v3, s[0:3], 0 offen offset:8
	;; [unrolled: 1-line block ×3, first 2 shown]
	s_cmp_lt_i32 s57, 30
	s_waitcnt vmcnt(0)
	ds_write2_b64 v4, v[0:1], v[2:3] offset1:1
	s_waitcnt lgkmcnt(0)
	s_barrier
	buffer_gl0_inv
	ds_read2_b64 v[0:3], v12 offset0:56 offset1:57
	v_mov_b32_e32 v4, 28
	s_cbranch_scc1 .LBB126_700
; %bb.698:
	v_add3_u32 v10, v14, 0, 0x1d0
	v_mov_b32_e32 v4, 28
	s_mov_b32 s16, 29
	s_inst_prefetch 0x1
	.p2align	6
.LBB126_699:                            ; =>This Inner Loop Header: Depth=1
	s_waitcnt lgkmcnt(0)
	v_cmp_gt_f64_e32 vcc_lo, 0, v[2:3]
	v_cmp_gt_f64_e64 s4, 0, v[0:1]
	ds_read2_b64 v[15:18], v10 offset1:1
	v_xor_b32_e32 v20, 0x80000000, v1
	v_xor_b32_e32 v22, 0x80000000, v3
	v_mov_b32_e32 v19, v0
	v_mov_b32_e32 v21, v2
	v_add_nc_u32_e32 v10, 16, v10
	s_waitcnt lgkmcnt(0)
	v_xor_b32_e32 v24, 0x80000000, v18
	v_cndmask_b32_e64 v20, v1, v20, s4
	v_cndmask_b32_e32 v22, v3, v22, vcc_lo
	v_cmp_gt_f64_e32 vcc_lo, 0, v[17:18]
	v_cmp_gt_f64_e64 s4, 0, v[15:16]
	v_mov_b32_e32 v23, v17
	v_add_f64 v[19:20], v[19:20], v[21:22]
	v_xor_b32_e32 v22, 0x80000000, v16
	v_mov_b32_e32 v21, v15
	v_cndmask_b32_e32 v24, v18, v24, vcc_lo
	v_cndmask_b32_e64 v22, v16, v22, s4
	v_add_f64 v[21:22], v[21:22], v[23:24]
	v_cmp_lt_f64_e32 vcc_lo, v[19:20], v[21:22]
	v_cndmask_b32_e32 v1, v1, v16, vcc_lo
	v_cndmask_b32_e32 v0, v0, v15, vcc_lo
	;; [unrolled: 1-line block ×4, first 2 shown]
	v_cndmask_b32_e64 v4, v4, s16, vcc_lo
	s_add_i32 s16, s16, 1
	s_cmp_lg_u32 s57, s16
	s_cbranch_scc1 .LBB126_699
.LBB126_700:
	s_inst_prefetch 0x2
	s_waitcnt lgkmcnt(0)
	v_cmp_eq_f64_e32 vcc_lo, 0, v[0:1]
	v_cmp_eq_f64_e64 s4, 0, v[2:3]
	s_and_b32 s4, vcc_lo, s4
	s_and_saveexec_b32 s16, s4
	s_xor_b32 s4, exec_lo, s16
; %bb.701:
	v_cmp_ne_u32_e32 vcc_lo, 0, v13
	v_cndmask_b32_e32 v13, 29, v13, vcc_lo
; %bb.702:
	s_andn2_saveexec_b32 s4, s4
	s_cbranch_execz .LBB126_708
; %bb.703:
	v_cmp_ngt_f64_e64 s16, |v[0:1]|, |v[2:3]|
	s_and_saveexec_b32 s17, s16
	s_xor_b32 s16, exec_lo, s17
	s_cbranch_execz .LBB126_705
; %bb.704:
	v_div_scale_f64 v[15:16], null, v[2:3], v[2:3], v[0:1]
	v_div_scale_f64 v[21:22], vcc_lo, v[0:1], v[2:3], v[0:1]
	v_rcp_f64_e32 v[17:18], v[15:16]
	v_fma_f64 v[19:20], -v[15:16], v[17:18], 1.0
	v_fma_f64 v[17:18], v[17:18], v[19:20], v[17:18]
	v_fma_f64 v[19:20], -v[15:16], v[17:18], 1.0
	v_fma_f64 v[17:18], v[17:18], v[19:20], v[17:18]
	v_mul_f64 v[19:20], v[21:22], v[17:18]
	v_fma_f64 v[15:16], -v[15:16], v[19:20], v[21:22]
	v_div_fmas_f64 v[15:16], v[15:16], v[17:18], v[19:20]
	v_div_fixup_f64 v[15:16], v[15:16], v[2:3], v[0:1]
	v_fma_f64 v[0:1], v[0:1], v[15:16], v[2:3]
	v_div_scale_f64 v[2:3], null, v[0:1], v[0:1], 1.0
	v_rcp_f64_e32 v[17:18], v[2:3]
	v_fma_f64 v[19:20], -v[2:3], v[17:18], 1.0
	v_fma_f64 v[17:18], v[17:18], v[19:20], v[17:18]
	v_fma_f64 v[19:20], -v[2:3], v[17:18], 1.0
	v_fma_f64 v[17:18], v[17:18], v[19:20], v[17:18]
	v_div_scale_f64 v[19:20], vcc_lo, 1.0, v[0:1], 1.0
	v_mul_f64 v[21:22], v[19:20], v[17:18]
	v_fma_f64 v[2:3], -v[2:3], v[21:22], v[19:20]
	v_div_fmas_f64 v[2:3], v[2:3], v[17:18], v[21:22]
	v_div_fixup_f64 v[2:3], v[2:3], v[0:1], 1.0
	v_mul_f64 v[0:1], v[15:16], v[2:3]
	v_xor_b32_e32 v3, 0x80000000, v3
.LBB126_705:
	s_andn2_saveexec_b32 s16, s16
	s_cbranch_execz .LBB126_707
; %bb.706:
	v_div_scale_f64 v[15:16], null, v[0:1], v[0:1], v[2:3]
	v_div_scale_f64 v[21:22], vcc_lo, v[2:3], v[0:1], v[2:3]
	v_rcp_f64_e32 v[17:18], v[15:16]
	v_fma_f64 v[19:20], -v[15:16], v[17:18], 1.0
	v_fma_f64 v[17:18], v[17:18], v[19:20], v[17:18]
	v_fma_f64 v[19:20], -v[15:16], v[17:18], 1.0
	v_fma_f64 v[17:18], v[17:18], v[19:20], v[17:18]
	v_mul_f64 v[19:20], v[21:22], v[17:18]
	v_fma_f64 v[15:16], -v[15:16], v[19:20], v[21:22]
	v_div_fmas_f64 v[15:16], v[15:16], v[17:18], v[19:20]
	v_div_fixup_f64 v[15:16], v[15:16], v[0:1], v[2:3]
	v_fma_f64 v[0:1], v[2:3], v[15:16], v[0:1]
	v_div_scale_f64 v[2:3], null, v[0:1], v[0:1], 1.0
	v_rcp_f64_e32 v[17:18], v[2:3]
	v_fma_f64 v[19:20], -v[2:3], v[17:18], 1.0
	v_fma_f64 v[17:18], v[17:18], v[19:20], v[17:18]
	v_fma_f64 v[19:20], -v[2:3], v[17:18], 1.0
	v_fma_f64 v[17:18], v[17:18], v[19:20], v[17:18]
	v_div_scale_f64 v[19:20], vcc_lo, 1.0, v[0:1], 1.0
	v_mul_f64 v[21:22], v[19:20], v[17:18]
	v_fma_f64 v[2:3], -v[2:3], v[21:22], v[19:20]
	v_div_fmas_f64 v[2:3], v[2:3], v[17:18], v[21:22]
	v_div_fixup_f64 v[0:1], v[2:3], v[0:1], 1.0
	v_mul_f64 v[2:3], v[15:16], -v[0:1]
.LBB126_707:
	s_or_b32 exec_lo, exec_lo, s16
.LBB126_708:
	s_or_b32 exec_lo, exec_lo, s4
	s_mov_b32 s4, exec_lo
	v_cmpx_ne_u32_e64 v5, v4
	s_xor_b32 s4, exec_lo, s4
	s_cbranch_execz .LBB126_714
; %bb.709:
	s_mov_b32 s16, exec_lo
	v_cmpx_eq_u32_e32 28, v5
	s_cbranch_execz .LBB126_713
; %bb.710:
	v_cmp_ne_u32_e32 vcc_lo, 28, v4
	s_xor_b32 s17, s20, -1
	s_and_b32 s56, s17, vcc_lo
	s_and_saveexec_b32 s17, s56
	s_cbranch_execz .LBB126_712
; %bb.711:
	v_ashrrev_i32_e32 v5, 31, v4
	v_lshlrev_b64 v[10:11], 2, v[4:5]
	v_add_co_u32 v10, vcc_lo, v8, v10
	v_add_co_ci_u32_e64 v11, null, v9, v11, vcc_lo
	s_clause 0x1
	global_load_dword v5, v[10:11], off
	global_load_dword v15, v[8:9], off offset:112
	s_waitcnt vmcnt(1)
	global_store_dword v[8:9], v5, off offset:112
	s_waitcnt vmcnt(0)
	global_store_dword v[10:11], v15, off
.LBB126_712:
	s_or_b32 exec_lo, exec_lo, s17
	v_mov_b32_e32 v5, v4
	v_mov_b32_e32 v11, v4
.LBB126_713:
	s_or_b32 exec_lo, exec_lo, s16
.LBB126_714:
	s_andn2_saveexec_b32 s4, s4
	s_cbranch_execz .LBB126_716
; %bb.715:
	v_mov_b32_e32 v4, s53
	v_mov_b32_e32 v10, s8
	;; [unrolled: 1-line block ×5, first 2 shown]
	s_clause 0x7
	buffer_load_dword v15, v4, s[0:3], 0 offen
	buffer_load_dword v16, v4, s[0:3], 0 offen offset:4
	buffer_load_dword v17, v4, s[0:3], 0 offen offset:8
	;; [unrolled: 1-line block ×3, first 2 shown]
	buffer_load_dword v19, v5, s[0:3], 0 offen
	buffer_load_dword v20, v5, s[0:3], 0 offen offset:4
	buffer_load_dword v21, v5, s[0:3], 0 offen offset:8
	;; [unrolled: 1-line block ×3, first 2 shown]
	v_mov_b32_e32 v4, s50
	v_mov_b32_e32 v5, s49
	s_clause 0x7
	buffer_load_dword v23, v10, s[0:3], 0 offen
	buffer_load_dword v24, v10, s[0:3], 0 offen offset:4
	buffer_load_dword v25, v10, s[0:3], 0 offen offset:8
	;; [unrolled: 1-line block ×3, first 2 shown]
	buffer_load_dword v27, v4, s[0:3], 0 offen
	buffer_load_dword v28, v4, s[0:3], 0 offen offset:4
	buffer_load_dword v29, v4, s[0:3], 0 offen offset:8
	;; [unrolled: 1-line block ×3, first 2 shown]
	v_mov_b32_e32 v10, s47
	v_mov_b32_e32 v4, s48
	s_clause 0x7
	buffer_load_dword v31, v5, s[0:3], 0 offen
	buffer_load_dword v32, v5, s[0:3], 0 offen offset:4
	buffer_load_dword v33, v5, s[0:3], 0 offen offset:8
	buffer_load_dword v34, v5, s[0:3], 0 offen offset:12
	buffer_load_dword v35, v4, s[0:3], 0 offen
	buffer_load_dword v36, v4, s[0:3], 0 offen offset:4
	buffer_load_dword v37, v4, s[0:3], 0 offen offset:8
	buffer_load_dword v38, v4, s[0:3], 0 offen offset:12
	v_mov_b32_e32 v4, s46
	s_clause 0x7
	buffer_load_dword v39, v10, s[0:3], 0 offen
	buffer_load_dword v40, v10, s[0:3], 0 offen offset:4
	buffer_load_dword v41, v10, s[0:3], 0 offen offset:8
	;; [unrolled: 1-line block ×3, first 2 shown]
	buffer_load_dword v43, v4, s[0:3], 0 offen
	buffer_load_dword v44, v4, s[0:3], 0 offen offset:4
	buffer_load_dword v45, v4, s[0:3], 0 offen offset:8
	;; [unrolled: 1-line block ×3, first 2 shown]
	v_mov_b32_e32 v4, s45
	v_mov_b32_e32 v5, s44
	;; [unrolled: 1-line block ×24, first 2 shown]
	s_clause 0x3e
	buffer_load_dword v47, v4, s[0:3], 0 offen
	buffer_load_dword v48, v4, s[0:3], 0 offen offset:4
	buffer_load_dword v49, v4, s[0:3], 0 offen offset:8
	buffer_load_dword v50, v4, s[0:3], 0 offen offset:12
	buffer_load_dword v51, v5, s[0:3], 0 offen
	buffer_load_dword v52, v5, s[0:3], 0 offen offset:4
	buffer_load_dword v53, v5, s[0:3], 0 offen offset:8
	buffer_load_dword v54, v5, s[0:3], 0 offen offset:12
	;; [unrolled: 4-line block ×15, first 2 shown]
	buffer_load_dword v107, v110, s[0:3], 0 offen
	buffer_load_dword v108, v110, s[0:3], 0 offen offset:4
	buffer_load_dword v109, v110, s[0:3], 0 offen offset:8
	s_clause 0x20
	buffer_load_dword v110, v110, s[0:3], 0 offen offset:12
	buffer_load_dword v111, v114, s[0:3], 0 offen
	buffer_load_dword v112, v114, s[0:3], 0 offen offset:4
	buffer_load_dword v113, v114, s[0:3], 0 offen offset:8
	buffer_load_dword v114, v114, s[0:3], 0 offen offset:12
	buffer_load_dword v115, v118, s[0:3], 0 offen
	buffer_load_dword v116, v118, s[0:3], 0 offen offset:4
	buffer_load_dword v117, v118, s[0:3], 0 offen offset:8
	;; [unrolled: 4-line block ×8, first 2 shown]
	buffer_load_dword v142, v142, s[0:3], 0 offen offset:12
	v_mov_b32_e32 v4, s5
	s_clause 0xb
	buffer_load_dword v143, v146, s[0:3], 0 offen
	buffer_load_dword v144, v146, s[0:3], 0 offen offset:4
	buffer_load_dword v145, v146, s[0:3], 0 offen offset:8
	buffer_load_dword v146, v146, s[0:3], 0 offen offset:12
	buffer_load_dword v150, v147, s[0:3], 0 offen
	buffer_load_dword v151, v147, s[0:3], 0 offen offset:4
	buffer_load_dword v152, v147, s[0:3], 0 offen offset:8
	buffer_load_dword v153, v147, s[0:3], 0 offen offset:12
	;; [unrolled: 4-line block ×3, first 2 shown]
	v_mov_b32_e32 v5, 28
	s_waitcnt vmcnt(62)
	ds_write2_b64 v12, v[15:16], v[17:18] offset0:58 offset1:59
	ds_write2_b64 v12, v[19:20], v[21:22] offset0:60 offset1:61
	;; [unrolled: 1-line block ×19, first 2 shown]
	s_waitcnt vmcnt(60)
	ds_write2_b64 v12, v[91:92], v[93:94] offset0:96 offset1:97
	s_waitcnt vmcnt(56)
	ds_write2_b64 v12, v[95:96], v[97:98] offset0:98 offset1:99
	;; [unrolled: 2-line block ×16, first 2 shown]
.LBB126_716:
	s_or_b32 exec_lo, exec_lo, s4
	s_mov_b32 s4, exec_lo
	s_waitcnt lgkmcnt(0)
	s_waitcnt_vscnt null, 0x0
	s_barrier
	buffer_gl0_inv
	v_cmpx_lt_i32_e32 28, v5
	s_cbranch_execz .LBB126_719
; %bb.717:
	s_clause 0x3
	buffer_load_dword v15, off, s[0:3], 0 offset:456
	buffer_load_dword v16, off, s[0:3], 0 offset:460
	;; [unrolled: 1-line block ×4, first 2 shown]
	s_movk_i32 s83, 0x1d0
	s_waitcnt vmcnt(2)
	v_mul_f64 v[19:20], v[2:3], v[15:16]
	v_mul_f64 v[15:16], v[0:1], v[15:16]
	s_waitcnt vmcnt(0)
	v_fma_f64 v[0:1], v[0:1], v[17:18], -v[19:20]
	v_fma_f64 v[2:3], v[2:3], v[17:18], v[15:16]
	buffer_store_dword v0, off, s[0:3], 0 offset:448
	buffer_store_dword v1, off, s[0:3], 0 offset:452
	buffer_store_dword v2, off, s[0:3], 0 offset:456
	buffer_store_dword v3, off, s[0:3], 0 offset:460
.LBB126_718:                            ; =>This Inner Loop Header: Depth=1
	s_clause 0x3
	buffer_load_dword v19, off, s[0:3], 0 offset:456
	buffer_load_dword v20, off, s[0:3], 0 offset:460
	;; [unrolled: 1-line block ×4, first 2 shown]
	v_mov_b32_e32 v4, s83
	v_add_nc_u32_e32 v10, s83, v12
	s_addk_i32 s83, 0x70
	s_clause 0x3
	buffer_load_dword v23, v4, s[0:3], 0 offen
	buffer_load_dword v24, v4, s[0:3], 0 offen offset:4
	buffer_load_dword v25, v4, s[0:3], 0 offen offset:8
	;; [unrolled: 1-line block ×3, first 2 shown]
	ds_read2_b64 v[0:3], v10 offset1:1
	s_clause 0x3
	buffer_load_dword v27, v4, s[0:3], 0 offen offset:16
	buffer_load_dword v28, v4, s[0:3], 0 offen offset:20
	;; [unrolled: 1-line block ×4, first 2 shown]
	ds_read2_b64 v[15:18], v10 offset0:2 offset1:3
	s_cmpk_lg_i32 s83, 0x400
	s_waitcnt vmcnt(10) lgkmcnt(1)
	v_mul_f64 v[31:32], v[2:3], v[19:20]
	v_mul_f64 v[19:20], v[0:1], v[19:20]
	s_waitcnt vmcnt(8)
	v_fma_f64 v[0:1], v[0:1], v[21:22], -v[31:32]
	v_fma_f64 v[2:3], v[2:3], v[21:22], v[19:20]
	s_waitcnt vmcnt(6)
	v_add_f64 v[0:1], v[23:24], -v[0:1]
	s_waitcnt vmcnt(4)
	v_add_f64 v[2:3], v[25:26], -v[2:3]
	buffer_store_dword v1, v4, s[0:3], 0 offen offset:4
	buffer_store_dword v0, v4, s[0:3], 0 offen
	buffer_store_dword v3, v4, s[0:3], 0 offen offset:12
	buffer_store_dword v2, v4, s[0:3], 0 offen offset:8
	s_clause 0x7
	buffer_load_dword v1, off, s[0:3], 0 offset:460
	buffer_load_dword v0, off, s[0:3], 0 offset:456
	;; [unrolled: 1-line block ×4, first 2 shown]
	buffer_load_dword v19, v4, s[0:3], 0 offen offset:32
	buffer_load_dword v20, v4, s[0:3], 0 offen offset:36
	;; [unrolled: 1-line block ×4, first 2 shown]
	s_waitcnt vmcnt(6) lgkmcnt(0)
	v_mul_f64 v[23:24], v[17:18], v[0:1]
	v_mul_f64 v[0:1], v[15:16], v[0:1]
	s_waitcnt vmcnt(4)
	v_fma_f64 v[15:16], v[15:16], v[2:3], -v[23:24]
	v_fma_f64 v[0:1], v[17:18], v[2:3], v[0:1]
	v_add_f64 v[2:3], v[27:28], -v[15:16]
	v_add_f64 v[0:1], v[29:30], -v[0:1]
	buffer_store_dword v3, v4, s[0:3], 0 offen offset:20
	buffer_store_dword v2, v4, s[0:3], 0 offen offset:16
	;; [unrolled: 1-line block ×4, first 2 shown]
	s_clause 0x3
	buffer_load_dword v23, off, s[0:3], 0 offset:456
	buffer_load_dword v24, off, s[0:3], 0 offset:460
	;; [unrolled: 1-line block ×4, first 2 shown]
	ds_read2_b64 v[0:3], v10 offset0:4 offset1:5
	ds_read2_b64 v[15:18], v10 offset0:6 offset1:7
	s_waitcnt vmcnt(2) lgkmcnt(1)
	v_mul_f64 v[27:28], v[2:3], v[23:24]
	v_mul_f64 v[23:24], v[0:1], v[23:24]
	s_waitcnt vmcnt(0)
	v_fma_f64 v[0:1], v[0:1], v[25:26], -v[27:28]
	v_fma_f64 v[2:3], v[2:3], v[25:26], v[23:24]
	v_add_f64 v[0:1], v[19:20], -v[0:1]
	v_add_f64 v[2:3], v[21:22], -v[2:3]
	buffer_store_dword v1, v4, s[0:3], 0 offen offset:36
	buffer_store_dword v0, v4, s[0:3], 0 offen offset:32
	;; [unrolled: 1-line block ×4, first 2 shown]
	s_clause 0x7
	buffer_load_dword v0, off, s[0:3], 0 offset:456
	buffer_load_dword v1, off, s[0:3], 0 offset:460
	;; [unrolled: 1-line block ×4, first 2 shown]
	buffer_load_dword v19, v4, s[0:3], 0 offen offset:48
	buffer_load_dword v20, v4, s[0:3], 0 offen offset:52
	;; [unrolled: 1-line block ×4, first 2 shown]
	s_waitcnt vmcnt(6) lgkmcnt(0)
	v_mul_f64 v[23:24], v[17:18], v[0:1]
	v_mul_f64 v[0:1], v[15:16], v[0:1]
	s_waitcnt vmcnt(4)
	v_fma_f64 v[15:16], v[15:16], v[2:3], -v[23:24]
	v_fma_f64 v[0:1], v[17:18], v[2:3], v[0:1]
	s_waitcnt vmcnt(2)
	v_add_f64 v[2:3], v[19:20], -v[15:16]
	s_waitcnt vmcnt(0)
	v_add_f64 v[0:1], v[21:22], -v[0:1]
	buffer_store_dword v3, v4, s[0:3], 0 offen offset:52
	buffer_store_dword v2, v4, s[0:3], 0 offen offset:48
	;; [unrolled: 1-line block ×4, first 2 shown]
	s_clause 0x7
	buffer_load_dword v19, off, s[0:3], 0 offset:456
	buffer_load_dword v20, off, s[0:3], 0 offset:460
	;; [unrolled: 1-line block ×4, first 2 shown]
	buffer_load_dword v23, v4, s[0:3], 0 offen offset:64
	buffer_load_dword v24, v4, s[0:3], 0 offen offset:68
	;; [unrolled: 1-line block ×4, first 2 shown]
	ds_read2_b64 v[0:3], v10 offset0:8 offset1:9
	ds_read2_b64 v[15:18], v10 offset0:10 offset1:11
	s_waitcnt vmcnt(6) lgkmcnt(1)
	v_mul_f64 v[27:28], v[2:3], v[19:20]
	v_mul_f64 v[19:20], v[0:1], v[19:20]
	s_waitcnt vmcnt(4)
	v_fma_f64 v[0:1], v[0:1], v[21:22], -v[27:28]
	v_fma_f64 v[2:3], v[2:3], v[21:22], v[19:20]
	s_waitcnt vmcnt(2)
	v_add_f64 v[0:1], v[23:24], -v[0:1]
	s_waitcnt vmcnt(0)
	v_add_f64 v[2:3], v[25:26], -v[2:3]
	buffer_store_dword v1, v4, s[0:3], 0 offen offset:68
	buffer_store_dword v0, v4, s[0:3], 0 offen offset:64
	;; [unrolled: 1-line block ×4, first 2 shown]
	s_clause 0x7
	buffer_load_dword v0, off, s[0:3], 0 offset:456
	buffer_load_dword v1, off, s[0:3], 0 offset:460
	;; [unrolled: 1-line block ×4, first 2 shown]
	buffer_load_dword v19, v4, s[0:3], 0 offen offset:80
	buffer_load_dword v20, v4, s[0:3], 0 offen offset:84
	;; [unrolled: 1-line block ×4, first 2 shown]
	s_waitcnt vmcnt(6) lgkmcnt(0)
	v_mul_f64 v[23:24], v[17:18], v[0:1]
	v_mul_f64 v[0:1], v[15:16], v[0:1]
	s_waitcnt vmcnt(4)
	v_fma_f64 v[15:16], v[15:16], v[2:3], -v[23:24]
	v_fma_f64 v[0:1], v[17:18], v[2:3], v[0:1]
	s_waitcnt vmcnt(2)
	v_add_f64 v[2:3], v[19:20], -v[15:16]
	s_waitcnt vmcnt(0)
	v_add_f64 v[0:1], v[21:22], -v[0:1]
	buffer_store_dword v3, v4, s[0:3], 0 offen offset:84
	buffer_store_dword v2, v4, s[0:3], 0 offen offset:80
	;; [unrolled: 1-line block ×4, first 2 shown]
	s_clause 0x7
	buffer_load_dword v15, off, s[0:3], 0 offset:456
	buffer_load_dword v16, off, s[0:3], 0 offset:460
	;; [unrolled: 1-line block ×4, first 2 shown]
	buffer_load_dword v19, v4, s[0:3], 0 offen offset:96
	buffer_load_dword v20, v4, s[0:3], 0 offen offset:100
	;; [unrolled: 1-line block ×4, first 2 shown]
	ds_read2_b64 v[0:3], v10 offset0:12 offset1:13
	s_waitcnt vmcnt(6) lgkmcnt(0)
	v_mul_f64 v[23:24], v[2:3], v[15:16]
	v_mul_f64 v[15:16], v[0:1], v[15:16]
	s_waitcnt vmcnt(4)
	v_fma_f64 v[0:1], v[0:1], v[17:18], -v[23:24]
	v_fma_f64 v[2:3], v[2:3], v[17:18], v[15:16]
	s_waitcnt vmcnt(2)
	v_add_f64 v[0:1], v[19:20], -v[0:1]
	s_waitcnt vmcnt(0)
	v_add_f64 v[2:3], v[21:22], -v[2:3]
	buffer_store_dword v1, v4, s[0:3], 0 offen offset:100
	buffer_store_dword v0, v4, s[0:3], 0 offen offset:96
	;; [unrolled: 1-line block ×4, first 2 shown]
	s_cbranch_scc1 .LBB126_718
.LBB126_719:
	s_or_b32 exec_lo, exec_lo, s4
	v_mov_b32_e32 v3, s53
	s_waitcnt_vscnt null, 0x0
	s_barrier
	buffer_gl0_inv
	v_lshl_add_u32 v4, v5, 4, v12
	s_clause 0x3
	buffer_load_dword v0, v3, s[0:3], 0 offen
	buffer_load_dword v1, v3, s[0:3], 0 offen offset:4
	buffer_load_dword v2, v3, s[0:3], 0 offen offset:8
	;; [unrolled: 1-line block ×3, first 2 shown]
	s_cmp_lt_i32 s57, 31
	s_waitcnt vmcnt(0)
	ds_write2_b64 v4, v[0:1], v[2:3] offset1:1
	s_waitcnt lgkmcnt(0)
	s_barrier
	buffer_gl0_inv
	ds_read2_b64 v[0:3], v12 offset0:58 offset1:59
	v_mov_b32_e32 v4, 29
	s_cbranch_scc1 .LBB126_722
; %bb.720:
	v_add3_u32 v10, v14, 0, 0x1e0
	v_mov_b32_e32 v4, 29
	s_mov_b32 s16, 30
	s_inst_prefetch 0x1
	.p2align	6
.LBB126_721:                            ; =>This Inner Loop Header: Depth=1
	s_waitcnt lgkmcnt(0)
	v_cmp_gt_f64_e32 vcc_lo, 0, v[2:3]
	v_cmp_gt_f64_e64 s4, 0, v[0:1]
	ds_read2_b64 v[15:18], v10 offset1:1
	v_xor_b32_e32 v20, 0x80000000, v1
	v_xor_b32_e32 v22, 0x80000000, v3
	v_mov_b32_e32 v19, v0
	v_mov_b32_e32 v21, v2
	v_add_nc_u32_e32 v10, 16, v10
	s_waitcnt lgkmcnt(0)
	v_xor_b32_e32 v24, 0x80000000, v18
	v_cndmask_b32_e64 v20, v1, v20, s4
	v_cndmask_b32_e32 v22, v3, v22, vcc_lo
	v_cmp_gt_f64_e32 vcc_lo, 0, v[17:18]
	v_cmp_gt_f64_e64 s4, 0, v[15:16]
	v_mov_b32_e32 v23, v17
	v_add_f64 v[19:20], v[19:20], v[21:22]
	v_xor_b32_e32 v22, 0x80000000, v16
	v_mov_b32_e32 v21, v15
	v_cndmask_b32_e32 v24, v18, v24, vcc_lo
	v_cndmask_b32_e64 v22, v16, v22, s4
	v_add_f64 v[21:22], v[21:22], v[23:24]
	v_cmp_lt_f64_e32 vcc_lo, v[19:20], v[21:22]
	v_cndmask_b32_e32 v1, v1, v16, vcc_lo
	v_cndmask_b32_e32 v0, v0, v15, vcc_lo
	;; [unrolled: 1-line block ×4, first 2 shown]
	v_cndmask_b32_e64 v4, v4, s16, vcc_lo
	s_add_i32 s16, s16, 1
	s_cmp_lg_u32 s57, s16
	s_cbranch_scc1 .LBB126_721
.LBB126_722:
	s_inst_prefetch 0x2
	s_waitcnt lgkmcnt(0)
	v_cmp_eq_f64_e32 vcc_lo, 0, v[0:1]
	v_cmp_eq_f64_e64 s4, 0, v[2:3]
	s_and_b32 s4, vcc_lo, s4
	s_and_saveexec_b32 s16, s4
	s_xor_b32 s4, exec_lo, s16
; %bb.723:
	v_cmp_ne_u32_e32 vcc_lo, 0, v13
	v_cndmask_b32_e32 v13, 30, v13, vcc_lo
; %bb.724:
	s_andn2_saveexec_b32 s4, s4
	s_cbranch_execz .LBB126_730
; %bb.725:
	v_cmp_ngt_f64_e64 s16, |v[0:1]|, |v[2:3]|
	s_and_saveexec_b32 s17, s16
	s_xor_b32 s16, exec_lo, s17
	s_cbranch_execz .LBB126_727
; %bb.726:
	v_div_scale_f64 v[15:16], null, v[2:3], v[2:3], v[0:1]
	v_div_scale_f64 v[21:22], vcc_lo, v[0:1], v[2:3], v[0:1]
	v_rcp_f64_e32 v[17:18], v[15:16]
	v_fma_f64 v[19:20], -v[15:16], v[17:18], 1.0
	v_fma_f64 v[17:18], v[17:18], v[19:20], v[17:18]
	v_fma_f64 v[19:20], -v[15:16], v[17:18], 1.0
	v_fma_f64 v[17:18], v[17:18], v[19:20], v[17:18]
	v_mul_f64 v[19:20], v[21:22], v[17:18]
	v_fma_f64 v[15:16], -v[15:16], v[19:20], v[21:22]
	v_div_fmas_f64 v[15:16], v[15:16], v[17:18], v[19:20]
	v_div_fixup_f64 v[15:16], v[15:16], v[2:3], v[0:1]
	v_fma_f64 v[0:1], v[0:1], v[15:16], v[2:3]
	v_div_scale_f64 v[2:3], null, v[0:1], v[0:1], 1.0
	v_rcp_f64_e32 v[17:18], v[2:3]
	v_fma_f64 v[19:20], -v[2:3], v[17:18], 1.0
	v_fma_f64 v[17:18], v[17:18], v[19:20], v[17:18]
	v_fma_f64 v[19:20], -v[2:3], v[17:18], 1.0
	v_fma_f64 v[17:18], v[17:18], v[19:20], v[17:18]
	v_div_scale_f64 v[19:20], vcc_lo, 1.0, v[0:1], 1.0
	v_mul_f64 v[21:22], v[19:20], v[17:18]
	v_fma_f64 v[2:3], -v[2:3], v[21:22], v[19:20]
	v_div_fmas_f64 v[2:3], v[2:3], v[17:18], v[21:22]
	v_div_fixup_f64 v[2:3], v[2:3], v[0:1], 1.0
	v_mul_f64 v[0:1], v[15:16], v[2:3]
	v_xor_b32_e32 v3, 0x80000000, v3
.LBB126_727:
	s_andn2_saveexec_b32 s16, s16
	s_cbranch_execz .LBB126_729
; %bb.728:
	v_div_scale_f64 v[15:16], null, v[0:1], v[0:1], v[2:3]
	v_div_scale_f64 v[21:22], vcc_lo, v[2:3], v[0:1], v[2:3]
	v_rcp_f64_e32 v[17:18], v[15:16]
	v_fma_f64 v[19:20], -v[15:16], v[17:18], 1.0
	v_fma_f64 v[17:18], v[17:18], v[19:20], v[17:18]
	v_fma_f64 v[19:20], -v[15:16], v[17:18], 1.0
	v_fma_f64 v[17:18], v[17:18], v[19:20], v[17:18]
	v_mul_f64 v[19:20], v[21:22], v[17:18]
	v_fma_f64 v[15:16], -v[15:16], v[19:20], v[21:22]
	v_div_fmas_f64 v[15:16], v[15:16], v[17:18], v[19:20]
	v_div_fixup_f64 v[15:16], v[15:16], v[0:1], v[2:3]
	v_fma_f64 v[0:1], v[2:3], v[15:16], v[0:1]
	v_div_scale_f64 v[2:3], null, v[0:1], v[0:1], 1.0
	v_rcp_f64_e32 v[17:18], v[2:3]
	v_fma_f64 v[19:20], -v[2:3], v[17:18], 1.0
	v_fma_f64 v[17:18], v[17:18], v[19:20], v[17:18]
	v_fma_f64 v[19:20], -v[2:3], v[17:18], 1.0
	v_fma_f64 v[17:18], v[17:18], v[19:20], v[17:18]
	v_div_scale_f64 v[19:20], vcc_lo, 1.0, v[0:1], 1.0
	v_mul_f64 v[21:22], v[19:20], v[17:18]
	v_fma_f64 v[2:3], -v[2:3], v[21:22], v[19:20]
	v_div_fmas_f64 v[2:3], v[2:3], v[17:18], v[21:22]
	v_div_fixup_f64 v[0:1], v[2:3], v[0:1], 1.0
	v_mul_f64 v[2:3], v[15:16], -v[0:1]
.LBB126_729:
	s_or_b32 exec_lo, exec_lo, s16
.LBB126_730:
	s_or_b32 exec_lo, exec_lo, s4
	s_mov_b32 s4, exec_lo
	v_cmpx_ne_u32_e64 v5, v4
	s_xor_b32 s4, exec_lo, s4
	s_cbranch_execz .LBB126_736
; %bb.731:
	s_mov_b32 s16, exec_lo
	v_cmpx_eq_u32_e32 29, v5
	s_cbranch_execz .LBB126_735
; %bb.732:
	v_cmp_ne_u32_e32 vcc_lo, 29, v4
	s_xor_b32 s17, s20, -1
	s_and_b32 s56, s17, vcc_lo
	s_and_saveexec_b32 s17, s56
	s_cbranch_execz .LBB126_734
; %bb.733:
	v_ashrrev_i32_e32 v5, 31, v4
	v_lshlrev_b64 v[10:11], 2, v[4:5]
	v_add_co_u32 v10, vcc_lo, v8, v10
	v_add_co_ci_u32_e64 v11, null, v9, v11, vcc_lo
	s_clause 0x1
	global_load_dword v5, v[10:11], off
	global_load_dword v15, v[8:9], off offset:116
	s_waitcnt vmcnt(1)
	global_store_dword v[8:9], v5, off offset:116
	s_waitcnt vmcnt(0)
	global_store_dword v[10:11], v15, off
.LBB126_734:
	s_or_b32 exec_lo, exec_lo, s17
	v_mov_b32_e32 v5, v4
	v_mov_b32_e32 v11, v4
.LBB126_735:
	s_or_b32 exec_lo, exec_lo, s16
.LBB126_736:
	s_andn2_saveexec_b32 s4, s4
	s_cbranch_execz .LBB126_738
; %bb.737:
	v_mov_b32_e32 v4, s52
	v_mov_b32_e32 v10, s50
	;; [unrolled: 1-line block ×5, first 2 shown]
	s_clause 0x7
	buffer_load_dword v15, v4, s[0:3], 0 offen
	buffer_load_dword v16, v4, s[0:3], 0 offen offset:4
	buffer_load_dword v17, v4, s[0:3], 0 offen offset:8
	;; [unrolled: 1-line block ×3, first 2 shown]
	buffer_load_dword v19, v5, s[0:3], 0 offen
	buffer_load_dword v20, v5, s[0:3], 0 offen offset:4
	buffer_load_dword v21, v5, s[0:3], 0 offen offset:8
	;; [unrolled: 1-line block ×3, first 2 shown]
	v_mov_b32_e32 v4, s49
	s_clause 0x7
	buffer_load_dword v23, v10, s[0:3], 0 offen
	buffer_load_dword v24, v10, s[0:3], 0 offen offset:4
	buffer_load_dword v25, v10, s[0:3], 0 offen offset:8
	buffer_load_dword v26, v10, s[0:3], 0 offen offset:12
	buffer_load_dword v27, v4, s[0:3], 0 offen
	buffer_load_dword v28, v4, s[0:3], 0 offen offset:4
	buffer_load_dword v29, v4, s[0:3], 0 offen offset:8
	;; [unrolled: 1-line block ×3, first 2 shown]
	v_mov_b32_e32 v4, s48
	v_mov_b32_e32 v5, s47
	;; [unrolled: 1-line block ×28, first 2 shown]
	s_clause 0x3e
	buffer_load_dword v31, v4, s[0:3], 0 offen
	buffer_load_dword v32, v4, s[0:3], 0 offen offset:4
	buffer_load_dword v33, v4, s[0:3], 0 offen offset:8
	buffer_load_dword v34, v4, s[0:3], 0 offen offset:12
	buffer_load_dword v35, v5, s[0:3], 0 offen
	buffer_load_dword v36, v5, s[0:3], 0 offen offset:4
	buffer_load_dword v37, v5, s[0:3], 0 offen offset:8
	buffer_load_dword v38, v5, s[0:3], 0 offen offset:12
	buffer_load_dword v39, v10, s[0:3], 0 offen
	buffer_load_dword v40, v10, s[0:3], 0 offen offset:4
	buffer_load_dword v41, v10, s[0:3], 0 offen offset:8
	buffer_load_dword v42, v10, s[0:3], 0 offen offset:12
	buffer_load_dword v43, v46, s[0:3], 0 offen
	buffer_load_dword v44, v46, s[0:3], 0 offen offset:4
	buffer_load_dword v45, v46, s[0:3], 0 offen offset:8
	buffer_load_dword v46, v46, s[0:3], 0 offen offset:12
	buffer_load_dword v47, v50, s[0:3], 0 offen
	buffer_load_dword v48, v50, s[0:3], 0 offen offset:4
	buffer_load_dword v49, v50, s[0:3], 0 offen offset:8
	buffer_load_dword v50, v50, s[0:3], 0 offen offset:12
	buffer_load_dword v51, v54, s[0:3], 0 offen
	buffer_load_dword v52, v54, s[0:3], 0 offen offset:4
	buffer_load_dword v53, v54, s[0:3], 0 offen offset:8
	buffer_load_dword v54, v54, s[0:3], 0 offen offset:12
	buffer_load_dword v55, v58, s[0:3], 0 offen
	buffer_load_dword v56, v58, s[0:3], 0 offen offset:4
	buffer_load_dword v57, v58, s[0:3], 0 offen offset:8
	buffer_load_dword v58, v58, s[0:3], 0 offen offset:12
	buffer_load_dword v59, v62, s[0:3], 0 offen
	buffer_load_dword v60, v62, s[0:3], 0 offen offset:4
	buffer_load_dword v61, v62, s[0:3], 0 offen offset:8
	buffer_load_dword v62, v62, s[0:3], 0 offen offset:12
	buffer_load_dword v63, v66, s[0:3], 0 offen
	buffer_load_dword v64, v66, s[0:3], 0 offen offset:4
	buffer_load_dword v65, v66, s[0:3], 0 offen offset:8
	buffer_load_dword v66, v66, s[0:3], 0 offen offset:12
	buffer_load_dword v67, v70, s[0:3], 0 offen
	buffer_load_dword v68, v70, s[0:3], 0 offen offset:4
	buffer_load_dword v69, v70, s[0:3], 0 offen offset:8
	buffer_load_dword v70, v70, s[0:3], 0 offen offset:12
	buffer_load_dword v71, v74, s[0:3], 0 offen
	buffer_load_dword v72, v74, s[0:3], 0 offen offset:4
	buffer_load_dword v73, v74, s[0:3], 0 offen offset:8
	buffer_load_dword v74, v74, s[0:3], 0 offen offset:12
	buffer_load_dword v75, v78, s[0:3], 0 offen
	buffer_load_dword v76, v78, s[0:3], 0 offen offset:4
	buffer_load_dword v77, v78, s[0:3], 0 offen offset:8
	buffer_load_dword v78, v78, s[0:3], 0 offen offset:12
	buffer_load_dword v79, v82, s[0:3], 0 offen
	buffer_load_dword v80, v82, s[0:3], 0 offen offset:4
	buffer_load_dword v81, v82, s[0:3], 0 offen offset:8
	buffer_load_dword v82, v82, s[0:3], 0 offen offset:12
	buffer_load_dword v83, v86, s[0:3], 0 offen
	buffer_load_dword v84, v86, s[0:3], 0 offen offset:4
	buffer_load_dword v85, v86, s[0:3], 0 offen offset:8
	buffer_load_dword v86, v86, s[0:3], 0 offen offset:12
	buffer_load_dword v87, v90, s[0:3], 0 offen
	buffer_load_dword v88, v90, s[0:3], 0 offen offset:4
	buffer_load_dword v89, v90, s[0:3], 0 offen offset:8
	buffer_load_dword v90, v90, s[0:3], 0 offen offset:12
	buffer_load_dword v91, v94, s[0:3], 0 offen
	buffer_load_dword v92, v94, s[0:3], 0 offen offset:4
	buffer_load_dword v93, v94, s[0:3], 0 offen offset:8
	s_clause 0x38
	buffer_load_dword v94, v94, s[0:3], 0 offen offset:12
	buffer_load_dword v95, v98, s[0:3], 0 offen
	buffer_load_dword v96, v98, s[0:3], 0 offen offset:4
	buffer_load_dword v97, v98, s[0:3], 0 offen offset:8
	buffer_load_dword v98, v98, s[0:3], 0 offen offset:12
	buffer_load_dword v99, v102, s[0:3], 0 offen
	buffer_load_dword v100, v102, s[0:3], 0 offen offset:4
	buffer_load_dword v101, v102, s[0:3], 0 offen offset:8
	;; [unrolled: 4-line block ×14, first 2 shown]
	buffer_load_dword v153, v147, s[0:3], 0 offen offset:12
	v_mov_b32_e32 v5, 29
	s_waitcnt vmcnt(62)
	ds_write2_b64 v12, v[15:16], v[17:18] offset0:60 offset1:61
	ds_write2_b64 v12, v[19:20], v[21:22] offset0:62 offset1:63
	;; [unrolled: 1-line block ×18, first 2 shown]
	s_waitcnt vmcnt(60)
	ds_write2_b64 v12, v[87:88], v[89:90] offset0:96 offset1:97
	s_waitcnt vmcnt(56)
	ds_write2_b64 v12, v[91:92], v[93:94] offset0:98 offset1:99
	s_waitcnt vmcnt(52)
	ds_write2_b64 v12, v[95:96], v[97:98] offset0:100 offset1:101
	s_waitcnt vmcnt(48)
	ds_write2_b64 v12, v[99:100], v[101:102] offset0:102 offset1:103
	s_waitcnt vmcnt(44)
	ds_write2_b64 v12, v[103:104], v[105:106] offset0:104 offset1:105
	s_waitcnt vmcnt(40)
	ds_write2_b64 v12, v[107:108], v[109:110] offset0:106 offset1:107
	s_waitcnt vmcnt(36)
	ds_write2_b64 v12, v[111:112], v[113:114] offset0:108 offset1:109
	s_waitcnt vmcnt(32)
	ds_write2_b64 v12, v[115:116], v[117:118] offset0:110 offset1:111
	s_waitcnt vmcnt(28)
	ds_write2_b64 v12, v[119:120], v[121:122] offset0:112 offset1:113
	s_waitcnt vmcnt(24)
	ds_write2_b64 v12, v[123:124], v[125:126] offset0:114 offset1:115
	s_waitcnt vmcnt(20)
	ds_write2_b64 v12, v[127:128], v[129:130] offset0:116 offset1:117
	s_waitcnt vmcnt(16)
	ds_write2_b64 v12, v[131:132], v[133:134] offset0:118 offset1:119
	s_waitcnt vmcnt(12)
	ds_write2_b64 v12, v[135:136], v[137:138] offset0:120 offset1:121
	s_waitcnt vmcnt(8)
	ds_write2_b64 v12, v[139:140], v[141:142] offset0:122 offset1:123
	s_waitcnt vmcnt(4)
	ds_write2_b64 v12, v[143:144], v[145:146] offset0:124 offset1:125
	s_waitcnt vmcnt(0)
	ds_write2_b64 v12, v[150:151], v[152:153] offset0:126 offset1:127
.LBB126_738:
	s_or_b32 exec_lo, exec_lo, s4
	s_mov_b32 s4, exec_lo
	s_waitcnt lgkmcnt(0)
	s_waitcnt_vscnt null, 0x0
	s_barrier
	buffer_gl0_inv
	v_cmpx_lt_i32_e32 29, v5
	s_cbranch_execz .LBB126_741
; %bb.739:
	s_clause 0x3
	buffer_load_dword v15, off, s[0:3], 0 offset:472
	buffer_load_dword v16, off, s[0:3], 0 offset:476
	;; [unrolled: 1-line block ×4, first 2 shown]
	s_movk_i32 s16, 0x1e0
	s_waitcnt vmcnt(2)
	v_mul_f64 v[19:20], v[2:3], v[15:16]
	v_mul_f64 v[15:16], v[0:1], v[15:16]
	s_waitcnt vmcnt(0)
	v_fma_f64 v[0:1], v[0:1], v[17:18], -v[19:20]
	v_fma_f64 v[2:3], v[2:3], v[17:18], v[15:16]
	buffer_store_dword v0, off, s[0:3], 0 offset:464
	buffer_store_dword v1, off, s[0:3], 0 offset:468
	;; [unrolled: 1-line block ×4, first 2 shown]
.LBB126_740:                            ; =>This Inner Loop Header: Depth=1
	s_clause 0x3
	buffer_load_dword v19, off, s[0:3], 0 offset:472
	buffer_load_dword v20, off, s[0:3], 0 offset:476
	;; [unrolled: 1-line block ×4, first 2 shown]
	v_mov_b32_e32 v4, s16
	v_add_nc_u32_e32 v10, s16, v12
	s_add_i32 s16, s16, 32
	s_clause 0x3
	buffer_load_dword v23, v4, s[0:3], 0 offen
	buffer_load_dword v24, v4, s[0:3], 0 offen offset:4
	buffer_load_dword v25, v4, s[0:3], 0 offen offset:8
	;; [unrolled: 1-line block ×3, first 2 shown]
	ds_read2_b64 v[0:3], v10 offset1:1
	ds_read2_b64 v[15:18], v10 offset0:2 offset1:3
	s_cmpk_lg_i32 s16, 0x400
	s_waitcnt vmcnt(6) lgkmcnt(1)
	v_mul_f64 v[27:28], v[2:3], v[19:20]
	v_mul_f64 v[19:20], v[0:1], v[19:20]
	s_waitcnt vmcnt(4)
	v_fma_f64 v[0:1], v[0:1], v[21:22], -v[27:28]
	v_fma_f64 v[2:3], v[2:3], v[21:22], v[19:20]
	s_clause 0x3
	buffer_load_dword v19, v4, s[0:3], 0 offen offset:16
	buffer_load_dword v20, v4, s[0:3], 0 offen offset:20
	;; [unrolled: 1-line block ×4, first 2 shown]
	s_waitcnt vmcnt(6)
	v_add_f64 v[0:1], v[23:24], -v[0:1]
	s_waitcnt vmcnt(4)
	v_add_f64 v[2:3], v[25:26], -v[2:3]
	buffer_store_dword v1, v4, s[0:3], 0 offen offset:4
	buffer_store_dword v0, v4, s[0:3], 0 offen
	buffer_store_dword v3, v4, s[0:3], 0 offen offset:12
	buffer_store_dword v2, v4, s[0:3], 0 offen offset:8
	s_clause 0x3
	buffer_load_dword v1, off, s[0:3], 0 offset:476
	buffer_load_dword v0, off, s[0:3], 0 offset:472
	;; [unrolled: 1-line block ×4, first 2 shown]
	s_waitcnt vmcnt(2) lgkmcnt(0)
	v_mul_f64 v[23:24], v[17:18], v[0:1]
	v_mul_f64 v[0:1], v[15:16], v[0:1]
	s_waitcnt vmcnt(0)
	v_fma_f64 v[15:16], v[15:16], v[2:3], -v[23:24]
	v_fma_f64 v[0:1], v[17:18], v[2:3], v[0:1]
	v_add_f64 v[2:3], v[19:20], -v[15:16]
	v_add_f64 v[0:1], v[21:22], -v[0:1]
	buffer_store_dword v3, v4, s[0:3], 0 offen offset:20
	buffer_store_dword v2, v4, s[0:3], 0 offen offset:16
	;; [unrolled: 1-line block ×4, first 2 shown]
	s_cbranch_scc1 .LBB126_740
.LBB126_741:
	s_or_b32 exec_lo, exec_lo, s4
	v_mov_b32_e32 v3, s52
	s_waitcnt_vscnt null, 0x0
	s_barrier
	buffer_gl0_inv
	v_lshl_add_u32 v4, v5, 4, v12
	s_clause 0x3
	buffer_load_dword v0, v3, s[0:3], 0 offen
	buffer_load_dword v1, v3, s[0:3], 0 offen offset:4
	buffer_load_dword v2, v3, s[0:3], 0 offen offset:8
	;; [unrolled: 1-line block ×3, first 2 shown]
	s_cmp_lt_i32 s57, 32
	s_waitcnt vmcnt(0)
	ds_write2_b64 v4, v[0:1], v[2:3] offset1:1
	s_waitcnt lgkmcnt(0)
	s_barrier
	buffer_gl0_inv
	ds_read2_b64 v[0:3], v12 offset0:60 offset1:61
	v_mov_b32_e32 v4, 30
	s_cbranch_scc1 .LBB126_744
; %bb.742:
	v_add3_u32 v10, v14, 0, 0x1f0
	v_mov_b32_e32 v4, 30
	s_mov_b32 s16, 31
	s_inst_prefetch 0x1
	.p2align	6
.LBB126_743:                            ; =>This Inner Loop Header: Depth=1
	s_waitcnt lgkmcnt(0)
	v_cmp_gt_f64_e32 vcc_lo, 0, v[2:3]
	v_cmp_gt_f64_e64 s4, 0, v[0:1]
	ds_read2_b64 v[15:18], v10 offset1:1
	v_xor_b32_e32 v20, 0x80000000, v1
	v_xor_b32_e32 v22, 0x80000000, v3
	v_mov_b32_e32 v19, v0
	v_mov_b32_e32 v21, v2
	v_add_nc_u32_e32 v10, 16, v10
	s_waitcnt lgkmcnt(0)
	v_xor_b32_e32 v24, 0x80000000, v18
	v_cndmask_b32_e64 v20, v1, v20, s4
	v_cndmask_b32_e32 v22, v3, v22, vcc_lo
	v_cmp_gt_f64_e32 vcc_lo, 0, v[17:18]
	v_cmp_gt_f64_e64 s4, 0, v[15:16]
	v_mov_b32_e32 v23, v17
	v_add_f64 v[19:20], v[19:20], v[21:22]
	v_xor_b32_e32 v22, 0x80000000, v16
	v_mov_b32_e32 v21, v15
	v_cndmask_b32_e32 v24, v18, v24, vcc_lo
	v_cndmask_b32_e64 v22, v16, v22, s4
	v_add_f64 v[21:22], v[21:22], v[23:24]
	v_cmp_lt_f64_e32 vcc_lo, v[19:20], v[21:22]
	v_cndmask_b32_e32 v1, v1, v16, vcc_lo
	v_cndmask_b32_e32 v0, v0, v15, vcc_lo
	;; [unrolled: 1-line block ×4, first 2 shown]
	v_cndmask_b32_e64 v4, v4, s16, vcc_lo
	s_add_i32 s16, s16, 1
	s_cmp_lg_u32 s57, s16
	s_cbranch_scc1 .LBB126_743
.LBB126_744:
	s_inst_prefetch 0x2
	s_waitcnt lgkmcnt(0)
	v_cmp_eq_f64_e32 vcc_lo, 0, v[0:1]
	v_cmp_eq_f64_e64 s4, 0, v[2:3]
	s_and_b32 s4, vcc_lo, s4
	s_and_saveexec_b32 s16, s4
	s_xor_b32 s4, exec_lo, s16
; %bb.745:
	v_cmp_ne_u32_e32 vcc_lo, 0, v13
	v_cndmask_b32_e32 v13, 31, v13, vcc_lo
; %bb.746:
	s_andn2_saveexec_b32 s4, s4
	s_cbranch_execz .LBB126_752
; %bb.747:
	v_cmp_ngt_f64_e64 s16, |v[0:1]|, |v[2:3]|
	s_and_saveexec_b32 s17, s16
	s_xor_b32 s16, exec_lo, s17
	s_cbranch_execz .LBB126_749
; %bb.748:
	v_div_scale_f64 v[15:16], null, v[2:3], v[2:3], v[0:1]
	v_div_scale_f64 v[21:22], vcc_lo, v[0:1], v[2:3], v[0:1]
	v_rcp_f64_e32 v[17:18], v[15:16]
	v_fma_f64 v[19:20], -v[15:16], v[17:18], 1.0
	v_fma_f64 v[17:18], v[17:18], v[19:20], v[17:18]
	v_fma_f64 v[19:20], -v[15:16], v[17:18], 1.0
	v_fma_f64 v[17:18], v[17:18], v[19:20], v[17:18]
	v_mul_f64 v[19:20], v[21:22], v[17:18]
	v_fma_f64 v[15:16], -v[15:16], v[19:20], v[21:22]
	v_div_fmas_f64 v[15:16], v[15:16], v[17:18], v[19:20]
	v_div_fixup_f64 v[15:16], v[15:16], v[2:3], v[0:1]
	v_fma_f64 v[0:1], v[0:1], v[15:16], v[2:3]
	v_div_scale_f64 v[2:3], null, v[0:1], v[0:1], 1.0
	v_rcp_f64_e32 v[17:18], v[2:3]
	v_fma_f64 v[19:20], -v[2:3], v[17:18], 1.0
	v_fma_f64 v[17:18], v[17:18], v[19:20], v[17:18]
	v_fma_f64 v[19:20], -v[2:3], v[17:18], 1.0
	v_fma_f64 v[17:18], v[17:18], v[19:20], v[17:18]
	v_div_scale_f64 v[19:20], vcc_lo, 1.0, v[0:1], 1.0
	v_mul_f64 v[21:22], v[19:20], v[17:18]
	v_fma_f64 v[2:3], -v[2:3], v[21:22], v[19:20]
	v_div_fmas_f64 v[2:3], v[2:3], v[17:18], v[21:22]
	v_div_fixup_f64 v[2:3], v[2:3], v[0:1], 1.0
	v_mul_f64 v[0:1], v[15:16], v[2:3]
	v_xor_b32_e32 v3, 0x80000000, v3
.LBB126_749:
	s_andn2_saveexec_b32 s16, s16
	s_cbranch_execz .LBB126_751
; %bb.750:
	v_div_scale_f64 v[15:16], null, v[0:1], v[0:1], v[2:3]
	v_div_scale_f64 v[21:22], vcc_lo, v[2:3], v[0:1], v[2:3]
	v_rcp_f64_e32 v[17:18], v[15:16]
	v_fma_f64 v[19:20], -v[15:16], v[17:18], 1.0
	v_fma_f64 v[17:18], v[17:18], v[19:20], v[17:18]
	v_fma_f64 v[19:20], -v[15:16], v[17:18], 1.0
	v_fma_f64 v[17:18], v[17:18], v[19:20], v[17:18]
	v_mul_f64 v[19:20], v[21:22], v[17:18]
	v_fma_f64 v[15:16], -v[15:16], v[19:20], v[21:22]
	v_div_fmas_f64 v[15:16], v[15:16], v[17:18], v[19:20]
	v_div_fixup_f64 v[15:16], v[15:16], v[0:1], v[2:3]
	v_fma_f64 v[0:1], v[2:3], v[15:16], v[0:1]
	v_div_scale_f64 v[2:3], null, v[0:1], v[0:1], 1.0
	v_rcp_f64_e32 v[17:18], v[2:3]
	v_fma_f64 v[19:20], -v[2:3], v[17:18], 1.0
	v_fma_f64 v[17:18], v[17:18], v[19:20], v[17:18]
	v_fma_f64 v[19:20], -v[2:3], v[17:18], 1.0
	v_fma_f64 v[17:18], v[17:18], v[19:20], v[17:18]
	v_div_scale_f64 v[19:20], vcc_lo, 1.0, v[0:1], 1.0
	v_mul_f64 v[21:22], v[19:20], v[17:18]
	v_fma_f64 v[2:3], -v[2:3], v[21:22], v[19:20]
	v_div_fmas_f64 v[2:3], v[2:3], v[17:18], v[21:22]
	v_div_fixup_f64 v[0:1], v[2:3], v[0:1], 1.0
	v_mul_f64 v[2:3], v[15:16], -v[0:1]
.LBB126_751:
	s_or_b32 exec_lo, exec_lo, s16
.LBB126_752:
	s_or_b32 exec_lo, exec_lo, s4
	s_mov_b32 s4, exec_lo
	v_cmpx_ne_u32_e64 v5, v4
	s_xor_b32 s4, exec_lo, s4
	s_cbranch_execz .LBB126_758
; %bb.753:
	s_mov_b32 s16, exec_lo
	v_cmpx_eq_u32_e32 30, v5
	s_cbranch_execz .LBB126_757
; %bb.754:
	v_cmp_ne_u32_e32 vcc_lo, 30, v4
	s_xor_b32 s17, s20, -1
	s_and_b32 s56, s17, vcc_lo
	s_and_saveexec_b32 s17, s56
	s_cbranch_execz .LBB126_756
; %bb.755:
	v_ashrrev_i32_e32 v5, 31, v4
	v_lshlrev_b64 v[10:11], 2, v[4:5]
	v_add_co_u32 v10, vcc_lo, v8, v10
	v_add_co_ci_u32_e64 v11, null, v9, v11, vcc_lo
	s_clause 0x1
	global_load_dword v5, v[10:11], off
	global_load_dword v15, v[8:9], off offset:120
	s_waitcnt vmcnt(1)
	global_store_dword v[8:9], v5, off offset:120
	s_waitcnt vmcnt(0)
	global_store_dword v[10:11], v15, off
.LBB126_756:
	s_or_b32 exec_lo, exec_lo, s17
	v_mov_b32_e32 v5, v4
	v_mov_b32_e32 v11, v4
.LBB126_757:
	s_or_b32 exec_lo, exec_lo, s16
.LBB126_758:
	s_andn2_saveexec_b32 s4, s4
	s_cbranch_execz .LBB126_760
; %bb.759:
	v_mov_b32_e32 v4, s8
	v_mov_b32_e32 v10, s49
	;; [unrolled: 1-line block ×3, first 2 shown]
	s_clause 0x7
	buffer_load_dword v15, v4, s[0:3], 0 offen
	buffer_load_dword v16, v4, s[0:3], 0 offen offset:4
	buffer_load_dword v17, v4, s[0:3], 0 offen offset:8
	buffer_load_dword v18, v4, s[0:3], 0 offen offset:12
	buffer_load_dword v19, v5, s[0:3], 0 offen
	buffer_load_dword v20, v5, s[0:3], 0 offen offset:4
	buffer_load_dword v21, v5, s[0:3], 0 offen offset:8
	buffer_load_dword v22, v5, s[0:3], 0 offen offset:12
	v_mov_b32_e32 v4, s48
	v_mov_b32_e32 v5, s47
	s_clause 0x7
	buffer_load_dword v23, v10, s[0:3], 0 offen
	buffer_load_dword v24, v10, s[0:3], 0 offen offset:4
	buffer_load_dword v25, v10, s[0:3], 0 offen offset:8
	buffer_load_dword v26, v10, s[0:3], 0 offen offset:12
	buffer_load_dword v27, v4, s[0:3], 0 offen
	buffer_load_dword v28, v4, s[0:3], 0 offen offset:4
	buffer_load_dword v29, v4, s[0:3], 0 offen offset:8
	buffer_load_dword v30, v4, s[0:3], 0 offen offset:12
	v_mov_b32_e32 v10, s45
	v_mov_b32_e32 v4, s46
	;; [unrolled: 11-line block ×15, first 2 shown]
	s_clause 0xb
	buffer_load_dword v135, v10, s[0:3], 0 offen
	buffer_load_dword v136, v10, s[0:3], 0 offen offset:4
	buffer_load_dword v137, v10, s[0:3], 0 offen offset:8
	buffer_load_dword v138, v10, s[0:3], 0 offen offset:12
	buffer_load_dword v139, v4, s[0:3], 0 offen
	buffer_load_dword v140, v4, s[0:3], 0 offen offset:4
	buffer_load_dword v141, v4, s[0:3], 0 offen offset:8
	buffer_load_dword v142, v4, s[0:3], 0 offen offset:12
	;; [unrolled: 4-line block ×3, first 2 shown]
	v_mov_b32_e32 v5, 30
	s_waitcnt vmcnt(62)
	ds_write2_b64 v12, v[15:16], v[17:18] offset0:62 offset1:63
	ds_write2_b64 v12, v[19:20], v[21:22] offset0:64 offset1:65
	;; [unrolled: 1-line block ×17, first 2 shown]
	s_waitcnt vmcnt(60)
	ds_write2_b64 v12, v[83:84], v[85:86] offset0:96 offset1:97
	s_waitcnt vmcnt(56)
	ds_write2_b64 v12, v[87:88], v[89:90] offset0:98 offset1:99
	;; [unrolled: 2-line block ×16, first 2 shown]
.LBB126_760:
	s_or_b32 exec_lo, exec_lo, s4
	s_mov_b32 s4, exec_lo
	s_waitcnt lgkmcnt(0)
	s_waitcnt_vscnt null, 0x0
	s_barrier
	buffer_gl0_inv
	v_cmpx_lt_i32_e32 30, v5
	s_cbranch_execz .LBB126_763
; %bb.761:
	s_clause 0x3
	buffer_load_dword v15, off, s[0:3], 0 offset:488
	buffer_load_dword v16, off, s[0:3], 0 offset:492
	;; [unrolled: 1-line block ×4, first 2 shown]
	s_movk_i32 s16, 0x1f0
	s_waitcnt vmcnt(2)
	v_mul_f64 v[19:20], v[2:3], v[15:16]
	v_mul_f64 v[15:16], v[0:1], v[15:16]
	s_waitcnt vmcnt(0)
	v_fma_f64 v[0:1], v[0:1], v[17:18], -v[19:20]
	v_fma_f64 v[2:3], v[2:3], v[17:18], v[15:16]
	buffer_store_dword v0, off, s[0:3], 0 offset:480
	buffer_store_dword v1, off, s[0:3], 0 offset:484
	;; [unrolled: 1-line block ×4, first 2 shown]
.LBB126_762:                            ; =>This Inner Loop Header: Depth=1
	s_clause 0x3
	buffer_load_dword v19, off, s[0:3], 0 offset:488
	buffer_load_dword v20, off, s[0:3], 0 offset:492
	;; [unrolled: 1-line block ×4, first 2 shown]
	v_mov_b32_e32 v4, s16
	v_add_nc_u32_e32 v10, s16, v12
	s_add_i32 s16, s16, 48
	s_clause 0x3
	buffer_load_dword v23, v4, s[0:3], 0 offen
	buffer_load_dword v24, v4, s[0:3], 0 offen offset:4
	buffer_load_dword v25, v4, s[0:3], 0 offen offset:8
	;; [unrolled: 1-line block ×3, first 2 shown]
	ds_read2_b64 v[0:3], v10 offset1:1
	ds_read2_b64 v[15:18], v10 offset0:2 offset1:3
	s_cmpk_lg_i32 s16, 0x400
	s_waitcnt vmcnt(6) lgkmcnt(1)
	v_mul_f64 v[27:28], v[2:3], v[19:20]
	v_mul_f64 v[19:20], v[0:1], v[19:20]
	s_waitcnt vmcnt(4)
	v_fma_f64 v[0:1], v[0:1], v[21:22], -v[27:28]
	v_fma_f64 v[2:3], v[2:3], v[21:22], v[19:20]
	s_clause 0x3
	buffer_load_dword v19, v4, s[0:3], 0 offen offset:16
	buffer_load_dword v20, v4, s[0:3], 0 offen offset:20
	;; [unrolled: 1-line block ×4, first 2 shown]
	s_waitcnt vmcnt(6)
	v_add_f64 v[0:1], v[23:24], -v[0:1]
	s_waitcnt vmcnt(4)
	v_add_f64 v[2:3], v[25:26], -v[2:3]
	buffer_store_dword v1, v4, s[0:3], 0 offen offset:4
	buffer_store_dword v0, v4, s[0:3], 0 offen
	buffer_store_dword v3, v4, s[0:3], 0 offen offset:12
	buffer_store_dword v2, v4, s[0:3], 0 offen offset:8
	s_clause 0x3
	buffer_load_dword v1, off, s[0:3], 0 offset:492
	buffer_load_dword v0, off, s[0:3], 0 offset:488
	;; [unrolled: 1-line block ×4, first 2 shown]
	s_waitcnt vmcnt(2) lgkmcnt(0)
	v_mul_f64 v[23:24], v[17:18], v[0:1]
	v_mul_f64 v[0:1], v[15:16], v[0:1]
	s_waitcnt vmcnt(0)
	v_fma_f64 v[15:16], v[15:16], v[2:3], -v[23:24]
	v_fma_f64 v[0:1], v[17:18], v[2:3], v[0:1]
	v_add_f64 v[2:3], v[19:20], -v[15:16]
	v_add_f64 v[0:1], v[21:22], -v[0:1]
	s_clause 0x3
	buffer_load_dword v15, v4, s[0:3], 0 offen offset:32
	buffer_load_dword v16, v4, s[0:3], 0 offen offset:36
	;; [unrolled: 1-line block ×4, first 2 shown]
	buffer_store_dword v3, v4, s[0:3], 0 offen offset:20
	buffer_store_dword v2, v4, s[0:3], 0 offen offset:16
	;; [unrolled: 1-line block ×4, first 2 shown]
	s_clause 0x3
	buffer_load_dword v19, off, s[0:3], 0 offset:488
	buffer_load_dword v20, off, s[0:3], 0 offset:492
	;; [unrolled: 1-line block ×4, first 2 shown]
	ds_read2_b64 v[0:3], v10 offset0:4 offset1:5
	s_waitcnt vmcnt(2) lgkmcnt(0)
	v_mul_f64 v[23:24], v[2:3], v[19:20]
	v_mul_f64 v[19:20], v[0:1], v[19:20]
	s_waitcnt vmcnt(0)
	v_fma_f64 v[0:1], v[0:1], v[21:22], -v[23:24]
	v_fma_f64 v[2:3], v[2:3], v[21:22], v[19:20]
	v_add_f64 v[0:1], v[15:16], -v[0:1]
	v_add_f64 v[2:3], v[17:18], -v[2:3]
	buffer_store_dword v1, v4, s[0:3], 0 offen offset:36
	buffer_store_dword v0, v4, s[0:3], 0 offen offset:32
	;; [unrolled: 1-line block ×4, first 2 shown]
	s_cbranch_scc1 .LBB126_762
.LBB126_763:
	s_or_b32 exec_lo, exec_lo, s4
	v_mov_b32_e32 v3, s8
	s_waitcnt_vscnt null, 0x0
	s_barrier
	buffer_gl0_inv
	v_lshl_add_u32 v4, v5, 4, v12
	s_clause 0x3
	buffer_load_dword v0, v3, s[0:3], 0 offen
	buffer_load_dword v1, v3, s[0:3], 0 offen offset:4
	buffer_load_dword v2, v3, s[0:3], 0 offen offset:8
	;; [unrolled: 1-line block ×3, first 2 shown]
	s_cmp_lt_i32 s57, 33
	s_waitcnt vmcnt(0)
	ds_write2_b64 v4, v[0:1], v[2:3] offset1:1
	s_waitcnt lgkmcnt(0)
	s_barrier
	buffer_gl0_inv
	ds_read2_b64 v[0:3], v12 offset0:62 offset1:63
	v_mov_b32_e32 v4, 31
	s_cbranch_scc1 .LBB126_766
; %bb.764:
	v_add3_u32 v10, v14, 0, 0x200
	v_mov_b32_e32 v4, 31
	s_mov_b32 s16, 32
	s_inst_prefetch 0x1
	.p2align	6
.LBB126_765:                            ; =>This Inner Loop Header: Depth=1
	s_waitcnt lgkmcnt(0)
	v_cmp_gt_f64_e32 vcc_lo, 0, v[2:3]
	v_cmp_gt_f64_e64 s4, 0, v[0:1]
	ds_read2_b64 v[15:18], v10 offset1:1
	v_xor_b32_e32 v20, 0x80000000, v1
	v_xor_b32_e32 v22, 0x80000000, v3
	v_mov_b32_e32 v19, v0
	v_mov_b32_e32 v21, v2
	v_add_nc_u32_e32 v10, 16, v10
	s_waitcnt lgkmcnt(0)
	v_xor_b32_e32 v24, 0x80000000, v18
	v_cndmask_b32_e64 v20, v1, v20, s4
	v_cndmask_b32_e32 v22, v3, v22, vcc_lo
	v_cmp_gt_f64_e32 vcc_lo, 0, v[17:18]
	v_cmp_gt_f64_e64 s4, 0, v[15:16]
	v_mov_b32_e32 v23, v17
	v_add_f64 v[19:20], v[19:20], v[21:22]
	v_xor_b32_e32 v22, 0x80000000, v16
	v_mov_b32_e32 v21, v15
	v_cndmask_b32_e32 v24, v18, v24, vcc_lo
	v_cndmask_b32_e64 v22, v16, v22, s4
	v_add_f64 v[21:22], v[21:22], v[23:24]
	v_cmp_lt_f64_e32 vcc_lo, v[19:20], v[21:22]
	v_cndmask_b32_e32 v1, v1, v16, vcc_lo
	v_cndmask_b32_e32 v0, v0, v15, vcc_lo
	;; [unrolled: 1-line block ×4, first 2 shown]
	v_cndmask_b32_e64 v4, v4, s16, vcc_lo
	s_add_i32 s16, s16, 1
	s_cmp_lg_u32 s57, s16
	s_cbranch_scc1 .LBB126_765
.LBB126_766:
	s_inst_prefetch 0x2
	s_waitcnt lgkmcnt(0)
	v_cmp_eq_f64_e32 vcc_lo, 0, v[0:1]
	v_cmp_eq_f64_e64 s4, 0, v[2:3]
	s_and_b32 s4, vcc_lo, s4
	s_and_saveexec_b32 s16, s4
	s_xor_b32 s4, exec_lo, s16
; %bb.767:
	v_cmp_ne_u32_e32 vcc_lo, 0, v13
	v_cndmask_b32_e32 v13, 32, v13, vcc_lo
; %bb.768:
	s_andn2_saveexec_b32 s4, s4
	s_cbranch_execz .LBB126_774
; %bb.769:
	v_cmp_ngt_f64_e64 s16, |v[0:1]|, |v[2:3]|
	s_and_saveexec_b32 s17, s16
	s_xor_b32 s16, exec_lo, s17
	s_cbranch_execz .LBB126_771
; %bb.770:
	v_div_scale_f64 v[15:16], null, v[2:3], v[2:3], v[0:1]
	v_div_scale_f64 v[21:22], vcc_lo, v[0:1], v[2:3], v[0:1]
	v_rcp_f64_e32 v[17:18], v[15:16]
	v_fma_f64 v[19:20], -v[15:16], v[17:18], 1.0
	v_fma_f64 v[17:18], v[17:18], v[19:20], v[17:18]
	v_fma_f64 v[19:20], -v[15:16], v[17:18], 1.0
	v_fma_f64 v[17:18], v[17:18], v[19:20], v[17:18]
	v_mul_f64 v[19:20], v[21:22], v[17:18]
	v_fma_f64 v[15:16], -v[15:16], v[19:20], v[21:22]
	v_div_fmas_f64 v[15:16], v[15:16], v[17:18], v[19:20]
	v_div_fixup_f64 v[15:16], v[15:16], v[2:3], v[0:1]
	v_fma_f64 v[0:1], v[0:1], v[15:16], v[2:3]
	v_div_scale_f64 v[2:3], null, v[0:1], v[0:1], 1.0
	v_rcp_f64_e32 v[17:18], v[2:3]
	v_fma_f64 v[19:20], -v[2:3], v[17:18], 1.0
	v_fma_f64 v[17:18], v[17:18], v[19:20], v[17:18]
	v_fma_f64 v[19:20], -v[2:3], v[17:18], 1.0
	v_fma_f64 v[17:18], v[17:18], v[19:20], v[17:18]
	v_div_scale_f64 v[19:20], vcc_lo, 1.0, v[0:1], 1.0
	v_mul_f64 v[21:22], v[19:20], v[17:18]
	v_fma_f64 v[2:3], -v[2:3], v[21:22], v[19:20]
	v_div_fmas_f64 v[2:3], v[2:3], v[17:18], v[21:22]
	v_div_fixup_f64 v[2:3], v[2:3], v[0:1], 1.0
	v_mul_f64 v[0:1], v[15:16], v[2:3]
	v_xor_b32_e32 v3, 0x80000000, v3
.LBB126_771:
	s_andn2_saveexec_b32 s16, s16
	s_cbranch_execz .LBB126_773
; %bb.772:
	v_div_scale_f64 v[15:16], null, v[0:1], v[0:1], v[2:3]
	v_div_scale_f64 v[21:22], vcc_lo, v[2:3], v[0:1], v[2:3]
	v_rcp_f64_e32 v[17:18], v[15:16]
	v_fma_f64 v[19:20], -v[15:16], v[17:18], 1.0
	v_fma_f64 v[17:18], v[17:18], v[19:20], v[17:18]
	v_fma_f64 v[19:20], -v[15:16], v[17:18], 1.0
	v_fma_f64 v[17:18], v[17:18], v[19:20], v[17:18]
	v_mul_f64 v[19:20], v[21:22], v[17:18]
	v_fma_f64 v[15:16], -v[15:16], v[19:20], v[21:22]
	v_div_fmas_f64 v[15:16], v[15:16], v[17:18], v[19:20]
	v_div_fixup_f64 v[15:16], v[15:16], v[0:1], v[2:3]
	v_fma_f64 v[0:1], v[2:3], v[15:16], v[0:1]
	v_div_scale_f64 v[2:3], null, v[0:1], v[0:1], 1.0
	v_rcp_f64_e32 v[17:18], v[2:3]
	v_fma_f64 v[19:20], -v[2:3], v[17:18], 1.0
	v_fma_f64 v[17:18], v[17:18], v[19:20], v[17:18]
	v_fma_f64 v[19:20], -v[2:3], v[17:18], 1.0
	v_fma_f64 v[17:18], v[17:18], v[19:20], v[17:18]
	v_div_scale_f64 v[19:20], vcc_lo, 1.0, v[0:1], 1.0
	v_mul_f64 v[21:22], v[19:20], v[17:18]
	v_fma_f64 v[2:3], -v[2:3], v[21:22], v[19:20]
	v_div_fmas_f64 v[2:3], v[2:3], v[17:18], v[21:22]
	v_div_fixup_f64 v[0:1], v[2:3], v[0:1], 1.0
	v_mul_f64 v[2:3], v[15:16], -v[0:1]
.LBB126_773:
	s_or_b32 exec_lo, exec_lo, s16
.LBB126_774:
	s_or_b32 exec_lo, exec_lo, s4
	s_mov_b32 s4, exec_lo
	v_cmpx_ne_u32_e64 v5, v4
	s_xor_b32 s4, exec_lo, s4
	s_cbranch_execz .LBB126_780
; %bb.775:
	s_mov_b32 s16, exec_lo
	v_cmpx_eq_u32_e32 31, v5
	s_cbranch_execz .LBB126_779
; %bb.776:
	v_cmp_ne_u32_e32 vcc_lo, 31, v4
	s_xor_b32 s17, s20, -1
	s_and_b32 s56, s17, vcc_lo
	s_and_saveexec_b32 s17, s56
	s_cbranch_execz .LBB126_778
; %bb.777:
	v_ashrrev_i32_e32 v5, 31, v4
	v_lshlrev_b64 v[10:11], 2, v[4:5]
	v_add_co_u32 v10, vcc_lo, v8, v10
	v_add_co_ci_u32_e64 v11, null, v9, v11, vcc_lo
	s_clause 0x1
	global_load_dword v5, v[10:11], off
	global_load_dword v15, v[8:9], off offset:124
	s_waitcnt vmcnt(1)
	global_store_dword v[8:9], v5, off offset:124
	s_waitcnt vmcnt(0)
	global_store_dword v[10:11], v15, off
.LBB126_778:
	s_or_b32 exec_lo, exec_lo, s17
	v_mov_b32_e32 v5, v4
	v_mov_b32_e32 v11, v4
.LBB126_779:
	s_or_b32 exec_lo, exec_lo, s16
.LBB126_780:
	s_andn2_saveexec_b32 s4, s4
	s_cbranch_execz .LBB126_782
; %bb.781:
	v_mov_b32_e32 v4, s50
	v_mov_b32_e32 v10, s48
	v_mov_b32_e32 v5, s49
	s_clause 0x7
	buffer_load_dword v15, v4, s[0:3], 0 offen
	buffer_load_dword v16, v4, s[0:3], 0 offen offset:4
	buffer_load_dword v17, v4, s[0:3], 0 offen offset:8
	buffer_load_dword v18, v4, s[0:3], 0 offen offset:12
	buffer_load_dword v19, v5, s[0:3], 0 offen
	buffer_load_dword v20, v5, s[0:3], 0 offen offset:4
	buffer_load_dword v21, v5, s[0:3], 0 offen offset:8
	buffer_load_dword v22, v5, s[0:3], 0 offen offset:12
	v_mov_b32_e32 v4, s47
	v_mov_b32_e32 v5, s46
	s_clause 0x7
	buffer_load_dword v23, v10, s[0:3], 0 offen
	buffer_load_dword v24, v10, s[0:3], 0 offen offset:4
	buffer_load_dword v25, v10, s[0:3], 0 offen offset:8
	buffer_load_dword v26, v10, s[0:3], 0 offen offset:12
	buffer_load_dword v27, v4, s[0:3], 0 offen
	buffer_load_dword v28, v4, s[0:3], 0 offen offset:4
	buffer_load_dword v29, v4, s[0:3], 0 offen offset:8
	buffer_load_dword v30, v4, s[0:3], 0 offen offset:12
	v_mov_b32_e32 v10, s44
	v_mov_b32_e32 v4, s45
	;; [unrolled: 11-line block ×14, first 2 shown]
	s_clause 0x7
	buffer_load_dword v127, v5, s[0:3], 0 offen
	buffer_load_dword v128, v5, s[0:3], 0 offen offset:4
	buffer_load_dword v129, v5, s[0:3], 0 offen offset:8
	;; [unrolled: 1-line block ×3, first 2 shown]
	buffer_load_dword v131, v4, s[0:3], 0 offen
	buffer_load_dword v132, v4, s[0:3], 0 offen offset:4
	buffer_load_dword v133, v4, s[0:3], 0 offen offset:8
	;; [unrolled: 1-line block ×3, first 2 shown]
	v_mov_b32_e32 v4, s5
	s_clause 0x7
	buffer_load_dword v135, v10, s[0:3], 0 offen
	buffer_load_dword v136, v10, s[0:3], 0 offen offset:4
	buffer_load_dword v137, v10, s[0:3], 0 offen offset:8
	;; [unrolled: 1-line block ×3, first 2 shown]
	buffer_load_dword v139, v4, s[0:3], 0 offen
	buffer_load_dword v140, v4, s[0:3], 0 offen offset:4
	buffer_load_dword v141, v4, s[0:3], 0 offen offset:8
	;; [unrolled: 1-line block ×3, first 2 shown]
	v_mov_b32_e32 v5, 31
	s_waitcnt vmcnt(62)
	ds_write2_b64 v12, v[15:16], v[17:18] offset0:64 offset1:65
	ds_write2_b64 v12, v[19:20], v[21:22] offset0:66 offset1:67
	ds_write2_b64 v12, v[23:24], v[25:26] offset0:68 offset1:69
	ds_write2_b64 v12, v[27:28], v[29:30] offset0:70 offset1:71
	ds_write2_b64 v12, v[31:32], v[33:34] offset0:72 offset1:73
	ds_write2_b64 v12, v[35:36], v[37:38] offset0:74 offset1:75
	ds_write2_b64 v12, v[39:40], v[41:42] offset0:76 offset1:77
	ds_write2_b64 v12, v[43:44], v[45:46] offset0:78 offset1:79
	ds_write2_b64 v12, v[47:48], v[49:50] offset0:80 offset1:81
	ds_write2_b64 v12, v[51:52], v[53:54] offset0:82 offset1:83
	ds_write2_b64 v12, v[55:56], v[57:58] offset0:84 offset1:85
	ds_write2_b64 v12, v[59:60], v[61:62] offset0:86 offset1:87
	ds_write2_b64 v12, v[63:64], v[65:66] offset0:88 offset1:89
	ds_write2_b64 v12, v[67:68], v[69:70] offset0:90 offset1:91
	ds_write2_b64 v12, v[71:72], v[73:74] offset0:92 offset1:93
	ds_write2_b64 v12, v[75:76], v[77:78] offset0:94 offset1:95
	s_waitcnt vmcnt(60)
	ds_write2_b64 v12, v[79:80], v[81:82] offset0:96 offset1:97
	s_waitcnt vmcnt(56)
	ds_write2_b64 v12, v[83:84], v[85:86] offset0:98 offset1:99
	;; [unrolled: 2-line block ×16, first 2 shown]
.LBB126_782:
	s_or_b32 exec_lo, exec_lo, s4
	s_mov_b32 s4, exec_lo
	s_waitcnt lgkmcnt(0)
	s_waitcnt_vscnt null, 0x0
	s_barrier
	buffer_gl0_inv
	v_cmpx_lt_i32_e32 31, v5
	s_cbranch_execz .LBB126_785
; %bb.783:
	s_clause 0x3
	buffer_load_dword v15, off, s[0:3], 0 offset:504
	buffer_load_dword v16, off, s[0:3], 0 offset:508
	;; [unrolled: 1-line block ×4, first 2 shown]
	v_add3_u32 v4, v14, 0, 0x200
	s_mov_b32 s16, 0
	s_waitcnt vmcnt(2)
	v_mul_f64 v[19:20], v[2:3], v[15:16]
	v_mul_f64 v[15:16], v[0:1], v[15:16]
	s_waitcnt vmcnt(0)
	v_fma_f64 v[0:1], v[0:1], v[17:18], -v[19:20]
	v_fma_f64 v[2:3], v[2:3], v[17:18], v[15:16]
	buffer_store_dword v0, off, s[0:3], 0 offset:496
	buffer_store_dword v1, off, s[0:3], 0 offset:500
	buffer_store_dword v2, off, s[0:3], 0 offset:504
	buffer_store_dword v3, off, s[0:3], 0 offset:508
.LBB126_784:                            ; =>This Inner Loop Header: Depth=1
	v_mov_b32_e32 v10, s16
	v_add_nc_u32_e32 v27, s16, v4
	s_add_i32 s16, s16, 64
	s_clause 0xf
	buffer_load_dword v31, v10, s[0:3], 0 offen offset:512
	buffer_load_dword v32, v10, s[0:3], 0 offen offset:516
	;; [unrolled: 1-line block ×16, first 2 shown]
	ds_read2_b64 v[15:18], v27 offset1:1
	ds_read2_b64 v[19:22], v27 offset0:2 offset1:3
	ds_read2_b64 v[23:26], v27 offset0:4 offset1:5
	;; [unrolled: 1-line block ×3, first 2 shown]
	s_cmpk_lg_i32 s16, 0x200
	s_waitcnt lgkmcnt(3)
	v_mul_f64 v[47:48], v[17:18], v[2:3]
	v_mul_f64 v[49:50], v[15:16], v[2:3]
	s_waitcnt lgkmcnt(2)
	v_mul_f64 v[51:52], v[21:22], v[2:3]
	v_mul_f64 v[53:54], v[19:20], v[2:3]
	;; [unrolled: 3-line block ×4, first 2 shown]
	v_fma_f64 v[15:16], v[15:16], v[0:1], -v[47:48]
	v_fma_f64 v[17:18], v[17:18], v[0:1], v[49:50]
	v_fma_f64 v[19:20], v[19:20], v[0:1], -v[51:52]
	v_fma_f64 v[21:22], v[21:22], v[0:1], v[53:54]
	;; [unrolled: 2-line block ×4, first 2 shown]
	s_waitcnt vmcnt(14)
	v_add_f64 v[15:16], v[31:32], -v[15:16]
	s_waitcnt vmcnt(12)
	v_add_f64 v[17:18], v[33:34], -v[17:18]
	;; [unrolled: 2-line block ×8, first 2 shown]
	buffer_store_dword v15, v10, s[0:3], 0 offen offset:512
	buffer_store_dword v16, v10, s[0:3], 0 offen offset:516
	;; [unrolled: 1-line block ×16, first 2 shown]
	s_cbranch_scc1 .LBB126_784
.LBB126_785:
	s_or_b32 exec_lo, exec_lo, s4
	v_mov_b32_e32 v3, s50
	s_waitcnt_vscnt null, 0x0
	s_barrier
	buffer_gl0_inv
	v_lshl_add_u32 v4, v5, 4, v12
	s_clause 0x3
	buffer_load_dword v0, v3, s[0:3], 0 offen
	buffer_load_dword v1, v3, s[0:3], 0 offen offset:4
	buffer_load_dword v2, v3, s[0:3], 0 offen offset:8
	;; [unrolled: 1-line block ×3, first 2 shown]
	s_cmp_lt_i32 s57, 34
	s_waitcnt vmcnt(0)
	ds_write2_b64 v4, v[0:1], v[2:3] offset1:1
	s_waitcnt lgkmcnt(0)
	s_barrier
	buffer_gl0_inv
	ds_read2_b64 v[0:3], v12 offset0:64 offset1:65
	v_mov_b32_e32 v4, 32
	s_cbranch_scc1 .LBB126_788
; %bb.786:
	v_add3_u32 v10, v14, 0, 0x210
	v_mov_b32_e32 v4, 32
	s_mov_b32 s16, 33
	s_inst_prefetch 0x1
	.p2align	6
.LBB126_787:                            ; =>This Inner Loop Header: Depth=1
	s_waitcnt lgkmcnt(0)
	v_cmp_gt_f64_e32 vcc_lo, 0, v[2:3]
	v_cmp_gt_f64_e64 s4, 0, v[0:1]
	ds_read2_b64 v[15:18], v10 offset1:1
	v_xor_b32_e32 v20, 0x80000000, v1
	v_xor_b32_e32 v22, 0x80000000, v3
	v_mov_b32_e32 v19, v0
	v_mov_b32_e32 v21, v2
	v_add_nc_u32_e32 v10, 16, v10
	s_waitcnt lgkmcnt(0)
	v_xor_b32_e32 v24, 0x80000000, v18
	v_cndmask_b32_e64 v20, v1, v20, s4
	v_cndmask_b32_e32 v22, v3, v22, vcc_lo
	v_cmp_gt_f64_e32 vcc_lo, 0, v[17:18]
	v_cmp_gt_f64_e64 s4, 0, v[15:16]
	v_mov_b32_e32 v23, v17
	v_add_f64 v[19:20], v[19:20], v[21:22]
	v_xor_b32_e32 v22, 0x80000000, v16
	v_mov_b32_e32 v21, v15
	v_cndmask_b32_e32 v24, v18, v24, vcc_lo
	v_cndmask_b32_e64 v22, v16, v22, s4
	v_add_f64 v[21:22], v[21:22], v[23:24]
	v_cmp_lt_f64_e32 vcc_lo, v[19:20], v[21:22]
	v_cndmask_b32_e32 v1, v1, v16, vcc_lo
	v_cndmask_b32_e32 v0, v0, v15, vcc_lo
	;; [unrolled: 1-line block ×4, first 2 shown]
	v_cndmask_b32_e64 v4, v4, s16, vcc_lo
	s_add_i32 s16, s16, 1
	s_cmp_lg_u32 s57, s16
	s_cbranch_scc1 .LBB126_787
.LBB126_788:
	s_inst_prefetch 0x2
	s_waitcnt lgkmcnt(0)
	v_cmp_eq_f64_e32 vcc_lo, 0, v[0:1]
	v_cmp_eq_f64_e64 s4, 0, v[2:3]
	s_and_b32 s4, vcc_lo, s4
	s_and_saveexec_b32 s16, s4
	s_xor_b32 s4, exec_lo, s16
; %bb.789:
	v_cmp_ne_u32_e32 vcc_lo, 0, v13
	v_cndmask_b32_e32 v13, 33, v13, vcc_lo
; %bb.790:
	s_andn2_saveexec_b32 s4, s4
	s_cbranch_execz .LBB126_796
; %bb.791:
	v_cmp_ngt_f64_e64 s16, |v[0:1]|, |v[2:3]|
	s_and_saveexec_b32 s17, s16
	s_xor_b32 s16, exec_lo, s17
	s_cbranch_execz .LBB126_793
; %bb.792:
	v_div_scale_f64 v[15:16], null, v[2:3], v[2:3], v[0:1]
	v_div_scale_f64 v[21:22], vcc_lo, v[0:1], v[2:3], v[0:1]
	v_rcp_f64_e32 v[17:18], v[15:16]
	v_fma_f64 v[19:20], -v[15:16], v[17:18], 1.0
	v_fma_f64 v[17:18], v[17:18], v[19:20], v[17:18]
	v_fma_f64 v[19:20], -v[15:16], v[17:18], 1.0
	v_fma_f64 v[17:18], v[17:18], v[19:20], v[17:18]
	v_mul_f64 v[19:20], v[21:22], v[17:18]
	v_fma_f64 v[15:16], -v[15:16], v[19:20], v[21:22]
	v_div_fmas_f64 v[15:16], v[15:16], v[17:18], v[19:20]
	v_div_fixup_f64 v[15:16], v[15:16], v[2:3], v[0:1]
	v_fma_f64 v[0:1], v[0:1], v[15:16], v[2:3]
	v_div_scale_f64 v[2:3], null, v[0:1], v[0:1], 1.0
	v_rcp_f64_e32 v[17:18], v[2:3]
	v_fma_f64 v[19:20], -v[2:3], v[17:18], 1.0
	v_fma_f64 v[17:18], v[17:18], v[19:20], v[17:18]
	v_fma_f64 v[19:20], -v[2:3], v[17:18], 1.0
	v_fma_f64 v[17:18], v[17:18], v[19:20], v[17:18]
	v_div_scale_f64 v[19:20], vcc_lo, 1.0, v[0:1], 1.0
	v_mul_f64 v[21:22], v[19:20], v[17:18]
	v_fma_f64 v[2:3], -v[2:3], v[21:22], v[19:20]
	v_div_fmas_f64 v[2:3], v[2:3], v[17:18], v[21:22]
	v_div_fixup_f64 v[2:3], v[2:3], v[0:1], 1.0
	v_mul_f64 v[0:1], v[15:16], v[2:3]
	v_xor_b32_e32 v3, 0x80000000, v3
.LBB126_793:
	s_andn2_saveexec_b32 s16, s16
	s_cbranch_execz .LBB126_795
; %bb.794:
	v_div_scale_f64 v[15:16], null, v[0:1], v[0:1], v[2:3]
	v_div_scale_f64 v[21:22], vcc_lo, v[2:3], v[0:1], v[2:3]
	v_rcp_f64_e32 v[17:18], v[15:16]
	v_fma_f64 v[19:20], -v[15:16], v[17:18], 1.0
	v_fma_f64 v[17:18], v[17:18], v[19:20], v[17:18]
	v_fma_f64 v[19:20], -v[15:16], v[17:18], 1.0
	v_fma_f64 v[17:18], v[17:18], v[19:20], v[17:18]
	v_mul_f64 v[19:20], v[21:22], v[17:18]
	v_fma_f64 v[15:16], -v[15:16], v[19:20], v[21:22]
	v_div_fmas_f64 v[15:16], v[15:16], v[17:18], v[19:20]
	v_div_fixup_f64 v[15:16], v[15:16], v[0:1], v[2:3]
	v_fma_f64 v[0:1], v[2:3], v[15:16], v[0:1]
	v_div_scale_f64 v[2:3], null, v[0:1], v[0:1], 1.0
	v_rcp_f64_e32 v[17:18], v[2:3]
	v_fma_f64 v[19:20], -v[2:3], v[17:18], 1.0
	v_fma_f64 v[17:18], v[17:18], v[19:20], v[17:18]
	v_fma_f64 v[19:20], -v[2:3], v[17:18], 1.0
	v_fma_f64 v[17:18], v[17:18], v[19:20], v[17:18]
	v_div_scale_f64 v[19:20], vcc_lo, 1.0, v[0:1], 1.0
	v_mul_f64 v[21:22], v[19:20], v[17:18]
	v_fma_f64 v[2:3], -v[2:3], v[21:22], v[19:20]
	v_div_fmas_f64 v[2:3], v[2:3], v[17:18], v[21:22]
	v_div_fixup_f64 v[0:1], v[2:3], v[0:1], 1.0
	v_mul_f64 v[2:3], v[15:16], -v[0:1]
.LBB126_795:
	s_or_b32 exec_lo, exec_lo, s16
.LBB126_796:
	s_or_b32 exec_lo, exec_lo, s4
	s_mov_b32 s4, exec_lo
	v_cmpx_ne_u32_e64 v5, v4
	s_xor_b32 s4, exec_lo, s4
	s_cbranch_execz .LBB126_802
; %bb.797:
	s_mov_b32 s16, exec_lo
	v_cmpx_eq_u32_e32 32, v5
	s_cbranch_execz .LBB126_801
; %bb.798:
	v_cmp_ne_u32_e32 vcc_lo, 32, v4
	s_xor_b32 s17, s20, -1
	s_and_b32 s56, s17, vcc_lo
	s_and_saveexec_b32 s17, s56
	s_cbranch_execz .LBB126_800
; %bb.799:
	v_ashrrev_i32_e32 v5, 31, v4
	v_lshlrev_b64 v[10:11], 2, v[4:5]
	v_add_co_u32 v10, vcc_lo, v8, v10
	v_add_co_ci_u32_e64 v11, null, v9, v11, vcc_lo
	s_clause 0x1
	global_load_dword v5, v[10:11], off
	global_load_dword v15, v[8:9], off offset:128
	s_waitcnt vmcnt(1)
	global_store_dword v[8:9], v5, off offset:128
	s_waitcnt vmcnt(0)
	global_store_dword v[10:11], v15, off
.LBB126_800:
	s_or_b32 exec_lo, exec_lo, s17
	v_mov_b32_e32 v5, v4
	v_mov_b32_e32 v11, v4
.LBB126_801:
	s_or_b32 exec_lo, exec_lo, s16
.LBB126_802:
	s_andn2_saveexec_b32 s4, s4
	s_cbranch_execz .LBB126_804
; %bb.803:
	v_mov_b32_e32 v4, s49
	v_mov_b32_e32 v5, s48
	;; [unrolled: 1-line block ×3, first 2 shown]
	s_clause 0x7
	buffer_load_dword v15, v4, s[0:3], 0 offen
	buffer_load_dword v16, v4, s[0:3], 0 offen offset:4
	buffer_load_dword v17, v4, s[0:3], 0 offen offset:8
	buffer_load_dword v18, v4, s[0:3], 0 offen offset:12
	buffer_load_dword v19, v5, s[0:3], 0 offen
	buffer_load_dword v20, v5, s[0:3], 0 offen offset:4
	buffer_load_dword v21, v5, s[0:3], 0 offen offset:8
	buffer_load_dword v22, v5, s[0:3], 0 offen offset:12
	v_mov_b32_e32 v5, s45
	v_mov_b32_e32 v4, s46
	s_clause 0x7
	buffer_load_dword v23, v10, s[0:3], 0 offen
	buffer_load_dword v24, v10, s[0:3], 0 offen offset:4
	buffer_load_dword v25, v10, s[0:3], 0 offen offset:8
	buffer_load_dword v26, v10, s[0:3], 0 offen offset:12
	buffer_load_dword v27, v4, s[0:3], 0 offen
	buffer_load_dword v28, v4, s[0:3], 0 offen offset:4
	buffer_load_dword v29, v4, s[0:3], 0 offen offset:8
	buffer_load_dword v30, v4, s[0:3], 0 offen offset:12
	v_mov_b32_e32 v4, s44
	v_mov_b32_e32 v10, s43
	;; [unrolled: 11-line block ×14, first 2 shown]
	s_clause 0xb
	buffer_load_dword v127, v5, s[0:3], 0 offen
	buffer_load_dword v128, v5, s[0:3], 0 offen offset:4
	buffer_load_dword v129, v5, s[0:3], 0 offen offset:8
	buffer_load_dword v130, v5, s[0:3], 0 offen offset:12
	buffer_load_dword v131, v4, s[0:3], 0 offen
	buffer_load_dword v132, v4, s[0:3], 0 offen offset:4
	buffer_load_dword v133, v4, s[0:3], 0 offen offset:8
	buffer_load_dword v134, v4, s[0:3], 0 offen offset:12
	;; [unrolled: 4-line block ×3, first 2 shown]
	v_mov_b32_e32 v5, 32
	s_waitcnt vmcnt(62)
	ds_write2_b64 v12, v[15:16], v[17:18] offset0:66 offset1:67
	ds_write2_b64 v12, v[19:20], v[21:22] offset0:68 offset1:69
	;; [unrolled: 1-line block ×15, first 2 shown]
	s_waitcnt vmcnt(60)
	ds_write2_b64 v12, v[75:76], v[77:78] offset0:96 offset1:97
	s_waitcnt vmcnt(56)
	ds_write2_b64 v12, v[79:80], v[81:82] offset0:98 offset1:99
	;; [unrolled: 2-line block ×16, first 2 shown]
.LBB126_804:
	s_or_b32 exec_lo, exec_lo, s4
	s_mov_b32 s4, exec_lo
	s_waitcnt lgkmcnt(0)
	s_waitcnt_vscnt null, 0x0
	s_barrier
	buffer_gl0_inv
	v_cmpx_lt_i32_e32 32, v5
	s_cbranch_execz .LBB126_809
; %bb.805:
	s_clause 0x3
	buffer_load_dword v15, off, s[0:3], 0 offset:520
	buffer_load_dword v16, off, s[0:3], 0 offset:524
	;; [unrolled: 1-line block ×4, first 2 shown]
	v_add3_u32 v4, v14, 0, 0x210
	s_mov_b32 s16, 0
	s_waitcnt vmcnt(2)
	v_mul_f64 v[19:20], v[2:3], v[15:16]
	v_mul_f64 v[15:16], v[0:1], v[15:16]
	s_waitcnt vmcnt(0)
	v_fma_f64 v[0:1], v[0:1], v[17:18], -v[19:20]
	v_fma_f64 v[2:3], v[2:3], v[17:18], v[15:16]
	buffer_store_dword v0, off, s[0:3], 0 offset:512
	buffer_store_dword v1, off, s[0:3], 0 offset:516
	;; [unrolled: 1-line block ×4, first 2 shown]
	s_branch .LBB126_807
.LBB126_806:                            ;   in Loop: Header=BB126_807 Depth=1
	s_andn2_b32 vcc_lo, exec_lo, s56
	s_cbranch_vccz .LBB126_809
.LBB126_807:                            ; =>This Inner Loop Header: Depth=1
	v_mov_b32_e32 v51, s16
	v_add_nc_u32_e32 v10, s16, v4
	s_mov_b32 s17, s16
	s_mov_b32 s56, -1
	s_cmpk_eq_i32 s16, 0x1c0
	s_clause 0xb
	buffer_load_dword v27, v51, s[0:3], 0 offen offset:528
	buffer_load_dword v28, v51, s[0:3], 0 offen offset:532
	;; [unrolled: 1-line block ×12, first 2 shown]
	ds_read2_b64 v[15:18], v10 offset1:1
	ds_read2_b64 v[19:22], v10 offset0:2 offset1:3
	ds_read2_b64 v[23:26], v10 offset0:4 offset1:5
	s_waitcnt lgkmcnt(2)
	v_mul_f64 v[39:40], v[17:18], v[2:3]
	v_mul_f64 v[41:42], v[15:16], v[2:3]
	s_waitcnt lgkmcnt(1)
	v_mul_f64 v[43:44], v[21:22], v[2:3]
	v_mul_f64 v[45:46], v[19:20], v[2:3]
	s_waitcnt lgkmcnt(0)
	v_mul_f64 v[47:48], v[25:26], v[2:3]
	v_mul_f64 v[49:50], v[23:24], v[2:3]
	v_fma_f64 v[15:16], v[15:16], v[0:1], -v[39:40]
	v_fma_f64 v[17:18], v[17:18], v[0:1], v[41:42]
	v_fma_f64 v[19:20], v[19:20], v[0:1], -v[43:44]
	v_fma_f64 v[21:22], v[21:22], v[0:1], v[45:46]
	;; [unrolled: 2-line block ×3, first 2 shown]
	s_waitcnt vmcnt(10)
	v_add_f64 v[15:16], v[27:28], -v[15:16]
	s_waitcnt vmcnt(8)
	v_add_f64 v[17:18], v[29:30], -v[17:18]
	;; [unrolled: 2-line block ×6, first 2 shown]
	buffer_store_dword v15, v51, s[0:3], 0 offen offset:528
	buffer_store_dword v16, v51, s[0:3], 0 offen offset:532
	buffer_store_dword v17, v51, s[0:3], 0 offen offset:536
	buffer_store_dword v18, v51, s[0:3], 0 offen offset:540
	buffer_store_dword v19, v51, s[0:3], 0 offen offset:544
	buffer_store_dword v20, v51, s[0:3], 0 offen offset:548
	buffer_store_dword v21, v51, s[0:3], 0 offen offset:552
	buffer_store_dword v22, v51, s[0:3], 0 offen offset:556
	buffer_store_dword v23, v51, s[0:3], 0 offen offset:560
	buffer_store_dword v24, v51, s[0:3], 0 offen offset:564
	buffer_store_dword v25, v51, s[0:3], 0 offen offset:568
	buffer_store_dword v26, v51, s[0:3], 0 offen offset:572
	s_cbranch_scc1 .LBB126_806
; %bb.808:                              ;   in Loop: Header=BB126_807 Depth=1
	v_mov_b32_e32 v27, s17
	s_add_i32 s16, s16, 64
	s_mov_b32 s56, 0
	s_clause 0x3
	buffer_load_dword v19, v27, s[0:3], 0 offen offset:576
	buffer_load_dword v20, v27, s[0:3], 0 offen offset:580
	;; [unrolled: 1-line block ×4, first 2 shown]
	ds_read2_b64 v[15:18], v10 offset0:6 offset1:7
	s_waitcnt lgkmcnt(0)
	v_mul_f64 v[23:24], v[17:18], v[2:3]
	v_mul_f64 v[25:26], v[15:16], v[2:3]
	v_fma_f64 v[15:16], v[15:16], v[0:1], -v[23:24]
	v_fma_f64 v[17:18], v[17:18], v[0:1], v[25:26]
	s_waitcnt vmcnt(2)
	v_add_f64 v[15:16], v[19:20], -v[15:16]
	s_waitcnt vmcnt(0)
	v_add_f64 v[17:18], v[21:22], -v[17:18]
	buffer_store_dword v15, v27, s[0:3], 0 offen offset:576
	buffer_store_dword v16, v27, s[0:3], 0 offen offset:580
	;; [unrolled: 1-line block ×4, first 2 shown]
	s_branch .LBB126_806
.LBB126_809:
	s_or_b32 exec_lo, exec_lo, s4
	v_mov_b32_e32 v3, s49
	s_waitcnt_vscnt null, 0x0
	s_barrier
	buffer_gl0_inv
	v_lshl_add_u32 v4, v5, 4, v12
	s_clause 0x3
	buffer_load_dword v0, v3, s[0:3], 0 offen
	buffer_load_dword v1, v3, s[0:3], 0 offen offset:4
	buffer_load_dword v2, v3, s[0:3], 0 offen offset:8
	;; [unrolled: 1-line block ×3, first 2 shown]
	s_cmp_lt_i32 s57, 35
	s_waitcnt vmcnt(0)
	ds_write2_b64 v4, v[0:1], v[2:3] offset1:1
	s_waitcnt lgkmcnt(0)
	s_barrier
	buffer_gl0_inv
	ds_read2_b64 v[0:3], v12 offset0:66 offset1:67
	v_mov_b32_e32 v4, 33
	s_cbranch_scc1 .LBB126_812
; %bb.810:
	v_add3_u32 v10, v14, 0, 0x220
	v_mov_b32_e32 v4, 33
	s_mov_b32 s16, 34
	s_inst_prefetch 0x1
	.p2align	6
.LBB126_811:                            ; =>This Inner Loop Header: Depth=1
	s_waitcnt lgkmcnt(0)
	v_cmp_gt_f64_e32 vcc_lo, 0, v[2:3]
	v_cmp_gt_f64_e64 s4, 0, v[0:1]
	ds_read2_b64 v[15:18], v10 offset1:1
	v_xor_b32_e32 v20, 0x80000000, v1
	v_xor_b32_e32 v22, 0x80000000, v3
	v_mov_b32_e32 v19, v0
	v_mov_b32_e32 v21, v2
	v_add_nc_u32_e32 v10, 16, v10
	s_waitcnt lgkmcnt(0)
	v_xor_b32_e32 v24, 0x80000000, v18
	v_cndmask_b32_e64 v20, v1, v20, s4
	v_cndmask_b32_e32 v22, v3, v22, vcc_lo
	v_cmp_gt_f64_e32 vcc_lo, 0, v[17:18]
	v_cmp_gt_f64_e64 s4, 0, v[15:16]
	v_mov_b32_e32 v23, v17
	v_add_f64 v[19:20], v[19:20], v[21:22]
	v_xor_b32_e32 v22, 0x80000000, v16
	v_mov_b32_e32 v21, v15
	v_cndmask_b32_e32 v24, v18, v24, vcc_lo
	v_cndmask_b32_e64 v22, v16, v22, s4
	v_add_f64 v[21:22], v[21:22], v[23:24]
	v_cmp_lt_f64_e32 vcc_lo, v[19:20], v[21:22]
	v_cndmask_b32_e32 v1, v1, v16, vcc_lo
	v_cndmask_b32_e32 v0, v0, v15, vcc_lo
	;; [unrolled: 1-line block ×4, first 2 shown]
	v_cndmask_b32_e64 v4, v4, s16, vcc_lo
	s_add_i32 s16, s16, 1
	s_cmp_lg_u32 s57, s16
	s_cbranch_scc1 .LBB126_811
.LBB126_812:
	s_inst_prefetch 0x2
	s_waitcnt lgkmcnt(0)
	v_cmp_eq_f64_e32 vcc_lo, 0, v[0:1]
	v_cmp_eq_f64_e64 s4, 0, v[2:3]
	s_and_b32 s4, vcc_lo, s4
	s_and_saveexec_b32 s16, s4
	s_xor_b32 s4, exec_lo, s16
; %bb.813:
	v_cmp_ne_u32_e32 vcc_lo, 0, v13
	v_cndmask_b32_e32 v13, 34, v13, vcc_lo
; %bb.814:
	s_andn2_saveexec_b32 s4, s4
	s_cbranch_execz .LBB126_820
; %bb.815:
	v_cmp_ngt_f64_e64 s16, |v[0:1]|, |v[2:3]|
	s_and_saveexec_b32 s17, s16
	s_xor_b32 s16, exec_lo, s17
	s_cbranch_execz .LBB126_817
; %bb.816:
	v_div_scale_f64 v[15:16], null, v[2:3], v[2:3], v[0:1]
	v_div_scale_f64 v[21:22], vcc_lo, v[0:1], v[2:3], v[0:1]
	v_rcp_f64_e32 v[17:18], v[15:16]
	v_fma_f64 v[19:20], -v[15:16], v[17:18], 1.0
	v_fma_f64 v[17:18], v[17:18], v[19:20], v[17:18]
	v_fma_f64 v[19:20], -v[15:16], v[17:18], 1.0
	v_fma_f64 v[17:18], v[17:18], v[19:20], v[17:18]
	v_mul_f64 v[19:20], v[21:22], v[17:18]
	v_fma_f64 v[15:16], -v[15:16], v[19:20], v[21:22]
	v_div_fmas_f64 v[15:16], v[15:16], v[17:18], v[19:20]
	v_div_fixup_f64 v[15:16], v[15:16], v[2:3], v[0:1]
	v_fma_f64 v[0:1], v[0:1], v[15:16], v[2:3]
	v_div_scale_f64 v[2:3], null, v[0:1], v[0:1], 1.0
	v_rcp_f64_e32 v[17:18], v[2:3]
	v_fma_f64 v[19:20], -v[2:3], v[17:18], 1.0
	v_fma_f64 v[17:18], v[17:18], v[19:20], v[17:18]
	v_fma_f64 v[19:20], -v[2:3], v[17:18], 1.0
	v_fma_f64 v[17:18], v[17:18], v[19:20], v[17:18]
	v_div_scale_f64 v[19:20], vcc_lo, 1.0, v[0:1], 1.0
	v_mul_f64 v[21:22], v[19:20], v[17:18]
	v_fma_f64 v[2:3], -v[2:3], v[21:22], v[19:20]
	v_div_fmas_f64 v[2:3], v[2:3], v[17:18], v[21:22]
	v_div_fixup_f64 v[2:3], v[2:3], v[0:1], 1.0
	v_mul_f64 v[0:1], v[15:16], v[2:3]
	v_xor_b32_e32 v3, 0x80000000, v3
.LBB126_817:
	s_andn2_saveexec_b32 s16, s16
	s_cbranch_execz .LBB126_819
; %bb.818:
	v_div_scale_f64 v[15:16], null, v[0:1], v[0:1], v[2:3]
	v_div_scale_f64 v[21:22], vcc_lo, v[2:3], v[0:1], v[2:3]
	v_rcp_f64_e32 v[17:18], v[15:16]
	v_fma_f64 v[19:20], -v[15:16], v[17:18], 1.0
	v_fma_f64 v[17:18], v[17:18], v[19:20], v[17:18]
	v_fma_f64 v[19:20], -v[15:16], v[17:18], 1.0
	v_fma_f64 v[17:18], v[17:18], v[19:20], v[17:18]
	v_mul_f64 v[19:20], v[21:22], v[17:18]
	v_fma_f64 v[15:16], -v[15:16], v[19:20], v[21:22]
	v_div_fmas_f64 v[15:16], v[15:16], v[17:18], v[19:20]
	v_div_fixup_f64 v[15:16], v[15:16], v[0:1], v[2:3]
	v_fma_f64 v[0:1], v[2:3], v[15:16], v[0:1]
	v_div_scale_f64 v[2:3], null, v[0:1], v[0:1], 1.0
	v_rcp_f64_e32 v[17:18], v[2:3]
	v_fma_f64 v[19:20], -v[2:3], v[17:18], 1.0
	v_fma_f64 v[17:18], v[17:18], v[19:20], v[17:18]
	v_fma_f64 v[19:20], -v[2:3], v[17:18], 1.0
	v_fma_f64 v[17:18], v[17:18], v[19:20], v[17:18]
	v_div_scale_f64 v[19:20], vcc_lo, 1.0, v[0:1], 1.0
	v_mul_f64 v[21:22], v[19:20], v[17:18]
	v_fma_f64 v[2:3], -v[2:3], v[21:22], v[19:20]
	v_div_fmas_f64 v[2:3], v[2:3], v[17:18], v[21:22]
	v_div_fixup_f64 v[0:1], v[2:3], v[0:1], 1.0
	v_mul_f64 v[2:3], v[15:16], -v[0:1]
.LBB126_819:
	s_or_b32 exec_lo, exec_lo, s16
.LBB126_820:
	s_or_b32 exec_lo, exec_lo, s4
	s_mov_b32 s4, exec_lo
	v_cmpx_ne_u32_e64 v5, v4
	s_xor_b32 s4, exec_lo, s4
	s_cbranch_execz .LBB126_826
; %bb.821:
	s_mov_b32 s16, exec_lo
	v_cmpx_eq_u32_e32 33, v5
	s_cbranch_execz .LBB126_825
; %bb.822:
	v_cmp_ne_u32_e32 vcc_lo, 33, v4
	s_xor_b32 s17, s20, -1
	s_and_b32 s56, s17, vcc_lo
	s_and_saveexec_b32 s17, s56
	s_cbranch_execz .LBB126_824
; %bb.823:
	v_ashrrev_i32_e32 v5, 31, v4
	v_lshlrev_b64 v[10:11], 2, v[4:5]
	v_add_co_u32 v10, vcc_lo, v8, v10
	v_add_co_ci_u32_e64 v11, null, v9, v11, vcc_lo
	s_clause 0x1
	global_load_dword v5, v[10:11], off
	global_load_dword v15, v[8:9], off offset:132
	s_waitcnt vmcnt(1)
	global_store_dword v[8:9], v5, off offset:132
	s_waitcnt vmcnt(0)
	global_store_dword v[10:11], v15, off
.LBB126_824:
	s_or_b32 exec_lo, exec_lo, s17
	v_mov_b32_e32 v5, v4
	v_mov_b32_e32 v11, v4
.LBB126_825:
	s_or_b32 exec_lo, exec_lo, s16
.LBB126_826:
	s_andn2_saveexec_b32 s4, s4
	s_cbranch_execz .LBB126_828
; %bb.827:
	v_mov_b32_e32 v4, s48
	v_mov_b32_e32 v5, s47
	;; [unrolled: 1-line block ×3, first 2 shown]
	s_clause 0x7
	buffer_load_dword v15, v4, s[0:3], 0 offen
	buffer_load_dword v16, v4, s[0:3], 0 offen offset:4
	buffer_load_dword v17, v4, s[0:3], 0 offen offset:8
	buffer_load_dword v18, v4, s[0:3], 0 offen offset:12
	buffer_load_dword v19, v5, s[0:3], 0 offen
	buffer_load_dword v20, v5, s[0:3], 0 offen offset:4
	buffer_load_dword v21, v5, s[0:3], 0 offen offset:8
	buffer_load_dword v22, v5, s[0:3], 0 offen offset:12
	v_mov_b32_e32 v5, s44
	v_mov_b32_e32 v4, s45
	s_clause 0x7
	buffer_load_dword v23, v10, s[0:3], 0 offen
	buffer_load_dword v24, v10, s[0:3], 0 offen offset:4
	buffer_load_dword v25, v10, s[0:3], 0 offen offset:8
	buffer_load_dword v26, v10, s[0:3], 0 offen offset:12
	buffer_load_dword v27, v4, s[0:3], 0 offen
	buffer_load_dword v28, v4, s[0:3], 0 offen offset:4
	buffer_load_dword v29, v4, s[0:3], 0 offen offset:8
	buffer_load_dword v30, v4, s[0:3], 0 offen offset:12
	v_mov_b32_e32 v4, s43
	v_mov_b32_e32 v10, s42
	s_clause 0x7
	buffer_load_dword v31, v5, s[0:3], 0 offen
	buffer_load_dword v32, v5, s[0:3], 0 offen offset:4
	buffer_load_dword v33, v5, s[0:3], 0 offen offset:8
	buffer_load_dword v34, v5, s[0:3], 0 offen offset:12
	buffer_load_dword v35, v4, s[0:3], 0 offen
	buffer_load_dword v36, v4, s[0:3], 0 offen offset:4
	buffer_load_dword v37, v4, s[0:3], 0 offen offset:8
	buffer_load_dword v38, v4, s[0:3], 0 offen offset:12
	v_mov_b32_e32 v5, s40
	v_mov_b32_e32 v4, s41
	s_clause 0x7
	buffer_load_dword v39, v10, s[0:3], 0 offen
	buffer_load_dword v40, v10, s[0:3], 0 offen offset:4
	buffer_load_dword v41, v10, s[0:3], 0 offen offset:8
	buffer_load_dword v42, v10, s[0:3], 0 offen offset:12
	buffer_load_dword v43, v4, s[0:3], 0 offen
	buffer_load_dword v44, v4, s[0:3], 0 offen offset:4
	buffer_load_dword v45, v4, s[0:3], 0 offen offset:8
	buffer_load_dword v46, v4, s[0:3], 0 offen offset:12
	v_mov_b32_e32 v4, s39
	v_mov_b32_e32 v10, s38
	s_clause 0x7
	buffer_load_dword v47, v5, s[0:3], 0 offen
	buffer_load_dword v48, v5, s[0:3], 0 offen offset:4
	buffer_load_dword v49, v5, s[0:3], 0 offen offset:8
	buffer_load_dword v50, v5, s[0:3], 0 offen offset:12
	buffer_load_dword v51, v4, s[0:3], 0 offen
	buffer_load_dword v52, v4, s[0:3], 0 offen offset:4
	buffer_load_dword v53, v4, s[0:3], 0 offen offset:8
	buffer_load_dword v54, v4, s[0:3], 0 offen offset:12
	v_mov_b32_e32 v5, s36
	v_mov_b32_e32 v4, s37
	s_clause 0x7
	buffer_load_dword v55, v10, s[0:3], 0 offen
	buffer_load_dword v56, v10, s[0:3], 0 offen offset:4
	buffer_load_dword v57, v10, s[0:3], 0 offen offset:8
	buffer_load_dword v58, v10, s[0:3], 0 offen offset:12
	buffer_load_dword v59, v4, s[0:3], 0 offen
	buffer_load_dword v60, v4, s[0:3], 0 offen offset:4
	buffer_load_dword v61, v4, s[0:3], 0 offen offset:8
	buffer_load_dword v62, v4, s[0:3], 0 offen offset:12
	v_mov_b32_e32 v4, s35
	v_mov_b32_e32 v10, s34
	s_clause 0x7
	buffer_load_dword v63, v5, s[0:3], 0 offen
	buffer_load_dword v64, v5, s[0:3], 0 offen offset:4
	buffer_load_dword v65, v5, s[0:3], 0 offen offset:8
	buffer_load_dword v66, v5, s[0:3], 0 offen offset:12
	buffer_load_dword v67, v4, s[0:3], 0 offen
	buffer_load_dword v68, v4, s[0:3], 0 offen offset:4
	buffer_load_dword v69, v4, s[0:3], 0 offen offset:8
	buffer_load_dword v70, v4, s[0:3], 0 offen offset:12
	v_mov_b32_e32 v5, s31
	v_mov_b32_e32 v4, s33
	s_clause 0x7
	buffer_load_dword v71, v10, s[0:3], 0 offen
	buffer_load_dword v72, v10, s[0:3], 0 offen offset:4
	buffer_load_dword v73, v10, s[0:3], 0 offen offset:8
	buffer_load_dword v74, v10, s[0:3], 0 offen offset:12
	buffer_load_dword v75, v4, s[0:3], 0 offen
	buffer_load_dword v76, v4, s[0:3], 0 offen offset:4
	buffer_load_dword v77, v4, s[0:3], 0 offen offset:8
	buffer_load_dword v78, v4, s[0:3], 0 offen offset:12
	v_mov_b32_e32 v4, s30
	v_mov_b32_e32 v10, s29
	s_clause 0x7
	buffer_load_dword v79, v5, s[0:3], 0 offen
	buffer_load_dword v80, v5, s[0:3], 0 offen offset:4
	buffer_load_dword v81, v5, s[0:3], 0 offen offset:8
	buffer_load_dword v82, v5, s[0:3], 0 offen offset:12
	buffer_load_dword v83, v4, s[0:3], 0 offen
	buffer_load_dword v84, v4, s[0:3], 0 offen offset:4
	buffer_load_dword v85, v4, s[0:3], 0 offen offset:8
	buffer_load_dword v86, v4, s[0:3], 0 offen offset:12
	v_mov_b32_e32 v5, s27
	v_mov_b32_e32 v4, s28
	s_clause 0x7
	buffer_load_dword v87, v10, s[0:3], 0 offen
	buffer_load_dword v88, v10, s[0:3], 0 offen offset:4
	buffer_load_dword v89, v10, s[0:3], 0 offen offset:8
	buffer_load_dword v90, v10, s[0:3], 0 offen offset:12
	buffer_load_dword v91, v4, s[0:3], 0 offen
	buffer_load_dword v92, v4, s[0:3], 0 offen offset:4
	buffer_load_dword v93, v4, s[0:3], 0 offen offset:8
	buffer_load_dword v94, v4, s[0:3], 0 offen offset:12
	v_mov_b32_e32 v4, s26
	v_mov_b32_e32 v10, s25
	s_clause 0x7
	buffer_load_dword v95, v5, s[0:3], 0 offen
	buffer_load_dword v96, v5, s[0:3], 0 offen offset:4
	buffer_load_dword v97, v5, s[0:3], 0 offen offset:8
	buffer_load_dword v98, v5, s[0:3], 0 offen offset:12
	buffer_load_dword v99, v4, s[0:3], 0 offen
	buffer_load_dword v100, v4, s[0:3], 0 offen offset:4
	buffer_load_dword v101, v4, s[0:3], 0 offen offset:8
	buffer_load_dword v102, v4, s[0:3], 0 offen offset:12
	v_mov_b32_e32 v5, s23
	v_mov_b32_e32 v4, s24
	s_clause 0x7
	buffer_load_dword v103, v10, s[0:3], 0 offen
	buffer_load_dword v104, v10, s[0:3], 0 offen offset:4
	buffer_load_dword v105, v10, s[0:3], 0 offen offset:8
	buffer_load_dword v106, v10, s[0:3], 0 offen offset:12
	buffer_load_dword v107, v4, s[0:3], 0 offen
	buffer_load_dword v108, v4, s[0:3], 0 offen offset:4
	buffer_load_dword v109, v4, s[0:3], 0 offen offset:8
	buffer_load_dword v110, v4, s[0:3], 0 offen offset:12
	v_mov_b32_e32 v4, s22
	v_mov_b32_e32 v10, s19
	s_clause 0x7
	buffer_load_dword v111, v5, s[0:3], 0 offen
	buffer_load_dword v112, v5, s[0:3], 0 offen offset:4
	buffer_load_dword v113, v5, s[0:3], 0 offen offset:8
	buffer_load_dword v114, v5, s[0:3], 0 offen offset:12
	buffer_load_dword v115, v4, s[0:3], 0 offen
	buffer_load_dword v116, v4, s[0:3], 0 offen offset:4
	buffer_load_dword v117, v4, s[0:3], 0 offen offset:8
	buffer_load_dword v118, v4, s[0:3], 0 offen offset:12
	v_mov_b32_e32 v5, s7
	v_mov_b32_e32 v4, s18
	s_clause 0x7
	buffer_load_dword v119, v10, s[0:3], 0 offen
	buffer_load_dword v120, v10, s[0:3], 0 offen offset:4
	buffer_load_dword v121, v10, s[0:3], 0 offen offset:8
	;; [unrolled: 1-line block ×3, first 2 shown]
	buffer_load_dword v123, v4, s[0:3], 0 offen
	buffer_load_dword v124, v4, s[0:3], 0 offen offset:4
	buffer_load_dword v125, v4, s[0:3], 0 offen offset:8
	;; [unrolled: 1-line block ×3, first 2 shown]
	v_mov_b32_e32 v4, s5
	s_clause 0x7
	buffer_load_dword v127, v5, s[0:3], 0 offen
	buffer_load_dword v128, v5, s[0:3], 0 offen offset:4
	buffer_load_dword v129, v5, s[0:3], 0 offen offset:8
	;; [unrolled: 1-line block ×3, first 2 shown]
	buffer_load_dword v131, v4, s[0:3], 0 offen
	buffer_load_dword v132, v4, s[0:3], 0 offen offset:4
	buffer_load_dword v133, v4, s[0:3], 0 offen offset:8
	buffer_load_dword v134, v4, s[0:3], 0 offen offset:12
	v_mov_b32_e32 v5, 33
	s_waitcnt vmcnt(62)
	ds_write2_b64 v12, v[15:16], v[17:18] offset0:68 offset1:69
	ds_write2_b64 v12, v[19:20], v[21:22] offset0:70 offset1:71
	;; [unrolled: 1-line block ×14, first 2 shown]
	s_waitcnt vmcnt(60)
	ds_write2_b64 v12, v[71:72], v[73:74] offset0:96 offset1:97
	s_waitcnt vmcnt(56)
	ds_write2_b64 v12, v[75:76], v[77:78] offset0:98 offset1:99
	s_waitcnt vmcnt(52)
	ds_write2_b64 v12, v[79:80], v[81:82] offset0:100 offset1:101
	s_waitcnt vmcnt(48)
	ds_write2_b64 v12, v[83:84], v[85:86] offset0:102 offset1:103
	s_waitcnt vmcnt(44)
	ds_write2_b64 v12, v[87:88], v[89:90] offset0:104 offset1:105
	s_waitcnt vmcnt(40)
	ds_write2_b64 v12, v[91:92], v[93:94] offset0:106 offset1:107
	s_waitcnt vmcnt(36)
	ds_write2_b64 v12, v[95:96], v[97:98] offset0:108 offset1:109
	s_waitcnt vmcnt(32)
	ds_write2_b64 v12, v[99:100], v[101:102] offset0:110 offset1:111
	s_waitcnt vmcnt(28)
	ds_write2_b64 v12, v[103:104], v[105:106] offset0:112 offset1:113
	s_waitcnt vmcnt(24)
	ds_write2_b64 v12, v[107:108], v[109:110] offset0:114 offset1:115
	s_waitcnt vmcnt(20)
	ds_write2_b64 v12, v[111:112], v[113:114] offset0:116 offset1:117
	s_waitcnt vmcnt(16)
	ds_write2_b64 v12, v[115:116], v[117:118] offset0:118 offset1:119
	s_waitcnt vmcnt(12)
	ds_write2_b64 v12, v[119:120], v[121:122] offset0:120 offset1:121
	s_waitcnt vmcnt(8)
	ds_write2_b64 v12, v[123:124], v[125:126] offset0:122 offset1:123
	s_waitcnt vmcnt(4)
	ds_write2_b64 v12, v[127:128], v[129:130] offset0:124 offset1:125
	s_waitcnt vmcnt(0)
	ds_write2_b64 v12, v[131:132], v[133:134] offset0:126 offset1:127
.LBB126_828:
	s_or_b32 exec_lo, exec_lo, s4
	s_mov_b32 s4, exec_lo
	s_waitcnt lgkmcnt(0)
	s_waitcnt_vscnt null, 0x0
	s_barrier
	buffer_gl0_inv
	v_cmpx_lt_i32_e32 33, v5
	s_cbranch_execz .LBB126_831
; %bb.829:
	s_clause 0x3
	buffer_load_dword v15, off, s[0:3], 0 offset:536
	buffer_load_dword v16, off, s[0:3], 0 offset:540
	;; [unrolled: 1-line block ×4, first 2 shown]
	v_add3_u32 v4, v14, 0, 0x220
	s_mov_b32 s83, 0
	s_waitcnt vmcnt(2)
	v_mul_f64 v[19:20], v[2:3], v[15:16]
	v_mul_f64 v[15:16], v[0:1], v[15:16]
	s_waitcnt vmcnt(0)
	v_fma_f64 v[0:1], v[0:1], v[17:18], -v[19:20]
	v_fma_f64 v[2:3], v[2:3], v[17:18], v[15:16]
	buffer_store_dword v0, off, s[0:3], 0 offset:528
	buffer_store_dword v1, off, s[0:3], 0 offset:532
	;; [unrolled: 1-line block ×4, first 2 shown]
.LBB126_830:                            ; =>This Inner Loop Header: Depth=1
	v_mov_b32_e32 v10, s83
	v_add_nc_u32_e32 v35, s83, v4
	s_addk_i32 s83, 0x60
	s_clause 0x17
	buffer_load_dword v39, v10, s[0:3], 0 offen offset:544
	buffer_load_dword v40, v10, s[0:3], 0 offen offset:548
	;; [unrolled: 1-line block ×24, first 2 shown]
	ds_read2_b64 v[15:18], v35 offset1:1
	ds_read2_b64 v[19:22], v35 offset0:2 offset1:3
	ds_read2_b64 v[23:26], v35 offset0:4 offset1:5
	;; [unrolled: 1-line block ×5, first 2 shown]
	s_cmpk_lg_i32 s83, 0x1e0
	s_waitcnt lgkmcnt(5)
	v_mul_f64 v[63:64], v[17:18], v[2:3]
	v_mul_f64 v[65:66], v[15:16], v[2:3]
	s_waitcnt lgkmcnt(4)
	v_mul_f64 v[67:68], v[21:22], v[2:3]
	v_mul_f64 v[69:70], v[19:20], v[2:3]
	;; [unrolled: 3-line block ×6, first 2 shown]
	v_fma_f64 v[15:16], v[15:16], v[0:1], -v[63:64]
	v_fma_f64 v[17:18], v[17:18], v[0:1], v[65:66]
	v_fma_f64 v[19:20], v[19:20], v[0:1], -v[67:68]
	v_fma_f64 v[21:22], v[21:22], v[0:1], v[69:70]
	;; [unrolled: 2-line block ×6, first 2 shown]
	s_waitcnt vmcnt(22)
	v_add_f64 v[15:16], v[39:40], -v[15:16]
	s_waitcnt vmcnt(20)
	v_add_f64 v[17:18], v[41:42], -v[17:18]
	;; [unrolled: 2-line block ×12, first 2 shown]
	buffer_store_dword v15, v10, s[0:3], 0 offen offset:544
	buffer_store_dword v16, v10, s[0:3], 0 offen offset:548
	;; [unrolled: 1-line block ×24, first 2 shown]
	s_cbranch_scc1 .LBB126_830
.LBB126_831:
	s_or_b32 exec_lo, exec_lo, s4
	v_mov_b32_e32 v3, s48
	s_waitcnt_vscnt null, 0x0
	s_barrier
	buffer_gl0_inv
	v_lshl_add_u32 v4, v5, 4, v12
	s_clause 0x3
	buffer_load_dword v0, v3, s[0:3], 0 offen
	buffer_load_dword v1, v3, s[0:3], 0 offen offset:4
	buffer_load_dword v2, v3, s[0:3], 0 offen offset:8
	;; [unrolled: 1-line block ×3, first 2 shown]
	s_cmp_lt_i32 s57, 36
	s_waitcnt vmcnt(0)
	ds_write2_b64 v4, v[0:1], v[2:3] offset1:1
	s_waitcnt lgkmcnt(0)
	s_barrier
	buffer_gl0_inv
	ds_read2_b64 v[0:3], v12 offset0:68 offset1:69
	v_mov_b32_e32 v4, 34
	s_cbranch_scc1 .LBB126_834
; %bb.832:
	v_add3_u32 v10, v14, 0, 0x230
	v_mov_b32_e32 v4, 34
	s_mov_b32 s16, 35
	s_inst_prefetch 0x1
	.p2align	6
.LBB126_833:                            ; =>This Inner Loop Header: Depth=1
	s_waitcnt lgkmcnt(0)
	v_cmp_gt_f64_e32 vcc_lo, 0, v[2:3]
	v_cmp_gt_f64_e64 s4, 0, v[0:1]
	ds_read2_b64 v[15:18], v10 offset1:1
	v_xor_b32_e32 v20, 0x80000000, v1
	v_xor_b32_e32 v22, 0x80000000, v3
	v_mov_b32_e32 v19, v0
	v_mov_b32_e32 v21, v2
	v_add_nc_u32_e32 v10, 16, v10
	s_waitcnt lgkmcnt(0)
	v_xor_b32_e32 v24, 0x80000000, v18
	v_cndmask_b32_e64 v20, v1, v20, s4
	v_cndmask_b32_e32 v22, v3, v22, vcc_lo
	v_cmp_gt_f64_e32 vcc_lo, 0, v[17:18]
	v_cmp_gt_f64_e64 s4, 0, v[15:16]
	v_mov_b32_e32 v23, v17
	v_add_f64 v[19:20], v[19:20], v[21:22]
	v_xor_b32_e32 v22, 0x80000000, v16
	v_mov_b32_e32 v21, v15
	v_cndmask_b32_e32 v24, v18, v24, vcc_lo
	v_cndmask_b32_e64 v22, v16, v22, s4
	v_add_f64 v[21:22], v[21:22], v[23:24]
	v_cmp_lt_f64_e32 vcc_lo, v[19:20], v[21:22]
	v_cndmask_b32_e32 v1, v1, v16, vcc_lo
	v_cndmask_b32_e32 v0, v0, v15, vcc_lo
	;; [unrolled: 1-line block ×4, first 2 shown]
	v_cndmask_b32_e64 v4, v4, s16, vcc_lo
	s_add_i32 s16, s16, 1
	s_cmp_lg_u32 s57, s16
	s_cbranch_scc1 .LBB126_833
.LBB126_834:
	s_inst_prefetch 0x2
	s_waitcnt lgkmcnt(0)
	v_cmp_eq_f64_e32 vcc_lo, 0, v[0:1]
	v_cmp_eq_f64_e64 s4, 0, v[2:3]
	s_and_b32 s4, vcc_lo, s4
	s_and_saveexec_b32 s16, s4
	s_xor_b32 s4, exec_lo, s16
; %bb.835:
	v_cmp_ne_u32_e32 vcc_lo, 0, v13
	v_cndmask_b32_e32 v13, 35, v13, vcc_lo
; %bb.836:
	s_andn2_saveexec_b32 s4, s4
	s_cbranch_execz .LBB126_842
; %bb.837:
	v_cmp_ngt_f64_e64 s16, |v[0:1]|, |v[2:3]|
	s_and_saveexec_b32 s17, s16
	s_xor_b32 s16, exec_lo, s17
	s_cbranch_execz .LBB126_839
; %bb.838:
	v_div_scale_f64 v[15:16], null, v[2:3], v[2:3], v[0:1]
	v_div_scale_f64 v[21:22], vcc_lo, v[0:1], v[2:3], v[0:1]
	v_rcp_f64_e32 v[17:18], v[15:16]
	v_fma_f64 v[19:20], -v[15:16], v[17:18], 1.0
	v_fma_f64 v[17:18], v[17:18], v[19:20], v[17:18]
	v_fma_f64 v[19:20], -v[15:16], v[17:18], 1.0
	v_fma_f64 v[17:18], v[17:18], v[19:20], v[17:18]
	v_mul_f64 v[19:20], v[21:22], v[17:18]
	v_fma_f64 v[15:16], -v[15:16], v[19:20], v[21:22]
	v_div_fmas_f64 v[15:16], v[15:16], v[17:18], v[19:20]
	v_div_fixup_f64 v[15:16], v[15:16], v[2:3], v[0:1]
	v_fma_f64 v[0:1], v[0:1], v[15:16], v[2:3]
	v_div_scale_f64 v[2:3], null, v[0:1], v[0:1], 1.0
	v_rcp_f64_e32 v[17:18], v[2:3]
	v_fma_f64 v[19:20], -v[2:3], v[17:18], 1.0
	v_fma_f64 v[17:18], v[17:18], v[19:20], v[17:18]
	v_fma_f64 v[19:20], -v[2:3], v[17:18], 1.0
	v_fma_f64 v[17:18], v[17:18], v[19:20], v[17:18]
	v_div_scale_f64 v[19:20], vcc_lo, 1.0, v[0:1], 1.0
	v_mul_f64 v[21:22], v[19:20], v[17:18]
	v_fma_f64 v[2:3], -v[2:3], v[21:22], v[19:20]
	v_div_fmas_f64 v[2:3], v[2:3], v[17:18], v[21:22]
	v_div_fixup_f64 v[2:3], v[2:3], v[0:1], 1.0
	v_mul_f64 v[0:1], v[15:16], v[2:3]
	v_xor_b32_e32 v3, 0x80000000, v3
.LBB126_839:
	s_andn2_saveexec_b32 s16, s16
	s_cbranch_execz .LBB126_841
; %bb.840:
	v_div_scale_f64 v[15:16], null, v[0:1], v[0:1], v[2:3]
	v_div_scale_f64 v[21:22], vcc_lo, v[2:3], v[0:1], v[2:3]
	v_rcp_f64_e32 v[17:18], v[15:16]
	v_fma_f64 v[19:20], -v[15:16], v[17:18], 1.0
	v_fma_f64 v[17:18], v[17:18], v[19:20], v[17:18]
	v_fma_f64 v[19:20], -v[15:16], v[17:18], 1.0
	v_fma_f64 v[17:18], v[17:18], v[19:20], v[17:18]
	v_mul_f64 v[19:20], v[21:22], v[17:18]
	v_fma_f64 v[15:16], -v[15:16], v[19:20], v[21:22]
	v_div_fmas_f64 v[15:16], v[15:16], v[17:18], v[19:20]
	v_div_fixup_f64 v[15:16], v[15:16], v[0:1], v[2:3]
	v_fma_f64 v[0:1], v[2:3], v[15:16], v[0:1]
	v_div_scale_f64 v[2:3], null, v[0:1], v[0:1], 1.0
	v_rcp_f64_e32 v[17:18], v[2:3]
	v_fma_f64 v[19:20], -v[2:3], v[17:18], 1.0
	v_fma_f64 v[17:18], v[17:18], v[19:20], v[17:18]
	v_fma_f64 v[19:20], -v[2:3], v[17:18], 1.0
	v_fma_f64 v[17:18], v[17:18], v[19:20], v[17:18]
	v_div_scale_f64 v[19:20], vcc_lo, 1.0, v[0:1], 1.0
	v_mul_f64 v[21:22], v[19:20], v[17:18]
	v_fma_f64 v[2:3], -v[2:3], v[21:22], v[19:20]
	v_div_fmas_f64 v[2:3], v[2:3], v[17:18], v[21:22]
	v_div_fixup_f64 v[0:1], v[2:3], v[0:1], 1.0
	v_mul_f64 v[2:3], v[15:16], -v[0:1]
.LBB126_841:
	s_or_b32 exec_lo, exec_lo, s16
.LBB126_842:
	s_or_b32 exec_lo, exec_lo, s4
	s_mov_b32 s4, exec_lo
	v_cmpx_ne_u32_e64 v5, v4
	s_xor_b32 s4, exec_lo, s4
	s_cbranch_execz .LBB126_848
; %bb.843:
	s_mov_b32 s16, exec_lo
	v_cmpx_eq_u32_e32 34, v5
	s_cbranch_execz .LBB126_847
; %bb.844:
	v_cmp_ne_u32_e32 vcc_lo, 34, v4
	s_xor_b32 s17, s20, -1
	s_and_b32 s56, s17, vcc_lo
	s_and_saveexec_b32 s17, s56
	s_cbranch_execz .LBB126_846
; %bb.845:
	v_ashrrev_i32_e32 v5, 31, v4
	v_lshlrev_b64 v[10:11], 2, v[4:5]
	v_add_co_u32 v10, vcc_lo, v8, v10
	v_add_co_ci_u32_e64 v11, null, v9, v11, vcc_lo
	s_clause 0x1
	global_load_dword v5, v[10:11], off
	global_load_dword v15, v[8:9], off offset:136
	s_waitcnt vmcnt(1)
	global_store_dword v[8:9], v5, off offset:136
	s_waitcnt vmcnt(0)
	global_store_dword v[10:11], v15, off
.LBB126_846:
	s_or_b32 exec_lo, exec_lo, s17
	v_mov_b32_e32 v5, v4
	v_mov_b32_e32 v11, v4
.LBB126_847:
	s_or_b32 exec_lo, exec_lo, s16
.LBB126_848:
	s_andn2_saveexec_b32 s4, s4
	s_cbranch_execz .LBB126_850
; %bb.849:
	v_mov_b32_e32 v4, s47
	v_mov_b32_e32 v10, s45
	v_mov_b32_e32 v5, s46
	s_clause 0x7
	buffer_load_dword v15, v4, s[0:3], 0 offen
	buffer_load_dword v16, v4, s[0:3], 0 offen offset:4
	buffer_load_dword v17, v4, s[0:3], 0 offen offset:8
	buffer_load_dword v18, v4, s[0:3], 0 offen offset:12
	buffer_load_dword v19, v5, s[0:3], 0 offen
	buffer_load_dword v20, v5, s[0:3], 0 offen offset:4
	buffer_load_dword v21, v5, s[0:3], 0 offen offset:8
	buffer_load_dword v22, v5, s[0:3], 0 offen offset:12
	v_mov_b32_e32 v4, s44
	v_mov_b32_e32 v5, s43
	s_clause 0x7
	buffer_load_dword v23, v10, s[0:3], 0 offen
	buffer_load_dword v24, v10, s[0:3], 0 offen offset:4
	buffer_load_dword v25, v10, s[0:3], 0 offen offset:8
	buffer_load_dword v26, v10, s[0:3], 0 offen offset:12
	buffer_load_dword v27, v4, s[0:3], 0 offen
	buffer_load_dword v28, v4, s[0:3], 0 offen offset:4
	buffer_load_dword v29, v4, s[0:3], 0 offen offset:8
	buffer_load_dword v30, v4, s[0:3], 0 offen offset:12
	v_mov_b32_e32 v10, s41
	v_mov_b32_e32 v4, s42
	;; [unrolled: 11-line block ×13, first 2 shown]
	s_clause 0xb
	buffer_load_dword v119, v10, s[0:3], 0 offen
	buffer_load_dword v120, v10, s[0:3], 0 offen offset:4
	buffer_load_dword v121, v10, s[0:3], 0 offen offset:8
	buffer_load_dword v122, v10, s[0:3], 0 offen offset:12
	buffer_load_dword v123, v4, s[0:3], 0 offen
	buffer_load_dword v124, v4, s[0:3], 0 offen offset:4
	buffer_load_dword v125, v4, s[0:3], 0 offen offset:8
	buffer_load_dword v126, v4, s[0:3], 0 offen offset:12
	;; [unrolled: 4-line block ×3, first 2 shown]
	v_mov_b32_e32 v5, 34
	s_waitcnt vmcnt(62)
	ds_write2_b64 v12, v[15:16], v[17:18] offset0:70 offset1:71
	ds_write2_b64 v12, v[19:20], v[21:22] offset0:72 offset1:73
	;; [unrolled: 1-line block ×13, first 2 shown]
	s_waitcnt vmcnt(60)
	ds_write2_b64 v12, v[67:68], v[69:70] offset0:96 offset1:97
	s_waitcnt vmcnt(56)
	ds_write2_b64 v12, v[71:72], v[73:74] offset0:98 offset1:99
	;; [unrolled: 2-line block ×16, first 2 shown]
.LBB126_850:
	s_or_b32 exec_lo, exec_lo, s4
	s_mov_b32 s4, exec_lo
	s_waitcnt lgkmcnt(0)
	s_waitcnt_vscnt null, 0x0
	s_barrier
	buffer_gl0_inv
	v_cmpx_lt_i32_e32 34, v5
	s_cbranch_execz .LBB126_855
; %bb.851:
	s_clause 0x3
	buffer_load_dword v15, off, s[0:3], 0 offset:552
	buffer_load_dword v16, off, s[0:3], 0 offset:556
	;; [unrolled: 1-line block ×4, first 2 shown]
	v_add3_u32 v4, v14, 0, 0x230
	s_mov_b32 s16, 0
	s_waitcnt vmcnt(2)
	v_mul_f64 v[19:20], v[2:3], v[15:16]
	v_mul_f64 v[15:16], v[0:1], v[15:16]
	s_waitcnt vmcnt(0)
	v_fma_f64 v[0:1], v[0:1], v[17:18], -v[19:20]
	v_fma_f64 v[2:3], v[2:3], v[17:18], v[15:16]
	buffer_store_dword v0, off, s[0:3], 0 offset:544
	buffer_store_dword v1, off, s[0:3], 0 offset:548
	;; [unrolled: 1-line block ×4, first 2 shown]
	s_branch .LBB126_853
.LBB126_852:                            ;   in Loop: Header=BB126_853 Depth=1
	s_andn2_b32 vcc_lo, exec_lo, s56
	s_cbranch_vccz .LBB126_855
.LBB126_853:                            ; =>This Inner Loop Header: Depth=1
	v_mov_b32_e32 v27, s16
	v_add_nc_u32_e32 v10, s16, v4
	s_mov_b32 s17, s16
	s_mov_b32 s56, -1
	s_cmpk_eq_i32 s16, 0x1c0
	s_clause 0x3
	buffer_load_dword v19, v27, s[0:3], 0 offen offset:560
	buffer_load_dword v20, v27, s[0:3], 0 offen offset:564
	;; [unrolled: 1-line block ×4, first 2 shown]
	ds_read2_b64 v[15:18], v10 offset1:1
	s_waitcnt lgkmcnt(0)
	v_mul_f64 v[23:24], v[17:18], v[2:3]
	v_mul_f64 v[25:26], v[15:16], v[2:3]
	v_fma_f64 v[15:16], v[15:16], v[0:1], -v[23:24]
	v_fma_f64 v[17:18], v[17:18], v[0:1], v[25:26]
	s_waitcnt vmcnt(2)
	v_add_f64 v[15:16], v[19:20], -v[15:16]
	s_waitcnt vmcnt(0)
	v_add_f64 v[17:18], v[21:22], -v[17:18]
	buffer_store_dword v15, v27, s[0:3], 0 offen offset:560
	buffer_store_dword v16, v27, s[0:3], 0 offen offset:564
	;; [unrolled: 1-line block ×4, first 2 shown]
	s_cbranch_scc1 .LBB126_852
; %bb.854:                              ;   in Loop: Header=BB126_853 Depth=1
	v_mov_b32_e32 v51, s17
	s_add_i32 s16, s16, 64
	s_mov_b32 s56, 0
	s_clause 0xb
	buffer_load_dword v27, v51, s[0:3], 0 offen offset:576
	buffer_load_dword v28, v51, s[0:3], 0 offen offset:580
	;; [unrolled: 1-line block ×12, first 2 shown]
	ds_read2_b64 v[15:18], v10 offset0:2 offset1:3
	ds_read2_b64 v[19:22], v10 offset0:4 offset1:5
	;; [unrolled: 1-line block ×3, first 2 shown]
	s_waitcnt lgkmcnt(2)
	v_mul_f64 v[39:40], v[17:18], v[2:3]
	v_mul_f64 v[41:42], v[15:16], v[2:3]
	s_waitcnt lgkmcnt(1)
	v_mul_f64 v[43:44], v[21:22], v[2:3]
	v_mul_f64 v[45:46], v[19:20], v[2:3]
	;; [unrolled: 3-line block ×3, first 2 shown]
	v_fma_f64 v[15:16], v[15:16], v[0:1], -v[39:40]
	v_fma_f64 v[17:18], v[17:18], v[0:1], v[41:42]
	v_fma_f64 v[19:20], v[19:20], v[0:1], -v[43:44]
	v_fma_f64 v[21:22], v[21:22], v[0:1], v[45:46]
	;; [unrolled: 2-line block ×3, first 2 shown]
	s_waitcnt vmcnt(10)
	v_add_f64 v[15:16], v[27:28], -v[15:16]
	s_waitcnt vmcnt(8)
	v_add_f64 v[17:18], v[29:30], -v[17:18]
	;; [unrolled: 2-line block ×6, first 2 shown]
	buffer_store_dword v15, v51, s[0:3], 0 offen offset:576
	buffer_store_dword v16, v51, s[0:3], 0 offen offset:580
	buffer_store_dword v17, v51, s[0:3], 0 offen offset:584
	buffer_store_dword v18, v51, s[0:3], 0 offen offset:588
	buffer_store_dword v19, v51, s[0:3], 0 offen offset:592
	buffer_store_dword v20, v51, s[0:3], 0 offen offset:596
	buffer_store_dword v21, v51, s[0:3], 0 offen offset:600
	buffer_store_dword v22, v51, s[0:3], 0 offen offset:604
	buffer_store_dword v23, v51, s[0:3], 0 offen offset:608
	buffer_store_dword v24, v51, s[0:3], 0 offen offset:612
	buffer_store_dword v25, v51, s[0:3], 0 offen offset:616
	buffer_store_dword v26, v51, s[0:3], 0 offen offset:620
	s_branch .LBB126_852
.LBB126_855:
	s_or_b32 exec_lo, exec_lo, s4
	v_mov_b32_e32 v3, s47
	s_waitcnt_vscnt null, 0x0
	s_barrier
	buffer_gl0_inv
	v_lshl_add_u32 v4, v5, 4, v12
	s_clause 0x3
	buffer_load_dword v0, v3, s[0:3], 0 offen
	buffer_load_dword v1, v3, s[0:3], 0 offen offset:4
	buffer_load_dword v2, v3, s[0:3], 0 offen offset:8
	;; [unrolled: 1-line block ×3, first 2 shown]
	s_cmp_lt_i32 s57, 37
	s_waitcnt vmcnt(0)
	ds_write2_b64 v4, v[0:1], v[2:3] offset1:1
	s_waitcnt lgkmcnt(0)
	s_barrier
	buffer_gl0_inv
	ds_read2_b64 v[0:3], v12 offset0:70 offset1:71
	v_mov_b32_e32 v4, 35
	s_cbranch_scc1 .LBB126_858
; %bb.856:
	v_add3_u32 v10, v14, 0, 0x240
	v_mov_b32_e32 v4, 35
	s_mov_b32 s16, 36
	s_inst_prefetch 0x1
	.p2align	6
.LBB126_857:                            ; =>This Inner Loop Header: Depth=1
	s_waitcnt lgkmcnt(0)
	v_cmp_gt_f64_e32 vcc_lo, 0, v[2:3]
	v_cmp_gt_f64_e64 s4, 0, v[0:1]
	ds_read2_b64 v[15:18], v10 offset1:1
	v_xor_b32_e32 v20, 0x80000000, v1
	v_xor_b32_e32 v22, 0x80000000, v3
	v_mov_b32_e32 v19, v0
	v_mov_b32_e32 v21, v2
	v_add_nc_u32_e32 v10, 16, v10
	s_waitcnt lgkmcnt(0)
	v_xor_b32_e32 v24, 0x80000000, v18
	v_cndmask_b32_e64 v20, v1, v20, s4
	v_cndmask_b32_e32 v22, v3, v22, vcc_lo
	v_cmp_gt_f64_e32 vcc_lo, 0, v[17:18]
	v_cmp_gt_f64_e64 s4, 0, v[15:16]
	v_mov_b32_e32 v23, v17
	v_add_f64 v[19:20], v[19:20], v[21:22]
	v_xor_b32_e32 v22, 0x80000000, v16
	v_mov_b32_e32 v21, v15
	v_cndmask_b32_e32 v24, v18, v24, vcc_lo
	v_cndmask_b32_e64 v22, v16, v22, s4
	v_add_f64 v[21:22], v[21:22], v[23:24]
	v_cmp_lt_f64_e32 vcc_lo, v[19:20], v[21:22]
	v_cndmask_b32_e32 v1, v1, v16, vcc_lo
	v_cndmask_b32_e32 v0, v0, v15, vcc_lo
	;; [unrolled: 1-line block ×4, first 2 shown]
	v_cndmask_b32_e64 v4, v4, s16, vcc_lo
	s_add_i32 s16, s16, 1
	s_cmp_lg_u32 s57, s16
	s_cbranch_scc1 .LBB126_857
.LBB126_858:
	s_inst_prefetch 0x2
	s_waitcnt lgkmcnt(0)
	v_cmp_eq_f64_e32 vcc_lo, 0, v[0:1]
	v_cmp_eq_f64_e64 s4, 0, v[2:3]
	s_and_b32 s4, vcc_lo, s4
	s_and_saveexec_b32 s16, s4
	s_xor_b32 s4, exec_lo, s16
; %bb.859:
	v_cmp_ne_u32_e32 vcc_lo, 0, v13
	v_cndmask_b32_e32 v13, 36, v13, vcc_lo
; %bb.860:
	s_andn2_saveexec_b32 s4, s4
	s_cbranch_execz .LBB126_866
; %bb.861:
	v_cmp_ngt_f64_e64 s16, |v[0:1]|, |v[2:3]|
	s_and_saveexec_b32 s17, s16
	s_xor_b32 s16, exec_lo, s17
	s_cbranch_execz .LBB126_863
; %bb.862:
	v_div_scale_f64 v[15:16], null, v[2:3], v[2:3], v[0:1]
	v_div_scale_f64 v[21:22], vcc_lo, v[0:1], v[2:3], v[0:1]
	v_rcp_f64_e32 v[17:18], v[15:16]
	v_fma_f64 v[19:20], -v[15:16], v[17:18], 1.0
	v_fma_f64 v[17:18], v[17:18], v[19:20], v[17:18]
	v_fma_f64 v[19:20], -v[15:16], v[17:18], 1.0
	v_fma_f64 v[17:18], v[17:18], v[19:20], v[17:18]
	v_mul_f64 v[19:20], v[21:22], v[17:18]
	v_fma_f64 v[15:16], -v[15:16], v[19:20], v[21:22]
	v_div_fmas_f64 v[15:16], v[15:16], v[17:18], v[19:20]
	v_div_fixup_f64 v[15:16], v[15:16], v[2:3], v[0:1]
	v_fma_f64 v[0:1], v[0:1], v[15:16], v[2:3]
	v_div_scale_f64 v[2:3], null, v[0:1], v[0:1], 1.0
	v_rcp_f64_e32 v[17:18], v[2:3]
	v_fma_f64 v[19:20], -v[2:3], v[17:18], 1.0
	v_fma_f64 v[17:18], v[17:18], v[19:20], v[17:18]
	v_fma_f64 v[19:20], -v[2:3], v[17:18], 1.0
	v_fma_f64 v[17:18], v[17:18], v[19:20], v[17:18]
	v_div_scale_f64 v[19:20], vcc_lo, 1.0, v[0:1], 1.0
	v_mul_f64 v[21:22], v[19:20], v[17:18]
	v_fma_f64 v[2:3], -v[2:3], v[21:22], v[19:20]
	v_div_fmas_f64 v[2:3], v[2:3], v[17:18], v[21:22]
	v_div_fixup_f64 v[2:3], v[2:3], v[0:1], 1.0
	v_mul_f64 v[0:1], v[15:16], v[2:3]
	v_xor_b32_e32 v3, 0x80000000, v3
.LBB126_863:
	s_andn2_saveexec_b32 s16, s16
	s_cbranch_execz .LBB126_865
; %bb.864:
	v_div_scale_f64 v[15:16], null, v[0:1], v[0:1], v[2:3]
	v_div_scale_f64 v[21:22], vcc_lo, v[2:3], v[0:1], v[2:3]
	v_rcp_f64_e32 v[17:18], v[15:16]
	v_fma_f64 v[19:20], -v[15:16], v[17:18], 1.0
	v_fma_f64 v[17:18], v[17:18], v[19:20], v[17:18]
	v_fma_f64 v[19:20], -v[15:16], v[17:18], 1.0
	v_fma_f64 v[17:18], v[17:18], v[19:20], v[17:18]
	v_mul_f64 v[19:20], v[21:22], v[17:18]
	v_fma_f64 v[15:16], -v[15:16], v[19:20], v[21:22]
	v_div_fmas_f64 v[15:16], v[15:16], v[17:18], v[19:20]
	v_div_fixup_f64 v[15:16], v[15:16], v[0:1], v[2:3]
	v_fma_f64 v[0:1], v[2:3], v[15:16], v[0:1]
	v_div_scale_f64 v[2:3], null, v[0:1], v[0:1], 1.0
	v_rcp_f64_e32 v[17:18], v[2:3]
	v_fma_f64 v[19:20], -v[2:3], v[17:18], 1.0
	v_fma_f64 v[17:18], v[17:18], v[19:20], v[17:18]
	v_fma_f64 v[19:20], -v[2:3], v[17:18], 1.0
	v_fma_f64 v[17:18], v[17:18], v[19:20], v[17:18]
	v_div_scale_f64 v[19:20], vcc_lo, 1.0, v[0:1], 1.0
	v_mul_f64 v[21:22], v[19:20], v[17:18]
	v_fma_f64 v[2:3], -v[2:3], v[21:22], v[19:20]
	v_div_fmas_f64 v[2:3], v[2:3], v[17:18], v[21:22]
	v_div_fixup_f64 v[0:1], v[2:3], v[0:1], 1.0
	v_mul_f64 v[2:3], v[15:16], -v[0:1]
.LBB126_865:
	s_or_b32 exec_lo, exec_lo, s16
.LBB126_866:
	s_or_b32 exec_lo, exec_lo, s4
	s_mov_b32 s4, exec_lo
	v_cmpx_ne_u32_e64 v5, v4
	s_xor_b32 s4, exec_lo, s4
	s_cbranch_execz .LBB126_872
; %bb.867:
	s_mov_b32 s16, exec_lo
	v_cmpx_eq_u32_e32 35, v5
	s_cbranch_execz .LBB126_871
; %bb.868:
	v_cmp_ne_u32_e32 vcc_lo, 35, v4
	s_xor_b32 s17, s20, -1
	s_and_b32 s56, s17, vcc_lo
	s_and_saveexec_b32 s17, s56
	s_cbranch_execz .LBB126_870
; %bb.869:
	v_ashrrev_i32_e32 v5, 31, v4
	v_lshlrev_b64 v[10:11], 2, v[4:5]
	v_add_co_u32 v10, vcc_lo, v8, v10
	v_add_co_ci_u32_e64 v11, null, v9, v11, vcc_lo
	s_clause 0x1
	global_load_dword v5, v[10:11], off
	global_load_dword v15, v[8:9], off offset:140
	s_waitcnt vmcnt(1)
	global_store_dword v[8:9], v5, off offset:140
	s_waitcnt vmcnt(0)
	global_store_dword v[10:11], v15, off
.LBB126_870:
	s_or_b32 exec_lo, exec_lo, s17
	v_mov_b32_e32 v5, v4
	v_mov_b32_e32 v11, v4
.LBB126_871:
	s_or_b32 exec_lo, exec_lo, s16
.LBB126_872:
	s_andn2_saveexec_b32 s4, s4
	s_cbranch_execz .LBB126_874
; %bb.873:
	v_mov_b32_e32 v4, s46
	v_mov_b32_e32 v10, s44
	;; [unrolled: 1-line block ×3, first 2 shown]
	s_clause 0x7
	buffer_load_dword v15, v4, s[0:3], 0 offen
	buffer_load_dword v16, v4, s[0:3], 0 offen offset:4
	buffer_load_dword v17, v4, s[0:3], 0 offen offset:8
	buffer_load_dword v18, v4, s[0:3], 0 offen offset:12
	buffer_load_dword v19, v5, s[0:3], 0 offen
	buffer_load_dword v20, v5, s[0:3], 0 offen offset:4
	buffer_load_dword v21, v5, s[0:3], 0 offen offset:8
	buffer_load_dword v22, v5, s[0:3], 0 offen offset:12
	v_mov_b32_e32 v4, s43
	v_mov_b32_e32 v5, s42
	s_clause 0x7
	buffer_load_dword v23, v10, s[0:3], 0 offen
	buffer_load_dword v24, v10, s[0:3], 0 offen offset:4
	buffer_load_dword v25, v10, s[0:3], 0 offen offset:8
	buffer_load_dword v26, v10, s[0:3], 0 offen offset:12
	buffer_load_dword v27, v4, s[0:3], 0 offen
	buffer_load_dword v28, v4, s[0:3], 0 offen offset:4
	buffer_load_dword v29, v4, s[0:3], 0 offen offset:8
	buffer_load_dword v30, v4, s[0:3], 0 offen offset:12
	v_mov_b32_e32 v10, s40
	v_mov_b32_e32 v4, s41
	;; [unrolled: 11-line block ×12, first 2 shown]
	s_clause 0x7
	buffer_load_dword v111, v5, s[0:3], 0 offen
	buffer_load_dword v112, v5, s[0:3], 0 offen offset:4
	buffer_load_dword v113, v5, s[0:3], 0 offen offset:8
	buffer_load_dword v114, v5, s[0:3], 0 offen offset:12
	buffer_load_dword v115, v4, s[0:3], 0 offen
	buffer_load_dword v116, v4, s[0:3], 0 offen offset:4
	buffer_load_dword v117, v4, s[0:3], 0 offen offset:8
	;; [unrolled: 1-line block ×3, first 2 shown]
	v_mov_b32_e32 v4, s5
	s_clause 0x7
	buffer_load_dword v119, v10, s[0:3], 0 offen
	buffer_load_dword v120, v10, s[0:3], 0 offen offset:4
	buffer_load_dword v121, v10, s[0:3], 0 offen offset:8
	;; [unrolled: 1-line block ×3, first 2 shown]
	buffer_load_dword v123, v4, s[0:3], 0 offen
	buffer_load_dword v124, v4, s[0:3], 0 offen offset:4
	buffer_load_dword v125, v4, s[0:3], 0 offen offset:8
	;; [unrolled: 1-line block ×3, first 2 shown]
	v_mov_b32_e32 v5, 35
	s_waitcnt vmcnt(62)
	ds_write2_b64 v12, v[15:16], v[17:18] offset0:72 offset1:73
	ds_write2_b64 v12, v[19:20], v[21:22] offset0:74 offset1:75
	;; [unrolled: 1-line block ×12, first 2 shown]
	s_waitcnt vmcnt(60)
	ds_write2_b64 v12, v[63:64], v[65:66] offset0:96 offset1:97
	s_waitcnt vmcnt(56)
	ds_write2_b64 v12, v[67:68], v[69:70] offset0:98 offset1:99
	;; [unrolled: 2-line block ×16, first 2 shown]
.LBB126_874:
	s_or_b32 exec_lo, exec_lo, s4
	s_mov_b32 s4, exec_lo
	s_waitcnt lgkmcnt(0)
	s_waitcnt_vscnt null, 0x0
	s_barrier
	buffer_gl0_inv
	v_cmpx_lt_i32_e32 35, v5
	s_cbranch_execz .LBB126_877
; %bb.875:
	s_clause 0x3
	buffer_load_dword v15, off, s[0:3], 0 offset:568
	buffer_load_dword v16, off, s[0:3], 0 offset:572
	;; [unrolled: 1-line block ×4, first 2 shown]
	v_add3_u32 v4, v14, 0, 0x240
	s_mov_b32 s83, 0
	s_waitcnt vmcnt(2)
	v_mul_f64 v[19:20], v[2:3], v[15:16]
	v_mul_f64 v[15:16], v[0:1], v[15:16]
	s_waitcnt vmcnt(0)
	v_fma_f64 v[0:1], v[0:1], v[17:18], -v[19:20]
	v_fma_f64 v[2:3], v[2:3], v[17:18], v[15:16]
	buffer_store_dword v0, off, s[0:3], 0 offset:560
	buffer_store_dword v1, off, s[0:3], 0 offset:564
	;; [unrolled: 1-line block ×4, first 2 shown]
.LBB126_876:                            ; =>This Inner Loop Header: Depth=1
	v_add_nc_u32_e32 v10, s83, v4
	v_mov_b32_e32 v75, s83
	s_addk_i32 s83, 0x70
	ds_read2_b64 v[15:18], v10 offset1:1
	ds_read2_b64 v[19:22], v10 offset0:2 offset1:3
	ds_read2_b64 v[23:26], v10 offset0:4 offset1:5
	;; [unrolled: 1-line block ×5, first 2 shown]
	s_cmpk_lg_i32 s83, 0x1c0
	s_waitcnt lgkmcnt(5)
	v_mul_f64 v[39:40], v[17:18], v[2:3]
	v_mul_f64 v[41:42], v[15:16], v[2:3]
	s_waitcnt lgkmcnt(4)
	v_mul_f64 v[43:44], v[21:22], v[2:3]
	v_mul_f64 v[45:46], v[19:20], v[2:3]
	;; [unrolled: 3-line block ×6, first 2 shown]
	s_clause 0x5
	buffer_load_dword v63, v75, s[0:3], 0 offen offset:576
	buffer_load_dword v64, v75, s[0:3], 0 offen offset:580
	buffer_load_dword v65, v75, s[0:3], 0 offen offset:584
	buffer_load_dword v66, v75, s[0:3], 0 offen offset:588
	buffer_load_dword v2, off, s[0:3], 0 offset:568
	buffer_load_dword v3, off, s[0:3], 0 offset:572
	v_fma_f64 v[39:40], v[15:16], v[0:1], -v[39:40]
	v_fma_f64 v[41:42], v[17:18], v[0:1], v[41:42]
	v_fma_f64 v[19:20], v[19:20], v[0:1], -v[43:44]
	v_fma_f64 v[21:22], v[21:22], v[0:1], v[45:46]
	v_fma_f64 v[23:24], v[23:24], v[0:1], -v[47:48]
	v_fma_f64 v[25:26], v[25:26], v[0:1], v[49:50]
	v_fma_f64 v[27:28], v[27:28], v[0:1], -v[51:52]
	v_fma_f64 v[29:30], v[29:30], v[0:1], v[53:54]
	v_fma_f64 v[31:32], v[31:32], v[0:1], -v[55:56]
	v_fma_f64 v[33:34], v[33:34], v[0:1], v[57:58]
	v_fma_f64 v[35:36], v[35:36], v[0:1], -v[59:60]
	v_fma_f64 v[37:38], v[37:38], v[0:1], v[61:62]
	s_clause 0x19
	buffer_load_dword v0, off, s[0:3], 0 offset:560
	buffer_load_dword v1, off, s[0:3], 0 offset:564
	buffer_load_dword v43, v75, s[0:3], 0 offen offset:592
	buffer_load_dword v44, v75, s[0:3], 0 offen offset:596
	;; [unrolled: 1-line block ×24, first 2 shown]
	ds_read2_b64 v[15:18], v10 offset0:12 offset1:13
	s_waitcnt vmcnt(30)
	v_add_f64 v[39:40], v[63:64], -v[39:40]
	s_waitcnt vmcnt(28)
	v_add_f64 v[41:42], v[65:66], -v[41:42]
	s_waitcnt vmcnt(26) lgkmcnt(0)
	v_mul_f64 v[71:72], v[17:18], v[2:3]
	v_mul_f64 v[73:74], v[15:16], v[2:3]
	s_waitcnt vmcnt(20)
	v_add_f64 v[21:22], v[45:46], -v[21:22]
	v_add_f64 v[19:20], v[43:44], -v[19:20]
	s_waitcnt vmcnt(18)
	v_add_f64 v[23:24], v[47:48], -v[23:24]
	buffer_store_dword v39, v75, s[0:3], 0 offen offset:576
	buffer_store_dword v40, v75, s[0:3], 0 offen offset:580
	;; [unrolled: 1-line block ×6, first 2 shown]
	v_fma_f64 v[15:16], v[15:16], v[0:1], -v[71:72]
	v_fma_f64 v[17:18], v[17:18], v[0:1], v[73:74]
	s_waitcnt vmcnt(16)
	v_add_f64 v[25:26], v[49:50], -v[25:26]
	s_waitcnt vmcnt(14)
	v_add_f64 v[27:28], v[51:52], -v[27:28]
	s_waitcnt vmcnt(12)
	v_add_f64 v[29:30], v[53:54], -v[29:30]
	s_waitcnt vmcnt(10)
	v_add_f64 v[31:32], v[55:56], -v[31:32]
	s_waitcnt vmcnt(8)
	v_add_f64 v[33:34], v[57:58], -v[33:34]
	s_waitcnt vmcnt(6)
	v_add_f64 v[35:36], v[59:60], -v[35:36]
	s_waitcnt vmcnt(4)
	v_add_f64 v[37:38], v[61:62], -v[37:38]
	s_waitcnt vmcnt(2)
	v_add_f64 v[15:16], v[67:68], -v[15:16]
	s_waitcnt vmcnt(0)
	v_add_f64 v[17:18], v[69:70], -v[17:18]
	buffer_store_dword v21, v75, s[0:3], 0 offen offset:600
	buffer_store_dword v22, v75, s[0:3], 0 offen offset:604
	;; [unrolled: 1-line block ×22, first 2 shown]
	s_cbranch_scc1 .LBB126_876
.LBB126_877:
	s_or_b32 exec_lo, exec_lo, s4
	v_mov_b32_e32 v3, s46
	s_waitcnt_vscnt null, 0x0
	s_barrier
	buffer_gl0_inv
	v_lshl_add_u32 v4, v5, 4, v12
	s_clause 0x3
	buffer_load_dword v0, v3, s[0:3], 0 offen
	buffer_load_dword v1, v3, s[0:3], 0 offen offset:4
	buffer_load_dword v2, v3, s[0:3], 0 offen offset:8
	;; [unrolled: 1-line block ×3, first 2 shown]
	s_cmp_lt_i32 s57, 38
	s_waitcnt vmcnt(0)
	ds_write2_b64 v4, v[0:1], v[2:3] offset1:1
	s_waitcnt lgkmcnt(0)
	s_barrier
	buffer_gl0_inv
	ds_read2_b64 v[0:3], v12 offset0:72 offset1:73
	v_mov_b32_e32 v4, 36
	s_cbranch_scc1 .LBB126_880
; %bb.878:
	v_add3_u32 v10, v14, 0, 0x250
	v_mov_b32_e32 v4, 36
	s_mov_b32 s16, 37
	s_inst_prefetch 0x1
	.p2align	6
.LBB126_879:                            ; =>This Inner Loop Header: Depth=1
	s_waitcnt lgkmcnt(0)
	v_cmp_gt_f64_e32 vcc_lo, 0, v[2:3]
	v_cmp_gt_f64_e64 s4, 0, v[0:1]
	ds_read2_b64 v[15:18], v10 offset1:1
	v_xor_b32_e32 v20, 0x80000000, v1
	v_xor_b32_e32 v22, 0x80000000, v3
	v_mov_b32_e32 v19, v0
	v_mov_b32_e32 v21, v2
	v_add_nc_u32_e32 v10, 16, v10
	s_waitcnt lgkmcnt(0)
	v_xor_b32_e32 v24, 0x80000000, v18
	v_cndmask_b32_e64 v20, v1, v20, s4
	v_cndmask_b32_e32 v22, v3, v22, vcc_lo
	v_cmp_gt_f64_e32 vcc_lo, 0, v[17:18]
	v_cmp_gt_f64_e64 s4, 0, v[15:16]
	v_mov_b32_e32 v23, v17
	v_add_f64 v[19:20], v[19:20], v[21:22]
	v_xor_b32_e32 v22, 0x80000000, v16
	v_mov_b32_e32 v21, v15
	v_cndmask_b32_e32 v24, v18, v24, vcc_lo
	v_cndmask_b32_e64 v22, v16, v22, s4
	v_add_f64 v[21:22], v[21:22], v[23:24]
	v_cmp_lt_f64_e32 vcc_lo, v[19:20], v[21:22]
	v_cndmask_b32_e32 v1, v1, v16, vcc_lo
	v_cndmask_b32_e32 v0, v0, v15, vcc_lo
	;; [unrolled: 1-line block ×4, first 2 shown]
	v_cndmask_b32_e64 v4, v4, s16, vcc_lo
	s_add_i32 s16, s16, 1
	s_cmp_lg_u32 s57, s16
	s_cbranch_scc1 .LBB126_879
.LBB126_880:
	s_inst_prefetch 0x2
	s_waitcnt lgkmcnt(0)
	v_cmp_eq_f64_e32 vcc_lo, 0, v[0:1]
	v_cmp_eq_f64_e64 s4, 0, v[2:3]
	s_and_b32 s4, vcc_lo, s4
	s_and_saveexec_b32 s16, s4
	s_xor_b32 s4, exec_lo, s16
; %bb.881:
	v_cmp_ne_u32_e32 vcc_lo, 0, v13
	v_cndmask_b32_e32 v13, 37, v13, vcc_lo
; %bb.882:
	s_andn2_saveexec_b32 s4, s4
	s_cbranch_execz .LBB126_888
; %bb.883:
	v_cmp_ngt_f64_e64 s16, |v[0:1]|, |v[2:3]|
	s_and_saveexec_b32 s17, s16
	s_xor_b32 s16, exec_lo, s17
	s_cbranch_execz .LBB126_885
; %bb.884:
	v_div_scale_f64 v[15:16], null, v[2:3], v[2:3], v[0:1]
	v_div_scale_f64 v[21:22], vcc_lo, v[0:1], v[2:3], v[0:1]
	v_rcp_f64_e32 v[17:18], v[15:16]
	v_fma_f64 v[19:20], -v[15:16], v[17:18], 1.0
	v_fma_f64 v[17:18], v[17:18], v[19:20], v[17:18]
	v_fma_f64 v[19:20], -v[15:16], v[17:18], 1.0
	v_fma_f64 v[17:18], v[17:18], v[19:20], v[17:18]
	v_mul_f64 v[19:20], v[21:22], v[17:18]
	v_fma_f64 v[15:16], -v[15:16], v[19:20], v[21:22]
	v_div_fmas_f64 v[15:16], v[15:16], v[17:18], v[19:20]
	v_div_fixup_f64 v[15:16], v[15:16], v[2:3], v[0:1]
	v_fma_f64 v[0:1], v[0:1], v[15:16], v[2:3]
	v_div_scale_f64 v[2:3], null, v[0:1], v[0:1], 1.0
	v_rcp_f64_e32 v[17:18], v[2:3]
	v_fma_f64 v[19:20], -v[2:3], v[17:18], 1.0
	v_fma_f64 v[17:18], v[17:18], v[19:20], v[17:18]
	v_fma_f64 v[19:20], -v[2:3], v[17:18], 1.0
	v_fma_f64 v[17:18], v[17:18], v[19:20], v[17:18]
	v_div_scale_f64 v[19:20], vcc_lo, 1.0, v[0:1], 1.0
	v_mul_f64 v[21:22], v[19:20], v[17:18]
	v_fma_f64 v[2:3], -v[2:3], v[21:22], v[19:20]
	v_div_fmas_f64 v[2:3], v[2:3], v[17:18], v[21:22]
	v_div_fixup_f64 v[2:3], v[2:3], v[0:1], 1.0
	v_mul_f64 v[0:1], v[15:16], v[2:3]
	v_xor_b32_e32 v3, 0x80000000, v3
.LBB126_885:
	s_andn2_saveexec_b32 s16, s16
	s_cbranch_execz .LBB126_887
; %bb.886:
	v_div_scale_f64 v[15:16], null, v[0:1], v[0:1], v[2:3]
	v_div_scale_f64 v[21:22], vcc_lo, v[2:3], v[0:1], v[2:3]
	v_rcp_f64_e32 v[17:18], v[15:16]
	v_fma_f64 v[19:20], -v[15:16], v[17:18], 1.0
	v_fma_f64 v[17:18], v[17:18], v[19:20], v[17:18]
	v_fma_f64 v[19:20], -v[15:16], v[17:18], 1.0
	v_fma_f64 v[17:18], v[17:18], v[19:20], v[17:18]
	v_mul_f64 v[19:20], v[21:22], v[17:18]
	v_fma_f64 v[15:16], -v[15:16], v[19:20], v[21:22]
	v_div_fmas_f64 v[15:16], v[15:16], v[17:18], v[19:20]
	v_div_fixup_f64 v[15:16], v[15:16], v[0:1], v[2:3]
	v_fma_f64 v[0:1], v[2:3], v[15:16], v[0:1]
	v_div_scale_f64 v[2:3], null, v[0:1], v[0:1], 1.0
	v_rcp_f64_e32 v[17:18], v[2:3]
	v_fma_f64 v[19:20], -v[2:3], v[17:18], 1.0
	v_fma_f64 v[17:18], v[17:18], v[19:20], v[17:18]
	v_fma_f64 v[19:20], -v[2:3], v[17:18], 1.0
	v_fma_f64 v[17:18], v[17:18], v[19:20], v[17:18]
	v_div_scale_f64 v[19:20], vcc_lo, 1.0, v[0:1], 1.0
	v_mul_f64 v[21:22], v[19:20], v[17:18]
	v_fma_f64 v[2:3], -v[2:3], v[21:22], v[19:20]
	v_div_fmas_f64 v[2:3], v[2:3], v[17:18], v[21:22]
	v_div_fixup_f64 v[0:1], v[2:3], v[0:1], 1.0
	v_mul_f64 v[2:3], v[15:16], -v[0:1]
.LBB126_887:
	s_or_b32 exec_lo, exec_lo, s16
.LBB126_888:
	s_or_b32 exec_lo, exec_lo, s4
	s_mov_b32 s4, exec_lo
	v_cmpx_ne_u32_e64 v5, v4
	s_xor_b32 s4, exec_lo, s4
	s_cbranch_execz .LBB126_894
; %bb.889:
	s_mov_b32 s16, exec_lo
	v_cmpx_eq_u32_e32 36, v5
	s_cbranch_execz .LBB126_893
; %bb.890:
	v_cmp_ne_u32_e32 vcc_lo, 36, v4
	s_xor_b32 s17, s20, -1
	s_and_b32 s56, s17, vcc_lo
	s_and_saveexec_b32 s17, s56
	s_cbranch_execz .LBB126_892
; %bb.891:
	v_ashrrev_i32_e32 v5, 31, v4
	v_lshlrev_b64 v[10:11], 2, v[4:5]
	v_add_co_u32 v10, vcc_lo, v8, v10
	v_add_co_ci_u32_e64 v11, null, v9, v11, vcc_lo
	s_clause 0x1
	global_load_dword v5, v[10:11], off
	global_load_dword v15, v[8:9], off offset:144
	s_waitcnt vmcnt(1)
	global_store_dword v[8:9], v5, off offset:144
	s_waitcnt vmcnt(0)
	global_store_dword v[10:11], v15, off
.LBB126_892:
	s_or_b32 exec_lo, exec_lo, s17
	v_mov_b32_e32 v5, v4
	v_mov_b32_e32 v11, v4
.LBB126_893:
	s_or_b32 exec_lo, exec_lo, s16
.LBB126_894:
	s_andn2_saveexec_b32 s4, s4
	s_cbranch_execz .LBB126_896
; %bb.895:
	v_mov_b32_e32 v4, s45
	v_mov_b32_e32 v5, s44
	;; [unrolled: 1-line block ×3, first 2 shown]
	s_clause 0x7
	buffer_load_dword v15, v4, s[0:3], 0 offen
	buffer_load_dword v16, v4, s[0:3], 0 offen offset:4
	buffer_load_dword v17, v4, s[0:3], 0 offen offset:8
	buffer_load_dword v18, v4, s[0:3], 0 offen offset:12
	buffer_load_dword v19, v5, s[0:3], 0 offen
	buffer_load_dword v20, v5, s[0:3], 0 offen offset:4
	buffer_load_dword v21, v5, s[0:3], 0 offen offset:8
	buffer_load_dword v22, v5, s[0:3], 0 offen offset:12
	v_mov_b32_e32 v5, s41
	v_mov_b32_e32 v4, s42
	s_clause 0x7
	buffer_load_dword v23, v10, s[0:3], 0 offen
	buffer_load_dword v24, v10, s[0:3], 0 offen offset:4
	buffer_load_dword v25, v10, s[0:3], 0 offen offset:8
	buffer_load_dword v26, v10, s[0:3], 0 offen offset:12
	buffer_load_dword v27, v4, s[0:3], 0 offen
	buffer_load_dword v28, v4, s[0:3], 0 offen offset:4
	buffer_load_dword v29, v4, s[0:3], 0 offen offset:8
	buffer_load_dword v30, v4, s[0:3], 0 offen offset:12
	v_mov_b32_e32 v4, s40
	v_mov_b32_e32 v10, s39
	;; [unrolled: 11-line block ×12, first 2 shown]
	s_clause 0xb
	buffer_load_dword v111, v5, s[0:3], 0 offen
	buffer_load_dword v112, v5, s[0:3], 0 offen offset:4
	buffer_load_dword v113, v5, s[0:3], 0 offen offset:8
	buffer_load_dword v114, v5, s[0:3], 0 offen offset:12
	buffer_load_dword v115, v4, s[0:3], 0 offen
	buffer_load_dword v116, v4, s[0:3], 0 offen offset:4
	buffer_load_dword v117, v4, s[0:3], 0 offen offset:8
	buffer_load_dword v118, v4, s[0:3], 0 offen offset:12
	buffer_load_dword v119, v10, s[0:3], 0 offen
	buffer_load_dword v120, v10, s[0:3], 0 offen offset:4
	buffer_load_dword v121, v10, s[0:3], 0 offen offset:8
	buffer_load_dword v122, v10, s[0:3], 0 offen offset:12
	v_mov_b32_e32 v5, 36
	s_waitcnt vmcnt(62)
	ds_write2_b64 v12, v[15:16], v[17:18] offset0:74 offset1:75
	ds_write2_b64 v12, v[19:20], v[21:22] offset0:76 offset1:77
	;; [unrolled: 1-line block ×11, first 2 shown]
	s_waitcnt vmcnt(60)
	ds_write2_b64 v12, v[59:60], v[61:62] offset0:96 offset1:97
	s_waitcnt vmcnt(56)
	ds_write2_b64 v12, v[63:64], v[65:66] offset0:98 offset1:99
	;; [unrolled: 2-line block ×16, first 2 shown]
.LBB126_896:
	s_or_b32 exec_lo, exec_lo, s4
	s_mov_b32 s4, exec_lo
	s_waitcnt lgkmcnt(0)
	s_waitcnt_vscnt null, 0x0
	s_barrier
	buffer_gl0_inv
	v_cmpx_lt_i32_e32 36, v5
	s_cbranch_execz .LBB126_899
; %bb.897:
	s_clause 0x3
	buffer_load_dword v15, off, s[0:3], 0 offset:584
	buffer_load_dword v16, off, s[0:3], 0 offset:588
	;; [unrolled: 1-line block ×4, first 2 shown]
	v_add3_u32 v4, v14, 0, 0x250
	s_mov_b32 s16, 0
	s_waitcnt vmcnt(2)
	v_mul_f64 v[19:20], v[2:3], v[15:16]
	v_mul_f64 v[15:16], v[0:1], v[15:16]
	s_waitcnt vmcnt(0)
	v_fma_f64 v[0:1], v[0:1], v[17:18], -v[19:20]
	v_fma_f64 v[2:3], v[2:3], v[17:18], v[15:16]
	buffer_store_dword v0, off, s[0:3], 0 offset:576
	buffer_store_dword v1, off, s[0:3], 0 offset:580
	;; [unrolled: 1-line block ×4, first 2 shown]
.LBB126_898:                            ; =>This Inner Loop Header: Depth=1
	v_mov_b32_e32 v10, s16
	v_add_nc_u32_e32 v23, s16, v4
	s_add_i32 s16, s16, 48
	s_clause 0xb
	buffer_load_dword v27, v10, s[0:3], 0 offen offset:592
	buffer_load_dword v28, v10, s[0:3], 0 offen offset:596
	;; [unrolled: 1-line block ×12, first 2 shown]
	ds_read2_b64 v[15:18], v23 offset1:1
	ds_read2_b64 v[19:22], v23 offset0:2 offset1:3
	ds_read2_b64 v[23:26], v23 offset0:4 offset1:5
	s_cmpk_lg_i32 s16, 0x1b0
	s_waitcnt lgkmcnt(2)
	v_mul_f64 v[39:40], v[17:18], v[2:3]
	v_mul_f64 v[41:42], v[15:16], v[2:3]
	s_waitcnt lgkmcnt(1)
	v_mul_f64 v[43:44], v[21:22], v[2:3]
	v_mul_f64 v[45:46], v[19:20], v[2:3]
	;; [unrolled: 3-line block ×3, first 2 shown]
	v_fma_f64 v[15:16], v[15:16], v[0:1], -v[39:40]
	v_fma_f64 v[17:18], v[17:18], v[0:1], v[41:42]
	v_fma_f64 v[19:20], v[19:20], v[0:1], -v[43:44]
	v_fma_f64 v[21:22], v[21:22], v[0:1], v[45:46]
	;; [unrolled: 2-line block ×3, first 2 shown]
	s_waitcnt vmcnt(10)
	v_add_f64 v[15:16], v[27:28], -v[15:16]
	s_waitcnt vmcnt(8)
	v_add_f64 v[17:18], v[29:30], -v[17:18]
	s_waitcnt vmcnt(6)
	v_add_f64 v[19:20], v[31:32], -v[19:20]
	s_waitcnt vmcnt(4)
	v_add_f64 v[21:22], v[33:34], -v[21:22]
	s_waitcnt vmcnt(2)
	v_add_f64 v[23:24], v[35:36], -v[23:24]
	s_waitcnt vmcnt(0)
	v_add_f64 v[25:26], v[37:38], -v[25:26]
	buffer_store_dword v15, v10, s[0:3], 0 offen offset:592
	buffer_store_dword v16, v10, s[0:3], 0 offen offset:596
	;; [unrolled: 1-line block ×12, first 2 shown]
	s_cbranch_scc1 .LBB126_898
.LBB126_899:
	s_or_b32 exec_lo, exec_lo, s4
	v_mov_b32_e32 v3, s45
	s_waitcnt_vscnt null, 0x0
	s_barrier
	buffer_gl0_inv
	v_lshl_add_u32 v4, v5, 4, v12
	s_clause 0x3
	buffer_load_dword v0, v3, s[0:3], 0 offen
	buffer_load_dword v1, v3, s[0:3], 0 offen offset:4
	buffer_load_dword v2, v3, s[0:3], 0 offen offset:8
	;; [unrolled: 1-line block ×3, first 2 shown]
	s_cmp_lt_i32 s57, 39
	s_waitcnt vmcnt(0)
	ds_write2_b64 v4, v[0:1], v[2:3] offset1:1
	s_waitcnt lgkmcnt(0)
	s_barrier
	buffer_gl0_inv
	ds_read2_b64 v[0:3], v12 offset0:74 offset1:75
	v_mov_b32_e32 v4, 37
	s_cbranch_scc1 .LBB126_902
; %bb.900:
	v_add3_u32 v10, v14, 0, 0x260
	v_mov_b32_e32 v4, 37
	s_mov_b32 s16, 38
	s_inst_prefetch 0x1
	.p2align	6
.LBB126_901:                            ; =>This Inner Loop Header: Depth=1
	s_waitcnt lgkmcnt(0)
	v_cmp_gt_f64_e32 vcc_lo, 0, v[2:3]
	v_cmp_gt_f64_e64 s4, 0, v[0:1]
	ds_read2_b64 v[15:18], v10 offset1:1
	v_xor_b32_e32 v20, 0x80000000, v1
	v_xor_b32_e32 v22, 0x80000000, v3
	v_mov_b32_e32 v19, v0
	v_mov_b32_e32 v21, v2
	v_add_nc_u32_e32 v10, 16, v10
	s_waitcnt lgkmcnt(0)
	v_xor_b32_e32 v24, 0x80000000, v18
	v_cndmask_b32_e64 v20, v1, v20, s4
	v_cndmask_b32_e32 v22, v3, v22, vcc_lo
	v_cmp_gt_f64_e32 vcc_lo, 0, v[17:18]
	v_cmp_gt_f64_e64 s4, 0, v[15:16]
	v_mov_b32_e32 v23, v17
	v_add_f64 v[19:20], v[19:20], v[21:22]
	v_xor_b32_e32 v22, 0x80000000, v16
	v_mov_b32_e32 v21, v15
	v_cndmask_b32_e32 v24, v18, v24, vcc_lo
	v_cndmask_b32_e64 v22, v16, v22, s4
	v_add_f64 v[21:22], v[21:22], v[23:24]
	v_cmp_lt_f64_e32 vcc_lo, v[19:20], v[21:22]
	v_cndmask_b32_e32 v1, v1, v16, vcc_lo
	v_cndmask_b32_e32 v0, v0, v15, vcc_lo
	;; [unrolled: 1-line block ×4, first 2 shown]
	v_cndmask_b32_e64 v4, v4, s16, vcc_lo
	s_add_i32 s16, s16, 1
	s_cmp_lg_u32 s57, s16
	s_cbranch_scc1 .LBB126_901
.LBB126_902:
	s_inst_prefetch 0x2
	s_waitcnt lgkmcnt(0)
	v_cmp_eq_f64_e32 vcc_lo, 0, v[0:1]
	v_cmp_eq_f64_e64 s4, 0, v[2:3]
	s_and_b32 s4, vcc_lo, s4
	s_and_saveexec_b32 s16, s4
	s_xor_b32 s4, exec_lo, s16
; %bb.903:
	v_cmp_ne_u32_e32 vcc_lo, 0, v13
	v_cndmask_b32_e32 v13, 38, v13, vcc_lo
; %bb.904:
	s_andn2_saveexec_b32 s4, s4
	s_cbranch_execz .LBB126_910
; %bb.905:
	v_cmp_ngt_f64_e64 s16, |v[0:1]|, |v[2:3]|
	s_and_saveexec_b32 s17, s16
	s_xor_b32 s16, exec_lo, s17
	s_cbranch_execz .LBB126_907
; %bb.906:
	v_div_scale_f64 v[15:16], null, v[2:3], v[2:3], v[0:1]
	v_div_scale_f64 v[21:22], vcc_lo, v[0:1], v[2:3], v[0:1]
	v_rcp_f64_e32 v[17:18], v[15:16]
	v_fma_f64 v[19:20], -v[15:16], v[17:18], 1.0
	v_fma_f64 v[17:18], v[17:18], v[19:20], v[17:18]
	v_fma_f64 v[19:20], -v[15:16], v[17:18], 1.0
	v_fma_f64 v[17:18], v[17:18], v[19:20], v[17:18]
	v_mul_f64 v[19:20], v[21:22], v[17:18]
	v_fma_f64 v[15:16], -v[15:16], v[19:20], v[21:22]
	v_div_fmas_f64 v[15:16], v[15:16], v[17:18], v[19:20]
	v_div_fixup_f64 v[15:16], v[15:16], v[2:3], v[0:1]
	v_fma_f64 v[0:1], v[0:1], v[15:16], v[2:3]
	v_div_scale_f64 v[2:3], null, v[0:1], v[0:1], 1.0
	v_rcp_f64_e32 v[17:18], v[2:3]
	v_fma_f64 v[19:20], -v[2:3], v[17:18], 1.0
	v_fma_f64 v[17:18], v[17:18], v[19:20], v[17:18]
	v_fma_f64 v[19:20], -v[2:3], v[17:18], 1.0
	v_fma_f64 v[17:18], v[17:18], v[19:20], v[17:18]
	v_div_scale_f64 v[19:20], vcc_lo, 1.0, v[0:1], 1.0
	v_mul_f64 v[21:22], v[19:20], v[17:18]
	v_fma_f64 v[2:3], -v[2:3], v[21:22], v[19:20]
	v_div_fmas_f64 v[2:3], v[2:3], v[17:18], v[21:22]
	v_div_fixup_f64 v[2:3], v[2:3], v[0:1], 1.0
	v_mul_f64 v[0:1], v[15:16], v[2:3]
	v_xor_b32_e32 v3, 0x80000000, v3
.LBB126_907:
	s_andn2_saveexec_b32 s16, s16
	s_cbranch_execz .LBB126_909
; %bb.908:
	v_div_scale_f64 v[15:16], null, v[0:1], v[0:1], v[2:3]
	v_div_scale_f64 v[21:22], vcc_lo, v[2:3], v[0:1], v[2:3]
	v_rcp_f64_e32 v[17:18], v[15:16]
	v_fma_f64 v[19:20], -v[15:16], v[17:18], 1.0
	v_fma_f64 v[17:18], v[17:18], v[19:20], v[17:18]
	v_fma_f64 v[19:20], -v[15:16], v[17:18], 1.0
	v_fma_f64 v[17:18], v[17:18], v[19:20], v[17:18]
	v_mul_f64 v[19:20], v[21:22], v[17:18]
	v_fma_f64 v[15:16], -v[15:16], v[19:20], v[21:22]
	v_div_fmas_f64 v[15:16], v[15:16], v[17:18], v[19:20]
	v_div_fixup_f64 v[15:16], v[15:16], v[0:1], v[2:3]
	v_fma_f64 v[0:1], v[2:3], v[15:16], v[0:1]
	v_div_scale_f64 v[2:3], null, v[0:1], v[0:1], 1.0
	v_rcp_f64_e32 v[17:18], v[2:3]
	v_fma_f64 v[19:20], -v[2:3], v[17:18], 1.0
	v_fma_f64 v[17:18], v[17:18], v[19:20], v[17:18]
	v_fma_f64 v[19:20], -v[2:3], v[17:18], 1.0
	v_fma_f64 v[17:18], v[17:18], v[19:20], v[17:18]
	v_div_scale_f64 v[19:20], vcc_lo, 1.0, v[0:1], 1.0
	v_mul_f64 v[21:22], v[19:20], v[17:18]
	v_fma_f64 v[2:3], -v[2:3], v[21:22], v[19:20]
	v_div_fmas_f64 v[2:3], v[2:3], v[17:18], v[21:22]
	v_div_fixup_f64 v[0:1], v[2:3], v[0:1], 1.0
	v_mul_f64 v[2:3], v[15:16], -v[0:1]
.LBB126_909:
	s_or_b32 exec_lo, exec_lo, s16
.LBB126_910:
	s_or_b32 exec_lo, exec_lo, s4
	s_mov_b32 s4, exec_lo
	v_cmpx_ne_u32_e64 v5, v4
	s_xor_b32 s4, exec_lo, s4
	s_cbranch_execz .LBB126_916
; %bb.911:
	s_mov_b32 s16, exec_lo
	v_cmpx_eq_u32_e32 37, v5
	s_cbranch_execz .LBB126_915
; %bb.912:
	v_cmp_ne_u32_e32 vcc_lo, 37, v4
	s_xor_b32 s17, s20, -1
	s_and_b32 s56, s17, vcc_lo
	s_and_saveexec_b32 s17, s56
	s_cbranch_execz .LBB126_914
; %bb.913:
	v_ashrrev_i32_e32 v5, 31, v4
	v_lshlrev_b64 v[10:11], 2, v[4:5]
	v_add_co_u32 v10, vcc_lo, v8, v10
	v_add_co_ci_u32_e64 v11, null, v9, v11, vcc_lo
	s_clause 0x1
	global_load_dword v5, v[10:11], off
	global_load_dword v15, v[8:9], off offset:148
	s_waitcnt vmcnt(1)
	global_store_dword v[8:9], v5, off offset:148
	s_waitcnt vmcnt(0)
	global_store_dword v[10:11], v15, off
.LBB126_914:
	s_or_b32 exec_lo, exec_lo, s17
	v_mov_b32_e32 v5, v4
	v_mov_b32_e32 v11, v4
.LBB126_915:
	s_or_b32 exec_lo, exec_lo, s16
.LBB126_916:
	s_andn2_saveexec_b32 s4, s4
	s_cbranch_execz .LBB126_918
; %bb.917:
	v_mov_b32_e32 v4, s44
	v_mov_b32_e32 v5, s43
	;; [unrolled: 1-line block ×3, first 2 shown]
	s_clause 0x7
	buffer_load_dword v15, v4, s[0:3], 0 offen
	buffer_load_dword v16, v4, s[0:3], 0 offen offset:4
	buffer_load_dword v17, v4, s[0:3], 0 offen offset:8
	buffer_load_dword v18, v4, s[0:3], 0 offen offset:12
	buffer_load_dword v19, v5, s[0:3], 0 offen
	buffer_load_dword v20, v5, s[0:3], 0 offen offset:4
	buffer_load_dword v21, v5, s[0:3], 0 offen offset:8
	buffer_load_dword v22, v5, s[0:3], 0 offen offset:12
	v_mov_b32_e32 v5, s40
	v_mov_b32_e32 v4, s41
	s_clause 0x7
	buffer_load_dword v23, v10, s[0:3], 0 offen
	buffer_load_dword v24, v10, s[0:3], 0 offen offset:4
	buffer_load_dword v25, v10, s[0:3], 0 offen offset:8
	buffer_load_dword v26, v10, s[0:3], 0 offen offset:12
	buffer_load_dword v27, v4, s[0:3], 0 offen
	buffer_load_dword v28, v4, s[0:3], 0 offen offset:4
	buffer_load_dword v29, v4, s[0:3], 0 offen offset:8
	buffer_load_dword v30, v4, s[0:3], 0 offen offset:12
	v_mov_b32_e32 v4, s39
	v_mov_b32_e32 v10, s38
	;; [unrolled: 11-line block ×11, first 2 shown]
	s_clause 0x7
	buffer_load_dword v103, v10, s[0:3], 0 offen
	buffer_load_dword v104, v10, s[0:3], 0 offen offset:4
	buffer_load_dword v105, v10, s[0:3], 0 offen offset:8
	;; [unrolled: 1-line block ×3, first 2 shown]
	buffer_load_dword v107, v4, s[0:3], 0 offen
	buffer_load_dword v108, v4, s[0:3], 0 offen offset:4
	buffer_load_dword v109, v4, s[0:3], 0 offen offset:8
	;; [unrolled: 1-line block ×3, first 2 shown]
	v_mov_b32_e32 v4, s5
	s_clause 0x7
	buffer_load_dword v111, v5, s[0:3], 0 offen
	buffer_load_dword v112, v5, s[0:3], 0 offen offset:4
	buffer_load_dword v113, v5, s[0:3], 0 offen offset:8
	;; [unrolled: 1-line block ×3, first 2 shown]
	buffer_load_dword v115, v4, s[0:3], 0 offen
	buffer_load_dword v116, v4, s[0:3], 0 offen offset:4
	buffer_load_dword v117, v4, s[0:3], 0 offen offset:8
	;; [unrolled: 1-line block ×3, first 2 shown]
	v_mov_b32_e32 v5, 37
	s_waitcnt vmcnt(62)
	ds_write2_b64 v12, v[15:16], v[17:18] offset0:76 offset1:77
	ds_write2_b64 v12, v[19:20], v[21:22] offset0:78 offset1:79
	;; [unrolled: 1-line block ×10, first 2 shown]
	s_waitcnt vmcnt(60)
	ds_write2_b64 v12, v[55:56], v[57:58] offset0:96 offset1:97
	s_waitcnt vmcnt(56)
	ds_write2_b64 v12, v[59:60], v[61:62] offset0:98 offset1:99
	s_waitcnt vmcnt(52)
	ds_write2_b64 v12, v[63:64], v[65:66] offset0:100 offset1:101
	s_waitcnt vmcnt(48)
	ds_write2_b64 v12, v[67:68], v[69:70] offset0:102 offset1:103
	s_waitcnt vmcnt(44)
	ds_write2_b64 v12, v[71:72], v[73:74] offset0:104 offset1:105
	s_waitcnt vmcnt(40)
	ds_write2_b64 v12, v[75:76], v[77:78] offset0:106 offset1:107
	s_waitcnt vmcnt(36)
	ds_write2_b64 v12, v[79:80], v[81:82] offset0:108 offset1:109
	s_waitcnt vmcnt(32)
	ds_write2_b64 v12, v[83:84], v[85:86] offset0:110 offset1:111
	s_waitcnt vmcnt(28)
	ds_write2_b64 v12, v[87:88], v[89:90] offset0:112 offset1:113
	s_waitcnt vmcnt(24)
	ds_write2_b64 v12, v[91:92], v[93:94] offset0:114 offset1:115
	s_waitcnt vmcnt(20)
	ds_write2_b64 v12, v[95:96], v[97:98] offset0:116 offset1:117
	s_waitcnt vmcnt(16)
	ds_write2_b64 v12, v[99:100], v[101:102] offset0:118 offset1:119
	s_waitcnt vmcnt(12)
	ds_write2_b64 v12, v[103:104], v[105:106] offset0:120 offset1:121
	s_waitcnt vmcnt(8)
	ds_write2_b64 v12, v[107:108], v[109:110] offset0:122 offset1:123
	s_waitcnt vmcnt(4)
	ds_write2_b64 v12, v[111:112], v[113:114] offset0:124 offset1:125
	s_waitcnt vmcnt(0)
	ds_write2_b64 v12, v[115:116], v[117:118] offset0:126 offset1:127
.LBB126_918:
	s_or_b32 exec_lo, exec_lo, s4
	s_mov_b32 s4, exec_lo
	s_waitcnt lgkmcnt(0)
	s_waitcnt_vscnt null, 0x0
	s_barrier
	buffer_gl0_inv
	v_cmpx_lt_i32_e32 37, v5
	s_cbranch_execz .LBB126_921
; %bb.919:
	s_clause 0x3
	buffer_load_dword v15, off, s[0:3], 0 offset:600
	buffer_load_dword v16, off, s[0:3], 0 offset:604
	;; [unrolled: 1-line block ×4, first 2 shown]
	v_add3_u32 v4, v14, 0, 0x260
	s_mov_b32 s16, 0
	s_waitcnt vmcnt(2)
	v_mul_f64 v[19:20], v[2:3], v[15:16]
	v_mul_f64 v[15:16], v[0:1], v[15:16]
	s_waitcnt vmcnt(0)
	v_fma_f64 v[0:1], v[0:1], v[17:18], -v[19:20]
	v_fma_f64 v[2:3], v[2:3], v[17:18], v[15:16]
	buffer_store_dword v0, off, s[0:3], 0 offset:592
	buffer_store_dword v1, off, s[0:3], 0 offset:596
	;; [unrolled: 1-line block ×4, first 2 shown]
.LBB126_920:                            ; =>This Inner Loop Header: Depth=1
	v_mov_b32_e32 v10, s16
	v_add_nc_u32_e32 v19, s16, v4
	s_add_i32 s16, s16, 32
	s_clause 0x7
	buffer_load_dword v23, v10, s[0:3], 0 offen offset:608
	buffer_load_dword v24, v10, s[0:3], 0 offen offset:612
	;; [unrolled: 1-line block ×8, first 2 shown]
	ds_read2_b64 v[15:18], v19 offset1:1
	ds_read2_b64 v[19:22], v19 offset0:2 offset1:3
	s_cmpk_lg_i32 s16, 0x1a0
	s_waitcnt lgkmcnt(1)
	v_mul_f64 v[31:32], v[17:18], v[2:3]
	v_mul_f64 v[33:34], v[15:16], v[2:3]
	s_waitcnt lgkmcnt(0)
	v_mul_f64 v[35:36], v[21:22], v[2:3]
	v_mul_f64 v[37:38], v[19:20], v[2:3]
	v_fma_f64 v[15:16], v[15:16], v[0:1], -v[31:32]
	v_fma_f64 v[17:18], v[17:18], v[0:1], v[33:34]
	v_fma_f64 v[19:20], v[19:20], v[0:1], -v[35:36]
	v_fma_f64 v[21:22], v[21:22], v[0:1], v[37:38]
	s_waitcnt vmcnt(6)
	v_add_f64 v[15:16], v[23:24], -v[15:16]
	s_waitcnt vmcnt(4)
	v_add_f64 v[17:18], v[25:26], -v[17:18]
	;; [unrolled: 2-line block ×4, first 2 shown]
	buffer_store_dword v15, v10, s[0:3], 0 offen offset:608
	buffer_store_dword v16, v10, s[0:3], 0 offen offset:612
	;; [unrolled: 1-line block ×8, first 2 shown]
	s_cbranch_scc1 .LBB126_920
.LBB126_921:
	s_or_b32 exec_lo, exec_lo, s4
	v_mov_b32_e32 v3, s44
	s_waitcnt_vscnt null, 0x0
	s_barrier
	buffer_gl0_inv
	v_lshl_add_u32 v4, v5, 4, v12
	s_clause 0x3
	buffer_load_dword v0, v3, s[0:3], 0 offen
	buffer_load_dword v1, v3, s[0:3], 0 offen offset:4
	buffer_load_dword v2, v3, s[0:3], 0 offen offset:8
	;; [unrolled: 1-line block ×3, first 2 shown]
	s_cmp_lt_i32 s57, 40
	s_waitcnt vmcnt(0)
	ds_write2_b64 v4, v[0:1], v[2:3] offset1:1
	s_waitcnt lgkmcnt(0)
	s_barrier
	buffer_gl0_inv
	ds_read2_b64 v[0:3], v12 offset0:76 offset1:77
	v_mov_b32_e32 v4, 38
	s_cbranch_scc1 .LBB126_924
; %bb.922:
	v_add3_u32 v10, v14, 0, 0x270
	v_mov_b32_e32 v4, 38
	s_mov_b32 s16, 39
	s_inst_prefetch 0x1
	.p2align	6
.LBB126_923:                            ; =>This Inner Loop Header: Depth=1
	s_waitcnt lgkmcnt(0)
	v_cmp_gt_f64_e32 vcc_lo, 0, v[2:3]
	v_cmp_gt_f64_e64 s4, 0, v[0:1]
	ds_read2_b64 v[15:18], v10 offset1:1
	v_xor_b32_e32 v20, 0x80000000, v1
	v_xor_b32_e32 v22, 0x80000000, v3
	v_mov_b32_e32 v19, v0
	v_mov_b32_e32 v21, v2
	v_add_nc_u32_e32 v10, 16, v10
	s_waitcnt lgkmcnt(0)
	v_xor_b32_e32 v24, 0x80000000, v18
	v_cndmask_b32_e64 v20, v1, v20, s4
	v_cndmask_b32_e32 v22, v3, v22, vcc_lo
	v_cmp_gt_f64_e32 vcc_lo, 0, v[17:18]
	v_cmp_gt_f64_e64 s4, 0, v[15:16]
	v_mov_b32_e32 v23, v17
	v_add_f64 v[19:20], v[19:20], v[21:22]
	v_xor_b32_e32 v22, 0x80000000, v16
	v_mov_b32_e32 v21, v15
	v_cndmask_b32_e32 v24, v18, v24, vcc_lo
	v_cndmask_b32_e64 v22, v16, v22, s4
	v_add_f64 v[21:22], v[21:22], v[23:24]
	v_cmp_lt_f64_e32 vcc_lo, v[19:20], v[21:22]
	v_cndmask_b32_e32 v1, v1, v16, vcc_lo
	v_cndmask_b32_e32 v0, v0, v15, vcc_lo
	;; [unrolled: 1-line block ×4, first 2 shown]
	v_cndmask_b32_e64 v4, v4, s16, vcc_lo
	s_add_i32 s16, s16, 1
	s_cmp_lg_u32 s57, s16
	s_cbranch_scc1 .LBB126_923
.LBB126_924:
	s_inst_prefetch 0x2
	s_waitcnt lgkmcnt(0)
	v_cmp_eq_f64_e32 vcc_lo, 0, v[0:1]
	v_cmp_eq_f64_e64 s4, 0, v[2:3]
	s_and_b32 s4, vcc_lo, s4
	s_and_saveexec_b32 s16, s4
	s_xor_b32 s4, exec_lo, s16
; %bb.925:
	v_cmp_ne_u32_e32 vcc_lo, 0, v13
	v_cndmask_b32_e32 v13, 39, v13, vcc_lo
; %bb.926:
	s_andn2_saveexec_b32 s4, s4
	s_cbranch_execz .LBB126_932
; %bb.927:
	v_cmp_ngt_f64_e64 s16, |v[0:1]|, |v[2:3]|
	s_and_saveexec_b32 s17, s16
	s_xor_b32 s16, exec_lo, s17
	s_cbranch_execz .LBB126_929
; %bb.928:
	v_div_scale_f64 v[15:16], null, v[2:3], v[2:3], v[0:1]
	v_div_scale_f64 v[21:22], vcc_lo, v[0:1], v[2:3], v[0:1]
	v_rcp_f64_e32 v[17:18], v[15:16]
	v_fma_f64 v[19:20], -v[15:16], v[17:18], 1.0
	v_fma_f64 v[17:18], v[17:18], v[19:20], v[17:18]
	v_fma_f64 v[19:20], -v[15:16], v[17:18], 1.0
	v_fma_f64 v[17:18], v[17:18], v[19:20], v[17:18]
	v_mul_f64 v[19:20], v[21:22], v[17:18]
	v_fma_f64 v[15:16], -v[15:16], v[19:20], v[21:22]
	v_div_fmas_f64 v[15:16], v[15:16], v[17:18], v[19:20]
	v_div_fixup_f64 v[15:16], v[15:16], v[2:3], v[0:1]
	v_fma_f64 v[0:1], v[0:1], v[15:16], v[2:3]
	v_div_scale_f64 v[2:3], null, v[0:1], v[0:1], 1.0
	v_rcp_f64_e32 v[17:18], v[2:3]
	v_fma_f64 v[19:20], -v[2:3], v[17:18], 1.0
	v_fma_f64 v[17:18], v[17:18], v[19:20], v[17:18]
	v_fma_f64 v[19:20], -v[2:3], v[17:18], 1.0
	v_fma_f64 v[17:18], v[17:18], v[19:20], v[17:18]
	v_div_scale_f64 v[19:20], vcc_lo, 1.0, v[0:1], 1.0
	v_mul_f64 v[21:22], v[19:20], v[17:18]
	v_fma_f64 v[2:3], -v[2:3], v[21:22], v[19:20]
	v_div_fmas_f64 v[2:3], v[2:3], v[17:18], v[21:22]
	v_div_fixup_f64 v[2:3], v[2:3], v[0:1], 1.0
	v_mul_f64 v[0:1], v[15:16], v[2:3]
	v_xor_b32_e32 v3, 0x80000000, v3
.LBB126_929:
	s_andn2_saveexec_b32 s16, s16
	s_cbranch_execz .LBB126_931
; %bb.930:
	v_div_scale_f64 v[15:16], null, v[0:1], v[0:1], v[2:3]
	v_div_scale_f64 v[21:22], vcc_lo, v[2:3], v[0:1], v[2:3]
	v_rcp_f64_e32 v[17:18], v[15:16]
	v_fma_f64 v[19:20], -v[15:16], v[17:18], 1.0
	v_fma_f64 v[17:18], v[17:18], v[19:20], v[17:18]
	v_fma_f64 v[19:20], -v[15:16], v[17:18], 1.0
	v_fma_f64 v[17:18], v[17:18], v[19:20], v[17:18]
	v_mul_f64 v[19:20], v[21:22], v[17:18]
	v_fma_f64 v[15:16], -v[15:16], v[19:20], v[21:22]
	v_div_fmas_f64 v[15:16], v[15:16], v[17:18], v[19:20]
	v_div_fixup_f64 v[15:16], v[15:16], v[0:1], v[2:3]
	v_fma_f64 v[0:1], v[2:3], v[15:16], v[0:1]
	v_div_scale_f64 v[2:3], null, v[0:1], v[0:1], 1.0
	v_rcp_f64_e32 v[17:18], v[2:3]
	v_fma_f64 v[19:20], -v[2:3], v[17:18], 1.0
	v_fma_f64 v[17:18], v[17:18], v[19:20], v[17:18]
	v_fma_f64 v[19:20], -v[2:3], v[17:18], 1.0
	v_fma_f64 v[17:18], v[17:18], v[19:20], v[17:18]
	v_div_scale_f64 v[19:20], vcc_lo, 1.0, v[0:1], 1.0
	v_mul_f64 v[21:22], v[19:20], v[17:18]
	v_fma_f64 v[2:3], -v[2:3], v[21:22], v[19:20]
	v_div_fmas_f64 v[2:3], v[2:3], v[17:18], v[21:22]
	v_div_fixup_f64 v[0:1], v[2:3], v[0:1], 1.0
	v_mul_f64 v[2:3], v[15:16], -v[0:1]
.LBB126_931:
	s_or_b32 exec_lo, exec_lo, s16
.LBB126_932:
	s_or_b32 exec_lo, exec_lo, s4
	s_mov_b32 s4, exec_lo
	v_cmpx_ne_u32_e64 v5, v4
	s_xor_b32 s4, exec_lo, s4
	s_cbranch_execz .LBB126_938
; %bb.933:
	s_mov_b32 s16, exec_lo
	v_cmpx_eq_u32_e32 38, v5
	s_cbranch_execz .LBB126_937
; %bb.934:
	v_cmp_ne_u32_e32 vcc_lo, 38, v4
	s_xor_b32 s17, s20, -1
	s_and_b32 s56, s17, vcc_lo
	s_and_saveexec_b32 s17, s56
	s_cbranch_execz .LBB126_936
; %bb.935:
	v_ashrrev_i32_e32 v5, 31, v4
	v_lshlrev_b64 v[10:11], 2, v[4:5]
	v_add_co_u32 v10, vcc_lo, v8, v10
	v_add_co_ci_u32_e64 v11, null, v9, v11, vcc_lo
	s_clause 0x1
	global_load_dword v5, v[10:11], off
	global_load_dword v15, v[8:9], off offset:152
	s_waitcnt vmcnt(1)
	global_store_dword v[8:9], v5, off offset:152
	s_waitcnt vmcnt(0)
	global_store_dword v[10:11], v15, off
.LBB126_936:
	s_or_b32 exec_lo, exec_lo, s17
	v_mov_b32_e32 v5, v4
	v_mov_b32_e32 v11, v4
.LBB126_937:
	s_or_b32 exec_lo, exec_lo, s16
.LBB126_938:
	s_andn2_saveexec_b32 s4, s4
	s_cbranch_execz .LBB126_940
; %bb.939:
	v_mov_b32_e32 v4, s43
	v_mov_b32_e32 v10, s41
	;; [unrolled: 1-line block ×3, first 2 shown]
	s_clause 0x7
	buffer_load_dword v15, v4, s[0:3], 0 offen
	buffer_load_dword v16, v4, s[0:3], 0 offen offset:4
	buffer_load_dword v17, v4, s[0:3], 0 offen offset:8
	buffer_load_dword v18, v4, s[0:3], 0 offen offset:12
	buffer_load_dword v19, v5, s[0:3], 0 offen
	buffer_load_dword v20, v5, s[0:3], 0 offen offset:4
	buffer_load_dword v21, v5, s[0:3], 0 offen offset:8
	buffer_load_dword v22, v5, s[0:3], 0 offen offset:12
	v_mov_b32_e32 v4, s40
	v_mov_b32_e32 v5, s39
	s_clause 0x7
	buffer_load_dword v23, v10, s[0:3], 0 offen
	buffer_load_dword v24, v10, s[0:3], 0 offen offset:4
	buffer_load_dword v25, v10, s[0:3], 0 offen offset:8
	buffer_load_dword v26, v10, s[0:3], 0 offen offset:12
	buffer_load_dword v27, v4, s[0:3], 0 offen
	buffer_load_dword v28, v4, s[0:3], 0 offen offset:4
	buffer_load_dword v29, v4, s[0:3], 0 offen offset:8
	buffer_load_dword v30, v4, s[0:3], 0 offen offset:12
	v_mov_b32_e32 v10, s37
	v_mov_b32_e32 v4, s38
	;; [unrolled: 11-line block ×11, first 2 shown]
	s_clause 0xb
	buffer_load_dword v103, v10, s[0:3], 0 offen
	buffer_load_dword v104, v10, s[0:3], 0 offen offset:4
	buffer_load_dword v105, v10, s[0:3], 0 offen offset:8
	buffer_load_dword v106, v10, s[0:3], 0 offen offset:12
	buffer_load_dword v107, v4, s[0:3], 0 offen
	buffer_load_dword v108, v4, s[0:3], 0 offen offset:4
	buffer_load_dword v109, v4, s[0:3], 0 offen offset:8
	buffer_load_dword v110, v4, s[0:3], 0 offen offset:12
	;; [unrolled: 4-line block ×3, first 2 shown]
	v_mov_b32_e32 v5, 38
	s_waitcnt vmcnt(62)
	ds_write2_b64 v12, v[15:16], v[17:18] offset0:78 offset1:79
	ds_write2_b64 v12, v[19:20], v[21:22] offset0:80 offset1:81
	ds_write2_b64 v12, v[23:24], v[25:26] offset0:82 offset1:83
	ds_write2_b64 v12, v[27:28], v[29:30] offset0:84 offset1:85
	ds_write2_b64 v12, v[31:32], v[33:34] offset0:86 offset1:87
	ds_write2_b64 v12, v[35:36], v[37:38] offset0:88 offset1:89
	ds_write2_b64 v12, v[39:40], v[41:42] offset0:90 offset1:91
	ds_write2_b64 v12, v[43:44], v[45:46] offset0:92 offset1:93
	ds_write2_b64 v12, v[47:48], v[49:50] offset0:94 offset1:95
	s_waitcnt vmcnt(60)
	ds_write2_b64 v12, v[51:52], v[53:54] offset0:96 offset1:97
	s_waitcnt vmcnt(56)
	ds_write2_b64 v12, v[55:56], v[57:58] offset0:98 offset1:99
	;; [unrolled: 2-line block ×16, first 2 shown]
.LBB126_940:
	s_or_b32 exec_lo, exec_lo, s4
	s_mov_b32 s4, exec_lo
	s_waitcnt lgkmcnt(0)
	s_waitcnt_vscnt null, 0x0
	s_barrier
	buffer_gl0_inv
	v_cmpx_lt_i32_e32 38, v5
	s_cbranch_execz .LBB126_943
; %bb.941:
	s_clause 0x3
	buffer_load_dword v15, off, s[0:3], 0 offset:616
	buffer_load_dword v16, off, s[0:3], 0 offset:620
	;; [unrolled: 1-line block ×4, first 2 shown]
	v_add3_u32 v4, v14, 0, 0x270
	s_mov_b32 s83, 0
	s_waitcnt vmcnt(2)
	v_mul_f64 v[19:20], v[2:3], v[15:16]
	v_mul_f64 v[15:16], v[0:1], v[15:16]
	s_waitcnt vmcnt(0)
	v_fma_f64 v[0:1], v[0:1], v[17:18], -v[19:20]
	v_fma_f64 v[2:3], v[2:3], v[17:18], v[15:16]
	buffer_store_dword v0, off, s[0:3], 0 offset:608
	buffer_store_dword v1, off, s[0:3], 0 offset:612
	;; [unrolled: 1-line block ×4, first 2 shown]
.LBB126_942:                            ; =>This Inner Loop Header: Depth=1
	v_mov_b32_e32 v10, s83
	v_add_nc_u32_e32 v31, s83, v4
	s_addk_i32 s83, 0x50
	s_clause 0x13
	buffer_load_dword v35, v10, s[0:3], 0 offen offset:624
	buffer_load_dword v36, v10, s[0:3], 0 offen offset:628
	;; [unrolled: 1-line block ×20, first 2 shown]
	ds_read2_b64 v[15:18], v31 offset1:1
	ds_read2_b64 v[19:22], v31 offset0:2 offset1:3
	ds_read2_b64 v[23:26], v31 offset0:4 offset1:5
	;; [unrolled: 1-line block ×4, first 2 shown]
	s_cmpk_lg_i32 s83, 0x190
	s_waitcnt lgkmcnt(4)
	v_mul_f64 v[55:56], v[17:18], v[2:3]
	v_mul_f64 v[57:58], v[15:16], v[2:3]
	s_waitcnt lgkmcnt(3)
	v_mul_f64 v[59:60], v[21:22], v[2:3]
	v_mul_f64 v[61:62], v[19:20], v[2:3]
	;; [unrolled: 3-line block ×5, first 2 shown]
	v_fma_f64 v[15:16], v[15:16], v[0:1], -v[55:56]
	v_fma_f64 v[17:18], v[17:18], v[0:1], v[57:58]
	v_fma_f64 v[19:20], v[19:20], v[0:1], -v[59:60]
	v_fma_f64 v[21:22], v[21:22], v[0:1], v[61:62]
	;; [unrolled: 2-line block ×5, first 2 shown]
	s_waitcnt vmcnt(18)
	v_add_f64 v[15:16], v[35:36], -v[15:16]
	s_waitcnt vmcnt(16)
	v_add_f64 v[17:18], v[37:38], -v[17:18]
	;; [unrolled: 2-line block ×10, first 2 shown]
	buffer_store_dword v15, v10, s[0:3], 0 offen offset:624
	buffer_store_dword v16, v10, s[0:3], 0 offen offset:628
	;; [unrolled: 1-line block ×20, first 2 shown]
	s_cbranch_scc1 .LBB126_942
.LBB126_943:
	s_or_b32 exec_lo, exec_lo, s4
	v_mov_b32_e32 v3, s43
	s_waitcnt_vscnt null, 0x0
	s_barrier
	buffer_gl0_inv
	v_lshl_add_u32 v4, v5, 4, v12
	s_clause 0x3
	buffer_load_dword v0, v3, s[0:3], 0 offen
	buffer_load_dword v1, v3, s[0:3], 0 offen offset:4
	buffer_load_dword v2, v3, s[0:3], 0 offen offset:8
	;; [unrolled: 1-line block ×3, first 2 shown]
	s_cmp_lt_i32 s57, 41
	s_waitcnt vmcnt(0)
	ds_write2_b64 v4, v[0:1], v[2:3] offset1:1
	s_waitcnt lgkmcnt(0)
	s_barrier
	buffer_gl0_inv
	ds_read2_b64 v[0:3], v12 offset0:78 offset1:79
	v_mov_b32_e32 v4, 39
	s_cbranch_scc1 .LBB126_946
; %bb.944:
	v_add3_u32 v10, v14, 0, 0x280
	v_mov_b32_e32 v4, 39
	s_mov_b32 s16, 40
	s_inst_prefetch 0x1
	.p2align	6
.LBB126_945:                            ; =>This Inner Loop Header: Depth=1
	s_waitcnt lgkmcnt(0)
	v_cmp_gt_f64_e32 vcc_lo, 0, v[2:3]
	v_cmp_gt_f64_e64 s4, 0, v[0:1]
	ds_read2_b64 v[15:18], v10 offset1:1
	v_xor_b32_e32 v20, 0x80000000, v1
	v_xor_b32_e32 v22, 0x80000000, v3
	v_mov_b32_e32 v19, v0
	v_mov_b32_e32 v21, v2
	v_add_nc_u32_e32 v10, 16, v10
	s_waitcnt lgkmcnt(0)
	v_xor_b32_e32 v24, 0x80000000, v18
	v_cndmask_b32_e64 v20, v1, v20, s4
	v_cndmask_b32_e32 v22, v3, v22, vcc_lo
	v_cmp_gt_f64_e32 vcc_lo, 0, v[17:18]
	v_cmp_gt_f64_e64 s4, 0, v[15:16]
	v_mov_b32_e32 v23, v17
	v_add_f64 v[19:20], v[19:20], v[21:22]
	v_xor_b32_e32 v22, 0x80000000, v16
	v_mov_b32_e32 v21, v15
	v_cndmask_b32_e32 v24, v18, v24, vcc_lo
	v_cndmask_b32_e64 v22, v16, v22, s4
	v_add_f64 v[21:22], v[21:22], v[23:24]
	v_cmp_lt_f64_e32 vcc_lo, v[19:20], v[21:22]
	v_cndmask_b32_e32 v1, v1, v16, vcc_lo
	v_cndmask_b32_e32 v0, v0, v15, vcc_lo
	v_cndmask_b32_e32 v3, v3, v18, vcc_lo
	v_cndmask_b32_e32 v2, v2, v17, vcc_lo
	v_cndmask_b32_e64 v4, v4, s16, vcc_lo
	s_add_i32 s16, s16, 1
	s_cmp_lg_u32 s57, s16
	s_cbranch_scc1 .LBB126_945
.LBB126_946:
	s_inst_prefetch 0x2
	s_waitcnt lgkmcnt(0)
	v_cmp_eq_f64_e32 vcc_lo, 0, v[0:1]
	v_cmp_eq_f64_e64 s4, 0, v[2:3]
	s_and_b32 s4, vcc_lo, s4
	s_and_saveexec_b32 s16, s4
	s_xor_b32 s4, exec_lo, s16
; %bb.947:
	v_cmp_ne_u32_e32 vcc_lo, 0, v13
	v_cndmask_b32_e32 v13, 40, v13, vcc_lo
; %bb.948:
	s_andn2_saveexec_b32 s4, s4
	s_cbranch_execz .LBB126_954
; %bb.949:
	v_cmp_ngt_f64_e64 s16, |v[0:1]|, |v[2:3]|
	s_and_saveexec_b32 s17, s16
	s_xor_b32 s16, exec_lo, s17
	s_cbranch_execz .LBB126_951
; %bb.950:
	v_div_scale_f64 v[15:16], null, v[2:3], v[2:3], v[0:1]
	v_div_scale_f64 v[21:22], vcc_lo, v[0:1], v[2:3], v[0:1]
	v_rcp_f64_e32 v[17:18], v[15:16]
	v_fma_f64 v[19:20], -v[15:16], v[17:18], 1.0
	v_fma_f64 v[17:18], v[17:18], v[19:20], v[17:18]
	v_fma_f64 v[19:20], -v[15:16], v[17:18], 1.0
	v_fma_f64 v[17:18], v[17:18], v[19:20], v[17:18]
	v_mul_f64 v[19:20], v[21:22], v[17:18]
	v_fma_f64 v[15:16], -v[15:16], v[19:20], v[21:22]
	v_div_fmas_f64 v[15:16], v[15:16], v[17:18], v[19:20]
	v_div_fixup_f64 v[15:16], v[15:16], v[2:3], v[0:1]
	v_fma_f64 v[0:1], v[0:1], v[15:16], v[2:3]
	v_div_scale_f64 v[2:3], null, v[0:1], v[0:1], 1.0
	v_rcp_f64_e32 v[17:18], v[2:3]
	v_fma_f64 v[19:20], -v[2:3], v[17:18], 1.0
	v_fma_f64 v[17:18], v[17:18], v[19:20], v[17:18]
	v_fma_f64 v[19:20], -v[2:3], v[17:18], 1.0
	v_fma_f64 v[17:18], v[17:18], v[19:20], v[17:18]
	v_div_scale_f64 v[19:20], vcc_lo, 1.0, v[0:1], 1.0
	v_mul_f64 v[21:22], v[19:20], v[17:18]
	v_fma_f64 v[2:3], -v[2:3], v[21:22], v[19:20]
	v_div_fmas_f64 v[2:3], v[2:3], v[17:18], v[21:22]
	v_div_fixup_f64 v[2:3], v[2:3], v[0:1], 1.0
	v_mul_f64 v[0:1], v[15:16], v[2:3]
	v_xor_b32_e32 v3, 0x80000000, v3
.LBB126_951:
	s_andn2_saveexec_b32 s16, s16
	s_cbranch_execz .LBB126_953
; %bb.952:
	v_div_scale_f64 v[15:16], null, v[0:1], v[0:1], v[2:3]
	v_div_scale_f64 v[21:22], vcc_lo, v[2:3], v[0:1], v[2:3]
	v_rcp_f64_e32 v[17:18], v[15:16]
	v_fma_f64 v[19:20], -v[15:16], v[17:18], 1.0
	v_fma_f64 v[17:18], v[17:18], v[19:20], v[17:18]
	v_fma_f64 v[19:20], -v[15:16], v[17:18], 1.0
	v_fma_f64 v[17:18], v[17:18], v[19:20], v[17:18]
	v_mul_f64 v[19:20], v[21:22], v[17:18]
	v_fma_f64 v[15:16], -v[15:16], v[19:20], v[21:22]
	v_div_fmas_f64 v[15:16], v[15:16], v[17:18], v[19:20]
	v_div_fixup_f64 v[15:16], v[15:16], v[0:1], v[2:3]
	v_fma_f64 v[0:1], v[2:3], v[15:16], v[0:1]
	v_div_scale_f64 v[2:3], null, v[0:1], v[0:1], 1.0
	v_rcp_f64_e32 v[17:18], v[2:3]
	v_fma_f64 v[19:20], -v[2:3], v[17:18], 1.0
	v_fma_f64 v[17:18], v[17:18], v[19:20], v[17:18]
	v_fma_f64 v[19:20], -v[2:3], v[17:18], 1.0
	v_fma_f64 v[17:18], v[17:18], v[19:20], v[17:18]
	v_div_scale_f64 v[19:20], vcc_lo, 1.0, v[0:1], 1.0
	v_mul_f64 v[21:22], v[19:20], v[17:18]
	v_fma_f64 v[2:3], -v[2:3], v[21:22], v[19:20]
	v_div_fmas_f64 v[2:3], v[2:3], v[17:18], v[21:22]
	v_div_fixup_f64 v[0:1], v[2:3], v[0:1], 1.0
	v_mul_f64 v[2:3], v[15:16], -v[0:1]
.LBB126_953:
	s_or_b32 exec_lo, exec_lo, s16
.LBB126_954:
	s_or_b32 exec_lo, exec_lo, s4
	s_mov_b32 s4, exec_lo
	v_cmpx_ne_u32_e64 v5, v4
	s_xor_b32 s4, exec_lo, s4
	s_cbranch_execz .LBB126_960
; %bb.955:
	s_mov_b32 s16, exec_lo
	v_cmpx_eq_u32_e32 39, v5
	s_cbranch_execz .LBB126_959
; %bb.956:
	v_cmp_ne_u32_e32 vcc_lo, 39, v4
	s_xor_b32 s17, s20, -1
	s_and_b32 s56, s17, vcc_lo
	s_and_saveexec_b32 s17, s56
	s_cbranch_execz .LBB126_958
; %bb.957:
	v_ashrrev_i32_e32 v5, 31, v4
	v_lshlrev_b64 v[10:11], 2, v[4:5]
	v_add_co_u32 v10, vcc_lo, v8, v10
	v_add_co_ci_u32_e64 v11, null, v9, v11, vcc_lo
	s_clause 0x1
	global_load_dword v5, v[10:11], off
	global_load_dword v15, v[8:9], off offset:156
	s_waitcnt vmcnt(1)
	global_store_dword v[8:9], v5, off offset:156
	s_waitcnt vmcnt(0)
	global_store_dword v[10:11], v15, off
.LBB126_958:
	s_or_b32 exec_lo, exec_lo, s17
	v_mov_b32_e32 v5, v4
	v_mov_b32_e32 v11, v4
.LBB126_959:
	s_or_b32 exec_lo, exec_lo, s16
.LBB126_960:
	s_andn2_saveexec_b32 s4, s4
	s_cbranch_execz .LBB126_962
; %bb.961:
	v_mov_b32_e32 v4, s42
	v_mov_b32_e32 v10, s40
	;; [unrolled: 1-line block ×3, first 2 shown]
	s_clause 0x7
	buffer_load_dword v15, v4, s[0:3], 0 offen
	buffer_load_dword v16, v4, s[0:3], 0 offen offset:4
	buffer_load_dword v17, v4, s[0:3], 0 offen offset:8
	buffer_load_dword v18, v4, s[0:3], 0 offen offset:12
	buffer_load_dword v19, v5, s[0:3], 0 offen
	buffer_load_dword v20, v5, s[0:3], 0 offen offset:4
	buffer_load_dword v21, v5, s[0:3], 0 offen offset:8
	buffer_load_dword v22, v5, s[0:3], 0 offen offset:12
	v_mov_b32_e32 v4, s39
	v_mov_b32_e32 v5, s38
	s_clause 0x7
	buffer_load_dword v23, v10, s[0:3], 0 offen
	buffer_load_dword v24, v10, s[0:3], 0 offen offset:4
	buffer_load_dword v25, v10, s[0:3], 0 offen offset:8
	buffer_load_dword v26, v10, s[0:3], 0 offen offset:12
	buffer_load_dword v27, v4, s[0:3], 0 offen
	buffer_load_dword v28, v4, s[0:3], 0 offen offset:4
	buffer_load_dword v29, v4, s[0:3], 0 offen offset:8
	buffer_load_dword v30, v4, s[0:3], 0 offen offset:12
	v_mov_b32_e32 v10, s36
	v_mov_b32_e32 v4, s37
	;; [unrolled: 11-line block ×10, first 2 shown]
	s_clause 0x7
	buffer_load_dword v95, v5, s[0:3], 0 offen
	buffer_load_dword v96, v5, s[0:3], 0 offen offset:4
	buffer_load_dword v97, v5, s[0:3], 0 offen offset:8
	buffer_load_dword v98, v5, s[0:3], 0 offen offset:12
	buffer_load_dword v99, v4, s[0:3], 0 offen
	buffer_load_dword v100, v4, s[0:3], 0 offen offset:4
	buffer_load_dword v101, v4, s[0:3], 0 offen offset:8
	;; [unrolled: 1-line block ×3, first 2 shown]
	v_mov_b32_e32 v4, s5
	s_clause 0x7
	buffer_load_dword v103, v10, s[0:3], 0 offen
	buffer_load_dword v104, v10, s[0:3], 0 offen offset:4
	buffer_load_dword v105, v10, s[0:3], 0 offen offset:8
	;; [unrolled: 1-line block ×3, first 2 shown]
	buffer_load_dword v107, v4, s[0:3], 0 offen
	buffer_load_dword v108, v4, s[0:3], 0 offen offset:4
	buffer_load_dword v109, v4, s[0:3], 0 offen offset:8
	;; [unrolled: 1-line block ×3, first 2 shown]
	v_mov_b32_e32 v5, 39
	s_waitcnt vmcnt(62)
	ds_write2_b64 v12, v[15:16], v[17:18] offset0:80 offset1:81
	ds_write2_b64 v12, v[19:20], v[21:22] offset0:82 offset1:83
	;; [unrolled: 1-line block ×8, first 2 shown]
	s_waitcnt vmcnt(60)
	ds_write2_b64 v12, v[47:48], v[49:50] offset0:96 offset1:97
	s_waitcnt vmcnt(56)
	ds_write2_b64 v12, v[51:52], v[53:54] offset0:98 offset1:99
	s_waitcnt vmcnt(52)
	ds_write2_b64 v12, v[55:56], v[57:58] offset0:100 offset1:101
	s_waitcnt vmcnt(48)
	ds_write2_b64 v12, v[59:60], v[61:62] offset0:102 offset1:103
	s_waitcnt vmcnt(44)
	ds_write2_b64 v12, v[63:64], v[65:66] offset0:104 offset1:105
	s_waitcnt vmcnt(40)
	ds_write2_b64 v12, v[67:68], v[69:70] offset0:106 offset1:107
	s_waitcnt vmcnt(36)
	ds_write2_b64 v12, v[71:72], v[73:74] offset0:108 offset1:109
	s_waitcnt vmcnt(32)
	ds_write2_b64 v12, v[75:76], v[77:78] offset0:110 offset1:111
	s_waitcnt vmcnt(28)
	ds_write2_b64 v12, v[79:80], v[81:82] offset0:112 offset1:113
	s_waitcnt vmcnt(24)
	ds_write2_b64 v12, v[83:84], v[85:86] offset0:114 offset1:115
	s_waitcnt vmcnt(20)
	ds_write2_b64 v12, v[87:88], v[89:90] offset0:116 offset1:117
	s_waitcnt vmcnt(16)
	ds_write2_b64 v12, v[91:92], v[93:94] offset0:118 offset1:119
	s_waitcnt vmcnt(12)
	ds_write2_b64 v12, v[95:96], v[97:98] offset0:120 offset1:121
	s_waitcnt vmcnt(8)
	ds_write2_b64 v12, v[99:100], v[101:102] offset0:122 offset1:123
	s_waitcnt vmcnt(4)
	ds_write2_b64 v12, v[103:104], v[105:106] offset0:124 offset1:125
	s_waitcnt vmcnt(0)
	ds_write2_b64 v12, v[107:108], v[109:110] offset0:126 offset1:127
.LBB126_962:
	s_or_b32 exec_lo, exec_lo, s4
	s_mov_b32 s4, exec_lo
	s_waitcnt lgkmcnt(0)
	s_waitcnt_vscnt null, 0x0
	s_barrier
	buffer_gl0_inv
	v_cmpx_lt_i32_e32 39, v5
	s_cbranch_execz .LBB126_965
; %bb.963:
	s_clause 0x3
	buffer_load_dword v15, off, s[0:3], 0 offset:632
	buffer_load_dword v16, off, s[0:3], 0 offset:636
	;; [unrolled: 1-line block ×4, first 2 shown]
	v_add3_u32 v4, v14, 0, 0x280
	s_mov_b32 s83, 0
	s_waitcnt vmcnt(2)
	v_mul_f64 v[19:20], v[2:3], v[15:16]
	v_mul_f64 v[15:16], v[0:1], v[15:16]
	s_waitcnt vmcnt(0)
	v_fma_f64 v[0:1], v[0:1], v[17:18], -v[19:20]
	v_fma_f64 v[2:3], v[2:3], v[17:18], v[15:16]
	buffer_store_dword v0, off, s[0:3], 0 offset:624
	buffer_store_dword v1, off, s[0:3], 0 offset:628
	;; [unrolled: 1-line block ×4, first 2 shown]
.LBB126_964:                            ; =>This Inner Loop Header: Depth=1
	v_mov_b32_e32 v10, s83
	v_add_nc_u32_e32 v35, s83, v4
	s_addk_i32 s83, 0x60
	s_clause 0x17
	buffer_load_dword v39, v10, s[0:3], 0 offen offset:640
	buffer_load_dword v40, v10, s[0:3], 0 offen offset:644
	;; [unrolled: 1-line block ×24, first 2 shown]
	ds_read2_b64 v[15:18], v35 offset1:1
	ds_read2_b64 v[19:22], v35 offset0:2 offset1:3
	ds_read2_b64 v[23:26], v35 offset0:4 offset1:5
	;; [unrolled: 1-line block ×5, first 2 shown]
	s_cmpk_lg_i32 s83, 0x180
	s_waitcnt lgkmcnt(5)
	v_mul_f64 v[63:64], v[17:18], v[2:3]
	v_mul_f64 v[65:66], v[15:16], v[2:3]
	s_waitcnt lgkmcnt(4)
	v_mul_f64 v[67:68], v[21:22], v[2:3]
	v_mul_f64 v[69:70], v[19:20], v[2:3]
	;; [unrolled: 3-line block ×6, first 2 shown]
	v_fma_f64 v[15:16], v[15:16], v[0:1], -v[63:64]
	v_fma_f64 v[17:18], v[17:18], v[0:1], v[65:66]
	v_fma_f64 v[19:20], v[19:20], v[0:1], -v[67:68]
	v_fma_f64 v[21:22], v[21:22], v[0:1], v[69:70]
	;; [unrolled: 2-line block ×6, first 2 shown]
	s_waitcnt vmcnt(22)
	v_add_f64 v[15:16], v[39:40], -v[15:16]
	s_waitcnt vmcnt(20)
	v_add_f64 v[17:18], v[41:42], -v[17:18]
	;; [unrolled: 2-line block ×12, first 2 shown]
	buffer_store_dword v15, v10, s[0:3], 0 offen offset:640
	buffer_store_dword v16, v10, s[0:3], 0 offen offset:644
	;; [unrolled: 1-line block ×24, first 2 shown]
	s_cbranch_scc1 .LBB126_964
.LBB126_965:
	s_or_b32 exec_lo, exec_lo, s4
	v_mov_b32_e32 v3, s42
	s_waitcnt_vscnt null, 0x0
	s_barrier
	buffer_gl0_inv
	v_lshl_add_u32 v4, v5, 4, v12
	s_clause 0x3
	buffer_load_dword v0, v3, s[0:3], 0 offen
	buffer_load_dword v1, v3, s[0:3], 0 offen offset:4
	buffer_load_dword v2, v3, s[0:3], 0 offen offset:8
	;; [unrolled: 1-line block ×3, first 2 shown]
	s_cmp_lt_i32 s57, 42
	s_waitcnt vmcnt(0)
	ds_write2_b64 v4, v[0:1], v[2:3] offset1:1
	s_waitcnt lgkmcnt(0)
	s_barrier
	buffer_gl0_inv
	ds_read2_b64 v[0:3], v12 offset0:80 offset1:81
	v_mov_b32_e32 v4, 40
	s_cbranch_scc1 .LBB126_968
; %bb.966:
	v_add3_u32 v10, v14, 0, 0x290
	v_mov_b32_e32 v4, 40
	s_mov_b32 s16, 41
	s_inst_prefetch 0x1
	.p2align	6
.LBB126_967:                            ; =>This Inner Loop Header: Depth=1
	s_waitcnt lgkmcnt(0)
	v_cmp_gt_f64_e32 vcc_lo, 0, v[2:3]
	v_cmp_gt_f64_e64 s4, 0, v[0:1]
	ds_read2_b64 v[15:18], v10 offset1:1
	v_xor_b32_e32 v20, 0x80000000, v1
	v_xor_b32_e32 v22, 0x80000000, v3
	v_mov_b32_e32 v19, v0
	v_mov_b32_e32 v21, v2
	v_add_nc_u32_e32 v10, 16, v10
	s_waitcnt lgkmcnt(0)
	v_xor_b32_e32 v24, 0x80000000, v18
	v_cndmask_b32_e64 v20, v1, v20, s4
	v_cndmask_b32_e32 v22, v3, v22, vcc_lo
	v_cmp_gt_f64_e32 vcc_lo, 0, v[17:18]
	v_cmp_gt_f64_e64 s4, 0, v[15:16]
	v_mov_b32_e32 v23, v17
	v_add_f64 v[19:20], v[19:20], v[21:22]
	v_xor_b32_e32 v22, 0x80000000, v16
	v_mov_b32_e32 v21, v15
	v_cndmask_b32_e32 v24, v18, v24, vcc_lo
	v_cndmask_b32_e64 v22, v16, v22, s4
	v_add_f64 v[21:22], v[21:22], v[23:24]
	v_cmp_lt_f64_e32 vcc_lo, v[19:20], v[21:22]
	v_cndmask_b32_e32 v1, v1, v16, vcc_lo
	v_cndmask_b32_e32 v0, v0, v15, vcc_lo
	;; [unrolled: 1-line block ×4, first 2 shown]
	v_cndmask_b32_e64 v4, v4, s16, vcc_lo
	s_add_i32 s16, s16, 1
	s_cmp_lg_u32 s57, s16
	s_cbranch_scc1 .LBB126_967
.LBB126_968:
	s_inst_prefetch 0x2
	s_waitcnt lgkmcnt(0)
	v_cmp_eq_f64_e32 vcc_lo, 0, v[0:1]
	v_cmp_eq_f64_e64 s4, 0, v[2:3]
	s_and_b32 s4, vcc_lo, s4
	s_and_saveexec_b32 s16, s4
	s_xor_b32 s4, exec_lo, s16
; %bb.969:
	v_cmp_ne_u32_e32 vcc_lo, 0, v13
	v_cndmask_b32_e32 v13, 41, v13, vcc_lo
; %bb.970:
	s_andn2_saveexec_b32 s4, s4
	s_cbranch_execz .LBB126_976
; %bb.971:
	v_cmp_ngt_f64_e64 s16, |v[0:1]|, |v[2:3]|
	s_and_saveexec_b32 s17, s16
	s_xor_b32 s16, exec_lo, s17
	s_cbranch_execz .LBB126_973
; %bb.972:
	v_div_scale_f64 v[15:16], null, v[2:3], v[2:3], v[0:1]
	v_div_scale_f64 v[21:22], vcc_lo, v[0:1], v[2:3], v[0:1]
	v_rcp_f64_e32 v[17:18], v[15:16]
	v_fma_f64 v[19:20], -v[15:16], v[17:18], 1.0
	v_fma_f64 v[17:18], v[17:18], v[19:20], v[17:18]
	v_fma_f64 v[19:20], -v[15:16], v[17:18], 1.0
	v_fma_f64 v[17:18], v[17:18], v[19:20], v[17:18]
	v_mul_f64 v[19:20], v[21:22], v[17:18]
	v_fma_f64 v[15:16], -v[15:16], v[19:20], v[21:22]
	v_div_fmas_f64 v[15:16], v[15:16], v[17:18], v[19:20]
	v_div_fixup_f64 v[15:16], v[15:16], v[2:3], v[0:1]
	v_fma_f64 v[0:1], v[0:1], v[15:16], v[2:3]
	v_div_scale_f64 v[2:3], null, v[0:1], v[0:1], 1.0
	v_rcp_f64_e32 v[17:18], v[2:3]
	v_fma_f64 v[19:20], -v[2:3], v[17:18], 1.0
	v_fma_f64 v[17:18], v[17:18], v[19:20], v[17:18]
	v_fma_f64 v[19:20], -v[2:3], v[17:18], 1.0
	v_fma_f64 v[17:18], v[17:18], v[19:20], v[17:18]
	v_div_scale_f64 v[19:20], vcc_lo, 1.0, v[0:1], 1.0
	v_mul_f64 v[21:22], v[19:20], v[17:18]
	v_fma_f64 v[2:3], -v[2:3], v[21:22], v[19:20]
	v_div_fmas_f64 v[2:3], v[2:3], v[17:18], v[21:22]
	v_div_fixup_f64 v[2:3], v[2:3], v[0:1], 1.0
	v_mul_f64 v[0:1], v[15:16], v[2:3]
	v_xor_b32_e32 v3, 0x80000000, v3
.LBB126_973:
	s_andn2_saveexec_b32 s16, s16
	s_cbranch_execz .LBB126_975
; %bb.974:
	v_div_scale_f64 v[15:16], null, v[0:1], v[0:1], v[2:3]
	v_div_scale_f64 v[21:22], vcc_lo, v[2:3], v[0:1], v[2:3]
	v_rcp_f64_e32 v[17:18], v[15:16]
	v_fma_f64 v[19:20], -v[15:16], v[17:18], 1.0
	v_fma_f64 v[17:18], v[17:18], v[19:20], v[17:18]
	v_fma_f64 v[19:20], -v[15:16], v[17:18], 1.0
	v_fma_f64 v[17:18], v[17:18], v[19:20], v[17:18]
	v_mul_f64 v[19:20], v[21:22], v[17:18]
	v_fma_f64 v[15:16], -v[15:16], v[19:20], v[21:22]
	v_div_fmas_f64 v[15:16], v[15:16], v[17:18], v[19:20]
	v_div_fixup_f64 v[15:16], v[15:16], v[0:1], v[2:3]
	v_fma_f64 v[0:1], v[2:3], v[15:16], v[0:1]
	v_div_scale_f64 v[2:3], null, v[0:1], v[0:1], 1.0
	v_rcp_f64_e32 v[17:18], v[2:3]
	v_fma_f64 v[19:20], -v[2:3], v[17:18], 1.0
	v_fma_f64 v[17:18], v[17:18], v[19:20], v[17:18]
	v_fma_f64 v[19:20], -v[2:3], v[17:18], 1.0
	v_fma_f64 v[17:18], v[17:18], v[19:20], v[17:18]
	v_div_scale_f64 v[19:20], vcc_lo, 1.0, v[0:1], 1.0
	v_mul_f64 v[21:22], v[19:20], v[17:18]
	v_fma_f64 v[2:3], -v[2:3], v[21:22], v[19:20]
	v_div_fmas_f64 v[2:3], v[2:3], v[17:18], v[21:22]
	v_div_fixup_f64 v[0:1], v[2:3], v[0:1], 1.0
	v_mul_f64 v[2:3], v[15:16], -v[0:1]
.LBB126_975:
	s_or_b32 exec_lo, exec_lo, s16
.LBB126_976:
	s_or_b32 exec_lo, exec_lo, s4
	s_mov_b32 s4, exec_lo
	v_cmpx_ne_u32_e64 v5, v4
	s_xor_b32 s4, exec_lo, s4
	s_cbranch_execz .LBB126_982
; %bb.977:
	s_mov_b32 s16, exec_lo
	v_cmpx_eq_u32_e32 40, v5
	s_cbranch_execz .LBB126_981
; %bb.978:
	v_cmp_ne_u32_e32 vcc_lo, 40, v4
	s_xor_b32 s17, s20, -1
	s_and_b32 s56, s17, vcc_lo
	s_and_saveexec_b32 s17, s56
	s_cbranch_execz .LBB126_980
; %bb.979:
	v_ashrrev_i32_e32 v5, 31, v4
	v_lshlrev_b64 v[10:11], 2, v[4:5]
	v_add_co_u32 v10, vcc_lo, v8, v10
	v_add_co_ci_u32_e64 v11, null, v9, v11, vcc_lo
	s_clause 0x1
	global_load_dword v5, v[10:11], off
	global_load_dword v15, v[8:9], off offset:160
	s_waitcnt vmcnt(1)
	global_store_dword v[8:9], v5, off offset:160
	s_waitcnt vmcnt(0)
	global_store_dword v[10:11], v15, off
.LBB126_980:
	s_or_b32 exec_lo, exec_lo, s17
	v_mov_b32_e32 v5, v4
	v_mov_b32_e32 v11, v4
.LBB126_981:
	s_or_b32 exec_lo, exec_lo, s16
.LBB126_982:
	s_andn2_saveexec_b32 s4, s4
	s_cbranch_execz .LBB126_984
; %bb.983:
	v_mov_b32_e32 v4, s41
	v_mov_b32_e32 v5, s40
	;; [unrolled: 1-line block ×3, first 2 shown]
	s_clause 0x7
	buffer_load_dword v15, v4, s[0:3], 0 offen
	buffer_load_dword v16, v4, s[0:3], 0 offen offset:4
	buffer_load_dword v17, v4, s[0:3], 0 offen offset:8
	buffer_load_dword v18, v4, s[0:3], 0 offen offset:12
	buffer_load_dword v19, v5, s[0:3], 0 offen
	buffer_load_dword v20, v5, s[0:3], 0 offen offset:4
	buffer_load_dword v21, v5, s[0:3], 0 offen offset:8
	buffer_load_dword v22, v5, s[0:3], 0 offen offset:12
	v_mov_b32_e32 v5, s37
	v_mov_b32_e32 v4, s38
	s_clause 0x7
	buffer_load_dword v23, v10, s[0:3], 0 offen
	buffer_load_dword v24, v10, s[0:3], 0 offen offset:4
	buffer_load_dword v25, v10, s[0:3], 0 offen offset:8
	buffer_load_dword v26, v10, s[0:3], 0 offen offset:12
	buffer_load_dword v27, v4, s[0:3], 0 offen
	buffer_load_dword v28, v4, s[0:3], 0 offen offset:4
	buffer_load_dword v29, v4, s[0:3], 0 offen offset:8
	buffer_load_dword v30, v4, s[0:3], 0 offen offset:12
	v_mov_b32_e32 v4, s36
	v_mov_b32_e32 v10, s35
	;; [unrolled: 11-line block ×10, first 2 shown]
	s_clause 0xb
	buffer_load_dword v95, v5, s[0:3], 0 offen
	buffer_load_dword v96, v5, s[0:3], 0 offen offset:4
	buffer_load_dword v97, v5, s[0:3], 0 offen offset:8
	buffer_load_dword v98, v5, s[0:3], 0 offen offset:12
	buffer_load_dword v99, v4, s[0:3], 0 offen
	buffer_load_dword v100, v4, s[0:3], 0 offen offset:4
	buffer_load_dword v101, v4, s[0:3], 0 offen offset:8
	buffer_load_dword v102, v4, s[0:3], 0 offen offset:12
	buffer_load_dword v103, v10, s[0:3], 0 offen
	buffer_load_dword v104, v10, s[0:3], 0 offen offset:4
	buffer_load_dword v105, v10, s[0:3], 0 offen offset:8
	buffer_load_dword v106, v10, s[0:3], 0 offen offset:12
	v_mov_b32_e32 v5, 40
	s_waitcnt vmcnt(62)
	ds_write2_b64 v12, v[15:16], v[17:18] offset0:82 offset1:83
	ds_write2_b64 v12, v[19:20], v[21:22] offset0:84 offset1:85
	;; [unrolled: 1-line block ×7, first 2 shown]
	s_waitcnt vmcnt(60)
	ds_write2_b64 v12, v[43:44], v[45:46] offset0:96 offset1:97
	s_waitcnt vmcnt(56)
	ds_write2_b64 v12, v[47:48], v[49:50] offset0:98 offset1:99
	;; [unrolled: 2-line block ×16, first 2 shown]
.LBB126_984:
	s_or_b32 exec_lo, exec_lo, s4
	s_mov_b32 s4, exec_lo
	s_waitcnt lgkmcnt(0)
	s_waitcnt_vscnt null, 0x0
	s_barrier
	buffer_gl0_inv
	v_cmpx_lt_i32_e32 40, v5
	s_cbranch_execz .LBB126_989
; %bb.985:
	s_clause 0x3
	buffer_load_dword v15, off, s[0:3], 0 offset:648
	buffer_load_dword v16, off, s[0:3], 0 offset:652
	;; [unrolled: 1-line block ×4, first 2 shown]
	v_add3_u32 v4, v14, 0, 0x290
	s_mov_b32 s16, 0
	s_waitcnt vmcnt(2)
	v_mul_f64 v[19:20], v[2:3], v[15:16]
	v_mul_f64 v[15:16], v[0:1], v[15:16]
	s_waitcnt vmcnt(0)
	v_fma_f64 v[0:1], v[0:1], v[17:18], -v[19:20]
	v_fma_f64 v[2:3], v[2:3], v[17:18], v[15:16]
	buffer_store_dword v0, off, s[0:3], 0 offset:640
	buffer_store_dword v1, off, s[0:3], 0 offset:644
	;; [unrolled: 1-line block ×4, first 2 shown]
	s_branch .LBB126_987
.LBB126_986:                            ;   in Loop: Header=BB126_987 Depth=1
	s_andn2_b32 vcc_lo, exec_lo, s56
	s_cbranch_vccz .LBB126_989
.LBB126_987:                            ; =>This Inner Loop Header: Depth=1
	v_mov_b32_e32 v51, s16
	v_add_nc_u32_e32 v10, s16, v4
	s_mov_b32 s17, s16
	s_mov_b32 s56, -1
	s_cmpk_eq_i32 s16, 0x140
	s_clause 0xb
	buffer_load_dword v27, v51, s[0:3], 0 offen offset:656
	buffer_load_dword v28, v51, s[0:3], 0 offen offset:660
	buffer_load_dword v29, v51, s[0:3], 0 offen offset:664
	buffer_load_dword v30, v51, s[0:3], 0 offen offset:668
	buffer_load_dword v31, v51, s[0:3], 0 offen offset:672
	buffer_load_dword v32, v51, s[0:3], 0 offen offset:676
	buffer_load_dword v33, v51, s[0:3], 0 offen offset:680
	buffer_load_dword v34, v51, s[0:3], 0 offen offset:684
	buffer_load_dword v35, v51, s[0:3], 0 offen offset:688
	buffer_load_dword v36, v51, s[0:3], 0 offen offset:692
	buffer_load_dword v37, v51, s[0:3], 0 offen offset:696
	buffer_load_dword v38, v51, s[0:3], 0 offen offset:700
	ds_read2_b64 v[15:18], v10 offset1:1
	ds_read2_b64 v[19:22], v10 offset0:2 offset1:3
	ds_read2_b64 v[23:26], v10 offset0:4 offset1:5
	s_waitcnt lgkmcnt(2)
	v_mul_f64 v[39:40], v[17:18], v[2:3]
	v_mul_f64 v[41:42], v[15:16], v[2:3]
	s_waitcnt lgkmcnt(1)
	v_mul_f64 v[43:44], v[21:22], v[2:3]
	v_mul_f64 v[45:46], v[19:20], v[2:3]
	;; [unrolled: 3-line block ×3, first 2 shown]
	v_fma_f64 v[15:16], v[15:16], v[0:1], -v[39:40]
	v_fma_f64 v[17:18], v[17:18], v[0:1], v[41:42]
	v_fma_f64 v[19:20], v[19:20], v[0:1], -v[43:44]
	v_fma_f64 v[21:22], v[21:22], v[0:1], v[45:46]
	;; [unrolled: 2-line block ×3, first 2 shown]
	s_waitcnt vmcnt(10)
	v_add_f64 v[15:16], v[27:28], -v[15:16]
	s_waitcnt vmcnt(8)
	v_add_f64 v[17:18], v[29:30], -v[17:18]
	;; [unrolled: 2-line block ×6, first 2 shown]
	buffer_store_dword v15, v51, s[0:3], 0 offen offset:656
	buffer_store_dword v16, v51, s[0:3], 0 offen offset:660
	;; [unrolled: 1-line block ×12, first 2 shown]
	s_cbranch_scc1 .LBB126_986
; %bb.988:                              ;   in Loop: Header=BB126_987 Depth=1
	v_mov_b32_e32 v27, s17
	s_add_i32 s16, s16, 64
	s_mov_b32 s56, 0
	s_clause 0x3
	buffer_load_dword v19, v27, s[0:3], 0 offen offset:704
	buffer_load_dword v20, v27, s[0:3], 0 offen offset:708
	;; [unrolled: 1-line block ×4, first 2 shown]
	ds_read2_b64 v[15:18], v10 offset0:6 offset1:7
	s_waitcnt lgkmcnt(0)
	v_mul_f64 v[23:24], v[17:18], v[2:3]
	v_mul_f64 v[25:26], v[15:16], v[2:3]
	v_fma_f64 v[15:16], v[15:16], v[0:1], -v[23:24]
	v_fma_f64 v[17:18], v[17:18], v[0:1], v[25:26]
	s_waitcnt vmcnt(2)
	v_add_f64 v[15:16], v[19:20], -v[15:16]
	s_waitcnt vmcnt(0)
	v_add_f64 v[17:18], v[21:22], -v[17:18]
	buffer_store_dword v15, v27, s[0:3], 0 offen offset:704
	buffer_store_dword v16, v27, s[0:3], 0 offen offset:708
	;; [unrolled: 1-line block ×4, first 2 shown]
	s_branch .LBB126_986
.LBB126_989:
	s_or_b32 exec_lo, exec_lo, s4
	v_mov_b32_e32 v3, s41
	s_waitcnt_vscnt null, 0x0
	s_barrier
	buffer_gl0_inv
	v_lshl_add_u32 v4, v5, 4, v12
	s_clause 0x3
	buffer_load_dword v0, v3, s[0:3], 0 offen
	buffer_load_dword v1, v3, s[0:3], 0 offen offset:4
	buffer_load_dword v2, v3, s[0:3], 0 offen offset:8
	;; [unrolled: 1-line block ×3, first 2 shown]
	s_cmp_lt_i32 s57, 43
	s_waitcnt vmcnt(0)
	ds_write2_b64 v4, v[0:1], v[2:3] offset1:1
	s_waitcnt lgkmcnt(0)
	s_barrier
	buffer_gl0_inv
	ds_read2_b64 v[0:3], v12 offset0:82 offset1:83
	v_mov_b32_e32 v4, 41
	s_cbranch_scc1 .LBB126_992
; %bb.990:
	v_add3_u32 v10, v14, 0, 0x2a0
	v_mov_b32_e32 v4, 41
	s_mov_b32 s16, 42
	s_inst_prefetch 0x1
	.p2align	6
.LBB126_991:                            ; =>This Inner Loop Header: Depth=1
	s_waitcnt lgkmcnt(0)
	v_cmp_gt_f64_e32 vcc_lo, 0, v[2:3]
	v_cmp_gt_f64_e64 s4, 0, v[0:1]
	ds_read2_b64 v[15:18], v10 offset1:1
	v_xor_b32_e32 v20, 0x80000000, v1
	v_xor_b32_e32 v22, 0x80000000, v3
	v_mov_b32_e32 v19, v0
	v_mov_b32_e32 v21, v2
	v_add_nc_u32_e32 v10, 16, v10
	s_waitcnt lgkmcnt(0)
	v_xor_b32_e32 v24, 0x80000000, v18
	v_cndmask_b32_e64 v20, v1, v20, s4
	v_cndmask_b32_e32 v22, v3, v22, vcc_lo
	v_cmp_gt_f64_e32 vcc_lo, 0, v[17:18]
	v_cmp_gt_f64_e64 s4, 0, v[15:16]
	v_mov_b32_e32 v23, v17
	v_add_f64 v[19:20], v[19:20], v[21:22]
	v_xor_b32_e32 v22, 0x80000000, v16
	v_mov_b32_e32 v21, v15
	v_cndmask_b32_e32 v24, v18, v24, vcc_lo
	v_cndmask_b32_e64 v22, v16, v22, s4
	v_add_f64 v[21:22], v[21:22], v[23:24]
	v_cmp_lt_f64_e32 vcc_lo, v[19:20], v[21:22]
	v_cndmask_b32_e32 v1, v1, v16, vcc_lo
	v_cndmask_b32_e32 v0, v0, v15, vcc_lo
	;; [unrolled: 1-line block ×4, first 2 shown]
	v_cndmask_b32_e64 v4, v4, s16, vcc_lo
	s_add_i32 s16, s16, 1
	s_cmp_lg_u32 s57, s16
	s_cbranch_scc1 .LBB126_991
.LBB126_992:
	s_inst_prefetch 0x2
	s_waitcnt lgkmcnt(0)
	v_cmp_eq_f64_e32 vcc_lo, 0, v[0:1]
	v_cmp_eq_f64_e64 s4, 0, v[2:3]
	s_and_b32 s4, vcc_lo, s4
	s_and_saveexec_b32 s16, s4
	s_xor_b32 s4, exec_lo, s16
; %bb.993:
	v_cmp_ne_u32_e32 vcc_lo, 0, v13
	v_cndmask_b32_e32 v13, 42, v13, vcc_lo
; %bb.994:
	s_andn2_saveexec_b32 s4, s4
	s_cbranch_execz .LBB126_1000
; %bb.995:
	v_cmp_ngt_f64_e64 s16, |v[0:1]|, |v[2:3]|
	s_and_saveexec_b32 s17, s16
	s_xor_b32 s16, exec_lo, s17
	s_cbranch_execz .LBB126_997
; %bb.996:
	v_div_scale_f64 v[15:16], null, v[2:3], v[2:3], v[0:1]
	v_div_scale_f64 v[21:22], vcc_lo, v[0:1], v[2:3], v[0:1]
	v_rcp_f64_e32 v[17:18], v[15:16]
	v_fma_f64 v[19:20], -v[15:16], v[17:18], 1.0
	v_fma_f64 v[17:18], v[17:18], v[19:20], v[17:18]
	v_fma_f64 v[19:20], -v[15:16], v[17:18], 1.0
	v_fma_f64 v[17:18], v[17:18], v[19:20], v[17:18]
	v_mul_f64 v[19:20], v[21:22], v[17:18]
	v_fma_f64 v[15:16], -v[15:16], v[19:20], v[21:22]
	v_div_fmas_f64 v[15:16], v[15:16], v[17:18], v[19:20]
	v_div_fixup_f64 v[15:16], v[15:16], v[2:3], v[0:1]
	v_fma_f64 v[0:1], v[0:1], v[15:16], v[2:3]
	v_div_scale_f64 v[2:3], null, v[0:1], v[0:1], 1.0
	v_rcp_f64_e32 v[17:18], v[2:3]
	v_fma_f64 v[19:20], -v[2:3], v[17:18], 1.0
	v_fma_f64 v[17:18], v[17:18], v[19:20], v[17:18]
	v_fma_f64 v[19:20], -v[2:3], v[17:18], 1.0
	v_fma_f64 v[17:18], v[17:18], v[19:20], v[17:18]
	v_div_scale_f64 v[19:20], vcc_lo, 1.0, v[0:1], 1.0
	v_mul_f64 v[21:22], v[19:20], v[17:18]
	v_fma_f64 v[2:3], -v[2:3], v[21:22], v[19:20]
	v_div_fmas_f64 v[2:3], v[2:3], v[17:18], v[21:22]
	v_div_fixup_f64 v[2:3], v[2:3], v[0:1], 1.0
	v_mul_f64 v[0:1], v[15:16], v[2:3]
	v_xor_b32_e32 v3, 0x80000000, v3
.LBB126_997:
	s_andn2_saveexec_b32 s16, s16
	s_cbranch_execz .LBB126_999
; %bb.998:
	v_div_scale_f64 v[15:16], null, v[0:1], v[0:1], v[2:3]
	v_div_scale_f64 v[21:22], vcc_lo, v[2:3], v[0:1], v[2:3]
	v_rcp_f64_e32 v[17:18], v[15:16]
	v_fma_f64 v[19:20], -v[15:16], v[17:18], 1.0
	v_fma_f64 v[17:18], v[17:18], v[19:20], v[17:18]
	v_fma_f64 v[19:20], -v[15:16], v[17:18], 1.0
	v_fma_f64 v[17:18], v[17:18], v[19:20], v[17:18]
	v_mul_f64 v[19:20], v[21:22], v[17:18]
	v_fma_f64 v[15:16], -v[15:16], v[19:20], v[21:22]
	v_div_fmas_f64 v[15:16], v[15:16], v[17:18], v[19:20]
	v_div_fixup_f64 v[15:16], v[15:16], v[0:1], v[2:3]
	v_fma_f64 v[0:1], v[2:3], v[15:16], v[0:1]
	v_div_scale_f64 v[2:3], null, v[0:1], v[0:1], 1.0
	v_rcp_f64_e32 v[17:18], v[2:3]
	v_fma_f64 v[19:20], -v[2:3], v[17:18], 1.0
	v_fma_f64 v[17:18], v[17:18], v[19:20], v[17:18]
	v_fma_f64 v[19:20], -v[2:3], v[17:18], 1.0
	v_fma_f64 v[17:18], v[17:18], v[19:20], v[17:18]
	v_div_scale_f64 v[19:20], vcc_lo, 1.0, v[0:1], 1.0
	v_mul_f64 v[21:22], v[19:20], v[17:18]
	v_fma_f64 v[2:3], -v[2:3], v[21:22], v[19:20]
	v_div_fmas_f64 v[2:3], v[2:3], v[17:18], v[21:22]
	v_div_fixup_f64 v[0:1], v[2:3], v[0:1], 1.0
	v_mul_f64 v[2:3], v[15:16], -v[0:1]
.LBB126_999:
	s_or_b32 exec_lo, exec_lo, s16
.LBB126_1000:
	s_or_b32 exec_lo, exec_lo, s4
	s_mov_b32 s4, exec_lo
	v_cmpx_ne_u32_e64 v5, v4
	s_xor_b32 s4, exec_lo, s4
	s_cbranch_execz .LBB126_1006
; %bb.1001:
	s_mov_b32 s16, exec_lo
	v_cmpx_eq_u32_e32 41, v5
	s_cbranch_execz .LBB126_1005
; %bb.1002:
	v_cmp_ne_u32_e32 vcc_lo, 41, v4
	s_xor_b32 s17, s20, -1
	s_and_b32 s56, s17, vcc_lo
	s_and_saveexec_b32 s17, s56
	s_cbranch_execz .LBB126_1004
; %bb.1003:
	v_ashrrev_i32_e32 v5, 31, v4
	v_lshlrev_b64 v[10:11], 2, v[4:5]
	v_add_co_u32 v10, vcc_lo, v8, v10
	v_add_co_ci_u32_e64 v11, null, v9, v11, vcc_lo
	s_clause 0x1
	global_load_dword v5, v[10:11], off
	global_load_dword v15, v[8:9], off offset:164
	s_waitcnt vmcnt(1)
	global_store_dword v[8:9], v5, off offset:164
	s_waitcnt vmcnt(0)
	global_store_dword v[10:11], v15, off
.LBB126_1004:
	s_or_b32 exec_lo, exec_lo, s17
	v_mov_b32_e32 v5, v4
	v_mov_b32_e32 v11, v4
.LBB126_1005:
	s_or_b32 exec_lo, exec_lo, s16
.LBB126_1006:
	s_andn2_saveexec_b32 s4, s4
	s_cbranch_execz .LBB126_1008
; %bb.1007:
	v_mov_b32_e32 v4, s40
	v_mov_b32_e32 v5, s39
	v_mov_b32_e32 v10, s38
	s_clause 0x7
	buffer_load_dword v15, v4, s[0:3], 0 offen
	buffer_load_dword v16, v4, s[0:3], 0 offen offset:4
	buffer_load_dword v17, v4, s[0:3], 0 offen offset:8
	buffer_load_dword v18, v4, s[0:3], 0 offen offset:12
	buffer_load_dword v19, v5, s[0:3], 0 offen
	buffer_load_dword v20, v5, s[0:3], 0 offen offset:4
	buffer_load_dword v21, v5, s[0:3], 0 offen offset:8
	buffer_load_dword v22, v5, s[0:3], 0 offen offset:12
	v_mov_b32_e32 v5, s36
	v_mov_b32_e32 v4, s37
	s_clause 0x7
	buffer_load_dword v23, v10, s[0:3], 0 offen
	buffer_load_dword v24, v10, s[0:3], 0 offen offset:4
	buffer_load_dword v25, v10, s[0:3], 0 offen offset:8
	buffer_load_dword v26, v10, s[0:3], 0 offen offset:12
	buffer_load_dword v27, v4, s[0:3], 0 offen
	buffer_load_dword v28, v4, s[0:3], 0 offen offset:4
	buffer_load_dword v29, v4, s[0:3], 0 offen offset:8
	buffer_load_dword v30, v4, s[0:3], 0 offen offset:12
	v_mov_b32_e32 v4, s35
	v_mov_b32_e32 v10, s34
	;; [unrolled: 11-line block ×9, first 2 shown]
	s_clause 0x7
	buffer_load_dword v87, v10, s[0:3], 0 offen
	buffer_load_dword v88, v10, s[0:3], 0 offen offset:4
	buffer_load_dword v89, v10, s[0:3], 0 offen offset:8
	;; [unrolled: 1-line block ×3, first 2 shown]
	buffer_load_dword v91, v4, s[0:3], 0 offen
	buffer_load_dword v92, v4, s[0:3], 0 offen offset:4
	buffer_load_dword v93, v4, s[0:3], 0 offen offset:8
	buffer_load_dword v94, v4, s[0:3], 0 offen offset:12
	v_mov_b32_e32 v4, s5
	s_clause 0x7
	buffer_load_dword v95, v5, s[0:3], 0 offen
	buffer_load_dword v96, v5, s[0:3], 0 offen offset:4
	buffer_load_dword v97, v5, s[0:3], 0 offen offset:8
	;; [unrolled: 1-line block ×3, first 2 shown]
	buffer_load_dword v99, v4, s[0:3], 0 offen
	buffer_load_dword v100, v4, s[0:3], 0 offen offset:4
	buffer_load_dword v101, v4, s[0:3], 0 offen offset:8
	;; [unrolled: 1-line block ×3, first 2 shown]
	v_mov_b32_e32 v5, 41
	s_waitcnt vmcnt(62)
	ds_write2_b64 v12, v[15:16], v[17:18] offset0:84 offset1:85
	ds_write2_b64 v12, v[19:20], v[21:22] offset0:86 offset1:87
	;; [unrolled: 1-line block ×6, first 2 shown]
	s_waitcnt vmcnt(60)
	ds_write2_b64 v12, v[39:40], v[41:42] offset0:96 offset1:97
	s_waitcnt vmcnt(56)
	ds_write2_b64 v12, v[43:44], v[45:46] offset0:98 offset1:99
	;; [unrolled: 2-line block ×16, first 2 shown]
.LBB126_1008:
	s_or_b32 exec_lo, exec_lo, s4
	s_mov_b32 s4, exec_lo
	s_waitcnt lgkmcnt(0)
	s_waitcnt_vscnt null, 0x0
	s_barrier
	buffer_gl0_inv
	v_cmpx_lt_i32_e32 41, v5
	s_cbranch_execz .LBB126_1011
; %bb.1009:
	s_clause 0x3
	buffer_load_dword v15, off, s[0:3], 0 offset:664
	buffer_load_dword v16, off, s[0:3], 0 offset:668
	;; [unrolled: 1-line block ×4, first 2 shown]
	v_add3_u32 v4, v14, 0, 0x2a0
	s_mov_b32 s16, 0
	s_waitcnt vmcnt(2)
	v_mul_f64 v[19:20], v[2:3], v[15:16]
	v_mul_f64 v[15:16], v[0:1], v[15:16]
	s_waitcnt vmcnt(0)
	v_fma_f64 v[0:1], v[0:1], v[17:18], -v[19:20]
	v_fma_f64 v[2:3], v[2:3], v[17:18], v[15:16]
	buffer_store_dword v0, off, s[0:3], 0 offset:656
	buffer_store_dword v1, off, s[0:3], 0 offset:660
	;; [unrolled: 1-line block ×4, first 2 shown]
.LBB126_1010:                           ; =>This Inner Loop Header: Depth=1
	v_mov_b32_e32 v10, s16
	v_add_nc_u32_e32 v19, s16, v4
	s_add_i32 s16, s16, 32
	s_clause 0x7
	buffer_load_dword v23, v10, s[0:3], 0 offen offset:672
	buffer_load_dword v24, v10, s[0:3], 0 offen offset:676
	;; [unrolled: 1-line block ×8, first 2 shown]
	ds_read2_b64 v[15:18], v19 offset1:1
	ds_read2_b64 v[19:22], v19 offset0:2 offset1:3
	s_cmpk_lg_i32 s16, 0x160
	s_waitcnt lgkmcnt(1)
	v_mul_f64 v[31:32], v[17:18], v[2:3]
	v_mul_f64 v[33:34], v[15:16], v[2:3]
	s_waitcnt lgkmcnt(0)
	v_mul_f64 v[35:36], v[21:22], v[2:3]
	v_mul_f64 v[37:38], v[19:20], v[2:3]
	v_fma_f64 v[15:16], v[15:16], v[0:1], -v[31:32]
	v_fma_f64 v[17:18], v[17:18], v[0:1], v[33:34]
	v_fma_f64 v[19:20], v[19:20], v[0:1], -v[35:36]
	v_fma_f64 v[21:22], v[21:22], v[0:1], v[37:38]
	s_waitcnt vmcnt(6)
	v_add_f64 v[15:16], v[23:24], -v[15:16]
	s_waitcnt vmcnt(4)
	v_add_f64 v[17:18], v[25:26], -v[17:18]
	;; [unrolled: 2-line block ×4, first 2 shown]
	buffer_store_dword v15, v10, s[0:3], 0 offen offset:672
	buffer_store_dword v16, v10, s[0:3], 0 offen offset:676
	;; [unrolled: 1-line block ×8, first 2 shown]
	s_cbranch_scc1 .LBB126_1010
.LBB126_1011:
	s_or_b32 exec_lo, exec_lo, s4
	v_mov_b32_e32 v3, s40
	s_waitcnt_vscnt null, 0x0
	s_barrier
	buffer_gl0_inv
	v_lshl_add_u32 v4, v5, 4, v12
	s_clause 0x3
	buffer_load_dword v0, v3, s[0:3], 0 offen
	buffer_load_dword v1, v3, s[0:3], 0 offen offset:4
	buffer_load_dword v2, v3, s[0:3], 0 offen offset:8
	;; [unrolled: 1-line block ×3, first 2 shown]
	s_cmp_lt_i32 s57, 44
	s_waitcnt vmcnt(0)
	ds_write2_b64 v4, v[0:1], v[2:3] offset1:1
	s_waitcnt lgkmcnt(0)
	s_barrier
	buffer_gl0_inv
	ds_read2_b64 v[0:3], v12 offset0:84 offset1:85
	v_mov_b32_e32 v4, 42
	s_cbranch_scc1 .LBB126_1014
; %bb.1012:
	v_add3_u32 v10, v14, 0, 0x2b0
	v_mov_b32_e32 v4, 42
	s_mov_b32 s16, 43
	s_inst_prefetch 0x1
	.p2align	6
.LBB126_1013:                           ; =>This Inner Loop Header: Depth=1
	s_waitcnt lgkmcnt(0)
	v_cmp_gt_f64_e32 vcc_lo, 0, v[2:3]
	v_cmp_gt_f64_e64 s4, 0, v[0:1]
	ds_read2_b64 v[15:18], v10 offset1:1
	v_xor_b32_e32 v20, 0x80000000, v1
	v_xor_b32_e32 v22, 0x80000000, v3
	v_mov_b32_e32 v19, v0
	v_mov_b32_e32 v21, v2
	v_add_nc_u32_e32 v10, 16, v10
	s_waitcnt lgkmcnt(0)
	v_xor_b32_e32 v24, 0x80000000, v18
	v_cndmask_b32_e64 v20, v1, v20, s4
	v_cndmask_b32_e32 v22, v3, v22, vcc_lo
	v_cmp_gt_f64_e32 vcc_lo, 0, v[17:18]
	v_cmp_gt_f64_e64 s4, 0, v[15:16]
	v_mov_b32_e32 v23, v17
	v_add_f64 v[19:20], v[19:20], v[21:22]
	v_xor_b32_e32 v22, 0x80000000, v16
	v_mov_b32_e32 v21, v15
	v_cndmask_b32_e32 v24, v18, v24, vcc_lo
	v_cndmask_b32_e64 v22, v16, v22, s4
	v_add_f64 v[21:22], v[21:22], v[23:24]
	v_cmp_lt_f64_e32 vcc_lo, v[19:20], v[21:22]
	v_cndmask_b32_e32 v1, v1, v16, vcc_lo
	v_cndmask_b32_e32 v0, v0, v15, vcc_lo
	;; [unrolled: 1-line block ×4, first 2 shown]
	v_cndmask_b32_e64 v4, v4, s16, vcc_lo
	s_add_i32 s16, s16, 1
	s_cmp_lg_u32 s57, s16
	s_cbranch_scc1 .LBB126_1013
.LBB126_1014:
	s_inst_prefetch 0x2
	s_waitcnt lgkmcnt(0)
	v_cmp_eq_f64_e32 vcc_lo, 0, v[0:1]
	v_cmp_eq_f64_e64 s4, 0, v[2:3]
	s_and_b32 s4, vcc_lo, s4
	s_and_saveexec_b32 s16, s4
	s_xor_b32 s4, exec_lo, s16
; %bb.1015:
	v_cmp_ne_u32_e32 vcc_lo, 0, v13
	v_cndmask_b32_e32 v13, 43, v13, vcc_lo
; %bb.1016:
	s_andn2_saveexec_b32 s4, s4
	s_cbranch_execz .LBB126_1022
; %bb.1017:
	v_cmp_ngt_f64_e64 s16, |v[0:1]|, |v[2:3]|
	s_and_saveexec_b32 s17, s16
	s_xor_b32 s16, exec_lo, s17
	s_cbranch_execz .LBB126_1019
; %bb.1018:
	v_div_scale_f64 v[15:16], null, v[2:3], v[2:3], v[0:1]
	v_div_scale_f64 v[21:22], vcc_lo, v[0:1], v[2:3], v[0:1]
	v_rcp_f64_e32 v[17:18], v[15:16]
	v_fma_f64 v[19:20], -v[15:16], v[17:18], 1.0
	v_fma_f64 v[17:18], v[17:18], v[19:20], v[17:18]
	v_fma_f64 v[19:20], -v[15:16], v[17:18], 1.0
	v_fma_f64 v[17:18], v[17:18], v[19:20], v[17:18]
	v_mul_f64 v[19:20], v[21:22], v[17:18]
	v_fma_f64 v[15:16], -v[15:16], v[19:20], v[21:22]
	v_div_fmas_f64 v[15:16], v[15:16], v[17:18], v[19:20]
	v_div_fixup_f64 v[15:16], v[15:16], v[2:3], v[0:1]
	v_fma_f64 v[0:1], v[0:1], v[15:16], v[2:3]
	v_div_scale_f64 v[2:3], null, v[0:1], v[0:1], 1.0
	v_rcp_f64_e32 v[17:18], v[2:3]
	v_fma_f64 v[19:20], -v[2:3], v[17:18], 1.0
	v_fma_f64 v[17:18], v[17:18], v[19:20], v[17:18]
	v_fma_f64 v[19:20], -v[2:3], v[17:18], 1.0
	v_fma_f64 v[17:18], v[17:18], v[19:20], v[17:18]
	v_div_scale_f64 v[19:20], vcc_lo, 1.0, v[0:1], 1.0
	v_mul_f64 v[21:22], v[19:20], v[17:18]
	v_fma_f64 v[2:3], -v[2:3], v[21:22], v[19:20]
	v_div_fmas_f64 v[2:3], v[2:3], v[17:18], v[21:22]
	v_div_fixup_f64 v[2:3], v[2:3], v[0:1], 1.0
	v_mul_f64 v[0:1], v[15:16], v[2:3]
	v_xor_b32_e32 v3, 0x80000000, v3
.LBB126_1019:
	s_andn2_saveexec_b32 s16, s16
	s_cbranch_execz .LBB126_1021
; %bb.1020:
	v_div_scale_f64 v[15:16], null, v[0:1], v[0:1], v[2:3]
	v_div_scale_f64 v[21:22], vcc_lo, v[2:3], v[0:1], v[2:3]
	v_rcp_f64_e32 v[17:18], v[15:16]
	v_fma_f64 v[19:20], -v[15:16], v[17:18], 1.0
	v_fma_f64 v[17:18], v[17:18], v[19:20], v[17:18]
	v_fma_f64 v[19:20], -v[15:16], v[17:18], 1.0
	v_fma_f64 v[17:18], v[17:18], v[19:20], v[17:18]
	v_mul_f64 v[19:20], v[21:22], v[17:18]
	v_fma_f64 v[15:16], -v[15:16], v[19:20], v[21:22]
	v_div_fmas_f64 v[15:16], v[15:16], v[17:18], v[19:20]
	v_div_fixup_f64 v[15:16], v[15:16], v[0:1], v[2:3]
	v_fma_f64 v[0:1], v[2:3], v[15:16], v[0:1]
	v_div_scale_f64 v[2:3], null, v[0:1], v[0:1], 1.0
	v_rcp_f64_e32 v[17:18], v[2:3]
	v_fma_f64 v[19:20], -v[2:3], v[17:18], 1.0
	v_fma_f64 v[17:18], v[17:18], v[19:20], v[17:18]
	v_fma_f64 v[19:20], -v[2:3], v[17:18], 1.0
	v_fma_f64 v[17:18], v[17:18], v[19:20], v[17:18]
	v_div_scale_f64 v[19:20], vcc_lo, 1.0, v[0:1], 1.0
	v_mul_f64 v[21:22], v[19:20], v[17:18]
	v_fma_f64 v[2:3], -v[2:3], v[21:22], v[19:20]
	v_div_fmas_f64 v[2:3], v[2:3], v[17:18], v[21:22]
	v_div_fixup_f64 v[0:1], v[2:3], v[0:1], 1.0
	v_mul_f64 v[2:3], v[15:16], -v[0:1]
.LBB126_1021:
	s_or_b32 exec_lo, exec_lo, s16
.LBB126_1022:
	s_or_b32 exec_lo, exec_lo, s4
	s_mov_b32 s4, exec_lo
	v_cmpx_ne_u32_e64 v5, v4
	s_xor_b32 s4, exec_lo, s4
	s_cbranch_execz .LBB126_1028
; %bb.1023:
	s_mov_b32 s16, exec_lo
	v_cmpx_eq_u32_e32 42, v5
	s_cbranch_execz .LBB126_1027
; %bb.1024:
	v_cmp_ne_u32_e32 vcc_lo, 42, v4
	s_xor_b32 s17, s20, -1
	s_and_b32 s56, s17, vcc_lo
	s_and_saveexec_b32 s17, s56
	s_cbranch_execz .LBB126_1026
; %bb.1025:
	v_ashrrev_i32_e32 v5, 31, v4
	v_lshlrev_b64 v[10:11], 2, v[4:5]
	v_add_co_u32 v10, vcc_lo, v8, v10
	v_add_co_ci_u32_e64 v11, null, v9, v11, vcc_lo
	s_clause 0x1
	global_load_dword v5, v[10:11], off
	global_load_dword v15, v[8:9], off offset:168
	s_waitcnt vmcnt(1)
	global_store_dword v[8:9], v5, off offset:168
	s_waitcnt vmcnt(0)
	global_store_dword v[10:11], v15, off
.LBB126_1026:
	s_or_b32 exec_lo, exec_lo, s17
	v_mov_b32_e32 v5, v4
	v_mov_b32_e32 v11, v4
.LBB126_1027:
	s_or_b32 exec_lo, exec_lo, s16
.LBB126_1028:
	s_andn2_saveexec_b32 s4, s4
	s_cbranch_execz .LBB126_1030
; %bb.1029:
	v_mov_b32_e32 v4, s39
	v_mov_b32_e32 v10, s37
	;; [unrolled: 1-line block ×3, first 2 shown]
	s_clause 0x7
	buffer_load_dword v15, v4, s[0:3], 0 offen
	buffer_load_dword v16, v4, s[0:3], 0 offen offset:4
	buffer_load_dword v17, v4, s[0:3], 0 offen offset:8
	buffer_load_dword v18, v4, s[0:3], 0 offen offset:12
	buffer_load_dword v19, v5, s[0:3], 0 offen
	buffer_load_dword v20, v5, s[0:3], 0 offen offset:4
	buffer_load_dword v21, v5, s[0:3], 0 offen offset:8
	buffer_load_dword v22, v5, s[0:3], 0 offen offset:12
	v_mov_b32_e32 v4, s36
	v_mov_b32_e32 v5, s35
	s_clause 0x7
	buffer_load_dword v23, v10, s[0:3], 0 offen
	buffer_load_dword v24, v10, s[0:3], 0 offen offset:4
	buffer_load_dword v25, v10, s[0:3], 0 offen offset:8
	buffer_load_dword v26, v10, s[0:3], 0 offen offset:12
	buffer_load_dword v27, v4, s[0:3], 0 offen
	buffer_load_dword v28, v4, s[0:3], 0 offen offset:4
	buffer_load_dword v29, v4, s[0:3], 0 offen offset:8
	buffer_load_dword v30, v4, s[0:3], 0 offen offset:12
	v_mov_b32_e32 v10, s33
	v_mov_b32_e32 v4, s34
	;; [unrolled: 11-line block ×9, first 2 shown]
	s_clause 0xb
	buffer_load_dword v87, v10, s[0:3], 0 offen
	buffer_load_dword v88, v10, s[0:3], 0 offen offset:4
	buffer_load_dword v89, v10, s[0:3], 0 offen offset:8
	buffer_load_dword v90, v10, s[0:3], 0 offen offset:12
	buffer_load_dword v91, v4, s[0:3], 0 offen
	buffer_load_dword v92, v4, s[0:3], 0 offen offset:4
	buffer_load_dword v93, v4, s[0:3], 0 offen offset:8
	buffer_load_dword v94, v4, s[0:3], 0 offen offset:12
	;; [unrolled: 4-line block ×3, first 2 shown]
	v_mov_b32_e32 v5, 42
	s_waitcnt vmcnt(62)
	ds_write2_b64 v12, v[15:16], v[17:18] offset0:86 offset1:87
	ds_write2_b64 v12, v[19:20], v[21:22] offset0:88 offset1:89
	;; [unrolled: 1-line block ×5, first 2 shown]
	s_waitcnt vmcnt(60)
	ds_write2_b64 v12, v[35:36], v[37:38] offset0:96 offset1:97
	s_waitcnt vmcnt(56)
	ds_write2_b64 v12, v[39:40], v[41:42] offset0:98 offset1:99
	s_waitcnt vmcnt(52)
	ds_write2_b64 v12, v[43:44], v[45:46] offset0:100 offset1:101
	s_waitcnt vmcnt(48)
	ds_write2_b64 v12, v[47:48], v[49:50] offset0:102 offset1:103
	s_waitcnt vmcnt(44)
	ds_write2_b64 v12, v[51:52], v[53:54] offset0:104 offset1:105
	s_waitcnt vmcnt(40)
	ds_write2_b64 v12, v[55:56], v[57:58] offset0:106 offset1:107
	s_waitcnt vmcnt(36)
	ds_write2_b64 v12, v[59:60], v[61:62] offset0:108 offset1:109
	s_waitcnt vmcnt(32)
	ds_write2_b64 v12, v[63:64], v[65:66] offset0:110 offset1:111
	s_waitcnt vmcnt(28)
	ds_write2_b64 v12, v[67:68], v[69:70] offset0:112 offset1:113
	s_waitcnt vmcnt(24)
	ds_write2_b64 v12, v[71:72], v[73:74] offset0:114 offset1:115
	s_waitcnt vmcnt(20)
	ds_write2_b64 v12, v[75:76], v[77:78] offset0:116 offset1:117
	s_waitcnt vmcnt(16)
	ds_write2_b64 v12, v[79:80], v[81:82] offset0:118 offset1:119
	s_waitcnt vmcnt(12)
	ds_write2_b64 v12, v[83:84], v[85:86] offset0:120 offset1:121
	s_waitcnt vmcnt(8)
	ds_write2_b64 v12, v[87:88], v[89:90] offset0:122 offset1:123
	s_waitcnt vmcnt(4)
	ds_write2_b64 v12, v[91:92], v[93:94] offset0:124 offset1:125
	s_waitcnt vmcnt(0)
	ds_write2_b64 v12, v[95:96], v[97:98] offset0:126 offset1:127
.LBB126_1030:
	s_or_b32 exec_lo, exec_lo, s4
	s_mov_b32 s4, exec_lo
	s_waitcnt lgkmcnt(0)
	s_waitcnt_vscnt null, 0x0
	s_barrier
	buffer_gl0_inv
	v_cmpx_lt_i32_e32 42, v5
	s_cbranch_execz .LBB126_1033
; %bb.1031:
	s_clause 0x3
	buffer_load_dword v15, off, s[0:3], 0 offset:680
	buffer_load_dword v16, off, s[0:3], 0 offset:684
	;; [unrolled: 1-line block ×4, first 2 shown]
	v_add3_u32 v4, v14, 0, 0x2b0
	s_mov_b32 s83, 0
	s_waitcnt vmcnt(2)
	v_mul_f64 v[19:20], v[2:3], v[15:16]
	v_mul_f64 v[15:16], v[0:1], v[15:16]
	s_waitcnt vmcnt(0)
	v_fma_f64 v[0:1], v[0:1], v[17:18], -v[19:20]
	v_fma_f64 v[2:3], v[2:3], v[17:18], v[15:16]
	buffer_store_dword v0, off, s[0:3], 0 offset:672
	buffer_store_dword v1, off, s[0:3], 0 offset:676
	;; [unrolled: 1-line block ×4, first 2 shown]
.LBB126_1032:                           ; =>This Inner Loop Header: Depth=1
	v_add_nc_u32_e32 v10, s83, v4
	v_mov_b32_e32 v75, s83
	s_addk_i32 s83, 0x70
	ds_read2_b64 v[15:18], v10 offset1:1
	ds_read2_b64 v[19:22], v10 offset0:2 offset1:3
	ds_read2_b64 v[23:26], v10 offset0:4 offset1:5
	;; [unrolled: 1-line block ×5, first 2 shown]
	s_cmpk_lg_i32 s83, 0x150
	s_waitcnt lgkmcnt(5)
	v_mul_f64 v[39:40], v[17:18], v[2:3]
	v_mul_f64 v[41:42], v[15:16], v[2:3]
	s_waitcnt lgkmcnt(4)
	v_mul_f64 v[43:44], v[21:22], v[2:3]
	v_mul_f64 v[45:46], v[19:20], v[2:3]
	;; [unrolled: 3-line block ×6, first 2 shown]
	s_clause 0x5
	buffer_load_dword v63, v75, s[0:3], 0 offen offset:688
	buffer_load_dword v64, v75, s[0:3], 0 offen offset:692
	;; [unrolled: 1-line block ×4, first 2 shown]
	buffer_load_dword v2, off, s[0:3], 0 offset:680
	buffer_load_dword v3, off, s[0:3], 0 offset:684
	v_fma_f64 v[39:40], v[15:16], v[0:1], -v[39:40]
	v_fma_f64 v[41:42], v[17:18], v[0:1], v[41:42]
	v_fma_f64 v[19:20], v[19:20], v[0:1], -v[43:44]
	v_fma_f64 v[21:22], v[21:22], v[0:1], v[45:46]
	;; [unrolled: 2-line block ×6, first 2 shown]
	s_clause 0x19
	buffer_load_dword v0, off, s[0:3], 0 offset:672
	buffer_load_dword v1, off, s[0:3], 0 offset:676
	buffer_load_dword v43, v75, s[0:3], 0 offen offset:704
	buffer_load_dword v44, v75, s[0:3], 0 offen offset:708
	;; [unrolled: 1-line block ×24, first 2 shown]
	ds_read2_b64 v[15:18], v10 offset0:12 offset1:13
	s_waitcnt vmcnt(30)
	v_add_f64 v[39:40], v[63:64], -v[39:40]
	s_waitcnt vmcnt(28)
	v_add_f64 v[41:42], v[65:66], -v[41:42]
	s_waitcnt vmcnt(26) lgkmcnt(0)
	v_mul_f64 v[71:72], v[17:18], v[2:3]
	v_mul_f64 v[73:74], v[15:16], v[2:3]
	s_waitcnt vmcnt(20)
	v_add_f64 v[21:22], v[45:46], -v[21:22]
	v_add_f64 v[19:20], v[43:44], -v[19:20]
	s_waitcnt vmcnt(18)
	v_add_f64 v[23:24], v[47:48], -v[23:24]
	buffer_store_dword v39, v75, s[0:3], 0 offen offset:688
	buffer_store_dword v40, v75, s[0:3], 0 offen offset:692
	;; [unrolled: 1-line block ×6, first 2 shown]
	v_fma_f64 v[15:16], v[15:16], v[0:1], -v[71:72]
	v_fma_f64 v[17:18], v[17:18], v[0:1], v[73:74]
	s_waitcnt vmcnt(16)
	v_add_f64 v[25:26], v[49:50], -v[25:26]
	s_waitcnt vmcnt(14)
	v_add_f64 v[27:28], v[51:52], -v[27:28]
	;; [unrolled: 2-line block ×9, first 2 shown]
	buffer_store_dword v21, v75, s[0:3], 0 offen offset:712
	buffer_store_dword v22, v75, s[0:3], 0 offen offset:716
	;; [unrolled: 1-line block ×22, first 2 shown]
	s_cbranch_scc1 .LBB126_1032
.LBB126_1033:
	s_or_b32 exec_lo, exec_lo, s4
	v_mov_b32_e32 v3, s39
	s_waitcnt_vscnt null, 0x0
	s_barrier
	buffer_gl0_inv
	v_lshl_add_u32 v4, v5, 4, v12
	s_clause 0x3
	buffer_load_dword v0, v3, s[0:3], 0 offen
	buffer_load_dword v1, v3, s[0:3], 0 offen offset:4
	buffer_load_dword v2, v3, s[0:3], 0 offen offset:8
	;; [unrolled: 1-line block ×3, first 2 shown]
	s_cmp_lt_i32 s57, 45
	s_waitcnt vmcnt(0)
	ds_write2_b64 v4, v[0:1], v[2:3] offset1:1
	s_waitcnt lgkmcnt(0)
	s_barrier
	buffer_gl0_inv
	ds_read2_b64 v[0:3], v12 offset0:86 offset1:87
	v_mov_b32_e32 v4, 43
	s_cbranch_scc1 .LBB126_1036
; %bb.1034:
	v_add3_u32 v10, v14, 0, 0x2c0
	v_mov_b32_e32 v4, 43
	s_mov_b32 s16, 44
	s_inst_prefetch 0x1
	.p2align	6
.LBB126_1035:                           ; =>This Inner Loop Header: Depth=1
	s_waitcnt lgkmcnt(0)
	v_cmp_gt_f64_e32 vcc_lo, 0, v[2:3]
	v_cmp_gt_f64_e64 s4, 0, v[0:1]
	ds_read2_b64 v[15:18], v10 offset1:1
	v_xor_b32_e32 v20, 0x80000000, v1
	v_xor_b32_e32 v22, 0x80000000, v3
	v_mov_b32_e32 v19, v0
	v_mov_b32_e32 v21, v2
	v_add_nc_u32_e32 v10, 16, v10
	s_waitcnt lgkmcnt(0)
	v_xor_b32_e32 v24, 0x80000000, v18
	v_cndmask_b32_e64 v20, v1, v20, s4
	v_cndmask_b32_e32 v22, v3, v22, vcc_lo
	v_cmp_gt_f64_e32 vcc_lo, 0, v[17:18]
	v_cmp_gt_f64_e64 s4, 0, v[15:16]
	v_mov_b32_e32 v23, v17
	v_add_f64 v[19:20], v[19:20], v[21:22]
	v_xor_b32_e32 v22, 0x80000000, v16
	v_mov_b32_e32 v21, v15
	v_cndmask_b32_e32 v24, v18, v24, vcc_lo
	v_cndmask_b32_e64 v22, v16, v22, s4
	v_add_f64 v[21:22], v[21:22], v[23:24]
	v_cmp_lt_f64_e32 vcc_lo, v[19:20], v[21:22]
	v_cndmask_b32_e32 v1, v1, v16, vcc_lo
	v_cndmask_b32_e32 v0, v0, v15, vcc_lo
	;; [unrolled: 1-line block ×4, first 2 shown]
	v_cndmask_b32_e64 v4, v4, s16, vcc_lo
	s_add_i32 s16, s16, 1
	s_cmp_lg_u32 s57, s16
	s_cbranch_scc1 .LBB126_1035
.LBB126_1036:
	s_inst_prefetch 0x2
	s_waitcnt lgkmcnt(0)
	v_cmp_eq_f64_e32 vcc_lo, 0, v[0:1]
	v_cmp_eq_f64_e64 s4, 0, v[2:3]
	s_and_b32 s4, vcc_lo, s4
	s_and_saveexec_b32 s16, s4
	s_xor_b32 s4, exec_lo, s16
; %bb.1037:
	v_cmp_ne_u32_e32 vcc_lo, 0, v13
	v_cndmask_b32_e32 v13, 44, v13, vcc_lo
; %bb.1038:
	s_andn2_saveexec_b32 s4, s4
	s_cbranch_execz .LBB126_1044
; %bb.1039:
	v_cmp_ngt_f64_e64 s16, |v[0:1]|, |v[2:3]|
	s_and_saveexec_b32 s17, s16
	s_xor_b32 s16, exec_lo, s17
	s_cbranch_execz .LBB126_1041
; %bb.1040:
	v_div_scale_f64 v[15:16], null, v[2:3], v[2:3], v[0:1]
	v_div_scale_f64 v[21:22], vcc_lo, v[0:1], v[2:3], v[0:1]
	v_rcp_f64_e32 v[17:18], v[15:16]
	v_fma_f64 v[19:20], -v[15:16], v[17:18], 1.0
	v_fma_f64 v[17:18], v[17:18], v[19:20], v[17:18]
	v_fma_f64 v[19:20], -v[15:16], v[17:18], 1.0
	v_fma_f64 v[17:18], v[17:18], v[19:20], v[17:18]
	v_mul_f64 v[19:20], v[21:22], v[17:18]
	v_fma_f64 v[15:16], -v[15:16], v[19:20], v[21:22]
	v_div_fmas_f64 v[15:16], v[15:16], v[17:18], v[19:20]
	v_div_fixup_f64 v[15:16], v[15:16], v[2:3], v[0:1]
	v_fma_f64 v[0:1], v[0:1], v[15:16], v[2:3]
	v_div_scale_f64 v[2:3], null, v[0:1], v[0:1], 1.0
	v_rcp_f64_e32 v[17:18], v[2:3]
	v_fma_f64 v[19:20], -v[2:3], v[17:18], 1.0
	v_fma_f64 v[17:18], v[17:18], v[19:20], v[17:18]
	v_fma_f64 v[19:20], -v[2:3], v[17:18], 1.0
	v_fma_f64 v[17:18], v[17:18], v[19:20], v[17:18]
	v_div_scale_f64 v[19:20], vcc_lo, 1.0, v[0:1], 1.0
	v_mul_f64 v[21:22], v[19:20], v[17:18]
	v_fma_f64 v[2:3], -v[2:3], v[21:22], v[19:20]
	v_div_fmas_f64 v[2:3], v[2:3], v[17:18], v[21:22]
	v_div_fixup_f64 v[2:3], v[2:3], v[0:1], 1.0
	v_mul_f64 v[0:1], v[15:16], v[2:3]
	v_xor_b32_e32 v3, 0x80000000, v3
.LBB126_1041:
	s_andn2_saveexec_b32 s16, s16
	s_cbranch_execz .LBB126_1043
; %bb.1042:
	v_div_scale_f64 v[15:16], null, v[0:1], v[0:1], v[2:3]
	v_div_scale_f64 v[21:22], vcc_lo, v[2:3], v[0:1], v[2:3]
	v_rcp_f64_e32 v[17:18], v[15:16]
	v_fma_f64 v[19:20], -v[15:16], v[17:18], 1.0
	v_fma_f64 v[17:18], v[17:18], v[19:20], v[17:18]
	v_fma_f64 v[19:20], -v[15:16], v[17:18], 1.0
	v_fma_f64 v[17:18], v[17:18], v[19:20], v[17:18]
	v_mul_f64 v[19:20], v[21:22], v[17:18]
	v_fma_f64 v[15:16], -v[15:16], v[19:20], v[21:22]
	v_div_fmas_f64 v[15:16], v[15:16], v[17:18], v[19:20]
	v_div_fixup_f64 v[15:16], v[15:16], v[0:1], v[2:3]
	v_fma_f64 v[0:1], v[2:3], v[15:16], v[0:1]
	v_div_scale_f64 v[2:3], null, v[0:1], v[0:1], 1.0
	v_rcp_f64_e32 v[17:18], v[2:3]
	v_fma_f64 v[19:20], -v[2:3], v[17:18], 1.0
	v_fma_f64 v[17:18], v[17:18], v[19:20], v[17:18]
	v_fma_f64 v[19:20], -v[2:3], v[17:18], 1.0
	v_fma_f64 v[17:18], v[17:18], v[19:20], v[17:18]
	v_div_scale_f64 v[19:20], vcc_lo, 1.0, v[0:1], 1.0
	v_mul_f64 v[21:22], v[19:20], v[17:18]
	v_fma_f64 v[2:3], -v[2:3], v[21:22], v[19:20]
	v_div_fmas_f64 v[2:3], v[2:3], v[17:18], v[21:22]
	v_div_fixup_f64 v[0:1], v[2:3], v[0:1], 1.0
	v_mul_f64 v[2:3], v[15:16], -v[0:1]
.LBB126_1043:
	s_or_b32 exec_lo, exec_lo, s16
.LBB126_1044:
	s_or_b32 exec_lo, exec_lo, s4
	s_mov_b32 s4, exec_lo
	v_cmpx_ne_u32_e64 v5, v4
	s_xor_b32 s4, exec_lo, s4
	s_cbranch_execz .LBB126_1050
; %bb.1045:
	s_mov_b32 s16, exec_lo
	v_cmpx_eq_u32_e32 43, v5
	s_cbranch_execz .LBB126_1049
; %bb.1046:
	v_cmp_ne_u32_e32 vcc_lo, 43, v4
	s_xor_b32 s17, s20, -1
	s_and_b32 s56, s17, vcc_lo
	s_and_saveexec_b32 s17, s56
	s_cbranch_execz .LBB126_1048
; %bb.1047:
	v_ashrrev_i32_e32 v5, 31, v4
	v_lshlrev_b64 v[10:11], 2, v[4:5]
	v_add_co_u32 v10, vcc_lo, v8, v10
	v_add_co_ci_u32_e64 v11, null, v9, v11, vcc_lo
	s_clause 0x1
	global_load_dword v5, v[10:11], off
	global_load_dword v15, v[8:9], off offset:172
	s_waitcnt vmcnt(1)
	global_store_dword v[8:9], v5, off offset:172
	s_waitcnt vmcnt(0)
	global_store_dword v[10:11], v15, off
.LBB126_1048:
	s_or_b32 exec_lo, exec_lo, s17
	v_mov_b32_e32 v5, v4
	v_mov_b32_e32 v11, v4
.LBB126_1049:
	s_or_b32 exec_lo, exec_lo, s16
.LBB126_1050:
	s_andn2_saveexec_b32 s4, s4
	s_cbranch_execz .LBB126_1052
; %bb.1051:
	v_mov_b32_e32 v4, s38
	v_mov_b32_e32 v10, s36
	v_mov_b32_e32 v5, s37
	s_clause 0x7
	buffer_load_dword v15, v4, s[0:3], 0 offen
	buffer_load_dword v16, v4, s[0:3], 0 offen offset:4
	buffer_load_dword v17, v4, s[0:3], 0 offen offset:8
	buffer_load_dword v18, v4, s[0:3], 0 offen offset:12
	buffer_load_dword v19, v5, s[0:3], 0 offen
	buffer_load_dword v20, v5, s[0:3], 0 offen offset:4
	buffer_load_dword v21, v5, s[0:3], 0 offen offset:8
	buffer_load_dword v22, v5, s[0:3], 0 offen offset:12
	v_mov_b32_e32 v4, s35
	v_mov_b32_e32 v5, s34
	s_clause 0x7
	buffer_load_dword v23, v10, s[0:3], 0 offen
	buffer_load_dword v24, v10, s[0:3], 0 offen offset:4
	buffer_load_dword v25, v10, s[0:3], 0 offen offset:8
	buffer_load_dword v26, v10, s[0:3], 0 offen offset:12
	buffer_load_dword v27, v4, s[0:3], 0 offen
	buffer_load_dword v28, v4, s[0:3], 0 offen offset:4
	buffer_load_dword v29, v4, s[0:3], 0 offen offset:8
	buffer_load_dword v30, v4, s[0:3], 0 offen offset:12
	v_mov_b32_e32 v10, s31
	v_mov_b32_e32 v4, s33
	;; [unrolled: 11-line block ×8, first 2 shown]
	s_clause 0x7
	buffer_load_dword v79, v5, s[0:3], 0 offen
	buffer_load_dword v80, v5, s[0:3], 0 offen offset:4
	buffer_load_dword v81, v5, s[0:3], 0 offen offset:8
	;; [unrolled: 1-line block ×3, first 2 shown]
	buffer_load_dword v83, v4, s[0:3], 0 offen
	buffer_load_dword v84, v4, s[0:3], 0 offen offset:4
	buffer_load_dword v85, v4, s[0:3], 0 offen offset:8
	;; [unrolled: 1-line block ×3, first 2 shown]
	v_mov_b32_e32 v4, s5
	s_clause 0x7
	buffer_load_dword v87, v10, s[0:3], 0 offen
	buffer_load_dword v88, v10, s[0:3], 0 offen offset:4
	buffer_load_dword v89, v10, s[0:3], 0 offen offset:8
	buffer_load_dword v90, v10, s[0:3], 0 offen offset:12
	buffer_load_dword v91, v4, s[0:3], 0 offen
	buffer_load_dword v92, v4, s[0:3], 0 offen offset:4
	buffer_load_dword v93, v4, s[0:3], 0 offen offset:8
	;; [unrolled: 1-line block ×3, first 2 shown]
	v_mov_b32_e32 v5, 43
	s_waitcnt vmcnt(62)
	ds_write2_b64 v12, v[15:16], v[17:18] offset0:88 offset1:89
	ds_write2_b64 v12, v[19:20], v[21:22] offset0:90 offset1:91
	;; [unrolled: 1-line block ×4, first 2 shown]
	s_waitcnt vmcnt(60)
	ds_write2_b64 v12, v[31:32], v[33:34] offset0:96 offset1:97
	s_waitcnt vmcnt(56)
	ds_write2_b64 v12, v[35:36], v[37:38] offset0:98 offset1:99
	;; [unrolled: 2-line block ×16, first 2 shown]
.LBB126_1052:
	s_or_b32 exec_lo, exec_lo, s4
	s_mov_b32 s4, exec_lo
	s_waitcnt lgkmcnt(0)
	s_waitcnt_vscnt null, 0x0
	s_barrier
	buffer_gl0_inv
	v_cmpx_lt_i32_e32 43, v5
	s_cbranch_execz .LBB126_1055
; %bb.1053:
	s_clause 0x3
	buffer_load_dword v15, off, s[0:3], 0 offset:696
	buffer_load_dword v16, off, s[0:3], 0 offset:700
	;; [unrolled: 1-line block ×4, first 2 shown]
	v_add3_u32 v4, v14, 0, 0x2c0
	s_mov_b32 s83, 0
	s_waitcnt vmcnt(2)
	v_mul_f64 v[19:20], v[2:3], v[15:16]
	v_mul_f64 v[15:16], v[0:1], v[15:16]
	s_waitcnt vmcnt(0)
	v_fma_f64 v[0:1], v[0:1], v[17:18], -v[19:20]
	v_fma_f64 v[2:3], v[2:3], v[17:18], v[15:16]
	buffer_store_dword v0, off, s[0:3], 0 offset:688
	buffer_store_dword v1, off, s[0:3], 0 offset:692
	;; [unrolled: 1-line block ×4, first 2 shown]
.LBB126_1054:                           ; =>This Inner Loop Header: Depth=1
	v_mov_b32_e32 v10, s83
	v_add_nc_u32_e32 v31, s83, v4
	s_addk_i32 s83, 0x50
	s_clause 0x13
	buffer_load_dword v35, v10, s[0:3], 0 offen offset:704
	buffer_load_dword v36, v10, s[0:3], 0 offen offset:708
	;; [unrolled: 1-line block ×20, first 2 shown]
	ds_read2_b64 v[15:18], v31 offset1:1
	ds_read2_b64 v[19:22], v31 offset0:2 offset1:3
	ds_read2_b64 v[23:26], v31 offset0:4 offset1:5
	;; [unrolled: 1-line block ×4, first 2 shown]
	s_cmpk_lg_i32 s83, 0x140
	s_waitcnt lgkmcnt(4)
	v_mul_f64 v[55:56], v[17:18], v[2:3]
	v_mul_f64 v[57:58], v[15:16], v[2:3]
	s_waitcnt lgkmcnt(3)
	v_mul_f64 v[59:60], v[21:22], v[2:3]
	v_mul_f64 v[61:62], v[19:20], v[2:3]
	;; [unrolled: 3-line block ×5, first 2 shown]
	v_fma_f64 v[15:16], v[15:16], v[0:1], -v[55:56]
	v_fma_f64 v[17:18], v[17:18], v[0:1], v[57:58]
	v_fma_f64 v[19:20], v[19:20], v[0:1], -v[59:60]
	v_fma_f64 v[21:22], v[21:22], v[0:1], v[61:62]
	;; [unrolled: 2-line block ×5, first 2 shown]
	s_waitcnt vmcnt(18)
	v_add_f64 v[15:16], v[35:36], -v[15:16]
	s_waitcnt vmcnt(16)
	v_add_f64 v[17:18], v[37:38], -v[17:18]
	;; [unrolled: 2-line block ×10, first 2 shown]
	buffer_store_dword v15, v10, s[0:3], 0 offen offset:704
	buffer_store_dword v16, v10, s[0:3], 0 offen offset:708
	;; [unrolled: 1-line block ×20, first 2 shown]
	s_cbranch_scc1 .LBB126_1054
.LBB126_1055:
	s_or_b32 exec_lo, exec_lo, s4
	v_mov_b32_e32 v3, s38
	s_waitcnt_vscnt null, 0x0
	s_barrier
	buffer_gl0_inv
	v_lshl_add_u32 v4, v5, 4, v12
	s_clause 0x3
	buffer_load_dword v0, v3, s[0:3], 0 offen
	buffer_load_dword v1, v3, s[0:3], 0 offen offset:4
	buffer_load_dword v2, v3, s[0:3], 0 offen offset:8
	;; [unrolled: 1-line block ×3, first 2 shown]
	s_cmp_lt_i32 s57, 46
	s_waitcnt vmcnt(0)
	ds_write2_b64 v4, v[0:1], v[2:3] offset1:1
	s_waitcnt lgkmcnt(0)
	s_barrier
	buffer_gl0_inv
	ds_read2_b64 v[0:3], v12 offset0:88 offset1:89
	v_mov_b32_e32 v4, 44
	s_cbranch_scc1 .LBB126_1058
; %bb.1056:
	v_add3_u32 v10, v14, 0, 0x2d0
	v_mov_b32_e32 v4, 44
	s_mov_b32 s16, 45
	s_inst_prefetch 0x1
	.p2align	6
.LBB126_1057:                           ; =>This Inner Loop Header: Depth=1
	s_waitcnt lgkmcnt(0)
	v_cmp_gt_f64_e32 vcc_lo, 0, v[2:3]
	v_cmp_gt_f64_e64 s4, 0, v[0:1]
	ds_read2_b64 v[15:18], v10 offset1:1
	v_xor_b32_e32 v20, 0x80000000, v1
	v_xor_b32_e32 v22, 0x80000000, v3
	v_mov_b32_e32 v19, v0
	v_mov_b32_e32 v21, v2
	v_add_nc_u32_e32 v10, 16, v10
	s_waitcnt lgkmcnt(0)
	v_xor_b32_e32 v24, 0x80000000, v18
	v_cndmask_b32_e64 v20, v1, v20, s4
	v_cndmask_b32_e32 v22, v3, v22, vcc_lo
	v_cmp_gt_f64_e32 vcc_lo, 0, v[17:18]
	v_cmp_gt_f64_e64 s4, 0, v[15:16]
	v_mov_b32_e32 v23, v17
	v_add_f64 v[19:20], v[19:20], v[21:22]
	v_xor_b32_e32 v22, 0x80000000, v16
	v_mov_b32_e32 v21, v15
	v_cndmask_b32_e32 v24, v18, v24, vcc_lo
	v_cndmask_b32_e64 v22, v16, v22, s4
	v_add_f64 v[21:22], v[21:22], v[23:24]
	v_cmp_lt_f64_e32 vcc_lo, v[19:20], v[21:22]
	v_cndmask_b32_e32 v1, v1, v16, vcc_lo
	v_cndmask_b32_e32 v0, v0, v15, vcc_lo
	;; [unrolled: 1-line block ×4, first 2 shown]
	v_cndmask_b32_e64 v4, v4, s16, vcc_lo
	s_add_i32 s16, s16, 1
	s_cmp_lg_u32 s57, s16
	s_cbranch_scc1 .LBB126_1057
.LBB126_1058:
	s_inst_prefetch 0x2
	s_waitcnt lgkmcnt(0)
	v_cmp_eq_f64_e32 vcc_lo, 0, v[0:1]
	v_cmp_eq_f64_e64 s4, 0, v[2:3]
	s_and_b32 s4, vcc_lo, s4
	s_and_saveexec_b32 s16, s4
	s_xor_b32 s4, exec_lo, s16
; %bb.1059:
	v_cmp_ne_u32_e32 vcc_lo, 0, v13
	v_cndmask_b32_e32 v13, 45, v13, vcc_lo
; %bb.1060:
	s_andn2_saveexec_b32 s4, s4
	s_cbranch_execz .LBB126_1066
; %bb.1061:
	v_cmp_ngt_f64_e64 s16, |v[0:1]|, |v[2:3]|
	s_and_saveexec_b32 s17, s16
	s_xor_b32 s16, exec_lo, s17
	s_cbranch_execz .LBB126_1063
; %bb.1062:
	v_div_scale_f64 v[15:16], null, v[2:3], v[2:3], v[0:1]
	v_div_scale_f64 v[21:22], vcc_lo, v[0:1], v[2:3], v[0:1]
	v_rcp_f64_e32 v[17:18], v[15:16]
	v_fma_f64 v[19:20], -v[15:16], v[17:18], 1.0
	v_fma_f64 v[17:18], v[17:18], v[19:20], v[17:18]
	v_fma_f64 v[19:20], -v[15:16], v[17:18], 1.0
	v_fma_f64 v[17:18], v[17:18], v[19:20], v[17:18]
	v_mul_f64 v[19:20], v[21:22], v[17:18]
	v_fma_f64 v[15:16], -v[15:16], v[19:20], v[21:22]
	v_div_fmas_f64 v[15:16], v[15:16], v[17:18], v[19:20]
	v_div_fixup_f64 v[15:16], v[15:16], v[2:3], v[0:1]
	v_fma_f64 v[0:1], v[0:1], v[15:16], v[2:3]
	v_div_scale_f64 v[2:3], null, v[0:1], v[0:1], 1.0
	v_rcp_f64_e32 v[17:18], v[2:3]
	v_fma_f64 v[19:20], -v[2:3], v[17:18], 1.0
	v_fma_f64 v[17:18], v[17:18], v[19:20], v[17:18]
	v_fma_f64 v[19:20], -v[2:3], v[17:18], 1.0
	v_fma_f64 v[17:18], v[17:18], v[19:20], v[17:18]
	v_div_scale_f64 v[19:20], vcc_lo, 1.0, v[0:1], 1.0
	v_mul_f64 v[21:22], v[19:20], v[17:18]
	v_fma_f64 v[2:3], -v[2:3], v[21:22], v[19:20]
	v_div_fmas_f64 v[2:3], v[2:3], v[17:18], v[21:22]
	v_div_fixup_f64 v[2:3], v[2:3], v[0:1], 1.0
	v_mul_f64 v[0:1], v[15:16], v[2:3]
	v_xor_b32_e32 v3, 0x80000000, v3
.LBB126_1063:
	s_andn2_saveexec_b32 s16, s16
	s_cbranch_execz .LBB126_1065
; %bb.1064:
	v_div_scale_f64 v[15:16], null, v[0:1], v[0:1], v[2:3]
	v_div_scale_f64 v[21:22], vcc_lo, v[2:3], v[0:1], v[2:3]
	v_rcp_f64_e32 v[17:18], v[15:16]
	v_fma_f64 v[19:20], -v[15:16], v[17:18], 1.0
	v_fma_f64 v[17:18], v[17:18], v[19:20], v[17:18]
	v_fma_f64 v[19:20], -v[15:16], v[17:18], 1.0
	v_fma_f64 v[17:18], v[17:18], v[19:20], v[17:18]
	v_mul_f64 v[19:20], v[21:22], v[17:18]
	v_fma_f64 v[15:16], -v[15:16], v[19:20], v[21:22]
	v_div_fmas_f64 v[15:16], v[15:16], v[17:18], v[19:20]
	v_div_fixup_f64 v[15:16], v[15:16], v[0:1], v[2:3]
	v_fma_f64 v[0:1], v[2:3], v[15:16], v[0:1]
	v_div_scale_f64 v[2:3], null, v[0:1], v[0:1], 1.0
	v_rcp_f64_e32 v[17:18], v[2:3]
	v_fma_f64 v[19:20], -v[2:3], v[17:18], 1.0
	v_fma_f64 v[17:18], v[17:18], v[19:20], v[17:18]
	v_fma_f64 v[19:20], -v[2:3], v[17:18], 1.0
	v_fma_f64 v[17:18], v[17:18], v[19:20], v[17:18]
	v_div_scale_f64 v[19:20], vcc_lo, 1.0, v[0:1], 1.0
	v_mul_f64 v[21:22], v[19:20], v[17:18]
	v_fma_f64 v[2:3], -v[2:3], v[21:22], v[19:20]
	v_div_fmas_f64 v[2:3], v[2:3], v[17:18], v[21:22]
	v_div_fixup_f64 v[0:1], v[2:3], v[0:1], 1.0
	v_mul_f64 v[2:3], v[15:16], -v[0:1]
.LBB126_1065:
	s_or_b32 exec_lo, exec_lo, s16
.LBB126_1066:
	s_or_b32 exec_lo, exec_lo, s4
	s_mov_b32 s4, exec_lo
	v_cmpx_ne_u32_e64 v5, v4
	s_xor_b32 s4, exec_lo, s4
	s_cbranch_execz .LBB126_1072
; %bb.1067:
	s_mov_b32 s16, exec_lo
	v_cmpx_eq_u32_e32 44, v5
	s_cbranch_execz .LBB126_1071
; %bb.1068:
	v_cmp_ne_u32_e32 vcc_lo, 44, v4
	s_xor_b32 s17, s20, -1
	s_and_b32 s56, s17, vcc_lo
	s_and_saveexec_b32 s17, s56
	s_cbranch_execz .LBB126_1070
; %bb.1069:
	v_ashrrev_i32_e32 v5, 31, v4
	v_lshlrev_b64 v[10:11], 2, v[4:5]
	v_add_co_u32 v10, vcc_lo, v8, v10
	v_add_co_ci_u32_e64 v11, null, v9, v11, vcc_lo
	s_clause 0x1
	global_load_dword v5, v[10:11], off
	global_load_dword v15, v[8:9], off offset:176
	s_waitcnt vmcnt(1)
	global_store_dword v[8:9], v5, off offset:176
	s_waitcnt vmcnt(0)
	global_store_dword v[10:11], v15, off
.LBB126_1070:
	s_or_b32 exec_lo, exec_lo, s17
	v_mov_b32_e32 v5, v4
	v_mov_b32_e32 v11, v4
.LBB126_1071:
	s_or_b32 exec_lo, exec_lo, s16
.LBB126_1072:
	s_andn2_saveexec_b32 s4, s4
	s_cbranch_execz .LBB126_1074
; %bb.1073:
	v_mov_b32_e32 v4, s37
	v_mov_b32_e32 v5, s36
	;; [unrolled: 1-line block ×3, first 2 shown]
	s_clause 0x7
	buffer_load_dword v15, v4, s[0:3], 0 offen
	buffer_load_dword v16, v4, s[0:3], 0 offen offset:4
	buffer_load_dword v17, v4, s[0:3], 0 offen offset:8
	buffer_load_dword v18, v4, s[0:3], 0 offen offset:12
	buffer_load_dword v19, v5, s[0:3], 0 offen
	buffer_load_dword v20, v5, s[0:3], 0 offen offset:4
	buffer_load_dword v21, v5, s[0:3], 0 offen offset:8
	buffer_load_dword v22, v5, s[0:3], 0 offen offset:12
	v_mov_b32_e32 v5, s33
	v_mov_b32_e32 v4, s34
	s_clause 0x7
	buffer_load_dword v23, v10, s[0:3], 0 offen
	buffer_load_dword v24, v10, s[0:3], 0 offen offset:4
	buffer_load_dword v25, v10, s[0:3], 0 offen offset:8
	buffer_load_dword v26, v10, s[0:3], 0 offen offset:12
	buffer_load_dword v27, v4, s[0:3], 0 offen
	buffer_load_dword v28, v4, s[0:3], 0 offen offset:4
	buffer_load_dword v29, v4, s[0:3], 0 offen offset:8
	buffer_load_dword v30, v4, s[0:3], 0 offen offset:12
	v_mov_b32_e32 v4, s31
	v_mov_b32_e32 v10, s30
	;; [unrolled: 11-line block ×8, first 2 shown]
	s_clause 0xb
	buffer_load_dword v79, v5, s[0:3], 0 offen
	buffer_load_dword v80, v5, s[0:3], 0 offen offset:4
	buffer_load_dword v81, v5, s[0:3], 0 offen offset:8
	buffer_load_dword v82, v5, s[0:3], 0 offen offset:12
	buffer_load_dword v83, v4, s[0:3], 0 offen
	buffer_load_dword v84, v4, s[0:3], 0 offen offset:4
	buffer_load_dword v85, v4, s[0:3], 0 offen offset:8
	buffer_load_dword v86, v4, s[0:3], 0 offen offset:12
	;; [unrolled: 4-line block ×3, first 2 shown]
	v_mov_b32_e32 v5, 44
	s_waitcnt vmcnt(62)
	ds_write2_b64 v12, v[15:16], v[17:18] offset0:90 offset1:91
	ds_write2_b64 v12, v[19:20], v[21:22] offset0:92 offset1:93
	;; [unrolled: 1-line block ×3, first 2 shown]
	s_waitcnt vmcnt(60)
	ds_write2_b64 v12, v[27:28], v[29:30] offset0:96 offset1:97
	s_waitcnt vmcnt(56)
	ds_write2_b64 v12, v[31:32], v[33:34] offset0:98 offset1:99
	;; [unrolled: 2-line block ×16, first 2 shown]
.LBB126_1074:
	s_or_b32 exec_lo, exec_lo, s4
	s_mov_b32 s4, exec_lo
	s_waitcnt lgkmcnt(0)
	s_waitcnt_vscnt null, 0x0
	s_barrier
	buffer_gl0_inv
	v_cmpx_lt_i32_e32 44, v5
	s_cbranch_execz .LBB126_1079
; %bb.1075:
	s_clause 0x3
	buffer_load_dword v15, off, s[0:3], 0 offset:712
	buffer_load_dword v16, off, s[0:3], 0 offset:716
	;; [unrolled: 1-line block ×4, first 2 shown]
	v_add3_u32 v4, v14, 0, 0x2d0
	s_mov_b32 s16, 0
	s_waitcnt vmcnt(2)
	v_mul_f64 v[19:20], v[2:3], v[15:16]
	v_mul_f64 v[15:16], v[0:1], v[15:16]
	s_waitcnt vmcnt(0)
	v_fma_f64 v[0:1], v[0:1], v[17:18], -v[19:20]
	v_fma_f64 v[2:3], v[2:3], v[17:18], v[15:16]
	buffer_store_dword v0, off, s[0:3], 0 offset:704
	buffer_store_dword v1, off, s[0:3], 0 offset:708
	;; [unrolled: 1-line block ×4, first 2 shown]
	s_branch .LBB126_1077
.LBB126_1076:                           ;   in Loop: Header=BB126_1077 Depth=1
	s_andn2_b32 vcc_lo, exec_lo, s56
	s_cbranch_vccz .LBB126_1079
.LBB126_1077:                           ; =>This Inner Loop Header: Depth=1
	v_mov_b32_e32 v51, s16
	v_add_nc_u32_e32 v10, s16, v4
	s_mov_b32 s17, s16
	s_mov_b32 s56, -1
	s_cmpk_eq_i32 s16, 0x100
	s_clause 0xb
	buffer_load_dword v27, v51, s[0:3], 0 offen offset:720
	buffer_load_dword v28, v51, s[0:3], 0 offen offset:724
	;; [unrolled: 1-line block ×12, first 2 shown]
	ds_read2_b64 v[15:18], v10 offset1:1
	ds_read2_b64 v[19:22], v10 offset0:2 offset1:3
	ds_read2_b64 v[23:26], v10 offset0:4 offset1:5
	s_waitcnt lgkmcnt(2)
	v_mul_f64 v[39:40], v[17:18], v[2:3]
	v_mul_f64 v[41:42], v[15:16], v[2:3]
	s_waitcnt lgkmcnt(1)
	v_mul_f64 v[43:44], v[21:22], v[2:3]
	v_mul_f64 v[45:46], v[19:20], v[2:3]
	;; [unrolled: 3-line block ×3, first 2 shown]
	v_fma_f64 v[15:16], v[15:16], v[0:1], -v[39:40]
	v_fma_f64 v[17:18], v[17:18], v[0:1], v[41:42]
	v_fma_f64 v[19:20], v[19:20], v[0:1], -v[43:44]
	v_fma_f64 v[21:22], v[21:22], v[0:1], v[45:46]
	;; [unrolled: 2-line block ×3, first 2 shown]
	s_waitcnt vmcnt(10)
	v_add_f64 v[15:16], v[27:28], -v[15:16]
	s_waitcnt vmcnt(8)
	v_add_f64 v[17:18], v[29:30], -v[17:18]
	;; [unrolled: 2-line block ×6, first 2 shown]
	buffer_store_dword v15, v51, s[0:3], 0 offen offset:720
	buffer_store_dword v16, v51, s[0:3], 0 offen offset:724
	buffer_store_dword v17, v51, s[0:3], 0 offen offset:728
	buffer_store_dword v18, v51, s[0:3], 0 offen offset:732
	buffer_store_dword v19, v51, s[0:3], 0 offen offset:736
	buffer_store_dword v20, v51, s[0:3], 0 offen offset:740
	buffer_store_dword v21, v51, s[0:3], 0 offen offset:744
	buffer_store_dword v22, v51, s[0:3], 0 offen offset:748
	buffer_store_dword v23, v51, s[0:3], 0 offen offset:752
	buffer_store_dword v24, v51, s[0:3], 0 offen offset:756
	buffer_store_dword v25, v51, s[0:3], 0 offen offset:760
	buffer_store_dword v26, v51, s[0:3], 0 offen offset:764
	s_cbranch_scc1 .LBB126_1076
; %bb.1078:                             ;   in Loop: Header=BB126_1077 Depth=1
	v_mov_b32_e32 v27, s17
	s_add_i32 s16, s16, 64
	s_mov_b32 s56, 0
	s_clause 0x3
	buffer_load_dword v19, v27, s[0:3], 0 offen offset:768
	buffer_load_dword v20, v27, s[0:3], 0 offen offset:772
	buffer_load_dword v21, v27, s[0:3], 0 offen offset:776
	buffer_load_dword v22, v27, s[0:3], 0 offen offset:780
	ds_read2_b64 v[15:18], v10 offset0:6 offset1:7
	s_waitcnt lgkmcnt(0)
	v_mul_f64 v[23:24], v[17:18], v[2:3]
	v_mul_f64 v[25:26], v[15:16], v[2:3]
	v_fma_f64 v[15:16], v[15:16], v[0:1], -v[23:24]
	v_fma_f64 v[17:18], v[17:18], v[0:1], v[25:26]
	s_waitcnt vmcnt(2)
	v_add_f64 v[15:16], v[19:20], -v[15:16]
	s_waitcnt vmcnt(0)
	v_add_f64 v[17:18], v[21:22], -v[17:18]
	buffer_store_dword v15, v27, s[0:3], 0 offen offset:768
	buffer_store_dword v16, v27, s[0:3], 0 offen offset:772
	;; [unrolled: 1-line block ×4, first 2 shown]
	s_branch .LBB126_1076
.LBB126_1079:
	s_or_b32 exec_lo, exec_lo, s4
	v_mov_b32_e32 v3, s37
	s_waitcnt_vscnt null, 0x0
	s_barrier
	buffer_gl0_inv
	v_lshl_add_u32 v4, v5, 4, v12
	s_clause 0x3
	buffer_load_dword v0, v3, s[0:3], 0 offen
	buffer_load_dword v1, v3, s[0:3], 0 offen offset:4
	buffer_load_dword v2, v3, s[0:3], 0 offen offset:8
	buffer_load_dword v3, v3, s[0:3], 0 offen offset:12
	s_cmp_lt_i32 s57, 47
	s_waitcnt vmcnt(0)
	ds_write2_b64 v4, v[0:1], v[2:3] offset1:1
	s_waitcnt lgkmcnt(0)
	s_barrier
	buffer_gl0_inv
	ds_read2_b64 v[0:3], v12 offset0:90 offset1:91
	v_mov_b32_e32 v4, 45
	s_cbranch_scc1 .LBB126_1082
; %bb.1080:
	v_add3_u32 v10, v14, 0, 0x2e0
	v_mov_b32_e32 v4, 45
	s_mov_b32 s16, 46
	s_inst_prefetch 0x1
	.p2align	6
.LBB126_1081:                           ; =>This Inner Loop Header: Depth=1
	s_waitcnt lgkmcnt(0)
	v_cmp_gt_f64_e32 vcc_lo, 0, v[2:3]
	v_cmp_gt_f64_e64 s4, 0, v[0:1]
	ds_read2_b64 v[15:18], v10 offset1:1
	v_xor_b32_e32 v20, 0x80000000, v1
	v_xor_b32_e32 v22, 0x80000000, v3
	v_mov_b32_e32 v19, v0
	v_mov_b32_e32 v21, v2
	v_add_nc_u32_e32 v10, 16, v10
	s_waitcnt lgkmcnt(0)
	v_xor_b32_e32 v24, 0x80000000, v18
	v_cndmask_b32_e64 v20, v1, v20, s4
	v_cndmask_b32_e32 v22, v3, v22, vcc_lo
	v_cmp_gt_f64_e32 vcc_lo, 0, v[17:18]
	v_cmp_gt_f64_e64 s4, 0, v[15:16]
	v_mov_b32_e32 v23, v17
	v_add_f64 v[19:20], v[19:20], v[21:22]
	v_xor_b32_e32 v22, 0x80000000, v16
	v_mov_b32_e32 v21, v15
	v_cndmask_b32_e32 v24, v18, v24, vcc_lo
	v_cndmask_b32_e64 v22, v16, v22, s4
	v_add_f64 v[21:22], v[21:22], v[23:24]
	v_cmp_lt_f64_e32 vcc_lo, v[19:20], v[21:22]
	v_cndmask_b32_e32 v1, v1, v16, vcc_lo
	v_cndmask_b32_e32 v0, v0, v15, vcc_lo
	;; [unrolled: 1-line block ×4, first 2 shown]
	v_cndmask_b32_e64 v4, v4, s16, vcc_lo
	s_add_i32 s16, s16, 1
	s_cmp_lg_u32 s57, s16
	s_cbranch_scc1 .LBB126_1081
.LBB126_1082:
	s_inst_prefetch 0x2
	s_waitcnt lgkmcnt(0)
	v_cmp_eq_f64_e32 vcc_lo, 0, v[0:1]
	v_cmp_eq_f64_e64 s4, 0, v[2:3]
	s_and_b32 s4, vcc_lo, s4
	s_and_saveexec_b32 s16, s4
	s_xor_b32 s4, exec_lo, s16
; %bb.1083:
	v_cmp_ne_u32_e32 vcc_lo, 0, v13
	v_cndmask_b32_e32 v13, 46, v13, vcc_lo
; %bb.1084:
	s_andn2_saveexec_b32 s4, s4
	s_cbranch_execz .LBB126_1090
; %bb.1085:
	v_cmp_ngt_f64_e64 s16, |v[0:1]|, |v[2:3]|
	s_and_saveexec_b32 s17, s16
	s_xor_b32 s16, exec_lo, s17
	s_cbranch_execz .LBB126_1087
; %bb.1086:
	v_div_scale_f64 v[15:16], null, v[2:3], v[2:3], v[0:1]
	v_div_scale_f64 v[21:22], vcc_lo, v[0:1], v[2:3], v[0:1]
	v_rcp_f64_e32 v[17:18], v[15:16]
	v_fma_f64 v[19:20], -v[15:16], v[17:18], 1.0
	v_fma_f64 v[17:18], v[17:18], v[19:20], v[17:18]
	v_fma_f64 v[19:20], -v[15:16], v[17:18], 1.0
	v_fma_f64 v[17:18], v[17:18], v[19:20], v[17:18]
	v_mul_f64 v[19:20], v[21:22], v[17:18]
	v_fma_f64 v[15:16], -v[15:16], v[19:20], v[21:22]
	v_div_fmas_f64 v[15:16], v[15:16], v[17:18], v[19:20]
	v_div_fixup_f64 v[15:16], v[15:16], v[2:3], v[0:1]
	v_fma_f64 v[0:1], v[0:1], v[15:16], v[2:3]
	v_div_scale_f64 v[2:3], null, v[0:1], v[0:1], 1.0
	v_rcp_f64_e32 v[17:18], v[2:3]
	v_fma_f64 v[19:20], -v[2:3], v[17:18], 1.0
	v_fma_f64 v[17:18], v[17:18], v[19:20], v[17:18]
	v_fma_f64 v[19:20], -v[2:3], v[17:18], 1.0
	v_fma_f64 v[17:18], v[17:18], v[19:20], v[17:18]
	v_div_scale_f64 v[19:20], vcc_lo, 1.0, v[0:1], 1.0
	v_mul_f64 v[21:22], v[19:20], v[17:18]
	v_fma_f64 v[2:3], -v[2:3], v[21:22], v[19:20]
	v_div_fmas_f64 v[2:3], v[2:3], v[17:18], v[21:22]
	v_div_fixup_f64 v[2:3], v[2:3], v[0:1], 1.0
	v_mul_f64 v[0:1], v[15:16], v[2:3]
	v_xor_b32_e32 v3, 0x80000000, v3
.LBB126_1087:
	s_andn2_saveexec_b32 s16, s16
	s_cbranch_execz .LBB126_1089
; %bb.1088:
	v_div_scale_f64 v[15:16], null, v[0:1], v[0:1], v[2:3]
	v_div_scale_f64 v[21:22], vcc_lo, v[2:3], v[0:1], v[2:3]
	v_rcp_f64_e32 v[17:18], v[15:16]
	v_fma_f64 v[19:20], -v[15:16], v[17:18], 1.0
	v_fma_f64 v[17:18], v[17:18], v[19:20], v[17:18]
	v_fma_f64 v[19:20], -v[15:16], v[17:18], 1.0
	v_fma_f64 v[17:18], v[17:18], v[19:20], v[17:18]
	v_mul_f64 v[19:20], v[21:22], v[17:18]
	v_fma_f64 v[15:16], -v[15:16], v[19:20], v[21:22]
	v_div_fmas_f64 v[15:16], v[15:16], v[17:18], v[19:20]
	v_div_fixup_f64 v[15:16], v[15:16], v[0:1], v[2:3]
	v_fma_f64 v[0:1], v[2:3], v[15:16], v[0:1]
	v_div_scale_f64 v[2:3], null, v[0:1], v[0:1], 1.0
	v_rcp_f64_e32 v[17:18], v[2:3]
	v_fma_f64 v[19:20], -v[2:3], v[17:18], 1.0
	v_fma_f64 v[17:18], v[17:18], v[19:20], v[17:18]
	v_fma_f64 v[19:20], -v[2:3], v[17:18], 1.0
	v_fma_f64 v[17:18], v[17:18], v[19:20], v[17:18]
	v_div_scale_f64 v[19:20], vcc_lo, 1.0, v[0:1], 1.0
	v_mul_f64 v[21:22], v[19:20], v[17:18]
	v_fma_f64 v[2:3], -v[2:3], v[21:22], v[19:20]
	v_div_fmas_f64 v[2:3], v[2:3], v[17:18], v[21:22]
	v_div_fixup_f64 v[0:1], v[2:3], v[0:1], 1.0
	v_mul_f64 v[2:3], v[15:16], -v[0:1]
.LBB126_1089:
	s_or_b32 exec_lo, exec_lo, s16
.LBB126_1090:
	s_or_b32 exec_lo, exec_lo, s4
	s_mov_b32 s4, exec_lo
	v_cmpx_ne_u32_e64 v5, v4
	s_xor_b32 s4, exec_lo, s4
	s_cbranch_execz .LBB126_1096
; %bb.1091:
	s_mov_b32 s16, exec_lo
	v_cmpx_eq_u32_e32 45, v5
	s_cbranch_execz .LBB126_1095
; %bb.1092:
	v_cmp_ne_u32_e32 vcc_lo, 45, v4
	s_xor_b32 s17, s20, -1
	s_and_b32 s56, s17, vcc_lo
	s_and_saveexec_b32 s17, s56
	s_cbranch_execz .LBB126_1094
; %bb.1093:
	v_ashrrev_i32_e32 v5, 31, v4
	v_lshlrev_b64 v[10:11], 2, v[4:5]
	v_add_co_u32 v10, vcc_lo, v8, v10
	v_add_co_ci_u32_e64 v11, null, v9, v11, vcc_lo
	s_clause 0x1
	global_load_dword v5, v[10:11], off
	global_load_dword v15, v[8:9], off offset:180
	s_waitcnt vmcnt(1)
	global_store_dword v[8:9], v5, off offset:180
	s_waitcnt vmcnt(0)
	global_store_dword v[10:11], v15, off
.LBB126_1094:
	s_or_b32 exec_lo, exec_lo, s17
	v_mov_b32_e32 v5, v4
	v_mov_b32_e32 v11, v4
.LBB126_1095:
	s_or_b32 exec_lo, exec_lo, s16
.LBB126_1096:
	s_andn2_saveexec_b32 s4, s4
	s_cbranch_execz .LBB126_1098
; %bb.1097:
	v_mov_b32_e32 v4, s36
	v_mov_b32_e32 v5, s35
	;; [unrolled: 1-line block ×3, first 2 shown]
	s_clause 0x7
	buffer_load_dword v15, v4, s[0:3], 0 offen
	buffer_load_dword v16, v4, s[0:3], 0 offen offset:4
	buffer_load_dword v17, v4, s[0:3], 0 offen offset:8
	buffer_load_dword v18, v4, s[0:3], 0 offen offset:12
	buffer_load_dword v19, v5, s[0:3], 0 offen
	buffer_load_dword v20, v5, s[0:3], 0 offen offset:4
	buffer_load_dword v21, v5, s[0:3], 0 offen offset:8
	buffer_load_dword v22, v5, s[0:3], 0 offen offset:12
	v_mov_b32_e32 v5, s31
	v_mov_b32_e32 v4, s33
	s_clause 0x7
	buffer_load_dword v23, v10, s[0:3], 0 offen
	buffer_load_dword v24, v10, s[0:3], 0 offen offset:4
	buffer_load_dword v25, v10, s[0:3], 0 offen offset:8
	buffer_load_dword v26, v10, s[0:3], 0 offen offset:12
	buffer_load_dword v27, v4, s[0:3], 0 offen
	buffer_load_dword v28, v4, s[0:3], 0 offen offset:4
	buffer_load_dword v29, v4, s[0:3], 0 offen offset:8
	buffer_load_dword v30, v4, s[0:3], 0 offen offset:12
	v_mov_b32_e32 v4, s30
	v_mov_b32_e32 v10, s29
	;; [unrolled: 11-line block ×7, first 2 shown]
	s_clause 0x7
	buffer_load_dword v71, v10, s[0:3], 0 offen
	buffer_load_dword v72, v10, s[0:3], 0 offen offset:4
	buffer_load_dword v73, v10, s[0:3], 0 offen offset:8
	;; [unrolled: 1-line block ×3, first 2 shown]
	buffer_load_dword v75, v4, s[0:3], 0 offen
	buffer_load_dword v76, v4, s[0:3], 0 offen offset:4
	buffer_load_dword v77, v4, s[0:3], 0 offen offset:8
	;; [unrolled: 1-line block ×3, first 2 shown]
	v_mov_b32_e32 v4, s5
	s_clause 0x7
	buffer_load_dword v79, v5, s[0:3], 0 offen
	buffer_load_dword v80, v5, s[0:3], 0 offen offset:4
	buffer_load_dword v81, v5, s[0:3], 0 offen offset:8
	;; [unrolled: 1-line block ×3, first 2 shown]
	buffer_load_dword v83, v4, s[0:3], 0 offen
	buffer_load_dword v84, v4, s[0:3], 0 offen offset:4
	buffer_load_dword v85, v4, s[0:3], 0 offen offset:8
	;; [unrolled: 1-line block ×3, first 2 shown]
	v_mov_b32_e32 v5, 45
	s_waitcnt vmcnt(62)
	ds_write2_b64 v12, v[15:16], v[17:18] offset0:92 offset1:93
	ds_write2_b64 v12, v[19:20], v[21:22] offset0:94 offset1:95
	s_waitcnt vmcnt(60)
	ds_write2_b64 v12, v[23:24], v[25:26] offset0:96 offset1:97
	s_waitcnt vmcnt(56)
	;; [unrolled: 2-line block ×16, first 2 shown]
	ds_write2_b64 v12, v[83:84], v[85:86] offset0:126 offset1:127
.LBB126_1098:
	s_or_b32 exec_lo, exec_lo, s4
	s_mov_b32 s4, exec_lo
	s_waitcnt lgkmcnt(0)
	s_waitcnt_vscnt null, 0x0
	s_barrier
	buffer_gl0_inv
	v_cmpx_lt_i32_e32 45, v5
	s_cbranch_execz .LBB126_1101
; %bb.1099:
	s_clause 0x3
	buffer_load_dword v15, off, s[0:3], 0 offset:728
	buffer_load_dword v16, off, s[0:3], 0 offset:732
	;; [unrolled: 1-line block ×4, first 2 shown]
	v_add3_u32 v4, v14, 0, 0x2e0
	s_mov_b32 s83, 0
	s_waitcnt vmcnt(2)
	v_mul_f64 v[19:20], v[2:3], v[15:16]
	v_mul_f64 v[15:16], v[0:1], v[15:16]
	s_waitcnt vmcnt(0)
	v_fma_f64 v[0:1], v[0:1], v[17:18], -v[19:20]
	v_fma_f64 v[2:3], v[2:3], v[17:18], v[15:16]
	buffer_store_dword v0, off, s[0:3], 0 offset:720
	buffer_store_dword v1, off, s[0:3], 0 offset:724
	;; [unrolled: 1-line block ×4, first 2 shown]
.LBB126_1100:                           ; =>This Inner Loop Header: Depth=1
	v_mov_b32_e32 v10, s83
	v_add_nc_u32_e32 v35, s83, v4
	s_addk_i32 s83, 0x60
	s_clause 0x17
	buffer_load_dword v39, v10, s[0:3], 0 offen offset:736
	buffer_load_dword v40, v10, s[0:3], 0 offen offset:740
	;; [unrolled: 1-line block ×24, first 2 shown]
	ds_read2_b64 v[15:18], v35 offset1:1
	ds_read2_b64 v[19:22], v35 offset0:2 offset1:3
	ds_read2_b64 v[23:26], v35 offset0:4 offset1:5
	;; [unrolled: 1-line block ×5, first 2 shown]
	s_cmpk_lg_i32 s83, 0x120
	s_waitcnt lgkmcnt(5)
	v_mul_f64 v[63:64], v[17:18], v[2:3]
	v_mul_f64 v[65:66], v[15:16], v[2:3]
	s_waitcnt lgkmcnt(4)
	v_mul_f64 v[67:68], v[21:22], v[2:3]
	v_mul_f64 v[69:70], v[19:20], v[2:3]
	;; [unrolled: 3-line block ×6, first 2 shown]
	v_fma_f64 v[15:16], v[15:16], v[0:1], -v[63:64]
	v_fma_f64 v[17:18], v[17:18], v[0:1], v[65:66]
	v_fma_f64 v[19:20], v[19:20], v[0:1], -v[67:68]
	v_fma_f64 v[21:22], v[21:22], v[0:1], v[69:70]
	v_fma_f64 v[23:24], v[23:24], v[0:1], -v[71:72]
	v_fma_f64 v[25:26], v[25:26], v[0:1], v[73:74]
	v_fma_f64 v[27:28], v[27:28], v[0:1], -v[75:76]
	v_fma_f64 v[29:30], v[29:30], v[0:1], v[77:78]
	v_fma_f64 v[31:32], v[31:32], v[0:1], -v[79:80]
	v_fma_f64 v[33:34], v[33:34], v[0:1], v[81:82]
	v_fma_f64 v[35:36], v[35:36], v[0:1], -v[83:84]
	v_fma_f64 v[37:38], v[37:38], v[0:1], v[85:86]
	s_waitcnt vmcnt(22)
	v_add_f64 v[15:16], v[39:40], -v[15:16]
	s_waitcnt vmcnt(20)
	v_add_f64 v[17:18], v[41:42], -v[17:18]
	s_waitcnt vmcnt(18)
	v_add_f64 v[19:20], v[43:44], -v[19:20]
	s_waitcnt vmcnt(16)
	v_add_f64 v[21:22], v[45:46], -v[21:22]
	s_waitcnt vmcnt(14)
	v_add_f64 v[23:24], v[47:48], -v[23:24]
	s_waitcnt vmcnt(12)
	v_add_f64 v[25:26], v[49:50], -v[25:26]
	s_waitcnt vmcnt(10)
	v_add_f64 v[27:28], v[51:52], -v[27:28]
	s_waitcnt vmcnt(8)
	v_add_f64 v[29:30], v[53:54], -v[29:30]
	s_waitcnt vmcnt(6)
	v_add_f64 v[31:32], v[55:56], -v[31:32]
	s_waitcnt vmcnt(4)
	v_add_f64 v[33:34], v[57:58], -v[33:34]
	s_waitcnt vmcnt(2)
	v_add_f64 v[35:36], v[59:60], -v[35:36]
	s_waitcnt vmcnt(0)
	v_add_f64 v[37:38], v[61:62], -v[37:38]
	buffer_store_dword v15, v10, s[0:3], 0 offen offset:736
	buffer_store_dword v16, v10, s[0:3], 0 offen offset:740
	;; [unrolled: 1-line block ×24, first 2 shown]
	s_cbranch_scc1 .LBB126_1100
.LBB126_1101:
	s_or_b32 exec_lo, exec_lo, s4
	v_mov_b32_e32 v3, s36
	s_waitcnt_vscnt null, 0x0
	s_barrier
	buffer_gl0_inv
	v_lshl_add_u32 v4, v5, 4, v12
	s_clause 0x3
	buffer_load_dword v0, v3, s[0:3], 0 offen
	buffer_load_dword v1, v3, s[0:3], 0 offen offset:4
	buffer_load_dword v2, v3, s[0:3], 0 offen offset:8
	;; [unrolled: 1-line block ×3, first 2 shown]
	s_cmp_lt_i32 s57, 48
	s_waitcnt vmcnt(0)
	ds_write2_b64 v4, v[0:1], v[2:3] offset1:1
	s_waitcnt lgkmcnt(0)
	s_barrier
	buffer_gl0_inv
	ds_read2_b64 v[0:3], v12 offset0:92 offset1:93
	v_mov_b32_e32 v4, 46
	s_cbranch_scc1 .LBB126_1104
; %bb.1102:
	v_add3_u32 v10, v14, 0, 0x2f0
	v_mov_b32_e32 v4, 46
	s_mov_b32 s16, 47
	s_inst_prefetch 0x1
	.p2align	6
.LBB126_1103:                           ; =>This Inner Loop Header: Depth=1
	s_waitcnt lgkmcnt(0)
	v_cmp_gt_f64_e32 vcc_lo, 0, v[2:3]
	v_cmp_gt_f64_e64 s4, 0, v[0:1]
	ds_read2_b64 v[15:18], v10 offset1:1
	v_xor_b32_e32 v20, 0x80000000, v1
	v_xor_b32_e32 v22, 0x80000000, v3
	v_mov_b32_e32 v19, v0
	v_mov_b32_e32 v21, v2
	v_add_nc_u32_e32 v10, 16, v10
	s_waitcnt lgkmcnt(0)
	v_xor_b32_e32 v24, 0x80000000, v18
	v_cndmask_b32_e64 v20, v1, v20, s4
	v_cndmask_b32_e32 v22, v3, v22, vcc_lo
	v_cmp_gt_f64_e32 vcc_lo, 0, v[17:18]
	v_cmp_gt_f64_e64 s4, 0, v[15:16]
	v_mov_b32_e32 v23, v17
	v_add_f64 v[19:20], v[19:20], v[21:22]
	v_xor_b32_e32 v22, 0x80000000, v16
	v_mov_b32_e32 v21, v15
	v_cndmask_b32_e32 v24, v18, v24, vcc_lo
	v_cndmask_b32_e64 v22, v16, v22, s4
	v_add_f64 v[21:22], v[21:22], v[23:24]
	v_cmp_lt_f64_e32 vcc_lo, v[19:20], v[21:22]
	v_cndmask_b32_e32 v1, v1, v16, vcc_lo
	v_cndmask_b32_e32 v0, v0, v15, vcc_lo
	;; [unrolled: 1-line block ×4, first 2 shown]
	v_cndmask_b32_e64 v4, v4, s16, vcc_lo
	s_add_i32 s16, s16, 1
	s_cmp_lg_u32 s57, s16
	s_cbranch_scc1 .LBB126_1103
.LBB126_1104:
	s_inst_prefetch 0x2
	s_waitcnt lgkmcnt(0)
	v_cmp_eq_f64_e32 vcc_lo, 0, v[0:1]
	v_cmp_eq_f64_e64 s4, 0, v[2:3]
	s_and_b32 s4, vcc_lo, s4
	s_and_saveexec_b32 s16, s4
	s_xor_b32 s4, exec_lo, s16
; %bb.1105:
	v_cmp_ne_u32_e32 vcc_lo, 0, v13
	v_cndmask_b32_e32 v13, 47, v13, vcc_lo
; %bb.1106:
	s_andn2_saveexec_b32 s4, s4
	s_cbranch_execz .LBB126_1112
; %bb.1107:
	v_cmp_ngt_f64_e64 s16, |v[0:1]|, |v[2:3]|
	s_and_saveexec_b32 s17, s16
	s_xor_b32 s16, exec_lo, s17
	s_cbranch_execz .LBB126_1109
; %bb.1108:
	v_div_scale_f64 v[15:16], null, v[2:3], v[2:3], v[0:1]
	v_div_scale_f64 v[21:22], vcc_lo, v[0:1], v[2:3], v[0:1]
	v_rcp_f64_e32 v[17:18], v[15:16]
	v_fma_f64 v[19:20], -v[15:16], v[17:18], 1.0
	v_fma_f64 v[17:18], v[17:18], v[19:20], v[17:18]
	v_fma_f64 v[19:20], -v[15:16], v[17:18], 1.0
	v_fma_f64 v[17:18], v[17:18], v[19:20], v[17:18]
	v_mul_f64 v[19:20], v[21:22], v[17:18]
	v_fma_f64 v[15:16], -v[15:16], v[19:20], v[21:22]
	v_div_fmas_f64 v[15:16], v[15:16], v[17:18], v[19:20]
	v_div_fixup_f64 v[15:16], v[15:16], v[2:3], v[0:1]
	v_fma_f64 v[0:1], v[0:1], v[15:16], v[2:3]
	v_div_scale_f64 v[2:3], null, v[0:1], v[0:1], 1.0
	v_rcp_f64_e32 v[17:18], v[2:3]
	v_fma_f64 v[19:20], -v[2:3], v[17:18], 1.0
	v_fma_f64 v[17:18], v[17:18], v[19:20], v[17:18]
	v_fma_f64 v[19:20], -v[2:3], v[17:18], 1.0
	v_fma_f64 v[17:18], v[17:18], v[19:20], v[17:18]
	v_div_scale_f64 v[19:20], vcc_lo, 1.0, v[0:1], 1.0
	v_mul_f64 v[21:22], v[19:20], v[17:18]
	v_fma_f64 v[2:3], -v[2:3], v[21:22], v[19:20]
	v_div_fmas_f64 v[2:3], v[2:3], v[17:18], v[21:22]
	v_div_fixup_f64 v[2:3], v[2:3], v[0:1], 1.0
	v_mul_f64 v[0:1], v[15:16], v[2:3]
	v_xor_b32_e32 v3, 0x80000000, v3
.LBB126_1109:
	s_andn2_saveexec_b32 s16, s16
	s_cbranch_execz .LBB126_1111
; %bb.1110:
	v_div_scale_f64 v[15:16], null, v[0:1], v[0:1], v[2:3]
	v_div_scale_f64 v[21:22], vcc_lo, v[2:3], v[0:1], v[2:3]
	v_rcp_f64_e32 v[17:18], v[15:16]
	v_fma_f64 v[19:20], -v[15:16], v[17:18], 1.0
	v_fma_f64 v[17:18], v[17:18], v[19:20], v[17:18]
	v_fma_f64 v[19:20], -v[15:16], v[17:18], 1.0
	v_fma_f64 v[17:18], v[17:18], v[19:20], v[17:18]
	v_mul_f64 v[19:20], v[21:22], v[17:18]
	v_fma_f64 v[15:16], -v[15:16], v[19:20], v[21:22]
	v_div_fmas_f64 v[15:16], v[15:16], v[17:18], v[19:20]
	v_div_fixup_f64 v[15:16], v[15:16], v[0:1], v[2:3]
	v_fma_f64 v[0:1], v[2:3], v[15:16], v[0:1]
	v_div_scale_f64 v[2:3], null, v[0:1], v[0:1], 1.0
	v_rcp_f64_e32 v[17:18], v[2:3]
	v_fma_f64 v[19:20], -v[2:3], v[17:18], 1.0
	v_fma_f64 v[17:18], v[17:18], v[19:20], v[17:18]
	v_fma_f64 v[19:20], -v[2:3], v[17:18], 1.0
	v_fma_f64 v[17:18], v[17:18], v[19:20], v[17:18]
	v_div_scale_f64 v[19:20], vcc_lo, 1.0, v[0:1], 1.0
	v_mul_f64 v[21:22], v[19:20], v[17:18]
	v_fma_f64 v[2:3], -v[2:3], v[21:22], v[19:20]
	v_div_fmas_f64 v[2:3], v[2:3], v[17:18], v[21:22]
	v_div_fixup_f64 v[0:1], v[2:3], v[0:1], 1.0
	v_mul_f64 v[2:3], v[15:16], -v[0:1]
.LBB126_1111:
	s_or_b32 exec_lo, exec_lo, s16
.LBB126_1112:
	s_or_b32 exec_lo, exec_lo, s4
	s_mov_b32 s4, exec_lo
	v_cmpx_ne_u32_e64 v5, v4
	s_xor_b32 s4, exec_lo, s4
	s_cbranch_execz .LBB126_1118
; %bb.1113:
	s_mov_b32 s16, exec_lo
	v_cmpx_eq_u32_e32 46, v5
	s_cbranch_execz .LBB126_1117
; %bb.1114:
	v_cmp_ne_u32_e32 vcc_lo, 46, v4
	s_xor_b32 s17, s20, -1
	s_and_b32 s56, s17, vcc_lo
	s_and_saveexec_b32 s17, s56
	s_cbranch_execz .LBB126_1116
; %bb.1115:
	v_ashrrev_i32_e32 v5, 31, v4
	v_lshlrev_b64 v[10:11], 2, v[4:5]
	v_add_co_u32 v10, vcc_lo, v8, v10
	v_add_co_ci_u32_e64 v11, null, v9, v11, vcc_lo
	s_clause 0x1
	global_load_dword v5, v[10:11], off
	global_load_dword v15, v[8:9], off offset:184
	s_waitcnt vmcnt(1)
	global_store_dword v[8:9], v5, off offset:184
	s_waitcnt vmcnt(0)
	global_store_dword v[10:11], v15, off
.LBB126_1116:
	s_or_b32 exec_lo, exec_lo, s17
	v_mov_b32_e32 v5, v4
	v_mov_b32_e32 v11, v4
.LBB126_1117:
	s_or_b32 exec_lo, exec_lo, s16
.LBB126_1118:
	s_andn2_saveexec_b32 s4, s4
	s_cbranch_execz .LBB126_1120
; %bb.1119:
	v_mov_b32_e32 v4, s35
	v_mov_b32_e32 v10, s33
	;; [unrolled: 1-line block ×3, first 2 shown]
	s_clause 0x7
	buffer_load_dword v15, v4, s[0:3], 0 offen
	buffer_load_dword v16, v4, s[0:3], 0 offen offset:4
	buffer_load_dword v17, v4, s[0:3], 0 offen offset:8
	buffer_load_dword v18, v4, s[0:3], 0 offen offset:12
	buffer_load_dword v19, v5, s[0:3], 0 offen
	buffer_load_dword v20, v5, s[0:3], 0 offen offset:4
	buffer_load_dword v21, v5, s[0:3], 0 offen offset:8
	buffer_load_dword v22, v5, s[0:3], 0 offen offset:12
	v_mov_b32_e32 v4, s31
	v_mov_b32_e32 v5, s30
	s_clause 0x7
	buffer_load_dword v23, v10, s[0:3], 0 offen
	buffer_load_dword v24, v10, s[0:3], 0 offen offset:4
	buffer_load_dword v25, v10, s[0:3], 0 offen offset:8
	buffer_load_dword v26, v10, s[0:3], 0 offen offset:12
	buffer_load_dword v27, v4, s[0:3], 0 offen
	buffer_load_dword v28, v4, s[0:3], 0 offen offset:4
	buffer_load_dword v29, v4, s[0:3], 0 offen offset:8
	buffer_load_dword v30, v4, s[0:3], 0 offen offset:12
	v_mov_b32_e32 v10, s28
	v_mov_b32_e32 v4, s29
	;; [unrolled: 11-line block ×7, first 2 shown]
	s_clause 0xb
	buffer_load_dword v71, v10, s[0:3], 0 offen
	buffer_load_dword v72, v10, s[0:3], 0 offen offset:4
	buffer_load_dword v73, v10, s[0:3], 0 offen offset:8
	buffer_load_dword v74, v10, s[0:3], 0 offen offset:12
	buffer_load_dword v75, v4, s[0:3], 0 offen
	buffer_load_dword v76, v4, s[0:3], 0 offen offset:4
	buffer_load_dword v77, v4, s[0:3], 0 offen offset:8
	buffer_load_dword v78, v4, s[0:3], 0 offen offset:12
	;; [unrolled: 4-line block ×3, first 2 shown]
	v_mov_b32_e32 v5, 46
	s_waitcnt vmcnt(62)
	ds_write2_b64 v12, v[15:16], v[17:18] offset0:94 offset1:95
	s_waitcnt vmcnt(60)
	ds_write2_b64 v12, v[19:20], v[21:22] offset0:96 offset1:97
	;; [unrolled: 2-line block ×17, first 2 shown]
.LBB126_1120:
	s_or_b32 exec_lo, exec_lo, s4
	s_mov_b32 s4, exec_lo
	s_waitcnt lgkmcnt(0)
	s_waitcnt_vscnt null, 0x0
	s_barrier
	buffer_gl0_inv
	v_cmpx_lt_i32_e32 46, v5
	s_cbranch_execz .LBB126_1122
; %bb.1121:
	s_clause 0x1b
	buffer_load_dword v15, off, s[0:3], 0 offset:744
	buffer_load_dword v16, off, s[0:3], 0 offset:748
	;; [unrolled: 1-line block ×28, first 2 shown]
	s_waitcnt vmcnt(26)
	v_mul_f64 v[19:20], v[0:1], v[15:16]
	v_mul_f64 v[15:16], v[2:3], v[15:16]
	s_waitcnt vmcnt(24)
	v_fma_f64 v[59:60], v[2:3], v[17:18], v[19:20]
	v_fma_f64 v[61:62], v[0:1], v[17:18], -v[15:16]
	buffer_store_dword v59, off, s[0:3], 0 offset:744
	buffer_store_dword v60, off, s[0:3], 0 offset:748
	s_clause 0x3
	buffer_load_dword v63, off, s[0:3], 0 offset:744
	buffer_load_dword v64, off, s[0:3], 0 offset:748
	buffer_load_dword v66, off, s[0:3], 0 offset:748
	buffer_load_dword v65, off, s[0:3], 0 offset:744
	buffer_store_dword v61, off, s[0:3], 0 offset:736
	buffer_store_dword v62, off, s[0:3], 0 offset:740
	s_clause 0x2f
	buffer_load_dword v67, off, s[0:3], 0 offset:736
	buffer_load_dword v68, off, s[0:3], 0 offset:740
	;; [unrolled: 1-line block ×48, first 2 shown]
	ds_read2_b64 v[0:3], v12 offset0:94 offset1:95
	ds_read2_b64 v[15:18], v12 offset0:96 offset1:97
	;; [unrolled: 1-line block ×6, first 2 shown]
	s_waitcnt lgkmcnt(5)
	v_mul_f64 v[115:116], v[2:3], v[59:60]
	v_mul_f64 v[117:118], v[0:1], v[59:60]
	s_waitcnt lgkmcnt(4)
	v_mul_f64 v[119:120], v[17:18], v[59:60]
	v_mul_f64 v[121:122], v[15:16], v[59:60]
	;; [unrolled: 3-line block ×6, first 2 shown]
	v_fma_f64 v[0:1], v[0:1], v[61:62], -v[115:116]
	v_fma_f64 v[115:116], v[2:3], v[61:62], v[117:118]
	v_fma_f64 v[117:118], v[15:16], v[61:62], -v[119:120]
	v_fma_f64 v[119:120], v[17:18], v[61:62], v[121:122]
	;; [unrolled: 2-line block ×6, first 2 shown]
	s_waitcnt vmcnt(62)
	v_add_f64 v[61:62], v[35:36], -v[0:1]
	v_add_f64 v[115:116], v[37:38], -v[115:116]
	ds_read2_b64 v[0:3], v12 offset0:106 offset1:107
	ds_read2_b64 v[15:18], v12 offset0:108 offset1:109
	v_add_f64 v[117:118], v[39:40], -v[117:118]
	v_add_f64 v[119:120], v[41:42], -v[119:120]
	;; [unrolled: 1-line block ×4, first 2 shown]
	ds_read2_b64 v[19:22], v12 offset0:110 offset1:111
	ds_read2_b64 v[23:26], v12 offset0:112 offset1:113
	v_add_f64 v[125:126], v[47:48], -v[125:126]
	s_waitcnt vmcnt(60)
	v_add_f64 v[127:128], v[49:50], -v[127:128]
	s_waitcnt vmcnt(58)
	;; [unrolled: 2-line block ×3, first 2 shown]
	v_add_f64 v[131:132], v[53:54], -v[131:132]
	ds_read2_b64 v[27:30], v12 offset0:114 offset1:115
	ds_read2_b64 v[31:34], v12 offset0:116 offset1:117
	s_waitcnt vmcnt(54)
	v_add_f64 v[55:56], v[55:56], -v[133:134]
	ds_read2_b64 v[35:38], v12 offset0:118 offset1:119
	ds_read2_b64 v[39:42], v12 offset0:120 offset1:121
	;; [unrolled: 1-line block ×5, first 2 shown]
	s_waitcnt vmcnt(52)
	v_add_f64 v[57:58], v[57:58], -v[59:60]
	buffer_store_dword v61, off, s[0:3], 0 offset:752
	buffer_store_dword v62, off, s[0:3], 0 offset:756
	;; [unrolled: 1-line block ×24, first 2 shown]
	s_waitcnt vmcnt(50) lgkmcnt(10)
	v_mul_f64 v[55:56], v[2:3], v[63:64]
	v_mul_f64 v[57:58], v[0:1], v[63:64]
	s_waitcnt lgkmcnt(9)
	v_mul_f64 v[59:60], v[17:18], v[63:64]
	v_mul_f64 v[61:62], v[15:16], v[63:64]
	s_waitcnt lgkmcnt(8)
	;; [unrolled: 3-line block ×5, first 2 shown]
	v_mul_f64 v[127:128], v[33:34], v[63:64]
	v_mul_f64 v[63:64], v[31:32], v[63:64]
	s_waitcnt vmcnt(48) lgkmcnt(4)
	v_mul_f64 v[129:130], v[37:38], v[65:66]
	v_mul_f64 v[131:132], v[35:36], v[65:66]
	s_waitcnt lgkmcnt(3)
	v_mul_f64 v[133:134], v[41:42], v[65:66]
	v_mul_f64 v[135:136], v[39:40], v[65:66]
	s_waitcnt lgkmcnt(2)
	;; [unrolled: 3-line block ×4, first 2 shown]
	v_mul_f64 v[145:146], v[53:54], v[65:66]
	v_mul_f64 v[65:66], v[51:52], v[65:66]
	s_waitcnt vmcnt(46)
	v_fma_f64 v[0:1], v[0:1], v[67:68], -v[55:56]
	v_fma_f64 v[2:3], v[2:3], v[67:68], v[57:58]
	v_fma_f64 v[15:16], v[15:16], v[67:68], -v[59:60]
	v_fma_f64 v[17:18], v[17:18], v[67:68], v[61:62]
	;; [unrolled: 2-line block ×6, first 2 shown]
	s_waitcnt vmcnt(32)
	v_fma_f64 v[35:36], v[35:36], v[81:82], -v[129:130]
	v_fma_f64 v[37:38], v[37:38], v[81:82], v[131:132]
	v_fma_f64 v[39:40], v[39:40], v[81:82], -v[133:134]
	v_fma_f64 v[41:42], v[41:42], v[81:82], v[135:136]
	;; [unrolled: 2-line block ×5, first 2 shown]
	v_add_f64 v[0:1], v[69:70], -v[0:1]
	v_add_f64 v[2:3], v[71:72], -v[2:3]
	;; [unrolled: 1-line block ×6, first 2 shown]
	s_waitcnt vmcnt(30)
	v_add_f64 v[23:24], v[83:84], -v[23:24]
	s_waitcnt vmcnt(28)
	v_add_f64 v[25:26], v[85:86], -v[25:26]
	;; [unrolled: 2-line block ×7, first 2 shown]
	v_add_f64 v[37:38], v[97:98], -v[37:38]
	s_waitcnt vmcnt(14)
	v_add_f64 v[39:40], v[99:100], -v[39:40]
	s_waitcnt vmcnt(12)
	;; [unrolled: 2-line block ×8, first 2 shown]
	v_add_f64 v[53:54], v[113:114], -v[53:54]
	buffer_store_dword v1, off, s[0:3], 0 offset:852
	buffer_store_dword v0, off, s[0:3], 0 offset:848
	;; [unrolled: 1-line block ×44, first 2 shown]
.LBB126_1122:
	s_or_b32 exec_lo, exec_lo, s4
	v_mov_b32_e32 v3, s35
	s_waitcnt_vscnt null, 0x0
	s_barrier
	buffer_gl0_inv
	v_lshl_add_u32 v4, v5, 4, v12
	s_clause 0x3
	buffer_load_dword v0, v3, s[0:3], 0 offen
	buffer_load_dword v1, v3, s[0:3], 0 offen offset:4
	buffer_load_dword v2, v3, s[0:3], 0 offen offset:8
	;; [unrolled: 1-line block ×3, first 2 shown]
	s_cmp_lt_i32 s57, 49
	s_waitcnt vmcnt(0)
	ds_write2_b64 v4, v[0:1], v[2:3] offset1:1
	s_waitcnt lgkmcnt(0)
	s_barrier
	buffer_gl0_inv
	ds_read2_b64 v[0:3], v12 offset0:94 offset1:95
	v_mov_b32_e32 v4, 47
	s_cbranch_scc1 .LBB126_1125
; %bb.1123:
	v_add3_u32 v10, v14, 0, 0x300
	v_mov_b32_e32 v4, 47
	s_mov_b32 s16, 48
	s_inst_prefetch 0x1
	.p2align	6
.LBB126_1124:                           ; =>This Inner Loop Header: Depth=1
	s_waitcnt lgkmcnt(0)
	v_cmp_gt_f64_e32 vcc_lo, 0, v[2:3]
	v_cmp_gt_f64_e64 s4, 0, v[0:1]
	ds_read2_b64 v[15:18], v10 offset1:1
	v_xor_b32_e32 v20, 0x80000000, v1
	v_xor_b32_e32 v22, 0x80000000, v3
	v_mov_b32_e32 v19, v0
	v_mov_b32_e32 v21, v2
	v_add_nc_u32_e32 v10, 16, v10
	s_waitcnt lgkmcnt(0)
	v_xor_b32_e32 v24, 0x80000000, v18
	v_cndmask_b32_e64 v20, v1, v20, s4
	v_cndmask_b32_e32 v22, v3, v22, vcc_lo
	v_cmp_gt_f64_e32 vcc_lo, 0, v[17:18]
	v_cmp_gt_f64_e64 s4, 0, v[15:16]
	v_mov_b32_e32 v23, v17
	v_add_f64 v[19:20], v[19:20], v[21:22]
	v_xor_b32_e32 v22, 0x80000000, v16
	v_mov_b32_e32 v21, v15
	v_cndmask_b32_e32 v24, v18, v24, vcc_lo
	v_cndmask_b32_e64 v22, v16, v22, s4
	v_add_f64 v[21:22], v[21:22], v[23:24]
	v_cmp_lt_f64_e32 vcc_lo, v[19:20], v[21:22]
	v_cndmask_b32_e32 v1, v1, v16, vcc_lo
	v_cndmask_b32_e32 v0, v0, v15, vcc_lo
	;; [unrolled: 1-line block ×4, first 2 shown]
	v_cndmask_b32_e64 v4, v4, s16, vcc_lo
	s_add_i32 s16, s16, 1
	s_cmp_lg_u32 s57, s16
	s_cbranch_scc1 .LBB126_1124
.LBB126_1125:
	s_inst_prefetch 0x2
	s_waitcnt lgkmcnt(0)
	v_cmp_eq_f64_e32 vcc_lo, 0, v[0:1]
	v_cmp_eq_f64_e64 s4, 0, v[2:3]
	s_and_b32 s4, vcc_lo, s4
	s_and_saveexec_b32 s16, s4
	s_xor_b32 s4, exec_lo, s16
; %bb.1126:
	v_cmp_ne_u32_e32 vcc_lo, 0, v13
	v_cndmask_b32_e32 v13, 48, v13, vcc_lo
; %bb.1127:
	s_andn2_saveexec_b32 s4, s4
	s_cbranch_execz .LBB126_1133
; %bb.1128:
	v_cmp_ngt_f64_e64 s16, |v[0:1]|, |v[2:3]|
	s_and_saveexec_b32 s17, s16
	s_xor_b32 s16, exec_lo, s17
	s_cbranch_execz .LBB126_1130
; %bb.1129:
	v_div_scale_f64 v[15:16], null, v[2:3], v[2:3], v[0:1]
	v_div_scale_f64 v[21:22], vcc_lo, v[0:1], v[2:3], v[0:1]
	v_rcp_f64_e32 v[17:18], v[15:16]
	v_fma_f64 v[19:20], -v[15:16], v[17:18], 1.0
	v_fma_f64 v[17:18], v[17:18], v[19:20], v[17:18]
	v_fma_f64 v[19:20], -v[15:16], v[17:18], 1.0
	v_fma_f64 v[17:18], v[17:18], v[19:20], v[17:18]
	v_mul_f64 v[19:20], v[21:22], v[17:18]
	v_fma_f64 v[15:16], -v[15:16], v[19:20], v[21:22]
	v_div_fmas_f64 v[15:16], v[15:16], v[17:18], v[19:20]
	v_div_fixup_f64 v[15:16], v[15:16], v[2:3], v[0:1]
	v_fma_f64 v[0:1], v[0:1], v[15:16], v[2:3]
	v_div_scale_f64 v[2:3], null, v[0:1], v[0:1], 1.0
	v_rcp_f64_e32 v[17:18], v[2:3]
	v_fma_f64 v[19:20], -v[2:3], v[17:18], 1.0
	v_fma_f64 v[17:18], v[17:18], v[19:20], v[17:18]
	v_fma_f64 v[19:20], -v[2:3], v[17:18], 1.0
	v_fma_f64 v[17:18], v[17:18], v[19:20], v[17:18]
	v_div_scale_f64 v[19:20], vcc_lo, 1.0, v[0:1], 1.0
	v_mul_f64 v[21:22], v[19:20], v[17:18]
	v_fma_f64 v[2:3], -v[2:3], v[21:22], v[19:20]
	v_div_fmas_f64 v[2:3], v[2:3], v[17:18], v[21:22]
	v_div_fixup_f64 v[2:3], v[2:3], v[0:1], 1.0
	v_mul_f64 v[0:1], v[15:16], v[2:3]
	v_xor_b32_e32 v3, 0x80000000, v3
.LBB126_1130:
	s_andn2_saveexec_b32 s16, s16
	s_cbranch_execz .LBB126_1132
; %bb.1131:
	v_div_scale_f64 v[15:16], null, v[0:1], v[0:1], v[2:3]
	v_div_scale_f64 v[21:22], vcc_lo, v[2:3], v[0:1], v[2:3]
	v_rcp_f64_e32 v[17:18], v[15:16]
	v_fma_f64 v[19:20], -v[15:16], v[17:18], 1.0
	v_fma_f64 v[17:18], v[17:18], v[19:20], v[17:18]
	v_fma_f64 v[19:20], -v[15:16], v[17:18], 1.0
	v_fma_f64 v[17:18], v[17:18], v[19:20], v[17:18]
	v_mul_f64 v[19:20], v[21:22], v[17:18]
	v_fma_f64 v[15:16], -v[15:16], v[19:20], v[21:22]
	v_div_fmas_f64 v[15:16], v[15:16], v[17:18], v[19:20]
	v_div_fixup_f64 v[15:16], v[15:16], v[0:1], v[2:3]
	v_fma_f64 v[0:1], v[2:3], v[15:16], v[0:1]
	v_div_scale_f64 v[2:3], null, v[0:1], v[0:1], 1.0
	v_rcp_f64_e32 v[17:18], v[2:3]
	v_fma_f64 v[19:20], -v[2:3], v[17:18], 1.0
	v_fma_f64 v[17:18], v[17:18], v[19:20], v[17:18]
	v_fma_f64 v[19:20], -v[2:3], v[17:18], 1.0
	v_fma_f64 v[17:18], v[17:18], v[19:20], v[17:18]
	v_div_scale_f64 v[19:20], vcc_lo, 1.0, v[0:1], 1.0
	v_mul_f64 v[21:22], v[19:20], v[17:18]
	v_fma_f64 v[2:3], -v[2:3], v[21:22], v[19:20]
	v_div_fmas_f64 v[2:3], v[2:3], v[17:18], v[21:22]
	v_div_fixup_f64 v[0:1], v[2:3], v[0:1], 1.0
	v_mul_f64 v[2:3], v[15:16], -v[0:1]
.LBB126_1132:
	s_or_b32 exec_lo, exec_lo, s16
.LBB126_1133:
	s_or_b32 exec_lo, exec_lo, s4
	s_mov_b32 s4, exec_lo
	v_cmpx_ne_u32_e64 v5, v4
	s_xor_b32 s4, exec_lo, s4
	s_cbranch_execz .LBB126_1139
; %bb.1134:
	s_mov_b32 s16, exec_lo
	v_cmpx_eq_u32_e32 47, v5
	s_cbranch_execz .LBB126_1138
; %bb.1135:
	v_cmp_ne_u32_e32 vcc_lo, 47, v4
	s_xor_b32 s17, s20, -1
	s_and_b32 s56, s17, vcc_lo
	s_and_saveexec_b32 s17, s56
	s_cbranch_execz .LBB126_1137
; %bb.1136:
	v_ashrrev_i32_e32 v5, 31, v4
	v_lshlrev_b64 v[10:11], 2, v[4:5]
	v_add_co_u32 v10, vcc_lo, v8, v10
	v_add_co_ci_u32_e64 v11, null, v9, v11, vcc_lo
	s_clause 0x1
	global_load_dword v5, v[10:11], off
	global_load_dword v15, v[8:9], off offset:188
	s_waitcnt vmcnt(1)
	global_store_dword v[8:9], v5, off offset:188
	s_waitcnt vmcnt(0)
	global_store_dword v[10:11], v15, off
.LBB126_1137:
	s_or_b32 exec_lo, exec_lo, s17
	v_mov_b32_e32 v5, v4
	v_mov_b32_e32 v11, v4
.LBB126_1138:
	s_or_b32 exec_lo, exec_lo, s16
.LBB126_1139:
	s_andn2_saveexec_b32 s4, s4
	s_cbranch_execz .LBB126_1141
; %bb.1140:
	v_mov_b32_e32 v4, s34
	v_mov_b32_e32 v10, s31
	;; [unrolled: 1-line block ×3, first 2 shown]
	s_clause 0x7
	buffer_load_dword v15, v4, s[0:3], 0 offen
	buffer_load_dword v16, v4, s[0:3], 0 offen offset:4
	buffer_load_dword v17, v4, s[0:3], 0 offen offset:8
	buffer_load_dword v18, v4, s[0:3], 0 offen offset:12
	buffer_load_dword v19, v5, s[0:3], 0 offen
	buffer_load_dword v20, v5, s[0:3], 0 offen offset:4
	buffer_load_dword v21, v5, s[0:3], 0 offen offset:8
	buffer_load_dword v22, v5, s[0:3], 0 offen offset:12
	v_mov_b32_e32 v4, s30
	v_mov_b32_e32 v5, s29
	s_clause 0x7
	buffer_load_dword v23, v10, s[0:3], 0 offen
	buffer_load_dword v24, v10, s[0:3], 0 offen offset:4
	buffer_load_dword v25, v10, s[0:3], 0 offen offset:8
	buffer_load_dword v26, v10, s[0:3], 0 offen offset:12
	buffer_load_dword v27, v4, s[0:3], 0 offen
	buffer_load_dword v28, v4, s[0:3], 0 offen offset:4
	buffer_load_dword v29, v4, s[0:3], 0 offen offset:8
	buffer_load_dword v30, v4, s[0:3], 0 offen offset:12
	v_mov_b32_e32 v10, s27
	v_mov_b32_e32 v4, s28
	;; [unrolled: 11-line block ×6, first 2 shown]
	s_clause 0x7
	buffer_load_dword v63, v5, s[0:3], 0 offen
	buffer_load_dword v64, v5, s[0:3], 0 offen offset:4
	buffer_load_dword v65, v5, s[0:3], 0 offen offset:8
	;; [unrolled: 1-line block ×3, first 2 shown]
	buffer_load_dword v67, v4, s[0:3], 0 offen
	buffer_load_dword v68, v4, s[0:3], 0 offen offset:4
	buffer_load_dword v69, v4, s[0:3], 0 offen offset:8
	;; [unrolled: 1-line block ×3, first 2 shown]
	v_mov_b32_e32 v4, s5
	s_clause 0x7
	buffer_load_dword v71, v10, s[0:3], 0 offen
	buffer_load_dword v72, v10, s[0:3], 0 offen offset:4
	buffer_load_dword v73, v10, s[0:3], 0 offen offset:8
	;; [unrolled: 1-line block ×3, first 2 shown]
	buffer_load_dword v75, v4, s[0:3], 0 offen
	buffer_load_dword v76, v4, s[0:3], 0 offen offset:4
	buffer_load_dword v77, v4, s[0:3], 0 offen offset:8
	;; [unrolled: 1-line block ×3, first 2 shown]
	v_mov_b32_e32 v5, 47
	s_waitcnt vmcnt(60)
	ds_write2_b64 v12, v[15:16], v[17:18] offset0:96 offset1:97
	s_waitcnt vmcnt(56)
	ds_write2_b64 v12, v[19:20], v[21:22] offset0:98 offset1:99
	;; [unrolled: 2-line block ×16, first 2 shown]
.LBB126_1141:
	s_or_b32 exec_lo, exec_lo, s4
	s_mov_b32 s4, exec_lo
	s_waitcnt lgkmcnt(0)
	s_waitcnt_vscnt null, 0x0
	s_barrier
	buffer_gl0_inv
	v_cmpx_lt_i32_e32 47, v5
	s_cbranch_execz .LBB126_1143
; %bb.1142:
	s_clause 0x1b
	buffer_load_dword v15, off, s[0:3], 0 offset:760
	buffer_load_dword v16, off, s[0:3], 0 offset:764
	;; [unrolled: 1-line block ×28, first 2 shown]
	s_waitcnt vmcnt(26)
	v_mul_f64 v[19:20], v[0:1], v[15:16]
	v_mul_f64 v[15:16], v[2:3], v[15:16]
	s_waitcnt vmcnt(24)
	v_fma_f64 v[47:48], v[2:3], v[17:18], v[19:20]
	v_fma_f64 v[61:62], v[0:1], v[17:18], -v[15:16]
	buffer_store_dword v47, off, s[0:3], 0 offset:760
	buffer_store_dword v48, off, s[0:3], 0 offset:764
	s_clause 0x3
	buffer_load_dword v63, off, s[0:3], 0 offset:760
	buffer_load_dword v64, off, s[0:3], 0 offset:764
	;; [unrolled: 1-line block ×4, first 2 shown]
	buffer_store_dword v61, off, s[0:3], 0 offset:752
	buffer_store_dword v62, off, s[0:3], 0 offset:756
	s_clause 0x2b
	buffer_load_dword v67, off, s[0:3], 0 offset:752
	buffer_load_dword v68, off, s[0:3], 0 offset:756
	;; [unrolled: 1-line block ×44, first 2 shown]
	ds_read2_b64 v[0:3], v12 offset0:96 offset1:97
	ds_read2_b64 v[15:18], v12 offset0:98 offset1:99
	;; [unrolled: 1-line block ×6, first 2 shown]
	s_waitcnt lgkmcnt(5)
	v_mul_f64 v[111:112], v[2:3], v[47:48]
	v_mul_f64 v[113:114], v[0:1], v[47:48]
	s_waitcnt lgkmcnt(4)
	v_mul_f64 v[115:116], v[17:18], v[47:48]
	v_mul_f64 v[117:118], v[15:16], v[47:48]
	s_waitcnt lgkmcnt(3)
	v_mul_f64 v[121:122], v[19:20], v[47:48]
	s_waitcnt lgkmcnt(2)
	;; [unrolled: 2-line block ×3, first 2 shown]
	v_mul_f64 v[129:130], v[27:28], v[47:48]
	v_mul_f64 v[119:120], v[21:22], v[47:48]
	;; [unrolled: 1-line block ×4, first 2 shown]
	s_waitcnt lgkmcnt(0)
	v_mul_f64 v[131:132], v[33:34], v[47:48]
	v_mul_f64 v[47:48], v[31:32], v[47:48]
	v_fma_f64 v[0:1], v[0:1], v[61:62], -v[111:112]
	v_fma_f64 v[2:3], v[2:3], v[61:62], v[113:114]
	v_fma_f64 v[111:112], v[15:16], v[61:62], -v[115:116]
	v_fma_f64 v[113:114], v[17:18], v[61:62], v[117:118]
	v_fma_f64 v[117:118], v[21:22], v[61:62], v[121:122]
	v_fma_f64 v[121:122], v[25:26], v[61:62], v[125:126]
	v_fma_f64 v[125:126], v[29:30], v[61:62], v[129:130]
	v_fma_f64 v[115:116], v[19:20], v[61:62], -v[119:120]
	v_fma_f64 v[119:120], v[23:24], v[61:62], -v[123:124]
	;; [unrolled: 1-line block ×4, first 2 shown]
	v_fma_f64 v[61:62], v[33:34], v[61:62], v[47:48]
	s_waitcnt vmcnt(62)
	v_add_f64 v[129:130], v[35:36], -v[0:1]
	v_add_f64 v[131:132], v[37:38], -v[2:3]
	ds_read2_b64 v[0:3], v12 offset0:108 offset1:109
	ds_read2_b64 v[15:18], v12 offset0:110 offset1:111
	v_add_f64 v[111:112], v[39:40], -v[111:112]
	v_add_f64 v[113:114], v[41:42], -v[113:114]
	s_waitcnt vmcnt(60)
	v_add_f64 v[117:118], v[45:46], -v[117:118]
	s_waitcnt vmcnt(52)
	v_add_f64 v[55:56], v[55:56], -v[125:126]
	v_add_f64 v[115:116], v[43:44], -v[115:116]
	ds_read2_b64 v[19:22], v12 offset0:112 offset1:113
	ds_read2_b64 v[23:26], v12 offset0:114 offset1:115
	v_add_f64 v[119:120], v[49:50], -v[119:120]
	v_add_f64 v[51:52], v[51:52], -v[121:122]
	;; [unrolled: 1-line block ×3, first 2 shown]
	ds_read2_b64 v[27:30], v12 offset0:116 offset1:117
	ds_read2_b64 v[31:34], v12 offset0:118 offset1:119
	;; [unrolled: 1-line block ×6, first 2 shown]
	s_waitcnt vmcnt(48)
	v_add_f64 v[59:60], v[59:60], -v[61:62]
	v_add_f64 v[57:58], v[57:58], -v[127:128]
	buffer_store_dword v129, off, s[0:3], 0 offset:768
	buffer_store_dword v130, off, s[0:3], 0 offset:772
	;; [unrolled: 1-line block ×24, first 2 shown]
	s_waitcnt vmcnt(46) lgkmcnt(9)
	v_mul_f64 v[51:52], v[2:3], v[63:64]
	v_mul_f64 v[53:54], v[0:1], v[63:64]
	s_waitcnt lgkmcnt(8)
	v_mul_f64 v[55:56], v[17:18], v[63:64]
	v_mul_f64 v[61:62], v[15:16], v[63:64]
	s_waitcnt lgkmcnt(7)
	;; [unrolled: 3-line block ×5, first 2 shown]
	v_mul_f64 v[123:124], v[33:34], v[63:64]
	v_mul_f64 v[63:64], v[31:32], v[63:64]
	s_waitcnt vmcnt(44) lgkmcnt(3)
	v_mul_f64 v[125:126], v[37:38], v[65:66]
	v_mul_f64 v[127:128], v[35:36], v[65:66]
	s_waitcnt lgkmcnt(2)
	v_mul_f64 v[129:130], v[41:42], v[65:66]
	v_mul_f64 v[131:132], v[39:40], v[65:66]
	s_waitcnt lgkmcnt(1)
	;; [unrolled: 3-line block ×3, first 2 shown]
	v_mul_f64 v[137:138], v[49:50], v[65:66]
	v_mul_f64 v[65:66], v[47:48], v[65:66]
	s_waitcnt vmcnt(42)
	v_fma_f64 v[0:1], v[0:1], v[67:68], -v[51:52]
	v_fma_f64 v[2:3], v[2:3], v[67:68], v[53:54]
	v_fma_f64 v[15:16], v[15:16], v[67:68], -v[55:56]
	v_fma_f64 v[17:18], v[17:18], v[67:68], v[61:62]
	;; [unrolled: 2-line block ×6, first 2 shown]
	s_waitcnt vmcnt(36)
	v_fma_f64 v[35:36], v[35:36], v[73:74], -v[125:126]
	v_fma_f64 v[37:38], v[37:38], v[73:74], v[127:128]
	v_fma_f64 v[39:40], v[39:40], v[73:74], -v[129:130]
	v_fma_f64 v[41:42], v[41:42], v[73:74], v[131:132]
	;; [unrolled: 2-line block ×4, first 2 shown]
	v_add_f64 v[0:1], v[69:70], -v[0:1]
	v_add_f64 v[2:3], v[71:72], -v[2:3]
	s_waitcnt vmcnt(34)
	v_add_f64 v[15:16], v[75:76], -v[15:16]
	s_waitcnt vmcnt(32)
	;; [unrolled: 2-line block ×11, first 2 shown]
	v_add_f64 v[35:36], v[95:96], -v[35:36]
	v_add_f64 v[37:38], v[97:98], -v[37:38]
	s_waitcnt vmcnt(10)
	v_add_f64 v[39:40], v[99:100], -v[39:40]
	s_waitcnt vmcnt(8)
	;; [unrolled: 2-line block ×6, first 2 shown]
	v_add_f64 v[49:50], v[109:110], -v[49:50]
	buffer_store_dword v1, off, s[0:3], 0 offset:868
	buffer_store_dword v0, off, s[0:3], 0 offset:864
	buffer_store_dword v3, off, s[0:3], 0 offset:876
	buffer_store_dword v2, off, s[0:3], 0 offset:872
	buffer_store_dword v16, off, s[0:3], 0 offset:884
	buffer_store_dword v15, off, s[0:3], 0 offset:880
	buffer_store_dword v18, off, s[0:3], 0 offset:892
	buffer_store_dword v17, off, s[0:3], 0 offset:888
	buffer_store_dword v20, off, s[0:3], 0 offset:900
	buffer_store_dword v19, off, s[0:3], 0 offset:896
	buffer_store_dword v22, off, s[0:3], 0 offset:908
	buffer_store_dword v21, off, s[0:3], 0 offset:904
	buffer_store_dword v24, off, s[0:3], 0 offset:916
	buffer_store_dword v23, off, s[0:3], 0 offset:912
	buffer_store_dword v26, off, s[0:3], 0 offset:924
	buffer_store_dword v25, off, s[0:3], 0 offset:920
	buffer_store_dword v28, off, s[0:3], 0 offset:932
	buffer_store_dword v27, off, s[0:3], 0 offset:928
	buffer_store_dword v30, off, s[0:3], 0 offset:940
	buffer_store_dword v29, off, s[0:3], 0 offset:936
	buffer_store_dword v32, off, s[0:3], 0 offset:948
	buffer_store_dword v31, off, s[0:3], 0 offset:944
	buffer_store_dword v34, off, s[0:3], 0 offset:956
	buffer_store_dword v33, off, s[0:3], 0 offset:952
	buffer_store_dword v36, off, s[0:3], 0 offset:964
	buffer_store_dword v35, off, s[0:3], 0 offset:960
	buffer_store_dword v38, off, s[0:3], 0 offset:972
	buffer_store_dword v37, off, s[0:3], 0 offset:968
	buffer_store_dword v40, off, s[0:3], 0 offset:980
	buffer_store_dword v39, off, s[0:3], 0 offset:976
	buffer_store_dword v42, off, s[0:3], 0 offset:988
	buffer_store_dword v41, off, s[0:3], 0 offset:984
	buffer_store_dword v44, off, s[0:3], 0 offset:996
	buffer_store_dword v43, off, s[0:3], 0 offset:992
	buffer_store_dword v46, off, s[0:3], 0 offset:1004
	buffer_store_dword v45, off, s[0:3], 0 offset:1000
	buffer_store_dword v48, off, s[0:3], 0 offset:1012
	buffer_store_dword v47, off, s[0:3], 0 offset:1008
	buffer_store_dword v50, off, s[0:3], 0 offset:1020
	buffer_store_dword v49, off, s[0:3], 0 offset:1016
.LBB126_1143:
	s_or_b32 exec_lo, exec_lo, s4
	v_mov_b32_e32 v3, s34
	s_waitcnt_vscnt null, 0x0
	s_barrier
	buffer_gl0_inv
	v_lshl_add_u32 v4, v5, 4, v12
	s_clause 0x3
	buffer_load_dword v0, v3, s[0:3], 0 offen
	buffer_load_dword v1, v3, s[0:3], 0 offen offset:4
	buffer_load_dword v2, v3, s[0:3], 0 offen offset:8
	;; [unrolled: 1-line block ×3, first 2 shown]
	s_cmp_lt_i32 s57, 50
	s_waitcnt vmcnt(0)
	ds_write2_b64 v4, v[0:1], v[2:3] offset1:1
	s_waitcnt lgkmcnt(0)
	s_barrier
	buffer_gl0_inv
	ds_read2_b64 v[0:3], v12 offset0:96 offset1:97
	v_mov_b32_e32 v4, 48
	s_cbranch_scc1 .LBB126_1146
; %bb.1144:
	v_add3_u32 v10, v14, 0, 0x310
	v_mov_b32_e32 v4, 48
	s_mov_b32 s16, 49
	s_inst_prefetch 0x1
	.p2align	6
.LBB126_1145:                           ; =>This Inner Loop Header: Depth=1
	s_waitcnt lgkmcnt(0)
	v_cmp_gt_f64_e32 vcc_lo, 0, v[2:3]
	v_cmp_gt_f64_e64 s4, 0, v[0:1]
	ds_read2_b64 v[15:18], v10 offset1:1
	v_xor_b32_e32 v20, 0x80000000, v1
	v_xor_b32_e32 v22, 0x80000000, v3
	v_mov_b32_e32 v19, v0
	v_mov_b32_e32 v21, v2
	v_add_nc_u32_e32 v10, 16, v10
	s_waitcnt lgkmcnt(0)
	v_xor_b32_e32 v24, 0x80000000, v18
	v_cndmask_b32_e64 v20, v1, v20, s4
	v_cndmask_b32_e32 v22, v3, v22, vcc_lo
	v_cmp_gt_f64_e32 vcc_lo, 0, v[17:18]
	v_cmp_gt_f64_e64 s4, 0, v[15:16]
	v_mov_b32_e32 v23, v17
	v_add_f64 v[19:20], v[19:20], v[21:22]
	v_xor_b32_e32 v22, 0x80000000, v16
	v_mov_b32_e32 v21, v15
	v_cndmask_b32_e32 v24, v18, v24, vcc_lo
	v_cndmask_b32_e64 v22, v16, v22, s4
	v_add_f64 v[21:22], v[21:22], v[23:24]
	v_cmp_lt_f64_e32 vcc_lo, v[19:20], v[21:22]
	v_cndmask_b32_e32 v1, v1, v16, vcc_lo
	v_cndmask_b32_e32 v0, v0, v15, vcc_lo
	;; [unrolled: 1-line block ×4, first 2 shown]
	v_cndmask_b32_e64 v4, v4, s16, vcc_lo
	s_add_i32 s16, s16, 1
	s_cmp_lg_u32 s57, s16
	s_cbranch_scc1 .LBB126_1145
.LBB126_1146:
	s_inst_prefetch 0x2
	s_waitcnt lgkmcnt(0)
	v_cmp_eq_f64_e32 vcc_lo, 0, v[0:1]
	v_cmp_eq_f64_e64 s4, 0, v[2:3]
	s_and_b32 s4, vcc_lo, s4
	s_and_saveexec_b32 s16, s4
	s_xor_b32 s4, exec_lo, s16
; %bb.1147:
	v_cmp_ne_u32_e32 vcc_lo, 0, v13
	v_cndmask_b32_e32 v13, 49, v13, vcc_lo
; %bb.1148:
	s_andn2_saveexec_b32 s4, s4
	s_cbranch_execz .LBB126_1154
; %bb.1149:
	v_cmp_ngt_f64_e64 s16, |v[0:1]|, |v[2:3]|
	s_and_saveexec_b32 s17, s16
	s_xor_b32 s16, exec_lo, s17
	s_cbranch_execz .LBB126_1151
; %bb.1150:
	v_div_scale_f64 v[15:16], null, v[2:3], v[2:3], v[0:1]
	v_div_scale_f64 v[21:22], vcc_lo, v[0:1], v[2:3], v[0:1]
	v_rcp_f64_e32 v[17:18], v[15:16]
	v_fma_f64 v[19:20], -v[15:16], v[17:18], 1.0
	v_fma_f64 v[17:18], v[17:18], v[19:20], v[17:18]
	v_fma_f64 v[19:20], -v[15:16], v[17:18], 1.0
	v_fma_f64 v[17:18], v[17:18], v[19:20], v[17:18]
	v_mul_f64 v[19:20], v[21:22], v[17:18]
	v_fma_f64 v[15:16], -v[15:16], v[19:20], v[21:22]
	v_div_fmas_f64 v[15:16], v[15:16], v[17:18], v[19:20]
	v_div_fixup_f64 v[15:16], v[15:16], v[2:3], v[0:1]
	v_fma_f64 v[0:1], v[0:1], v[15:16], v[2:3]
	v_div_scale_f64 v[2:3], null, v[0:1], v[0:1], 1.0
	v_rcp_f64_e32 v[17:18], v[2:3]
	v_fma_f64 v[19:20], -v[2:3], v[17:18], 1.0
	v_fma_f64 v[17:18], v[17:18], v[19:20], v[17:18]
	v_fma_f64 v[19:20], -v[2:3], v[17:18], 1.0
	v_fma_f64 v[17:18], v[17:18], v[19:20], v[17:18]
	v_div_scale_f64 v[19:20], vcc_lo, 1.0, v[0:1], 1.0
	v_mul_f64 v[21:22], v[19:20], v[17:18]
	v_fma_f64 v[2:3], -v[2:3], v[21:22], v[19:20]
	v_div_fmas_f64 v[2:3], v[2:3], v[17:18], v[21:22]
	v_div_fixup_f64 v[2:3], v[2:3], v[0:1], 1.0
	v_mul_f64 v[0:1], v[15:16], v[2:3]
	v_xor_b32_e32 v3, 0x80000000, v3
.LBB126_1151:
	s_andn2_saveexec_b32 s16, s16
	s_cbranch_execz .LBB126_1153
; %bb.1152:
	v_div_scale_f64 v[15:16], null, v[0:1], v[0:1], v[2:3]
	v_div_scale_f64 v[21:22], vcc_lo, v[2:3], v[0:1], v[2:3]
	v_rcp_f64_e32 v[17:18], v[15:16]
	v_fma_f64 v[19:20], -v[15:16], v[17:18], 1.0
	v_fma_f64 v[17:18], v[17:18], v[19:20], v[17:18]
	v_fma_f64 v[19:20], -v[15:16], v[17:18], 1.0
	v_fma_f64 v[17:18], v[17:18], v[19:20], v[17:18]
	v_mul_f64 v[19:20], v[21:22], v[17:18]
	v_fma_f64 v[15:16], -v[15:16], v[19:20], v[21:22]
	v_div_fmas_f64 v[15:16], v[15:16], v[17:18], v[19:20]
	v_div_fixup_f64 v[15:16], v[15:16], v[0:1], v[2:3]
	v_fma_f64 v[0:1], v[2:3], v[15:16], v[0:1]
	v_div_scale_f64 v[2:3], null, v[0:1], v[0:1], 1.0
	v_rcp_f64_e32 v[17:18], v[2:3]
	v_fma_f64 v[19:20], -v[2:3], v[17:18], 1.0
	v_fma_f64 v[17:18], v[17:18], v[19:20], v[17:18]
	v_fma_f64 v[19:20], -v[2:3], v[17:18], 1.0
	v_fma_f64 v[17:18], v[17:18], v[19:20], v[17:18]
	v_div_scale_f64 v[19:20], vcc_lo, 1.0, v[0:1], 1.0
	v_mul_f64 v[21:22], v[19:20], v[17:18]
	v_fma_f64 v[2:3], -v[2:3], v[21:22], v[19:20]
	v_div_fmas_f64 v[2:3], v[2:3], v[17:18], v[21:22]
	v_div_fixup_f64 v[0:1], v[2:3], v[0:1], 1.0
	v_mul_f64 v[2:3], v[15:16], -v[0:1]
.LBB126_1153:
	s_or_b32 exec_lo, exec_lo, s16
.LBB126_1154:
	s_or_b32 exec_lo, exec_lo, s4
	s_mov_b32 s4, exec_lo
	v_cmpx_ne_u32_e64 v5, v4
	s_xor_b32 s4, exec_lo, s4
	s_cbranch_execz .LBB126_1160
; %bb.1155:
	s_mov_b32 s16, exec_lo
	v_cmpx_eq_u32_e32 48, v5
	s_cbranch_execz .LBB126_1159
; %bb.1156:
	v_cmp_ne_u32_e32 vcc_lo, 48, v4
	s_xor_b32 s17, s20, -1
	s_and_b32 s56, s17, vcc_lo
	s_and_saveexec_b32 s17, s56
	s_cbranch_execz .LBB126_1158
; %bb.1157:
	v_ashrrev_i32_e32 v5, 31, v4
	v_lshlrev_b64 v[10:11], 2, v[4:5]
	v_add_co_u32 v10, vcc_lo, v8, v10
	v_add_co_ci_u32_e64 v11, null, v9, v11, vcc_lo
	s_clause 0x1
	global_load_dword v5, v[10:11], off
	global_load_dword v15, v[8:9], off offset:192
	s_waitcnt vmcnt(1)
	global_store_dword v[8:9], v5, off offset:192
	s_waitcnt vmcnt(0)
	global_store_dword v[10:11], v15, off
.LBB126_1158:
	s_or_b32 exec_lo, exec_lo, s17
	v_mov_b32_e32 v5, v4
	v_mov_b32_e32 v11, v4
.LBB126_1159:
	s_or_b32 exec_lo, exec_lo, s16
.LBB126_1160:
	s_andn2_saveexec_b32 s4, s4
	s_cbranch_execz .LBB126_1162
; %bb.1161:
	v_mov_b32_e32 v4, s33
	v_mov_b32_e32 v5, s31
	v_mov_b32_e32 v10, s30
	s_clause 0x7
	buffer_load_dword v15, v4, s[0:3], 0 offen
	buffer_load_dword v16, v4, s[0:3], 0 offen offset:4
	buffer_load_dword v17, v4, s[0:3], 0 offen offset:8
	buffer_load_dword v18, v4, s[0:3], 0 offen offset:12
	buffer_load_dword v19, v5, s[0:3], 0 offen
	buffer_load_dword v20, v5, s[0:3], 0 offen offset:4
	buffer_load_dword v21, v5, s[0:3], 0 offen offset:8
	buffer_load_dword v22, v5, s[0:3], 0 offen offset:12
	v_mov_b32_e32 v5, s28
	v_mov_b32_e32 v4, s29
	s_clause 0x7
	buffer_load_dword v23, v10, s[0:3], 0 offen
	buffer_load_dword v24, v10, s[0:3], 0 offen offset:4
	buffer_load_dword v25, v10, s[0:3], 0 offen offset:8
	buffer_load_dword v26, v10, s[0:3], 0 offen offset:12
	buffer_load_dword v27, v4, s[0:3], 0 offen
	buffer_load_dword v28, v4, s[0:3], 0 offen offset:4
	buffer_load_dword v29, v4, s[0:3], 0 offen offset:8
	buffer_load_dword v30, v4, s[0:3], 0 offen offset:12
	v_mov_b32_e32 v4, s27
	v_mov_b32_e32 v10, s26
	;; [unrolled: 11-line block ×6, first 2 shown]
	s_clause 0xb
	buffer_load_dword v63, v5, s[0:3], 0 offen
	buffer_load_dword v64, v5, s[0:3], 0 offen offset:4
	buffer_load_dword v65, v5, s[0:3], 0 offen offset:8
	buffer_load_dword v66, v5, s[0:3], 0 offen offset:12
	buffer_load_dword v67, v4, s[0:3], 0 offen
	buffer_load_dword v68, v4, s[0:3], 0 offen offset:4
	buffer_load_dword v69, v4, s[0:3], 0 offen offset:8
	buffer_load_dword v70, v4, s[0:3], 0 offen offset:12
	;; [unrolled: 4-line block ×3, first 2 shown]
	v_mov_b32_e32 v5, 48
	s_waitcnt vmcnt(56)
	ds_write2_b64 v12, v[15:16], v[17:18] offset0:98 offset1:99
	s_waitcnt vmcnt(52)
	ds_write2_b64 v12, v[19:20], v[21:22] offset0:100 offset1:101
	;; [unrolled: 2-line block ×15, first 2 shown]
.LBB126_1162:
	s_or_b32 exec_lo, exec_lo, s4
	s_mov_b32 s4, exec_lo
	s_waitcnt lgkmcnt(0)
	s_waitcnt_vscnt null, 0x0
	s_barrier
	buffer_gl0_inv
	v_cmpx_lt_i32_e32 48, v5
	s_cbranch_execz .LBB126_1164
; %bb.1163:
	s_clause 0x1b
	buffer_load_dword v15, off, s[0:3], 0 offset:776
	buffer_load_dword v16, off, s[0:3], 0 offset:780
	;; [unrolled: 1-line block ×28, first 2 shown]
	s_waitcnt vmcnt(26)
	v_mul_f64 v[19:20], v[0:1], v[15:16]
	v_mul_f64 v[15:16], v[2:3], v[15:16]
	s_waitcnt vmcnt(24)
	v_fma_f64 v[47:48], v[2:3], v[17:18], v[19:20]
	v_fma_f64 v[61:62], v[0:1], v[17:18], -v[15:16]
	buffer_store_dword v47, off, s[0:3], 0 offset:776
	buffer_store_dword v48, off, s[0:3], 0 offset:780
	s_clause 0x3
	buffer_load_dword v63, off, s[0:3], 0 offset:776
	buffer_load_dword v64, off, s[0:3], 0 offset:780
	;; [unrolled: 1-line block ×4, first 2 shown]
	buffer_store_dword v61, off, s[0:3], 0 offset:768
	buffer_store_dword v62, off, s[0:3], 0 offset:772
	s_clause 0x27
	buffer_load_dword v67, off, s[0:3], 0 offset:768
	buffer_load_dword v68, off, s[0:3], 0 offset:772
	;; [unrolled: 1-line block ×40, first 2 shown]
	ds_read2_b64 v[0:3], v12 offset0:98 offset1:99
	ds_read2_b64 v[15:18], v12 offset0:100 offset1:101
	;; [unrolled: 1-line block ×6, first 2 shown]
	s_waitcnt lgkmcnt(5)
	v_mul_f64 v[107:108], v[2:3], v[47:48]
	v_mul_f64 v[109:110], v[0:1], v[47:48]
	s_waitcnt lgkmcnt(4)
	v_mul_f64 v[111:112], v[17:18], v[47:48]
	s_waitcnt lgkmcnt(2)
	v_mul_f64 v[119:120], v[25:26], v[47:48]
	v_mul_f64 v[113:114], v[15:16], v[47:48]
	;; [unrolled: 1-line block ×5, first 2 shown]
	s_waitcnt lgkmcnt(1)
	v_mul_f64 v[123:124], v[29:30], v[47:48]
	v_mul_f64 v[125:126], v[27:28], v[47:48]
	s_waitcnt lgkmcnt(0)
	v_mul_f64 v[127:128], v[33:34], v[47:48]
	v_mul_f64 v[47:48], v[31:32], v[47:48]
	v_fma_f64 v[0:1], v[0:1], v[61:62], -v[107:108]
	v_fma_f64 v[2:3], v[2:3], v[61:62], v[109:110]
	v_fma_f64 v[15:16], v[15:16], v[61:62], -v[111:112]
	v_fma_f64 v[111:112], v[23:24], v[61:62], -v[119:120]
	v_fma_f64 v[107:108], v[17:18], v[61:62], v[113:114]
	v_fma_f64 v[113:114], v[25:26], v[61:62], v[121:122]
	v_fma_f64 v[19:20], v[19:20], v[61:62], -v[115:116]
	v_fma_f64 v[109:110], v[21:22], v[61:62], v[117:118]
	v_fma_f64 v[115:116], v[27:28], v[61:62], -v[123:124]
	;; [unrolled: 2-line block ×3, first 2 shown]
	v_fma_f64 v[47:48], v[33:34], v[61:62], v[47:48]
	s_waitcnt vmcnt(62)
	v_add_f64 v[61:62], v[35:36], -v[0:1]
	v_add_f64 v[121:122], v[37:38], -v[2:3]
	;; [unrolled: 1-line block ×3, first 2 shown]
	ds_read2_b64 v[0:3], v12 offset0:110 offset1:111
	ds_read2_b64 v[15:18], v12 offset0:112 offset1:113
	s_waitcnt vmcnt(54)
	v_add_f64 v[49:50], v[49:50], -v[111:112]
	v_add_f64 v[107:108], v[41:42], -v[107:108]
	s_waitcnt vmcnt(52)
	v_add_f64 v[51:52], v[51:52], -v[113:114]
	v_add_f64 v[125:126], v[43:44], -v[19:20]
	ds_read2_b64 v[19:22], v12 offset0:114 offset1:115
	ds_read2_b64 v[23:26], v12 offset0:116 offset1:117
	v_add_f64 v[109:110], v[45:46], -v[109:110]
	ds_read2_b64 v[27:30], v12 offset0:118 offset1:119
	ds_read2_b64 v[31:34], v12 offset0:120 offset1:121
	s_waitcnt vmcnt(44)
	v_add_f64 v[47:48], v[59:60], -v[47:48]
	ds_read2_b64 v[35:38], v12 offset0:122 offset1:123
	ds_read2_b64 v[39:42], v12 offset0:124 offset1:125
	;; [unrolled: 1-line block ×3, first 2 shown]
	v_add_f64 v[53:54], v[53:54], -v[115:116]
	v_add_f64 v[55:56], v[55:56], -v[117:118]
	;; [unrolled: 1-line block ×3, first 2 shown]
	buffer_store_dword v61, off, s[0:3], 0 offset:784
	buffer_store_dword v62, off, s[0:3], 0 offset:788
	;; [unrolled: 1-line block ×24, first 2 shown]
	s_waitcnt vmcnt(42) lgkmcnt(8)
	v_mul_f64 v[59:60], v[2:3], v[63:64]
	v_mul_f64 v[61:62], v[0:1], v[63:64]
	s_waitcnt lgkmcnt(7)
	v_mul_f64 v[49:50], v[17:18], v[63:64]
	v_mul_f64 v[107:108], v[15:16], v[63:64]
	s_waitcnt lgkmcnt(6)
	v_mul_f64 v[51:52], v[21:22], v[63:64]
	v_mul_f64 v[109:110], v[19:20], v[63:64]
	s_waitcnt lgkmcnt(5)
	v_mul_f64 v[111:112], v[25:26], v[63:64]
	v_mul_f64 v[113:114], v[23:24], v[63:64]
	s_waitcnt lgkmcnt(4)
	v_mul_f64 v[115:116], v[29:30], v[63:64]
	v_mul_f64 v[117:118], v[27:28], v[63:64]
	s_waitcnt lgkmcnt(3)
	v_mul_f64 v[119:120], v[33:34], v[63:64]
	v_mul_f64 v[63:64], v[31:32], v[63:64]
	s_waitcnt vmcnt(40) lgkmcnt(2)
	v_mul_f64 v[121:122], v[37:38], v[65:66]
	v_mul_f64 v[123:124], v[35:36], v[65:66]
	s_waitcnt lgkmcnt(1)
	v_mul_f64 v[125:126], v[41:42], v[65:66]
	v_mul_f64 v[127:128], v[39:40], v[65:66]
	s_waitcnt lgkmcnt(0)
	v_mul_f64 v[129:130], v[45:46], v[65:66]
	v_mul_f64 v[65:66], v[43:44], v[65:66]
	s_waitcnt vmcnt(38)
	v_fma_f64 v[0:1], v[0:1], v[67:68], -v[59:60]
	v_fma_f64 v[2:3], v[2:3], v[67:68], v[61:62]
	v_fma_f64 v[15:16], v[15:16], v[67:68], -v[49:50]
	v_fma_f64 v[17:18], v[17:18], v[67:68], v[107:108]
	;; [unrolled: 2-line block ×6, first 2 shown]
	s_waitcnt vmcnt(32)
	v_fma_f64 v[35:36], v[35:36], v[73:74], -v[121:122]
	v_fma_f64 v[37:38], v[37:38], v[73:74], v[123:124]
	v_fma_f64 v[39:40], v[39:40], v[73:74], -v[125:126]
	v_fma_f64 v[41:42], v[41:42], v[73:74], v[127:128]
	v_fma_f64 v[43:44], v[43:44], v[73:74], -v[129:130]
	v_fma_f64 v[45:46], v[45:46], v[73:74], v[65:66]
	v_add_f64 v[0:1], v[69:70], -v[0:1]
	v_add_f64 v[2:3], v[71:72], -v[2:3]
	s_waitcnt vmcnt(30)
	v_add_f64 v[15:16], v[75:76], -v[15:16]
	s_waitcnt vmcnt(28)
	;; [unrolled: 2-line block ×11, first 2 shown]
	v_add_f64 v[35:36], v[95:96], -v[35:36]
	v_add_f64 v[37:38], v[97:98], -v[37:38]
	s_waitcnt vmcnt(6)
	v_add_f64 v[39:40], v[99:100], -v[39:40]
	s_waitcnt vmcnt(4)
	;; [unrolled: 2-line block ×4, first 2 shown]
	v_add_f64 v[45:46], v[105:106], -v[45:46]
	buffer_store_dword v1, off, s[0:3], 0 offset:884
	buffer_store_dword v0, off, s[0:3], 0 offset:880
	;; [unrolled: 1-line block ×36, first 2 shown]
.LBB126_1164:
	s_or_b32 exec_lo, exec_lo, s4
	v_mov_b32_e32 v3, s33
	s_waitcnt_vscnt null, 0x0
	s_barrier
	buffer_gl0_inv
	v_lshl_add_u32 v4, v5, 4, v12
	s_clause 0x3
	buffer_load_dword v0, v3, s[0:3], 0 offen
	buffer_load_dword v1, v3, s[0:3], 0 offen offset:4
	buffer_load_dword v2, v3, s[0:3], 0 offen offset:8
	;; [unrolled: 1-line block ×3, first 2 shown]
	s_cmp_lt_i32 s57, 51
	s_waitcnt vmcnt(0)
	ds_write2_b64 v4, v[0:1], v[2:3] offset1:1
	s_waitcnt lgkmcnt(0)
	s_barrier
	buffer_gl0_inv
	ds_read2_b64 v[0:3], v12 offset0:98 offset1:99
	v_mov_b32_e32 v4, 49
	s_cbranch_scc1 .LBB126_1167
; %bb.1165:
	v_add3_u32 v10, v14, 0, 0x320
	v_mov_b32_e32 v4, 49
	s_mov_b32 s16, 50
	s_inst_prefetch 0x1
	.p2align	6
.LBB126_1166:                           ; =>This Inner Loop Header: Depth=1
	s_waitcnt lgkmcnt(0)
	v_cmp_gt_f64_e32 vcc_lo, 0, v[2:3]
	v_cmp_gt_f64_e64 s4, 0, v[0:1]
	ds_read2_b64 v[15:18], v10 offset1:1
	v_xor_b32_e32 v20, 0x80000000, v1
	v_xor_b32_e32 v22, 0x80000000, v3
	v_mov_b32_e32 v19, v0
	v_mov_b32_e32 v21, v2
	v_add_nc_u32_e32 v10, 16, v10
	s_waitcnt lgkmcnt(0)
	v_xor_b32_e32 v24, 0x80000000, v18
	v_cndmask_b32_e64 v20, v1, v20, s4
	v_cndmask_b32_e32 v22, v3, v22, vcc_lo
	v_cmp_gt_f64_e32 vcc_lo, 0, v[17:18]
	v_cmp_gt_f64_e64 s4, 0, v[15:16]
	v_mov_b32_e32 v23, v17
	v_add_f64 v[19:20], v[19:20], v[21:22]
	v_xor_b32_e32 v22, 0x80000000, v16
	v_mov_b32_e32 v21, v15
	v_cndmask_b32_e32 v24, v18, v24, vcc_lo
	v_cndmask_b32_e64 v22, v16, v22, s4
	v_add_f64 v[21:22], v[21:22], v[23:24]
	v_cmp_lt_f64_e32 vcc_lo, v[19:20], v[21:22]
	v_cndmask_b32_e32 v1, v1, v16, vcc_lo
	v_cndmask_b32_e32 v0, v0, v15, vcc_lo
	;; [unrolled: 1-line block ×4, first 2 shown]
	v_cndmask_b32_e64 v4, v4, s16, vcc_lo
	s_add_i32 s16, s16, 1
	s_cmp_lg_u32 s57, s16
	s_cbranch_scc1 .LBB126_1166
.LBB126_1167:
	s_inst_prefetch 0x2
	s_waitcnt lgkmcnt(0)
	v_cmp_eq_f64_e32 vcc_lo, 0, v[0:1]
	v_cmp_eq_f64_e64 s4, 0, v[2:3]
	s_and_b32 s4, vcc_lo, s4
	s_and_saveexec_b32 s16, s4
	s_xor_b32 s4, exec_lo, s16
; %bb.1168:
	v_cmp_ne_u32_e32 vcc_lo, 0, v13
	v_cndmask_b32_e32 v13, 50, v13, vcc_lo
; %bb.1169:
	s_andn2_saveexec_b32 s4, s4
	s_cbranch_execz .LBB126_1175
; %bb.1170:
	v_cmp_ngt_f64_e64 s16, |v[0:1]|, |v[2:3]|
	s_and_saveexec_b32 s17, s16
	s_xor_b32 s16, exec_lo, s17
	s_cbranch_execz .LBB126_1172
; %bb.1171:
	v_div_scale_f64 v[15:16], null, v[2:3], v[2:3], v[0:1]
	v_div_scale_f64 v[21:22], vcc_lo, v[0:1], v[2:3], v[0:1]
	v_rcp_f64_e32 v[17:18], v[15:16]
	v_fma_f64 v[19:20], -v[15:16], v[17:18], 1.0
	v_fma_f64 v[17:18], v[17:18], v[19:20], v[17:18]
	v_fma_f64 v[19:20], -v[15:16], v[17:18], 1.0
	v_fma_f64 v[17:18], v[17:18], v[19:20], v[17:18]
	v_mul_f64 v[19:20], v[21:22], v[17:18]
	v_fma_f64 v[15:16], -v[15:16], v[19:20], v[21:22]
	v_div_fmas_f64 v[15:16], v[15:16], v[17:18], v[19:20]
	v_div_fixup_f64 v[15:16], v[15:16], v[2:3], v[0:1]
	v_fma_f64 v[0:1], v[0:1], v[15:16], v[2:3]
	v_div_scale_f64 v[2:3], null, v[0:1], v[0:1], 1.0
	v_rcp_f64_e32 v[17:18], v[2:3]
	v_fma_f64 v[19:20], -v[2:3], v[17:18], 1.0
	v_fma_f64 v[17:18], v[17:18], v[19:20], v[17:18]
	v_fma_f64 v[19:20], -v[2:3], v[17:18], 1.0
	v_fma_f64 v[17:18], v[17:18], v[19:20], v[17:18]
	v_div_scale_f64 v[19:20], vcc_lo, 1.0, v[0:1], 1.0
	v_mul_f64 v[21:22], v[19:20], v[17:18]
	v_fma_f64 v[2:3], -v[2:3], v[21:22], v[19:20]
	v_div_fmas_f64 v[2:3], v[2:3], v[17:18], v[21:22]
	v_div_fixup_f64 v[2:3], v[2:3], v[0:1], 1.0
	v_mul_f64 v[0:1], v[15:16], v[2:3]
	v_xor_b32_e32 v3, 0x80000000, v3
.LBB126_1172:
	s_andn2_saveexec_b32 s16, s16
	s_cbranch_execz .LBB126_1174
; %bb.1173:
	v_div_scale_f64 v[15:16], null, v[0:1], v[0:1], v[2:3]
	v_div_scale_f64 v[21:22], vcc_lo, v[2:3], v[0:1], v[2:3]
	v_rcp_f64_e32 v[17:18], v[15:16]
	v_fma_f64 v[19:20], -v[15:16], v[17:18], 1.0
	v_fma_f64 v[17:18], v[17:18], v[19:20], v[17:18]
	v_fma_f64 v[19:20], -v[15:16], v[17:18], 1.0
	v_fma_f64 v[17:18], v[17:18], v[19:20], v[17:18]
	v_mul_f64 v[19:20], v[21:22], v[17:18]
	v_fma_f64 v[15:16], -v[15:16], v[19:20], v[21:22]
	v_div_fmas_f64 v[15:16], v[15:16], v[17:18], v[19:20]
	v_div_fixup_f64 v[15:16], v[15:16], v[0:1], v[2:3]
	v_fma_f64 v[0:1], v[2:3], v[15:16], v[0:1]
	v_div_scale_f64 v[2:3], null, v[0:1], v[0:1], 1.0
	v_rcp_f64_e32 v[17:18], v[2:3]
	v_fma_f64 v[19:20], -v[2:3], v[17:18], 1.0
	v_fma_f64 v[17:18], v[17:18], v[19:20], v[17:18]
	v_fma_f64 v[19:20], -v[2:3], v[17:18], 1.0
	v_fma_f64 v[17:18], v[17:18], v[19:20], v[17:18]
	v_div_scale_f64 v[19:20], vcc_lo, 1.0, v[0:1], 1.0
	v_mul_f64 v[21:22], v[19:20], v[17:18]
	v_fma_f64 v[2:3], -v[2:3], v[21:22], v[19:20]
	v_div_fmas_f64 v[2:3], v[2:3], v[17:18], v[21:22]
	v_div_fixup_f64 v[0:1], v[2:3], v[0:1], 1.0
	v_mul_f64 v[2:3], v[15:16], -v[0:1]
.LBB126_1174:
	s_or_b32 exec_lo, exec_lo, s16
.LBB126_1175:
	s_or_b32 exec_lo, exec_lo, s4
	s_mov_b32 s4, exec_lo
	v_cmpx_ne_u32_e64 v5, v4
	s_xor_b32 s4, exec_lo, s4
	s_cbranch_execz .LBB126_1181
; %bb.1176:
	s_mov_b32 s16, exec_lo
	v_cmpx_eq_u32_e32 49, v5
	s_cbranch_execz .LBB126_1180
; %bb.1177:
	v_cmp_ne_u32_e32 vcc_lo, 49, v4
	s_xor_b32 s17, s20, -1
	s_and_b32 s56, s17, vcc_lo
	s_and_saveexec_b32 s17, s56
	s_cbranch_execz .LBB126_1179
; %bb.1178:
	v_ashrrev_i32_e32 v5, 31, v4
	v_lshlrev_b64 v[10:11], 2, v[4:5]
	v_add_co_u32 v10, vcc_lo, v8, v10
	v_add_co_ci_u32_e64 v11, null, v9, v11, vcc_lo
	s_clause 0x1
	global_load_dword v5, v[10:11], off
	global_load_dword v15, v[8:9], off offset:196
	s_waitcnt vmcnt(1)
	global_store_dword v[8:9], v5, off offset:196
	s_waitcnt vmcnt(0)
	global_store_dword v[10:11], v15, off
.LBB126_1179:
	s_or_b32 exec_lo, exec_lo, s17
	v_mov_b32_e32 v5, v4
	v_mov_b32_e32 v11, v4
.LBB126_1180:
	s_or_b32 exec_lo, exec_lo, s16
.LBB126_1181:
	s_andn2_saveexec_b32 s4, s4
	s_cbranch_execz .LBB126_1183
; %bb.1182:
	v_mov_b32_e32 v4, s31
	v_mov_b32_e32 v5, s30
	;; [unrolled: 1-line block ×3, first 2 shown]
	s_clause 0x7
	buffer_load_dword v15, v4, s[0:3], 0 offen
	buffer_load_dword v16, v4, s[0:3], 0 offen offset:4
	buffer_load_dword v17, v4, s[0:3], 0 offen offset:8
	buffer_load_dword v18, v4, s[0:3], 0 offen offset:12
	buffer_load_dword v19, v5, s[0:3], 0 offen
	buffer_load_dword v20, v5, s[0:3], 0 offen offset:4
	buffer_load_dword v21, v5, s[0:3], 0 offen offset:8
	buffer_load_dword v22, v5, s[0:3], 0 offen offset:12
	v_mov_b32_e32 v5, s27
	v_mov_b32_e32 v4, s28
	s_clause 0x7
	buffer_load_dword v23, v10, s[0:3], 0 offen
	buffer_load_dword v24, v10, s[0:3], 0 offen offset:4
	buffer_load_dword v25, v10, s[0:3], 0 offen offset:8
	buffer_load_dword v26, v10, s[0:3], 0 offen offset:12
	buffer_load_dword v27, v4, s[0:3], 0 offen
	buffer_load_dword v28, v4, s[0:3], 0 offen offset:4
	buffer_load_dword v29, v4, s[0:3], 0 offen offset:8
	buffer_load_dword v30, v4, s[0:3], 0 offen offset:12
	v_mov_b32_e32 v4, s26
	v_mov_b32_e32 v10, s25
	;; [unrolled: 11-line block ×5, first 2 shown]
	s_clause 0x7
	buffer_load_dword v55, v10, s[0:3], 0 offen
	buffer_load_dword v56, v10, s[0:3], 0 offen offset:4
	buffer_load_dword v57, v10, s[0:3], 0 offen offset:8
	;; [unrolled: 1-line block ×3, first 2 shown]
	buffer_load_dword v59, v4, s[0:3], 0 offen
	buffer_load_dword v60, v4, s[0:3], 0 offen offset:4
	buffer_load_dword v61, v4, s[0:3], 0 offen offset:8
	;; [unrolled: 1-line block ×3, first 2 shown]
	v_mov_b32_e32 v4, s5
	s_clause 0x7
	buffer_load_dword v63, v5, s[0:3], 0 offen
	buffer_load_dword v64, v5, s[0:3], 0 offen offset:4
	buffer_load_dword v65, v5, s[0:3], 0 offen offset:8
	;; [unrolled: 1-line block ×3, first 2 shown]
	buffer_load_dword v67, v4, s[0:3], 0 offen
	buffer_load_dword v68, v4, s[0:3], 0 offen offset:4
	buffer_load_dword v69, v4, s[0:3], 0 offen offset:8
	;; [unrolled: 1-line block ×3, first 2 shown]
	v_mov_b32_e32 v5, 49
	s_waitcnt vmcnt(52)
	ds_write2_b64 v12, v[15:16], v[17:18] offset0:100 offset1:101
	s_waitcnt vmcnt(48)
	ds_write2_b64 v12, v[19:20], v[21:22] offset0:102 offset1:103
	s_waitcnt vmcnt(44)
	ds_write2_b64 v12, v[23:24], v[25:26] offset0:104 offset1:105
	s_waitcnt vmcnt(40)
	ds_write2_b64 v12, v[27:28], v[29:30] offset0:106 offset1:107
	s_waitcnt vmcnt(36)
	ds_write2_b64 v12, v[31:32], v[33:34] offset0:108 offset1:109
	s_waitcnt vmcnt(32)
	ds_write2_b64 v12, v[35:36], v[37:38] offset0:110 offset1:111
	s_waitcnt vmcnt(28)
	ds_write2_b64 v12, v[39:40], v[41:42] offset0:112 offset1:113
	s_waitcnt vmcnt(24)
	ds_write2_b64 v12, v[43:44], v[45:46] offset0:114 offset1:115
	s_waitcnt vmcnt(20)
	ds_write2_b64 v12, v[47:48], v[49:50] offset0:116 offset1:117
	s_waitcnt vmcnt(16)
	ds_write2_b64 v12, v[51:52], v[53:54] offset0:118 offset1:119
	s_waitcnt vmcnt(12)
	ds_write2_b64 v12, v[55:56], v[57:58] offset0:120 offset1:121
	s_waitcnt vmcnt(8)
	ds_write2_b64 v12, v[59:60], v[61:62] offset0:122 offset1:123
	s_waitcnt vmcnt(4)
	ds_write2_b64 v12, v[63:64], v[65:66] offset0:124 offset1:125
	s_waitcnt vmcnt(0)
	ds_write2_b64 v12, v[67:68], v[69:70] offset0:126 offset1:127
.LBB126_1183:
	s_or_b32 exec_lo, exec_lo, s4
	s_mov_b32 s4, exec_lo
	s_waitcnt lgkmcnt(0)
	s_waitcnt_vscnt null, 0x0
	s_barrier
	buffer_gl0_inv
	v_cmpx_lt_i32_e32 49, v5
	s_cbranch_execz .LBB126_1185
; %bb.1184:
	s_clause 0x1b
	buffer_load_dword v15, off, s[0:3], 0 offset:792
	buffer_load_dword v16, off, s[0:3], 0 offset:796
	;; [unrolled: 1-line block ×28, first 2 shown]
	s_waitcnt vmcnt(26)
	v_mul_f64 v[19:20], v[0:1], v[15:16]
	v_mul_f64 v[15:16], v[2:3], v[15:16]
	s_waitcnt vmcnt(24)
	v_fma_f64 v[39:40], v[2:3], v[17:18], v[19:20]
	v_fma_f64 v[61:62], v[0:1], v[17:18], -v[15:16]
	buffer_store_dword v39, off, s[0:3], 0 offset:792
	buffer_store_dword v40, off, s[0:3], 0 offset:796
	s_clause 0x3
	buffer_load_dword v63, off, s[0:3], 0 offset:792
	buffer_load_dword v64, off, s[0:3], 0 offset:796
	;; [unrolled: 1-line block ×4, first 2 shown]
	buffer_store_dword v61, off, s[0:3], 0 offset:784
	buffer_store_dword v62, off, s[0:3], 0 offset:788
	s_clause 0x23
	buffer_load_dword v67, off, s[0:3], 0 offset:784
	buffer_load_dword v68, off, s[0:3], 0 offset:788
	;; [unrolled: 1-line block ×36, first 2 shown]
	ds_read2_b64 v[0:3], v12 offset0:100 offset1:101
	ds_read2_b64 v[15:18], v12 offset0:102 offset1:103
	;; [unrolled: 1-line block ×6, first 2 shown]
	s_waitcnt lgkmcnt(5)
	v_mul_f64 v[103:104], v[2:3], v[39:40]
	v_mul_f64 v[105:106], v[0:1], v[39:40]
	s_waitcnt lgkmcnt(4)
	v_mul_f64 v[107:108], v[17:18], v[39:40]
	v_mul_f64 v[109:110], v[15:16], v[39:40]
	;; [unrolled: 3-line block ×6, first 2 shown]
	v_fma_f64 v[0:1], v[0:1], v[61:62], -v[103:104]
	v_fma_f64 v[2:3], v[2:3], v[61:62], v[105:106]
	v_fma_f64 v[15:16], v[15:16], v[61:62], -v[107:108]
	v_fma_f64 v[103:104], v[17:18], v[61:62], v[109:110]
	;; [unrolled: 2-line block ×6, first 2 shown]
	s_waitcnt vmcnt(62)
	v_add_f64 v[119:120], v[35:36], -v[0:1]
	s_waitcnt vmcnt(60)
	v_add_f64 v[121:122], v[37:38], -v[2:3]
	;; [unrolled: 2-line block ×3, first 2 shown]
	ds_read2_b64 v[0:3], v12 offset0:112 offset1:113
	ds_read2_b64 v[15:18], v12 offset0:114 offset1:115
	s_waitcnt vmcnt(56)
	v_add_f64 v[43:44], v[43:44], -v[103:104]
	s_waitcnt vmcnt(54)
	v_add_f64 v[45:46], v[45:46], -v[105:106]
	ds_read2_b64 v[19:22], v12 offset0:116 offset1:117
	ds_read2_b64 v[23:26], v12 offset0:118 offset1:119
	s_waitcnt vmcnt(52)
	v_add_f64 v[47:48], v[47:48], -v[107:108]
	ds_read2_b64 v[27:30], v12 offset0:120 offset1:121
	ds_read2_b64 v[31:34], v12 offset0:122 offset1:123
	;; [unrolled: 1-line block ×4, first 2 shown]
	s_waitcnt vmcnt(50)
	v_add_f64 v[49:50], v[49:50], -v[109:110]
	s_waitcnt vmcnt(48)
	v_add_f64 v[51:52], v[51:52], -v[111:112]
	s_waitcnt vmcnt(40)
	v_add_f64 v[59:60], v[59:60], -v[61:62]
	v_add_f64 v[53:54], v[53:54], -v[113:114]
	v_add_f64 v[55:56], v[55:56], -v[115:116]
	;; [unrolled: 1-line block ×3, first 2 shown]
	buffer_store_dword v119, off, s[0:3], 0 offset:800
	buffer_store_dword v120, off, s[0:3], 0 offset:804
	;; [unrolled: 1-line block ×24, first 2 shown]
	s_waitcnt vmcnt(38) lgkmcnt(7)
	v_mul_f64 v[61:62], v[2:3], v[63:64]
	v_mul_f64 v[103:104], v[0:1], v[63:64]
	s_waitcnt lgkmcnt(6)
	v_mul_f64 v[43:44], v[17:18], v[63:64]
	v_mul_f64 v[105:106], v[15:16], v[63:64]
	s_waitcnt lgkmcnt(5)
	;; [unrolled: 3-line block ×5, first 2 shown]
	v_mul_f64 v[115:116], v[33:34], v[63:64]
	v_mul_f64 v[63:64], v[31:32], v[63:64]
	s_waitcnt vmcnt(36) lgkmcnt(1)
	v_mul_f64 v[117:118], v[37:38], v[65:66]
	v_mul_f64 v[119:120], v[35:36], v[65:66]
	s_waitcnt lgkmcnt(0)
	v_mul_f64 v[121:122], v[41:42], v[65:66]
	v_mul_f64 v[65:66], v[39:40], v[65:66]
	s_waitcnt vmcnt(34)
	v_fma_f64 v[0:1], v[0:1], v[67:68], -v[61:62]
	v_fma_f64 v[2:3], v[2:3], v[67:68], v[103:104]
	v_fma_f64 v[15:16], v[15:16], v[67:68], -v[43:44]
	v_fma_f64 v[17:18], v[17:18], v[67:68], v[105:106]
	v_fma_f64 v[19:20], v[19:20], v[67:68], -v[45:46]
	v_fma_f64 v[21:22], v[21:22], v[67:68], v[107:108]
	v_fma_f64 v[23:24], v[23:24], v[67:68], -v[47:48]
	v_fma_f64 v[25:26], v[25:26], v[67:68], v[109:110]
	v_fma_f64 v[27:28], v[27:28], v[67:68], -v[111:112]
	v_fma_f64 v[29:30], v[29:30], v[67:68], v[113:114]
	v_fma_f64 v[31:32], v[31:32], v[67:68], -v[115:116]
	v_fma_f64 v[33:34], v[33:34], v[67:68], v[63:64]
	s_waitcnt vmcnt(28)
	v_fma_f64 v[35:36], v[35:36], v[73:74], -v[117:118]
	v_fma_f64 v[37:38], v[37:38], v[73:74], v[119:120]
	v_fma_f64 v[39:40], v[39:40], v[73:74], -v[121:122]
	v_fma_f64 v[41:42], v[41:42], v[73:74], v[65:66]
	v_add_f64 v[0:1], v[69:70], -v[0:1]
	v_add_f64 v[2:3], v[71:72], -v[2:3]
	s_waitcnt vmcnt(26)
	v_add_f64 v[15:16], v[75:76], -v[15:16]
	s_waitcnt vmcnt(24)
	;; [unrolled: 2-line block ×11, first 2 shown]
	v_add_f64 v[35:36], v[95:96], -v[35:36]
	v_add_f64 v[37:38], v[97:98], -v[37:38]
	s_waitcnt vmcnt(2)
	v_add_f64 v[39:40], v[99:100], -v[39:40]
	s_waitcnt vmcnt(0)
	v_add_f64 v[41:42], v[101:102], -v[41:42]
	buffer_store_dword v1, off, s[0:3], 0 offset:900
	buffer_store_dword v0, off, s[0:3], 0 offset:896
	;; [unrolled: 1-line block ×32, first 2 shown]
.LBB126_1185:
	s_or_b32 exec_lo, exec_lo, s4
	v_mov_b32_e32 v3, s31
	s_waitcnt_vscnt null, 0x0
	s_barrier
	buffer_gl0_inv
	v_lshl_add_u32 v4, v5, 4, v12
	s_clause 0x3
	buffer_load_dword v0, v3, s[0:3], 0 offen
	buffer_load_dword v1, v3, s[0:3], 0 offen offset:4
	buffer_load_dword v2, v3, s[0:3], 0 offen offset:8
	buffer_load_dword v3, v3, s[0:3], 0 offen offset:12
	s_cmp_lt_i32 s57, 52
	s_waitcnt vmcnt(0)
	ds_write2_b64 v4, v[0:1], v[2:3] offset1:1
	s_waitcnt lgkmcnt(0)
	s_barrier
	buffer_gl0_inv
	ds_read2_b64 v[0:3], v12 offset0:100 offset1:101
	v_mov_b32_e32 v4, 50
	s_cbranch_scc1 .LBB126_1188
; %bb.1186:
	v_add3_u32 v10, v14, 0, 0x330
	v_mov_b32_e32 v4, 50
	s_mov_b32 s16, 51
	s_inst_prefetch 0x1
	.p2align	6
.LBB126_1187:                           ; =>This Inner Loop Header: Depth=1
	s_waitcnt lgkmcnt(0)
	v_cmp_gt_f64_e32 vcc_lo, 0, v[2:3]
	v_cmp_gt_f64_e64 s4, 0, v[0:1]
	ds_read2_b64 v[15:18], v10 offset1:1
	v_xor_b32_e32 v20, 0x80000000, v1
	v_xor_b32_e32 v22, 0x80000000, v3
	v_mov_b32_e32 v19, v0
	v_mov_b32_e32 v21, v2
	v_add_nc_u32_e32 v10, 16, v10
	s_waitcnt lgkmcnt(0)
	v_xor_b32_e32 v24, 0x80000000, v18
	v_cndmask_b32_e64 v20, v1, v20, s4
	v_cndmask_b32_e32 v22, v3, v22, vcc_lo
	v_cmp_gt_f64_e32 vcc_lo, 0, v[17:18]
	v_cmp_gt_f64_e64 s4, 0, v[15:16]
	v_mov_b32_e32 v23, v17
	v_add_f64 v[19:20], v[19:20], v[21:22]
	v_xor_b32_e32 v22, 0x80000000, v16
	v_mov_b32_e32 v21, v15
	v_cndmask_b32_e32 v24, v18, v24, vcc_lo
	v_cndmask_b32_e64 v22, v16, v22, s4
	v_add_f64 v[21:22], v[21:22], v[23:24]
	v_cmp_lt_f64_e32 vcc_lo, v[19:20], v[21:22]
	v_cndmask_b32_e32 v1, v1, v16, vcc_lo
	v_cndmask_b32_e32 v0, v0, v15, vcc_lo
	;; [unrolled: 1-line block ×4, first 2 shown]
	v_cndmask_b32_e64 v4, v4, s16, vcc_lo
	s_add_i32 s16, s16, 1
	s_cmp_lg_u32 s57, s16
	s_cbranch_scc1 .LBB126_1187
.LBB126_1188:
	s_inst_prefetch 0x2
	s_waitcnt lgkmcnt(0)
	v_cmp_eq_f64_e32 vcc_lo, 0, v[0:1]
	v_cmp_eq_f64_e64 s4, 0, v[2:3]
	s_and_b32 s4, vcc_lo, s4
	s_and_saveexec_b32 s16, s4
	s_xor_b32 s4, exec_lo, s16
; %bb.1189:
	v_cmp_ne_u32_e32 vcc_lo, 0, v13
	v_cndmask_b32_e32 v13, 51, v13, vcc_lo
; %bb.1190:
	s_andn2_saveexec_b32 s4, s4
	s_cbranch_execz .LBB126_1196
; %bb.1191:
	v_cmp_ngt_f64_e64 s16, |v[0:1]|, |v[2:3]|
	s_and_saveexec_b32 s17, s16
	s_xor_b32 s16, exec_lo, s17
	s_cbranch_execz .LBB126_1193
; %bb.1192:
	v_div_scale_f64 v[15:16], null, v[2:3], v[2:3], v[0:1]
	v_div_scale_f64 v[21:22], vcc_lo, v[0:1], v[2:3], v[0:1]
	v_rcp_f64_e32 v[17:18], v[15:16]
	v_fma_f64 v[19:20], -v[15:16], v[17:18], 1.0
	v_fma_f64 v[17:18], v[17:18], v[19:20], v[17:18]
	v_fma_f64 v[19:20], -v[15:16], v[17:18], 1.0
	v_fma_f64 v[17:18], v[17:18], v[19:20], v[17:18]
	v_mul_f64 v[19:20], v[21:22], v[17:18]
	v_fma_f64 v[15:16], -v[15:16], v[19:20], v[21:22]
	v_div_fmas_f64 v[15:16], v[15:16], v[17:18], v[19:20]
	v_div_fixup_f64 v[15:16], v[15:16], v[2:3], v[0:1]
	v_fma_f64 v[0:1], v[0:1], v[15:16], v[2:3]
	v_div_scale_f64 v[2:3], null, v[0:1], v[0:1], 1.0
	v_rcp_f64_e32 v[17:18], v[2:3]
	v_fma_f64 v[19:20], -v[2:3], v[17:18], 1.0
	v_fma_f64 v[17:18], v[17:18], v[19:20], v[17:18]
	v_fma_f64 v[19:20], -v[2:3], v[17:18], 1.0
	v_fma_f64 v[17:18], v[17:18], v[19:20], v[17:18]
	v_div_scale_f64 v[19:20], vcc_lo, 1.0, v[0:1], 1.0
	v_mul_f64 v[21:22], v[19:20], v[17:18]
	v_fma_f64 v[2:3], -v[2:3], v[21:22], v[19:20]
	v_div_fmas_f64 v[2:3], v[2:3], v[17:18], v[21:22]
	v_div_fixup_f64 v[2:3], v[2:3], v[0:1], 1.0
	v_mul_f64 v[0:1], v[15:16], v[2:3]
	v_xor_b32_e32 v3, 0x80000000, v3
.LBB126_1193:
	s_andn2_saveexec_b32 s16, s16
	s_cbranch_execz .LBB126_1195
; %bb.1194:
	v_div_scale_f64 v[15:16], null, v[0:1], v[0:1], v[2:3]
	v_div_scale_f64 v[21:22], vcc_lo, v[2:3], v[0:1], v[2:3]
	v_rcp_f64_e32 v[17:18], v[15:16]
	v_fma_f64 v[19:20], -v[15:16], v[17:18], 1.0
	v_fma_f64 v[17:18], v[17:18], v[19:20], v[17:18]
	v_fma_f64 v[19:20], -v[15:16], v[17:18], 1.0
	v_fma_f64 v[17:18], v[17:18], v[19:20], v[17:18]
	v_mul_f64 v[19:20], v[21:22], v[17:18]
	v_fma_f64 v[15:16], -v[15:16], v[19:20], v[21:22]
	v_div_fmas_f64 v[15:16], v[15:16], v[17:18], v[19:20]
	v_div_fixup_f64 v[15:16], v[15:16], v[0:1], v[2:3]
	v_fma_f64 v[0:1], v[2:3], v[15:16], v[0:1]
	v_div_scale_f64 v[2:3], null, v[0:1], v[0:1], 1.0
	v_rcp_f64_e32 v[17:18], v[2:3]
	v_fma_f64 v[19:20], -v[2:3], v[17:18], 1.0
	v_fma_f64 v[17:18], v[17:18], v[19:20], v[17:18]
	v_fma_f64 v[19:20], -v[2:3], v[17:18], 1.0
	v_fma_f64 v[17:18], v[17:18], v[19:20], v[17:18]
	v_div_scale_f64 v[19:20], vcc_lo, 1.0, v[0:1], 1.0
	v_mul_f64 v[21:22], v[19:20], v[17:18]
	v_fma_f64 v[2:3], -v[2:3], v[21:22], v[19:20]
	v_div_fmas_f64 v[2:3], v[2:3], v[17:18], v[21:22]
	v_div_fixup_f64 v[0:1], v[2:3], v[0:1], 1.0
	v_mul_f64 v[2:3], v[15:16], -v[0:1]
.LBB126_1195:
	s_or_b32 exec_lo, exec_lo, s16
.LBB126_1196:
	s_or_b32 exec_lo, exec_lo, s4
	s_mov_b32 s4, exec_lo
	v_cmpx_ne_u32_e64 v5, v4
	s_xor_b32 s4, exec_lo, s4
	s_cbranch_execz .LBB126_1202
; %bb.1197:
	s_mov_b32 s16, exec_lo
	v_cmpx_eq_u32_e32 50, v5
	s_cbranch_execz .LBB126_1201
; %bb.1198:
	v_cmp_ne_u32_e32 vcc_lo, 50, v4
	s_xor_b32 s17, s20, -1
	s_and_b32 s56, s17, vcc_lo
	s_and_saveexec_b32 s17, s56
	s_cbranch_execz .LBB126_1200
; %bb.1199:
	v_ashrrev_i32_e32 v5, 31, v4
	v_lshlrev_b64 v[10:11], 2, v[4:5]
	v_add_co_u32 v10, vcc_lo, v8, v10
	v_add_co_ci_u32_e64 v11, null, v9, v11, vcc_lo
	s_clause 0x1
	global_load_dword v5, v[10:11], off
	global_load_dword v15, v[8:9], off offset:200
	s_waitcnt vmcnt(1)
	global_store_dword v[8:9], v5, off offset:200
	s_waitcnt vmcnt(0)
	global_store_dword v[10:11], v15, off
.LBB126_1200:
	s_or_b32 exec_lo, exec_lo, s17
	v_mov_b32_e32 v5, v4
	v_mov_b32_e32 v11, v4
.LBB126_1201:
	s_or_b32 exec_lo, exec_lo, s16
.LBB126_1202:
	s_andn2_saveexec_b32 s4, s4
	s_cbranch_execz .LBB126_1204
; %bb.1203:
	v_mov_b32_e32 v4, s30
	v_mov_b32_e32 v10, s28
	;; [unrolled: 1-line block ×3, first 2 shown]
	s_clause 0x7
	buffer_load_dword v15, v4, s[0:3], 0 offen
	buffer_load_dword v16, v4, s[0:3], 0 offen offset:4
	buffer_load_dword v17, v4, s[0:3], 0 offen offset:8
	buffer_load_dword v18, v4, s[0:3], 0 offen offset:12
	buffer_load_dword v19, v5, s[0:3], 0 offen
	buffer_load_dword v20, v5, s[0:3], 0 offen offset:4
	buffer_load_dword v21, v5, s[0:3], 0 offen offset:8
	buffer_load_dword v22, v5, s[0:3], 0 offen offset:12
	v_mov_b32_e32 v4, s27
	v_mov_b32_e32 v5, s26
	s_clause 0x7
	buffer_load_dword v23, v10, s[0:3], 0 offen
	buffer_load_dword v24, v10, s[0:3], 0 offen offset:4
	buffer_load_dword v25, v10, s[0:3], 0 offen offset:8
	buffer_load_dword v26, v10, s[0:3], 0 offen offset:12
	buffer_load_dword v27, v4, s[0:3], 0 offen
	buffer_load_dword v28, v4, s[0:3], 0 offen offset:4
	buffer_load_dword v29, v4, s[0:3], 0 offen offset:8
	buffer_load_dword v30, v4, s[0:3], 0 offen offset:12
	v_mov_b32_e32 v10, s24
	v_mov_b32_e32 v4, s25
	;; [unrolled: 11-line block ×5, first 2 shown]
	s_clause 0xb
	buffer_load_dword v55, v10, s[0:3], 0 offen
	buffer_load_dword v56, v10, s[0:3], 0 offen offset:4
	buffer_load_dword v57, v10, s[0:3], 0 offen offset:8
	buffer_load_dword v58, v10, s[0:3], 0 offen offset:12
	buffer_load_dword v59, v4, s[0:3], 0 offen
	buffer_load_dword v60, v4, s[0:3], 0 offen offset:4
	buffer_load_dword v61, v4, s[0:3], 0 offen offset:8
	buffer_load_dword v62, v4, s[0:3], 0 offen offset:12
	buffer_load_dword v63, v5, s[0:3], 0 offen
	buffer_load_dword v64, v5, s[0:3], 0 offen offset:4
	buffer_load_dword v65, v5, s[0:3], 0 offen offset:8
	buffer_load_dword v66, v5, s[0:3], 0 offen offset:12
	v_mov_b32_e32 v5, 50
	s_waitcnt vmcnt(48)
	ds_write2_b64 v12, v[15:16], v[17:18] offset0:102 offset1:103
	s_waitcnt vmcnt(44)
	ds_write2_b64 v12, v[19:20], v[21:22] offset0:104 offset1:105
	;; [unrolled: 2-line block ×13, first 2 shown]
.LBB126_1204:
	s_or_b32 exec_lo, exec_lo, s4
	s_mov_b32 s4, exec_lo
	s_waitcnt lgkmcnt(0)
	s_waitcnt_vscnt null, 0x0
	s_barrier
	buffer_gl0_inv
	v_cmpx_lt_i32_e32 50, v5
	s_cbranch_execz .LBB126_1206
; %bb.1205:
	s_clause 0x1b
	buffer_load_dword v15, off, s[0:3], 0 offset:808
	buffer_load_dword v16, off, s[0:3], 0 offset:812
	;; [unrolled: 1-line block ×28, first 2 shown]
	s_waitcnt vmcnt(26)
	v_mul_f64 v[19:20], v[0:1], v[15:16]
	v_mul_f64 v[15:16], v[2:3], v[15:16]
	s_waitcnt vmcnt(24)
	v_fma_f64 v[39:40], v[2:3], v[17:18], v[19:20]
	v_fma_f64 v[57:58], v[0:1], v[17:18], -v[15:16]
	buffer_store_dword v39, off, s[0:3], 0 offset:808
	buffer_store_dword v40, off, s[0:3], 0 offset:812
	s_clause 0x1
	buffer_load_dword v63, off, s[0:3], 0 offset:808
	buffer_load_dword v64, off, s[0:3], 0 offset:812
	buffer_store_dword v57, off, s[0:3], 0 offset:800
	buffer_store_dword v58, off, s[0:3], 0 offset:804
	s_clause 0x21
	buffer_load_dword v66, off, s[0:3], 0 offset:812
	buffer_load_dword v65, off, s[0:3], 0 offset:808
	buffer_load_dword v67, off, s[0:3], 0 offset:800
	buffer_load_dword v68, off, s[0:3], 0 offset:804
	buffer_load_dword v70, off, s[0:3], 0 offset:916
	buffer_load_dword v72, off, s[0:3], 0 offset:924
	buffer_load_dword v71, off, s[0:3], 0 offset:920
	buffer_load_dword v69, off, s[0:3], 0 offset:912
	buffer_load_dword v74, off, s[0:3], 0 offset:804
	buffer_load_dword v73, off, s[0:3], 0 offset:800
	buffer_load_dword v75, off, s[0:3], 0 offset:928
	buffer_load_dword v76, off, s[0:3], 0 offset:932
	buffer_load_dword v77, off, s[0:3], 0 offset:936
	buffer_load_dword v78, off, s[0:3], 0 offset:940
	buffer_load_dword v79, off, s[0:3], 0 offset:944
	buffer_load_dword v80, off, s[0:3], 0 offset:948
	buffer_load_dword v81, off, s[0:3], 0 offset:952
	buffer_load_dword v82, off, s[0:3], 0 offset:956
	buffer_load_dword v83, off, s[0:3], 0 offset:960
	buffer_load_dword v84, off, s[0:3], 0 offset:964
	buffer_load_dword v85, off, s[0:3], 0 offset:968
	buffer_load_dword v86, off, s[0:3], 0 offset:972
	buffer_load_dword v87, off, s[0:3], 0 offset:976
	buffer_load_dword v88, off, s[0:3], 0 offset:980
	buffer_load_dword v89, off, s[0:3], 0 offset:984
	buffer_load_dword v90, off, s[0:3], 0 offset:988
	buffer_load_dword v91, off, s[0:3], 0 offset:992
	buffer_load_dword v92, off, s[0:3], 0 offset:996
	buffer_load_dword v93, off, s[0:3], 0 offset:1000
	buffer_load_dword v94, off, s[0:3], 0 offset:1004
	buffer_load_dword v96, off, s[0:3], 0 offset:1012
	buffer_load_dword v97, off, s[0:3], 0 offset:1016
	buffer_load_dword v95, off, s[0:3], 0 offset:1008
	buffer_load_dword v98, off, s[0:3], 0 offset:1020
	ds_read2_b64 v[0:3], v12 offset0:102 offset1:103
	ds_read2_b64 v[15:18], v12 offset0:104 offset1:105
	;; [unrolled: 1-line block ×6, first 2 shown]
	s_waitcnt lgkmcnt(5)
	v_mul_f64 v[99:100], v[2:3], v[39:40]
	v_mul_f64 v[101:102], v[0:1], v[39:40]
	s_waitcnt lgkmcnt(4)
	v_mul_f64 v[103:104], v[17:18], v[39:40]
	v_mul_f64 v[105:106], v[15:16], v[39:40]
	;; [unrolled: 3-line block ×6, first 2 shown]
	v_fma_f64 v[0:1], v[0:1], v[57:58], -v[99:100]
	v_fma_f64 v[99:100], v[2:3], v[57:58], v[101:102]
	v_fma_f64 v[101:102], v[15:16], v[57:58], -v[103:104]
	v_fma_f64 v[103:104], v[17:18], v[57:58], v[105:106]
	;; [unrolled: 2-line block ×6, first 2 shown]
	s_waitcnt vmcnt(58)
	v_add_f64 v[57:58], v[35:36], -v[0:1]
	ds_read2_b64 v[0:3], v12 offset0:114 offset1:115
	s_waitcnt vmcnt(56)
	v_add_f64 v[99:100], v[37:38], -v[99:100]
	ds_read2_b64 v[15:18], v12 offset0:116 offset1:117
	ds_read2_b64 v[19:22], v12 offset0:118 offset1:119
	ds_read2_b64 v[23:26], v12 offset0:120 offset1:121
	s_waitcnt vmcnt(54)
	v_add_f64 v[41:42], v[41:42], -v[101:102]
	s_waitcnt vmcnt(52)
	v_add_f64 v[43:44], v[43:44], -v[103:104]
	ds_read2_b64 v[27:30], v12 offset0:122 offset1:123
	ds_read2_b64 v[31:34], v12 offset0:124 offset1:125
	;; [unrolled: 1-line block ×3, first 2 shown]
	s_waitcnt vmcnt(50)
	v_add_f64 v[45:46], v[45:46], -v[105:106]
	s_waitcnt vmcnt(48)
	v_add_f64 v[47:48], v[47:48], -v[107:108]
	;; [unrolled: 2-line block ×5, first 2 shown]
	v_add_f64 v[53:54], v[53:54], -v[113:114]
	v_add_f64 v[55:56], v[55:56], -v[115:116]
	;; [unrolled: 1-line block ×3, first 2 shown]
	buffer_store_dword v57, off, s[0:3], 0 offset:816
	buffer_store_dword v58, off, s[0:3], 0 offset:820
	;; [unrolled: 1-line block ×24, first 2 shown]
	s_waitcnt vmcnt(32) lgkmcnt(0)
	v_mul_f64 v[113:114], v[37:38], v[65:66]
	v_mul_f64 v[65:66], v[35:36], v[65:66]
	s_waitcnt vmcnt(24)
	v_fma_f64 v[35:36], v[35:36], v[73:74], -v[113:114]
	v_fma_f64 v[37:38], v[37:38], v[73:74], v[65:66]
	v_mul_f64 v[61:62], v[2:3], v[63:64]
	v_mul_f64 v[101:102], v[0:1], v[63:64]
	;; [unrolled: 1-line block ×12, first 2 shown]
	s_waitcnt vmcnt(1)
	v_add_f64 v[35:36], v[95:96], -v[35:36]
	s_waitcnt vmcnt(0)
	v_add_f64 v[37:38], v[97:98], -v[37:38]
	v_fma_f64 v[0:1], v[0:1], v[67:68], -v[61:62]
	v_fma_f64 v[2:3], v[2:3], v[67:68], v[101:102]
	v_fma_f64 v[15:16], v[15:16], v[67:68], -v[57:58]
	v_fma_f64 v[17:18], v[17:18], v[67:68], v[103:104]
	;; [unrolled: 2-line block ×6, first 2 shown]
	v_add_f64 v[0:1], v[69:70], -v[0:1]
	v_add_f64 v[2:3], v[71:72], -v[2:3]
	;; [unrolled: 1-line block ×12, first 2 shown]
	buffer_store_dword v1, off, s[0:3], 0 offset:916
	buffer_store_dword v0, off, s[0:3], 0 offset:912
	;; [unrolled: 1-line block ×28, first 2 shown]
.LBB126_1206:
	s_or_b32 exec_lo, exec_lo, s4
	v_mov_b32_e32 v3, s30
	s_waitcnt_vscnt null, 0x0
	s_barrier
	buffer_gl0_inv
	v_lshl_add_u32 v4, v5, 4, v12
	s_clause 0x3
	buffer_load_dword v0, v3, s[0:3], 0 offen
	buffer_load_dword v1, v3, s[0:3], 0 offen offset:4
	buffer_load_dword v2, v3, s[0:3], 0 offen offset:8
	;; [unrolled: 1-line block ×3, first 2 shown]
	s_cmp_lt_i32 s57, 53
	s_waitcnt vmcnt(0)
	ds_write2_b64 v4, v[0:1], v[2:3] offset1:1
	s_waitcnt lgkmcnt(0)
	s_barrier
	buffer_gl0_inv
	ds_read2_b64 v[0:3], v12 offset0:102 offset1:103
	v_mov_b32_e32 v4, 51
	s_cbranch_scc1 .LBB126_1209
; %bb.1207:
	v_add3_u32 v10, v14, 0, 0x340
	v_mov_b32_e32 v4, 51
	s_mov_b32 s16, 52
	s_inst_prefetch 0x1
	.p2align	6
.LBB126_1208:                           ; =>This Inner Loop Header: Depth=1
	s_waitcnt lgkmcnt(0)
	v_cmp_gt_f64_e32 vcc_lo, 0, v[2:3]
	v_cmp_gt_f64_e64 s4, 0, v[0:1]
	ds_read2_b64 v[15:18], v10 offset1:1
	v_xor_b32_e32 v20, 0x80000000, v1
	v_xor_b32_e32 v22, 0x80000000, v3
	v_mov_b32_e32 v19, v0
	v_mov_b32_e32 v21, v2
	v_add_nc_u32_e32 v10, 16, v10
	s_waitcnt lgkmcnt(0)
	v_xor_b32_e32 v24, 0x80000000, v18
	v_cndmask_b32_e64 v20, v1, v20, s4
	v_cndmask_b32_e32 v22, v3, v22, vcc_lo
	v_cmp_gt_f64_e32 vcc_lo, 0, v[17:18]
	v_cmp_gt_f64_e64 s4, 0, v[15:16]
	v_mov_b32_e32 v23, v17
	v_add_f64 v[19:20], v[19:20], v[21:22]
	v_xor_b32_e32 v22, 0x80000000, v16
	v_mov_b32_e32 v21, v15
	v_cndmask_b32_e32 v24, v18, v24, vcc_lo
	v_cndmask_b32_e64 v22, v16, v22, s4
	v_add_f64 v[21:22], v[21:22], v[23:24]
	v_cmp_lt_f64_e32 vcc_lo, v[19:20], v[21:22]
	v_cndmask_b32_e32 v1, v1, v16, vcc_lo
	v_cndmask_b32_e32 v0, v0, v15, vcc_lo
	;; [unrolled: 1-line block ×4, first 2 shown]
	v_cndmask_b32_e64 v4, v4, s16, vcc_lo
	s_add_i32 s16, s16, 1
	s_cmp_lg_u32 s57, s16
	s_cbranch_scc1 .LBB126_1208
.LBB126_1209:
	s_inst_prefetch 0x2
	s_waitcnt lgkmcnt(0)
	v_cmp_eq_f64_e32 vcc_lo, 0, v[0:1]
	v_cmp_eq_f64_e64 s4, 0, v[2:3]
	s_and_b32 s4, vcc_lo, s4
	s_and_saveexec_b32 s16, s4
	s_xor_b32 s4, exec_lo, s16
; %bb.1210:
	v_cmp_ne_u32_e32 vcc_lo, 0, v13
	v_cndmask_b32_e32 v13, 52, v13, vcc_lo
; %bb.1211:
	s_andn2_saveexec_b32 s4, s4
	s_cbranch_execz .LBB126_1217
; %bb.1212:
	v_cmp_ngt_f64_e64 s16, |v[0:1]|, |v[2:3]|
	s_and_saveexec_b32 s17, s16
	s_xor_b32 s16, exec_lo, s17
	s_cbranch_execz .LBB126_1214
; %bb.1213:
	v_div_scale_f64 v[15:16], null, v[2:3], v[2:3], v[0:1]
	v_div_scale_f64 v[21:22], vcc_lo, v[0:1], v[2:3], v[0:1]
	v_rcp_f64_e32 v[17:18], v[15:16]
	v_fma_f64 v[19:20], -v[15:16], v[17:18], 1.0
	v_fma_f64 v[17:18], v[17:18], v[19:20], v[17:18]
	v_fma_f64 v[19:20], -v[15:16], v[17:18], 1.0
	v_fma_f64 v[17:18], v[17:18], v[19:20], v[17:18]
	v_mul_f64 v[19:20], v[21:22], v[17:18]
	v_fma_f64 v[15:16], -v[15:16], v[19:20], v[21:22]
	v_div_fmas_f64 v[15:16], v[15:16], v[17:18], v[19:20]
	v_div_fixup_f64 v[15:16], v[15:16], v[2:3], v[0:1]
	v_fma_f64 v[0:1], v[0:1], v[15:16], v[2:3]
	v_div_scale_f64 v[2:3], null, v[0:1], v[0:1], 1.0
	v_rcp_f64_e32 v[17:18], v[2:3]
	v_fma_f64 v[19:20], -v[2:3], v[17:18], 1.0
	v_fma_f64 v[17:18], v[17:18], v[19:20], v[17:18]
	v_fma_f64 v[19:20], -v[2:3], v[17:18], 1.0
	v_fma_f64 v[17:18], v[17:18], v[19:20], v[17:18]
	v_div_scale_f64 v[19:20], vcc_lo, 1.0, v[0:1], 1.0
	v_mul_f64 v[21:22], v[19:20], v[17:18]
	v_fma_f64 v[2:3], -v[2:3], v[21:22], v[19:20]
	v_div_fmas_f64 v[2:3], v[2:3], v[17:18], v[21:22]
	v_div_fixup_f64 v[2:3], v[2:3], v[0:1], 1.0
	v_mul_f64 v[0:1], v[15:16], v[2:3]
	v_xor_b32_e32 v3, 0x80000000, v3
.LBB126_1214:
	s_andn2_saveexec_b32 s16, s16
	s_cbranch_execz .LBB126_1216
; %bb.1215:
	v_div_scale_f64 v[15:16], null, v[0:1], v[0:1], v[2:3]
	v_div_scale_f64 v[21:22], vcc_lo, v[2:3], v[0:1], v[2:3]
	v_rcp_f64_e32 v[17:18], v[15:16]
	v_fma_f64 v[19:20], -v[15:16], v[17:18], 1.0
	v_fma_f64 v[17:18], v[17:18], v[19:20], v[17:18]
	v_fma_f64 v[19:20], -v[15:16], v[17:18], 1.0
	v_fma_f64 v[17:18], v[17:18], v[19:20], v[17:18]
	v_mul_f64 v[19:20], v[21:22], v[17:18]
	v_fma_f64 v[15:16], -v[15:16], v[19:20], v[21:22]
	v_div_fmas_f64 v[15:16], v[15:16], v[17:18], v[19:20]
	v_div_fixup_f64 v[15:16], v[15:16], v[0:1], v[2:3]
	v_fma_f64 v[0:1], v[2:3], v[15:16], v[0:1]
	v_div_scale_f64 v[2:3], null, v[0:1], v[0:1], 1.0
	v_rcp_f64_e32 v[17:18], v[2:3]
	v_fma_f64 v[19:20], -v[2:3], v[17:18], 1.0
	v_fma_f64 v[17:18], v[17:18], v[19:20], v[17:18]
	v_fma_f64 v[19:20], -v[2:3], v[17:18], 1.0
	v_fma_f64 v[17:18], v[17:18], v[19:20], v[17:18]
	v_div_scale_f64 v[19:20], vcc_lo, 1.0, v[0:1], 1.0
	v_mul_f64 v[21:22], v[19:20], v[17:18]
	v_fma_f64 v[2:3], -v[2:3], v[21:22], v[19:20]
	v_div_fmas_f64 v[2:3], v[2:3], v[17:18], v[21:22]
	v_div_fixup_f64 v[0:1], v[2:3], v[0:1], 1.0
	v_mul_f64 v[2:3], v[15:16], -v[0:1]
.LBB126_1216:
	s_or_b32 exec_lo, exec_lo, s16
.LBB126_1217:
	s_or_b32 exec_lo, exec_lo, s4
	s_mov_b32 s4, exec_lo
	v_cmpx_ne_u32_e64 v5, v4
	s_xor_b32 s4, exec_lo, s4
	s_cbranch_execz .LBB126_1223
; %bb.1218:
	s_mov_b32 s16, exec_lo
	v_cmpx_eq_u32_e32 51, v5
	s_cbranch_execz .LBB126_1222
; %bb.1219:
	v_cmp_ne_u32_e32 vcc_lo, 51, v4
	s_xor_b32 s17, s20, -1
	s_and_b32 s56, s17, vcc_lo
	s_and_saveexec_b32 s17, s56
	s_cbranch_execz .LBB126_1221
; %bb.1220:
	v_ashrrev_i32_e32 v5, 31, v4
	v_lshlrev_b64 v[10:11], 2, v[4:5]
	v_add_co_u32 v10, vcc_lo, v8, v10
	v_add_co_ci_u32_e64 v11, null, v9, v11, vcc_lo
	s_clause 0x1
	global_load_dword v5, v[10:11], off
	global_load_dword v15, v[8:9], off offset:204
	s_waitcnt vmcnt(1)
	global_store_dword v[8:9], v5, off offset:204
	s_waitcnt vmcnt(0)
	global_store_dword v[10:11], v15, off
.LBB126_1221:
	s_or_b32 exec_lo, exec_lo, s17
	v_mov_b32_e32 v5, v4
	v_mov_b32_e32 v11, v4
.LBB126_1222:
	s_or_b32 exec_lo, exec_lo, s16
.LBB126_1223:
	s_andn2_saveexec_b32 s4, s4
	s_cbranch_execz .LBB126_1225
; %bb.1224:
	v_mov_b32_e32 v4, s29
	v_mov_b32_e32 v10, s27
	;; [unrolled: 1-line block ×3, first 2 shown]
	s_clause 0x7
	buffer_load_dword v15, v4, s[0:3], 0 offen
	buffer_load_dword v16, v4, s[0:3], 0 offen offset:4
	buffer_load_dword v17, v4, s[0:3], 0 offen offset:8
	buffer_load_dword v18, v4, s[0:3], 0 offen offset:12
	buffer_load_dword v19, v5, s[0:3], 0 offen
	buffer_load_dword v20, v5, s[0:3], 0 offen offset:4
	buffer_load_dword v21, v5, s[0:3], 0 offen offset:8
	buffer_load_dword v22, v5, s[0:3], 0 offen offset:12
	v_mov_b32_e32 v4, s26
	v_mov_b32_e32 v5, s25
	s_clause 0x7
	buffer_load_dword v23, v10, s[0:3], 0 offen
	buffer_load_dword v24, v10, s[0:3], 0 offen offset:4
	buffer_load_dword v25, v10, s[0:3], 0 offen offset:8
	buffer_load_dword v26, v10, s[0:3], 0 offen offset:12
	buffer_load_dword v27, v4, s[0:3], 0 offen
	buffer_load_dword v28, v4, s[0:3], 0 offen offset:4
	buffer_load_dword v29, v4, s[0:3], 0 offen offset:8
	buffer_load_dword v30, v4, s[0:3], 0 offen offset:12
	v_mov_b32_e32 v10, s23
	v_mov_b32_e32 v4, s24
	;; [unrolled: 11-line block ×4, first 2 shown]
	s_clause 0x7
	buffer_load_dword v47, v5, s[0:3], 0 offen
	buffer_load_dword v48, v5, s[0:3], 0 offen offset:4
	buffer_load_dword v49, v5, s[0:3], 0 offen offset:8
	;; [unrolled: 1-line block ×3, first 2 shown]
	buffer_load_dword v51, v4, s[0:3], 0 offen
	buffer_load_dword v52, v4, s[0:3], 0 offen offset:4
	buffer_load_dword v53, v4, s[0:3], 0 offen offset:8
	;; [unrolled: 1-line block ×3, first 2 shown]
	v_mov_b32_e32 v4, s5
	s_clause 0x7
	buffer_load_dword v55, v10, s[0:3], 0 offen
	buffer_load_dword v56, v10, s[0:3], 0 offen offset:4
	buffer_load_dword v57, v10, s[0:3], 0 offen offset:8
	;; [unrolled: 1-line block ×3, first 2 shown]
	buffer_load_dword v59, v4, s[0:3], 0 offen
	buffer_load_dword v60, v4, s[0:3], 0 offen offset:4
	buffer_load_dword v61, v4, s[0:3], 0 offen offset:8
	;; [unrolled: 1-line block ×3, first 2 shown]
	v_mov_b32_e32 v5, 51
	s_waitcnt vmcnt(44)
	ds_write2_b64 v12, v[15:16], v[17:18] offset0:104 offset1:105
	s_waitcnt vmcnt(40)
	ds_write2_b64 v12, v[19:20], v[21:22] offset0:106 offset1:107
	;; [unrolled: 2-line block ×12, first 2 shown]
.LBB126_1225:
	s_or_b32 exec_lo, exec_lo, s4
	s_mov_b32 s4, exec_lo
	s_waitcnt lgkmcnt(0)
	s_waitcnt_vscnt null, 0x0
	s_barrier
	buffer_gl0_inv
	v_cmpx_lt_i32_e32 51, v5
	s_cbranch_execz .LBB126_1227
; %bb.1226:
	s_clause 0x7
	buffer_load_dword v15, off, s[0:3], 0 offset:824
	buffer_load_dword v16, off, s[0:3], 0 offset:828
	;; [unrolled: 1-line block ×8, first 2 shown]
	s_waitcnt vmcnt(6)
	v_mul_f64 v[19:20], v[0:1], v[15:16]
	v_mul_f64 v[15:16], v[2:3], v[15:16]
	s_waitcnt vmcnt(4)
	v_fma_f64 v[43:44], v[2:3], v[17:18], v[19:20]
	v_fma_f64 v[45:46], v[0:1], v[17:18], -v[15:16]
	buffer_store_dword v43, off, s[0:3], 0 offset:824
	buffer_store_dword v44, off, s[0:3], 0 offset:828
	s_clause 0x15
	buffer_load_dword v36, off, s[0:3], 0 offset:836
	buffer_load_dword v38, off, s[0:3], 0 offset:844
	;; [unrolled: 1-line block ×22, first 2 shown]
	buffer_store_dword v45, off, s[0:3], 0 offset:816
	buffer_store_dword v46, off, s[0:3], 0 offset:820
	s_clause 0x19
	buffer_load_dword v65, off, s[0:3], 0 offset:816
	buffer_load_dword v66, off, s[0:3], 0 offset:820
	;; [unrolled: 1-line block ×26, first 2 shown]
	ds_read2_b64 v[0:3], v12 offset0:104 offset1:105
	ds_read2_b64 v[15:18], v12 offset0:106 offset1:107
	;; [unrolled: 1-line block ×6, first 2 shown]
	s_waitcnt lgkmcnt(5)
	v_mul_f64 v[91:92], v[2:3], v[43:44]
	v_mul_f64 v[93:94], v[0:1], v[43:44]
	s_waitcnt lgkmcnt(3)
	v_mul_f64 v[99:100], v[21:22], v[43:44]
	v_mul_f64 v[101:102], v[19:20], v[43:44]
	;; [unrolled: 1-line block ×4, first 2 shown]
	s_waitcnt lgkmcnt(2)
	v_mul_f64 v[103:104], v[25:26], v[43:44]
	v_mul_f64 v[105:106], v[23:24], v[43:44]
	s_waitcnt lgkmcnt(1)
	v_mul_f64 v[107:108], v[29:30], v[43:44]
	v_mul_f64 v[109:110], v[27:28], v[43:44]
	;; [unrolled: 3-line block ×3, first 2 shown]
	v_fma_f64 v[91:92], v[0:1], v[45:46], -v[91:92]
	v_fma_f64 v[93:94], v[2:3], v[45:46], v[93:94]
	v_fma_f64 v[99:100], v[19:20], v[45:46], -v[99:100]
	v_fma_f64 v[101:102], v[21:22], v[45:46], v[101:102]
	ds_read2_b64 v[0:3], v12 offset0:116 offset1:117
	v_fma_f64 v[95:96], v[15:16], v[45:46], -v[95:96]
	v_fma_f64 v[97:98], v[17:18], v[45:46], v[97:98]
	ds_read2_b64 v[15:18], v12 offset0:118 offset1:119
	ds_read2_b64 v[19:22], v12 offset0:120 offset1:121
	v_fma_f64 v[103:104], v[23:24], v[45:46], -v[103:104]
	v_fma_f64 v[105:106], v[25:26], v[45:46], v[105:106]
	v_fma_f64 v[43:44], v[33:34], v[45:46], v[43:44]
	v_fma_f64 v[107:108], v[27:28], v[45:46], -v[107:108]
	v_fma_f64 v[109:110], v[29:30], v[45:46], v[109:110]
	v_fma_f64 v[111:112], v[31:32], v[45:46], -v[111:112]
	ds_read2_b64 v[23:26], v12 offset0:122 offset1:123
	ds_read2_b64 v[27:30], v12 offset0:124 offset1:125
	;; [unrolled: 1-line block ×3, first 2 shown]
	s_waitcnt vmcnt(47)
	v_add_f64 v[35:36], v[35:36], -v[91:92]
	s_waitcnt vmcnt(46)
	v_add_f64 v[37:38], v[37:38], -v[93:94]
	;; [unrolled: 2-line block ×4, first 2 shown]
	s_waitcnt vmcnt(42) lgkmcnt(5)
	v_mul_f64 v[91:92], v[0:1], v[47:48]
	s_waitcnt lgkmcnt(4)
	v_mul_f64 v[93:94], v[17:18], v[47:48]
	s_waitcnt vmcnt(40)
	v_add_f64 v[45:46], v[49:50], -v[99:100]
	v_mul_f64 v[95:96], v[15:16], v[47:48]
	s_waitcnt vmcnt(38)
	v_add_f64 v[49:50], v[51:52], -v[101:102]
	v_mul_f64 v[51:52], v[2:3], v[47:48]
	s_waitcnt lgkmcnt(3)
	v_mul_f64 v[97:98], v[21:22], v[47:48]
	v_mul_f64 v[99:100], v[19:20], v[47:48]
	s_waitcnt lgkmcnt(2)
	v_mul_f64 v[101:102], v[23:24], v[47:48]
	s_waitcnt vmcnt(36)
	v_add_f64 v[53:54], v[53:54], -v[103:104]
	s_waitcnt lgkmcnt(1)
	v_mul_f64 v[103:104], v[27:28], v[47:48]
	s_waitcnt vmcnt(34)
	v_add_f64 v[55:56], v[55:56], -v[105:106]
	s_waitcnt vmcnt(32)
	v_add_f64 v[57:58], v[57:58], -v[107:108]
	;; [unrolled: 2-line block ×5, first 2 shown]
	v_mul_f64 v[63:64], v[25:26], v[47:48]
	buffer_store_dword v35, off, s[0:3], 0 offset:832
	buffer_store_dword v36, off, s[0:3], 0 offset:836
	v_mul_f64 v[35:36], v[29:30], v[47:48]
	buffer_store_dword v37, off, s[0:3], 0 offset:840
	buffer_store_dword v38, off, s[0:3], 0 offset:844
	s_waitcnt lgkmcnt(0)
	v_mul_f64 v[37:38], v[33:34], v[47:48]
	v_mul_f64 v[47:48], v[31:32], v[47:48]
	s_waitcnt vmcnt(24)
	v_fma_f64 v[2:3], v[2:3], v[65:66], v[91:92]
	v_fma_f64 v[15:16], v[15:16], v[65:66], -v[93:94]
	v_fma_f64 v[0:1], v[0:1], v[65:66], -v[51:52]
	v_fma_f64 v[17:18], v[17:18], v[65:66], v[95:96]
	v_fma_f64 v[19:20], v[19:20], v[65:66], -v[97:98]
	v_fma_f64 v[21:22], v[21:22], v[65:66], v[99:100]
	v_fma_f64 v[25:26], v[25:26], v[65:66], v[101:102]
	v_fma_f64 v[29:30], v[29:30], v[65:66], v[103:104]
	buffer_store_dword v39, off, s[0:3], 0 offset:848
	buffer_store_dword v40, off, s[0:3], 0 offset:852
	;; [unrolled: 1-line block ×6, first 2 shown]
	v_fma_f64 v[23:24], v[23:24], v[65:66], -v[63:64]
	buffer_store_dword v49, off, s[0:3], 0 offset:872
	buffer_store_dword v50, off, s[0:3], 0 offset:876
	v_fma_f64 v[27:28], v[27:28], v[65:66], -v[35:36]
	buffer_store_dword v54, off, s[0:3], 0 offset:884
	buffer_store_dword v53, off, s[0:3], 0 offset:880
	v_fma_f64 v[31:32], v[31:32], v[65:66], -v[37:38]
	v_fma_f64 v[33:34], v[33:34], v[65:66], v[47:48]
	s_waitcnt vmcnt(16)
	v_add_f64 v[2:3], v[73:74], -v[2:3]
	v_add_f64 v[15:16], v[69:70], -v[15:16]
	v_add_f64 v[0:1], v[67:68], -v[0:1]
	v_add_f64 v[17:18], v[71:72], -v[17:18]
	s_waitcnt vmcnt(14)
	v_add_f64 v[19:20], v[75:76], -v[19:20]
	s_waitcnt vmcnt(12)
	v_add_f64 v[21:22], v[77:78], -v[21:22]
	;; [unrolled: 2-line block ×4, first 2 shown]
	buffer_store_dword v56, off, s[0:3], 0 offset:892
	buffer_store_dword v55, off, s[0:3], 0 offset:888
	;; [unrolled: 1-line block ×6, first 2 shown]
	v_add_f64 v[23:24], v[79:80], -v[23:24]
	buffer_store_dword v62, off, s[0:3], 0 offset:916
	buffer_store_dword v61, off, s[0:3], 0 offset:912
	v_add_f64 v[27:28], v[83:84], -v[27:28]
	buffer_store_dword v44, off, s[0:3], 0 offset:924
	buffer_store_dword v43, off, s[0:3], 0 offset:920
	s_waitcnt vmcnt(2)
	v_add_f64 v[31:32], v[87:88], -v[31:32]
	s_waitcnt vmcnt(0)
	v_add_f64 v[33:34], v[89:90], -v[33:34]
	buffer_store_dword v1, off, s[0:3], 0 offset:932
	buffer_store_dword v0, off, s[0:3], 0 offset:928
	;; [unrolled: 1-line block ×24, first 2 shown]
.LBB126_1227:
	s_or_b32 exec_lo, exec_lo, s4
	v_mov_b32_e32 v3, s29
	s_waitcnt_vscnt null, 0x0
	s_barrier
	buffer_gl0_inv
	v_lshl_add_u32 v4, v5, 4, v12
	s_clause 0x3
	buffer_load_dword v0, v3, s[0:3], 0 offen
	buffer_load_dword v1, v3, s[0:3], 0 offen offset:4
	buffer_load_dword v2, v3, s[0:3], 0 offen offset:8
	;; [unrolled: 1-line block ×3, first 2 shown]
	s_cmp_lt_i32 s57, 54
	s_waitcnt vmcnt(0)
	ds_write2_b64 v4, v[0:1], v[2:3] offset1:1
	s_waitcnt lgkmcnt(0)
	s_barrier
	buffer_gl0_inv
	ds_read2_b64 v[0:3], v12 offset0:104 offset1:105
	v_mov_b32_e32 v4, 52
	s_cbranch_scc1 .LBB126_1230
; %bb.1228:
	v_add3_u32 v10, v14, 0, 0x350
	v_mov_b32_e32 v4, 52
	s_mov_b32 s16, 53
	s_inst_prefetch 0x1
	.p2align	6
.LBB126_1229:                           ; =>This Inner Loop Header: Depth=1
	s_waitcnt lgkmcnt(0)
	v_cmp_gt_f64_e32 vcc_lo, 0, v[2:3]
	v_cmp_gt_f64_e64 s4, 0, v[0:1]
	ds_read2_b64 v[15:18], v10 offset1:1
	v_xor_b32_e32 v20, 0x80000000, v1
	v_xor_b32_e32 v22, 0x80000000, v3
	v_mov_b32_e32 v19, v0
	v_mov_b32_e32 v21, v2
	v_add_nc_u32_e32 v10, 16, v10
	s_waitcnt lgkmcnt(0)
	v_xor_b32_e32 v24, 0x80000000, v18
	v_cndmask_b32_e64 v20, v1, v20, s4
	v_cndmask_b32_e32 v22, v3, v22, vcc_lo
	v_cmp_gt_f64_e32 vcc_lo, 0, v[17:18]
	v_cmp_gt_f64_e64 s4, 0, v[15:16]
	v_mov_b32_e32 v23, v17
	v_add_f64 v[19:20], v[19:20], v[21:22]
	v_xor_b32_e32 v22, 0x80000000, v16
	v_mov_b32_e32 v21, v15
	v_cndmask_b32_e32 v24, v18, v24, vcc_lo
	v_cndmask_b32_e64 v22, v16, v22, s4
	v_add_f64 v[21:22], v[21:22], v[23:24]
	v_cmp_lt_f64_e32 vcc_lo, v[19:20], v[21:22]
	v_cndmask_b32_e32 v1, v1, v16, vcc_lo
	v_cndmask_b32_e32 v0, v0, v15, vcc_lo
	;; [unrolled: 1-line block ×4, first 2 shown]
	v_cndmask_b32_e64 v4, v4, s16, vcc_lo
	s_add_i32 s16, s16, 1
	s_cmp_lg_u32 s57, s16
	s_cbranch_scc1 .LBB126_1229
.LBB126_1230:
	s_inst_prefetch 0x2
	s_waitcnt lgkmcnt(0)
	v_cmp_eq_f64_e32 vcc_lo, 0, v[0:1]
	v_cmp_eq_f64_e64 s4, 0, v[2:3]
	s_and_b32 s4, vcc_lo, s4
	s_and_saveexec_b32 s16, s4
	s_xor_b32 s4, exec_lo, s16
; %bb.1231:
	v_cmp_ne_u32_e32 vcc_lo, 0, v13
	v_cndmask_b32_e32 v13, 53, v13, vcc_lo
; %bb.1232:
	s_andn2_saveexec_b32 s4, s4
	s_cbranch_execz .LBB126_1238
; %bb.1233:
	v_cmp_ngt_f64_e64 s16, |v[0:1]|, |v[2:3]|
	s_and_saveexec_b32 s17, s16
	s_xor_b32 s16, exec_lo, s17
	s_cbranch_execz .LBB126_1235
; %bb.1234:
	v_div_scale_f64 v[15:16], null, v[2:3], v[2:3], v[0:1]
	v_div_scale_f64 v[21:22], vcc_lo, v[0:1], v[2:3], v[0:1]
	v_rcp_f64_e32 v[17:18], v[15:16]
	v_fma_f64 v[19:20], -v[15:16], v[17:18], 1.0
	v_fma_f64 v[17:18], v[17:18], v[19:20], v[17:18]
	v_fma_f64 v[19:20], -v[15:16], v[17:18], 1.0
	v_fma_f64 v[17:18], v[17:18], v[19:20], v[17:18]
	v_mul_f64 v[19:20], v[21:22], v[17:18]
	v_fma_f64 v[15:16], -v[15:16], v[19:20], v[21:22]
	v_div_fmas_f64 v[15:16], v[15:16], v[17:18], v[19:20]
	v_div_fixup_f64 v[15:16], v[15:16], v[2:3], v[0:1]
	v_fma_f64 v[0:1], v[0:1], v[15:16], v[2:3]
	v_div_scale_f64 v[2:3], null, v[0:1], v[0:1], 1.0
	v_rcp_f64_e32 v[17:18], v[2:3]
	v_fma_f64 v[19:20], -v[2:3], v[17:18], 1.0
	v_fma_f64 v[17:18], v[17:18], v[19:20], v[17:18]
	v_fma_f64 v[19:20], -v[2:3], v[17:18], 1.0
	v_fma_f64 v[17:18], v[17:18], v[19:20], v[17:18]
	v_div_scale_f64 v[19:20], vcc_lo, 1.0, v[0:1], 1.0
	v_mul_f64 v[21:22], v[19:20], v[17:18]
	v_fma_f64 v[2:3], -v[2:3], v[21:22], v[19:20]
	v_div_fmas_f64 v[2:3], v[2:3], v[17:18], v[21:22]
	v_div_fixup_f64 v[2:3], v[2:3], v[0:1], 1.0
	v_mul_f64 v[0:1], v[15:16], v[2:3]
	v_xor_b32_e32 v3, 0x80000000, v3
.LBB126_1235:
	s_andn2_saveexec_b32 s16, s16
	s_cbranch_execz .LBB126_1237
; %bb.1236:
	v_div_scale_f64 v[15:16], null, v[0:1], v[0:1], v[2:3]
	v_div_scale_f64 v[21:22], vcc_lo, v[2:3], v[0:1], v[2:3]
	v_rcp_f64_e32 v[17:18], v[15:16]
	v_fma_f64 v[19:20], -v[15:16], v[17:18], 1.0
	v_fma_f64 v[17:18], v[17:18], v[19:20], v[17:18]
	v_fma_f64 v[19:20], -v[15:16], v[17:18], 1.0
	v_fma_f64 v[17:18], v[17:18], v[19:20], v[17:18]
	v_mul_f64 v[19:20], v[21:22], v[17:18]
	v_fma_f64 v[15:16], -v[15:16], v[19:20], v[21:22]
	v_div_fmas_f64 v[15:16], v[15:16], v[17:18], v[19:20]
	v_div_fixup_f64 v[15:16], v[15:16], v[0:1], v[2:3]
	v_fma_f64 v[0:1], v[2:3], v[15:16], v[0:1]
	v_div_scale_f64 v[2:3], null, v[0:1], v[0:1], 1.0
	v_rcp_f64_e32 v[17:18], v[2:3]
	v_fma_f64 v[19:20], -v[2:3], v[17:18], 1.0
	v_fma_f64 v[17:18], v[17:18], v[19:20], v[17:18]
	v_fma_f64 v[19:20], -v[2:3], v[17:18], 1.0
	v_fma_f64 v[17:18], v[17:18], v[19:20], v[17:18]
	v_div_scale_f64 v[19:20], vcc_lo, 1.0, v[0:1], 1.0
	v_mul_f64 v[21:22], v[19:20], v[17:18]
	v_fma_f64 v[2:3], -v[2:3], v[21:22], v[19:20]
	v_div_fmas_f64 v[2:3], v[2:3], v[17:18], v[21:22]
	v_div_fixup_f64 v[0:1], v[2:3], v[0:1], 1.0
	v_mul_f64 v[2:3], v[15:16], -v[0:1]
.LBB126_1237:
	s_or_b32 exec_lo, exec_lo, s16
.LBB126_1238:
	s_or_b32 exec_lo, exec_lo, s4
	s_mov_b32 s4, exec_lo
	v_cmpx_ne_u32_e64 v5, v4
	s_xor_b32 s4, exec_lo, s4
	s_cbranch_execz .LBB126_1244
; %bb.1239:
	s_mov_b32 s16, exec_lo
	v_cmpx_eq_u32_e32 52, v5
	s_cbranch_execz .LBB126_1243
; %bb.1240:
	v_cmp_ne_u32_e32 vcc_lo, 52, v4
	s_xor_b32 s17, s20, -1
	s_and_b32 s56, s17, vcc_lo
	s_and_saveexec_b32 s17, s56
	s_cbranch_execz .LBB126_1242
; %bb.1241:
	v_ashrrev_i32_e32 v5, 31, v4
	v_lshlrev_b64 v[10:11], 2, v[4:5]
	v_add_co_u32 v10, vcc_lo, v8, v10
	v_add_co_ci_u32_e64 v11, null, v9, v11, vcc_lo
	s_clause 0x1
	global_load_dword v5, v[10:11], off
	global_load_dword v15, v[8:9], off offset:208
	s_waitcnt vmcnt(1)
	global_store_dword v[8:9], v5, off offset:208
	s_waitcnt vmcnt(0)
	global_store_dword v[10:11], v15, off
.LBB126_1242:
	s_or_b32 exec_lo, exec_lo, s17
	v_mov_b32_e32 v5, v4
	v_mov_b32_e32 v11, v4
.LBB126_1243:
	s_or_b32 exec_lo, exec_lo, s16
.LBB126_1244:
	s_andn2_saveexec_b32 s4, s4
	s_cbranch_execz .LBB126_1246
; %bb.1245:
	v_mov_b32_e32 v4, s28
	v_mov_b32_e32 v5, s27
	;; [unrolled: 1-line block ×3, first 2 shown]
	s_clause 0x7
	buffer_load_dword v15, v4, s[0:3], 0 offen
	buffer_load_dword v16, v4, s[0:3], 0 offen offset:4
	buffer_load_dword v17, v4, s[0:3], 0 offen offset:8
	buffer_load_dword v18, v4, s[0:3], 0 offen offset:12
	buffer_load_dword v19, v5, s[0:3], 0 offen
	buffer_load_dword v20, v5, s[0:3], 0 offen offset:4
	buffer_load_dword v21, v5, s[0:3], 0 offen offset:8
	buffer_load_dword v22, v5, s[0:3], 0 offen offset:12
	v_mov_b32_e32 v5, s24
	v_mov_b32_e32 v4, s25
	s_clause 0x7
	buffer_load_dword v23, v10, s[0:3], 0 offen
	buffer_load_dword v24, v10, s[0:3], 0 offen offset:4
	buffer_load_dword v25, v10, s[0:3], 0 offen offset:8
	buffer_load_dword v26, v10, s[0:3], 0 offen offset:12
	buffer_load_dword v27, v4, s[0:3], 0 offen
	buffer_load_dword v28, v4, s[0:3], 0 offen offset:4
	buffer_load_dword v29, v4, s[0:3], 0 offen offset:8
	buffer_load_dword v30, v4, s[0:3], 0 offen offset:12
	v_mov_b32_e32 v4, s23
	v_mov_b32_e32 v10, s22
	;; [unrolled: 11-line block ×4, first 2 shown]
	s_clause 0xb
	buffer_load_dword v47, v5, s[0:3], 0 offen
	buffer_load_dword v48, v5, s[0:3], 0 offen offset:4
	buffer_load_dword v49, v5, s[0:3], 0 offen offset:8
	buffer_load_dword v50, v5, s[0:3], 0 offen offset:12
	buffer_load_dword v51, v4, s[0:3], 0 offen
	buffer_load_dword v52, v4, s[0:3], 0 offen offset:4
	buffer_load_dword v53, v4, s[0:3], 0 offen offset:8
	buffer_load_dword v54, v4, s[0:3], 0 offen offset:12
	;; [unrolled: 4-line block ×3, first 2 shown]
	v_mov_b32_e32 v5, 52
	s_waitcnt vmcnt(40)
	ds_write2_b64 v12, v[15:16], v[17:18] offset0:106 offset1:107
	s_waitcnt vmcnt(36)
	ds_write2_b64 v12, v[19:20], v[21:22] offset0:108 offset1:109
	;; [unrolled: 2-line block ×11, first 2 shown]
.LBB126_1246:
	s_or_b32 exec_lo, exec_lo, s4
	s_mov_b32 s4, exec_lo
	s_waitcnt lgkmcnt(0)
	s_waitcnt_vscnt null, 0x0
	s_barrier
	buffer_gl0_inv
	v_cmpx_lt_i32_e32 52, v5
	s_cbranch_execz .LBB126_1248
; %bb.1247:
	s_clause 0x7
	buffer_load_dword v15, off, s[0:3], 0 offset:840
	buffer_load_dword v16, off, s[0:3], 0 offset:844
	buffer_load_dword v17, off, s[0:3], 0 offset:832
	buffer_load_dword v18, off, s[0:3], 0 offset:836
	buffer_load_dword v39, off, s[0:3], 0 offset:848
	buffer_load_dword v41, off, s[0:3], 0 offset:856
	buffer_load_dword v43, off, s[0:3], 0 offset:864
	buffer_load_dword v45, off, s[0:3], 0 offset:872
	s_waitcnt vmcnt(6)
	v_mul_f64 v[19:20], v[0:1], v[15:16]
	v_mul_f64 v[15:16], v[2:3], v[15:16]
	s_waitcnt vmcnt(4)
	v_fma_f64 v[35:36], v[2:3], v[17:18], v[19:20]
	v_fma_f64 v[47:48], v[0:1], v[17:18], -v[15:16]
	buffer_store_dword v35, off, s[0:3], 0 offset:840
	buffer_store_dword v36, off, s[0:3], 0 offset:844
	s_clause 0xd
	buffer_load_dword v42, off, s[0:3], 0 offset:860
	buffer_load_dword v44, off, s[0:3], 0 offset:868
	;; [unrolled: 1-line block ×14, first 2 shown]
	buffer_store_dword v47, off, s[0:3], 0 offset:832
	buffer_store_dword v48, off, s[0:3], 0 offset:836
	s_clause 0x1d
	buffer_load_dword v59, off, s[0:3], 0 offset:912
	buffer_load_dword v60, off, s[0:3], 0 offset:916
	;; [unrolled: 1-line block ×30, first 2 shown]
	ds_read2_b64 v[0:3], v12 offset0:106 offset1:107
	ds_read2_b64 v[15:18], v12 offset0:108 offset1:109
	;; [unrolled: 1-line block ×6, first 2 shown]
	s_waitcnt lgkmcnt(5)
	v_mul_f64 v[37:38], v[2:3], v[35:36]
	v_mul_f64 v[89:90], v[0:1], v[35:36]
	s_waitcnt lgkmcnt(4)
	v_mul_f64 v[91:92], v[17:18], v[35:36]
	v_mul_f64 v[93:94], v[15:16], v[35:36]
	;; [unrolled: 3-line block ×6, first 2 shown]
	v_fma_f64 v[111:112], v[0:1], v[47:48], -v[37:38]
	ds_read2_b64 v[35:38], v12 offset0:118 offset1:119
	v_fma_f64 v[89:90], v[2:3], v[47:48], v[89:90]
	v_fma_f64 v[91:92], v[15:16], v[47:48], -v[91:92]
	ds_read2_b64 v[0:3], v12 offset0:120 offset1:121
	v_fma_f64 v[93:94], v[17:18], v[47:48], v[93:94]
	v_fma_f64 v[95:96], v[19:20], v[47:48], -v[95:96]
	ds_read2_b64 v[15:18], v12 offset0:122 offset1:123
	v_fma_f64 v[97:98], v[21:22], v[47:48], v[97:98]
	v_fma_f64 v[99:100], v[23:24], v[47:48], -v[99:100]
	ds_read2_b64 v[19:22], v12 offset0:124 offset1:125
	v_fma_f64 v[101:102], v[25:26], v[47:48], v[101:102]
	ds_read2_b64 v[23:26], v12 offset0:126 offset1:127
	v_fma_f64 v[27:28], v[27:28], v[47:48], -v[103:104]
	v_fma_f64 v[29:30], v[29:30], v[47:48], v[105:106]
	v_fma_f64 v[31:32], v[31:32], v[47:48], -v[107:108]
	v_fma_f64 v[33:34], v[33:34], v[47:48], v[109:110]
	s_waitcnt vmcnt(28)
	v_add_f64 v[27:28], v[59:60], -v[27:28]
	s_waitcnt vmcnt(26)
	v_add_f64 v[29:30], v[61:62], -v[29:30]
	s_waitcnt vmcnt(24)
	v_add_f64 v[31:32], v[63:64], -v[31:32]
	s_waitcnt vmcnt(22)
	v_add_f64 v[33:34], v[65:66], -v[33:34]
	v_add_f64 v[41:42], v[41:42], -v[89:90]
	v_add_f64 v[43:44], v[43:44], -v[91:92]
	;; [unrolled: 1-line block ×3, first 2 shown]
	s_waitcnt lgkmcnt(4)
	v_mul_f64 v[47:48], v[37:38], v[49:50]
	v_mul_f64 v[103:104], v[35:36], v[49:50]
	s_waitcnt lgkmcnt(3)
	v_mul_f64 v[89:90], v[2:3], v[49:50]
	v_mul_f64 v[91:92], v[0:1], v[49:50]
	s_waitcnt lgkmcnt(2)
	v_mul_f64 v[93:94], v[17:18], v[49:50]
	v_add_f64 v[51:52], v[51:52], -v[95:96]
	v_mul_f64 v[95:96], v[15:16], v[49:50]
	v_add_f64 v[53:54], v[53:54], -v[97:98]
	s_waitcnt lgkmcnt(1)
	v_mul_f64 v[97:98], v[21:22], v[49:50]
	v_add_f64 v[55:56], v[55:56], -v[99:100]
	v_mul_f64 v[99:100], v[19:20], v[49:50]
	v_add_f64 v[57:58], v[57:58], -v[101:102]
	s_waitcnt lgkmcnt(0)
	v_mul_f64 v[101:102], v[25:26], v[49:50]
	v_mul_f64 v[49:50], v[23:24], v[49:50]
	v_add_f64 v[39:40], v[39:40], -v[111:112]
	buffer_store_dword v41, off, s[0:3], 0 offset:856
	buffer_store_dword v42, off, s[0:3], 0 offset:860
	;; [unrolled: 1-line block ×4, first 2 shown]
	s_waitcnt vmcnt(20)
	v_fma_f64 v[35:36], v[35:36], v[67:68], -v[47:48]
	v_fma_f64 v[37:38], v[37:38], v[67:68], v[103:104]
	v_fma_f64 v[0:1], v[0:1], v[67:68], -v[89:90]
	v_fma_f64 v[2:3], v[2:3], v[67:68], v[91:92]
	v_fma_f64 v[15:16], v[15:16], v[67:68], -v[93:94]
	buffer_store_dword v45, off, s[0:3], 0 offset:872
	v_fma_f64 v[17:18], v[17:18], v[67:68], v[95:96]
	buffer_store_dword v46, off, s[0:3], 0 offset:876
	v_fma_f64 v[19:20], v[19:20], v[67:68], -v[97:98]
	buffer_store_dword v52, off, s[0:3], 0 offset:884
	v_fma_f64 v[21:22], v[21:22], v[67:68], v[99:100]
	v_fma_f64 v[23:24], v[23:24], v[67:68], -v[101:102]
	v_fma_f64 v[25:26], v[25:26], v[67:68], v[49:50]
	buffer_store_dword v39, off, s[0:3], 0 offset:848
	buffer_store_dword v40, off, s[0:3], 0 offset:852
	;; [unrolled: 1-line block ×10, first 2 shown]
	s_waitcnt vmcnt(13)
	v_add_f64 v[35:36], v[69:70], -v[35:36]
	s_waitcnt vmcnt(12)
	v_add_f64 v[37:38], v[75:76], -v[37:38]
	v_add_f64 v[0:1], v[71:72], -v[0:1]
	;; [unrolled: 1-line block ×3, first 2 shown]
	s_waitcnt vmcnt(10)
	v_add_f64 v[15:16], v[77:78], -v[15:16]
	buffer_store_dword v27, off, s[0:3], 0 offset:912
	s_waitcnt vmcnt(8)
	v_add_f64 v[17:18], v[79:80], -v[17:18]
	buffer_store_dword v30, off, s[0:3], 0 offset:924
	;; [unrolled: 3-line block ×4, first 2 shown]
	s_waitcnt vmcnt(2)
	v_add_f64 v[23:24], v[85:86], -v[23:24]
	s_waitcnt vmcnt(0)
	v_add_f64 v[25:26], v[87:88], -v[25:26]
	buffer_store_dword v31, off, s[0:3], 0 offset:928
	buffer_store_dword v34, off, s[0:3], 0 offset:940
	;; [unrolled: 1-line block ×23, first 2 shown]
.LBB126_1248:
	s_or_b32 exec_lo, exec_lo, s4
	v_mov_b32_e32 v3, s28
	s_waitcnt_vscnt null, 0x0
	s_barrier
	buffer_gl0_inv
	v_lshl_add_u32 v4, v5, 4, v12
	s_clause 0x3
	buffer_load_dword v0, v3, s[0:3], 0 offen
	buffer_load_dword v1, v3, s[0:3], 0 offen offset:4
	buffer_load_dword v2, v3, s[0:3], 0 offen offset:8
	;; [unrolled: 1-line block ×3, first 2 shown]
	s_cmp_lt_i32 s57, 55
	s_waitcnt vmcnt(0)
	ds_write2_b64 v4, v[0:1], v[2:3] offset1:1
	s_waitcnt lgkmcnt(0)
	s_barrier
	buffer_gl0_inv
	ds_read2_b64 v[0:3], v12 offset0:106 offset1:107
	v_mov_b32_e32 v4, 53
	s_cbranch_scc1 .LBB126_1251
; %bb.1249:
	v_add3_u32 v10, v14, 0, 0x360
	v_mov_b32_e32 v4, 53
	s_mov_b32 s16, 54
	s_inst_prefetch 0x1
	.p2align	6
.LBB126_1250:                           ; =>This Inner Loop Header: Depth=1
	s_waitcnt lgkmcnt(0)
	v_cmp_gt_f64_e32 vcc_lo, 0, v[2:3]
	v_cmp_gt_f64_e64 s4, 0, v[0:1]
	ds_read2_b64 v[15:18], v10 offset1:1
	v_xor_b32_e32 v20, 0x80000000, v1
	v_xor_b32_e32 v22, 0x80000000, v3
	v_mov_b32_e32 v19, v0
	v_mov_b32_e32 v21, v2
	v_add_nc_u32_e32 v10, 16, v10
	s_waitcnt lgkmcnt(0)
	v_xor_b32_e32 v24, 0x80000000, v18
	v_cndmask_b32_e64 v20, v1, v20, s4
	v_cndmask_b32_e32 v22, v3, v22, vcc_lo
	v_cmp_gt_f64_e32 vcc_lo, 0, v[17:18]
	v_cmp_gt_f64_e64 s4, 0, v[15:16]
	v_mov_b32_e32 v23, v17
	v_add_f64 v[19:20], v[19:20], v[21:22]
	v_xor_b32_e32 v22, 0x80000000, v16
	v_mov_b32_e32 v21, v15
	v_cndmask_b32_e32 v24, v18, v24, vcc_lo
	v_cndmask_b32_e64 v22, v16, v22, s4
	v_add_f64 v[21:22], v[21:22], v[23:24]
	v_cmp_lt_f64_e32 vcc_lo, v[19:20], v[21:22]
	v_cndmask_b32_e32 v1, v1, v16, vcc_lo
	v_cndmask_b32_e32 v0, v0, v15, vcc_lo
	;; [unrolled: 1-line block ×4, first 2 shown]
	v_cndmask_b32_e64 v4, v4, s16, vcc_lo
	s_add_i32 s16, s16, 1
	s_cmp_lg_u32 s57, s16
	s_cbranch_scc1 .LBB126_1250
.LBB126_1251:
	s_inst_prefetch 0x2
	s_waitcnt lgkmcnt(0)
	v_cmp_eq_f64_e32 vcc_lo, 0, v[0:1]
	v_cmp_eq_f64_e64 s4, 0, v[2:3]
	s_and_b32 s4, vcc_lo, s4
	s_and_saveexec_b32 s16, s4
	s_xor_b32 s4, exec_lo, s16
; %bb.1252:
	v_cmp_ne_u32_e32 vcc_lo, 0, v13
	v_cndmask_b32_e32 v13, 54, v13, vcc_lo
; %bb.1253:
	s_andn2_saveexec_b32 s4, s4
	s_cbranch_execz .LBB126_1259
; %bb.1254:
	v_cmp_ngt_f64_e64 s16, |v[0:1]|, |v[2:3]|
	s_and_saveexec_b32 s17, s16
	s_xor_b32 s16, exec_lo, s17
	s_cbranch_execz .LBB126_1256
; %bb.1255:
	v_div_scale_f64 v[15:16], null, v[2:3], v[2:3], v[0:1]
	v_div_scale_f64 v[21:22], vcc_lo, v[0:1], v[2:3], v[0:1]
	v_rcp_f64_e32 v[17:18], v[15:16]
	v_fma_f64 v[19:20], -v[15:16], v[17:18], 1.0
	v_fma_f64 v[17:18], v[17:18], v[19:20], v[17:18]
	v_fma_f64 v[19:20], -v[15:16], v[17:18], 1.0
	v_fma_f64 v[17:18], v[17:18], v[19:20], v[17:18]
	v_mul_f64 v[19:20], v[21:22], v[17:18]
	v_fma_f64 v[15:16], -v[15:16], v[19:20], v[21:22]
	v_div_fmas_f64 v[15:16], v[15:16], v[17:18], v[19:20]
	v_div_fixup_f64 v[15:16], v[15:16], v[2:3], v[0:1]
	v_fma_f64 v[0:1], v[0:1], v[15:16], v[2:3]
	v_div_scale_f64 v[2:3], null, v[0:1], v[0:1], 1.0
	v_rcp_f64_e32 v[17:18], v[2:3]
	v_fma_f64 v[19:20], -v[2:3], v[17:18], 1.0
	v_fma_f64 v[17:18], v[17:18], v[19:20], v[17:18]
	v_fma_f64 v[19:20], -v[2:3], v[17:18], 1.0
	v_fma_f64 v[17:18], v[17:18], v[19:20], v[17:18]
	v_div_scale_f64 v[19:20], vcc_lo, 1.0, v[0:1], 1.0
	v_mul_f64 v[21:22], v[19:20], v[17:18]
	v_fma_f64 v[2:3], -v[2:3], v[21:22], v[19:20]
	v_div_fmas_f64 v[2:3], v[2:3], v[17:18], v[21:22]
	v_div_fixup_f64 v[2:3], v[2:3], v[0:1], 1.0
	v_mul_f64 v[0:1], v[15:16], v[2:3]
	v_xor_b32_e32 v3, 0x80000000, v3
.LBB126_1256:
	s_andn2_saveexec_b32 s16, s16
	s_cbranch_execz .LBB126_1258
; %bb.1257:
	v_div_scale_f64 v[15:16], null, v[0:1], v[0:1], v[2:3]
	v_div_scale_f64 v[21:22], vcc_lo, v[2:3], v[0:1], v[2:3]
	v_rcp_f64_e32 v[17:18], v[15:16]
	v_fma_f64 v[19:20], -v[15:16], v[17:18], 1.0
	v_fma_f64 v[17:18], v[17:18], v[19:20], v[17:18]
	v_fma_f64 v[19:20], -v[15:16], v[17:18], 1.0
	v_fma_f64 v[17:18], v[17:18], v[19:20], v[17:18]
	v_mul_f64 v[19:20], v[21:22], v[17:18]
	v_fma_f64 v[15:16], -v[15:16], v[19:20], v[21:22]
	v_div_fmas_f64 v[15:16], v[15:16], v[17:18], v[19:20]
	v_div_fixup_f64 v[15:16], v[15:16], v[0:1], v[2:3]
	v_fma_f64 v[0:1], v[2:3], v[15:16], v[0:1]
	v_div_scale_f64 v[2:3], null, v[0:1], v[0:1], 1.0
	v_rcp_f64_e32 v[17:18], v[2:3]
	v_fma_f64 v[19:20], -v[2:3], v[17:18], 1.0
	v_fma_f64 v[17:18], v[17:18], v[19:20], v[17:18]
	v_fma_f64 v[19:20], -v[2:3], v[17:18], 1.0
	v_fma_f64 v[17:18], v[17:18], v[19:20], v[17:18]
	v_div_scale_f64 v[19:20], vcc_lo, 1.0, v[0:1], 1.0
	v_mul_f64 v[21:22], v[19:20], v[17:18]
	v_fma_f64 v[2:3], -v[2:3], v[21:22], v[19:20]
	v_div_fmas_f64 v[2:3], v[2:3], v[17:18], v[21:22]
	v_div_fixup_f64 v[0:1], v[2:3], v[0:1], 1.0
	v_mul_f64 v[2:3], v[15:16], -v[0:1]
.LBB126_1258:
	s_or_b32 exec_lo, exec_lo, s16
.LBB126_1259:
	s_or_b32 exec_lo, exec_lo, s4
	s_mov_b32 s4, exec_lo
	v_cmpx_ne_u32_e64 v5, v4
	s_xor_b32 s4, exec_lo, s4
	s_cbranch_execz .LBB126_1265
; %bb.1260:
	s_mov_b32 s16, exec_lo
	v_cmpx_eq_u32_e32 53, v5
	s_cbranch_execz .LBB126_1264
; %bb.1261:
	v_cmp_ne_u32_e32 vcc_lo, 53, v4
	s_xor_b32 s17, s20, -1
	s_and_b32 s56, s17, vcc_lo
	s_and_saveexec_b32 s17, s56
	s_cbranch_execz .LBB126_1263
; %bb.1262:
	v_ashrrev_i32_e32 v5, 31, v4
	v_lshlrev_b64 v[10:11], 2, v[4:5]
	v_add_co_u32 v10, vcc_lo, v8, v10
	v_add_co_ci_u32_e64 v11, null, v9, v11, vcc_lo
	s_clause 0x1
	global_load_dword v5, v[10:11], off
	global_load_dword v15, v[8:9], off offset:212
	s_waitcnt vmcnt(1)
	global_store_dword v[8:9], v5, off offset:212
	s_waitcnt vmcnt(0)
	global_store_dword v[10:11], v15, off
.LBB126_1263:
	s_or_b32 exec_lo, exec_lo, s17
	v_mov_b32_e32 v5, v4
	v_mov_b32_e32 v11, v4
.LBB126_1264:
	s_or_b32 exec_lo, exec_lo, s16
.LBB126_1265:
	s_andn2_saveexec_b32 s4, s4
	s_cbranch_execz .LBB126_1267
; %bb.1266:
	v_mov_b32_e32 v4, s27
	v_mov_b32_e32 v5, s26
	;; [unrolled: 1-line block ×3, first 2 shown]
	s_clause 0x7
	buffer_load_dword v15, v4, s[0:3], 0 offen
	buffer_load_dword v16, v4, s[0:3], 0 offen offset:4
	buffer_load_dword v17, v4, s[0:3], 0 offen offset:8
	buffer_load_dword v18, v4, s[0:3], 0 offen offset:12
	buffer_load_dword v19, v5, s[0:3], 0 offen
	buffer_load_dword v20, v5, s[0:3], 0 offen offset:4
	buffer_load_dword v21, v5, s[0:3], 0 offen offset:8
	buffer_load_dword v22, v5, s[0:3], 0 offen offset:12
	v_mov_b32_e32 v5, s23
	v_mov_b32_e32 v4, s24
	s_clause 0x7
	buffer_load_dword v23, v10, s[0:3], 0 offen
	buffer_load_dword v24, v10, s[0:3], 0 offen offset:4
	buffer_load_dword v25, v10, s[0:3], 0 offen offset:8
	buffer_load_dword v26, v10, s[0:3], 0 offen offset:12
	buffer_load_dword v27, v4, s[0:3], 0 offen
	buffer_load_dword v28, v4, s[0:3], 0 offen offset:4
	buffer_load_dword v29, v4, s[0:3], 0 offen offset:8
	buffer_load_dword v30, v4, s[0:3], 0 offen offset:12
	v_mov_b32_e32 v4, s22
	v_mov_b32_e32 v10, s19
	;; [unrolled: 11-line block ×3, first 2 shown]
	s_clause 0x7
	buffer_load_dword v39, v10, s[0:3], 0 offen
	buffer_load_dword v40, v10, s[0:3], 0 offen offset:4
	buffer_load_dword v41, v10, s[0:3], 0 offen offset:8
	buffer_load_dword v42, v10, s[0:3], 0 offen offset:12
	buffer_load_dword v43, v4, s[0:3], 0 offen
	buffer_load_dword v44, v4, s[0:3], 0 offen offset:4
	buffer_load_dword v45, v4, s[0:3], 0 offen offset:8
	;; [unrolled: 1-line block ×3, first 2 shown]
	v_mov_b32_e32 v4, s5
	s_clause 0x7
	buffer_load_dword v47, v5, s[0:3], 0 offen
	buffer_load_dword v48, v5, s[0:3], 0 offen offset:4
	buffer_load_dword v49, v5, s[0:3], 0 offen offset:8
	;; [unrolled: 1-line block ×3, first 2 shown]
	buffer_load_dword v51, v4, s[0:3], 0 offen
	buffer_load_dword v52, v4, s[0:3], 0 offen offset:4
	buffer_load_dword v53, v4, s[0:3], 0 offen offset:8
	;; [unrolled: 1-line block ×3, first 2 shown]
	v_mov_b32_e32 v5, 53
	s_waitcnt vmcnt(36)
	ds_write2_b64 v12, v[15:16], v[17:18] offset0:108 offset1:109
	s_waitcnt vmcnt(32)
	ds_write2_b64 v12, v[19:20], v[21:22] offset0:110 offset1:111
	;; [unrolled: 2-line block ×10, first 2 shown]
.LBB126_1267:
	s_or_b32 exec_lo, exec_lo, s4
	s_mov_b32 s4, exec_lo
	s_waitcnt lgkmcnt(0)
	s_waitcnt_vscnt null, 0x0
	s_barrier
	buffer_gl0_inv
	v_cmpx_lt_i32_e32 53, v5
	s_cbranch_execz .LBB126_1269
; %bb.1268:
	s_clause 0x7
	buffer_load_dword v15, off, s[0:3], 0 offset:856
	buffer_load_dword v16, off, s[0:3], 0 offset:860
	;; [unrolled: 1-line block ×8, first 2 shown]
	s_waitcnt vmcnt(6)
	v_mul_f64 v[19:20], v[0:1], v[15:16]
	v_mul_f64 v[15:16], v[2:3], v[15:16]
	s_waitcnt vmcnt(4)
	v_fma_f64 v[43:44], v[2:3], v[17:18], v[19:20]
	v_fma_f64 v[55:56], v[0:1], v[17:18], -v[15:16]
	buffer_store_dword v43, off, s[0:3], 0 offset:856
	buffer_store_dword v44, off, s[0:3], 0 offset:860
	s_clause 0x5
	buffer_load_dword v50, off, s[0:3], 0 offset:876
	buffer_load_dword v52, off, s[0:3], 0 offset:884
	buffer_load_dword v54, off, s[0:3], 0 offset:892
	buffer_load_dword v57, off, s[0:3], 0 offset:856
	buffer_load_dword v58, off, s[0:3], 0 offset:860
	buffer_load_dword v48, off, s[0:3], 0 offset:868
	buffer_store_dword v55, off, s[0:3], 0 offset:848
	buffer_store_dword v56, off, s[0:3], 0 offset:852
	s_clause 0x21
	buffer_load_dword v59, off, s[0:3], 0 offset:848
	buffer_load_dword v60, off, s[0:3], 0 offset:852
	;; [unrolled: 1-line block ×34, first 2 shown]
	ds_read2_b64 v[0:3], v12 offset0:108 offset1:109
	ds_read2_b64 v[15:18], v12 offset0:110 offset1:111
	;; [unrolled: 1-line block ×8, first 2 shown]
	s_waitcnt lgkmcnt(7)
	v_mul_f64 v[45:46], v[2:3], v[43:44]
	v_mul_f64 v[93:94], v[0:1], v[43:44]
	s_waitcnt lgkmcnt(6)
	v_mul_f64 v[95:96], v[17:18], v[43:44]
	v_mul_f64 v[97:98], v[15:16], v[43:44]
	;; [unrolled: 3-line block ×6, first 2 shown]
	v_fma_f64 v[115:116], v[0:1], v[55:56], -v[45:46]
	ds_read2_b64 v[43:46], v12 offset0:124 offset1:125
	v_fma_f64 v[93:94], v[2:3], v[55:56], v[93:94]
	ds_read2_b64 v[0:3], v12 offset0:126 offset1:127
	v_fma_f64 v[15:16], v[15:16], v[55:56], -v[95:96]
	v_fma_f64 v[17:18], v[17:18], v[55:56], v[97:98]
	v_fma_f64 v[19:20], v[19:20], v[55:56], -v[99:100]
	v_fma_f64 v[21:22], v[21:22], v[55:56], v[101:102]
	;; [unrolled: 2-line block ×5, first 2 shown]
	s_waitcnt vmcnt(30)
	v_add_f64 v[19:20], v[61:62], -v[19:20]
	s_waitcnt vmcnt(28)
	v_add_f64 v[21:22], v[63:64], -v[21:22]
	;; [unrolled: 2-line block ×8, first 2 shown]
	v_add_f64 v[49:50], v[49:50], -v[93:94]
	v_add_f64 v[15:16], v[51:52], -v[15:16]
	;; [unrolled: 1-line block ×3, first 2 shown]
	s_waitcnt lgkmcnt(3)
	v_mul_f64 v[95:96], v[37:38], v[57:58]
	v_mul_f64 v[97:98], v[35:36], v[57:58]
	s_waitcnt lgkmcnt(2)
	v_mul_f64 v[99:100], v[41:42], v[57:58]
	v_mul_f64 v[101:102], v[39:40], v[57:58]
	;; [unrolled: 3-line block ×4, first 2 shown]
	v_add_f64 v[47:48], v[47:48], -v[115:116]
	buffer_store_dword v49, off, s[0:3], 0 offset:872
	v_fma_f64 v[35:36], v[35:36], v[59:60], -v[95:96]
	v_fma_f64 v[37:38], v[37:38], v[59:60], v[97:98]
	v_fma_f64 v[39:40], v[39:40], v[59:60], -v[99:100]
	v_fma_f64 v[41:42], v[41:42], v[59:60], v[101:102]
	;; [unrolled: 2-line block ×4, first 2 shown]
	buffer_store_dword v47, off, s[0:3], 0 offset:864
	buffer_store_dword v48, off, s[0:3], 0 offset:868
	;; [unrolled: 1-line block ×16, first 2 shown]
	s_waitcnt vmcnt(9)
	v_add_f64 v[15:16], v[77:78], -v[35:36]
	s_waitcnt vmcnt(8)
	v_add_f64 v[17:18], v[83:84], -v[37:38]
	v_add_f64 v[19:20], v[79:80], -v[39:40]
	;; [unrolled: 1-line block ×3, first 2 shown]
	s_waitcnt vmcnt(6)
	v_add_f64 v[23:24], v[85:86], -v[43:44]
	s_waitcnt vmcnt(4)
	v_add_f64 v[35:36], v[87:88], -v[45:46]
	;; [unrolled: 2-line block ×4, first 2 shown]
	buffer_store_dword v27, off, s[0:3], 0 offset:928
	buffer_store_dword v30, off, s[0:3], 0 offset:940
	;; [unrolled: 1-line block ×23, first 2 shown]
.LBB126_1269:
	s_or_b32 exec_lo, exec_lo, s4
	v_mov_b32_e32 v3, s27
	s_waitcnt_vscnt null, 0x0
	s_barrier
	buffer_gl0_inv
	v_lshl_add_u32 v4, v5, 4, v12
	s_clause 0x3
	buffer_load_dword v0, v3, s[0:3], 0 offen
	buffer_load_dword v1, v3, s[0:3], 0 offen offset:4
	buffer_load_dword v2, v3, s[0:3], 0 offen offset:8
	;; [unrolled: 1-line block ×3, first 2 shown]
	s_cmp_lt_i32 s57, 56
	s_waitcnt vmcnt(0)
	ds_write2_b64 v4, v[0:1], v[2:3] offset1:1
	s_waitcnt lgkmcnt(0)
	s_barrier
	buffer_gl0_inv
	ds_read2_b64 v[0:3], v12 offset0:108 offset1:109
	v_mov_b32_e32 v4, 54
	s_cbranch_scc1 .LBB126_1272
; %bb.1270:
	v_add3_u32 v10, v14, 0, 0x370
	v_mov_b32_e32 v4, 54
	s_mov_b32 s16, 55
	s_inst_prefetch 0x1
	.p2align	6
.LBB126_1271:                           ; =>This Inner Loop Header: Depth=1
	s_waitcnt lgkmcnt(0)
	v_cmp_gt_f64_e32 vcc_lo, 0, v[2:3]
	v_cmp_gt_f64_e64 s4, 0, v[0:1]
	ds_read2_b64 v[15:18], v10 offset1:1
	v_xor_b32_e32 v20, 0x80000000, v1
	v_xor_b32_e32 v22, 0x80000000, v3
	v_mov_b32_e32 v19, v0
	v_mov_b32_e32 v21, v2
	v_add_nc_u32_e32 v10, 16, v10
	s_waitcnt lgkmcnt(0)
	v_xor_b32_e32 v24, 0x80000000, v18
	v_cndmask_b32_e64 v20, v1, v20, s4
	v_cndmask_b32_e32 v22, v3, v22, vcc_lo
	v_cmp_gt_f64_e32 vcc_lo, 0, v[17:18]
	v_cmp_gt_f64_e64 s4, 0, v[15:16]
	v_mov_b32_e32 v23, v17
	v_add_f64 v[19:20], v[19:20], v[21:22]
	v_xor_b32_e32 v22, 0x80000000, v16
	v_mov_b32_e32 v21, v15
	v_cndmask_b32_e32 v24, v18, v24, vcc_lo
	v_cndmask_b32_e64 v22, v16, v22, s4
	v_add_f64 v[21:22], v[21:22], v[23:24]
	v_cmp_lt_f64_e32 vcc_lo, v[19:20], v[21:22]
	v_cndmask_b32_e32 v1, v1, v16, vcc_lo
	v_cndmask_b32_e32 v0, v0, v15, vcc_lo
	;; [unrolled: 1-line block ×4, first 2 shown]
	v_cndmask_b32_e64 v4, v4, s16, vcc_lo
	s_add_i32 s16, s16, 1
	s_cmp_lg_u32 s57, s16
	s_cbranch_scc1 .LBB126_1271
.LBB126_1272:
	s_inst_prefetch 0x2
	s_waitcnt lgkmcnt(0)
	v_cmp_eq_f64_e32 vcc_lo, 0, v[0:1]
	v_cmp_eq_f64_e64 s4, 0, v[2:3]
	s_and_b32 s4, vcc_lo, s4
	s_and_saveexec_b32 s16, s4
	s_xor_b32 s4, exec_lo, s16
; %bb.1273:
	v_cmp_ne_u32_e32 vcc_lo, 0, v13
	v_cndmask_b32_e32 v13, 55, v13, vcc_lo
; %bb.1274:
	s_andn2_saveexec_b32 s4, s4
	s_cbranch_execz .LBB126_1280
; %bb.1275:
	v_cmp_ngt_f64_e64 s16, |v[0:1]|, |v[2:3]|
	s_and_saveexec_b32 s17, s16
	s_xor_b32 s16, exec_lo, s17
	s_cbranch_execz .LBB126_1277
; %bb.1276:
	v_div_scale_f64 v[15:16], null, v[2:3], v[2:3], v[0:1]
	v_div_scale_f64 v[21:22], vcc_lo, v[0:1], v[2:3], v[0:1]
	v_rcp_f64_e32 v[17:18], v[15:16]
	v_fma_f64 v[19:20], -v[15:16], v[17:18], 1.0
	v_fma_f64 v[17:18], v[17:18], v[19:20], v[17:18]
	v_fma_f64 v[19:20], -v[15:16], v[17:18], 1.0
	v_fma_f64 v[17:18], v[17:18], v[19:20], v[17:18]
	v_mul_f64 v[19:20], v[21:22], v[17:18]
	v_fma_f64 v[15:16], -v[15:16], v[19:20], v[21:22]
	v_div_fmas_f64 v[15:16], v[15:16], v[17:18], v[19:20]
	v_div_fixup_f64 v[15:16], v[15:16], v[2:3], v[0:1]
	v_fma_f64 v[0:1], v[0:1], v[15:16], v[2:3]
	v_div_scale_f64 v[2:3], null, v[0:1], v[0:1], 1.0
	v_rcp_f64_e32 v[17:18], v[2:3]
	v_fma_f64 v[19:20], -v[2:3], v[17:18], 1.0
	v_fma_f64 v[17:18], v[17:18], v[19:20], v[17:18]
	v_fma_f64 v[19:20], -v[2:3], v[17:18], 1.0
	v_fma_f64 v[17:18], v[17:18], v[19:20], v[17:18]
	v_div_scale_f64 v[19:20], vcc_lo, 1.0, v[0:1], 1.0
	v_mul_f64 v[21:22], v[19:20], v[17:18]
	v_fma_f64 v[2:3], -v[2:3], v[21:22], v[19:20]
	v_div_fmas_f64 v[2:3], v[2:3], v[17:18], v[21:22]
	v_div_fixup_f64 v[2:3], v[2:3], v[0:1], 1.0
	v_mul_f64 v[0:1], v[15:16], v[2:3]
	v_xor_b32_e32 v3, 0x80000000, v3
.LBB126_1277:
	s_andn2_saveexec_b32 s16, s16
	s_cbranch_execz .LBB126_1279
; %bb.1278:
	v_div_scale_f64 v[15:16], null, v[0:1], v[0:1], v[2:3]
	v_div_scale_f64 v[21:22], vcc_lo, v[2:3], v[0:1], v[2:3]
	v_rcp_f64_e32 v[17:18], v[15:16]
	v_fma_f64 v[19:20], -v[15:16], v[17:18], 1.0
	v_fma_f64 v[17:18], v[17:18], v[19:20], v[17:18]
	v_fma_f64 v[19:20], -v[15:16], v[17:18], 1.0
	v_fma_f64 v[17:18], v[17:18], v[19:20], v[17:18]
	v_mul_f64 v[19:20], v[21:22], v[17:18]
	v_fma_f64 v[15:16], -v[15:16], v[19:20], v[21:22]
	v_div_fmas_f64 v[15:16], v[15:16], v[17:18], v[19:20]
	v_div_fixup_f64 v[15:16], v[15:16], v[0:1], v[2:3]
	v_fma_f64 v[0:1], v[2:3], v[15:16], v[0:1]
	v_div_scale_f64 v[2:3], null, v[0:1], v[0:1], 1.0
	v_rcp_f64_e32 v[17:18], v[2:3]
	v_fma_f64 v[19:20], -v[2:3], v[17:18], 1.0
	v_fma_f64 v[17:18], v[17:18], v[19:20], v[17:18]
	v_fma_f64 v[19:20], -v[2:3], v[17:18], 1.0
	v_fma_f64 v[17:18], v[17:18], v[19:20], v[17:18]
	v_div_scale_f64 v[19:20], vcc_lo, 1.0, v[0:1], 1.0
	v_mul_f64 v[21:22], v[19:20], v[17:18]
	v_fma_f64 v[2:3], -v[2:3], v[21:22], v[19:20]
	v_div_fmas_f64 v[2:3], v[2:3], v[17:18], v[21:22]
	v_div_fixup_f64 v[0:1], v[2:3], v[0:1], 1.0
	v_mul_f64 v[2:3], v[15:16], -v[0:1]
.LBB126_1279:
	s_or_b32 exec_lo, exec_lo, s16
.LBB126_1280:
	s_or_b32 exec_lo, exec_lo, s4
	s_mov_b32 s4, exec_lo
	v_cmpx_ne_u32_e64 v5, v4
	s_xor_b32 s4, exec_lo, s4
	s_cbranch_execz .LBB126_1286
; %bb.1281:
	s_mov_b32 s16, exec_lo
	v_cmpx_eq_u32_e32 54, v5
	s_cbranch_execz .LBB126_1285
; %bb.1282:
	v_cmp_ne_u32_e32 vcc_lo, 54, v4
	s_xor_b32 s17, s20, -1
	s_and_b32 s56, s17, vcc_lo
	s_and_saveexec_b32 s17, s56
	s_cbranch_execz .LBB126_1284
; %bb.1283:
	v_ashrrev_i32_e32 v5, 31, v4
	v_lshlrev_b64 v[10:11], 2, v[4:5]
	v_add_co_u32 v10, vcc_lo, v8, v10
	v_add_co_ci_u32_e64 v11, null, v9, v11, vcc_lo
	s_clause 0x1
	global_load_dword v5, v[10:11], off
	global_load_dword v15, v[8:9], off offset:216
	s_waitcnt vmcnt(1)
	global_store_dword v[8:9], v5, off offset:216
	s_waitcnt vmcnt(0)
	global_store_dword v[10:11], v15, off
.LBB126_1284:
	s_or_b32 exec_lo, exec_lo, s17
	v_mov_b32_e32 v5, v4
	v_mov_b32_e32 v11, v4
.LBB126_1285:
	s_or_b32 exec_lo, exec_lo, s16
.LBB126_1286:
	s_andn2_saveexec_b32 s4, s4
	s_cbranch_execz .LBB126_1288
; %bb.1287:
	v_mov_b32_e32 v4, s26
	v_mov_b32_e32 v10, s24
	;; [unrolled: 1-line block ×3, first 2 shown]
	s_clause 0x7
	buffer_load_dword v15, v4, s[0:3], 0 offen
	buffer_load_dword v16, v4, s[0:3], 0 offen offset:4
	buffer_load_dword v17, v4, s[0:3], 0 offen offset:8
	buffer_load_dword v18, v4, s[0:3], 0 offen offset:12
	buffer_load_dword v19, v5, s[0:3], 0 offen
	buffer_load_dword v20, v5, s[0:3], 0 offen offset:4
	buffer_load_dword v21, v5, s[0:3], 0 offen offset:8
	buffer_load_dword v22, v5, s[0:3], 0 offen offset:12
	v_mov_b32_e32 v4, s23
	v_mov_b32_e32 v5, s22
	s_clause 0x7
	buffer_load_dword v23, v10, s[0:3], 0 offen
	buffer_load_dword v24, v10, s[0:3], 0 offen offset:4
	buffer_load_dword v25, v10, s[0:3], 0 offen offset:8
	buffer_load_dword v26, v10, s[0:3], 0 offen offset:12
	buffer_load_dword v27, v4, s[0:3], 0 offen
	buffer_load_dword v28, v4, s[0:3], 0 offen offset:4
	buffer_load_dword v29, v4, s[0:3], 0 offen offset:8
	buffer_load_dword v30, v4, s[0:3], 0 offen offset:12
	v_mov_b32_e32 v10, s18
	v_mov_b32_e32 v4, s19
	;; [unrolled: 11-line block ×3, first 2 shown]
	s_clause 0xb
	buffer_load_dword v39, v10, s[0:3], 0 offen
	buffer_load_dword v40, v10, s[0:3], 0 offen offset:4
	buffer_load_dword v41, v10, s[0:3], 0 offen offset:8
	buffer_load_dword v42, v10, s[0:3], 0 offen offset:12
	buffer_load_dword v43, v4, s[0:3], 0 offen
	buffer_load_dword v44, v4, s[0:3], 0 offen offset:4
	buffer_load_dword v45, v4, s[0:3], 0 offen offset:8
	buffer_load_dword v46, v4, s[0:3], 0 offen offset:12
	;; [unrolled: 4-line block ×3, first 2 shown]
	v_mov_b32_e32 v5, 54
	s_waitcnt vmcnt(32)
	ds_write2_b64 v12, v[15:16], v[17:18] offset0:110 offset1:111
	s_waitcnt vmcnt(28)
	ds_write2_b64 v12, v[19:20], v[21:22] offset0:112 offset1:113
	;; [unrolled: 2-line block ×9, first 2 shown]
.LBB126_1288:
	s_or_b32 exec_lo, exec_lo, s4
	s_mov_b32 s4, exec_lo
	s_waitcnt lgkmcnt(0)
	s_waitcnt_vscnt null, 0x0
	s_barrier
	buffer_gl0_inv
	v_cmpx_lt_i32_e32 54, v5
	s_cbranch_execz .LBB126_1290
; %bb.1289:
	s_clause 0x7
	buffer_load_dword v15, off, s[0:3], 0 offset:872
	buffer_load_dword v16, off, s[0:3], 0 offset:876
	;; [unrolled: 1-line block ×8, first 2 shown]
	s_waitcnt vmcnt(6)
	v_mul_f64 v[19:20], v[0:1], v[15:16]
	v_mul_f64 v[15:16], v[2:3], v[15:16]
	s_waitcnt vmcnt(4)
	v_fma_f64 v[55:56], v[2:3], v[17:18], v[19:20]
	v_fma_f64 v[57:58], v[0:1], v[17:18], -v[15:16]
	buffer_store_dword v55, off, s[0:3], 0 offset:872
	buffer_store_dword v56, off, s[0:3], 0 offset:876
	s_clause 0x5
	buffer_load_dword v50, off, s[0:3], 0 offset:892
	buffer_load_dword v52, off, s[0:3], 0 offset:900
	;; [unrolled: 1-line block ×6, first 2 shown]
	buffer_store_dword v57, off, s[0:3], 0 offset:864
	buffer_store_dword v58, off, s[0:3], 0 offset:868
	s_clause 0x1d
	buffer_load_dword v61, off, s[0:3], 0 offset:864
	buffer_load_dword v62, off, s[0:3], 0 offset:868
	;; [unrolled: 1-line block ×30, first 2 shown]
	ds_read2_b64 v[0:3], v12 offset0:110 offset1:111
	ds_read2_b64 v[15:18], v12 offset0:112 offset1:113
	;; [unrolled: 1-line block ×9, first 2 shown]
	s_waitcnt lgkmcnt(8)
	v_mul_f64 v[91:92], v[2:3], v[55:56]
	v_mul_f64 v[93:94], v[0:1], v[55:56]
	s_waitcnt lgkmcnt(7)
	v_mul_f64 v[95:96], v[17:18], v[55:56]
	v_mul_f64 v[97:98], v[15:16], v[55:56]
	;; [unrolled: 3-line block ×6, first 2 shown]
	v_fma_f64 v[0:1], v[0:1], v[57:58], -v[91:92]
	v_fma_f64 v[2:3], v[2:3], v[57:58], v[93:94]
	v_fma_f64 v[15:16], v[15:16], v[57:58], -v[95:96]
	v_fma_f64 v[17:18], v[17:18], v[57:58], v[97:98]
	;; [unrolled: 2-line block ×6, first 2 shown]
	s_waitcnt vmcnt(26)
	v_add_f64 v[19:20], v[63:64], -v[19:20]
	s_waitcnt vmcnt(24)
	v_add_f64 v[21:22], v[65:66], -v[21:22]
	s_waitcnt vmcnt(22)
	v_add_f64 v[23:24], v[67:68], -v[23:24]
	s_waitcnt vmcnt(20)
	v_add_f64 v[25:26], v[69:70], -v[25:26]
	s_waitcnt vmcnt(18)
	v_add_f64 v[27:28], v[71:72], -v[27:28]
	s_waitcnt vmcnt(16)
	v_add_f64 v[29:30], v[73:74], -v[29:30]
	s_waitcnt vmcnt(14)
	v_add_f64 v[31:32], v[75:76], -v[31:32]
	s_waitcnt vmcnt(12)
	v_add_f64 v[33:34], v[77:78], -v[33:34]
	v_add_f64 v[2:3], v[49:50], -v[2:3]
	v_add_f64 v[15:16], v[51:52], -v[15:16]
	;; [unrolled: 1-line block ×3, first 2 shown]
	s_waitcnt lgkmcnt(2)
	v_mul_f64 v[91:92], v[37:38], v[59:60]
	v_mul_f64 v[93:94], v[35:36], v[59:60]
	s_waitcnt lgkmcnt(1)
	v_mul_f64 v[95:96], v[41:42], v[59:60]
	v_mul_f64 v[97:98], v[39:40], v[59:60]
	;; [unrolled: 3-line block ×3, first 2 shown]
	v_add_f64 v[0:1], v[47:48], -v[0:1]
	buffer_store_dword v0, off, s[0:3], 0 offset:880
	buffer_store_dword v1, off, s[0:3], 0 offset:884
	;; [unrolled: 1-line block ×8, first 2 shown]
	v_fma_f64 v[35:36], v[35:36], v[61:62], -v[91:92]
	v_fma_f64 v[37:38], v[37:38], v[61:62], v[93:94]
	v_fma_f64 v[39:40], v[39:40], v[61:62], -v[95:96]
	v_fma_f64 v[41:42], v[41:42], v[61:62], v[97:98]
	;; [unrolled: 2-line block ×3, first 2 shown]
	buffer_store_dword v20, off, s[0:3], 0 offset:916
	buffer_store_dword v19, off, s[0:3], 0 offset:912
	;; [unrolled: 1-line block ×5, first 2 shown]
	s_waitcnt vmcnt(5)
	v_add_f64 v[0:1], v[79:80], -v[35:36]
	s_waitcnt vmcnt(4)
	v_add_f64 v[2:3], v[85:86], -v[37:38]
	v_add_f64 v[15:16], v[81:82], -v[39:40]
	;; [unrolled: 1-line block ×3, first 2 shown]
	s_waitcnt vmcnt(2)
	v_add_f64 v[19:20], v[87:88], -v[43:44]
	s_waitcnt vmcnt(0)
	v_add_f64 v[21:22], v[89:90], -v[45:46]
	buffer_store_dword v23, off, s[0:3], 0 offset:928
	buffer_store_dword v26, off, s[0:3], 0 offset:940
	;; [unrolled: 1-line block ×23, first 2 shown]
.LBB126_1290:
	s_or_b32 exec_lo, exec_lo, s4
	v_mov_b32_e32 v3, s26
	s_waitcnt_vscnt null, 0x0
	s_barrier
	buffer_gl0_inv
	v_lshl_add_u32 v4, v5, 4, v12
	s_clause 0x3
	buffer_load_dword v0, v3, s[0:3], 0 offen
	buffer_load_dword v1, v3, s[0:3], 0 offen offset:4
	buffer_load_dword v2, v3, s[0:3], 0 offen offset:8
	;; [unrolled: 1-line block ×3, first 2 shown]
	s_cmp_lt_i32 s57, 57
	s_waitcnt vmcnt(0)
	ds_write2_b64 v4, v[0:1], v[2:3] offset1:1
	s_waitcnt lgkmcnt(0)
	s_barrier
	buffer_gl0_inv
	ds_read2_b64 v[0:3], v12 offset0:110 offset1:111
	v_mov_b32_e32 v4, 55
	s_cbranch_scc1 .LBB126_1293
; %bb.1291:
	v_add3_u32 v10, v14, 0, 0x380
	v_mov_b32_e32 v4, 55
	s_mov_b32 s16, 56
	s_inst_prefetch 0x1
	.p2align	6
.LBB126_1292:                           ; =>This Inner Loop Header: Depth=1
	s_waitcnt lgkmcnt(0)
	v_cmp_gt_f64_e32 vcc_lo, 0, v[2:3]
	v_cmp_gt_f64_e64 s4, 0, v[0:1]
	ds_read2_b64 v[15:18], v10 offset1:1
	v_xor_b32_e32 v20, 0x80000000, v1
	v_xor_b32_e32 v22, 0x80000000, v3
	v_mov_b32_e32 v19, v0
	v_mov_b32_e32 v21, v2
	v_add_nc_u32_e32 v10, 16, v10
	s_waitcnt lgkmcnt(0)
	v_xor_b32_e32 v24, 0x80000000, v18
	v_cndmask_b32_e64 v20, v1, v20, s4
	v_cndmask_b32_e32 v22, v3, v22, vcc_lo
	v_cmp_gt_f64_e32 vcc_lo, 0, v[17:18]
	v_cmp_gt_f64_e64 s4, 0, v[15:16]
	v_mov_b32_e32 v23, v17
	v_add_f64 v[19:20], v[19:20], v[21:22]
	v_xor_b32_e32 v22, 0x80000000, v16
	v_mov_b32_e32 v21, v15
	v_cndmask_b32_e32 v24, v18, v24, vcc_lo
	v_cndmask_b32_e64 v22, v16, v22, s4
	v_add_f64 v[21:22], v[21:22], v[23:24]
	v_cmp_lt_f64_e32 vcc_lo, v[19:20], v[21:22]
	v_cndmask_b32_e32 v1, v1, v16, vcc_lo
	v_cndmask_b32_e32 v0, v0, v15, vcc_lo
	;; [unrolled: 1-line block ×4, first 2 shown]
	v_cndmask_b32_e64 v4, v4, s16, vcc_lo
	s_add_i32 s16, s16, 1
	s_cmp_lg_u32 s57, s16
	s_cbranch_scc1 .LBB126_1292
.LBB126_1293:
	s_inst_prefetch 0x2
	s_waitcnt lgkmcnt(0)
	v_cmp_eq_f64_e32 vcc_lo, 0, v[0:1]
	v_cmp_eq_f64_e64 s4, 0, v[2:3]
	s_and_b32 s4, vcc_lo, s4
	s_and_saveexec_b32 s16, s4
	s_xor_b32 s4, exec_lo, s16
; %bb.1294:
	v_cmp_ne_u32_e32 vcc_lo, 0, v13
	v_cndmask_b32_e32 v13, 56, v13, vcc_lo
; %bb.1295:
	s_andn2_saveexec_b32 s4, s4
	s_cbranch_execz .LBB126_1301
; %bb.1296:
	v_cmp_ngt_f64_e64 s16, |v[0:1]|, |v[2:3]|
	s_and_saveexec_b32 s17, s16
	s_xor_b32 s16, exec_lo, s17
	s_cbranch_execz .LBB126_1298
; %bb.1297:
	v_div_scale_f64 v[15:16], null, v[2:3], v[2:3], v[0:1]
	v_div_scale_f64 v[21:22], vcc_lo, v[0:1], v[2:3], v[0:1]
	v_rcp_f64_e32 v[17:18], v[15:16]
	v_fma_f64 v[19:20], -v[15:16], v[17:18], 1.0
	v_fma_f64 v[17:18], v[17:18], v[19:20], v[17:18]
	v_fma_f64 v[19:20], -v[15:16], v[17:18], 1.0
	v_fma_f64 v[17:18], v[17:18], v[19:20], v[17:18]
	v_mul_f64 v[19:20], v[21:22], v[17:18]
	v_fma_f64 v[15:16], -v[15:16], v[19:20], v[21:22]
	v_div_fmas_f64 v[15:16], v[15:16], v[17:18], v[19:20]
	v_div_fixup_f64 v[15:16], v[15:16], v[2:3], v[0:1]
	v_fma_f64 v[0:1], v[0:1], v[15:16], v[2:3]
	v_div_scale_f64 v[2:3], null, v[0:1], v[0:1], 1.0
	v_rcp_f64_e32 v[17:18], v[2:3]
	v_fma_f64 v[19:20], -v[2:3], v[17:18], 1.0
	v_fma_f64 v[17:18], v[17:18], v[19:20], v[17:18]
	v_fma_f64 v[19:20], -v[2:3], v[17:18], 1.0
	v_fma_f64 v[17:18], v[17:18], v[19:20], v[17:18]
	v_div_scale_f64 v[19:20], vcc_lo, 1.0, v[0:1], 1.0
	v_mul_f64 v[21:22], v[19:20], v[17:18]
	v_fma_f64 v[2:3], -v[2:3], v[21:22], v[19:20]
	v_div_fmas_f64 v[2:3], v[2:3], v[17:18], v[21:22]
	v_div_fixup_f64 v[2:3], v[2:3], v[0:1], 1.0
	v_mul_f64 v[0:1], v[15:16], v[2:3]
	v_xor_b32_e32 v3, 0x80000000, v3
.LBB126_1298:
	s_andn2_saveexec_b32 s16, s16
	s_cbranch_execz .LBB126_1300
; %bb.1299:
	v_div_scale_f64 v[15:16], null, v[0:1], v[0:1], v[2:3]
	v_div_scale_f64 v[21:22], vcc_lo, v[2:3], v[0:1], v[2:3]
	v_rcp_f64_e32 v[17:18], v[15:16]
	v_fma_f64 v[19:20], -v[15:16], v[17:18], 1.0
	v_fma_f64 v[17:18], v[17:18], v[19:20], v[17:18]
	v_fma_f64 v[19:20], -v[15:16], v[17:18], 1.0
	v_fma_f64 v[17:18], v[17:18], v[19:20], v[17:18]
	v_mul_f64 v[19:20], v[21:22], v[17:18]
	v_fma_f64 v[15:16], -v[15:16], v[19:20], v[21:22]
	v_div_fmas_f64 v[15:16], v[15:16], v[17:18], v[19:20]
	v_div_fixup_f64 v[15:16], v[15:16], v[0:1], v[2:3]
	v_fma_f64 v[0:1], v[2:3], v[15:16], v[0:1]
	v_div_scale_f64 v[2:3], null, v[0:1], v[0:1], 1.0
	v_rcp_f64_e32 v[17:18], v[2:3]
	v_fma_f64 v[19:20], -v[2:3], v[17:18], 1.0
	v_fma_f64 v[17:18], v[17:18], v[19:20], v[17:18]
	v_fma_f64 v[19:20], -v[2:3], v[17:18], 1.0
	v_fma_f64 v[17:18], v[17:18], v[19:20], v[17:18]
	v_div_scale_f64 v[19:20], vcc_lo, 1.0, v[0:1], 1.0
	v_mul_f64 v[21:22], v[19:20], v[17:18]
	v_fma_f64 v[2:3], -v[2:3], v[21:22], v[19:20]
	v_div_fmas_f64 v[2:3], v[2:3], v[17:18], v[21:22]
	v_div_fixup_f64 v[0:1], v[2:3], v[0:1], 1.0
	v_mul_f64 v[2:3], v[15:16], -v[0:1]
.LBB126_1300:
	s_or_b32 exec_lo, exec_lo, s16
.LBB126_1301:
	s_or_b32 exec_lo, exec_lo, s4
	s_mov_b32 s4, exec_lo
	v_cmpx_ne_u32_e64 v5, v4
	s_xor_b32 s4, exec_lo, s4
	s_cbranch_execz .LBB126_1307
; %bb.1302:
	s_mov_b32 s16, exec_lo
	v_cmpx_eq_u32_e32 55, v5
	s_cbranch_execz .LBB126_1306
; %bb.1303:
	v_cmp_ne_u32_e32 vcc_lo, 55, v4
	s_xor_b32 s17, s20, -1
	s_and_b32 s56, s17, vcc_lo
	s_and_saveexec_b32 s17, s56
	s_cbranch_execz .LBB126_1305
; %bb.1304:
	v_ashrrev_i32_e32 v5, 31, v4
	v_lshlrev_b64 v[10:11], 2, v[4:5]
	v_add_co_u32 v10, vcc_lo, v8, v10
	v_add_co_ci_u32_e64 v11, null, v9, v11, vcc_lo
	s_clause 0x1
	global_load_dword v5, v[10:11], off
	global_load_dword v15, v[8:9], off offset:220
	s_waitcnt vmcnt(1)
	global_store_dword v[8:9], v5, off offset:220
	s_waitcnt vmcnt(0)
	global_store_dword v[10:11], v15, off
.LBB126_1305:
	s_or_b32 exec_lo, exec_lo, s17
	v_mov_b32_e32 v5, v4
	v_mov_b32_e32 v11, v4
.LBB126_1306:
	s_or_b32 exec_lo, exec_lo, s16
.LBB126_1307:
	s_andn2_saveexec_b32 s4, s4
	s_cbranch_execz .LBB126_1309
; %bb.1308:
	v_mov_b32_e32 v4, s25
	v_mov_b32_e32 v10, s23
	;; [unrolled: 1-line block ×3, first 2 shown]
	s_clause 0x7
	buffer_load_dword v15, v4, s[0:3], 0 offen
	buffer_load_dword v16, v4, s[0:3], 0 offen offset:4
	buffer_load_dword v17, v4, s[0:3], 0 offen offset:8
	;; [unrolled: 1-line block ×3, first 2 shown]
	buffer_load_dword v19, v5, s[0:3], 0 offen
	buffer_load_dword v20, v5, s[0:3], 0 offen offset:4
	buffer_load_dword v21, v5, s[0:3], 0 offen offset:8
	;; [unrolled: 1-line block ×3, first 2 shown]
	v_mov_b32_e32 v4, s22
	v_mov_b32_e32 v5, s19
	s_clause 0x7
	buffer_load_dword v23, v10, s[0:3], 0 offen
	buffer_load_dword v24, v10, s[0:3], 0 offen offset:4
	buffer_load_dword v25, v10, s[0:3], 0 offen offset:8
	;; [unrolled: 1-line block ×3, first 2 shown]
	buffer_load_dword v27, v4, s[0:3], 0 offen
	buffer_load_dword v28, v4, s[0:3], 0 offen offset:4
	buffer_load_dword v29, v4, s[0:3], 0 offen offset:8
	;; [unrolled: 1-line block ×3, first 2 shown]
	v_mov_b32_e32 v10, s7
	v_mov_b32_e32 v4, s18
	s_clause 0x7
	buffer_load_dword v31, v5, s[0:3], 0 offen
	buffer_load_dword v32, v5, s[0:3], 0 offen offset:4
	buffer_load_dword v33, v5, s[0:3], 0 offen offset:8
	;; [unrolled: 1-line block ×3, first 2 shown]
	buffer_load_dword v35, v4, s[0:3], 0 offen
	buffer_load_dword v36, v4, s[0:3], 0 offen offset:4
	buffer_load_dword v37, v4, s[0:3], 0 offen offset:8
	buffer_load_dword v38, v4, s[0:3], 0 offen offset:12
	v_mov_b32_e32 v4, s5
	s_clause 0x7
	buffer_load_dword v39, v10, s[0:3], 0 offen
	buffer_load_dword v40, v10, s[0:3], 0 offen offset:4
	buffer_load_dword v41, v10, s[0:3], 0 offen offset:8
	;; [unrolled: 1-line block ×3, first 2 shown]
	buffer_load_dword v43, v4, s[0:3], 0 offen
	buffer_load_dword v44, v4, s[0:3], 0 offen offset:4
	buffer_load_dword v45, v4, s[0:3], 0 offen offset:8
	;; [unrolled: 1-line block ×3, first 2 shown]
	v_mov_b32_e32 v5, 55
	s_waitcnt vmcnt(28)
	ds_write2_b64 v12, v[15:16], v[17:18] offset0:112 offset1:113
	s_waitcnt vmcnt(24)
	ds_write2_b64 v12, v[19:20], v[21:22] offset0:114 offset1:115
	;; [unrolled: 2-line block ×8, first 2 shown]
.LBB126_1309:
	s_or_b32 exec_lo, exec_lo, s4
	s_mov_b32 s4, exec_lo
	s_waitcnt lgkmcnt(0)
	s_waitcnt_vscnt null, 0x0
	s_barrier
	buffer_gl0_inv
	v_cmpx_lt_i32_e32 55, v5
	s_cbranch_execz .LBB126_1311
; %bb.1310:
	s_clause 0x7
	buffer_load_dword v15, off, s[0:3], 0 offset:888
	buffer_load_dword v16, off, s[0:3], 0 offset:892
	buffer_load_dword v17, off, s[0:3], 0 offset:880
	buffer_load_dword v18, off, s[0:3], 0 offset:884
	buffer_load_dword v43, off, s[0:3], 0 offset:896
	buffer_load_dword v45, off, s[0:3], 0 offset:904
	buffer_load_dword v47, off, s[0:3], 0 offset:912
	buffer_load_dword v49, off, s[0:3], 0 offset:920
	s_waitcnt vmcnt(6)
	v_mul_f64 v[19:20], v[0:1], v[15:16]
	v_mul_f64 v[15:16], v[2:3], v[15:16]
	s_waitcnt vmcnt(4)
	v_fma_f64 v[51:52], v[2:3], v[17:18], v[19:20]
	v_fma_f64 v[53:54], v[0:1], v[17:18], -v[15:16]
	buffer_store_dword v51, off, s[0:3], 0 offset:888
	buffer_store_dword v52, off, s[0:3], 0 offset:892
	s_clause 0x5
	buffer_load_dword v46, off, s[0:3], 0 offset:908
	buffer_load_dword v48, off, s[0:3], 0 offset:916
	;; [unrolled: 1-line block ×6, first 2 shown]
	buffer_store_dword v53, off, s[0:3], 0 offset:880
	buffer_store_dword v54, off, s[0:3], 0 offset:884
	s_clause 0x19
	buffer_load_dword v57, off, s[0:3], 0 offset:880
	buffer_load_dword v58, off, s[0:3], 0 offset:884
	;; [unrolled: 1-line block ×26, first 2 shown]
	ds_read2_b64 v[0:3], v12 offset0:112 offset1:113
	ds_read2_b64 v[15:18], v12 offset0:114 offset1:115
	ds_read2_b64 v[19:22], v12 offset0:116 offset1:117
	ds_read2_b64 v[23:26], v12 offset0:118 offset1:119
	ds_read2_b64 v[27:30], v12 offset0:120 offset1:121
	ds_read2_b64 v[31:34], v12 offset0:122 offset1:123
	ds_read2_b64 v[35:38], v12 offset0:124 offset1:125
	ds_read2_b64 v[39:42], v12 offset0:126 offset1:127
	s_waitcnt lgkmcnt(7)
	v_mul_f64 v[83:84], v[2:3], v[51:52]
	v_mul_f64 v[85:86], v[0:1], v[51:52]
	s_waitcnt lgkmcnt(6)
	v_mul_f64 v[87:88], v[17:18], v[51:52]
	v_mul_f64 v[89:90], v[15:16], v[51:52]
	;; [unrolled: 3-line block ×6, first 2 shown]
	v_fma_f64 v[0:1], v[0:1], v[53:54], -v[83:84]
	v_fma_f64 v[2:3], v[2:3], v[53:54], v[85:86]
	v_fma_f64 v[15:16], v[15:16], v[53:54], -v[87:88]
	v_fma_f64 v[17:18], v[17:18], v[53:54], v[89:90]
	;; [unrolled: 2-line block ×6, first 2 shown]
	s_waitcnt vmcnt(22)
	v_add_f64 v[19:20], v[59:60], -v[19:20]
	s_waitcnt vmcnt(20)
	v_add_f64 v[21:22], v[61:62], -v[21:22]
	s_waitcnt vmcnt(18)
	v_add_f64 v[23:24], v[63:64], -v[23:24]
	s_waitcnt vmcnt(16)
	v_add_f64 v[25:26], v[65:66], -v[25:26]
	s_waitcnt vmcnt(14)
	v_add_f64 v[27:28], v[67:68], -v[27:28]
	s_waitcnt vmcnt(12)
	v_add_f64 v[29:30], v[69:70], -v[29:30]
	s_waitcnt vmcnt(10)
	v_add_f64 v[31:32], v[71:72], -v[31:32]
	s_waitcnt vmcnt(8)
	v_add_f64 v[33:34], v[73:74], -v[33:34]
	v_add_f64 v[2:3], v[45:46], -v[2:3]
	v_add_f64 v[15:16], v[47:48], -v[15:16]
	;; [unrolled: 1-line block ×3, first 2 shown]
	s_waitcnt lgkmcnt(1)
	v_mul_f64 v[83:84], v[37:38], v[55:56]
	v_mul_f64 v[85:86], v[35:36], v[55:56]
	s_waitcnt lgkmcnt(0)
	v_mul_f64 v[87:88], v[41:42], v[55:56]
	v_mul_f64 v[55:56], v[39:40], v[55:56]
	v_add_f64 v[0:1], v[43:44], -v[0:1]
	buffer_store_dword v0, off, s[0:3], 0 offset:896
	buffer_store_dword v1, off, s[0:3], 0 offset:900
	;; [unrolled: 1-line block ×6, first 2 shown]
	v_fma_f64 v[35:36], v[35:36], v[57:58], -v[83:84]
	v_fma_f64 v[37:38], v[37:38], v[57:58], v[85:86]
	v_fma_f64 v[39:40], v[39:40], v[57:58], -v[87:88]
	v_fma_f64 v[41:42], v[41:42], v[57:58], v[55:56]
	buffer_store_dword v17, off, s[0:3], 0 offset:920
	buffer_store_dword v18, off, s[0:3], 0 offset:924
	;; [unrolled: 1-line block ×3, first 2 shown]
	s_waitcnt vmcnt(1)
	v_add_f64 v[0:1], v[75:76], -v[35:36]
	s_waitcnt vmcnt(0)
	v_add_f64 v[2:3], v[81:82], -v[37:38]
	v_add_f64 v[15:16], v[77:78], -v[39:40]
	;; [unrolled: 1-line block ×3, first 2 shown]
	buffer_store_dword v19, off, s[0:3], 0 offset:928
	buffer_store_dword v21, off, s[0:3], 0 offset:936
	;; [unrolled: 1-line block ×23, first 2 shown]
.LBB126_1311:
	s_or_b32 exec_lo, exec_lo, s4
	v_mov_b32_e32 v3, s25
	s_waitcnt_vscnt null, 0x0
	s_barrier
	buffer_gl0_inv
	v_lshl_add_u32 v4, v5, 4, v12
	s_clause 0x3
	buffer_load_dword v0, v3, s[0:3], 0 offen
	buffer_load_dword v1, v3, s[0:3], 0 offen offset:4
	buffer_load_dword v2, v3, s[0:3], 0 offen offset:8
	;; [unrolled: 1-line block ×3, first 2 shown]
	s_cmp_lt_i32 s57, 58
	s_waitcnt vmcnt(0)
	ds_write2_b64 v4, v[0:1], v[2:3] offset1:1
	s_waitcnt lgkmcnt(0)
	s_barrier
	buffer_gl0_inv
	ds_read2_b64 v[0:3], v12 offset0:112 offset1:113
	v_mov_b32_e32 v4, 56
	s_cbranch_scc1 .LBB126_1314
; %bb.1312:
	v_add3_u32 v10, v14, 0, 0x390
	v_mov_b32_e32 v4, 56
	s_mov_b32 s16, 57
	s_inst_prefetch 0x1
	.p2align	6
.LBB126_1313:                           ; =>This Inner Loop Header: Depth=1
	s_waitcnt lgkmcnt(0)
	v_cmp_gt_f64_e32 vcc_lo, 0, v[2:3]
	v_cmp_gt_f64_e64 s4, 0, v[0:1]
	ds_read2_b64 v[15:18], v10 offset1:1
	v_xor_b32_e32 v20, 0x80000000, v1
	v_xor_b32_e32 v22, 0x80000000, v3
	v_mov_b32_e32 v19, v0
	v_mov_b32_e32 v21, v2
	v_add_nc_u32_e32 v10, 16, v10
	s_waitcnt lgkmcnt(0)
	v_xor_b32_e32 v24, 0x80000000, v18
	v_cndmask_b32_e64 v20, v1, v20, s4
	v_cndmask_b32_e32 v22, v3, v22, vcc_lo
	v_cmp_gt_f64_e32 vcc_lo, 0, v[17:18]
	v_cmp_gt_f64_e64 s4, 0, v[15:16]
	v_mov_b32_e32 v23, v17
	v_add_f64 v[19:20], v[19:20], v[21:22]
	v_xor_b32_e32 v22, 0x80000000, v16
	v_mov_b32_e32 v21, v15
	v_cndmask_b32_e32 v24, v18, v24, vcc_lo
	v_cndmask_b32_e64 v22, v16, v22, s4
	v_add_f64 v[21:22], v[21:22], v[23:24]
	v_cmp_lt_f64_e32 vcc_lo, v[19:20], v[21:22]
	v_cndmask_b32_e32 v1, v1, v16, vcc_lo
	v_cndmask_b32_e32 v0, v0, v15, vcc_lo
	;; [unrolled: 1-line block ×4, first 2 shown]
	v_cndmask_b32_e64 v4, v4, s16, vcc_lo
	s_add_i32 s16, s16, 1
	s_cmp_lg_u32 s57, s16
	s_cbranch_scc1 .LBB126_1313
.LBB126_1314:
	s_inst_prefetch 0x2
	s_waitcnt lgkmcnt(0)
	v_cmp_eq_f64_e32 vcc_lo, 0, v[0:1]
	v_cmp_eq_f64_e64 s4, 0, v[2:3]
	s_and_b32 s4, vcc_lo, s4
	s_and_saveexec_b32 s16, s4
	s_xor_b32 s4, exec_lo, s16
; %bb.1315:
	v_cmp_ne_u32_e32 vcc_lo, 0, v13
	v_cndmask_b32_e32 v13, 57, v13, vcc_lo
; %bb.1316:
	s_andn2_saveexec_b32 s4, s4
	s_cbranch_execz .LBB126_1322
; %bb.1317:
	v_cmp_ngt_f64_e64 s16, |v[0:1]|, |v[2:3]|
	s_and_saveexec_b32 s17, s16
	s_xor_b32 s16, exec_lo, s17
	s_cbranch_execz .LBB126_1319
; %bb.1318:
	v_div_scale_f64 v[15:16], null, v[2:3], v[2:3], v[0:1]
	v_div_scale_f64 v[21:22], vcc_lo, v[0:1], v[2:3], v[0:1]
	v_rcp_f64_e32 v[17:18], v[15:16]
	v_fma_f64 v[19:20], -v[15:16], v[17:18], 1.0
	v_fma_f64 v[17:18], v[17:18], v[19:20], v[17:18]
	v_fma_f64 v[19:20], -v[15:16], v[17:18], 1.0
	v_fma_f64 v[17:18], v[17:18], v[19:20], v[17:18]
	v_mul_f64 v[19:20], v[21:22], v[17:18]
	v_fma_f64 v[15:16], -v[15:16], v[19:20], v[21:22]
	v_div_fmas_f64 v[15:16], v[15:16], v[17:18], v[19:20]
	v_div_fixup_f64 v[15:16], v[15:16], v[2:3], v[0:1]
	v_fma_f64 v[0:1], v[0:1], v[15:16], v[2:3]
	v_div_scale_f64 v[2:3], null, v[0:1], v[0:1], 1.0
	v_rcp_f64_e32 v[17:18], v[2:3]
	v_fma_f64 v[19:20], -v[2:3], v[17:18], 1.0
	v_fma_f64 v[17:18], v[17:18], v[19:20], v[17:18]
	v_fma_f64 v[19:20], -v[2:3], v[17:18], 1.0
	v_fma_f64 v[17:18], v[17:18], v[19:20], v[17:18]
	v_div_scale_f64 v[19:20], vcc_lo, 1.0, v[0:1], 1.0
	v_mul_f64 v[21:22], v[19:20], v[17:18]
	v_fma_f64 v[2:3], -v[2:3], v[21:22], v[19:20]
	v_div_fmas_f64 v[2:3], v[2:3], v[17:18], v[21:22]
	v_div_fixup_f64 v[2:3], v[2:3], v[0:1], 1.0
	v_mul_f64 v[0:1], v[15:16], v[2:3]
	v_xor_b32_e32 v3, 0x80000000, v3
.LBB126_1319:
	s_andn2_saveexec_b32 s16, s16
	s_cbranch_execz .LBB126_1321
; %bb.1320:
	v_div_scale_f64 v[15:16], null, v[0:1], v[0:1], v[2:3]
	v_div_scale_f64 v[21:22], vcc_lo, v[2:3], v[0:1], v[2:3]
	v_rcp_f64_e32 v[17:18], v[15:16]
	v_fma_f64 v[19:20], -v[15:16], v[17:18], 1.0
	v_fma_f64 v[17:18], v[17:18], v[19:20], v[17:18]
	v_fma_f64 v[19:20], -v[15:16], v[17:18], 1.0
	v_fma_f64 v[17:18], v[17:18], v[19:20], v[17:18]
	v_mul_f64 v[19:20], v[21:22], v[17:18]
	v_fma_f64 v[15:16], -v[15:16], v[19:20], v[21:22]
	v_div_fmas_f64 v[15:16], v[15:16], v[17:18], v[19:20]
	v_div_fixup_f64 v[15:16], v[15:16], v[0:1], v[2:3]
	v_fma_f64 v[0:1], v[2:3], v[15:16], v[0:1]
	v_div_scale_f64 v[2:3], null, v[0:1], v[0:1], 1.0
	v_rcp_f64_e32 v[17:18], v[2:3]
	v_fma_f64 v[19:20], -v[2:3], v[17:18], 1.0
	v_fma_f64 v[17:18], v[17:18], v[19:20], v[17:18]
	v_fma_f64 v[19:20], -v[2:3], v[17:18], 1.0
	v_fma_f64 v[17:18], v[17:18], v[19:20], v[17:18]
	v_div_scale_f64 v[19:20], vcc_lo, 1.0, v[0:1], 1.0
	v_mul_f64 v[21:22], v[19:20], v[17:18]
	v_fma_f64 v[2:3], -v[2:3], v[21:22], v[19:20]
	v_div_fmas_f64 v[2:3], v[2:3], v[17:18], v[21:22]
	v_div_fixup_f64 v[0:1], v[2:3], v[0:1], 1.0
	v_mul_f64 v[2:3], v[15:16], -v[0:1]
.LBB126_1321:
	s_or_b32 exec_lo, exec_lo, s16
.LBB126_1322:
	s_or_b32 exec_lo, exec_lo, s4
	s_mov_b32 s4, exec_lo
	v_cmpx_ne_u32_e64 v5, v4
	s_xor_b32 s4, exec_lo, s4
	s_cbranch_execz .LBB126_1328
; %bb.1323:
	s_mov_b32 s16, exec_lo
	v_cmpx_eq_u32_e32 56, v5
	s_cbranch_execz .LBB126_1327
; %bb.1324:
	v_cmp_ne_u32_e32 vcc_lo, 56, v4
	s_xor_b32 s17, s20, -1
	s_and_b32 s56, s17, vcc_lo
	s_and_saveexec_b32 s17, s56
	s_cbranch_execz .LBB126_1326
; %bb.1325:
	v_ashrrev_i32_e32 v5, 31, v4
	v_lshlrev_b64 v[10:11], 2, v[4:5]
	v_add_co_u32 v10, vcc_lo, v8, v10
	v_add_co_ci_u32_e64 v11, null, v9, v11, vcc_lo
	s_clause 0x1
	global_load_dword v5, v[10:11], off
	global_load_dword v15, v[8:9], off offset:224
	s_waitcnt vmcnt(1)
	global_store_dword v[8:9], v5, off offset:224
	s_waitcnt vmcnt(0)
	global_store_dword v[10:11], v15, off
.LBB126_1326:
	s_or_b32 exec_lo, exec_lo, s17
	v_mov_b32_e32 v5, v4
	v_mov_b32_e32 v11, v4
.LBB126_1327:
	s_or_b32 exec_lo, exec_lo, s16
.LBB126_1328:
	s_andn2_saveexec_b32 s4, s4
	s_cbranch_execz .LBB126_1330
; %bb.1329:
	v_mov_b32_e32 v4, s24
	v_mov_b32_e32 v5, s23
	;; [unrolled: 1-line block ×3, first 2 shown]
	s_clause 0x7
	buffer_load_dword v15, v4, s[0:3], 0 offen
	buffer_load_dword v16, v4, s[0:3], 0 offen offset:4
	buffer_load_dword v17, v4, s[0:3], 0 offen offset:8
	;; [unrolled: 1-line block ×3, first 2 shown]
	buffer_load_dword v19, v5, s[0:3], 0 offen
	buffer_load_dword v20, v5, s[0:3], 0 offen offset:4
	buffer_load_dword v21, v5, s[0:3], 0 offen offset:8
	;; [unrolled: 1-line block ×3, first 2 shown]
	v_mov_b32_e32 v5, s18
	v_mov_b32_e32 v4, s19
	s_clause 0x7
	buffer_load_dword v23, v10, s[0:3], 0 offen
	buffer_load_dword v24, v10, s[0:3], 0 offen offset:4
	buffer_load_dword v25, v10, s[0:3], 0 offen offset:8
	;; [unrolled: 1-line block ×3, first 2 shown]
	buffer_load_dword v27, v4, s[0:3], 0 offen
	buffer_load_dword v28, v4, s[0:3], 0 offen offset:4
	buffer_load_dword v29, v4, s[0:3], 0 offen offset:8
	;; [unrolled: 1-line block ×3, first 2 shown]
	v_mov_b32_e32 v4, s7
	v_mov_b32_e32 v10, s5
	s_clause 0xb
	buffer_load_dword v31, v5, s[0:3], 0 offen
	buffer_load_dword v32, v5, s[0:3], 0 offen offset:4
	buffer_load_dword v33, v5, s[0:3], 0 offen offset:8
	buffer_load_dword v34, v5, s[0:3], 0 offen offset:12
	buffer_load_dword v35, v4, s[0:3], 0 offen
	buffer_load_dword v36, v4, s[0:3], 0 offen offset:4
	buffer_load_dword v37, v4, s[0:3], 0 offen offset:8
	buffer_load_dword v38, v4, s[0:3], 0 offen offset:12
	;; [unrolled: 4-line block ×3, first 2 shown]
	v_mov_b32_e32 v5, 56
	s_waitcnt vmcnt(24)
	ds_write2_b64 v12, v[15:16], v[17:18] offset0:114 offset1:115
	s_waitcnt vmcnt(20)
	ds_write2_b64 v12, v[19:20], v[21:22] offset0:116 offset1:117
	;; [unrolled: 2-line block ×7, first 2 shown]
.LBB126_1330:
	s_or_b32 exec_lo, exec_lo, s4
	s_mov_b32 s4, exec_lo
	s_waitcnt lgkmcnt(0)
	s_waitcnt_vscnt null, 0x0
	s_barrier
	buffer_gl0_inv
	v_cmpx_lt_i32_e32 56, v5
	s_cbranch_execz .LBB126_1332
; %bb.1331:
	s_clause 0x7
	buffer_load_dword v15, off, s[0:3], 0 offset:904
	buffer_load_dword v16, off, s[0:3], 0 offset:908
	;; [unrolled: 1-line block ×8, first 2 shown]
	s_waitcnt vmcnt(6)
	v_mul_f64 v[19:20], v[0:1], v[15:16]
	v_mul_f64 v[15:16], v[2:3], v[15:16]
	s_waitcnt vmcnt(4)
	v_fma_f64 v[47:48], v[2:3], v[17:18], v[19:20]
	v_fma_f64 v[49:50], v[0:1], v[17:18], -v[15:16]
	buffer_store_dword v47, off, s[0:3], 0 offset:904
	buffer_store_dword v48, off, s[0:3], 0 offset:908
	s_clause 0x5
	buffer_load_dword v42, off, s[0:3], 0 offset:924
	buffer_load_dword v44, off, s[0:3], 0 offset:932
	;; [unrolled: 1-line block ×6, first 2 shown]
	buffer_store_dword v49, off, s[0:3], 0 offset:896
	buffer_store_dword v50, off, s[0:3], 0 offset:900
	s_clause 0x15
	buffer_load_dword v53, off, s[0:3], 0 offset:896
	buffer_load_dword v54, off, s[0:3], 0 offset:900
	;; [unrolled: 1-line block ×22, first 2 shown]
	ds_read2_b64 v[0:3], v12 offset0:114 offset1:115
	ds_read2_b64 v[15:18], v12 offset0:116 offset1:117
	;; [unrolled: 1-line block ×7, first 2 shown]
	s_waitcnt lgkmcnt(6)
	v_mul_f64 v[75:76], v[2:3], v[47:48]
	v_mul_f64 v[77:78], v[0:1], v[47:48]
	s_waitcnt lgkmcnt(5)
	v_mul_f64 v[79:80], v[17:18], v[47:48]
	v_mul_f64 v[81:82], v[15:16], v[47:48]
	;; [unrolled: 3-line block ×6, first 2 shown]
	v_fma_f64 v[0:1], v[0:1], v[49:50], -v[75:76]
	v_fma_f64 v[2:3], v[2:3], v[49:50], v[77:78]
	v_fma_f64 v[15:16], v[15:16], v[49:50], -v[79:80]
	v_fma_f64 v[17:18], v[17:18], v[49:50], v[81:82]
	;; [unrolled: 2-line block ×6, first 2 shown]
	s_waitcnt vmcnt(18)
	v_add_f64 v[19:20], v[55:56], -v[19:20]
	s_waitcnt vmcnt(16)
	v_add_f64 v[21:22], v[57:58], -v[21:22]
	;; [unrolled: 2-line block ×6, first 2 shown]
	v_add_f64 v[2:3], v[41:42], -v[2:3]
	v_add_f64 v[15:16], v[43:44], -v[15:16]
	;; [unrolled: 1-line block ×3, first 2 shown]
	s_waitcnt vmcnt(6)
	v_add_f64 v[31:32], v[67:68], -v[31:32]
	s_waitcnt lgkmcnt(0)
	v_mul_f64 v[75:76], v[37:38], v[51:52]
	v_mul_f64 v[51:52], v[35:36], v[51:52]
	v_add_f64 v[0:1], v[39:40], -v[0:1]
	s_waitcnt vmcnt(4)
	v_add_f64 v[33:34], v[69:70], -v[33:34]
	buffer_store_dword v0, off, s[0:3], 0 offset:912
	buffer_store_dword v1, off, s[0:3], 0 offset:916
	;; [unrolled: 1-line block ×4, first 2 shown]
	v_fma_f64 v[35:36], v[35:36], v[53:54], -v[75:76]
	v_fma_f64 v[37:38], v[37:38], v[53:54], v[51:52]
	buffer_store_dword v15, off, s[0:3], 0 offset:928
	s_waitcnt vmcnt(1)
	v_add_f64 v[0:1], v[71:72], -v[35:36]
	s_waitcnt vmcnt(0)
	v_add_f64 v[2:3], v[73:74], -v[37:38]
	buffer_store_dword v16, off, s[0:3], 0 offset:932
	buffer_store_dword v17, off, s[0:3], 0 offset:936
	;; [unrolled: 1-line block ×23, first 2 shown]
.LBB126_1332:
	s_or_b32 exec_lo, exec_lo, s4
	v_mov_b32_e32 v3, s24
	s_waitcnt_vscnt null, 0x0
	s_barrier
	buffer_gl0_inv
	v_lshl_add_u32 v4, v5, 4, v12
	s_clause 0x3
	buffer_load_dword v0, v3, s[0:3], 0 offen
	buffer_load_dword v1, v3, s[0:3], 0 offen offset:4
	buffer_load_dword v2, v3, s[0:3], 0 offen offset:8
	buffer_load_dword v3, v3, s[0:3], 0 offen offset:12
	s_cmp_lt_i32 s57, 59
	s_waitcnt vmcnt(0)
	ds_write2_b64 v4, v[0:1], v[2:3] offset1:1
	s_waitcnt lgkmcnt(0)
	s_barrier
	buffer_gl0_inv
	ds_read2_b64 v[0:3], v12 offset0:114 offset1:115
	v_mov_b32_e32 v4, 57
	s_cbranch_scc1 .LBB126_1335
; %bb.1333:
	v_add3_u32 v10, v14, 0, 0x3a0
	v_mov_b32_e32 v4, 57
	s_mov_b32 s16, 58
	s_inst_prefetch 0x1
	.p2align	6
.LBB126_1334:                           ; =>This Inner Loop Header: Depth=1
	s_waitcnt lgkmcnt(0)
	v_cmp_gt_f64_e32 vcc_lo, 0, v[2:3]
	v_cmp_gt_f64_e64 s4, 0, v[0:1]
	ds_read2_b64 v[15:18], v10 offset1:1
	v_xor_b32_e32 v20, 0x80000000, v1
	v_xor_b32_e32 v22, 0x80000000, v3
	v_mov_b32_e32 v19, v0
	v_mov_b32_e32 v21, v2
	v_add_nc_u32_e32 v10, 16, v10
	s_waitcnt lgkmcnt(0)
	v_xor_b32_e32 v24, 0x80000000, v18
	v_cndmask_b32_e64 v20, v1, v20, s4
	v_cndmask_b32_e32 v22, v3, v22, vcc_lo
	v_cmp_gt_f64_e32 vcc_lo, 0, v[17:18]
	v_cmp_gt_f64_e64 s4, 0, v[15:16]
	v_mov_b32_e32 v23, v17
	v_add_f64 v[19:20], v[19:20], v[21:22]
	v_xor_b32_e32 v22, 0x80000000, v16
	v_mov_b32_e32 v21, v15
	v_cndmask_b32_e32 v24, v18, v24, vcc_lo
	v_cndmask_b32_e64 v22, v16, v22, s4
	v_add_f64 v[21:22], v[21:22], v[23:24]
	v_cmp_lt_f64_e32 vcc_lo, v[19:20], v[21:22]
	v_cndmask_b32_e32 v1, v1, v16, vcc_lo
	v_cndmask_b32_e32 v0, v0, v15, vcc_lo
	;; [unrolled: 1-line block ×4, first 2 shown]
	v_cndmask_b32_e64 v4, v4, s16, vcc_lo
	s_add_i32 s16, s16, 1
	s_cmp_lg_u32 s57, s16
	s_cbranch_scc1 .LBB126_1334
.LBB126_1335:
	s_inst_prefetch 0x2
	s_waitcnt lgkmcnt(0)
	v_cmp_eq_f64_e32 vcc_lo, 0, v[0:1]
	v_cmp_eq_f64_e64 s4, 0, v[2:3]
	s_and_b32 s4, vcc_lo, s4
	s_and_saveexec_b32 s16, s4
	s_xor_b32 s4, exec_lo, s16
; %bb.1336:
	v_cmp_ne_u32_e32 vcc_lo, 0, v13
	v_cndmask_b32_e32 v13, 58, v13, vcc_lo
; %bb.1337:
	s_andn2_saveexec_b32 s4, s4
	s_cbranch_execz .LBB126_1343
; %bb.1338:
	v_cmp_ngt_f64_e64 s16, |v[0:1]|, |v[2:3]|
	s_and_saveexec_b32 s17, s16
	s_xor_b32 s16, exec_lo, s17
	s_cbranch_execz .LBB126_1340
; %bb.1339:
	v_div_scale_f64 v[15:16], null, v[2:3], v[2:3], v[0:1]
	v_div_scale_f64 v[21:22], vcc_lo, v[0:1], v[2:3], v[0:1]
	v_rcp_f64_e32 v[17:18], v[15:16]
	v_fma_f64 v[19:20], -v[15:16], v[17:18], 1.0
	v_fma_f64 v[17:18], v[17:18], v[19:20], v[17:18]
	v_fma_f64 v[19:20], -v[15:16], v[17:18], 1.0
	v_fma_f64 v[17:18], v[17:18], v[19:20], v[17:18]
	v_mul_f64 v[19:20], v[21:22], v[17:18]
	v_fma_f64 v[15:16], -v[15:16], v[19:20], v[21:22]
	v_div_fmas_f64 v[15:16], v[15:16], v[17:18], v[19:20]
	v_div_fixup_f64 v[15:16], v[15:16], v[2:3], v[0:1]
	v_fma_f64 v[0:1], v[0:1], v[15:16], v[2:3]
	v_div_scale_f64 v[2:3], null, v[0:1], v[0:1], 1.0
	v_rcp_f64_e32 v[17:18], v[2:3]
	v_fma_f64 v[19:20], -v[2:3], v[17:18], 1.0
	v_fma_f64 v[17:18], v[17:18], v[19:20], v[17:18]
	v_fma_f64 v[19:20], -v[2:3], v[17:18], 1.0
	v_fma_f64 v[17:18], v[17:18], v[19:20], v[17:18]
	v_div_scale_f64 v[19:20], vcc_lo, 1.0, v[0:1], 1.0
	v_mul_f64 v[21:22], v[19:20], v[17:18]
	v_fma_f64 v[2:3], -v[2:3], v[21:22], v[19:20]
	v_div_fmas_f64 v[2:3], v[2:3], v[17:18], v[21:22]
	v_div_fixup_f64 v[2:3], v[2:3], v[0:1], 1.0
	v_mul_f64 v[0:1], v[15:16], v[2:3]
	v_xor_b32_e32 v3, 0x80000000, v3
.LBB126_1340:
	s_andn2_saveexec_b32 s16, s16
	s_cbranch_execz .LBB126_1342
; %bb.1341:
	v_div_scale_f64 v[15:16], null, v[0:1], v[0:1], v[2:3]
	v_div_scale_f64 v[21:22], vcc_lo, v[2:3], v[0:1], v[2:3]
	v_rcp_f64_e32 v[17:18], v[15:16]
	v_fma_f64 v[19:20], -v[15:16], v[17:18], 1.0
	v_fma_f64 v[17:18], v[17:18], v[19:20], v[17:18]
	v_fma_f64 v[19:20], -v[15:16], v[17:18], 1.0
	v_fma_f64 v[17:18], v[17:18], v[19:20], v[17:18]
	v_mul_f64 v[19:20], v[21:22], v[17:18]
	v_fma_f64 v[15:16], -v[15:16], v[19:20], v[21:22]
	v_div_fmas_f64 v[15:16], v[15:16], v[17:18], v[19:20]
	v_div_fixup_f64 v[15:16], v[15:16], v[0:1], v[2:3]
	v_fma_f64 v[0:1], v[2:3], v[15:16], v[0:1]
	v_div_scale_f64 v[2:3], null, v[0:1], v[0:1], 1.0
	v_rcp_f64_e32 v[17:18], v[2:3]
	v_fma_f64 v[19:20], -v[2:3], v[17:18], 1.0
	v_fma_f64 v[17:18], v[17:18], v[19:20], v[17:18]
	v_fma_f64 v[19:20], -v[2:3], v[17:18], 1.0
	v_fma_f64 v[17:18], v[17:18], v[19:20], v[17:18]
	v_div_scale_f64 v[19:20], vcc_lo, 1.0, v[0:1], 1.0
	v_mul_f64 v[21:22], v[19:20], v[17:18]
	v_fma_f64 v[2:3], -v[2:3], v[21:22], v[19:20]
	v_div_fmas_f64 v[2:3], v[2:3], v[17:18], v[21:22]
	v_div_fixup_f64 v[0:1], v[2:3], v[0:1], 1.0
	v_mul_f64 v[2:3], v[15:16], -v[0:1]
.LBB126_1342:
	s_or_b32 exec_lo, exec_lo, s16
.LBB126_1343:
	s_or_b32 exec_lo, exec_lo, s4
	s_mov_b32 s4, exec_lo
	v_cmpx_ne_u32_e64 v5, v4
	s_xor_b32 s4, exec_lo, s4
	s_cbranch_execz .LBB126_1349
; %bb.1344:
	s_mov_b32 s16, exec_lo
	v_cmpx_eq_u32_e32 57, v5
	s_cbranch_execz .LBB126_1348
; %bb.1345:
	v_cmp_ne_u32_e32 vcc_lo, 57, v4
	s_xor_b32 s17, s20, -1
	s_and_b32 s56, s17, vcc_lo
	s_and_saveexec_b32 s17, s56
	s_cbranch_execz .LBB126_1347
; %bb.1346:
	v_ashrrev_i32_e32 v5, 31, v4
	v_lshlrev_b64 v[10:11], 2, v[4:5]
	v_add_co_u32 v10, vcc_lo, v8, v10
	v_add_co_ci_u32_e64 v11, null, v9, v11, vcc_lo
	s_clause 0x1
	global_load_dword v5, v[10:11], off
	global_load_dword v15, v[8:9], off offset:228
	s_waitcnt vmcnt(1)
	global_store_dword v[8:9], v5, off offset:228
	s_waitcnt vmcnt(0)
	global_store_dword v[10:11], v15, off
.LBB126_1347:
	s_or_b32 exec_lo, exec_lo, s17
	v_mov_b32_e32 v5, v4
	v_mov_b32_e32 v11, v4
.LBB126_1348:
	s_or_b32 exec_lo, exec_lo, s16
.LBB126_1349:
	s_andn2_saveexec_b32 s4, s4
	s_cbranch_execz .LBB126_1351
; %bb.1350:
	v_mov_b32_e32 v4, s23
	v_mov_b32_e32 v5, s22
	;; [unrolled: 1-line block ×3, first 2 shown]
	s_clause 0x7
	buffer_load_dword v15, v4, s[0:3], 0 offen
	buffer_load_dword v16, v4, s[0:3], 0 offen offset:4
	buffer_load_dword v17, v4, s[0:3], 0 offen offset:8
	;; [unrolled: 1-line block ×3, first 2 shown]
	buffer_load_dword v19, v5, s[0:3], 0 offen
	buffer_load_dword v20, v5, s[0:3], 0 offen offset:4
	buffer_load_dword v21, v5, s[0:3], 0 offen offset:8
	buffer_load_dword v22, v5, s[0:3], 0 offen offset:12
	v_mov_b32_e32 v5, s7
	v_mov_b32_e32 v4, s18
	s_clause 0x7
	buffer_load_dword v23, v10, s[0:3], 0 offen
	buffer_load_dword v24, v10, s[0:3], 0 offen offset:4
	buffer_load_dword v25, v10, s[0:3], 0 offen offset:8
	;; [unrolled: 1-line block ×3, first 2 shown]
	buffer_load_dword v27, v4, s[0:3], 0 offen
	buffer_load_dword v28, v4, s[0:3], 0 offen offset:4
	buffer_load_dword v29, v4, s[0:3], 0 offen offset:8
	;; [unrolled: 1-line block ×3, first 2 shown]
	v_mov_b32_e32 v4, s5
	s_clause 0x7
	buffer_load_dword v31, v5, s[0:3], 0 offen
	buffer_load_dword v32, v5, s[0:3], 0 offen offset:4
	buffer_load_dword v33, v5, s[0:3], 0 offen offset:8
	;; [unrolled: 1-line block ×3, first 2 shown]
	buffer_load_dword v35, v4, s[0:3], 0 offen
	buffer_load_dword v36, v4, s[0:3], 0 offen offset:4
	buffer_load_dword v37, v4, s[0:3], 0 offen offset:8
	;; [unrolled: 1-line block ×3, first 2 shown]
	v_mov_b32_e32 v5, 57
	s_waitcnt vmcnt(20)
	ds_write2_b64 v12, v[15:16], v[17:18] offset0:116 offset1:117
	s_waitcnt vmcnt(16)
	ds_write2_b64 v12, v[19:20], v[21:22] offset0:118 offset1:119
	;; [unrolled: 2-line block ×6, first 2 shown]
.LBB126_1351:
	s_or_b32 exec_lo, exec_lo, s4
	s_mov_b32 s4, exec_lo
	s_waitcnt lgkmcnt(0)
	s_waitcnt_vscnt null, 0x0
	s_barrier
	buffer_gl0_inv
	v_cmpx_lt_i32_e32 57, v5
	s_cbranch_execz .LBB126_1353
; %bb.1352:
	s_clause 0x1b
	buffer_load_dword v15, off, s[0:3], 0 offset:920
	buffer_load_dword v16, off, s[0:3], 0 offset:924
	;; [unrolled: 1-line block ×28, first 2 shown]
	s_waitcnt vmcnt(26)
	v_mul_f64 v[17:18], v[0:1], v[15:16]
	v_mul_f64 v[65:66], v[2:3], v[15:16]
	s_waitcnt vmcnt(24)
	v_fma_f64 v[2:3], v[2:3], v[39:40], v[17:18]
	ds_read2_b64 v[15:18], v12 offset0:116 offset1:117
	ds_read2_b64 v[19:22], v12 offset0:118 offset1:119
	;; [unrolled: 1-line block ×6, first 2 shown]
	v_fma_f64 v[0:1], v[0:1], v[39:40], -v[65:66]
	s_waitcnt lgkmcnt(5)
	v_mul_f64 v[39:40], v[17:18], v[2:3]
	v_mul_f64 v[65:66], v[15:16], v[2:3]
	s_waitcnt lgkmcnt(4)
	v_mul_f64 v[67:68], v[21:22], v[2:3]
	v_mul_f64 v[69:70], v[19:20], v[2:3]
	;; [unrolled: 3-line block ×6, first 2 shown]
	buffer_store_dword v0, off, s[0:3], 0 offset:912
	buffer_store_dword v1, off, s[0:3], 0 offset:916
	;; [unrolled: 1-line block ×4, first 2 shown]
	v_fma_f64 v[15:16], v[15:16], v[0:1], -v[39:40]
	v_fma_f64 v[17:18], v[17:18], v[0:1], v[65:66]
	v_fma_f64 v[19:20], v[19:20], v[0:1], -v[67:68]
	v_fma_f64 v[21:22], v[21:22], v[0:1], v[69:70]
	;; [unrolled: 2-line block ×6, first 2 shown]
	s_waitcnt vmcnt(22)
	v_add_f64 v[15:16], v[41:42], -v[15:16]
	s_waitcnt vmcnt(20)
	v_add_f64 v[17:18], v[43:44], -v[17:18]
	;; [unrolled: 2-line block ×12, first 2 shown]
	buffer_store_dword v15, off, s[0:3], 0 offset:928
	buffer_store_dword v16, off, s[0:3], 0 offset:932
	;; [unrolled: 1-line block ×24, first 2 shown]
.LBB126_1353:
	s_or_b32 exec_lo, exec_lo, s4
	v_mov_b32_e32 v3, s23
	s_waitcnt_vscnt null, 0x0
	s_barrier
	buffer_gl0_inv
	v_lshl_add_u32 v4, v5, 4, v12
	s_clause 0x3
	buffer_load_dword v0, v3, s[0:3], 0 offen
	buffer_load_dword v1, v3, s[0:3], 0 offen offset:4
	buffer_load_dword v2, v3, s[0:3], 0 offen offset:8
	buffer_load_dword v3, v3, s[0:3], 0 offen offset:12
	s_cmp_lt_i32 s57, 60
	s_waitcnt vmcnt(0)
	ds_write2_b64 v4, v[0:1], v[2:3] offset1:1
	s_waitcnt lgkmcnt(0)
	s_barrier
	buffer_gl0_inv
	ds_read2_b64 v[0:3], v12 offset0:116 offset1:117
	v_mov_b32_e32 v4, 58
	s_cbranch_scc1 .LBB126_1356
; %bb.1354:
	v_add3_u32 v10, v14, 0, 0x3b0
	v_mov_b32_e32 v4, 58
	s_mov_b32 s16, 59
	s_inst_prefetch 0x1
	.p2align	6
.LBB126_1355:                           ; =>This Inner Loop Header: Depth=1
	s_waitcnt lgkmcnt(0)
	v_cmp_gt_f64_e32 vcc_lo, 0, v[2:3]
	v_cmp_gt_f64_e64 s4, 0, v[0:1]
	ds_read2_b64 v[15:18], v10 offset1:1
	v_xor_b32_e32 v20, 0x80000000, v1
	v_xor_b32_e32 v22, 0x80000000, v3
	v_mov_b32_e32 v19, v0
	v_mov_b32_e32 v21, v2
	v_add_nc_u32_e32 v10, 16, v10
	s_waitcnt lgkmcnt(0)
	v_xor_b32_e32 v24, 0x80000000, v18
	v_cndmask_b32_e64 v20, v1, v20, s4
	v_cndmask_b32_e32 v22, v3, v22, vcc_lo
	v_cmp_gt_f64_e32 vcc_lo, 0, v[17:18]
	v_cmp_gt_f64_e64 s4, 0, v[15:16]
	v_mov_b32_e32 v23, v17
	v_add_f64 v[19:20], v[19:20], v[21:22]
	v_xor_b32_e32 v22, 0x80000000, v16
	v_mov_b32_e32 v21, v15
	v_cndmask_b32_e32 v24, v18, v24, vcc_lo
	v_cndmask_b32_e64 v22, v16, v22, s4
	v_add_f64 v[21:22], v[21:22], v[23:24]
	v_cmp_lt_f64_e32 vcc_lo, v[19:20], v[21:22]
	v_cndmask_b32_e32 v1, v1, v16, vcc_lo
	v_cndmask_b32_e32 v0, v0, v15, vcc_lo
	;; [unrolled: 1-line block ×4, first 2 shown]
	v_cndmask_b32_e64 v4, v4, s16, vcc_lo
	s_add_i32 s16, s16, 1
	s_cmp_lg_u32 s57, s16
	s_cbranch_scc1 .LBB126_1355
.LBB126_1356:
	s_inst_prefetch 0x2
	s_waitcnt lgkmcnt(0)
	v_cmp_eq_f64_e32 vcc_lo, 0, v[0:1]
	v_cmp_eq_f64_e64 s4, 0, v[2:3]
	s_and_b32 s4, vcc_lo, s4
	s_and_saveexec_b32 s16, s4
	s_xor_b32 s4, exec_lo, s16
; %bb.1357:
	v_cmp_ne_u32_e32 vcc_lo, 0, v13
	v_cndmask_b32_e32 v13, 59, v13, vcc_lo
; %bb.1358:
	s_andn2_saveexec_b32 s4, s4
	s_cbranch_execz .LBB126_1364
; %bb.1359:
	v_cmp_ngt_f64_e64 s16, |v[0:1]|, |v[2:3]|
	s_and_saveexec_b32 s17, s16
	s_xor_b32 s16, exec_lo, s17
	s_cbranch_execz .LBB126_1361
; %bb.1360:
	v_div_scale_f64 v[15:16], null, v[2:3], v[2:3], v[0:1]
	v_div_scale_f64 v[21:22], vcc_lo, v[0:1], v[2:3], v[0:1]
	v_rcp_f64_e32 v[17:18], v[15:16]
	v_fma_f64 v[19:20], -v[15:16], v[17:18], 1.0
	v_fma_f64 v[17:18], v[17:18], v[19:20], v[17:18]
	v_fma_f64 v[19:20], -v[15:16], v[17:18], 1.0
	v_fma_f64 v[17:18], v[17:18], v[19:20], v[17:18]
	v_mul_f64 v[19:20], v[21:22], v[17:18]
	v_fma_f64 v[15:16], -v[15:16], v[19:20], v[21:22]
	v_div_fmas_f64 v[15:16], v[15:16], v[17:18], v[19:20]
	v_div_fixup_f64 v[15:16], v[15:16], v[2:3], v[0:1]
	v_fma_f64 v[0:1], v[0:1], v[15:16], v[2:3]
	v_div_scale_f64 v[2:3], null, v[0:1], v[0:1], 1.0
	v_rcp_f64_e32 v[17:18], v[2:3]
	v_fma_f64 v[19:20], -v[2:3], v[17:18], 1.0
	v_fma_f64 v[17:18], v[17:18], v[19:20], v[17:18]
	v_fma_f64 v[19:20], -v[2:3], v[17:18], 1.0
	v_fma_f64 v[17:18], v[17:18], v[19:20], v[17:18]
	v_div_scale_f64 v[19:20], vcc_lo, 1.0, v[0:1], 1.0
	v_mul_f64 v[21:22], v[19:20], v[17:18]
	v_fma_f64 v[2:3], -v[2:3], v[21:22], v[19:20]
	v_div_fmas_f64 v[2:3], v[2:3], v[17:18], v[21:22]
	v_div_fixup_f64 v[2:3], v[2:3], v[0:1], 1.0
	v_mul_f64 v[0:1], v[15:16], v[2:3]
	v_xor_b32_e32 v3, 0x80000000, v3
.LBB126_1361:
	s_andn2_saveexec_b32 s16, s16
	s_cbranch_execz .LBB126_1363
; %bb.1362:
	v_div_scale_f64 v[15:16], null, v[0:1], v[0:1], v[2:3]
	v_div_scale_f64 v[21:22], vcc_lo, v[2:3], v[0:1], v[2:3]
	v_rcp_f64_e32 v[17:18], v[15:16]
	v_fma_f64 v[19:20], -v[15:16], v[17:18], 1.0
	v_fma_f64 v[17:18], v[17:18], v[19:20], v[17:18]
	v_fma_f64 v[19:20], -v[15:16], v[17:18], 1.0
	v_fma_f64 v[17:18], v[17:18], v[19:20], v[17:18]
	v_mul_f64 v[19:20], v[21:22], v[17:18]
	v_fma_f64 v[15:16], -v[15:16], v[19:20], v[21:22]
	v_div_fmas_f64 v[15:16], v[15:16], v[17:18], v[19:20]
	v_div_fixup_f64 v[15:16], v[15:16], v[0:1], v[2:3]
	v_fma_f64 v[0:1], v[2:3], v[15:16], v[0:1]
	v_div_scale_f64 v[2:3], null, v[0:1], v[0:1], 1.0
	v_rcp_f64_e32 v[17:18], v[2:3]
	v_fma_f64 v[19:20], -v[2:3], v[17:18], 1.0
	v_fma_f64 v[17:18], v[17:18], v[19:20], v[17:18]
	v_fma_f64 v[19:20], -v[2:3], v[17:18], 1.0
	v_fma_f64 v[17:18], v[17:18], v[19:20], v[17:18]
	v_div_scale_f64 v[19:20], vcc_lo, 1.0, v[0:1], 1.0
	v_mul_f64 v[21:22], v[19:20], v[17:18]
	v_fma_f64 v[2:3], -v[2:3], v[21:22], v[19:20]
	v_div_fmas_f64 v[2:3], v[2:3], v[17:18], v[21:22]
	v_div_fixup_f64 v[0:1], v[2:3], v[0:1], 1.0
	v_mul_f64 v[2:3], v[15:16], -v[0:1]
.LBB126_1363:
	s_or_b32 exec_lo, exec_lo, s16
.LBB126_1364:
	s_or_b32 exec_lo, exec_lo, s4
	s_mov_b32 s4, exec_lo
	v_cmpx_ne_u32_e64 v5, v4
	s_xor_b32 s4, exec_lo, s4
	s_cbranch_execz .LBB126_1370
; %bb.1365:
	s_mov_b32 s16, exec_lo
	v_cmpx_eq_u32_e32 58, v5
	s_cbranch_execz .LBB126_1369
; %bb.1366:
	v_cmp_ne_u32_e32 vcc_lo, 58, v4
	s_xor_b32 s17, s20, -1
	s_and_b32 s56, s17, vcc_lo
	s_and_saveexec_b32 s17, s56
	s_cbranch_execz .LBB126_1368
; %bb.1367:
	v_ashrrev_i32_e32 v5, 31, v4
	v_lshlrev_b64 v[10:11], 2, v[4:5]
	v_add_co_u32 v10, vcc_lo, v8, v10
	v_add_co_ci_u32_e64 v11, null, v9, v11, vcc_lo
	s_clause 0x1
	global_load_dword v5, v[10:11], off
	global_load_dword v15, v[8:9], off offset:232
	s_waitcnt vmcnt(1)
	global_store_dword v[8:9], v5, off offset:232
	s_waitcnt vmcnt(0)
	global_store_dword v[10:11], v15, off
.LBB126_1368:
	s_or_b32 exec_lo, exec_lo, s17
	v_mov_b32_e32 v5, v4
	v_mov_b32_e32 v11, v4
.LBB126_1369:
	s_or_b32 exec_lo, exec_lo, s16
.LBB126_1370:
	s_andn2_saveexec_b32 s4, s4
	s_cbranch_execz .LBB126_1372
; %bb.1371:
	v_mov_b32_e32 v4, s22
	v_mov_b32_e32 v10, s18
	;; [unrolled: 1-line block ×3, first 2 shown]
	s_clause 0x7
	buffer_load_dword v15, v4, s[0:3], 0 offen
	buffer_load_dword v16, v4, s[0:3], 0 offen offset:4
	buffer_load_dword v17, v4, s[0:3], 0 offen offset:8
	;; [unrolled: 1-line block ×3, first 2 shown]
	buffer_load_dword v19, v5, s[0:3], 0 offen
	buffer_load_dword v20, v5, s[0:3], 0 offen offset:4
	buffer_load_dword v21, v5, s[0:3], 0 offen offset:8
	;; [unrolled: 1-line block ×3, first 2 shown]
	v_mov_b32_e32 v4, s7
	v_mov_b32_e32 v5, s5
	s_clause 0xb
	buffer_load_dword v23, v10, s[0:3], 0 offen
	buffer_load_dword v24, v10, s[0:3], 0 offen offset:4
	buffer_load_dword v25, v10, s[0:3], 0 offen offset:8
	buffer_load_dword v26, v10, s[0:3], 0 offen offset:12
	buffer_load_dword v27, v4, s[0:3], 0 offen
	buffer_load_dword v28, v4, s[0:3], 0 offen offset:4
	buffer_load_dword v29, v4, s[0:3], 0 offen offset:8
	buffer_load_dword v30, v4, s[0:3], 0 offen offset:12
	;; [unrolled: 4-line block ×3, first 2 shown]
	v_mov_b32_e32 v5, 58
	s_waitcnt vmcnt(16)
	ds_write2_b64 v12, v[15:16], v[17:18] offset0:118 offset1:119
	s_waitcnt vmcnt(12)
	ds_write2_b64 v12, v[19:20], v[21:22] offset0:120 offset1:121
	;; [unrolled: 2-line block ×5, first 2 shown]
.LBB126_1372:
	s_or_b32 exec_lo, exec_lo, s4
	s_mov_b32 s4, exec_lo
	s_waitcnt lgkmcnt(0)
	s_waitcnt_vscnt null, 0x0
	s_barrier
	buffer_gl0_inv
	v_cmpx_lt_i32_e32 58, v5
	s_cbranch_execz .LBB126_1374
; %bb.1373:
	s_clause 0x17
	buffer_load_dword v15, off, s[0:3], 0 offset:936
	buffer_load_dword v16, off, s[0:3], 0 offset:940
	;; [unrolled: 1-line block ×24, first 2 shown]
	s_waitcnt vmcnt(22)
	v_mul_f64 v[17:18], v[0:1], v[15:16]
	v_mul_f64 v[57:58], v[2:3], v[15:16]
	s_waitcnt vmcnt(20)
	v_fma_f64 v[2:3], v[2:3], v[35:36], v[17:18]
	ds_read2_b64 v[15:18], v12 offset0:118 offset1:119
	ds_read2_b64 v[19:22], v12 offset0:120 offset1:121
	;; [unrolled: 1-line block ×5, first 2 shown]
	v_fma_f64 v[0:1], v[0:1], v[35:36], -v[57:58]
	s_waitcnt lgkmcnt(4)
	v_mul_f64 v[35:36], v[17:18], v[2:3]
	v_mul_f64 v[57:58], v[15:16], v[2:3]
	s_waitcnt lgkmcnt(3)
	v_mul_f64 v[59:60], v[21:22], v[2:3]
	v_mul_f64 v[61:62], v[19:20], v[2:3]
	;; [unrolled: 3-line block ×5, first 2 shown]
	buffer_store_dword v0, off, s[0:3], 0 offset:928
	v_fma_f64 v[15:16], v[15:16], v[0:1], -v[35:36]
	v_fma_f64 v[17:18], v[17:18], v[0:1], v[57:58]
	v_fma_f64 v[19:20], v[19:20], v[0:1], -v[59:60]
	v_fma_f64 v[21:22], v[21:22], v[0:1], v[61:62]
	;; [unrolled: 2-line block ×5, first 2 shown]
	s_waitcnt vmcnt(18)
	v_add_f64 v[15:16], v[37:38], -v[15:16]
	s_waitcnt vmcnt(16)
	v_add_f64 v[17:18], v[39:40], -v[17:18]
	;; [unrolled: 2-line block ×10, first 2 shown]
	buffer_store_dword v1, off, s[0:3], 0 offset:932
	buffer_store_dword v2, off, s[0:3], 0 offset:936
	buffer_store_dword v3, off, s[0:3], 0 offset:940
	buffer_store_dword v15, off, s[0:3], 0 offset:944
	buffer_store_dword v16, off, s[0:3], 0 offset:948
	buffer_store_dword v17, off, s[0:3], 0 offset:952
	buffer_store_dword v18, off, s[0:3], 0 offset:956
	buffer_store_dword v19, off, s[0:3], 0 offset:960
	buffer_store_dword v20, off, s[0:3], 0 offset:964
	buffer_store_dword v21, off, s[0:3], 0 offset:968
	buffer_store_dword v22, off, s[0:3], 0 offset:972
	buffer_store_dword v24, off, s[0:3], 0 offset:980
	buffer_store_dword v23, off, s[0:3], 0 offset:976
	buffer_store_dword v25, off, s[0:3], 0 offset:984
	buffer_store_dword v26, off, s[0:3], 0 offset:988
	buffer_store_dword v28, off, s[0:3], 0 offset:996
	buffer_store_dword v27, off, s[0:3], 0 offset:992
	buffer_store_dword v30, off, s[0:3], 0 offset:1004
	buffer_store_dword v29, off, s[0:3], 0 offset:1000
	buffer_store_dword v32, off, s[0:3], 0 offset:1012
	buffer_store_dword v31, off, s[0:3], 0 offset:1008
	buffer_store_dword v34, off, s[0:3], 0 offset:1020
	buffer_store_dword v33, off, s[0:3], 0 offset:1016
.LBB126_1374:
	s_or_b32 exec_lo, exec_lo, s4
	v_mov_b32_e32 v3, s22
	s_waitcnt_vscnt null, 0x0
	s_barrier
	buffer_gl0_inv
	v_lshl_add_u32 v4, v5, 4, v12
	s_clause 0x3
	buffer_load_dword v0, v3, s[0:3], 0 offen
	buffer_load_dword v1, v3, s[0:3], 0 offen offset:4
	buffer_load_dword v2, v3, s[0:3], 0 offen offset:8
	;; [unrolled: 1-line block ×3, first 2 shown]
	s_cmp_lt_i32 s57, 61
	s_waitcnt vmcnt(0)
	ds_write2_b64 v4, v[0:1], v[2:3] offset1:1
	s_waitcnt lgkmcnt(0)
	s_barrier
	buffer_gl0_inv
	ds_read2_b64 v[0:3], v12 offset0:118 offset1:119
	v_mov_b32_e32 v4, 59
	s_cbranch_scc1 .LBB126_1377
; %bb.1375:
	v_add3_u32 v10, v14, 0, 0x3c0
	v_mov_b32_e32 v4, 59
	s_mov_b32 s16, 60
	s_inst_prefetch 0x1
	.p2align	6
.LBB126_1376:                           ; =>This Inner Loop Header: Depth=1
	s_waitcnt lgkmcnt(0)
	v_cmp_gt_f64_e32 vcc_lo, 0, v[2:3]
	v_cmp_gt_f64_e64 s4, 0, v[0:1]
	ds_read2_b64 v[15:18], v10 offset1:1
	v_xor_b32_e32 v20, 0x80000000, v1
	v_xor_b32_e32 v22, 0x80000000, v3
	v_mov_b32_e32 v19, v0
	v_mov_b32_e32 v21, v2
	v_add_nc_u32_e32 v10, 16, v10
	s_waitcnt lgkmcnt(0)
	v_xor_b32_e32 v24, 0x80000000, v18
	v_cndmask_b32_e64 v20, v1, v20, s4
	v_cndmask_b32_e32 v22, v3, v22, vcc_lo
	v_cmp_gt_f64_e32 vcc_lo, 0, v[17:18]
	v_cmp_gt_f64_e64 s4, 0, v[15:16]
	v_mov_b32_e32 v23, v17
	v_add_f64 v[19:20], v[19:20], v[21:22]
	v_xor_b32_e32 v22, 0x80000000, v16
	v_mov_b32_e32 v21, v15
	v_cndmask_b32_e32 v24, v18, v24, vcc_lo
	v_cndmask_b32_e64 v22, v16, v22, s4
	v_add_f64 v[21:22], v[21:22], v[23:24]
	v_cmp_lt_f64_e32 vcc_lo, v[19:20], v[21:22]
	v_cndmask_b32_e32 v1, v1, v16, vcc_lo
	v_cndmask_b32_e32 v0, v0, v15, vcc_lo
	;; [unrolled: 1-line block ×4, first 2 shown]
	v_cndmask_b32_e64 v4, v4, s16, vcc_lo
	s_add_i32 s16, s16, 1
	s_cmp_lg_u32 s57, s16
	s_cbranch_scc1 .LBB126_1376
.LBB126_1377:
	s_inst_prefetch 0x2
	s_waitcnt lgkmcnt(0)
	v_cmp_eq_f64_e32 vcc_lo, 0, v[0:1]
	v_cmp_eq_f64_e64 s4, 0, v[2:3]
	s_and_b32 s4, vcc_lo, s4
	s_and_saveexec_b32 s16, s4
	s_xor_b32 s4, exec_lo, s16
; %bb.1378:
	v_cmp_ne_u32_e32 vcc_lo, 0, v13
	v_cndmask_b32_e32 v13, 60, v13, vcc_lo
; %bb.1379:
	s_andn2_saveexec_b32 s4, s4
	s_cbranch_execz .LBB126_1385
; %bb.1380:
	v_cmp_ngt_f64_e64 s16, |v[0:1]|, |v[2:3]|
	s_and_saveexec_b32 s17, s16
	s_xor_b32 s16, exec_lo, s17
	s_cbranch_execz .LBB126_1382
; %bb.1381:
	v_div_scale_f64 v[15:16], null, v[2:3], v[2:3], v[0:1]
	v_div_scale_f64 v[21:22], vcc_lo, v[0:1], v[2:3], v[0:1]
	v_rcp_f64_e32 v[17:18], v[15:16]
	v_fma_f64 v[19:20], -v[15:16], v[17:18], 1.0
	v_fma_f64 v[17:18], v[17:18], v[19:20], v[17:18]
	v_fma_f64 v[19:20], -v[15:16], v[17:18], 1.0
	v_fma_f64 v[17:18], v[17:18], v[19:20], v[17:18]
	v_mul_f64 v[19:20], v[21:22], v[17:18]
	v_fma_f64 v[15:16], -v[15:16], v[19:20], v[21:22]
	v_div_fmas_f64 v[15:16], v[15:16], v[17:18], v[19:20]
	v_div_fixup_f64 v[15:16], v[15:16], v[2:3], v[0:1]
	v_fma_f64 v[0:1], v[0:1], v[15:16], v[2:3]
	v_div_scale_f64 v[2:3], null, v[0:1], v[0:1], 1.0
	v_rcp_f64_e32 v[17:18], v[2:3]
	v_fma_f64 v[19:20], -v[2:3], v[17:18], 1.0
	v_fma_f64 v[17:18], v[17:18], v[19:20], v[17:18]
	v_fma_f64 v[19:20], -v[2:3], v[17:18], 1.0
	v_fma_f64 v[17:18], v[17:18], v[19:20], v[17:18]
	v_div_scale_f64 v[19:20], vcc_lo, 1.0, v[0:1], 1.0
	v_mul_f64 v[21:22], v[19:20], v[17:18]
	v_fma_f64 v[2:3], -v[2:3], v[21:22], v[19:20]
	v_div_fmas_f64 v[2:3], v[2:3], v[17:18], v[21:22]
	v_div_fixup_f64 v[2:3], v[2:3], v[0:1], 1.0
	v_mul_f64 v[0:1], v[15:16], v[2:3]
	v_xor_b32_e32 v3, 0x80000000, v3
.LBB126_1382:
	s_andn2_saveexec_b32 s16, s16
	s_cbranch_execz .LBB126_1384
; %bb.1383:
	v_div_scale_f64 v[15:16], null, v[0:1], v[0:1], v[2:3]
	v_div_scale_f64 v[21:22], vcc_lo, v[2:3], v[0:1], v[2:3]
	v_rcp_f64_e32 v[17:18], v[15:16]
	v_fma_f64 v[19:20], -v[15:16], v[17:18], 1.0
	v_fma_f64 v[17:18], v[17:18], v[19:20], v[17:18]
	v_fma_f64 v[19:20], -v[15:16], v[17:18], 1.0
	v_fma_f64 v[17:18], v[17:18], v[19:20], v[17:18]
	v_mul_f64 v[19:20], v[21:22], v[17:18]
	v_fma_f64 v[15:16], -v[15:16], v[19:20], v[21:22]
	v_div_fmas_f64 v[15:16], v[15:16], v[17:18], v[19:20]
	v_div_fixup_f64 v[15:16], v[15:16], v[0:1], v[2:3]
	v_fma_f64 v[0:1], v[2:3], v[15:16], v[0:1]
	v_div_scale_f64 v[2:3], null, v[0:1], v[0:1], 1.0
	v_rcp_f64_e32 v[17:18], v[2:3]
	v_fma_f64 v[19:20], -v[2:3], v[17:18], 1.0
	v_fma_f64 v[17:18], v[17:18], v[19:20], v[17:18]
	v_fma_f64 v[19:20], -v[2:3], v[17:18], 1.0
	v_fma_f64 v[17:18], v[17:18], v[19:20], v[17:18]
	v_div_scale_f64 v[19:20], vcc_lo, 1.0, v[0:1], 1.0
	v_mul_f64 v[21:22], v[19:20], v[17:18]
	v_fma_f64 v[2:3], -v[2:3], v[21:22], v[19:20]
	v_div_fmas_f64 v[2:3], v[2:3], v[17:18], v[21:22]
	v_div_fixup_f64 v[0:1], v[2:3], v[0:1], 1.0
	v_mul_f64 v[2:3], v[15:16], -v[0:1]
.LBB126_1384:
	s_or_b32 exec_lo, exec_lo, s16
.LBB126_1385:
	s_or_b32 exec_lo, exec_lo, s4
	s_mov_b32 s4, exec_lo
	v_cmpx_ne_u32_e64 v5, v4
	s_xor_b32 s4, exec_lo, s4
	s_cbranch_execz .LBB126_1391
; %bb.1386:
	s_mov_b32 s16, exec_lo
	v_cmpx_eq_u32_e32 59, v5
	s_cbranch_execz .LBB126_1390
; %bb.1387:
	v_cmp_ne_u32_e32 vcc_lo, 59, v4
	s_xor_b32 s17, s20, -1
	s_and_b32 s56, s17, vcc_lo
	s_and_saveexec_b32 s17, s56
	s_cbranch_execz .LBB126_1389
; %bb.1388:
	v_ashrrev_i32_e32 v5, 31, v4
	v_lshlrev_b64 v[10:11], 2, v[4:5]
	v_add_co_u32 v10, vcc_lo, v8, v10
	v_add_co_ci_u32_e64 v11, null, v9, v11, vcc_lo
	s_clause 0x1
	global_load_dword v5, v[10:11], off
	global_load_dword v15, v[8:9], off offset:236
	s_waitcnt vmcnt(1)
	global_store_dword v[8:9], v5, off offset:236
	s_waitcnt vmcnt(0)
	global_store_dword v[10:11], v15, off
.LBB126_1389:
	s_or_b32 exec_lo, exec_lo, s17
	v_mov_b32_e32 v5, v4
	v_mov_b32_e32 v11, v4
.LBB126_1390:
	s_or_b32 exec_lo, exec_lo, s16
.LBB126_1391:
	s_andn2_saveexec_b32 s4, s4
	s_cbranch_execz .LBB126_1393
; %bb.1392:
	v_mov_b32_e32 v4, s19
	v_mov_b32_e32 v10, s7
	;; [unrolled: 1-line block ×3, first 2 shown]
	s_clause 0x7
	buffer_load_dword v15, v4, s[0:3], 0 offen
	buffer_load_dword v16, v4, s[0:3], 0 offen offset:4
	buffer_load_dword v17, v4, s[0:3], 0 offen offset:8
	;; [unrolled: 1-line block ×3, first 2 shown]
	buffer_load_dword v19, v5, s[0:3], 0 offen
	buffer_load_dword v20, v5, s[0:3], 0 offen offset:4
	buffer_load_dword v21, v5, s[0:3], 0 offen offset:8
	;; [unrolled: 1-line block ×3, first 2 shown]
	v_mov_b32_e32 v4, s5
	s_clause 0x7
	buffer_load_dword v23, v10, s[0:3], 0 offen
	buffer_load_dword v24, v10, s[0:3], 0 offen offset:4
	buffer_load_dword v25, v10, s[0:3], 0 offen offset:8
	buffer_load_dword v26, v10, s[0:3], 0 offen offset:12
	buffer_load_dword v27, v4, s[0:3], 0 offen
	buffer_load_dword v28, v4, s[0:3], 0 offen offset:4
	buffer_load_dword v29, v4, s[0:3], 0 offen offset:8
	;; [unrolled: 1-line block ×3, first 2 shown]
	v_mov_b32_e32 v5, 59
	s_waitcnt vmcnt(12)
	ds_write2_b64 v12, v[15:16], v[17:18] offset0:120 offset1:121
	s_waitcnt vmcnt(8)
	ds_write2_b64 v12, v[19:20], v[21:22] offset0:122 offset1:123
	;; [unrolled: 2-line block ×4, first 2 shown]
.LBB126_1393:
	s_or_b32 exec_lo, exec_lo, s4
	s_mov_b32 s4, exec_lo
	s_waitcnt lgkmcnt(0)
	s_waitcnt_vscnt null, 0x0
	s_barrier
	buffer_gl0_inv
	v_cmpx_lt_i32_e32 59, v5
	s_cbranch_execz .LBB126_1395
; %bb.1394:
	s_clause 0x13
	buffer_load_dword v15, off, s[0:3], 0 offset:952
	buffer_load_dword v16, off, s[0:3], 0 offset:956
	;; [unrolled: 1-line block ×20, first 2 shown]
	s_waitcnt vmcnt(18)
	v_mul_f64 v[17:18], v[0:1], v[15:16]
	v_mul_f64 v[49:50], v[2:3], v[15:16]
	s_waitcnt vmcnt(16)
	v_fma_f64 v[2:3], v[2:3], v[31:32], v[17:18]
	ds_read2_b64 v[15:18], v12 offset0:120 offset1:121
	ds_read2_b64 v[19:22], v12 offset0:122 offset1:123
	;; [unrolled: 1-line block ×4, first 2 shown]
	v_fma_f64 v[0:1], v[0:1], v[31:32], -v[49:50]
	s_waitcnt lgkmcnt(3)
	v_mul_f64 v[31:32], v[17:18], v[2:3]
	v_mul_f64 v[49:50], v[15:16], v[2:3]
	s_waitcnt lgkmcnt(2)
	v_mul_f64 v[51:52], v[21:22], v[2:3]
	v_mul_f64 v[53:54], v[19:20], v[2:3]
	;; [unrolled: 3-line block ×4, first 2 shown]
	v_fma_f64 v[15:16], v[15:16], v[0:1], -v[31:32]
	v_fma_f64 v[17:18], v[17:18], v[0:1], v[49:50]
	v_fma_f64 v[19:20], v[19:20], v[0:1], -v[51:52]
	v_fma_f64 v[21:22], v[21:22], v[0:1], v[53:54]
	;; [unrolled: 2-line block ×4, first 2 shown]
	s_waitcnt vmcnt(14)
	v_add_f64 v[15:16], v[33:34], -v[15:16]
	s_waitcnt vmcnt(12)
	v_add_f64 v[17:18], v[35:36], -v[17:18]
	s_waitcnt vmcnt(10)
	v_add_f64 v[19:20], v[37:38], -v[19:20]
	s_waitcnt vmcnt(8)
	v_add_f64 v[21:22], v[39:40], -v[21:22]
	s_waitcnt vmcnt(6)
	v_add_f64 v[23:24], v[41:42], -v[23:24]
	s_waitcnt vmcnt(4)
	v_add_f64 v[25:26], v[43:44], -v[25:26]
	s_waitcnt vmcnt(2)
	v_add_f64 v[27:28], v[45:46], -v[27:28]
	s_waitcnt vmcnt(0)
	v_add_f64 v[29:30], v[47:48], -v[29:30]
	buffer_store_dword v0, off, s[0:3], 0 offset:944
	buffer_store_dword v1, off, s[0:3], 0 offset:948
	;; [unrolled: 1-line block ×20, first 2 shown]
.LBB126_1395:
	s_or_b32 exec_lo, exec_lo, s4
	v_mov_b32_e32 v3, s19
	s_waitcnt_vscnt null, 0x0
	s_barrier
	buffer_gl0_inv
	v_lshl_add_u32 v4, v5, 4, v12
	s_clause 0x3
	buffer_load_dword v0, v3, s[0:3], 0 offen
	buffer_load_dword v1, v3, s[0:3], 0 offen offset:4
	buffer_load_dword v2, v3, s[0:3], 0 offen offset:8
	;; [unrolled: 1-line block ×3, first 2 shown]
	s_cmp_lt_i32 s57, 62
	s_waitcnt vmcnt(0)
	ds_write2_b64 v4, v[0:1], v[2:3] offset1:1
	s_waitcnt lgkmcnt(0)
	s_barrier
	buffer_gl0_inv
	ds_read2_b64 v[0:3], v12 offset0:120 offset1:121
	v_mov_b32_e32 v4, 60
	s_cbranch_scc1 .LBB126_1398
; %bb.1396:
	v_add3_u32 v10, v14, 0, 0x3d0
	v_mov_b32_e32 v4, 60
	s_mov_b32 s16, 61
	s_inst_prefetch 0x1
	.p2align	6
.LBB126_1397:                           ; =>This Inner Loop Header: Depth=1
	s_waitcnt lgkmcnt(0)
	v_cmp_gt_f64_e32 vcc_lo, 0, v[2:3]
	v_cmp_gt_f64_e64 s4, 0, v[0:1]
	ds_read2_b64 v[15:18], v10 offset1:1
	v_xor_b32_e32 v20, 0x80000000, v1
	v_xor_b32_e32 v22, 0x80000000, v3
	v_mov_b32_e32 v19, v0
	v_mov_b32_e32 v21, v2
	v_add_nc_u32_e32 v10, 16, v10
	s_waitcnt lgkmcnt(0)
	v_xor_b32_e32 v24, 0x80000000, v18
	v_cndmask_b32_e64 v20, v1, v20, s4
	v_cndmask_b32_e32 v22, v3, v22, vcc_lo
	v_cmp_gt_f64_e32 vcc_lo, 0, v[17:18]
	v_cmp_gt_f64_e64 s4, 0, v[15:16]
	v_mov_b32_e32 v23, v17
	v_add_f64 v[19:20], v[19:20], v[21:22]
	v_xor_b32_e32 v22, 0x80000000, v16
	v_mov_b32_e32 v21, v15
	v_cndmask_b32_e32 v24, v18, v24, vcc_lo
	v_cndmask_b32_e64 v22, v16, v22, s4
	v_add_f64 v[21:22], v[21:22], v[23:24]
	v_cmp_lt_f64_e32 vcc_lo, v[19:20], v[21:22]
	v_cndmask_b32_e32 v1, v1, v16, vcc_lo
	v_cndmask_b32_e32 v0, v0, v15, vcc_lo
	v_cndmask_b32_e32 v3, v3, v18, vcc_lo
	v_cndmask_b32_e32 v2, v2, v17, vcc_lo
	v_cndmask_b32_e64 v4, v4, s16, vcc_lo
	s_add_i32 s16, s16, 1
	s_cmp_lg_u32 s57, s16
	s_cbranch_scc1 .LBB126_1397
.LBB126_1398:
	s_inst_prefetch 0x2
	s_waitcnt lgkmcnt(0)
	v_cmp_eq_f64_e32 vcc_lo, 0, v[0:1]
	v_cmp_eq_f64_e64 s4, 0, v[2:3]
	s_and_b32 s4, vcc_lo, s4
	s_and_saveexec_b32 s16, s4
	s_xor_b32 s4, exec_lo, s16
; %bb.1399:
	v_cmp_ne_u32_e32 vcc_lo, 0, v13
	v_cndmask_b32_e32 v13, 61, v13, vcc_lo
; %bb.1400:
	s_andn2_saveexec_b32 s4, s4
	s_cbranch_execz .LBB126_1406
; %bb.1401:
	v_cmp_ngt_f64_e64 s16, |v[0:1]|, |v[2:3]|
	s_and_saveexec_b32 s17, s16
	s_xor_b32 s16, exec_lo, s17
	s_cbranch_execz .LBB126_1403
; %bb.1402:
	v_div_scale_f64 v[15:16], null, v[2:3], v[2:3], v[0:1]
	v_div_scale_f64 v[21:22], vcc_lo, v[0:1], v[2:3], v[0:1]
	v_rcp_f64_e32 v[17:18], v[15:16]
	v_fma_f64 v[19:20], -v[15:16], v[17:18], 1.0
	v_fma_f64 v[17:18], v[17:18], v[19:20], v[17:18]
	v_fma_f64 v[19:20], -v[15:16], v[17:18], 1.0
	v_fma_f64 v[17:18], v[17:18], v[19:20], v[17:18]
	v_mul_f64 v[19:20], v[21:22], v[17:18]
	v_fma_f64 v[15:16], -v[15:16], v[19:20], v[21:22]
	v_div_fmas_f64 v[15:16], v[15:16], v[17:18], v[19:20]
	v_div_fixup_f64 v[15:16], v[15:16], v[2:3], v[0:1]
	v_fma_f64 v[0:1], v[0:1], v[15:16], v[2:3]
	v_div_scale_f64 v[2:3], null, v[0:1], v[0:1], 1.0
	v_rcp_f64_e32 v[17:18], v[2:3]
	v_fma_f64 v[19:20], -v[2:3], v[17:18], 1.0
	v_fma_f64 v[17:18], v[17:18], v[19:20], v[17:18]
	v_fma_f64 v[19:20], -v[2:3], v[17:18], 1.0
	v_fma_f64 v[17:18], v[17:18], v[19:20], v[17:18]
	v_div_scale_f64 v[19:20], vcc_lo, 1.0, v[0:1], 1.0
	v_mul_f64 v[21:22], v[19:20], v[17:18]
	v_fma_f64 v[2:3], -v[2:3], v[21:22], v[19:20]
	v_div_fmas_f64 v[2:3], v[2:3], v[17:18], v[21:22]
	v_div_fixup_f64 v[2:3], v[2:3], v[0:1], 1.0
	v_mul_f64 v[0:1], v[15:16], v[2:3]
	v_xor_b32_e32 v3, 0x80000000, v3
.LBB126_1403:
	s_andn2_saveexec_b32 s16, s16
	s_cbranch_execz .LBB126_1405
; %bb.1404:
	v_div_scale_f64 v[15:16], null, v[0:1], v[0:1], v[2:3]
	v_div_scale_f64 v[21:22], vcc_lo, v[2:3], v[0:1], v[2:3]
	v_rcp_f64_e32 v[17:18], v[15:16]
	v_fma_f64 v[19:20], -v[15:16], v[17:18], 1.0
	v_fma_f64 v[17:18], v[17:18], v[19:20], v[17:18]
	v_fma_f64 v[19:20], -v[15:16], v[17:18], 1.0
	v_fma_f64 v[17:18], v[17:18], v[19:20], v[17:18]
	v_mul_f64 v[19:20], v[21:22], v[17:18]
	v_fma_f64 v[15:16], -v[15:16], v[19:20], v[21:22]
	v_div_fmas_f64 v[15:16], v[15:16], v[17:18], v[19:20]
	v_div_fixup_f64 v[15:16], v[15:16], v[0:1], v[2:3]
	v_fma_f64 v[0:1], v[2:3], v[15:16], v[0:1]
	v_div_scale_f64 v[2:3], null, v[0:1], v[0:1], 1.0
	v_rcp_f64_e32 v[17:18], v[2:3]
	v_fma_f64 v[19:20], -v[2:3], v[17:18], 1.0
	v_fma_f64 v[17:18], v[17:18], v[19:20], v[17:18]
	v_fma_f64 v[19:20], -v[2:3], v[17:18], 1.0
	v_fma_f64 v[17:18], v[17:18], v[19:20], v[17:18]
	v_div_scale_f64 v[19:20], vcc_lo, 1.0, v[0:1], 1.0
	v_mul_f64 v[21:22], v[19:20], v[17:18]
	v_fma_f64 v[2:3], -v[2:3], v[21:22], v[19:20]
	v_div_fmas_f64 v[2:3], v[2:3], v[17:18], v[21:22]
	v_div_fixup_f64 v[0:1], v[2:3], v[0:1], 1.0
	v_mul_f64 v[2:3], v[15:16], -v[0:1]
.LBB126_1405:
	s_or_b32 exec_lo, exec_lo, s16
.LBB126_1406:
	s_or_b32 exec_lo, exec_lo, s4
	s_mov_b32 s4, exec_lo
	v_cmpx_ne_u32_e64 v5, v4
	s_xor_b32 s4, exec_lo, s4
	s_cbranch_execz .LBB126_1412
; %bb.1407:
	s_mov_b32 s16, exec_lo
	v_cmpx_eq_u32_e32 60, v5
	s_cbranch_execz .LBB126_1411
; %bb.1408:
	v_cmp_ne_u32_e32 vcc_lo, 60, v4
	s_xor_b32 s17, s20, -1
	s_and_b32 s56, s17, vcc_lo
	s_and_saveexec_b32 s17, s56
	s_cbranch_execz .LBB126_1410
; %bb.1409:
	v_ashrrev_i32_e32 v5, 31, v4
	v_lshlrev_b64 v[10:11], 2, v[4:5]
	v_add_co_u32 v10, vcc_lo, v8, v10
	v_add_co_ci_u32_e64 v11, null, v9, v11, vcc_lo
	s_clause 0x1
	global_load_dword v5, v[10:11], off
	global_load_dword v15, v[8:9], off offset:240
	s_waitcnt vmcnt(1)
	global_store_dword v[8:9], v5, off offset:240
	s_waitcnt vmcnt(0)
	global_store_dword v[10:11], v15, off
.LBB126_1410:
	s_or_b32 exec_lo, exec_lo, s17
	v_mov_b32_e32 v5, v4
	v_mov_b32_e32 v11, v4
.LBB126_1411:
	s_or_b32 exec_lo, exec_lo, s16
.LBB126_1412:
	s_andn2_saveexec_b32 s4, s4
	s_cbranch_execz .LBB126_1414
; %bb.1413:
	v_mov_b32_e32 v4, s18
	v_mov_b32_e32 v5, s7
	;; [unrolled: 1-line block ×3, first 2 shown]
	s_clause 0xb
	buffer_load_dword v15, v4, s[0:3], 0 offen
	buffer_load_dword v16, v4, s[0:3], 0 offen offset:4
	buffer_load_dword v17, v4, s[0:3], 0 offen offset:8
	buffer_load_dword v18, v4, s[0:3], 0 offen offset:12
	buffer_load_dword v19, v5, s[0:3], 0 offen
	buffer_load_dword v20, v5, s[0:3], 0 offen offset:4
	buffer_load_dword v21, v5, s[0:3], 0 offen offset:8
	buffer_load_dword v22, v5, s[0:3], 0 offen offset:12
	buffer_load_dword v23, v10, s[0:3], 0 offen
	buffer_load_dword v24, v10, s[0:3], 0 offen offset:4
	buffer_load_dword v25, v10, s[0:3], 0 offen offset:8
	buffer_load_dword v26, v10, s[0:3], 0 offen offset:12
	v_mov_b32_e32 v5, 60
	s_waitcnt vmcnt(8)
	ds_write2_b64 v12, v[15:16], v[17:18] offset0:122 offset1:123
	s_waitcnt vmcnt(4)
	ds_write2_b64 v12, v[19:20], v[21:22] offset0:124 offset1:125
	;; [unrolled: 2-line block ×3, first 2 shown]
.LBB126_1414:
	s_or_b32 exec_lo, exec_lo, s4
	s_mov_b32 s4, exec_lo
	s_waitcnt lgkmcnt(0)
	s_waitcnt_vscnt null, 0x0
	s_barrier
	buffer_gl0_inv
	v_cmpx_lt_i32_e32 60, v5
	s_cbranch_execz .LBB126_1416
; %bb.1415:
	s_clause 0xf
	buffer_load_dword v15, off, s[0:3], 0 offset:968
	buffer_load_dword v16, off, s[0:3], 0 offset:972
	;; [unrolled: 1-line block ×16, first 2 shown]
	s_waitcnt vmcnt(14)
	v_mul_f64 v[17:18], v[0:1], v[15:16]
	v_mul_f64 v[41:42], v[2:3], v[15:16]
	s_waitcnt vmcnt(12)
	v_fma_f64 v[2:3], v[2:3], v[27:28], v[17:18]
	ds_read2_b64 v[15:18], v12 offset0:122 offset1:123
	ds_read2_b64 v[19:22], v12 offset0:124 offset1:125
	;; [unrolled: 1-line block ×3, first 2 shown]
	v_fma_f64 v[0:1], v[0:1], v[27:28], -v[41:42]
	s_waitcnt lgkmcnt(2)
	v_mul_f64 v[27:28], v[17:18], v[2:3]
	v_mul_f64 v[41:42], v[15:16], v[2:3]
	s_waitcnt lgkmcnt(1)
	v_mul_f64 v[43:44], v[21:22], v[2:3]
	v_mul_f64 v[45:46], v[19:20], v[2:3]
	;; [unrolled: 3-line block ×3, first 2 shown]
	v_fma_f64 v[15:16], v[15:16], v[0:1], -v[27:28]
	v_fma_f64 v[17:18], v[17:18], v[0:1], v[41:42]
	v_fma_f64 v[19:20], v[19:20], v[0:1], -v[43:44]
	v_fma_f64 v[21:22], v[21:22], v[0:1], v[45:46]
	;; [unrolled: 2-line block ×3, first 2 shown]
	s_waitcnt vmcnt(10)
	v_add_f64 v[15:16], v[29:30], -v[15:16]
	s_waitcnt vmcnt(8)
	v_add_f64 v[17:18], v[31:32], -v[17:18]
	;; [unrolled: 2-line block ×6, first 2 shown]
	buffer_store_dword v0, off, s[0:3], 0 offset:960
	buffer_store_dword v1, off, s[0:3], 0 offset:964
	;; [unrolled: 1-line block ×16, first 2 shown]
.LBB126_1416:
	s_or_b32 exec_lo, exec_lo, s4
	v_mov_b32_e32 v3, s18
	s_waitcnt_vscnt null, 0x0
	s_barrier
	buffer_gl0_inv
	v_lshl_add_u32 v4, v5, 4, v12
	s_clause 0x3
	buffer_load_dword v0, v3, s[0:3], 0 offen
	buffer_load_dword v1, v3, s[0:3], 0 offen offset:4
	buffer_load_dword v2, v3, s[0:3], 0 offen offset:8
	;; [unrolled: 1-line block ×3, first 2 shown]
	s_cmp_lt_i32 s57, 63
	s_waitcnt vmcnt(0)
	ds_write2_b64 v4, v[0:1], v[2:3] offset1:1
	s_waitcnt lgkmcnt(0)
	s_barrier
	buffer_gl0_inv
	ds_read2_b64 v[0:3], v12 offset0:122 offset1:123
	v_mov_b32_e32 v4, 61
	s_cbranch_scc1 .LBB126_1419
; %bb.1417:
	v_add3_u32 v10, v14, 0, 0x3e0
	v_mov_b32_e32 v4, 61
	s_mov_b32 s16, 62
	s_inst_prefetch 0x1
	.p2align	6
.LBB126_1418:                           ; =>This Inner Loop Header: Depth=1
	s_waitcnt lgkmcnt(0)
	v_cmp_gt_f64_e32 vcc_lo, 0, v[2:3]
	v_cmp_gt_f64_e64 s4, 0, v[0:1]
	ds_read2_b64 v[15:18], v10 offset1:1
	v_xor_b32_e32 v20, 0x80000000, v1
	v_xor_b32_e32 v22, 0x80000000, v3
	v_mov_b32_e32 v19, v0
	v_mov_b32_e32 v21, v2
	v_add_nc_u32_e32 v10, 16, v10
	s_waitcnt lgkmcnt(0)
	v_xor_b32_e32 v24, 0x80000000, v18
	v_cndmask_b32_e64 v20, v1, v20, s4
	v_cndmask_b32_e32 v22, v3, v22, vcc_lo
	v_cmp_gt_f64_e32 vcc_lo, 0, v[17:18]
	v_cmp_gt_f64_e64 s4, 0, v[15:16]
	v_mov_b32_e32 v23, v17
	v_add_f64 v[19:20], v[19:20], v[21:22]
	v_xor_b32_e32 v22, 0x80000000, v16
	v_mov_b32_e32 v21, v15
	v_cndmask_b32_e32 v24, v18, v24, vcc_lo
	v_cndmask_b32_e64 v22, v16, v22, s4
	v_add_f64 v[21:22], v[21:22], v[23:24]
	v_cmp_lt_f64_e32 vcc_lo, v[19:20], v[21:22]
	v_cndmask_b32_e32 v1, v1, v16, vcc_lo
	v_cndmask_b32_e32 v0, v0, v15, vcc_lo
	;; [unrolled: 1-line block ×4, first 2 shown]
	v_cndmask_b32_e64 v4, v4, s16, vcc_lo
	s_add_i32 s16, s16, 1
	s_cmp_lg_u32 s57, s16
	s_cbranch_scc1 .LBB126_1418
.LBB126_1419:
	s_inst_prefetch 0x2
	s_waitcnt lgkmcnt(0)
	v_cmp_eq_f64_e32 vcc_lo, 0, v[0:1]
	v_cmp_eq_f64_e64 s4, 0, v[2:3]
	s_and_b32 s4, vcc_lo, s4
	s_and_saveexec_b32 s16, s4
	s_xor_b32 s4, exec_lo, s16
; %bb.1420:
	v_cmp_ne_u32_e32 vcc_lo, 0, v13
	v_cndmask_b32_e32 v13, 62, v13, vcc_lo
; %bb.1421:
	s_andn2_saveexec_b32 s4, s4
	s_cbranch_execz .LBB126_1427
; %bb.1422:
	v_cmp_ngt_f64_e64 s16, |v[0:1]|, |v[2:3]|
	s_and_saveexec_b32 s17, s16
	s_xor_b32 s16, exec_lo, s17
	s_cbranch_execz .LBB126_1424
; %bb.1423:
	v_div_scale_f64 v[15:16], null, v[2:3], v[2:3], v[0:1]
	v_div_scale_f64 v[21:22], vcc_lo, v[0:1], v[2:3], v[0:1]
	v_rcp_f64_e32 v[17:18], v[15:16]
	v_fma_f64 v[19:20], -v[15:16], v[17:18], 1.0
	v_fma_f64 v[17:18], v[17:18], v[19:20], v[17:18]
	v_fma_f64 v[19:20], -v[15:16], v[17:18], 1.0
	v_fma_f64 v[17:18], v[17:18], v[19:20], v[17:18]
	v_mul_f64 v[19:20], v[21:22], v[17:18]
	v_fma_f64 v[15:16], -v[15:16], v[19:20], v[21:22]
	v_div_fmas_f64 v[15:16], v[15:16], v[17:18], v[19:20]
	v_div_fixup_f64 v[15:16], v[15:16], v[2:3], v[0:1]
	v_fma_f64 v[0:1], v[0:1], v[15:16], v[2:3]
	v_div_scale_f64 v[2:3], null, v[0:1], v[0:1], 1.0
	v_rcp_f64_e32 v[17:18], v[2:3]
	v_fma_f64 v[19:20], -v[2:3], v[17:18], 1.0
	v_fma_f64 v[17:18], v[17:18], v[19:20], v[17:18]
	v_fma_f64 v[19:20], -v[2:3], v[17:18], 1.0
	v_fma_f64 v[17:18], v[17:18], v[19:20], v[17:18]
	v_div_scale_f64 v[19:20], vcc_lo, 1.0, v[0:1], 1.0
	v_mul_f64 v[21:22], v[19:20], v[17:18]
	v_fma_f64 v[2:3], -v[2:3], v[21:22], v[19:20]
	v_div_fmas_f64 v[2:3], v[2:3], v[17:18], v[21:22]
	v_div_fixup_f64 v[2:3], v[2:3], v[0:1], 1.0
	v_mul_f64 v[0:1], v[15:16], v[2:3]
	v_xor_b32_e32 v3, 0x80000000, v3
.LBB126_1424:
	s_andn2_saveexec_b32 s16, s16
	s_cbranch_execz .LBB126_1426
; %bb.1425:
	v_div_scale_f64 v[15:16], null, v[0:1], v[0:1], v[2:3]
	v_div_scale_f64 v[21:22], vcc_lo, v[2:3], v[0:1], v[2:3]
	v_rcp_f64_e32 v[17:18], v[15:16]
	v_fma_f64 v[19:20], -v[15:16], v[17:18], 1.0
	v_fma_f64 v[17:18], v[17:18], v[19:20], v[17:18]
	v_fma_f64 v[19:20], -v[15:16], v[17:18], 1.0
	v_fma_f64 v[17:18], v[17:18], v[19:20], v[17:18]
	v_mul_f64 v[19:20], v[21:22], v[17:18]
	v_fma_f64 v[15:16], -v[15:16], v[19:20], v[21:22]
	v_div_fmas_f64 v[15:16], v[15:16], v[17:18], v[19:20]
	v_div_fixup_f64 v[15:16], v[15:16], v[0:1], v[2:3]
	v_fma_f64 v[0:1], v[2:3], v[15:16], v[0:1]
	v_div_scale_f64 v[2:3], null, v[0:1], v[0:1], 1.0
	v_rcp_f64_e32 v[17:18], v[2:3]
	v_fma_f64 v[19:20], -v[2:3], v[17:18], 1.0
	v_fma_f64 v[17:18], v[17:18], v[19:20], v[17:18]
	v_fma_f64 v[19:20], -v[2:3], v[17:18], 1.0
	v_fma_f64 v[17:18], v[17:18], v[19:20], v[17:18]
	v_div_scale_f64 v[19:20], vcc_lo, 1.0, v[0:1], 1.0
	v_mul_f64 v[21:22], v[19:20], v[17:18]
	v_fma_f64 v[2:3], -v[2:3], v[21:22], v[19:20]
	v_div_fmas_f64 v[2:3], v[2:3], v[17:18], v[21:22]
	v_div_fixup_f64 v[0:1], v[2:3], v[0:1], 1.0
	v_mul_f64 v[2:3], v[15:16], -v[0:1]
.LBB126_1426:
	s_or_b32 exec_lo, exec_lo, s16
.LBB126_1427:
	s_or_b32 exec_lo, exec_lo, s4
	s_mov_b32 s4, exec_lo
	v_cmpx_ne_u32_e64 v5, v4
	s_xor_b32 s4, exec_lo, s4
	s_cbranch_execz .LBB126_1433
; %bb.1428:
	s_mov_b32 s16, exec_lo
	v_cmpx_eq_u32_e32 61, v5
	s_cbranch_execz .LBB126_1432
; %bb.1429:
	v_cmp_ne_u32_e32 vcc_lo, 61, v4
	s_xor_b32 s17, s20, -1
	s_and_b32 s56, s17, vcc_lo
	s_and_saveexec_b32 s17, s56
	s_cbranch_execz .LBB126_1431
; %bb.1430:
	v_ashrrev_i32_e32 v5, 31, v4
	v_lshlrev_b64 v[10:11], 2, v[4:5]
	v_add_co_u32 v10, vcc_lo, v8, v10
	v_add_co_ci_u32_e64 v11, null, v9, v11, vcc_lo
	s_clause 0x1
	global_load_dword v5, v[10:11], off
	global_load_dword v15, v[8:9], off offset:244
	s_waitcnt vmcnt(1)
	global_store_dword v[8:9], v5, off offset:244
	s_waitcnt vmcnt(0)
	global_store_dword v[10:11], v15, off
.LBB126_1431:
	s_or_b32 exec_lo, exec_lo, s17
	v_mov_b32_e32 v5, v4
	v_mov_b32_e32 v11, v4
.LBB126_1432:
	s_or_b32 exec_lo, exec_lo, s16
.LBB126_1433:
	s_andn2_saveexec_b32 s4, s4
	s_cbranch_execz .LBB126_1435
; %bb.1434:
	v_mov_b32_e32 v4, s7
	v_mov_b32_e32 v5, s5
	s_clause 0x7
	buffer_load_dword v15, v4, s[0:3], 0 offen
	buffer_load_dword v16, v4, s[0:3], 0 offen offset:4
	buffer_load_dword v17, v4, s[0:3], 0 offen offset:8
	;; [unrolled: 1-line block ×3, first 2 shown]
	buffer_load_dword v19, v5, s[0:3], 0 offen
	buffer_load_dword v20, v5, s[0:3], 0 offen offset:4
	buffer_load_dword v21, v5, s[0:3], 0 offen offset:8
	;; [unrolled: 1-line block ×3, first 2 shown]
	v_mov_b32_e32 v5, 61
	s_waitcnt vmcnt(4)
	ds_write2_b64 v12, v[15:16], v[17:18] offset0:124 offset1:125
	s_waitcnt vmcnt(0)
	ds_write2_b64 v12, v[19:20], v[21:22] offset0:126 offset1:127
.LBB126_1435:
	s_or_b32 exec_lo, exec_lo, s4
	s_mov_b32 s4, exec_lo
	s_waitcnt lgkmcnt(0)
	s_waitcnt_vscnt null, 0x0
	s_barrier
	buffer_gl0_inv
	v_cmpx_lt_i32_e32 61, v5
	s_cbranch_execz .LBB126_1437
; %bb.1436:
	s_clause 0xb
	buffer_load_dword v15, off, s[0:3], 0 offset:984
	buffer_load_dword v16, off, s[0:3], 0 offset:988
	;; [unrolled: 1-line block ×12, first 2 shown]
	s_waitcnt vmcnt(10)
	v_mul_f64 v[17:18], v[0:1], v[15:16]
	v_mul_f64 v[33:34], v[2:3], v[15:16]
	s_waitcnt vmcnt(8)
	v_fma_f64 v[2:3], v[2:3], v[23:24], v[17:18]
	ds_read2_b64 v[15:18], v12 offset0:124 offset1:125
	ds_read2_b64 v[19:22], v12 offset0:126 offset1:127
	v_fma_f64 v[0:1], v[0:1], v[23:24], -v[33:34]
	s_waitcnt lgkmcnt(1)
	v_mul_f64 v[23:24], v[17:18], v[2:3]
	v_mul_f64 v[33:34], v[15:16], v[2:3]
	s_waitcnt lgkmcnt(0)
	v_mul_f64 v[35:36], v[21:22], v[2:3]
	v_mul_f64 v[37:38], v[19:20], v[2:3]
	v_fma_f64 v[15:16], v[15:16], v[0:1], -v[23:24]
	v_fma_f64 v[17:18], v[17:18], v[0:1], v[33:34]
	v_fma_f64 v[19:20], v[19:20], v[0:1], -v[35:36]
	v_fma_f64 v[21:22], v[21:22], v[0:1], v[37:38]
	s_waitcnt vmcnt(6)
	v_add_f64 v[15:16], v[25:26], -v[15:16]
	s_waitcnt vmcnt(4)
	v_add_f64 v[17:18], v[27:28], -v[17:18]
	;; [unrolled: 2-line block ×4, first 2 shown]
	buffer_store_dword v0, off, s[0:3], 0 offset:976
	buffer_store_dword v1, off, s[0:3], 0 offset:980
	;; [unrolled: 1-line block ×12, first 2 shown]
.LBB126_1437:
	s_or_b32 exec_lo, exec_lo, s4
	v_mov_b32_e32 v3, s7
	s_waitcnt_vscnt null, 0x0
	s_barrier
	buffer_gl0_inv
	v_lshl_add_u32 v4, v5, 4, v12
	s_clause 0x3
	buffer_load_dword v0, v3, s[0:3], 0 offen
	buffer_load_dword v1, v3, s[0:3], 0 offen offset:4
	buffer_load_dword v2, v3, s[0:3], 0 offen offset:8
	;; [unrolled: 1-line block ×3, first 2 shown]
	s_cmp_lt_i32 s57, 64
	s_waitcnt vmcnt(0)
	ds_write2_b64 v4, v[0:1], v[2:3] offset1:1
	s_waitcnt lgkmcnt(0)
	s_barrier
	buffer_gl0_inv
	ds_read2_b64 v[0:3], v12 offset0:124 offset1:125
	v_mov_b32_e32 v4, 62
	s_cbranch_scc1 .LBB126_1440
; %bb.1438:
	v_add3_u32 v10, v14, 0, 0x3f0
	v_mov_b32_e32 v4, 62
	s_mov_b32 s16, 63
	s_inst_prefetch 0x1
	.p2align	6
.LBB126_1439:                           ; =>This Inner Loop Header: Depth=1
	s_waitcnt lgkmcnt(0)
	v_cmp_gt_f64_e32 vcc_lo, 0, v[2:3]
	v_cmp_gt_f64_e64 s4, 0, v[0:1]
	ds_read2_b64 v[15:18], v10 offset1:1
	v_xor_b32_e32 v20, 0x80000000, v1
	v_xor_b32_e32 v22, 0x80000000, v3
	v_mov_b32_e32 v19, v0
	v_mov_b32_e32 v21, v2
	v_add_nc_u32_e32 v10, 16, v10
	s_waitcnt lgkmcnt(0)
	v_xor_b32_e32 v24, 0x80000000, v18
	v_cndmask_b32_e64 v20, v1, v20, s4
	v_cndmask_b32_e32 v22, v3, v22, vcc_lo
	v_cmp_gt_f64_e32 vcc_lo, 0, v[17:18]
	v_cmp_gt_f64_e64 s4, 0, v[15:16]
	v_mov_b32_e32 v23, v17
	v_add_f64 v[19:20], v[19:20], v[21:22]
	v_xor_b32_e32 v22, 0x80000000, v16
	v_mov_b32_e32 v21, v15
	v_cndmask_b32_e32 v24, v18, v24, vcc_lo
	v_cndmask_b32_e64 v22, v16, v22, s4
	v_add_f64 v[21:22], v[21:22], v[23:24]
	v_cmp_lt_f64_e32 vcc_lo, v[19:20], v[21:22]
	v_cndmask_b32_e32 v1, v1, v16, vcc_lo
	v_cndmask_b32_e32 v0, v0, v15, vcc_lo
	;; [unrolled: 1-line block ×4, first 2 shown]
	v_cndmask_b32_e64 v4, v4, s16, vcc_lo
	s_add_i32 s16, s16, 1
	s_cmp_lg_u32 s57, s16
	s_cbranch_scc1 .LBB126_1439
.LBB126_1440:
	s_inst_prefetch 0x2
	s_waitcnt lgkmcnt(0)
	v_cmp_eq_f64_e32 vcc_lo, 0, v[0:1]
	v_cmp_eq_f64_e64 s4, 0, v[2:3]
	s_and_b32 s4, vcc_lo, s4
	s_and_saveexec_b32 s16, s4
	s_xor_b32 s4, exec_lo, s16
; %bb.1441:
	v_cmp_ne_u32_e32 vcc_lo, 0, v13
	v_cndmask_b32_e32 v13, 63, v13, vcc_lo
; %bb.1442:
	s_andn2_saveexec_b32 s4, s4
	s_cbranch_execz .LBB126_1448
; %bb.1443:
	v_cmp_ngt_f64_e64 s16, |v[0:1]|, |v[2:3]|
	s_and_saveexec_b32 s17, s16
	s_xor_b32 s16, exec_lo, s17
	s_cbranch_execz .LBB126_1445
; %bb.1444:
	v_div_scale_f64 v[15:16], null, v[2:3], v[2:3], v[0:1]
	v_div_scale_f64 v[21:22], vcc_lo, v[0:1], v[2:3], v[0:1]
	v_rcp_f64_e32 v[17:18], v[15:16]
	v_fma_f64 v[19:20], -v[15:16], v[17:18], 1.0
	v_fma_f64 v[17:18], v[17:18], v[19:20], v[17:18]
	v_fma_f64 v[19:20], -v[15:16], v[17:18], 1.0
	v_fma_f64 v[17:18], v[17:18], v[19:20], v[17:18]
	v_mul_f64 v[19:20], v[21:22], v[17:18]
	v_fma_f64 v[15:16], -v[15:16], v[19:20], v[21:22]
	v_div_fmas_f64 v[15:16], v[15:16], v[17:18], v[19:20]
	v_div_fixup_f64 v[15:16], v[15:16], v[2:3], v[0:1]
	v_fma_f64 v[0:1], v[0:1], v[15:16], v[2:3]
	v_div_scale_f64 v[2:3], null, v[0:1], v[0:1], 1.0
	v_rcp_f64_e32 v[17:18], v[2:3]
	v_fma_f64 v[19:20], -v[2:3], v[17:18], 1.0
	v_fma_f64 v[17:18], v[17:18], v[19:20], v[17:18]
	v_fma_f64 v[19:20], -v[2:3], v[17:18], 1.0
	v_fma_f64 v[17:18], v[17:18], v[19:20], v[17:18]
	v_div_scale_f64 v[19:20], vcc_lo, 1.0, v[0:1], 1.0
	v_mul_f64 v[21:22], v[19:20], v[17:18]
	v_fma_f64 v[2:3], -v[2:3], v[21:22], v[19:20]
	v_div_fmas_f64 v[2:3], v[2:3], v[17:18], v[21:22]
	v_div_fixup_f64 v[2:3], v[2:3], v[0:1], 1.0
	v_mul_f64 v[0:1], v[15:16], v[2:3]
	v_xor_b32_e32 v3, 0x80000000, v3
.LBB126_1445:
	s_andn2_saveexec_b32 s16, s16
	s_cbranch_execz .LBB126_1447
; %bb.1446:
	v_div_scale_f64 v[15:16], null, v[0:1], v[0:1], v[2:3]
	v_div_scale_f64 v[21:22], vcc_lo, v[2:3], v[0:1], v[2:3]
	v_rcp_f64_e32 v[17:18], v[15:16]
	v_fma_f64 v[19:20], -v[15:16], v[17:18], 1.0
	v_fma_f64 v[17:18], v[17:18], v[19:20], v[17:18]
	v_fma_f64 v[19:20], -v[15:16], v[17:18], 1.0
	v_fma_f64 v[17:18], v[17:18], v[19:20], v[17:18]
	v_mul_f64 v[19:20], v[21:22], v[17:18]
	v_fma_f64 v[15:16], -v[15:16], v[19:20], v[21:22]
	v_div_fmas_f64 v[15:16], v[15:16], v[17:18], v[19:20]
	v_div_fixup_f64 v[15:16], v[15:16], v[0:1], v[2:3]
	v_fma_f64 v[0:1], v[2:3], v[15:16], v[0:1]
	v_div_scale_f64 v[2:3], null, v[0:1], v[0:1], 1.0
	v_rcp_f64_e32 v[17:18], v[2:3]
	v_fma_f64 v[19:20], -v[2:3], v[17:18], 1.0
	v_fma_f64 v[17:18], v[17:18], v[19:20], v[17:18]
	v_fma_f64 v[19:20], -v[2:3], v[17:18], 1.0
	v_fma_f64 v[17:18], v[17:18], v[19:20], v[17:18]
	v_div_scale_f64 v[19:20], vcc_lo, 1.0, v[0:1], 1.0
	v_mul_f64 v[21:22], v[19:20], v[17:18]
	v_fma_f64 v[2:3], -v[2:3], v[21:22], v[19:20]
	v_div_fmas_f64 v[2:3], v[2:3], v[17:18], v[21:22]
	v_div_fixup_f64 v[0:1], v[2:3], v[0:1], 1.0
	v_mul_f64 v[2:3], v[15:16], -v[0:1]
.LBB126_1447:
	s_or_b32 exec_lo, exec_lo, s16
.LBB126_1448:
	s_or_b32 exec_lo, exec_lo, s4
	s_mov_b32 s4, exec_lo
	v_cmpx_ne_u32_e64 v5, v4
	s_xor_b32 s4, exec_lo, s4
	s_cbranch_execz .LBB126_1454
; %bb.1449:
	s_mov_b32 s16, exec_lo
	v_cmpx_eq_u32_e32 62, v5
	s_cbranch_execz .LBB126_1453
; %bb.1450:
	v_cmp_ne_u32_e32 vcc_lo, 62, v4
	s_xor_b32 s17, s20, -1
	s_and_b32 s56, s17, vcc_lo
	s_and_saveexec_b32 s17, s56
	s_cbranch_execz .LBB126_1452
; %bb.1451:
	v_ashrrev_i32_e32 v5, 31, v4
	v_lshlrev_b64 v[10:11], 2, v[4:5]
	v_add_co_u32 v10, vcc_lo, v8, v10
	v_add_co_ci_u32_e64 v11, null, v9, v11, vcc_lo
	s_clause 0x1
	global_load_dword v5, v[10:11], off
	global_load_dword v15, v[8:9], off offset:248
	s_waitcnt vmcnt(1)
	global_store_dword v[8:9], v5, off offset:248
	s_waitcnt vmcnt(0)
	global_store_dword v[10:11], v15, off
.LBB126_1452:
	s_or_b32 exec_lo, exec_lo, s17
	v_mov_b32_e32 v5, v4
	v_mov_b32_e32 v11, v4
.LBB126_1453:
	s_or_b32 exec_lo, exec_lo, s16
.LBB126_1454:
	s_andn2_saveexec_b32 s4, s4
	s_cbranch_execz .LBB126_1456
; %bb.1455:
	v_mov_b32_e32 v4, s5
	v_mov_b32_e32 v5, 62
	s_clause 0x3
	buffer_load_dword v15, v4, s[0:3], 0 offen
	buffer_load_dword v16, v4, s[0:3], 0 offen offset:4
	buffer_load_dword v17, v4, s[0:3], 0 offen offset:8
	;; [unrolled: 1-line block ×3, first 2 shown]
	s_waitcnt vmcnt(0)
	ds_write2_b64 v12, v[15:16], v[17:18] offset0:126 offset1:127
.LBB126_1456:
	s_or_b32 exec_lo, exec_lo, s4
	s_mov_b32 s4, exec_lo
	s_waitcnt lgkmcnt(0)
	s_waitcnt_vscnt null, 0x0
	s_barrier
	buffer_gl0_inv
	v_cmpx_lt_i32_e32 62, v5
	s_cbranch_execz .LBB126_1458
; %bb.1457:
	s_clause 0x7
	buffer_load_dword v15, off, s[0:3], 0 offset:1000
	buffer_load_dword v16, off, s[0:3], 0 offset:1004
	;; [unrolled: 1-line block ×8, first 2 shown]
	s_waitcnt vmcnt(6)
	v_mul_f64 v[17:18], v[0:1], v[15:16]
	v_mul_f64 v[25:26], v[2:3], v[15:16]
	s_waitcnt vmcnt(4)
	v_fma_f64 v[2:3], v[2:3], v[19:20], v[17:18]
	ds_read2_b64 v[15:18], v12 offset0:126 offset1:127
	v_fma_f64 v[0:1], v[0:1], v[19:20], -v[25:26]
	s_waitcnt lgkmcnt(0)
	v_mul_f64 v[19:20], v[17:18], v[2:3]
	v_mul_f64 v[25:26], v[15:16], v[2:3]
	v_fma_f64 v[15:16], v[15:16], v[0:1], -v[19:20]
	v_fma_f64 v[17:18], v[17:18], v[0:1], v[25:26]
	s_waitcnt vmcnt(2)
	v_add_f64 v[15:16], v[21:22], -v[15:16]
	s_waitcnt vmcnt(0)
	v_add_f64 v[17:18], v[23:24], -v[17:18]
	buffer_store_dword v0, off, s[0:3], 0 offset:992
	buffer_store_dword v1, off, s[0:3], 0 offset:996
	;; [unrolled: 1-line block ×8, first 2 shown]
.LBB126_1458:
	s_or_b32 exec_lo, exec_lo, s4
	v_mov_b32_e32 v3, s5
	s_waitcnt_vscnt null, 0x0
	s_barrier
	buffer_gl0_inv
	v_lshl_add_u32 v4, v5, 4, v12
	s_clause 0x3
	buffer_load_dword v0, v3, s[0:3], 0 offen
	buffer_load_dword v1, v3, s[0:3], 0 offen offset:4
	buffer_load_dword v2, v3, s[0:3], 0 offen offset:8
	;; [unrolled: 1-line block ×3, first 2 shown]
	v_mov_b32_e32 v10, 63
	s_cmpk_lt_i32 s57, 0x41
	s_waitcnt vmcnt(0)
	ds_write2_b64 v4, v[0:1], v[2:3] offset1:1
	s_waitcnt lgkmcnt(0)
	s_barrier
	buffer_gl0_inv
	ds_read2_b64 v[0:3], v12 offset0:126 offset1:127
	s_cbranch_scc1 .LBB126_1461
; %bb.1459:
	v_add3_u32 v4, v14, 0, 0x400
	v_mov_b32_e32 v10, 63
	s_mov_b32 s16, 64
	s_inst_prefetch 0x1
	.p2align	6
.LBB126_1460:                           ; =>This Inner Loop Header: Depth=1
	s_waitcnt lgkmcnt(0)
	v_cmp_gt_f64_e32 vcc_lo, 0, v[2:3]
	v_cmp_gt_f64_e64 s4, 0, v[0:1]
	ds_read2_b64 v[14:17], v4 offset1:1
	v_xor_b32_e32 v12, 0x80000000, v1
	v_xor_b32_e32 v21, 0x80000000, v3
	v_mov_b32_e32 v18, v0
	v_mov_b32_e32 v20, v2
	v_add_nc_u32_e32 v4, 16, v4
	s_waitcnt lgkmcnt(0)
	v_xor_b32_e32 v23, 0x80000000, v17
	v_cndmask_b32_e64 v19, v1, v12, s4
	v_cndmask_b32_e32 v21, v3, v21, vcc_lo
	v_cmp_gt_f64_e32 vcc_lo, 0, v[16:17]
	v_cmp_gt_f64_e64 s4, 0, v[14:15]
	v_xor_b32_e32 v12, 0x80000000, v15
	v_mov_b32_e32 v22, v16
	v_add_f64 v[18:19], v[18:19], v[20:21]
	v_mov_b32_e32 v20, v14
	v_cndmask_b32_e32 v23, v17, v23, vcc_lo
	v_cndmask_b32_e64 v21, v15, v12, s4
	v_add_f64 v[20:21], v[20:21], v[22:23]
	v_cmp_lt_f64_e32 vcc_lo, v[18:19], v[20:21]
	v_cndmask_b32_e32 v1, v1, v15, vcc_lo
	v_cndmask_b32_e32 v0, v0, v14, vcc_lo
	;; [unrolled: 1-line block ×4, first 2 shown]
	v_cndmask_b32_e64 v10, v10, s16, vcc_lo
	s_add_i32 s16, s16, 1
	s_cmp_lg_u32 s57, s16
	s_cbranch_scc1 .LBB126_1460
.LBB126_1461:
	s_inst_prefetch 0x2
	s_waitcnt lgkmcnt(0)
	v_cmp_eq_f64_e32 vcc_lo, 0, v[0:1]
	v_cmp_eq_f64_e64 s4, 0, v[2:3]
	s_and_b32 s4, vcc_lo, s4
	s_and_saveexec_b32 s16, s4
	s_xor_b32 s4, exec_lo, s16
; %bb.1462:
	v_cmp_ne_u32_e32 vcc_lo, 0, v13
	v_cndmask_b32_e32 v13, 64, v13, vcc_lo
; %bb.1463:
	s_andn2_saveexec_b32 s4, s4
	s_cbranch_execz .LBB126_1469
; %bb.1464:
	v_cmp_ngt_f64_e64 s16, |v[0:1]|, |v[2:3]|
	s_and_saveexec_b32 s17, s16
	s_xor_b32 s16, exec_lo, s17
	s_cbranch_execz .LBB126_1466
; %bb.1465:
	v_div_scale_f64 v[14:15], null, v[2:3], v[2:3], v[0:1]
	v_div_scale_f64 v[20:21], vcc_lo, v[0:1], v[2:3], v[0:1]
	v_rcp_f64_e32 v[16:17], v[14:15]
	v_fma_f64 v[18:19], -v[14:15], v[16:17], 1.0
	v_fma_f64 v[16:17], v[16:17], v[18:19], v[16:17]
	v_fma_f64 v[18:19], -v[14:15], v[16:17], 1.0
	v_fma_f64 v[16:17], v[16:17], v[18:19], v[16:17]
	v_mul_f64 v[18:19], v[20:21], v[16:17]
	v_fma_f64 v[14:15], -v[14:15], v[18:19], v[20:21]
	v_div_fmas_f64 v[14:15], v[14:15], v[16:17], v[18:19]
	v_div_fixup_f64 v[14:15], v[14:15], v[2:3], v[0:1]
	v_fma_f64 v[0:1], v[0:1], v[14:15], v[2:3]
	v_div_scale_f64 v[2:3], null, v[0:1], v[0:1], 1.0
	v_rcp_f64_e32 v[16:17], v[2:3]
	v_fma_f64 v[18:19], -v[2:3], v[16:17], 1.0
	v_fma_f64 v[16:17], v[16:17], v[18:19], v[16:17]
	v_fma_f64 v[18:19], -v[2:3], v[16:17], 1.0
	v_fma_f64 v[16:17], v[16:17], v[18:19], v[16:17]
	v_div_scale_f64 v[18:19], vcc_lo, 1.0, v[0:1], 1.0
	v_mul_f64 v[20:21], v[18:19], v[16:17]
	v_fma_f64 v[2:3], -v[2:3], v[20:21], v[18:19]
	v_div_fmas_f64 v[2:3], v[2:3], v[16:17], v[20:21]
	v_div_fixup_f64 v[2:3], v[2:3], v[0:1], 1.0
	v_mul_f64 v[0:1], v[14:15], v[2:3]
	v_xor_b32_e32 v3, 0x80000000, v3
.LBB126_1466:
	s_andn2_saveexec_b32 s16, s16
	s_cbranch_execz .LBB126_1468
; %bb.1467:
	v_div_scale_f64 v[14:15], null, v[0:1], v[0:1], v[2:3]
	v_div_scale_f64 v[20:21], vcc_lo, v[2:3], v[0:1], v[2:3]
	v_rcp_f64_e32 v[16:17], v[14:15]
	v_fma_f64 v[18:19], -v[14:15], v[16:17], 1.0
	v_fma_f64 v[16:17], v[16:17], v[18:19], v[16:17]
	v_fma_f64 v[18:19], -v[14:15], v[16:17], 1.0
	v_fma_f64 v[16:17], v[16:17], v[18:19], v[16:17]
	v_mul_f64 v[18:19], v[20:21], v[16:17]
	v_fma_f64 v[14:15], -v[14:15], v[18:19], v[20:21]
	v_div_fmas_f64 v[14:15], v[14:15], v[16:17], v[18:19]
	v_div_fixup_f64 v[14:15], v[14:15], v[0:1], v[2:3]
	v_fma_f64 v[0:1], v[2:3], v[14:15], v[0:1]
	v_div_scale_f64 v[2:3], null, v[0:1], v[0:1], 1.0
	v_rcp_f64_e32 v[16:17], v[2:3]
	v_fma_f64 v[18:19], -v[2:3], v[16:17], 1.0
	v_fma_f64 v[16:17], v[16:17], v[18:19], v[16:17]
	v_fma_f64 v[18:19], -v[2:3], v[16:17], 1.0
	v_fma_f64 v[16:17], v[16:17], v[18:19], v[16:17]
	v_div_scale_f64 v[18:19], vcc_lo, 1.0, v[0:1], 1.0
	v_mul_f64 v[20:21], v[18:19], v[16:17]
	v_fma_f64 v[2:3], -v[2:3], v[20:21], v[18:19]
	v_div_fmas_f64 v[2:3], v[2:3], v[16:17], v[20:21]
	v_div_fixup_f64 v[0:1], v[2:3], v[0:1], 1.0
	v_mul_f64 v[2:3], v[14:15], -v[0:1]
.LBB126_1468:
	s_or_b32 exec_lo, exec_lo, s16
.LBB126_1469:
	s_or_b32 exec_lo, exec_lo, s4
	v_mov_b32_e32 v4, 63
	s_mov_b32 s4, exec_lo
	v_cmpx_ne_u32_e64 v5, v10
	s_cbranch_execz .LBB126_1475
; %bb.1470:
	s_mov_b32 s16, exec_lo
	v_cmpx_eq_u32_e32 63, v5
	s_cbranch_execz .LBB126_1474
; %bb.1471:
	v_cmp_ne_u32_e32 vcc_lo, 63, v10
	s_xor_b32 s17, s20, -1
	s_and_b32 s20, s17, vcc_lo
	s_and_saveexec_b32 s17, s20
	s_cbranch_execz .LBB126_1473
; %bb.1472:
	v_ashrrev_i32_e32 v11, 31, v10
	v_lshlrev_b64 v[4:5], 2, v[10:11]
	v_add_co_u32 v4, vcc_lo, v8, v4
	v_add_co_ci_u32_e64 v5, null, v9, v5, vcc_lo
	s_clause 0x1
	global_load_dword v11, v[4:5], off
	global_load_dword v12, v[8:9], off offset:252
	s_waitcnt vmcnt(1)
	global_store_dword v[8:9], v11, off offset:252
	s_waitcnt vmcnt(0)
	global_store_dword v[4:5], v12, off
.LBB126_1473:
	s_or_b32 exec_lo, exec_lo, s17
	v_mov_b32_e32 v5, v10
	v_mov_b32_e32 v11, v10
.LBB126_1474:
	s_or_b32 exec_lo, exec_lo, s16
	v_mov_b32_e32 v4, v5
.LBB126_1475:
	s_or_b32 exec_lo, exec_lo, s4
	s_mov_b32 s4, exec_lo
	s_waitcnt_vscnt null, 0x0
	s_barrier
	buffer_gl0_inv
	v_cmpx_lt_i32_e32 63, v4
	s_cbranch_execz .LBB126_1477
; %bb.1476:
	s_clause 0x3
	buffer_load_dword v8, off, s[0:3], 0 offset:1016
	buffer_load_dword v9, off, s[0:3], 0 offset:1020
	;; [unrolled: 1-line block ×4, first 2 shown]
	s_waitcnt vmcnt(2)
	v_mul_f64 v[16:17], v[2:3], v[8:9]
	v_mul_f64 v[8:9], v[0:1], v[8:9]
	s_waitcnt vmcnt(0)
	v_fma_f64 v[0:1], v[0:1], v[14:15], -v[16:17]
	v_fma_f64 v[2:3], v[2:3], v[14:15], v[8:9]
	buffer_store_dword v0, off, s[0:3], 0 offset:1008
	buffer_store_dword v1, off, s[0:3], 0 offset:1012
	;; [unrolled: 1-line block ×4, first 2 shown]
.LBB126_1477:
	s_or_b32 exec_lo, exec_lo, s4
	v_ashrrev_i32_e32 v5, 31, v4
	s_mov_b32 s4, exec_lo
	s_waitcnt_vscnt null, 0x0
	s_barrier
	buffer_gl0_inv
	v_cmpx_gt_i32_e32 64, v4
	s_cbranch_execz .LBB126_1479
; %bb.1478:
	v_readlane_b32 s80, v162, 0
	v_readlane_b32 s84, v162, 4
	;; [unrolled: 1-line block ×7, first 2 shown]
	s_mov_b64 s[12:13], s[84:85]
	v_readlane_b32 s81, v162, 1
	s_mov_b64 s[14:15], s[86:87]
	s_lshl_b64 s[12:13], s[12:13], 2
	v_mul_lo_u32 v2, s15, v6
	v_mul_lo_u32 v3, s14, v7
	v_mad_u64_u32 v[0:1], null, s14, v6, 0
	s_mov_b64 s[10:11], s[82:83]
	v_add3_u32 v1, v1, v3, v2
	v_lshlrev_b64 v[0:1], 2, v[0:1]
	v_add_co_u32 v2, vcc_lo, s10, v0
	v_add_co_ci_u32_e64 v3, null, s11, v1, vcc_lo
	v_lshlrev_b64 v[0:1], 2, v[4:5]
	v_add_co_u32 v2, vcc_lo, v2, s12
	v_add_co_ci_u32_e64 v3, null, s13, v3, vcc_lo
	v_add_co_u32 v0, vcc_lo, v2, v0
	v_add_co_ci_u32_e64 v1, null, v3, v1, vcc_lo
	v_add3_u32 v2, v11, s21, 1
	global_store_dword v[0:1], v2, off
.LBB126_1479:
	s_or_b32 exec_lo, exec_lo, s4
	s_mov_b32 s10, exec_lo
	v_cmpx_eq_u32_e32 0, v4
	s_cbranch_execz .LBB126_1482
; %bb.1480:
	v_lshlrev_b64 v[0:1], 2, v[6:7]
	v_readlane_b32 s12, v162, 10
	v_readlane_b32 s13, v162, 11
	v_cmp_ne_u32_e64 s4, 0, v13
	v_add_co_u32 v0, vcc_lo, s12, v0
	v_add_co_ci_u32_e64 v1, null, s13, v1, vcc_lo
	global_load_dword v2, v[0:1], off
	s_waitcnt vmcnt(0)
	v_cmp_eq_u32_e32 vcc_lo, 0, v2
	s_and_b32 s4, vcc_lo, s4
	s_and_b32 exec_lo, exec_lo, s4
	s_cbranch_execz .LBB126_1482
; %bb.1481:
	v_add_nc_u32_e32 v2, s21, v13
	global_store_dword v[0:1], v2, off
.LBB126_1482:
	s_or_b32 exec_lo, exec_lo, s10
	s_clause 0x3
	buffer_load_dword v0, off, s[0:3], 0
	buffer_load_dword v1, off, s[0:3], 0 offset:4
	buffer_load_dword v2, off, s[0:3], 0 offset:8
	;; [unrolled: 1-line block ×3, first 2 shown]
	v_mov_b32_e32 v6, s89
	v_mov_b32_e32 v7, s9
	;; [unrolled: 1-line block ×4, first 2 shown]
	s_clause 0x3
	buffer_load_dword v8, v6, s[0:3], 0 offen
	buffer_load_dword v9, v6, s[0:3], 0 offen offset:4
	buffer_load_dword v10, v6, s[0:3], 0 offen offset:8
	buffer_load_dword v11, v6, s[0:3], 0 offen offset:12
	v_mov_b32_e32 v6, s88
	v_mov_b32_e32 v14, s76
	;; [unrolled: 1-line block ×3, first 2 shown]
	s_clause 0x3
	buffer_load_dword v16, v6, s[0:3], 0 offen
	buffer_load_dword v17, v6, s[0:3], 0 offen offset:4
	buffer_load_dword v18, v6, s[0:3], 0 offen offset:8
	;; [unrolled: 1-line block ×3, first 2 shown]
	v_mov_b32_e32 v6, s79
	v_mov_b32_e32 v20, s74
	s_clause 0x3
	buffer_load_dword v24, v6, s[0:3], 0 offen
	buffer_load_dword v25, v6, s[0:3], 0 offen offset:4
	buffer_load_dword v26, v6, s[0:3], 0 offen offset:8
	;; [unrolled: 1-line block ×3, first 2 shown]
	v_mov_b32_e32 v6, s51
	s_clause 0x3
	buffer_load_dword v92, v6, s[0:3], 0 offen
	buffer_load_dword v93, v6, s[0:3], 0 offen offset:4
	buffer_load_dword v94, v6, s[0:3], 0 offen offset:8
	buffer_load_dword v95, v6, s[0:3], 0 offen offset:12
	v_mov_b32_e32 v21, s73
	v_mov_b32_e32 v22, s72
	v_mov_b32_e32 v23, s71
	v_mov_b32_e32 v28, s70
	v_mov_b32_e32 v29, s69
	v_mov_b32_e32 v6, s68
	v_mov_b32_e32 v30, s67
	s_clause 0x33
	buffer_load_dword v108, v7, s[0:3], 0 offen
	buffer_load_dword v109, v7, s[0:3], 0 offen offset:4
	buffer_load_dword v110, v7, s[0:3], 0 offen offset:8
	buffer_load_dword v111, v7, s[0:3], 0 offen offset:12
	buffer_load_dword v96, v12, s[0:3], 0 offen
	buffer_load_dword v97, v12, s[0:3], 0 offen offset:4
	buffer_load_dword v98, v12, s[0:3], 0 offen offset:8
	buffer_load_dword v99, v12, s[0:3], 0 offen offset:12
	;; [unrolled: 4-line block ×13, first 2 shown]
	v_mov_b32_e32 v6, s66
	v_mov_b32_e32 v7, s65
	s_clause 0x7
	buffer_load_dword v84, v6, s[0:3], 0 offen
	buffer_load_dword v85, v6, s[0:3], 0 offen offset:4
	buffer_load_dword v86, v6, s[0:3], 0 offen offset:8
	;; [unrolled: 1-line block ×3, first 2 shown]
	buffer_load_dword v88, v7, s[0:3], 0 offen
	buffer_load_dword v89, v7, s[0:3], 0 offen offset:4
	buffer_load_dword v90, v7, s[0:3], 0 offen offset:8
	buffer_load_dword v91, v7, s[0:3], 0 offen offset:12
	v_lshlrev_b64 v[150:151], 4, v[4:5]
	v_add3_u32 v152, s6, s6, v4
	v_mov_b32_e32 v4, s64
	v_mov_b32_e32 v5, s63
	;; [unrolled: 1-line block ×3, first 2 shown]
	s_clause 0xb
	buffer_load_dword v72, v4, s[0:3], 0 offen
	buffer_load_dword v73, v4, s[0:3], 0 offen offset:4
	buffer_load_dword v74, v4, s[0:3], 0 offen offset:8
	buffer_load_dword v75, v4, s[0:3], 0 offen offset:12
	buffer_load_dword v76, v5, s[0:3], 0 offen
	buffer_load_dword v77, v5, s[0:3], 0 offen offset:4
	buffer_load_dword v78, v5, s[0:3], 0 offen offset:8
	buffer_load_dword v79, v5, s[0:3], 0 offen offset:12
	;; [unrolled: 4-line block ×3, first 2 shown]
	v_mov_b32_e32 v7, s61
	v_mov_b32_e32 v12, s60
	;; [unrolled: 1-line block ×14, first 2 shown]
	s_clause 0x37
	buffer_load_dword v68, v7, s[0:3], 0 offen
	buffer_load_dword v69, v7, s[0:3], 0 offen offset:4
	buffer_load_dword v70, v7, s[0:3], 0 offen offset:8
	buffer_load_dword v71, v7, s[0:3], 0 offen offset:12
	buffer_load_dword v56, v12, s[0:3], 0 offen
	buffer_load_dword v57, v12, s[0:3], 0 offen offset:4
	buffer_load_dword v58, v12, s[0:3], 0 offen offset:8
	buffer_load_dword v59, v12, s[0:3], 0 offen offset:12
	;; [unrolled: 4-line block ×14, first 2 shown]
	v_add_co_u32 v150, vcc_lo, v148, v150
	v_ashrrev_i32_e32 v153, 31, v152
	v_add_co_ci_u32_e64 v151, null, v149, v151, vcc_lo
	v_add_nc_u32_e32 v154, s6, v152
	v_readlane_b32 s8, v162, 8
	v_lshlrev_b64 v[152:153], 4, v[152:153]
	v_readlane_b32 s9, v162, 9
	v_ashrrev_i32_e32 v155, 31, v154
	s_waitcnt vmcnt(62)
	global_store_dwordx4 v[150:151], v[0:3], off
	v_add_nc_u32_e32 v0, s6, v154
	v_add_co_u32 v2, vcc_lo, v150, s8
	v_add_co_ci_u32_e64 v3, null, s9, v151, vcc_lo
	v_add_co_u32 v150, vcc_lo, v148, v152
	v_add_nc_u32_e32 v152, s6, v0
	v_add_co_ci_u32_e64 v151, null, v149, v153, vcc_lo
	global_store_dwordx4 v[2:3], v[8:11], off
	v_lshlrev_b64 v[154:155], 4, v[154:155]
	v_ashrrev_i32_e32 v153, 31, v152
	v_add_nc_u32_e32 v2, s6, v152
	global_store_dwordx4 v[150:151], v[16:19], off
	v_ashrrev_i32_e32 v1, 31, v0
	v_lshlrev_b64 v[10:11], 4, v[152:153]
	v_add_nc_u32_e32 v152, s6, v2
	v_add_co_u32 v8, vcc_lo, v148, v154
	v_add_co_ci_u32_e64 v9, null, v149, v155, vcc_lo
	v_add_nc_u32_e32 v154, s6, v152
	v_lshlrev_b64 v[0:1], 4, v[0:1]
	v_ashrrev_i32_e32 v3, 31, v2
	global_store_dwordx4 v[8:9], v[24:27], off
	v_ashrrev_i32_e32 v153, 31, v152
	v_add_nc_u32_e32 v16, s6, v154
	v_ashrrev_i32_e32 v155, 31, v154
	v_add_co_u32 v0, vcc_lo, v148, v0
	v_add_co_ci_u32_e64 v1, null, v149, v1, vcc_lo
	v_add_nc_u32_e32 v150, s6, v16
	v_lshlrev_b64 v[18:19], 4, v[154:155]
	v_lshlrev_b64 v[2:3], 4, v[2:3]
	v_ashrrev_i32_e32 v17, 31, v16
	v_lshlrev_b64 v[152:153], 4, v[152:153]
	v_add_nc_u32_e32 v154, s6, v150
	global_store_dwordx4 v[0:1], v[92:95], off
	v_ashrrev_i32_e32 v151, 31, v150
	v_add_co_u32 v10, vcc_lo, v148, v10
	v_add_nc_u32_e32 v8, s6, v154
	v_ashrrev_i32_e32 v155, 31, v154
	v_add_co_ci_u32_e64 v11, null, v149, v11, vcc_lo
	v_add_co_u32 v2, vcc_lo, v148, v2
	v_add_nc_u32_e32 v26, s6, v8
	v_lshlrev_b64 v[24:25], 4, v[154:155]
	v_lshlrev_b64 v[16:17], 4, v[16:17]
	v_ashrrev_i32_e32 v9, 31, v8
	v_add_co_ci_u32_e64 v3, null, v149, v3, vcc_lo
	v_add_nc_u32_e32 v154, s6, v26
	v_add_co_u32 v152, vcc_lo, v148, v152
	v_lshlrev_b64 v[150:151], 4, v[150:151]
	v_ashrrev_i32_e32 v27, 31, v26
	v_add_nc_u32_e32 v0, s6, v154
	v_ashrrev_i32_e32 v155, 31, v154
	v_add_co_ci_u32_e64 v153, null, v149, v153, vcc_lo
	v_add_co_u32 v18, vcc_lo, v148, v18
	v_add_nc_u32_e32 v94, s6, v0
	v_add_co_ci_u32_e64 v19, null, v149, v19, vcc_lo
	v_add_co_u32 v16, vcc_lo, v148, v16
	v_lshlrev_b64 v[8:9], 4, v[8:9]
	v_lshlrev_b64 v[92:93], 4, v[154:155]
	v_add_nc_u32_e32 v154, s6, v94
	v_ashrrev_i32_e32 v1, 31, v0
	v_add_co_ci_u32_e64 v17, null, v149, v17, vcc_lo
	v_add_co_u32 v150, vcc_lo, v148, v150
	v_lshlrev_b64 v[26:27], 4, v[26:27]
	v_ashrrev_i32_e32 v95, 31, v94
	v_add_co_ci_u32_e64 v151, null, v149, v151, vcc_lo
	v_add_co_u32 v24, vcc_lo, v148, v24
	v_ashrrev_i32_e32 v155, 31, v154
	v_add_co_ci_u32_e64 v25, null, v149, v25, vcc_lo
	v_add_co_u32 v8, vcc_lo, v148, v8
	v_lshlrev_b64 v[0:1], 4, v[0:1]
	v_add_co_ci_u32_e64 v9, null, v149, v9, vcc_lo
	v_add_co_u32 v26, vcc_lo, v148, v26
	v_lshlrev_b64 v[94:95], 4, v[94:95]
	v_add_co_ci_u32_e64 v27, null, v149, v27, vcc_lo
	v_add_co_u32 v92, vcc_lo, v148, v92
	global_store_dwordx4 v[10:11], v[108:111], off
	v_lshlrev_b64 v[108:109], 4, v[154:155]
	v_add_co_ci_u32_e64 v93, null, v149, v93, vcc_lo
	v_add_co_u32 v0, vcc_lo, v148, v0
	v_add_nc_u32_e32 v10, s6, v154
	v_add_co_ci_u32_e64 v1, null, v149, v1, vcc_lo
	v_add_co_u32 v94, vcc_lo, v148, v94
	v_add_co_ci_u32_e64 v95, null, v149, v95, vcc_lo
	v_add_co_u32 v108, vcc_lo, v148, v108
	v_ashrrev_i32_e32 v11, 31, v10
	v_add_co_ci_u32_e64 v109, null, v149, v109, vcc_lo
	global_store_dwordx4 v[2:3], v[96:99], off
	global_store_dwordx4 v[152:153], v[100:103], off
	;; [unrolled: 1-line block ×11, first 2 shown]
	v_mov_b32_e32 v3, s45
	v_add_nc_u32_e32 v110, s6, v10
	global_store_dwordx4 v[108:109], v[124:127], off
	v_lshlrev_b64 v[16:17], 4, v[10:11]
	v_mov_b32_e32 v11, s44
	s_clause 0x7
	buffer_load_dword v0, v3, s[0:3], 0 offen
	buffer_load_dword v1, v3, s[0:3], 0 offen offset:4
	buffer_load_dword v2, v3, s[0:3], 0 offen offset:8
	;; [unrolled: 1-line block ×3, first 2 shown]
	buffer_load_dword v8, v11, s[0:3], 0 offen
	buffer_load_dword v9, v11, s[0:3], 0 offen offset:4
	buffer_load_dword v10, v11, s[0:3], 0 offen offset:8
	;; [unrolled: 1-line block ×3, first 2 shown]
	v_ashrrev_i32_e32 v111, 31, v110
	v_mov_b32_e32 v24, s43
	v_mov_b32_e32 v27, s42
	v_add_co_u32 v96, vcc_lo, v148, v16
	v_lshlrev_b64 v[18:19], 4, v[110:111]
	v_add_co_ci_u32_e64 v97, null, v149, v17, vcc_lo
	v_mov_b32_e32 v95, s41
	v_add_nc_u32_e32 v98, s6, v110
	v_mov_b32_e32 v107, s36
	v_add_co_u32 v100, vcc_lo, v148, v18
	v_add_co_ci_u32_e64 v101, null, v149, v19, vcc_lo
	s_clause 0xb
	buffer_load_dword v16, v24, s[0:3], 0 offen
	buffer_load_dword v17, v24, s[0:3], 0 offen offset:4
	buffer_load_dword v18, v24, s[0:3], 0 offen offset:8
	buffer_load_dword v19, v24, s[0:3], 0 offen offset:12
	buffer_load_dword v24, v27, s[0:3], 0 offen
	buffer_load_dword v25, v27, s[0:3], 0 offen offset:4
	buffer_load_dword v26, v27, s[0:3], 0 offen offset:8
	buffer_load_dword v27, v27, s[0:3], 0 offen offset:12
	;; [unrolled: 4-line block ×3, first 2 shown]
	global_store_dwordx4 v[96:97], v[84:87], off
	v_mov_b32_e32 v87, s40
	global_store_dwordx4 v[100:101], v[88:91], off
	v_mov_b32_e32 v91, s39
	s_clause 0x7
	buffer_load_dword v84, v87, s[0:3], 0 offen
	buffer_load_dword v85, v87, s[0:3], 0 offen offset:4
	buffer_load_dword v86, v87, s[0:3], 0 offen offset:8
	;; [unrolled: 1-line block ×3, first 2 shown]
	buffer_load_dword v88, v91, s[0:3], 0 offen
	buffer_load_dword v89, v91, s[0:3], 0 offen offset:4
	buffer_load_dword v90, v91, s[0:3], 0 offen offset:8
	;; [unrolled: 1-line block ×3, first 2 shown]
	v_ashrrev_i32_e32 v99, 31, v98
	v_add_nc_u32_e32 v102, s6, v98
	v_mov_b32_e32 v115, s34
	v_mov_b32_e32 v131, s26
	;; [unrolled: 1-line block ×3, first 2 shown]
	v_lshlrev_b64 v[96:97], 4, v[98:99]
	v_ashrrev_i32_e32 v103, 31, v102
	v_mov_b32_e32 v99, s38
	v_add_nc_u32_e32 v108, s6, v102
	v_mov_b32_e32 v140, s24
	v_mov_b32_e32 v143, s23
	v_add_co_u32 v116, vcc_lo, v148, v96
	v_lshlrev_b64 v[110:111], 4, v[102:103]
	v_mov_b32_e32 v103, s37
	v_add_co_ci_u32_e64 v117, null, v149, v97, vcc_lo
	s_clause 0xb
	buffer_load_dword v96, v99, s[0:3], 0 offen
	buffer_load_dword v97, v99, s[0:3], 0 offen offset:4
	buffer_load_dword v98, v99, s[0:3], 0 offen offset:8
	buffer_load_dword v99, v99, s[0:3], 0 offen offset:12
	buffer_load_dword v100, v103, s[0:3], 0 offen
	buffer_load_dword v101, v103, s[0:3], 0 offen offset:4
	buffer_load_dword v102, v103, s[0:3], 0 offen offset:8
	buffer_load_dword v103, v103, s[0:3], 0 offen offset:12
	;; [unrolled: 4-line block ×3, first 2 shown]
	v_ashrrev_i32_e32 v109, 31, v108
	v_add_co_u32 v118, vcc_lo, v148, v110
	v_add_co_ci_u32_e64 v119, null, v149, v111, vcc_lo
	v_lshlrev_b64 v[112:113], 4, v[108:109]
	v_mov_b32_e32 v111, s35
	v_add_nc_u32_e32 v122, s6, v108
	v_add_co_u32 v120, vcc_lo, v148, v112
	v_add_co_ci_u32_e64 v121, null, v149, v113, vcc_lo
	s_clause 0x7
	buffer_load_dword v108, v111, s[0:3], 0 offen
	buffer_load_dword v109, v111, s[0:3], 0 offen offset:4
	buffer_load_dword v110, v111, s[0:3], 0 offen offset:8
	;; [unrolled: 1-line block ×3, first 2 shown]
	buffer_load_dword v112, v115, s[0:3], 0 offen
	buffer_load_dword v113, v115, s[0:3], 0 offen offset:4
	buffer_load_dword v114, v115, s[0:3], 0 offen offset:8
	;; [unrolled: 1-line block ×3, first 2 shown]
	global_store_dwordx4 v[116:117], v[72:75], off
	s_waitcnt vmcnt(62)
	global_store_dwordx4 v[118:119], v[76:79], off
	global_store_dwordx4 v[120:121], v[80:83], off
	v_mov_b32_e32 v75, s33
	v_mov_b32_e32 v79, s31
	;; [unrolled: 1-line block ×3, first 2 shown]
	v_ashrrev_i32_e32 v123, 31, v122
	s_clause 0xb
	buffer_load_dword v72, v75, s[0:3], 0 offen
	buffer_load_dword v73, v75, s[0:3], 0 offen offset:4
	buffer_load_dword v74, v75, s[0:3], 0 offen offset:8
	buffer_load_dword v75, v75, s[0:3], 0 offen offset:12
	buffer_load_dword v76, v79, s[0:3], 0 offen
	buffer_load_dword v77, v79, s[0:3], 0 offen offset:4
	buffer_load_dword v78, v79, s[0:3], 0 offen offset:8
	buffer_load_dword v79, v79, s[0:3], 0 offen offset:12
	;; [unrolled: 4-line block ×3, first 2 shown]
	v_add_nc_u32_e32 v116, s6, v122
	v_lshlrev_b64 v[118:119], 4, v[122:123]
	v_mov_b32_e32 v123, s28
	v_ashrrev_i32_e32 v117, 31, v116
	v_add_nc_u32_e32 v124, s6, v116
	v_add_co_u32 v144, vcc_lo, v148, v118
	v_add_co_ci_u32_e64 v145, null, v149, v119, vcc_lo
	v_mov_b32_e32 v119, s29
	v_lshlrev_b64 v[126:127], 4, v[116:117]
	s_clause 0x7
	buffer_load_dword v116, v119, s[0:3], 0 offen
	buffer_load_dword v117, v119, s[0:3], 0 offen offset:4
	buffer_load_dword v118, v119, s[0:3], 0 offen offset:8
	buffer_load_dword v119, v119, s[0:3], 0 offen offset:12
	buffer_load_dword v120, v123, s[0:3], 0 offen
	buffer_load_dword v121, v123, s[0:3], 0 offen offset:4
	buffer_load_dword v122, v123, s[0:3], 0 offen offset:8
	;; [unrolled: 1-line block ×3, first 2 shown]
	v_ashrrev_i32_e32 v125, 31, v124
	v_add_co_u32 v146, vcc_lo, v148, v126
	v_add_co_ci_u32_e64 v147, null, v149, v127, vcc_lo
	v_mov_b32_e32 v127, s27
	v_add_nc_u32_e32 v150, s6, v124
	v_lshlrev_b64 v[136:137], 4, v[124:125]
	s_clause 0xb
	buffer_load_dword v124, v127, s[0:3], 0 offen
	buffer_load_dword v125, v127, s[0:3], 0 offen offset:4
	buffer_load_dword v126, v127, s[0:3], 0 offen offset:8
	buffer_load_dword v127, v127, s[0:3], 0 offen offset:12
	buffer_load_dword v128, v131, s[0:3], 0 offen
	buffer_load_dword v129, v131, s[0:3], 0 offen offset:4
	buffer_load_dword v130, v131, s[0:3], 0 offen offset:8
	buffer_load_dword v131, v131, s[0:3], 0 offen offset:12
	;; [unrolled: 4-line block ×3, first 2 shown]
	v_ashrrev_i32_e32 v151, 31, v150
	v_lshlrev_b64 v[138:139], 4, v[150:151]
	v_add_co_u32 v151, vcc_lo, v148, v136
	v_add_co_ci_u32_e64 v152, null, v149, v137, vcc_lo
	v_add_nc_u32_e32 v150, s6, v150
	v_add_co_u32 v153, vcc_lo, v148, v138
	v_add_co_ci_u32_e64 v154, null, v149, v139, vcc_lo
	s_clause 0x7
	buffer_load_dword v136, v140, s[0:3], 0 offen
	buffer_load_dword v137, v140, s[0:3], 0 offen offset:4
	buffer_load_dword v138, v140, s[0:3], 0 offen offset:8
	buffer_load_dword v139, v140, s[0:3], 0 offen offset:12
	buffer_load_dword v140, v143, s[0:3], 0 offen
	buffer_load_dword v141, v143, s[0:3], 0 offen offset:4
	buffer_load_dword v142, v143, s[0:3], 0 offen offset:8
	;; [unrolled: 1-line block ×3, first 2 shown]
	global_store_dwordx4 v[144:145], v[68:71], off
	v_mov_b32_e32 v68, s22
	global_store_dwordx4 v[146:147], v[56:59], off
	global_store_dwordx4 v[151:152], v[60:63], off
	;; [unrolled: 1-line block ×3, first 2 shown]
	v_mov_b32_e32 v63, s19
	v_mov_b32_e32 v71, s7
	v_mov_b32_e32 v67, s18
	v_mov_b32_e32 v147, s5
	s_clause 0x13
	buffer_load_dword v56, v68, s[0:3], 0 offen
	buffer_load_dword v57, v68, s[0:3], 0 offen offset:4
	buffer_load_dword v58, v68, s[0:3], 0 offen offset:8
	buffer_load_dword v59, v68, s[0:3], 0 offen offset:12
	buffer_load_dword v60, v63, s[0:3], 0 offen
	buffer_load_dword v61, v63, s[0:3], 0 offen offset:4
	buffer_load_dword v62, v63, s[0:3], 0 offen offset:8
	buffer_load_dword v63, v63, s[0:3], 0 offen offset:12
	buffer_load_dword v64, v67, s[0:3], 0 offen
	buffer_load_dword v65, v67, s[0:3], 0 offen offset:4
	buffer_load_dword v66, v67, s[0:3], 0 offen offset:8
	buffer_load_dword v67, v67, s[0:3], 0 offen offset:12
	buffer_load_dword v68, v71, s[0:3], 0 offen
	buffer_load_dword v69, v71, s[0:3], 0 offen offset:4
	buffer_load_dword v70, v71, s[0:3], 0 offen offset:8
	buffer_load_dword v71, v71, s[0:3], 0 offen offset:12
	buffer_load_dword v144, v147, s[0:3], 0 offen
	buffer_load_dword v145, v147, s[0:3], 0 offen offset:4
	buffer_load_dword v146, v147, s[0:3], 0 offen offset:8
	buffer_load_dword v147, v147, s[0:3], 0 offen offset:12
	v_ashrrev_i32_e32 v151, 31, v150
	v_add_nc_u32_e32 v152, s6, v150
	v_lshlrev_b64 v[150:151], 4, v[150:151]
	v_ashrrev_i32_e32 v153, 31, v152
	v_add_nc_u32_e32 v154, s6, v152
	v_add_co_u32 v150, vcc_lo, v148, v150
	v_add_co_ci_u32_e64 v151, null, v149, v151, vcc_lo
	v_lshlrev_b64 v[152:153], 4, v[152:153]
	v_ashrrev_i32_e32 v155, 31, v154
	global_store_dwordx4 v[150:151], v[52:55], off
	v_add_nc_u32_e32 v52, s6, v154
	v_add_co_u32 v54, vcc_lo, v148, v152
	v_add_co_ci_u32_e64 v55, null, v149, v153, vcc_lo
	v_add_nc_u32_e32 v150, s6, v52
	v_ashrrev_i32_e32 v53, 31, v52
	v_lshlrev_b64 v[152:153], 4, v[154:155]
	global_store_dwordx4 v[54:55], v[48:51], off
	v_ashrrev_i32_e32 v151, 31, v150
	v_lshlrev_b64 v[48:49], 4, v[52:53]
	v_add_nc_u32_e32 v54, s6, v150
	v_add_co_u32 v50, vcc_lo, v148, v152
	v_lshlrev_b64 v[52:53], 4, v[150:151]
	v_add_co_ci_u32_e64 v51, null, v149, v153, vcc_lo
	v_add_co_u32 v48, vcc_lo, v148, v48
	v_add_co_ci_u32_e64 v49, null, v149, v49, vcc_lo
	v_add_co_u32 v52, vcc_lo, v148, v52
	v_add_nc_u32_e32 v150, s6, v54
	v_add_co_ci_u32_e64 v53, null, v149, v53, vcc_lo
	v_ashrrev_i32_e32 v55, 31, v54
	global_store_dwordx4 v[50:51], v[36:39], off
	global_store_dwordx4 v[48:49], v[40:43], off
	;; [unrolled: 1-line block ×3, first 2 shown]
	v_add_nc_u32_e32 v40, s6, v150
	v_ashrrev_i32_e32 v151, 31, v150
	v_lshlrev_b64 v[36:37], 4, v[54:55]
	v_add_nc_u32_e32 v42, s6, v40
	v_lshlrev_b64 v[38:39], 4, v[150:151]
	v_ashrrev_i32_e32 v41, 31, v40
	v_add_co_u32 v36, vcc_lo, v148, v36
	v_add_nc_u32_e32 v44, s6, v42
	v_add_co_ci_u32_e64 v37, null, v149, v37, vcc_lo
	v_add_co_u32 v38, vcc_lo, v148, v38
	v_ashrrev_i32_e32 v43, 31, v42
	v_add_co_ci_u32_e64 v39, null, v149, v39, vcc_lo
	v_ashrrev_i32_e32 v45, 31, v44
	v_lshlrev_b64 v[40:41], 4, v[40:41]
	global_store_dwordx4 v[36:37], v[28:31], off
	s_waitcnt vmcnt(62)
	global_store_dwordx4 v[38:39], v[32:35], off
	v_lshlrev_b64 v[28:29], 4, v[42:43]
	v_add_nc_u32_e32 v34, s6, v44
	v_lshlrev_b64 v[32:33], 4, v[44:45]
	v_add_co_u32 v30, vcc_lo, v148, v40
	v_add_co_ci_u32_e64 v31, null, v149, v41, vcc_lo
	v_add_co_u32 v28, vcc_lo, v148, v28
	v_add_co_ci_u32_e64 v29, null, v149, v29, vcc_lo
	v_add_co_u32 v32, vcc_lo, v148, v32
	v_add_nc_u32_e32 v36, s6, v34
	v_add_co_ci_u32_e64 v33, null, v149, v33, vcc_lo
	v_ashrrev_i32_e32 v35, 31, v34
	global_store_dwordx4 v[30:31], v[4:7], off
	global_store_dwordx4 v[28:29], v[12:15], off
	;; [unrolled: 1-line block ×3, first 2 shown]
	v_add_nc_u32_e32 v12, s6, v36
	v_ashrrev_i32_e32 v37, 31, v36
	v_lshlrev_b64 v[4:5], 4, v[34:35]
	v_add_nc_u32_e32 v14, s6, v12
	v_lshlrev_b64 v[6:7], 4, v[36:37]
	v_ashrrev_i32_e32 v13, 31, v12
	v_add_co_u32 v4, vcc_lo, v148, v4
	v_add_nc_u32_e32 v20, s6, v14
	v_add_co_ci_u32_e64 v5, null, v149, v5, vcc_lo
	v_add_co_u32 v6, vcc_lo, v148, v6
	v_ashrrev_i32_e32 v15, 31, v14
	v_add_co_ci_u32_e64 v7, null, v149, v7, vcc_lo
	v_ashrrev_i32_e32 v21, 31, v20
	v_lshlrev_b64 v[12:13], 4, v[12:13]
	global_store_dwordx4 v[4:5], v[0:3], off
	global_store_dwordx4 v[6:7], v[8:11], off
	v_lshlrev_b64 v[0:1], 4, v[14:15]
	v_lshlrev_b64 v[4:5], 4, v[20:21]
	v_add_co_u32 v2, vcc_lo, v148, v12
	v_add_nc_u32_e32 v6, s6, v20
	v_add_co_ci_u32_e64 v3, null, v149, v13, vcc_lo
	v_add_co_u32 v0, vcc_lo, v148, v0
	v_add_co_ci_u32_e64 v1, null, v149, v1, vcc_lo
	v_add_co_u32 v4, vcc_lo, v148, v4
	v_add_nc_u32_e32 v8, s6, v6
	v_add_co_ci_u32_e64 v5, null, v149, v5, vcc_lo
	v_ashrrev_i32_e32 v7, 31, v6
	global_store_dwordx4 v[2:3], v[16:19], off
	global_store_dwordx4 v[0:1], v[24:27], off
	;; [unrolled: 1-line block ×3, first 2 shown]
	v_add_nc_u32_e32 v4, s6, v8
	v_ashrrev_i32_e32 v9, 31, v8
	v_lshlrev_b64 v[2:3], 4, v[6:7]
	v_add_nc_u32_e32 v6, s6, v4
	v_lshlrev_b64 v[0:1], 4, v[8:9]
	v_ashrrev_i32_e32 v5, 31, v4
	v_add_co_u32 v2, vcc_lo, v148, v2
	v_add_nc_u32_e32 v8, s6, v6
	v_add_co_ci_u32_e64 v3, null, v149, v3, vcc_lo
	v_add_co_u32 v0, vcc_lo, v148, v0
	v_lshlrev_b64 v[4:5], 4, v[4:5]
	v_ashrrev_i32_e32 v7, 31, v6
	v_add_co_ci_u32_e64 v1, null, v149, v1, vcc_lo
	v_ashrrev_i32_e32 v9, 31, v8
	global_store_dwordx4 v[2:3], v[84:87], off
	global_store_dwordx4 v[0:1], v[88:91], off
	v_lshlrev_b64 v[0:1], 4, v[6:7]
	v_add_co_u32 v2, vcc_lo, v148, v4
	v_add_co_ci_u32_e64 v3, null, v149, v5, vcc_lo
	v_lshlrev_b64 v[4:5], 4, v[8:9]
	v_add_nc_u32_e32 v6, s6, v8
	v_add_co_u32 v0, vcc_lo, v148, v0
	v_add_co_ci_u32_e64 v1, null, v149, v1, vcc_lo
	v_add_co_u32 v4, vcc_lo, v148, v4
	v_add_nc_u32_e32 v8, s6, v6
	v_add_co_ci_u32_e64 v5, null, v149, v5, vcc_lo
	v_ashrrev_i32_e32 v7, 31, v6
	global_store_dwordx4 v[2:3], v[96:99], off
	global_store_dwordx4 v[0:1], v[100:103], off
	;; [unrolled: 1-line block ×3, first 2 shown]
	v_add_nc_u32_e32 v4, s6, v8
	v_ashrrev_i32_e32 v9, 31, v8
	v_lshlrev_b64 v[2:3], 4, v[6:7]
	v_add_nc_u32_e32 v6, s6, v4
	v_lshlrev_b64 v[0:1], 4, v[8:9]
	v_ashrrev_i32_e32 v5, 31, v4
	v_add_co_u32 v2, vcc_lo, v148, v2
	v_add_nc_u32_e32 v8, s6, v6
	v_add_co_ci_u32_e64 v3, null, v149, v3, vcc_lo
	v_add_co_u32 v0, vcc_lo, v148, v0
	v_lshlrev_b64 v[4:5], 4, v[4:5]
	v_ashrrev_i32_e32 v7, 31, v6
	v_add_co_ci_u32_e64 v1, null, v149, v1, vcc_lo
	v_ashrrev_i32_e32 v9, 31, v8
	global_store_dwordx4 v[2:3], v[108:111], off
	s_waitcnt vmcnt(60)
	global_store_dwordx4 v[0:1], v[112:115], off
	v_lshlrev_b64 v[0:1], 4, v[6:7]
	v_add_co_u32 v2, vcc_lo, v148, v4
	v_add_co_ci_u32_e64 v3, null, v149, v5, vcc_lo
	v_lshlrev_b64 v[4:5], 4, v[8:9]
	v_add_nc_u32_e32 v6, s6, v8
	v_add_co_u32 v0, vcc_lo, v148, v0
	v_add_co_ci_u32_e64 v1, null, v149, v1, vcc_lo
	v_add_co_u32 v4, vcc_lo, v148, v4
	v_add_nc_u32_e32 v8, s6, v6
	v_add_co_ci_u32_e64 v5, null, v149, v5, vcc_lo
	v_ashrrev_i32_e32 v7, 31, v6
	s_waitcnt vmcnt(56)
	global_store_dwordx4 v[2:3], v[72:75], off
	s_waitcnt vmcnt(52)
	global_store_dwordx4 v[0:1], v[76:79], off
	;; [unrolled: 2-line block ×3, first 2 shown]
	v_add_nc_u32_e32 v4, s6, v8
	v_ashrrev_i32_e32 v9, 31, v8
	v_lshlrev_b64 v[2:3], 4, v[6:7]
	v_add_nc_u32_e32 v6, s6, v4
	v_lshlrev_b64 v[0:1], 4, v[8:9]
	v_ashrrev_i32_e32 v5, 31, v4
	v_add_co_u32 v2, vcc_lo, v148, v2
	v_add_nc_u32_e32 v8, s6, v6
	v_add_co_ci_u32_e64 v3, null, v149, v3, vcc_lo
	v_add_co_u32 v0, vcc_lo, v148, v0
	v_lshlrev_b64 v[4:5], 4, v[4:5]
	v_ashrrev_i32_e32 v7, 31, v6
	v_add_co_ci_u32_e64 v1, null, v149, v1, vcc_lo
	v_ashrrev_i32_e32 v9, 31, v8
	s_waitcnt vmcnt(44)
	global_store_dwordx4 v[2:3], v[116:119], off
	s_waitcnt vmcnt(40)
	global_store_dwordx4 v[0:1], v[120:123], off
	v_lshlrev_b64 v[0:1], 4, v[6:7]
	v_add_co_u32 v2, vcc_lo, v148, v4
	v_add_co_ci_u32_e64 v3, null, v149, v5, vcc_lo
	v_lshlrev_b64 v[4:5], 4, v[8:9]
	v_add_nc_u32_e32 v6, s6, v8
	v_add_co_u32 v0, vcc_lo, v148, v0
	v_add_co_ci_u32_e64 v1, null, v149, v1, vcc_lo
	v_add_co_u32 v4, vcc_lo, v148, v4
	v_add_nc_u32_e32 v8, s6, v6
	v_add_co_ci_u32_e64 v5, null, v149, v5, vcc_lo
	v_ashrrev_i32_e32 v7, 31, v6
	s_waitcnt vmcnt(36)
	global_store_dwordx4 v[2:3], v[124:127], off
	s_waitcnt vmcnt(32)
	global_store_dwordx4 v[0:1], v[128:131], off
	;; [unrolled: 2-line block ×3, first 2 shown]
	v_add_nc_u32_e32 v4, s6, v8
	v_ashrrev_i32_e32 v9, 31, v8
	v_lshlrev_b64 v[2:3], 4, v[6:7]
	v_add_nc_u32_e32 v6, s6, v4
	v_lshlrev_b64 v[0:1], 4, v[8:9]
	v_ashrrev_i32_e32 v5, 31, v4
	v_add_co_u32 v2, vcc_lo, v148, v2
	v_add_co_ci_u32_e64 v3, null, v149, v3, vcc_lo
	v_add_nc_u32_e32 v8, s6, v6
	v_add_co_u32 v0, vcc_lo, v148, v0
	v_add_co_ci_u32_e64 v1, null, v149, v1, vcc_lo
	v_ashrrev_i32_e32 v7, 31, v6
	s_waitcnt vmcnt(24)
	global_store_dwordx4 v[2:3], v[136:139], off
	v_lshlrev_b64 v[2:3], 4, v[4:5]
	v_ashrrev_i32_e32 v9, 31, v8
	v_add_nc_u32_e32 v4, s6, v8
	s_waitcnt vmcnt(20)
	global_store_dwordx4 v[0:1], v[140:143], off
	v_lshlrev_b64 v[0:1], 4, v[6:7]
	v_lshlrev_b64 v[6:7], 4, v[8:9]
	v_add_nc_u32_e32 v8, s6, v4
	v_ashrrev_i32_e32 v5, 31, v4
	v_add_co_u32 v2, vcc_lo, v148, v2
	v_add_co_ci_u32_e64 v3, null, v149, v3, vcc_lo
	v_ashrrev_i32_e32 v9, 31, v8
	v_lshlrev_b64 v[4:5], 4, v[4:5]
	v_add_co_u32 v0, vcc_lo, v148, v0
	v_add_co_ci_u32_e64 v1, null, v149, v1, vcc_lo
	v_lshlrev_b64 v[8:9], 4, v[8:9]
	v_add_co_u32 v6, vcc_lo, v148, v6
	v_add_co_ci_u32_e64 v7, null, v149, v7, vcc_lo
	v_add_co_u32 v4, vcc_lo, v148, v4
	v_add_co_ci_u32_e64 v5, null, v149, v5, vcc_lo
	v_add_co_u32 v8, vcc_lo, v148, v8
	v_add_co_ci_u32_e64 v9, null, v149, v9, vcc_lo
	s_waitcnt vmcnt(16)
	global_store_dwordx4 v[2:3], v[56:59], off
	s_waitcnt vmcnt(12)
	global_store_dwordx4 v[0:1], v[60:63], off
	;; [unrolled: 2-line block ×5, first 2 shown]
.LBB126_1483:
	s_endpgm
	.section	.rodata,"a",@progbits
	.p2align	6, 0x0
	.amdhsa_kernel _ZN9rocsolver6v33100L18getf2_small_kernelILi64E19rocblas_complex_numIdEiiPS3_EEvT1_T3_lS5_lPS5_llPT2_S5_S5_S7_l
		.amdhsa_group_segment_fixed_size 0
		.amdhsa_private_segment_fixed_size 1040
		.amdhsa_kernarg_size 352
		.amdhsa_user_sgpr_count 6
		.amdhsa_user_sgpr_private_segment_buffer 1
		.amdhsa_user_sgpr_dispatch_ptr 0
		.amdhsa_user_sgpr_queue_ptr 0
		.amdhsa_user_sgpr_kernarg_segment_ptr 1
		.amdhsa_user_sgpr_dispatch_id 0
		.amdhsa_user_sgpr_flat_scratch_init 0
		.amdhsa_user_sgpr_private_segment_size 0
		.amdhsa_wavefront_size32 1
		.amdhsa_uses_dynamic_stack 0
		.amdhsa_system_sgpr_private_segment_wavefront_offset 1
		.amdhsa_system_sgpr_workgroup_id_x 1
		.amdhsa_system_sgpr_workgroup_id_y 1
		.amdhsa_system_sgpr_workgroup_id_z 0
		.amdhsa_system_sgpr_workgroup_info 0
		.amdhsa_system_vgpr_workitem_id 1
		.amdhsa_next_free_vgpr 163
		.amdhsa_next_free_sgpr 105
		.amdhsa_reserve_vcc 1
		.amdhsa_reserve_flat_scratch 0
		.amdhsa_float_round_mode_32 0
		.amdhsa_float_round_mode_16_64 0
		.amdhsa_float_denorm_mode_32 3
		.amdhsa_float_denorm_mode_16_64 3
		.amdhsa_dx10_clamp 1
		.amdhsa_ieee_mode 1
		.amdhsa_fp16_overflow 0
		.amdhsa_workgroup_processor_mode 1
		.amdhsa_memory_ordered 1
		.amdhsa_forward_progress 1
		.amdhsa_shared_vgpr_count 0
		.amdhsa_exception_fp_ieee_invalid_op 0
		.amdhsa_exception_fp_denorm_src 0
		.amdhsa_exception_fp_ieee_div_zero 0
		.amdhsa_exception_fp_ieee_overflow 0
		.amdhsa_exception_fp_ieee_underflow 0
		.amdhsa_exception_fp_ieee_inexact 0
		.amdhsa_exception_int_div_zero 0
	.end_amdhsa_kernel
	.section	.text._ZN9rocsolver6v33100L18getf2_small_kernelILi64E19rocblas_complex_numIdEiiPS3_EEvT1_T3_lS5_lPS5_llPT2_S5_S5_S7_l,"axG",@progbits,_ZN9rocsolver6v33100L18getf2_small_kernelILi64E19rocblas_complex_numIdEiiPS3_EEvT1_T3_lS5_lPS5_llPT2_S5_S5_S7_l,comdat
.Lfunc_end126:
	.size	_ZN9rocsolver6v33100L18getf2_small_kernelILi64E19rocblas_complex_numIdEiiPS3_EEvT1_T3_lS5_lPS5_llPT2_S5_S5_S7_l, .Lfunc_end126-_ZN9rocsolver6v33100L18getf2_small_kernelILi64E19rocblas_complex_numIdEiiPS3_EEvT1_T3_lS5_lPS5_llPT2_S5_S5_S7_l
                                        ; -- End function
	.set _ZN9rocsolver6v33100L18getf2_small_kernelILi64E19rocblas_complex_numIdEiiPS3_EEvT1_T3_lS5_lPS5_llPT2_S5_S5_S7_l.num_vgpr, 163
	.set _ZN9rocsolver6v33100L18getf2_small_kernelILi64E19rocblas_complex_numIdEiiPS3_EEvT1_T3_lS5_lPS5_llPT2_S5_S5_S7_l.num_agpr, 0
	.set _ZN9rocsolver6v33100L18getf2_small_kernelILi64E19rocblas_complex_numIdEiiPS3_EEvT1_T3_lS5_lPS5_llPT2_S5_S5_S7_l.numbered_sgpr, 105
	.set _ZN9rocsolver6v33100L18getf2_small_kernelILi64E19rocblas_complex_numIdEiiPS3_EEvT1_T3_lS5_lPS5_llPT2_S5_S5_S7_l.num_named_barrier, 0
	.set _ZN9rocsolver6v33100L18getf2_small_kernelILi64E19rocblas_complex_numIdEiiPS3_EEvT1_T3_lS5_lPS5_llPT2_S5_S5_S7_l.private_seg_size, 1040
	.set _ZN9rocsolver6v33100L18getf2_small_kernelILi64E19rocblas_complex_numIdEiiPS3_EEvT1_T3_lS5_lPS5_llPT2_S5_S5_S7_l.uses_vcc, 1
	.set _ZN9rocsolver6v33100L18getf2_small_kernelILi64E19rocblas_complex_numIdEiiPS3_EEvT1_T3_lS5_lPS5_llPT2_S5_S5_S7_l.uses_flat_scratch, 0
	.set _ZN9rocsolver6v33100L18getf2_small_kernelILi64E19rocblas_complex_numIdEiiPS3_EEvT1_T3_lS5_lPS5_llPT2_S5_S5_S7_l.has_dyn_sized_stack, 0
	.set _ZN9rocsolver6v33100L18getf2_small_kernelILi64E19rocblas_complex_numIdEiiPS3_EEvT1_T3_lS5_lPS5_llPT2_S5_S5_S7_l.has_recursion, 0
	.set _ZN9rocsolver6v33100L18getf2_small_kernelILi64E19rocblas_complex_numIdEiiPS3_EEvT1_T3_lS5_lPS5_llPT2_S5_S5_S7_l.has_indirect_call, 0
	.section	.AMDGPU.csdata,"",@progbits
; Kernel info:
; codeLenInByte = 180472
; TotalNumSgprs: 107
; NumVgprs: 163
; ScratchSize: 1040
; MemoryBound: 0
; FloatMode: 240
; IeeeMode: 1
; LDSByteSize: 0 bytes/workgroup (compile time only)
; SGPRBlocks: 0
; VGPRBlocks: 20
; NumSGPRsForWavesPerEU: 107
; NumVGPRsForWavesPerEU: 163
; Occupancy: 5
; WaveLimiterHint : 1
; COMPUTE_PGM_RSRC2:SCRATCH_EN: 1
; COMPUTE_PGM_RSRC2:USER_SGPR: 6
; COMPUTE_PGM_RSRC2:TRAP_HANDLER: 0
; COMPUTE_PGM_RSRC2:TGID_X_EN: 1
; COMPUTE_PGM_RSRC2:TGID_Y_EN: 1
; COMPUTE_PGM_RSRC2:TGID_Z_EN: 0
; COMPUTE_PGM_RSRC2:TIDIG_COMP_CNT: 1
	.section	.text._ZN9rocsolver6v33100L23getf2_npvt_small_kernelILi64E19rocblas_complex_numIdEiiPS3_EEvT1_T3_lS5_lPT2_S5_S5_,"axG",@progbits,_ZN9rocsolver6v33100L23getf2_npvt_small_kernelILi64E19rocblas_complex_numIdEiiPS3_EEvT1_T3_lS5_lPT2_S5_S5_,comdat
	.globl	_ZN9rocsolver6v33100L23getf2_npvt_small_kernelILi64E19rocblas_complex_numIdEiiPS3_EEvT1_T3_lS5_lPT2_S5_S5_ ; -- Begin function _ZN9rocsolver6v33100L23getf2_npvt_small_kernelILi64E19rocblas_complex_numIdEiiPS3_EEvT1_T3_lS5_lPT2_S5_S5_
	.p2align	8
	.type	_ZN9rocsolver6v33100L23getf2_npvt_small_kernelILi64E19rocblas_complex_numIdEiiPS3_EEvT1_T3_lS5_lPT2_S5_S5_,@function
_ZN9rocsolver6v33100L23getf2_npvt_small_kernelILi64E19rocblas_complex_numIdEiiPS3_EEvT1_T3_lS5_lPT2_S5_S5_: ; @_ZN9rocsolver6v33100L23getf2_npvt_small_kernelILi64E19rocblas_complex_numIdEiiPS3_EEvT1_T3_lS5_lPT2_S5_S5_
; %bb.0:
	s_clause 0x1
	s_load_dword s6, s[4:5], 0x44
	s_load_dwordx2 s[16:17], s[4:5], 0x30
	s_add_u32 s0, s0, s8
	s_addc_u32 s1, s1, 0
	s_waitcnt lgkmcnt(0)
	s_lshr_b32 s10, s6, 16
	s_mov_b32 s6, exec_lo
	v_mad_u64_u32 v[126:127], null, s7, s10, v[1:2]
	v_cmpx_gt_i32_e64 s16, v126
	s_cbranch_execnz .LBB127_1
; %bb.718:
	s_getpc_b64 s[102:103]
.Lpost_getpc29:
	s_add_u32 s102, s102, (.LBB127_717-.Lpost_getpc29)&4294967295
	s_addc_u32 s103, s103, (.LBB127_717-.Lpost_getpc29)>>32
	s_setpc_b64 s[102:103]
.LBB127_1:
	s_clause 0x2
	s_load_dwordx4 s[12:15], s[4:5], 0x20
	s_load_dword s8, s[4:5], 0x18
	s_load_dwordx4 s[4:7], s[4:5], 0x8
	v_ashrrev_i32_e32 v127, 31, v126
	v_lshlrev_b32_e32 v13, 4, v0
	s_movk_i32 s11, 0xc0
	s_movk_i32 s16, 0xf0
	;; [unrolled: 1-line block ×15, first 2 shown]
	s_waitcnt lgkmcnt(0)
	v_mul_lo_u32 v5, s13, v126
	v_mul_lo_u32 v7, s12, v127
	v_mad_u64_u32 v[2:3], null, s12, v126, 0
	v_add3_u32 v4, s8, s8, v0
	s_lshl_b64 s[6:7], s[6:7], 4
	s_ashr_i32 s9, s8, 31
	s_movk_i32 s31, 0x1d0
	s_lshl_b64 s[12:13], s[8:9], 4
	v_add_nc_u32_e32 v6, s8, v4
	v_add3_u32 v3, v3, v7, v5
	v_ashrrev_i32_e32 v5, 31, v4
	s_movk_i32 s9, 0xa0
	s_movk_i32 s33, 0x1e0
	v_add_nc_u32_e32 v8, s8, v6
	v_lshlrev_b64 v[2:3], 4, v[2:3]
	v_lshlrev_b64 v[4:5], 4, v[4:5]
	v_ashrrev_i32_e32 v7, 31, v6
	s_movk_i32 s34, 0x1f0
	v_add_nc_u32_e32 v10, s8, v8
	v_ashrrev_i32_e32 v9, 31, v8
	v_add_co_u32 v14, vcc_lo, s4, v2
	v_add_co_ci_u32_e64 v15, null, s5, v3, vcc_lo
	v_ashrrev_i32_e32 v11, 31, v10
	v_add_co_u32 v128, vcc_lo, v14, s6
	v_add_co_ci_u32_e64 v129, null, s7, v15, vcc_lo
	v_lshlrev_b64 v[2:3], 4, v[8:9]
	v_add_co_u32 v253, vcc_lo, v128, v13
	v_add_nc_u32_e32 v12, s8, v10
	v_lshlrev_b64 v[8:9], 4, v[10:11]
	v_add_co_ci_u32_e64 v254, null, 0, v129, vcc_lo
	v_add_co_u32 v10, vcc_lo, v128, v4
	v_add_co_ci_u32_e64 v11, null, v129, v5, vcc_lo
	buffer_store_dword v10, off, s[0:3], 0 offset:1048 ; 4-byte Folded Spill
	buffer_store_dword v11, off, s[0:3], 0 offset:1052 ; 4-byte Folded Spill
	v_lshlrev_b64 v[6:7], 4, v[6:7]
	v_ashrrev_i32_e32 v13, 31, v12
	v_add_nc_u32_e32 v26, s8, v12
	s_lshl_b32 s4, s10, 10
	v_cmp_ne_u32_e64 s5, 0, v0
	s_movk_i32 s7, 0x80
	v_add_co_u32 v6, vcc_lo, v128, v6
	v_add_co_ci_u32_e64 v7, null, v129, v7, vcc_lo
	v_add_co_u32 v4, vcc_lo, v128, v2
	v_add_co_ci_u32_e64 v5, null, v129, v3, vcc_lo
	;; [unrolled: 2-line block ×3, first 2 shown]
	v_lshlrev_b64 v[30:31], 4, v[12:13]
	v_ashrrev_i32_e32 v27, 31, v26
	v_add_nc_u32_e32 v28, s8, v26
	s_movk_i32 s10, 0xb0
	s_movk_i32 s35, 0x200
	;; [unrolled: 1-line block ×3, first 2 shown]
	v_lshlrev_b64 v[26:27], 4, v[26:27]
	v_ashrrev_i32_e32 v29, 31, v28
	v_add_nc_u32_e32 v32, s8, v28
	s_movk_i32 s37, 0x220
	s_movk_i32 s38, 0x230
	;; [unrolled: 1-line block ×3, first 2 shown]
	v_lshlrev_b64 v[28:29], 4, v[28:29]
	v_ashrrev_i32_e32 v33, 31, v32
	s_movk_i32 s40, 0x250
	s_movk_i32 s41, 0x260
	;; [unrolled: 1-line block ×26, first 2 shown]
	s_movk_i32 vcc_hi, 0x3f0
	s_movk_i32 s42, 0x50
	s_movk_i32 s43, 0x70
	;; [unrolled: 1-line block ×3, first 2 shown]
	global_load_dwordx4 v[18:21], v[10:11], off
	buffer_store_dword v6, off, s[0:3], 0 offset:1040 ; 4-byte Folded Spill
	buffer_store_dword v7, off, s[0:3], 0 offset:1044 ; 4-byte Folded Spill
	v_add_co_u32 v10, vcc_lo, v253, s12
	v_add_co_ci_u32_e64 v11, null, s13, v254, vcc_lo
	v_add_co_u32 v34, vcc_lo, v128, v30
	v_add_co_ci_u32_e64 v35, null, v129, v31, vcc_lo
	;; [unrolled: 2-line block ×4, first 2 shown]
	v_lshlrev_b64 v[26:27], 4, v[32:33]
	v_add_nc_u32_e32 v30, s8, v32
	s_movk_i32 s12, 0xd0
	s_movk_i32 s13, 0xe0
	v_add_co_u32 v46, vcc_lo, v128, v26
	v_add_co_ci_u32_e64 v47, null, v129, v27, vcc_lo
	v_ashrrev_i32_e32 v31, 31, v30
	v_add_nc_u32_e32 v32, s8, v30
	v_lshlrev_b64 v[28:29], 4, v[30:31]
	v_ashrrev_i32_e32 v33, 31, v32
	v_add_nc_u32_e32 v30, s8, v32
	v_add_co_u32 v50, vcc_lo, v128, v28
	v_add_co_ci_u32_e64 v51, null, v129, v29, vcc_lo
	v_lshlrev_b64 v[32:33], 4, v[32:33]
	v_ashrrev_i32_e32 v31, 31, v30
	v_add_nc_u32_e32 v26, s8, v30
	v_add_co_u32 v52, vcc_lo, v128, v32
	v_add_co_ci_u32_e64 v53, null, v129, v33, vcc_lo
	;; [unrolled: 5-line block ×9, first 2 shown]
	v_lshlrev_b64 v[26:27], 4, v[32:33]
	v_ashrrev_i32_e32 v31, 31, v30
	v_add_co_u32 v88, vcc_lo, v128, v26
	v_add_co_ci_u32_e64 v89, null, v129, v27, vcc_lo
	v_lshlrev_b64 v[28:29], 4, v[30:31]
	v_add_nc_u32_e32 v26, s8, v30
	v_add_co_u32 v32, vcc_lo, v128, v28
	v_add_co_ci_u32_e64 v33, null, v129, v29, vcc_lo
	v_ashrrev_i32_e32 v27, 31, v26
	v_add_nc_u32_e32 v28, s8, v26
	v_lshlrev_b64 v[26:27], 4, v[26:27]
	v_ashrrev_i32_e32 v29, 31, v28
	v_add_nc_u32_e32 v30, s8, v28
	v_lshlrev_b64 v[28:29], 4, v[28:29]
	v_ashrrev_i32_e32 v31, 31, v30
	global_load_dwordx4 v[14:17], v[6:7], off
	buffer_store_dword v4, off, s[0:3], 0 offset:1032 ; 4-byte Folded Spill
	buffer_store_dword v5, off, s[0:3], 0 offset:1036 ; 4-byte Folded Spill
	global_load_dwordx4 v[6:9], v[4:5], off
	buffer_store_dword v2, off, s[0:3], 0 offset:1024 ; 4-byte Folded Spill
	buffer_store_dword v3, off, s[0:3], 0 offset:1028 ; 4-byte Folded Spill
	s_clause 0x1
	global_load_dwordx4 v[22:25], v[253:254], off
	global_load_dwordx4 v[2:5], v[2:3], off
	buffer_store_dword v10, off, s[0:3], 0 offset:1064 ; 4-byte Folded Spill
	buffer_store_dword v11, off, s[0:3], 0 offset:1068 ; 4-byte Folded Spill
	global_load_dwordx4 v[10:13], v[10:11], off
	buffer_store_dword v34, off, s[0:3], 0 offset:1056 ; 4-byte Folded Spill
	buffer_store_dword v35, off, s[0:3], 0 offset:1060 ; 4-byte Folded Spill
	;; [unrolled: 3-line block ×7, first 2 shown]
	v_add_co_u32 v50, vcc_lo, v128, v26
	v_add_co_ci_u32_e64 v51, null, v129, v27, vcc_lo
	v_add_nc_u32_e32 v26, s8, v30
	v_lshlrev_b64 v[30:31], 4, v[30:31]
	v_ashrrev_i32_e32 v27, 31, v26
	global_load_dwordx4 v[78:81], v[52:53], off
	buffer_store_dword v54, off, s[0:3], 0 offset:1112 ; 4-byte Folded Spill
	buffer_store_dword v55, off, s[0:3], 0 offset:1116 ; 4-byte Folded Spill
	global_load_dwordx4 v[74:77], v[54:55], off
	buffer_store_dword v56, off, s[0:3], 0 offset:1120 ; 4-byte Folded Spill
	buffer_store_dword v57, off, s[0:3], 0 offset:1124 ; 4-byte Folded Spill
	global_load_dwordx4 v[70:73], v[56:57], off
	buffer_store_dword v58, off, s[0:3], 0 offset:1128 ; 4-byte Folded Spill
	buffer_store_dword v59, off, s[0:3], 0 offset:1132 ; 4-byte Folded Spill
	global_load_dwordx4 v[66:69], v[58:59], off
	buffer_store_dword v60, off, s[0:3], 0 offset:1136 ; 4-byte Folded Spill
	buffer_store_dword v61, off, s[0:3], 0 offset:1140 ; 4-byte Folded Spill
	global_load_dwordx4 v[62:65], v[60:61], off
	buffer_store_dword v86, off, s[0:3], 0 offset:1152 ; 4-byte Folded Spill
	buffer_store_dword v87, off, s[0:3], 0 offset:1156 ; 4-byte Folded Spill
	global_load_dwordx4 v[98:101], v[86:87], off
	buffer_store_dword v92, off, s[0:3], 0 offset:1176 ; 4-byte Folded Spill
	buffer_store_dword v93, off, s[0:3], 0 offset:1180 ; 4-byte Folded Spill
	global_load_dwordx4 v[94:97], v[92:93], off
	buffer_store_dword v90, off, s[0:3], 0 offset:1168 ; 4-byte Folded Spill
	buffer_store_dword v91, off, s[0:3], 0 offset:1172 ; 4-byte Folded Spill
	global_load_dwordx4 v[90:93], v[90:91], off
	buffer_store_dword v88, off, s[0:3], 0 offset:1160 ; 4-byte Folded Spill
	buffer_store_dword v89, off, s[0:3], 0 offset:1164 ; 4-byte Folded Spill
	global_load_dwordx4 v[86:89], v[88:89], off
	buffer_store_dword v32, off, s[0:3], 0 offset:1144 ; 4-byte Folded Spill
	buffer_store_dword v33, off, s[0:3], 0 offset:1148 ; 4-byte Folded Spill
	global_load_dwordx4 v[106:109], v[32:33], off
	buffer_store_dword v50, off, s[0:3], 0 offset:1184 ; 4-byte Folded Spill
	buffer_store_dword v51, off, s[0:3], 0 offset:1188 ; 4-byte Folded Spill
	v_add_nc_u32_e32 v32, s8, v26
	v_lshlrev_b64 v[26:27], 4, v[26:27]
	v_ashrrev_i32_e32 v33, 31, v32
	global_load_dwordx4 v[102:105], v[50:51], off
	v_add_co_u32 v50, vcc_lo, v128, v28
	v_add_co_ci_u32_e64 v51, null, v129, v29, vcc_lo
	buffer_store_dword v50, off, s[0:3], 0 offset:1192 ; 4-byte Folded Spill
	buffer_store_dword v51, off, s[0:3], 0 offset:1196 ; 4-byte Folded Spill
	v_add_co_u32 v52, vcc_lo, v128, v30
	v_add_co_ci_u32_e64 v53, null, v129, v31, vcc_lo
	v_lshlrev_b64 v[28:29], 4, v[32:33]
	v_add_nc_u32_e32 v30, s8, v32
	v_add_co_u32 v32, vcc_lo, v128, v26
	v_add_co_ci_u32_e64 v33, null, v129, v27, vcc_lo
	v_add_co_u32 v54, vcc_lo, v128, v28
	v_add_co_ci_u32_e64 v55, null, v129, v29, vcc_lo
	v_ashrrev_i32_e32 v31, 31, v30
	v_add_nc_u32_e32 v26, s8, v30
	v_lshlrev_b64 v[28:29], 4, v[30:31]
	v_ashrrev_i32_e32 v27, 31, v26
	v_lshlrev_b64 v[30:31], 4, v[26:27]
	v_add_nc_u32_e32 v26, s8, v26
	v_ashrrev_i32_e32 v27, 31, v26
	global_load_dwordx4 v[122:125], v[50:51], off
	buffer_store_dword v52, off, s[0:3], 0 offset:1200 ; 4-byte Folded Spill
	buffer_store_dword v53, off, s[0:3], 0 offset:1204 ; 4-byte Folded Spill
	global_load_dwordx4 v[118:121], v[52:53], off
	buffer_store_dword v32, off, s[0:3], 0 offset:1208 ; 4-byte Folded Spill
	buffer_store_dword v33, off, s[0:3], 0 offset:1212 ; 4-byte Folded Spill
	;; [unrolled: 3-line block ×3, first 2 shown]
	v_add_co_u32 v32, vcc_lo, v128, v28
	v_add_co_ci_u32_e64 v33, null, v129, v29, vcc_lo
	v_add_co_u32 v50, vcc_lo, v128, v30
	v_add_co_ci_u32_e64 v51, null, v129, v31, vcc_lo
	v_add_nc_u32_e32 v28, s8, v26
	v_lshlrev_b64 v[26:27], 4, v[26:27]
	v_ashrrev_i32_e32 v29, 31, v28
	v_add_nc_u32_e32 v30, s8, v28
	v_lshlrev_b64 v[28:29], 4, v[28:29]
	v_ashrrev_i32_e32 v31, 31, v30
	global_load_dwordx4 v[110:113], v[54:55], off
	buffer_store_dword v32, off, s[0:3], 0 offset:1224 ; 4-byte Folded Spill
	buffer_store_dword v33, off, s[0:3], 0 offset:1228 ; 4-byte Folded Spill
	global_load_dwordx4 v[130:133], v[32:33], off
	buffer_store_dword v50, off, s[0:3], 0 offset:1232 ; 4-byte Folded Spill
	buffer_store_dword v51, off, s[0:3], 0 offset:1236 ; 4-byte Folded Spill
	v_add_nc_u32_e32 v32, s8, v30
	v_ashrrev_i32_e32 v33, 31, v32
	global_load_dwordx4 v[134:137], v[50:51], off
	v_add_co_u32 v50, vcc_lo, v128, v26
	v_add_co_ci_u32_e64 v51, null, v129, v27, vcc_lo
	buffer_store_dword v50, off, s[0:3], 0 offset:1240 ; 4-byte Folded Spill
	buffer_store_dword v51, off, s[0:3], 0 offset:1244 ; 4-byte Folded Spill
	v_add_co_u32 v52, vcc_lo, v128, v28
	v_add_co_ci_u32_e64 v53, null, v129, v29, vcc_lo
	v_lshlrev_b64 v[26:27], 4, v[30:31]
	v_lshlrev_b64 v[28:29], 4, v[32:33]
	v_add_nc_u32_e32 v30, s8, v32
	v_ashrrev_i32_e32 v31, 31, v30
	v_add_nc_u32_e32 v32, s8, v30
	v_ashrrev_i32_e32 v33, 31, v32
	global_load_dwordx4 v[138:141], v[50:51], off
	buffer_store_dword v52, off, s[0:3], 0 offset:1248 ; 4-byte Folded Spill
	buffer_store_dword v53, off, s[0:3], 0 offset:1252 ; 4-byte Folded Spill
	v_add_co_u32 v50, vcc_lo, v128, v26
	v_add_co_ci_u32_e64 v51, null, v129, v27, vcc_lo
	v_add_co_u32 v28, vcc_lo, v128, v28
	v_add_co_ci_u32_e64 v29, null, v129, v29, vcc_lo
	v_lshlrev_b64 v[26:27], 4, v[30:31]
	v_add_nc_u32_e32 v30, s8, v32
	v_add_co_u32 v26, vcc_lo, v128, v26
	v_add_co_ci_u32_e64 v27, null, v129, v27, vcc_lo
	v_ashrrev_i32_e32 v31, 31, v30
	global_load_dwordx4 v[142:145], v[52:53], off
	buffer_store_dword v50, off, s[0:3], 0 offset:1256 ; 4-byte Folded Spill
	buffer_store_dword v51, off, s[0:3], 0 offset:1260 ; 4-byte Folded Spill
	global_load_dwordx4 v[146:149], v[50:51], off
	buffer_store_dword v28, off, s[0:3], 0 offset:1264 ; 4-byte Folded Spill
	buffer_store_dword v29, off, s[0:3], 0 offset:1268 ; 4-byte Folded Spill
	;; [unrolled: 3-line block ×3, first 2 shown]
	v_lshlrev_b64 v[28:29], 4, v[32:33]
	v_add_nc_u32_e32 v32, s8, v30
	v_lshlrev_b64 v[30:31], 4, v[30:31]
	v_add_co_u32 v28, vcc_lo, v128, v28
	v_add_co_ci_u32_e64 v29, null, v129, v29, vcc_lo
	v_add_co_u32 v30, vcc_lo, v128, v30
	v_add_co_ci_u32_e64 v31, null, v129, v31, vcc_lo
	v_ashrrev_i32_e32 v33, 31, v32
	v_add_nc_u32_e32 v50, s8, v32
	v_lshlrev_b64 v[32:33], 4, v[32:33]
	v_add_nc_u32_e32 v52, s8, v50
	v_ashrrev_i32_e32 v51, 31, v50
	v_add_co_u32 v32, vcc_lo, v128, v32
	v_ashrrev_i32_e32 v53, 31, v52
	v_add_co_ci_u32_e64 v33, null, v129, v33, vcc_lo
	v_lshlrev_b64 v[54:55], 4, v[50:51]
	v_add_nc_u32_e32 v56, s8, v52
	v_lshlrev_b64 v[58:59], 4, v[52:53]
	v_add_co_u32 v54, vcc_lo, v128, v54
	v_add_co_ci_u32_e64 v55, null, v129, v55, vcc_lo
	v_ashrrev_i32_e32 v57, 31, v56
	v_add_nc_u32_e32 v60, s8, v56
	v_lshlrev_b64 v[158:159], 4, v[56:57]
	v_add_co_u32 v56, vcc_lo, v128, v58
	v_ashrrev_i32_e32 v61, 31, v60
	v_add_co_ci_u32_e64 v57, null, v129, v59, vcc_lo
	v_add_nc_u32_e32 v160, s8, v60
	v_add_co_u32 v166, vcc_lo, v128, v158
	v_lshlrev_b64 v[162:163], 4, v[60:61]
	v_add_co_ci_u32_e64 v167, null, v129, v159, vcc_lo
	v_ashrrev_i32_e32 v161, 31, v160
	v_add_nc_u32_e32 v164, s8, v160
	v_add_co_u32 v168, vcc_lo, v128, v162
	v_add_co_ci_u32_e64 v169, null, v129, v163, vcc_lo
	v_lshlrev_b64 v[158:159], 4, v[160:161]
	v_ashrrev_i32_e32 v165, 31, v164
	v_add_nc_u32_e32 v160, s8, v164
	v_add_co_u32 v170, vcc_lo, v128, v158
	v_add_co_ci_u32_e64 v171, null, v129, v159, vcc_lo
	v_lshlrev_b64 v[162:163], 4, v[164:165]
	;; [unrolled: 5-line block ×4, first 2 shown]
	v_ashrrev_i32_e32 v161, 31, v160
	v_add_nc_u32_e32 v158, s8, v160
	v_lshlrev_b64 v[160:161], 4, v[160:161]
	v_ashrrev_i32_e32 v159, 31, v158
	v_add_nc_u32_e32 v164, s8, v158
	v_ashrrev_i32_e32 v165, 31, v164
	global_load_dwordx4 v[154:157], v[26:27], off
	buffer_store_dword v28, off, s[0:3], 0 offset:1280 ; 4-byte Folded Spill
	buffer_store_dword v29, off, s[0:3], 0 offset:1284 ; 4-byte Folded Spill
	global_load_dwordx4 v[26:29], v[28:29], off
	buffer_store_dword v30, off, s[0:3], 0 offset:1288 ; 4-byte Folded Spill
	buffer_store_dword v31, off, s[0:3], 0 offset:1292 ; 4-byte Folded Spill
	;; [unrolled: 3-line block ×5, first 2 shown]
	global_load_dwordx4 v[54:57], v[56:57], off
	s_waitcnt vmcnt(34)
	buffer_store_dword v25, off, s[0:3], 0 offset:12
	buffer_store_dword v24, off, s[0:3], 0 offset:8
	buffer_store_dword v23, off, s[0:3], 0 offset:4
	buffer_store_dword v22, off, s[0:3], 0
	buffer_store_dword v21, off, s[0:3], 0 offset:44
	buffer_store_dword v20, off, s[0:3], 0 offset:40
	;; [unrolled: 1-line block ×4, first 2 shown]
	buffer_store_dword v166, off, s[0:3], 0 offset:1320 ; 4-byte Folded Spill
	buffer_store_dword v167, off, s[0:3], 0 offset:1324 ; 4-byte Folded Spill
	global_load_dwordx4 v[22:25], v[166:167], off
	buffer_store_dword v168, off, s[0:3], 0 offset:1328 ; 4-byte Folded Spill
	buffer_store_dword v169, off, s[0:3], 0 offset:1332 ; 4-byte Folded Spill
	global_load_dwordx4 v[18:21], v[168:169], off
	buffer_store_dword v17, off, s[0:3], 0 offset:60
	buffer_store_dword v16, off, s[0:3], 0 offset:56
	;; [unrolled: 1-line block ×8, first 2 shown]
	s_waitcnt vmcnt(35)
	buffer_store_dword v5, off, s[0:3], 0 offset:92
	buffer_store_dword v4, off, s[0:3], 0 offset:88
	;; [unrolled: 1-line block ×4, first 2 shown]
	buffer_store_dword v170, off, s[0:3], 0 offset:1336 ; 4-byte Folded Spill
	buffer_store_dword v171, off, s[0:3], 0 offset:1340 ; 4-byte Folded Spill
	v_add_co_u32 v16, vcc_lo, v128, v162
	v_add_co_ci_u32_e64 v17, null, v129, v163, vcc_lo
	v_lshlrev_b64 v[14:15], 4, v[158:159]
	v_add_co_u32 v160, vcc_lo, v128, v160
	v_add_co_ci_u32_e64 v161, null, v129, v161, vcc_lo
	v_add_nc_u32_e32 v158, s8, v164
	v_add_co_u32 v162, vcc_lo, v128, v14
	v_add_co_ci_u32_e64 v163, null, v129, v15, vcc_lo
	v_ashrrev_i32_e32 v159, 31, v158
	global_load_dwordx4 v[6:9], v[170:171], off
	buffer_store_dword v172, off, s[0:3], 0 offset:1344 ; 4-byte Folded Spill
	buffer_store_dword v173, off, s[0:3], 0 offset:1348 ; 4-byte Folded Spill
	global_load_dwordx4 v[2:5], v[172:173], off
	s_waitcnt vmcnt(36)
	buffer_store_dword v13, off, s[0:3], 0 offset:28
	buffer_store_dword v12, off, s[0:3], 0 offset:24
	buffer_store_dword v11, off, s[0:3], 0 offset:20
	buffer_store_dword v10, off, s[0:3], 0 offset:16
	s_waitcnt vmcnt(35)
	buffer_store_dword v37, off, s[0:3], 0 offset:108
	buffer_store_dword v36, off, s[0:3], 0 offset:104
	buffer_store_dword v35, off, s[0:3], 0 offset:100
	buffer_store_dword v34, off, s[0:3], 0 offset:96
	;; [unrolled: 5-line block ×28, first 2 shown]
	s_waitcnt vmcnt(8)
	buffer_store_dword v29, off, s[0:3], 0 offset:540
	buffer_store_dword v174, off, s[0:3], 0 offset:1352 ; 4-byte Folded Spill
	buffer_store_dword v175, off, s[0:3], 0 offset:1356 ; 4-byte Folded Spill
	v_lshlrev_b64 v[42:43], 4, v[164:165]
	v_lshlrev_b64 v[44:45], 4, v[158:159]
	v_add_nc_u32_e32 v46, s8, v158
	v_add_co_u32 v42, vcc_lo, v128, v42
	v_add_co_ci_u32_e64 v43, null, v129, v43, vcc_lo
	v_add_co_u32 v48, vcc_lo, v128, v44
	v_add_co_ci_u32_e64 v49, null, v129, v45, vcc_lo
	v_ashrrev_i32_e32 v47, 31, v46
	v_add_nc_u32_e32 v62, s8, v46
	v_lshlrev_b64 v[66:67], 4, v[46:47]
	v_add_nc_u32_e32 v64, s8, v62
	v_ashrrev_i32_e32 v63, 31, v62
	v_add_co_u32 v66, vcc_lo, v128, v66
	v_add_co_ci_u32_e64 v67, null, v129, v67, vcc_lo
	v_add_nc_u32_e32 v68, s8, v64
	v_lshlrev_b64 v[62:63], 4, v[62:63]
	v_ashrrev_i32_e32 v65, 31, v64
	v_ashrrev_i32_e32 v69, 31, v68
	v_add_nc_u32_e32 v70, s8, v68
	v_lshlrev_b64 v[64:65], 4, v[64:65]
	v_add_co_u32 v72, vcc_lo, v128, v62
	v_add_co_ci_u32_e64 v73, null, v129, v63, vcc_lo
	v_lshlrev_b64 v[62:63], 4, v[68:69]
	v_add_co_u32 v74, vcc_lo, v128, v64
	v_add_co_ci_u32_e64 v75, null, v129, v65, vcc_lo
	v_ashrrev_i32_e32 v71, 31, v70
	v_add_co_u32 v76, vcc_lo, v128, v62
	v_add_co_ci_u32_e64 v77, null, v129, v63, vcc_lo
	v_add_nc_u32_e32 v78, s8, v70
	v_lshlrev_b64 v[80:81], 4, v[70:71]
	v_ashrrev_i32_e32 v79, 31, v78
	v_add_co_u32 v80, vcc_lo, v128, v80
	v_add_co_ci_u32_e64 v81, null, v129, v81, vcc_lo
	v_lshlrev_b64 v[82:83], 4, v[78:79]
	v_add_nc_u32_e32 v78, s8, v78
	v_add_co_u32 v82, vcc_lo, v128, v82
	v_ashrrev_i32_e32 v79, 31, v78
	v_add_co_ci_u32_e64 v83, null, v129, v83, vcc_lo
	v_add_nc_u32_e32 v86, s8, v78
	v_lshlrev_b64 v[90:91], 4, v[78:79]
	v_ashrrev_i32_e32 v87, 31, v86
	v_add_nc_u32_e32 v88, s8, v86
	v_add_co_u32 v94, vcc_lo, v128, v90
	v_add_co_ci_u32_e64 v95, null, v129, v91, vcc_lo
	v_lshlrev_b64 v[86:87], 4, v[86:87]
	v_ashrrev_i32_e32 v89, 31, v88
	v_add_nc_u32_e32 v92, s8, v88
	v_add_co_u32 v100, vcc_lo, v128, v86
	v_add_co_ci_u32_e64 v101, null, v129, v87, vcc_lo
	v_lshlrev_b64 v[88:89], 4, v[88:89]
	v_ashrrev_i32_e32 v93, 31, v92
	v_add_nc_u32_e32 v90, s8, v92
	v_lshlrev_b64 v[86:87], 4, v[92:93]
	v_add_co_u32 v92, vcc_lo, v128, v88
	v_add_co_ci_u32_e64 v93, null, v129, v89, vcc_lo
	v_ashrrev_i32_e32 v91, 31, v90
	v_add_co_u32 v108, vcc_lo, v128, v86
	v_add_co_ci_u32_e64 v109, null, v129, v87, vcc_lo
	v_lshlrev_b64 v[86:87], 4, v[90:91]
	v_add_nc_u32_e32 v88, s8, v90
	v_ashrrev_i32_e32 v89, 31, v88
	v_add_nc_u32_e32 v91, s8, v88
	v_lshlrev_b64 v[89:90], 4, v[88:89]
	global_load_dwordx4 v[10:13], v[174:175], off
	buffer_store_dword v16, off, s[0:3], 0 offset:1360 ; 4-byte Folded Spill
	buffer_store_dword v17, off, s[0:3], 0 offset:1364 ; 4-byte Folded Spill
	global_load_dwordx4 v[14:17], v[16:17], off
	buffer_store_dword v160, off, s[0:3], 0 offset:1368 ; 4-byte Folded Spill
	buffer_store_dword v161, off, s[0:3], 0 offset:1372 ; 4-byte Folded Spill
	;; [unrolled: 3-line block ×15, first 2 shown]
	v_add_co_u32 v93, vcc_lo, v128, v86
	v_add_co_ci_u32_e64 v94, null, v129, v87, vcc_lo
	v_add_co_u32 v116, vcc_lo, v128, v89
	v_add_co_ci_u32_e64 v117, null, v129, v90, vcc_lo
	v_add_nc_u32_e32 v86, s8, v91
	v_ashrrev_i32_e32 v92, 31, v91
	v_ashrrev_i32_e32 v87, 31, v86
	v_lshlrev_b64 v[88:89], 4, v[91:92]
	v_add_nc_u32_e32 v90, s8, v86
	v_lshlrev_b64 v[86:87], 4, v[86:87]
	v_add_co_u32 v92, vcc_lo, v128, v88
	v_ashrrev_i32_e32 v91, 31, v90
	global_load_dwordx4 v[108:111], v[108:109], off
	buffer_store_dword v93, off, s[0:3], 0 offset:1480 ; 4-byte Folded Spill
	buffer_store_dword v94, off, s[0:3], 0 offset:1484 ; 4-byte Folded Spill
	global_load_dwordx4 v[112:115], v[93:94], off
	buffer_store_dword v116, off, s[0:3], 0 offset:1488 ; 4-byte Folded Spill
	buffer_store_dword v117, off, s[0:3], 0 offset:1492 ; 4-byte Folded Spill
	v_add_co_ci_u32_e64 v93, null, v129, v89, vcc_lo
	v_add_co_u32 v94, vcc_lo, v128, v86
	v_add_nc_u32_e32 v86, s8, v90
	v_add_co_ci_u32_e64 v95, null, v129, v87, vcc_lo
	v_lshlrev_b64 v[88:89], 4, v[90:91]
	global_load_dwordx4 v[120:123], v[92:93], off
	v_ashrrev_i32_e32 v87, 31, v86
	global_load_dwordx4 v[130:133], v[94:95], off
	s_movk_i32 s8, 0x90
	v_add_co_u32 v88, vcc_lo, v128, v88
	v_lshlrev_b64 v[86:87], 4, v[86:87]
	v_add_co_ci_u32_e64 v89, null, v129, v89, vcc_lo
	v_add_co_u32 v90, vcc_lo, v128, v86
	v_add_co_ci_u32_e64 v91, null, v129, v87, vcc_lo
	v_lshlrev_b32_e32 v87, 10, v1
	v_lshlrev_b32_e32 v1, 4, v1
	global_load_dwordx4 v[116:119], v[116:117], off
	buffer_store_dword v28, off, s[0:3], 0 offset:536
	buffer_store_dword v27, off, s[0:3], 0 offset:532
	;; [unrolled: 1-line block ×3, first 2 shown]
	global_load_dwordx4 v[26:29], v[88:89], off
	s_waitcnt vmcnt(28)
	buffer_store_dword v53, off, s[0:3], 0 offset:556
	buffer_store_dword v52, off, s[0:3], 0 offset:552
	;; [unrolled: 1-line block ×4, first 2 shown]
	global_load_dwordx4 v[50:53], v[90:91], off
	s_waitcnt vmcnt(28)
	buffer_store_dword v33, off, s[0:3], 0 offset:572
	buffer_store_dword v32, off, s[0:3], 0 offset:568
	buffer_store_dword v31, off, s[0:3], 0 offset:564
	buffer_store_dword v30, off, s[0:3], 0 offset:560
	s_waitcnt vmcnt(27)
	buffer_store_dword v61, off, s[0:3], 0 offset:588
	buffer_store_dword v60, off, s[0:3], 0 offset:584
	buffer_store_dword v59, off, s[0:3], 0 offset:580
	buffer_store_dword v58, off, s[0:3], 0 offset:576
	;; [unrolled: 5-line block ×25, first 2 shown]
	buffer_store_dword v123, off, s[0:3], 0 offset:972
	buffer_store_dword v122, off, s[0:3], 0 offset:968
	;; [unrolled: 1-line block ×8, first 2 shown]
	s_waitcnt vmcnt(1)
	buffer_store_dword v29, off, s[0:3], 0 offset:1004
	buffer_store_dword v28, off, s[0:3], 0 offset:1000
	;; [unrolled: 1-line block ×4, first 2 shown]
	v_add_nc_u32_e32 v24, 0, v87
	v_add3_u32 v23, 0, s4, v1
	v_cmp_eq_u32_e64 s4, 0, v0
	s_waitcnt vmcnt(0)
	buffer_store_dword v53, off, s[0:3], 0 offset:1020
	buffer_store_dword v52, off, s[0:3], 0 offset:1016
	;; [unrolled: 1-line block ×4, first 2 shown]
	s_and_saveexec_b32 s45, s4
	s_cbranch_execz .LBB127_10
; %bb.2:
	global_load_dwordx4 v[1:4], v[253:254], off
	s_mov_b32 s6, 16
	s_waitcnt vmcnt(0)
	ds_write2_b64 v23, v[1:2], v[3:4] offset1:1
.LBB127_3:                              ; =>This Inner Loop Header: Depth=1
	v_mov_b32_e32 v38, s6
	v_add_nc_u32_e32 v39, s6, v24
	s_addk_i32 s6, 0x90
	s_clause 0x23
	buffer_load_dword v1, v38, s[0:3], 0 offen
	buffer_load_dword v2, v38, s[0:3], 0 offen offset:4
	buffer_load_dword v3, v38, s[0:3], 0 offen offset:8
	;; [unrolled: 1-line block ×35, first 2 shown]
	s_cmpk_eq_i32 s6, 0x400
	s_waitcnt vmcnt(32)
	ds_write2_b64 v39, v[1:2], v[3:4] offset1:1
	s_waitcnt vmcnt(28)
	ds_write2_b64 v39, v[5:6], v[7:8] offset0:2 offset1:3
	s_waitcnt vmcnt(24)
	ds_write2_b64 v39, v[9:10], v[11:12] offset0:4 offset1:5
	;; [unrolled: 2-line block ×4, first 2 shown]
	ds_write2_b64 v39, v[21:22], v[19:20] offset0:10 offset1:11
	s_waitcnt vmcnt(4)
	ds_write2_b64 v39, v[33:34], v[27:28] offset0:12 offset1:13
	ds_write2_b64 v39, v[31:32], v[29:30] offset0:14 offset1:15
	s_waitcnt vmcnt(0)
	ds_write2_b64 v39, v[35:36], v[37:38] offset0:16 offset1:17
	s_cbranch_scc0 .LBB127_3
; %bb.4:
	ds_read2_b64 v[1:4], v23 offset1:1
	s_waitcnt lgkmcnt(0)
	v_cmp_neq_f64_e32 vcc_lo, 0, v[1:2]
	v_cmp_neq_f64_e64 s6, 0, v[3:4]
	s_or_b32 s6, vcc_lo, s6
	s_and_b32 exec_lo, exec_lo, s6
	s_cbranch_execz .LBB127_10
; %bb.5:
	v_cmp_ngt_f64_e64 s6, |v[1:2]|, |v[3:4]|
                                        ; implicit-def: $vgpr5_vgpr6
	s_and_saveexec_b32 s46, s6
	s_xor_b32 s6, exec_lo, s46
                                        ; implicit-def: $vgpr7_vgpr8
	s_cbranch_execz .LBB127_7
; %bb.6:
	v_div_scale_f64 v[5:6], null, v[3:4], v[3:4], v[1:2]
	v_div_scale_f64 v[11:12], vcc_lo, v[1:2], v[3:4], v[1:2]
	v_rcp_f64_e32 v[7:8], v[5:6]
	v_fma_f64 v[9:10], -v[5:6], v[7:8], 1.0
	v_fma_f64 v[7:8], v[7:8], v[9:10], v[7:8]
	v_fma_f64 v[9:10], -v[5:6], v[7:8], 1.0
	v_fma_f64 v[7:8], v[7:8], v[9:10], v[7:8]
	v_mul_f64 v[9:10], v[11:12], v[7:8]
	v_fma_f64 v[5:6], -v[5:6], v[9:10], v[11:12]
	v_div_fmas_f64 v[5:6], v[5:6], v[7:8], v[9:10]
	v_div_fixup_f64 v[5:6], v[5:6], v[3:4], v[1:2]
	v_fma_f64 v[1:2], v[1:2], v[5:6], v[3:4]
	v_div_scale_f64 v[3:4], null, v[1:2], v[1:2], 1.0
	v_rcp_f64_e32 v[7:8], v[3:4]
	v_fma_f64 v[9:10], -v[3:4], v[7:8], 1.0
	v_fma_f64 v[7:8], v[7:8], v[9:10], v[7:8]
	v_fma_f64 v[9:10], -v[3:4], v[7:8], 1.0
	v_fma_f64 v[7:8], v[7:8], v[9:10], v[7:8]
	v_div_scale_f64 v[9:10], vcc_lo, 1.0, v[1:2], 1.0
	v_mul_f64 v[11:12], v[9:10], v[7:8]
	v_fma_f64 v[3:4], -v[3:4], v[11:12], v[9:10]
	v_div_fmas_f64 v[3:4], v[3:4], v[7:8], v[11:12]
	v_div_fixup_f64 v[7:8], v[3:4], v[1:2], 1.0
                                        ; implicit-def: $vgpr1_vgpr2
	v_mul_f64 v[5:6], v[5:6], v[7:8]
	v_xor_b32_e32 v8, 0x80000000, v8
.LBB127_7:
	s_andn2_saveexec_b32 s6, s6
	s_cbranch_execz .LBB127_9
; %bb.8:
	v_div_scale_f64 v[5:6], null, v[1:2], v[1:2], v[3:4]
	v_div_scale_f64 v[11:12], vcc_lo, v[3:4], v[1:2], v[3:4]
	v_rcp_f64_e32 v[7:8], v[5:6]
	v_fma_f64 v[9:10], -v[5:6], v[7:8], 1.0
	v_fma_f64 v[7:8], v[7:8], v[9:10], v[7:8]
	v_fma_f64 v[9:10], -v[5:6], v[7:8], 1.0
	v_fma_f64 v[7:8], v[7:8], v[9:10], v[7:8]
	v_mul_f64 v[9:10], v[11:12], v[7:8]
	v_fma_f64 v[5:6], -v[5:6], v[9:10], v[11:12]
	v_div_fmas_f64 v[5:6], v[5:6], v[7:8], v[9:10]
	v_div_fixup_f64 v[7:8], v[5:6], v[1:2], v[3:4]
	v_fma_f64 v[1:2], v[3:4], v[7:8], v[1:2]
	v_div_scale_f64 v[3:4], null, v[1:2], v[1:2], 1.0
	v_rcp_f64_e32 v[5:6], v[3:4]
	v_fma_f64 v[9:10], -v[3:4], v[5:6], 1.0
	v_fma_f64 v[5:6], v[5:6], v[9:10], v[5:6]
	v_fma_f64 v[9:10], -v[3:4], v[5:6], 1.0
	v_fma_f64 v[5:6], v[5:6], v[9:10], v[5:6]
	v_div_scale_f64 v[9:10], vcc_lo, 1.0, v[1:2], 1.0
	v_mul_f64 v[11:12], v[9:10], v[5:6]
	v_fma_f64 v[3:4], -v[3:4], v[11:12], v[9:10]
	v_div_fmas_f64 v[3:4], v[3:4], v[5:6], v[11:12]
	v_div_fixup_f64 v[5:6], v[3:4], v[1:2], 1.0
	v_mul_f64 v[7:8], v[7:8], -v[5:6]
.LBB127_9:
	s_or_b32 exec_lo, exec_lo, s6
	ds_write2_b64 v23, v[5:6], v[7:8] offset1:1
.LBB127_10:
	s_or_b32 exec_lo, exec_lo, s45
	s_waitcnt lgkmcnt(0)
	s_waitcnt_vscnt null, 0x0
	s_barrier
	buffer_gl0_inv
	ds_read2_b64 v[111:114], v23 offset1:1
	s_mov_b32 s78, 16
	s_mov_b32 s77, 32
	;; [unrolled: 1-line block ×61, first 2 shown]
	s_mov_b32 s12, vcc_hi
	s_and_saveexec_b32 s6, s5
	s_cbranch_execz .LBB127_13
; %bb.11:
	s_clause 0x3
	buffer_load_dword v1, off, s[0:3], 0 offset:8
	buffer_load_dword v2, off, s[0:3], 0 offset:12
	buffer_load_dword v3, off, s[0:3], 0
	buffer_load_dword v4, off, s[0:3], 0 offset:4
	s_mov_b32 s5, 16
	s_waitcnt vmcnt(2) lgkmcnt(0)
	v_mul_f64 v[5:6], v[113:114], v[1:2]
	v_mul_f64 v[7:8], v[111:112], v[1:2]
	s_waitcnt vmcnt(0)
	v_fma_f64 v[1:2], v[111:112], v[3:4], -v[5:6]
	v_fma_f64 v[3:4], v[113:114], v[3:4], v[7:8]
	buffer_store_dword v1, off, s[0:3], 0
	buffer_store_dword v2, off, s[0:3], 0 offset:4
	buffer_store_dword v3, off, s[0:3], 0 offset:8
	;; [unrolled: 1-line block ×3, first 2 shown]
.LBB127_12:                             ; =>This Inner Loop Header: Depth=1
	v_mov_b32_e32 v100, s5
	v_add_nc_u32_e32 v33, s5, v24
	s_addk_i32 s5, 0x70
	s_clause 0x1b
	buffer_load_dword v21, v100, s[0:3], 0 offen
	buffer_load_dword v22, v100, s[0:3], 0 offen offset:4
	buffer_load_dword v37, v100, s[0:3], 0 offen offset:8
	;; [unrolled: 1-line block ×27, first 2 shown]
	ds_read2_b64 v[5:8], v33 offset1:1
	ds_read2_b64 v[9:12], v33 offset0:2 offset1:3
	ds_read2_b64 v[13:16], v33 offset0:4 offset1:5
	;; [unrolled: 1-line block ×6, first 2 shown]
	s_cmpk_lg_i32 s5, 0x400
	s_waitcnt lgkmcnt(6)
	v_mul_f64 v[63:64], v[7:8], v[3:4]
	v_mul_f64 v[65:66], v[5:6], v[3:4]
	s_waitcnt lgkmcnt(5)
	v_mul_f64 v[67:68], v[11:12], v[3:4]
	v_mul_f64 v[69:70], v[9:10], v[3:4]
	;; [unrolled: 3-line block ×7, first 2 shown]
	v_fma_f64 v[5:6], v[5:6], v[1:2], -v[63:64]
	v_fma_f64 v[7:8], v[7:8], v[1:2], v[65:66]
	v_fma_f64 v[9:10], v[9:10], v[1:2], -v[67:68]
	v_fma_f64 v[11:12], v[11:12], v[1:2], v[69:70]
	;; [unrolled: 2-line block ×7, first 2 shown]
	s_waitcnt vmcnt(26)
	v_add_f64 v[5:6], v[21:22], -v[5:6]
	s_waitcnt vmcnt(24)
	v_add_f64 v[7:8], v[37:38], -v[7:8]
	;; [unrolled: 2-line block ×14, first 2 shown]
	buffer_store_dword v5, v100, s[0:3], 0 offen
	buffer_store_dword v6, v100, s[0:3], 0 offen offset:4
	buffer_store_dword v7, v100, s[0:3], 0 offen offset:8
	;; [unrolled: 1-line block ×27, first 2 shown]
	s_cbranch_scc1 .LBB127_12
.LBB127_13:
	s_or_b32 exec_lo, exec_lo, s6
	s_mov_b32 s6, exec_lo
	s_waitcnt lgkmcnt(0)
	s_waitcnt_vscnt null, 0x0
	s_barrier
	buffer_gl0_inv
	v_cmpx_eq_u32_e32 1, v0
	s_cbranch_execz .LBB127_22
; %bb.14:
	v_mov_b32_e32 v4, s78
	s_mov_b32 s5, 32
	s_clause 0x3
	buffer_load_dword v1, v4, s[0:3], 0 offen
	buffer_load_dword v2, v4, s[0:3], 0 offen offset:4
	buffer_load_dword v3, v4, s[0:3], 0 offen offset:8
	;; [unrolled: 1-line block ×3, first 2 shown]
	s_waitcnt vmcnt(0)
	ds_write2_b64 v23, v[1:2], v[3:4] offset1:1
	.p2align	6
.LBB127_15:                             ; =>This Inner Loop Header: Depth=1
	v_mov_b32_e32 v8, s5
	v_add_nc_u32_e32 v9, s5, v24
	s_add_i32 s5, s5, 32
	s_clause 0x7
	buffer_load_dword v1, v8, s[0:3], 0 offen
	buffer_load_dword v2, v8, s[0:3], 0 offen offset:4
	buffer_load_dword v3, v8, s[0:3], 0 offen offset:8
	;; [unrolled: 1-line block ×7, first 2 shown]
	s_cmpk_lg_i32 s5, 0x400
	s_waitcnt vmcnt(4)
	ds_write2_b64 v9, v[1:2], v[3:4] offset1:1
	s_waitcnt vmcnt(0)
	ds_write2_b64 v9, v[5:6], v[7:8] offset0:2 offset1:3
	s_cbranch_scc1 .LBB127_15
; %bb.16:
	ds_read2_b64 v[1:4], v23 offset1:1
	s_waitcnt lgkmcnt(0)
	v_cmp_neq_f64_e32 vcc_lo, 0, v[1:2]
	v_cmp_neq_f64_e64 s5, 0, v[3:4]
	s_or_b32 s5, vcc_lo, s5
	s_and_b32 exec_lo, exec_lo, s5
	s_cbranch_execz .LBB127_22
; %bb.17:
	v_cmp_ngt_f64_e64 s5, |v[1:2]|, |v[3:4]|
                                        ; implicit-def: $vgpr5_vgpr6
	s_and_saveexec_b32 s7, s5
	s_xor_b32 s5, exec_lo, s7
                                        ; implicit-def: $vgpr7_vgpr8
	s_cbranch_execz .LBB127_19
; %bb.18:
	v_div_scale_f64 v[5:6], null, v[3:4], v[3:4], v[1:2]
	v_div_scale_f64 v[11:12], vcc_lo, v[1:2], v[3:4], v[1:2]
	v_rcp_f64_e32 v[7:8], v[5:6]
	v_fma_f64 v[9:10], -v[5:6], v[7:8], 1.0
	v_fma_f64 v[7:8], v[7:8], v[9:10], v[7:8]
	v_fma_f64 v[9:10], -v[5:6], v[7:8], 1.0
	v_fma_f64 v[7:8], v[7:8], v[9:10], v[7:8]
	v_mul_f64 v[9:10], v[11:12], v[7:8]
	v_fma_f64 v[5:6], -v[5:6], v[9:10], v[11:12]
	v_div_fmas_f64 v[5:6], v[5:6], v[7:8], v[9:10]
	v_div_fixup_f64 v[5:6], v[5:6], v[3:4], v[1:2]
	v_fma_f64 v[1:2], v[1:2], v[5:6], v[3:4]
	v_div_scale_f64 v[3:4], null, v[1:2], v[1:2], 1.0
	v_rcp_f64_e32 v[7:8], v[3:4]
	v_fma_f64 v[9:10], -v[3:4], v[7:8], 1.0
	v_fma_f64 v[7:8], v[7:8], v[9:10], v[7:8]
	v_fma_f64 v[9:10], -v[3:4], v[7:8], 1.0
	v_fma_f64 v[7:8], v[7:8], v[9:10], v[7:8]
	v_div_scale_f64 v[9:10], vcc_lo, 1.0, v[1:2], 1.0
	v_mul_f64 v[11:12], v[9:10], v[7:8]
	v_fma_f64 v[3:4], -v[3:4], v[11:12], v[9:10]
	v_div_fmas_f64 v[3:4], v[3:4], v[7:8], v[11:12]
	v_div_fixup_f64 v[7:8], v[3:4], v[1:2], 1.0
                                        ; implicit-def: $vgpr1_vgpr2
	v_mul_f64 v[5:6], v[5:6], v[7:8]
	v_xor_b32_e32 v8, 0x80000000, v8
.LBB127_19:
	s_andn2_saveexec_b32 s5, s5
	s_cbranch_execz .LBB127_21
; %bb.20:
	v_div_scale_f64 v[5:6], null, v[1:2], v[1:2], v[3:4]
	v_div_scale_f64 v[11:12], vcc_lo, v[3:4], v[1:2], v[3:4]
	v_rcp_f64_e32 v[7:8], v[5:6]
	v_fma_f64 v[9:10], -v[5:6], v[7:8], 1.0
	v_fma_f64 v[7:8], v[7:8], v[9:10], v[7:8]
	v_fma_f64 v[9:10], -v[5:6], v[7:8], 1.0
	v_fma_f64 v[7:8], v[7:8], v[9:10], v[7:8]
	v_mul_f64 v[9:10], v[11:12], v[7:8]
	v_fma_f64 v[5:6], -v[5:6], v[9:10], v[11:12]
	v_div_fmas_f64 v[5:6], v[5:6], v[7:8], v[9:10]
	v_div_fixup_f64 v[7:8], v[5:6], v[1:2], v[3:4]
	v_fma_f64 v[1:2], v[3:4], v[7:8], v[1:2]
	v_div_scale_f64 v[3:4], null, v[1:2], v[1:2], 1.0
	v_rcp_f64_e32 v[5:6], v[3:4]
	v_fma_f64 v[9:10], -v[3:4], v[5:6], 1.0
	v_fma_f64 v[5:6], v[5:6], v[9:10], v[5:6]
	v_fma_f64 v[9:10], -v[3:4], v[5:6], 1.0
	v_fma_f64 v[5:6], v[5:6], v[9:10], v[5:6]
	v_div_scale_f64 v[9:10], vcc_lo, 1.0, v[1:2], 1.0
	v_mul_f64 v[11:12], v[9:10], v[5:6]
	v_fma_f64 v[3:4], -v[3:4], v[11:12], v[9:10]
	v_div_fmas_f64 v[3:4], v[3:4], v[5:6], v[11:12]
	v_div_fixup_f64 v[5:6], v[3:4], v[1:2], 1.0
	v_mul_f64 v[7:8], v[7:8], -v[5:6]
.LBB127_21:
	s_or_b32 exec_lo, exec_lo, s5
	ds_write2_b64 v23, v[5:6], v[7:8] offset1:1
.LBB127_22:
	s_or_b32 exec_lo, exec_lo, s6
	s_waitcnt lgkmcnt(0)
	s_barrier
	buffer_gl0_inv
	ds_read2_b64 v[115:118], v23 offset1:1
	s_mov_b32 s5, exec_lo
	v_cmpx_lt_u32_e32 1, v0
	s_cbranch_execz .LBB127_25
; %bb.23:
	s_clause 0x3
	buffer_load_dword v1, off, s[0:3], 0 offset:24
	buffer_load_dword v2, off, s[0:3], 0 offset:28
	;; [unrolled: 1-line block ×4, first 2 shown]
	s_mov_b32 s6, 32
	s_waitcnt vmcnt(2) lgkmcnt(0)
	v_mul_f64 v[5:6], v[117:118], v[1:2]
	v_mul_f64 v[7:8], v[115:116], v[1:2]
	s_waitcnt vmcnt(0)
	v_fma_f64 v[1:2], v[115:116], v[3:4], -v[5:6]
	v_fma_f64 v[3:4], v[117:118], v[3:4], v[7:8]
	buffer_store_dword v1, off, s[0:3], 0 offset:16
	buffer_store_dword v2, off, s[0:3], 0 offset:20
	;; [unrolled: 1-line block ×4, first 2 shown]
.LBB127_24:                             ; =>This Inner Loop Header: Depth=1
	v_mov_b32_e32 v31, s6
	v_add_nc_u32_e32 v9, s6, v24
	s_add_i32 s6, s6, 32
	s_clause 0x7
	buffer_load_dword v13, v31, s[0:3], 0 offen
	buffer_load_dword v14, v31, s[0:3], 0 offen offset:4
	buffer_load_dword v15, v31, s[0:3], 0 offen offset:8
	;; [unrolled: 1-line block ×7, first 2 shown]
	ds_read2_b64 v[5:8], v9 offset1:1
	ds_read2_b64 v[9:12], v9 offset0:2 offset1:3
	s_cmpk_lg_i32 s6, 0x400
	s_waitcnt lgkmcnt(1)
	v_mul_f64 v[21:22], v[7:8], v[3:4]
	v_mul_f64 v[25:26], v[5:6], v[3:4]
	s_waitcnt lgkmcnt(0)
	v_mul_f64 v[27:28], v[11:12], v[3:4]
	v_mul_f64 v[29:30], v[9:10], v[3:4]
	v_fma_f64 v[5:6], v[5:6], v[1:2], -v[21:22]
	v_fma_f64 v[7:8], v[7:8], v[1:2], v[25:26]
	v_fma_f64 v[9:10], v[9:10], v[1:2], -v[27:28]
	v_fma_f64 v[11:12], v[11:12], v[1:2], v[29:30]
	s_waitcnt vmcnt(6)
	v_add_f64 v[5:6], v[13:14], -v[5:6]
	s_waitcnt vmcnt(4)
	v_add_f64 v[7:8], v[15:16], -v[7:8]
	;; [unrolled: 2-line block ×4, first 2 shown]
	buffer_store_dword v5, v31, s[0:3], 0 offen
	buffer_store_dword v6, v31, s[0:3], 0 offen offset:4
	buffer_store_dword v7, v31, s[0:3], 0 offen offset:8
	;; [unrolled: 1-line block ×7, first 2 shown]
	s_cbranch_scc1 .LBB127_24
.LBB127_25:
	s_or_b32 exec_lo, exec_lo, s5
	s_mov_b32 s6, exec_lo
	s_waitcnt lgkmcnt(0)
	s_waitcnt_vscnt null, 0x0
	s_barrier
	buffer_gl0_inv
	v_cmpx_eq_u32_e32 2, v0
	s_cbranch_execz .LBB127_36
; %bb.26:
	v_mov_b32_e32 v4, s77
	s_mov_b32 s5, 48
	s_clause 0x3
	buffer_load_dword v1, v4, s[0:3], 0 offen
	buffer_load_dword v2, v4, s[0:3], 0 offen offset:4
	buffer_load_dword v3, v4, s[0:3], 0 offen offset:8
	;; [unrolled: 1-line block ×3, first 2 shown]
	s_waitcnt vmcnt(0)
	ds_write2_b64 v23, v[1:2], v[3:4] offset1:1
	s_branch .LBB127_28
.LBB127_27:                             ;   in Loop: Header=BB127_28 Depth=1
	s_andn2_b32 vcc_lo, exec_lo, s8
	s_cbranch_vccz .LBB127_30
.LBB127_28:                             ; =>This Inner Loop Header: Depth=1
	v_mov_b32_e32 v1, s5
	s_mov_b32 s7, s5
	s_mov_b32 s8, -1
	s_cmpk_eq_i32 s5, 0x3b0
	s_clause 0x13
	buffer_load_dword v2, v1, s[0:3], 0 offen
	buffer_load_dword v3, v1, s[0:3], 0 offen offset:4
	buffer_load_dword v4, v1, s[0:3], 0 offen offset:8
	;; [unrolled: 1-line block ×19, first 2 shown]
	v_add_nc_u32_e32 v1, s5, v24
	s_waitcnt vmcnt(16)
	ds_write2_b64 v1, v[2:3], v[4:5] offset1:1
	s_waitcnt vmcnt(12)
	ds_write2_b64 v1, v[6:7], v[8:9] offset0:2 offset1:3
	s_waitcnt vmcnt(8)
	ds_write2_b64 v1, v[10:11], v[12:13] offset0:4 offset1:5
	;; [unrolled: 2-line block ×4, first 2 shown]
	s_cbranch_scc1 .LBB127_27
; %bb.29:                               ;   in Loop: Header=BB127_28 Depth=1
	v_mov_b32_e32 v13, s7
	s_addk_i32 s5, 0x80
	s_mov_b32 s8, 0
	s_clause 0xb
	buffer_load_dword v2, v13, s[0:3], 0 offen offset:80
	buffer_load_dword v3, v13, s[0:3], 0 offen offset:84
	;; [unrolled: 1-line block ×12, first 2 shown]
	s_waitcnt vmcnt(8)
	ds_write2_b64 v1, v[2:3], v[4:5] offset0:10 offset1:11
	s_waitcnt vmcnt(4)
	ds_write2_b64 v1, v[6:7], v[8:9] offset0:12 offset1:13
	;; [unrolled: 2-line block ×3, first 2 shown]
	s_branch .LBB127_27
.LBB127_30:
	ds_read2_b64 v[1:4], v23 offset1:1
	s_waitcnt lgkmcnt(0)
	v_cmp_neq_f64_e32 vcc_lo, 0, v[1:2]
	v_cmp_neq_f64_e64 s5, 0, v[3:4]
	s_or_b32 s5, vcc_lo, s5
	s_and_b32 exec_lo, exec_lo, s5
	s_cbranch_execz .LBB127_36
; %bb.31:
	v_cmp_ngt_f64_e64 s5, |v[1:2]|, |v[3:4]|
                                        ; implicit-def: $vgpr5_vgpr6
	s_and_saveexec_b32 s7, s5
	s_xor_b32 s5, exec_lo, s7
                                        ; implicit-def: $vgpr7_vgpr8
	s_cbranch_execz .LBB127_33
; %bb.32:
	v_div_scale_f64 v[5:6], null, v[3:4], v[3:4], v[1:2]
	v_div_scale_f64 v[11:12], vcc_lo, v[1:2], v[3:4], v[1:2]
	v_rcp_f64_e32 v[7:8], v[5:6]
	v_fma_f64 v[9:10], -v[5:6], v[7:8], 1.0
	v_fma_f64 v[7:8], v[7:8], v[9:10], v[7:8]
	v_fma_f64 v[9:10], -v[5:6], v[7:8], 1.0
	v_fma_f64 v[7:8], v[7:8], v[9:10], v[7:8]
	v_mul_f64 v[9:10], v[11:12], v[7:8]
	v_fma_f64 v[5:6], -v[5:6], v[9:10], v[11:12]
	v_div_fmas_f64 v[5:6], v[5:6], v[7:8], v[9:10]
	v_div_fixup_f64 v[5:6], v[5:6], v[3:4], v[1:2]
	v_fma_f64 v[1:2], v[1:2], v[5:6], v[3:4]
	v_div_scale_f64 v[3:4], null, v[1:2], v[1:2], 1.0
	v_rcp_f64_e32 v[7:8], v[3:4]
	v_fma_f64 v[9:10], -v[3:4], v[7:8], 1.0
	v_fma_f64 v[7:8], v[7:8], v[9:10], v[7:8]
	v_fma_f64 v[9:10], -v[3:4], v[7:8], 1.0
	v_fma_f64 v[7:8], v[7:8], v[9:10], v[7:8]
	v_div_scale_f64 v[9:10], vcc_lo, 1.0, v[1:2], 1.0
	v_mul_f64 v[11:12], v[9:10], v[7:8]
	v_fma_f64 v[3:4], -v[3:4], v[11:12], v[9:10]
	v_div_fmas_f64 v[3:4], v[3:4], v[7:8], v[11:12]
	v_div_fixup_f64 v[7:8], v[3:4], v[1:2], 1.0
                                        ; implicit-def: $vgpr1_vgpr2
	v_mul_f64 v[5:6], v[5:6], v[7:8]
	v_xor_b32_e32 v8, 0x80000000, v8
.LBB127_33:
	s_andn2_saveexec_b32 s5, s5
	s_cbranch_execz .LBB127_35
; %bb.34:
	v_div_scale_f64 v[5:6], null, v[1:2], v[1:2], v[3:4]
	v_div_scale_f64 v[11:12], vcc_lo, v[3:4], v[1:2], v[3:4]
	v_rcp_f64_e32 v[7:8], v[5:6]
	v_fma_f64 v[9:10], -v[5:6], v[7:8], 1.0
	v_fma_f64 v[7:8], v[7:8], v[9:10], v[7:8]
	v_fma_f64 v[9:10], -v[5:6], v[7:8], 1.0
	v_fma_f64 v[7:8], v[7:8], v[9:10], v[7:8]
	v_mul_f64 v[9:10], v[11:12], v[7:8]
	v_fma_f64 v[5:6], -v[5:6], v[9:10], v[11:12]
	v_div_fmas_f64 v[5:6], v[5:6], v[7:8], v[9:10]
	v_div_fixup_f64 v[7:8], v[5:6], v[1:2], v[3:4]
	v_fma_f64 v[1:2], v[3:4], v[7:8], v[1:2]
	v_div_scale_f64 v[3:4], null, v[1:2], v[1:2], 1.0
	v_rcp_f64_e32 v[5:6], v[3:4]
	v_fma_f64 v[9:10], -v[3:4], v[5:6], 1.0
	v_fma_f64 v[5:6], v[5:6], v[9:10], v[5:6]
	v_fma_f64 v[9:10], -v[3:4], v[5:6], 1.0
	v_fma_f64 v[5:6], v[5:6], v[9:10], v[5:6]
	v_div_scale_f64 v[9:10], vcc_lo, 1.0, v[1:2], 1.0
	v_mul_f64 v[11:12], v[9:10], v[5:6]
	v_fma_f64 v[3:4], -v[3:4], v[11:12], v[9:10]
	v_div_fmas_f64 v[3:4], v[3:4], v[5:6], v[11:12]
	v_div_fixup_f64 v[5:6], v[3:4], v[1:2], 1.0
	v_mul_f64 v[7:8], v[7:8], -v[5:6]
.LBB127_35:
	s_or_b32 exec_lo, exec_lo, s5
	ds_write2_b64 v23, v[5:6], v[7:8] offset1:1
.LBB127_36:
	s_or_b32 exec_lo, exec_lo, s6
	s_waitcnt lgkmcnt(0)
	s_barrier
	buffer_gl0_inv
	ds_read2_b64 v[119:122], v23 offset1:1
	s_mov_b32 s5, exec_lo
	v_cmpx_lt_u32_e32 2, v0
	s_cbranch_execz .LBB127_41
; %bb.37:
	s_clause 0x3
	buffer_load_dword v1, off, s[0:3], 0 offset:40
	buffer_load_dword v2, off, s[0:3], 0 offset:44
	;; [unrolled: 1-line block ×4, first 2 shown]
	s_mov_b32 s6, 48
	s_waitcnt vmcnt(2) lgkmcnt(0)
	v_mul_f64 v[5:6], v[121:122], v[1:2]
	v_mul_f64 v[7:8], v[119:120], v[1:2]
	s_waitcnt vmcnt(0)
	v_fma_f64 v[1:2], v[119:120], v[3:4], -v[5:6]
	v_fma_f64 v[3:4], v[121:122], v[3:4], v[7:8]
	buffer_store_dword v1, off, s[0:3], 0 offset:32
	buffer_store_dword v2, off, s[0:3], 0 offset:36
	;; [unrolled: 1-line block ×4, first 2 shown]
	s_branch .LBB127_39
.LBB127_38:                             ;   in Loop: Header=BB127_39 Depth=1
	s_andn2_b32 vcc_lo, exec_lo, s8
	s_cbranch_vccz .LBB127_41
.LBB127_39:                             ; =>This Inner Loop Header: Depth=1
	v_mov_b32_e32 v16, s6
	v_add_nc_u32_e32 v5, s6, v24
	s_mov_b32 s7, s6
	s_mov_b32 s8, -1
	s_cmpk_eq_i32 s6, 0x3f0
	s_clause 0x3
	buffer_load_dword v10, v16, s[0:3], 0 offen
	buffer_load_dword v11, v16, s[0:3], 0 offen offset:4
	buffer_load_dword v12, v16, s[0:3], 0 offen offset:8
	;; [unrolled: 1-line block ×3, first 2 shown]
	ds_read2_b64 v[6:9], v5 offset1:1
	s_waitcnt lgkmcnt(0)
	v_mul_f64 v[14:15], v[8:9], v[3:4]
	v_mul_f64 v[3:4], v[6:7], v[3:4]
	v_fma_f64 v[6:7], v[6:7], v[1:2], -v[14:15]
	v_fma_f64 v[1:2], v[8:9], v[1:2], v[3:4]
	s_waitcnt vmcnt(2)
	v_add_f64 v[3:4], v[10:11], -v[6:7]
	s_waitcnt vmcnt(0)
	v_add_f64 v[1:2], v[12:13], -v[1:2]
	buffer_store_dword v3, v16, s[0:3], 0 offen
	buffer_store_dword v4, v16, s[0:3], 0 offen offset:4
	buffer_store_dword v1, v16, s[0:3], 0 offen offset:8
	;; [unrolled: 1-line block ×3, first 2 shown]
                                        ; implicit-def: $vgpr1_vgpr2
                                        ; implicit-def: $vgpr3_vgpr4
	s_cbranch_scc1 .LBB127_38
; %bb.40:                               ;   in Loop: Header=BB127_39 Depth=1
	s_clause 0x3
	buffer_load_dword v3, off, s[0:3], 0 offset:40
	buffer_load_dword v4, off, s[0:3], 0 offset:44
	;; [unrolled: 1-line block ×4, first 2 shown]
	v_mov_b32_e32 v22, s7
	s_add_i32 s6, s6, 64
	s_mov_b32 s8, 0
	s_clause 0xb
	buffer_load_dword v18, v22, s[0:3], 0 offen offset:16
	buffer_load_dword v19, v22, s[0:3], 0 offen offset:20
	buffer_load_dword v20, v22, s[0:3], 0 offen offset:24
	buffer_load_dword v21, v22, s[0:3], 0 offen offset:28
	buffer_load_dword v25, v22, s[0:3], 0 offen offset:32
	buffer_load_dword v26, v22, s[0:3], 0 offen offset:36
	buffer_load_dword v27, v22, s[0:3], 0 offen offset:40
	buffer_load_dword v28, v22, s[0:3], 0 offen offset:44
	buffer_load_dword v29, v22, s[0:3], 0 offen offset:48
	buffer_load_dword v30, v22, s[0:3], 0 offen offset:52
	buffer_load_dword v31, v22, s[0:3], 0 offen offset:56
	buffer_load_dword v32, v22, s[0:3], 0 offen offset:60
	ds_read2_b64 v[6:9], v5 offset0:2 offset1:3
	ds_read2_b64 v[10:13], v5 offset0:4 offset1:5
	;; [unrolled: 1-line block ×3, first 2 shown]
	s_waitcnt vmcnt(14) lgkmcnt(2)
	v_mul_f64 v[33:34], v[8:9], v[3:4]
	v_mul_f64 v[35:36], v[6:7], v[3:4]
	s_waitcnt lgkmcnt(1)
	v_mul_f64 v[37:38], v[12:13], v[3:4]
	v_mul_f64 v[39:40], v[10:11], v[3:4]
	s_waitcnt lgkmcnt(0)
	v_mul_f64 v[41:42], v[16:17], v[3:4]
	v_mul_f64 v[43:44], v[14:15], v[3:4]
	s_waitcnt vmcnt(12)
	v_fma_f64 v[5:6], v[6:7], v[1:2], -v[33:34]
	v_fma_f64 v[7:8], v[8:9], v[1:2], v[35:36]
	v_fma_f64 v[9:10], v[10:11], v[1:2], -v[37:38]
	v_fma_f64 v[11:12], v[12:13], v[1:2], v[39:40]
	;; [unrolled: 2-line block ×3, first 2 shown]
	s_waitcnt vmcnt(10)
	v_add_f64 v[5:6], v[18:19], -v[5:6]
	s_waitcnt vmcnt(8)
	v_add_f64 v[7:8], v[20:21], -v[7:8]
	;; [unrolled: 2-line block ×6, first 2 shown]
	buffer_store_dword v5, v22, s[0:3], 0 offen offset:16
	buffer_store_dword v6, v22, s[0:3], 0 offen offset:20
	;; [unrolled: 1-line block ×12, first 2 shown]
	s_branch .LBB127_38
.LBB127_41:
	s_or_b32 exec_lo, exec_lo, s5
	s_mov_b32 s6, exec_lo
	s_waitcnt lgkmcnt(0)
	s_waitcnt_vscnt null, 0x0
	s_barrier
	buffer_gl0_inv
	v_cmpx_eq_u32_e32 3, v0
	s_cbranch_execz .LBB127_50
; %bb.42:
	v_mov_b32_e32 v4, s76
	s_mov_b32 s5, 64
	s_clause 0x3
	buffer_load_dword v1, v4, s[0:3], 0 offen
	buffer_load_dword v2, v4, s[0:3], 0 offen offset:4
	buffer_load_dword v3, v4, s[0:3], 0 offen offset:8
	;; [unrolled: 1-line block ×3, first 2 shown]
	s_waitcnt vmcnt(0)
	ds_write2_b64 v23, v[1:2], v[3:4] offset1:1
.LBB127_43:                             ; =>This Inner Loop Header: Depth=1
	v_mov_b32_e32 v62, s5
	v_add_nc_u32_e32 v63, s5, v24
	s_addk_i32 s5, 0xf0
	s_clause 0x3b
	buffer_load_dword v1, v62, s[0:3], 0 offen
	buffer_load_dword v2, v62, s[0:3], 0 offen offset:4
	buffer_load_dword v3, v62, s[0:3], 0 offen offset:8
	buffer_load_dword v4, v62, s[0:3], 0 offen offset:12
	buffer_load_dword v5, v62, s[0:3], 0 offen offset:16
	buffer_load_dword v6, v62, s[0:3], 0 offen offset:20
	buffer_load_dword v7, v62, s[0:3], 0 offen offset:24
	buffer_load_dword v8, v62, s[0:3], 0 offen offset:28
	buffer_load_dword v9, v62, s[0:3], 0 offen offset:32
	buffer_load_dword v10, v62, s[0:3], 0 offen offset:36
	buffer_load_dword v11, v62, s[0:3], 0 offen offset:40
	buffer_load_dword v12, v62, s[0:3], 0 offen offset:44
	buffer_load_dword v13, v62, s[0:3], 0 offen offset:48
	buffer_load_dword v14, v62, s[0:3], 0 offen offset:52
	buffer_load_dword v15, v62, s[0:3], 0 offen offset:56
	buffer_load_dword v16, v62, s[0:3], 0 offen offset:60
	buffer_load_dword v18, v62, s[0:3], 0 offen offset:76
	buffer_load_dword v20, v62, s[0:3], 0 offen offset:92
	buffer_load_dword v19, v62, s[0:3], 0 offen offset:88
	buffer_load_dword v22, v62, s[0:3], 0 offen offset:84
	buffer_load_dword v21, v62, s[0:3], 0 offen offset:80
	buffer_load_dword v17, v62, s[0:3], 0 offen offset:72
	buffer_load_dword v26, v62, s[0:3], 0 offen offset:68
	buffer_load_dword v25, v62, s[0:3], 0 offen offset:64
	buffer_load_dword v28, v62, s[0:3], 0 offen offset:108
	buffer_load_dword v30, v62, s[0:3], 0 offen offset:124
	buffer_load_dword v29, v62, s[0:3], 0 offen offset:120
	buffer_load_dword v32, v62, s[0:3], 0 offen offset:116
	buffer_load_dword v31, v62, s[0:3], 0 offen offset:112
	buffer_load_dword v27, v62, s[0:3], 0 offen offset:104
	buffer_load_dword v34, v62, s[0:3], 0 offen offset:100
	buffer_load_dword v33, v62, s[0:3], 0 offen offset:96
	buffer_load_dword v35, v62, s[0:3], 0 offen offset:128
	buffer_load_dword v36, v62, s[0:3], 0 offen offset:132
	buffer_load_dword v37, v62, s[0:3], 0 offen offset:136
	buffer_load_dword v38, v62, s[0:3], 0 offen offset:140
	buffer_load_dword v39, v62, s[0:3], 0 offen offset:144
	buffer_load_dword v40, v62, s[0:3], 0 offen offset:148
	buffer_load_dword v41, v62, s[0:3], 0 offen offset:152
	buffer_load_dword v42, v62, s[0:3], 0 offen offset:156
	buffer_load_dword v43, v62, s[0:3], 0 offen offset:160
	buffer_load_dword v44, v62, s[0:3], 0 offen offset:164
	buffer_load_dword v45, v62, s[0:3], 0 offen offset:168
	buffer_load_dword v46, v62, s[0:3], 0 offen offset:172
	buffer_load_dword v47, v62, s[0:3], 0 offen offset:176
	buffer_load_dword v48, v62, s[0:3], 0 offen offset:180
	buffer_load_dword v49, v62, s[0:3], 0 offen offset:184
	buffer_load_dword v50, v62, s[0:3], 0 offen offset:188
	buffer_load_dword v51, v62, s[0:3], 0 offen offset:192
	buffer_load_dword v52, v62, s[0:3], 0 offen offset:196
	buffer_load_dword v53, v62, s[0:3], 0 offen offset:200
	buffer_load_dword v54, v62, s[0:3], 0 offen offset:204
	buffer_load_dword v55, v62, s[0:3], 0 offen offset:208
	buffer_load_dword v56, v62, s[0:3], 0 offen offset:212
	buffer_load_dword v57, v62, s[0:3], 0 offen offset:216
	buffer_load_dword v58, v62, s[0:3], 0 offen offset:220
	buffer_load_dword v59, v62, s[0:3], 0 offen offset:224
	buffer_load_dword v60, v62, s[0:3], 0 offen offset:228
	buffer_load_dword v61, v62, s[0:3], 0 offen offset:232
	buffer_load_dword v62, v62, s[0:3], 0 offen offset:236
	s_cmpk_lg_i32 s5, 0x400
	s_waitcnt vmcnt(56)
	ds_write2_b64 v63, v[1:2], v[3:4] offset1:1
	s_waitcnt vmcnt(52)
	ds_write2_b64 v63, v[5:6], v[7:8] offset0:2 offset1:3
	s_waitcnt vmcnt(48)
	ds_write2_b64 v63, v[9:10], v[11:12] offset0:4 offset1:5
	;; [unrolled: 2-line block ×4, first 2 shown]
	ds_write2_b64 v63, v[21:22], v[19:20] offset0:10 offset1:11
	s_waitcnt vmcnt(28)
	ds_write2_b64 v63, v[33:34], v[27:28] offset0:12 offset1:13
	ds_write2_b64 v63, v[31:32], v[29:30] offset0:14 offset1:15
	s_waitcnt vmcnt(24)
	ds_write2_b64 v63, v[35:36], v[37:38] offset0:16 offset1:17
	s_waitcnt vmcnt(20)
	ds_write2_b64 v63, v[39:40], v[41:42] offset0:18 offset1:19
	s_waitcnt vmcnt(16)
	ds_write2_b64 v63, v[43:44], v[45:46] offset0:20 offset1:21
	s_waitcnt vmcnt(12)
	ds_write2_b64 v63, v[47:48], v[49:50] offset0:22 offset1:23
	s_waitcnt vmcnt(8)
	ds_write2_b64 v63, v[51:52], v[53:54] offset0:24 offset1:25
	s_waitcnt vmcnt(4)
	ds_write2_b64 v63, v[55:56], v[57:58] offset0:26 offset1:27
	s_waitcnt vmcnt(0)
	ds_write2_b64 v63, v[59:60], v[61:62] offset0:28 offset1:29
	s_cbranch_scc1 .LBB127_43
; %bb.44:
	ds_read2_b64 v[1:4], v23 offset1:1
	s_waitcnt lgkmcnt(0)
	v_cmp_neq_f64_e32 vcc_lo, 0, v[1:2]
	v_cmp_neq_f64_e64 s5, 0, v[3:4]
	s_or_b32 s5, vcc_lo, s5
	s_and_b32 exec_lo, exec_lo, s5
	s_cbranch_execz .LBB127_50
; %bb.45:
	v_cmp_ngt_f64_e64 s5, |v[1:2]|, |v[3:4]|
                                        ; implicit-def: $vgpr5_vgpr6
	s_and_saveexec_b32 s7, s5
	s_xor_b32 s5, exec_lo, s7
                                        ; implicit-def: $vgpr7_vgpr8
	s_cbranch_execz .LBB127_47
; %bb.46:
	v_div_scale_f64 v[5:6], null, v[3:4], v[3:4], v[1:2]
	v_div_scale_f64 v[11:12], vcc_lo, v[1:2], v[3:4], v[1:2]
	v_rcp_f64_e32 v[7:8], v[5:6]
	v_fma_f64 v[9:10], -v[5:6], v[7:8], 1.0
	v_fma_f64 v[7:8], v[7:8], v[9:10], v[7:8]
	v_fma_f64 v[9:10], -v[5:6], v[7:8], 1.0
	v_fma_f64 v[7:8], v[7:8], v[9:10], v[7:8]
	v_mul_f64 v[9:10], v[11:12], v[7:8]
	v_fma_f64 v[5:6], -v[5:6], v[9:10], v[11:12]
	v_div_fmas_f64 v[5:6], v[5:6], v[7:8], v[9:10]
	v_div_fixup_f64 v[5:6], v[5:6], v[3:4], v[1:2]
	v_fma_f64 v[1:2], v[1:2], v[5:6], v[3:4]
	v_div_scale_f64 v[3:4], null, v[1:2], v[1:2], 1.0
	v_rcp_f64_e32 v[7:8], v[3:4]
	v_fma_f64 v[9:10], -v[3:4], v[7:8], 1.0
	v_fma_f64 v[7:8], v[7:8], v[9:10], v[7:8]
	v_fma_f64 v[9:10], -v[3:4], v[7:8], 1.0
	v_fma_f64 v[7:8], v[7:8], v[9:10], v[7:8]
	v_div_scale_f64 v[9:10], vcc_lo, 1.0, v[1:2], 1.0
	v_mul_f64 v[11:12], v[9:10], v[7:8]
	v_fma_f64 v[3:4], -v[3:4], v[11:12], v[9:10]
	v_div_fmas_f64 v[3:4], v[3:4], v[7:8], v[11:12]
	v_div_fixup_f64 v[7:8], v[3:4], v[1:2], 1.0
                                        ; implicit-def: $vgpr1_vgpr2
	v_mul_f64 v[5:6], v[5:6], v[7:8]
	v_xor_b32_e32 v8, 0x80000000, v8
.LBB127_47:
	s_andn2_saveexec_b32 s5, s5
	s_cbranch_execz .LBB127_49
; %bb.48:
	v_div_scale_f64 v[5:6], null, v[1:2], v[1:2], v[3:4]
	v_div_scale_f64 v[11:12], vcc_lo, v[3:4], v[1:2], v[3:4]
	v_rcp_f64_e32 v[7:8], v[5:6]
	v_fma_f64 v[9:10], -v[5:6], v[7:8], 1.0
	v_fma_f64 v[7:8], v[7:8], v[9:10], v[7:8]
	v_fma_f64 v[9:10], -v[5:6], v[7:8], 1.0
	v_fma_f64 v[7:8], v[7:8], v[9:10], v[7:8]
	v_mul_f64 v[9:10], v[11:12], v[7:8]
	v_fma_f64 v[5:6], -v[5:6], v[9:10], v[11:12]
	v_div_fmas_f64 v[5:6], v[5:6], v[7:8], v[9:10]
	v_div_fixup_f64 v[7:8], v[5:6], v[1:2], v[3:4]
	v_fma_f64 v[1:2], v[3:4], v[7:8], v[1:2]
	v_div_scale_f64 v[3:4], null, v[1:2], v[1:2], 1.0
	v_rcp_f64_e32 v[5:6], v[3:4]
	v_fma_f64 v[9:10], -v[3:4], v[5:6], 1.0
	v_fma_f64 v[5:6], v[5:6], v[9:10], v[5:6]
	v_fma_f64 v[9:10], -v[3:4], v[5:6], 1.0
	v_fma_f64 v[5:6], v[5:6], v[9:10], v[5:6]
	v_div_scale_f64 v[9:10], vcc_lo, 1.0, v[1:2], 1.0
	v_mul_f64 v[11:12], v[9:10], v[5:6]
	v_fma_f64 v[3:4], -v[3:4], v[11:12], v[9:10]
	v_div_fmas_f64 v[3:4], v[3:4], v[5:6], v[11:12]
	v_div_fixup_f64 v[5:6], v[3:4], v[1:2], 1.0
	v_mul_f64 v[7:8], v[7:8], -v[5:6]
.LBB127_49:
	s_or_b32 exec_lo, exec_lo, s5
	ds_write2_b64 v23, v[5:6], v[7:8] offset1:1
.LBB127_50:
	s_or_b32 exec_lo, exec_lo, s6
	s_waitcnt lgkmcnt(0)
	s_barrier
	buffer_gl0_inv
	ds_read2_b64 v[128:131], v23 offset1:1
	s_mov_b32 s5, exec_lo
	v_cmpx_lt_u32_e32 3, v0
	s_cbranch_execz .LBB127_53
; %bb.51:
	s_clause 0x3
	buffer_load_dword v1, off, s[0:3], 0 offset:56
	buffer_load_dword v2, off, s[0:3], 0 offset:60
	;; [unrolled: 1-line block ×4, first 2 shown]
	s_mov_b32 s6, 64
	s_waitcnt vmcnt(2) lgkmcnt(0)
	v_mul_f64 v[5:6], v[130:131], v[1:2]
	v_mul_f64 v[7:8], v[128:129], v[1:2]
	s_waitcnt vmcnt(0)
	v_fma_f64 v[1:2], v[128:129], v[3:4], -v[5:6]
	v_fma_f64 v[3:4], v[130:131], v[3:4], v[7:8]
	buffer_store_dword v1, off, s[0:3], 0 offset:48
	buffer_store_dword v2, off, s[0:3], 0 offset:52
	;; [unrolled: 1-line block ×4, first 2 shown]
.LBB127_52:                             ; =>This Inner Loop Header: Depth=1
	v_mov_b32_e32 v55, s6
	v_add_nc_u32_e32 v39, s6, v24
	s_addk_i32 s6, 0x60
	s_clause 0x3
	buffer_load_dword v13, v55, s[0:3], 0 offen
	buffer_load_dword v14, v55, s[0:3], 0 offen offset:4
	buffer_load_dword v15, v55, s[0:3], 0 offen offset:8
	;; [unrolled: 1-line block ×3, first 2 shown]
	ds_read2_b64 v[5:8], v39 offset1:1
	ds_read2_b64 v[9:12], v39 offset0:2 offset1:3
	s_clause 0x7
	buffer_load_dword v17, v55, s[0:3], 0 offen offset:16
	buffer_load_dword v19, v55, s[0:3], 0 offen offset:24
	;; [unrolled: 1-line block ×8, first 2 shown]
	s_cmpk_lg_i32 s6, 0x400
	s_waitcnt lgkmcnt(1)
	v_mul_f64 v[28:29], v[7:8], v[3:4]
	v_mul_f64 v[3:4], v[5:6], v[3:4]
	v_fma_f64 v[5:6], v[5:6], v[1:2], -v[28:29]
	v_fma_f64 v[1:2], v[7:8], v[1:2], v[3:4]
	s_waitcnt vmcnt(10)
	v_add_f64 v[3:4], v[13:14], -v[5:6]
	s_waitcnt vmcnt(8)
	v_add_f64 v[1:2], v[15:16], -v[1:2]
	buffer_store_dword v4, v55, s[0:3], 0 offen offset:4
	buffer_store_dword v3, v55, s[0:3], 0 offen
	buffer_store_dword v2, v55, s[0:3], 0 offen offset:12
	buffer_store_dword v1, v55, s[0:3], 0 offen offset:8
	s_clause 0x7
	buffer_load_dword v2, off, s[0:3], 0 offset:60
	buffer_load_dword v1, off, s[0:3], 0 offset:56
	;; [unrolled: 1-line block ×4, first 2 shown]
	buffer_load_dword v21, v55, s[0:3], 0 offen offset:32
	buffer_load_dword v28, v55, s[0:3], 0 offen offset:44
	;; [unrolled: 1-line block ×4, first 2 shown]
	s_waitcnt vmcnt(6) lgkmcnt(0)
	v_mul_f64 v[5:6], v[11:12], v[1:2]
	v_mul_f64 v[1:2], v[9:10], v[1:2]
	s_waitcnt vmcnt(4)
	v_fma_f64 v[5:6], v[9:10], v[3:4], -v[5:6]
	v_fma_f64 v[1:2], v[11:12], v[3:4], v[1:2]
	v_add_f64 v[3:4], v[17:18], -v[5:6]
	v_add_f64 v[1:2], v[19:20], -v[1:2]
	buffer_store_dword v4, v55, s[0:3], 0 offen offset:20
	buffer_store_dword v3, v55, s[0:3], 0 offen offset:16
	;; [unrolled: 1-line block ×4, first 2 shown]
	s_clause 0xb
	buffer_load_dword v3, off, s[0:3], 0 offset:56
	buffer_load_dword v4, off, s[0:3], 0 offset:60
	buffer_load_dword v1, off, s[0:3], 0 offset:48
	buffer_load_dword v2, off, s[0:3], 0 offset:52
	buffer_load_dword v31, v55, s[0:3], 0 offen offset:64
	buffer_load_dword v32, v55, s[0:3], 0 offen offset:68
	;; [unrolled: 1-line block ×8, first 2 shown]
	ds_read2_b64 v[5:8], v39 offset0:4 offset1:5
	ds_read2_b64 v[9:12], v39 offset0:6 offset1:7
	;; [unrolled: 1-line block ×4, first 2 shown]
	s_waitcnt vmcnt(10) lgkmcnt(3)
	v_mul_f64 v[39:40], v[7:8], v[3:4]
	v_mul_f64 v[41:42], v[5:6], v[3:4]
	s_waitcnt lgkmcnt(2)
	v_mul_f64 v[43:44], v[11:12], v[3:4]
	v_mul_f64 v[45:46], v[9:10], v[3:4]
	s_waitcnt lgkmcnt(1)
	;; [unrolled: 3-line block ×3, first 2 shown]
	v_mul_f64 v[51:52], v[19:20], v[3:4]
	v_mul_f64 v[53:54], v[17:18], v[3:4]
	s_waitcnt vmcnt(8)
	v_fma_f64 v[5:6], v[5:6], v[1:2], -v[39:40]
	v_fma_f64 v[7:8], v[7:8], v[1:2], v[41:42]
	v_fma_f64 v[9:10], v[9:10], v[1:2], -v[43:44]
	v_fma_f64 v[11:12], v[11:12], v[1:2], v[45:46]
	;; [unrolled: 2-line block ×4, first 2 shown]
	v_add_f64 v[5:6], v[21:22], -v[5:6]
	v_add_f64 v[7:8], v[27:28], -v[7:8]
	;; [unrolled: 1-line block ×4, first 2 shown]
	s_waitcnt vmcnt(6)
	v_add_f64 v[13:14], v[31:32], -v[13:14]
	s_waitcnt vmcnt(4)
	v_add_f64 v[15:16], v[33:34], -v[15:16]
	;; [unrolled: 2-line block ×4, first 2 shown]
	buffer_store_dword v6, v55, s[0:3], 0 offen offset:36
	buffer_store_dword v5, v55, s[0:3], 0 offen offset:32
	;; [unrolled: 1-line block ×16, first 2 shown]
	s_cbranch_scc1 .LBB127_52
.LBB127_53:
	s_or_b32 exec_lo, exec_lo, s5
	s_mov_b32 s6, exec_lo
	s_waitcnt lgkmcnt(0)
	s_waitcnt_vscnt null, 0x0
	s_barrier
	buffer_gl0_inv
	v_cmpx_eq_u32_e32 4, v0
	s_cbranch_execz .LBB127_64
; %bb.54:
	v_mov_b32_e32 v4, s75
	s_movk_i32 s5, 0x50
	s_clause 0x3
	buffer_load_dword v1, v4, s[0:3], 0 offen
	buffer_load_dword v2, v4, s[0:3], 0 offen offset:4
	buffer_load_dword v3, v4, s[0:3], 0 offen offset:8
	buffer_load_dword v4, v4, s[0:3], 0 offen offset:12
	s_waitcnt vmcnt(0)
	ds_write2_b64 v23, v[1:2], v[3:4] offset1:1
	s_branch .LBB127_56
.LBB127_55:                             ;   in Loop: Header=BB127_56 Depth=1
	s_andn2_b32 vcc_lo, exec_lo, s8
	s_cbranch_vccz .LBB127_58
.LBB127_56:                             ; =>This Inner Loop Header: Depth=1
	v_mov_b32_e32 v1, s5
	s_mov_b32 s7, s5
	s_mov_b32 s8, -1
	s_cmpk_eq_i32 s5, 0x3d0
	s_clause 0xb
	buffer_load_dword v2, v1, s[0:3], 0 offen
	buffer_load_dword v3, v1, s[0:3], 0 offen offset:4
	buffer_load_dword v4, v1, s[0:3], 0 offen offset:8
	;; [unrolled: 1-line block ×11, first 2 shown]
	v_add_nc_u32_e32 v1, s5, v24
	s_waitcnt vmcnt(8)
	ds_write2_b64 v1, v[2:3], v[4:5] offset1:1
	s_waitcnt vmcnt(4)
	ds_write2_b64 v1, v[6:7], v[8:9] offset0:2 offset1:3
	s_waitcnt vmcnt(0)
	ds_write2_b64 v1, v[10:11], v[12:13] offset0:4 offset1:5
	s_cbranch_scc1 .LBB127_55
; %bb.57:                               ;   in Loop: Header=BB127_56 Depth=1
	v_mov_b32_e32 v20, s7
	s_addk_i32 s5, 0x80
	s_mov_b32 s8, 0
	s_clause 0x13
	buffer_load_dword v2, v20, s[0:3], 0 offen offset:48
	buffer_load_dword v3, v20, s[0:3], 0 offen offset:52
	buffer_load_dword v4, v20, s[0:3], 0 offen offset:56
	buffer_load_dword v5, v20, s[0:3], 0 offen offset:60
	buffer_load_dword v6, v20, s[0:3], 0 offen offset:64
	buffer_load_dword v7, v20, s[0:3], 0 offen offset:68
	buffer_load_dword v8, v20, s[0:3], 0 offen offset:72
	buffer_load_dword v9, v20, s[0:3], 0 offen offset:76
	buffer_load_dword v10, v20, s[0:3], 0 offen offset:80
	buffer_load_dword v11, v20, s[0:3], 0 offen offset:84
	buffer_load_dword v12, v20, s[0:3], 0 offen offset:88
	buffer_load_dword v13, v20, s[0:3], 0 offen offset:92
	buffer_load_dword v14, v20, s[0:3], 0 offen offset:96
	buffer_load_dword v15, v20, s[0:3], 0 offen offset:100
	buffer_load_dword v16, v20, s[0:3], 0 offen offset:104
	buffer_load_dword v17, v20, s[0:3], 0 offen offset:108
	buffer_load_dword v19, v20, s[0:3], 0 offen offset:124
	buffer_load_dword v18, v20, s[0:3], 0 offen offset:120
	buffer_load_dword v21, v20, s[0:3], 0 offen offset:116
	buffer_load_dword v20, v20, s[0:3], 0 offen offset:112
	s_waitcnt vmcnt(16)
	ds_write2_b64 v1, v[2:3], v[4:5] offset0:6 offset1:7
	s_waitcnt vmcnt(12)
	ds_write2_b64 v1, v[6:7], v[8:9] offset0:8 offset1:9
	;; [unrolled: 2-line block ×5, first 2 shown]
	s_branch .LBB127_55
.LBB127_58:
	ds_read2_b64 v[1:4], v23 offset1:1
	s_waitcnt lgkmcnt(0)
	v_cmp_neq_f64_e32 vcc_lo, 0, v[1:2]
	v_cmp_neq_f64_e64 s5, 0, v[3:4]
	s_or_b32 s5, vcc_lo, s5
	s_and_b32 exec_lo, exec_lo, s5
	s_cbranch_execz .LBB127_64
; %bb.59:
	v_cmp_ngt_f64_e64 s5, |v[1:2]|, |v[3:4]|
                                        ; implicit-def: $vgpr5_vgpr6
	s_and_saveexec_b32 s7, s5
	s_xor_b32 s5, exec_lo, s7
                                        ; implicit-def: $vgpr7_vgpr8
	s_cbranch_execz .LBB127_61
; %bb.60:
	v_div_scale_f64 v[5:6], null, v[3:4], v[3:4], v[1:2]
	v_div_scale_f64 v[11:12], vcc_lo, v[1:2], v[3:4], v[1:2]
	v_rcp_f64_e32 v[7:8], v[5:6]
	v_fma_f64 v[9:10], -v[5:6], v[7:8], 1.0
	v_fma_f64 v[7:8], v[7:8], v[9:10], v[7:8]
	v_fma_f64 v[9:10], -v[5:6], v[7:8], 1.0
	v_fma_f64 v[7:8], v[7:8], v[9:10], v[7:8]
	v_mul_f64 v[9:10], v[11:12], v[7:8]
	v_fma_f64 v[5:6], -v[5:6], v[9:10], v[11:12]
	v_div_fmas_f64 v[5:6], v[5:6], v[7:8], v[9:10]
	v_div_fixup_f64 v[5:6], v[5:6], v[3:4], v[1:2]
	v_fma_f64 v[1:2], v[1:2], v[5:6], v[3:4]
	v_div_scale_f64 v[3:4], null, v[1:2], v[1:2], 1.0
	v_rcp_f64_e32 v[7:8], v[3:4]
	v_fma_f64 v[9:10], -v[3:4], v[7:8], 1.0
	v_fma_f64 v[7:8], v[7:8], v[9:10], v[7:8]
	v_fma_f64 v[9:10], -v[3:4], v[7:8], 1.0
	v_fma_f64 v[7:8], v[7:8], v[9:10], v[7:8]
	v_div_scale_f64 v[9:10], vcc_lo, 1.0, v[1:2], 1.0
	v_mul_f64 v[11:12], v[9:10], v[7:8]
	v_fma_f64 v[3:4], -v[3:4], v[11:12], v[9:10]
	v_div_fmas_f64 v[3:4], v[3:4], v[7:8], v[11:12]
	v_div_fixup_f64 v[7:8], v[3:4], v[1:2], 1.0
                                        ; implicit-def: $vgpr1_vgpr2
	v_mul_f64 v[5:6], v[5:6], v[7:8]
	v_xor_b32_e32 v8, 0x80000000, v8
.LBB127_61:
	s_andn2_saveexec_b32 s5, s5
	s_cbranch_execz .LBB127_63
; %bb.62:
	v_div_scale_f64 v[5:6], null, v[1:2], v[1:2], v[3:4]
	v_div_scale_f64 v[11:12], vcc_lo, v[3:4], v[1:2], v[3:4]
	v_rcp_f64_e32 v[7:8], v[5:6]
	v_fma_f64 v[9:10], -v[5:6], v[7:8], 1.0
	v_fma_f64 v[7:8], v[7:8], v[9:10], v[7:8]
	v_fma_f64 v[9:10], -v[5:6], v[7:8], 1.0
	v_fma_f64 v[7:8], v[7:8], v[9:10], v[7:8]
	v_mul_f64 v[9:10], v[11:12], v[7:8]
	v_fma_f64 v[5:6], -v[5:6], v[9:10], v[11:12]
	v_div_fmas_f64 v[5:6], v[5:6], v[7:8], v[9:10]
	v_div_fixup_f64 v[7:8], v[5:6], v[1:2], v[3:4]
	v_fma_f64 v[1:2], v[3:4], v[7:8], v[1:2]
	v_div_scale_f64 v[3:4], null, v[1:2], v[1:2], 1.0
	v_rcp_f64_e32 v[5:6], v[3:4]
	v_fma_f64 v[9:10], -v[3:4], v[5:6], 1.0
	v_fma_f64 v[5:6], v[5:6], v[9:10], v[5:6]
	v_fma_f64 v[9:10], -v[3:4], v[5:6], 1.0
	v_fma_f64 v[5:6], v[5:6], v[9:10], v[5:6]
	v_div_scale_f64 v[9:10], vcc_lo, 1.0, v[1:2], 1.0
	v_mul_f64 v[11:12], v[9:10], v[5:6]
	v_fma_f64 v[3:4], -v[3:4], v[11:12], v[9:10]
	v_div_fmas_f64 v[3:4], v[3:4], v[5:6], v[11:12]
	v_div_fixup_f64 v[5:6], v[3:4], v[1:2], 1.0
	v_mul_f64 v[7:8], v[7:8], -v[5:6]
.LBB127_63:
	s_or_b32 exec_lo, exec_lo, s5
	ds_write2_b64 v23, v[5:6], v[7:8] offset1:1
.LBB127_64:
	s_or_b32 exec_lo, exec_lo, s6
	s_waitcnt lgkmcnt(0)
	s_barrier
	buffer_gl0_inv
	ds_read2_b64 v[132:135], v23 offset1:1
	s_mov_b32 s5, exec_lo
	v_cmpx_lt_u32_e32 4, v0
	s_cbranch_execz .LBB127_69
; %bb.65:
	s_clause 0x3
	buffer_load_dword v1, off, s[0:3], 0 offset:72
	buffer_load_dword v2, off, s[0:3], 0 offset:76
	;; [unrolled: 1-line block ×4, first 2 shown]
	s_movk_i32 s6, 0x50
	s_waitcnt vmcnt(2) lgkmcnt(0)
	v_mul_f64 v[5:6], v[134:135], v[1:2]
	v_mul_f64 v[7:8], v[132:133], v[1:2]
	s_waitcnt vmcnt(0)
	v_fma_f64 v[1:2], v[132:133], v[3:4], -v[5:6]
	v_fma_f64 v[3:4], v[134:135], v[3:4], v[7:8]
	buffer_store_dword v1, off, s[0:3], 0 offset:64
	buffer_store_dword v2, off, s[0:3], 0 offset:68
	;; [unrolled: 1-line block ×4, first 2 shown]
	s_branch .LBB127_67
.LBB127_66:                             ;   in Loop: Header=BB127_67 Depth=1
	s_andn2_b32 vcc_lo, exec_lo, s8
	s_cbranch_vccz .LBB127_69
.LBB127_67:                             ; =>This Inner Loop Header: Depth=1
	v_mov_b32_e32 v21, s6
	v_add_nc_u32_e32 v5, s6, v24
	s_mov_b32 s7, s6
	s_mov_b32 s8, -1
	s_cmpk_eq_i32 s6, 0x3d0
	s_clause 0x3
	buffer_load_dword v14, v21, s[0:3], 0 offen
	buffer_load_dword v15, v21, s[0:3], 0 offen offset:4
	buffer_load_dword v16, v21, s[0:3], 0 offen offset:8
	;; [unrolled: 1-line block ×3, first 2 shown]
	ds_read2_b64 v[6:9], v5 offset1:1
	ds_read2_b64 v[10:13], v5 offset0:2 offset1:3
	s_waitcnt lgkmcnt(1)
	v_mul_f64 v[18:19], v[8:9], v[3:4]
	v_mul_f64 v[3:4], v[6:7], v[3:4]
	v_fma_f64 v[6:7], v[6:7], v[1:2], -v[18:19]
	v_fma_f64 v[1:2], v[8:9], v[1:2], v[3:4]
	s_clause 0x2
	buffer_load_dword v3, v21, s[0:3], 0 offen offset:20
	buffer_load_dword v8, v21, s[0:3], 0 offen offset:28
	;; [unrolled: 1-line block ×3, first 2 shown]
	s_waitcnt vmcnt(5)
	v_add_f64 v[6:7], v[14:15], -v[6:7]
	s_waitcnt vmcnt(3)
	v_add_f64 v[1:2], v[16:17], -v[1:2]
	buffer_store_dword v7, v21, s[0:3], 0 offen offset:4
	buffer_store_dword v6, v21, s[0:3], 0 offen
	buffer_store_dword v2, v21, s[0:3], 0 offen offset:12
	buffer_store_dword v1, v21, s[0:3], 0 offen offset:8
	s_clause 0x6
	buffer_load_dword v7, v21, s[0:3], 0 offen offset:24
	buffer_load_dword v14, v21, s[0:3], 0 offen offset:36
	buffer_load_dword v16, off, s[0:3], 0 offset:76
	buffer_load_dword v15, off, s[0:3], 0 offset:72
	buffer_load_dword v18, off, s[0:3], 0 offset:68
	buffer_load_dword v17, off, s[0:3], 0 offset:64
	buffer_load_dword v2, v21, s[0:3], 0 offen offset:16
	s_waitcnt vmcnt(3) lgkmcnt(0)
	v_mul_f64 v[19:20], v[12:13], v[15:16]
	v_mul_f64 v[15:16], v[10:11], v[15:16]
	s_waitcnt vmcnt(1)
	v_fma_f64 v[10:11], v[10:11], v[17:18], -v[19:20]
	v_fma_f64 v[12:13], v[12:13], v[17:18], v[15:16]
	s_waitcnt vmcnt(0)
	v_add_f64 v[1:2], v[2:3], -v[10:11]
	v_add_f64 v[3:4], v[7:8], -v[12:13]
	buffer_store_dword v2, v21, s[0:3], 0 offen offset:20
	buffer_store_dword v1, v21, s[0:3], 0 offen offset:16
	;; [unrolled: 1-line block ×4, first 2 shown]
	s_clause 0x5
	buffer_load_dword v10, v21, s[0:3], 0 offen offset:44
	buffer_load_dword v6, off, s[0:3], 0 offset:72
	buffer_load_dword v7, off, s[0:3], 0 offset:76
	;; [unrolled: 1-line block ×4, first 2 shown]
	buffer_load_dword v13, v21, s[0:3], 0 offen offset:32
	ds_read2_b64 v[1:4], v5 offset0:4 offset1:5
	s_waitcnt vmcnt(3) lgkmcnt(0)
	v_mul_f64 v[15:16], v[3:4], v[6:7]
	v_mul_f64 v[6:7], v[1:2], v[6:7]
	s_waitcnt vmcnt(1)
	v_fma_f64 v[1:2], v[1:2], v[11:12], -v[15:16]
	v_fma_f64 v[3:4], v[3:4], v[11:12], v[6:7]
	s_waitcnt vmcnt(0)
	v_add_f64 v[1:2], v[13:14], -v[1:2]
	v_add_f64 v[3:4], v[9:10], -v[3:4]
	buffer_store_dword v2, v21, s[0:3], 0 offen offset:36
	buffer_store_dword v1, v21, s[0:3], 0 offen offset:32
	;; [unrolled: 1-line block ×4, first 2 shown]
                                        ; implicit-def: $vgpr1_vgpr2
                                        ; implicit-def: $vgpr3_vgpr4
	s_cbranch_scc1 .LBB127_66
; %bb.68:                               ;   in Loop: Header=BB127_67 Depth=1
	s_clause 0x3
	buffer_load_dword v3, off, s[0:3], 0 offset:72
	buffer_load_dword v4, off, s[0:3], 0 offset:76
	buffer_load_dword v1, off, s[0:3], 0 offset:64
	buffer_load_dword v2, off, s[0:3], 0 offset:68
	v_mov_b32_e32 v17, s7
	s_add_i32 s6, s6, 64
	s_mov_b32 s8, 0
	s_clause 0x3
	buffer_load_dword v9, v17, s[0:3], 0 offen offset:48
	buffer_load_dword v10, v17, s[0:3], 0 offen offset:52
	;; [unrolled: 1-line block ×4, first 2 shown]
	ds_read2_b64 v[5:8], v5 offset0:6 offset1:7
	s_waitcnt vmcnt(6) lgkmcnt(0)
	v_mul_f64 v[13:14], v[7:8], v[3:4]
	v_mul_f64 v[15:16], v[5:6], v[3:4]
	s_waitcnt vmcnt(4)
	v_fma_f64 v[5:6], v[5:6], v[1:2], -v[13:14]
	v_fma_f64 v[7:8], v[7:8], v[1:2], v[15:16]
	s_waitcnt vmcnt(2)
	v_add_f64 v[5:6], v[9:10], -v[5:6]
	s_waitcnt vmcnt(0)
	v_add_f64 v[7:8], v[11:12], -v[7:8]
	buffer_store_dword v5, v17, s[0:3], 0 offen offset:48
	buffer_store_dword v6, v17, s[0:3], 0 offen offset:52
	;; [unrolled: 1-line block ×4, first 2 shown]
	s_branch .LBB127_66
.LBB127_69:
	s_or_b32 exec_lo, exec_lo, s5
	s_mov_b32 s6, exec_lo
	s_waitcnt lgkmcnt(0)
	s_waitcnt_vscnt null, 0x0
	s_barrier
	buffer_gl0_inv
	v_cmpx_eq_u32_e32 5, v0
	s_cbranch_execz .LBB127_78
; %bb.70:
	v_mov_b32_e32 v4, s74
	s_movk_i32 s5, 0x60
	s_clause 0x3
	buffer_load_dword v1, v4, s[0:3], 0 offen
	buffer_load_dword v2, v4, s[0:3], 0 offen offset:4
	buffer_load_dword v3, v4, s[0:3], 0 offen offset:8
	;; [unrolled: 1-line block ×3, first 2 shown]
	s_waitcnt vmcnt(0)
	ds_write2_b64 v23, v[1:2], v[3:4] offset1:1
	.p2align	6
.LBB127_71:                             ; =>This Inner Loop Header: Depth=1
	v_mov_b32_e32 v8, s5
	v_add_nc_u32_e32 v9, s5, v24
	s_add_i32 s5, s5, 32
	s_clause 0x7
	buffer_load_dword v1, v8, s[0:3], 0 offen
	buffer_load_dword v2, v8, s[0:3], 0 offen offset:4
	buffer_load_dword v3, v8, s[0:3], 0 offen offset:8
	;; [unrolled: 1-line block ×7, first 2 shown]
	s_cmpk_lg_i32 s5, 0x400
	s_waitcnt vmcnt(4)
	ds_write2_b64 v9, v[1:2], v[3:4] offset1:1
	s_waitcnt vmcnt(0)
	ds_write2_b64 v9, v[5:6], v[7:8] offset0:2 offset1:3
	s_cbranch_scc1 .LBB127_71
; %bb.72:
	ds_read2_b64 v[1:4], v23 offset1:1
	s_waitcnt lgkmcnt(0)
	v_cmp_neq_f64_e32 vcc_lo, 0, v[1:2]
	v_cmp_neq_f64_e64 s5, 0, v[3:4]
	s_or_b32 s5, vcc_lo, s5
	s_and_b32 exec_lo, exec_lo, s5
	s_cbranch_execz .LBB127_78
; %bb.73:
	v_cmp_ngt_f64_e64 s5, |v[1:2]|, |v[3:4]|
                                        ; implicit-def: $vgpr5_vgpr6
	s_and_saveexec_b32 s7, s5
	s_xor_b32 s5, exec_lo, s7
                                        ; implicit-def: $vgpr7_vgpr8
	s_cbranch_execz .LBB127_75
; %bb.74:
	v_div_scale_f64 v[5:6], null, v[3:4], v[3:4], v[1:2]
	v_div_scale_f64 v[11:12], vcc_lo, v[1:2], v[3:4], v[1:2]
	v_rcp_f64_e32 v[7:8], v[5:6]
	v_fma_f64 v[9:10], -v[5:6], v[7:8], 1.0
	v_fma_f64 v[7:8], v[7:8], v[9:10], v[7:8]
	v_fma_f64 v[9:10], -v[5:6], v[7:8], 1.0
	v_fma_f64 v[7:8], v[7:8], v[9:10], v[7:8]
	v_mul_f64 v[9:10], v[11:12], v[7:8]
	v_fma_f64 v[5:6], -v[5:6], v[9:10], v[11:12]
	v_div_fmas_f64 v[5:6], v[5:6], v[7:8], v[9:10]
	v_div_fixup_f64 v[5:6], v[5:6], v[3:4], v[1:2]
	v_fma_f64 v[1:2], v[1:2], v[5:6], v[3:4]
	v_div_scale_f64 v[3:4], null, v[1:2], v[1:2], 1.0
	v_rcp_f64_e32 v[7:8], v[3:4]
	v_fma_f64 v[9:10], -v[3:4], v[7:8], 1.0
	v_fma_f64 v[7:8], v[7:8], v[9:10], v[7:8]
	v_fma_f64 v[9:10], -v[3:4], v[7:8], 1.0
	v_fma_f64 v[7:8], v[7:8], v[9:10], v[7:8]
	v_div_scale_f64 v[9:10], vcc_lo, 1.0, v[1:2], 1.0
	v_mul_f64 v[11:12], v[9:10], v[7:8]
	v_fma_f64 v[3:4], -v[3:4], v[11:12], v[9:10]
	v_div_fmas_f64 v[3:4], v[3:4], v[7:8], v[11:12]
	v_div_fixup_f64 v[7:8], v[3:4], v[1:2], 1.0
                                        ; implicit-def: $vgpr1_vgpr2
	v_mul_f64 v[5:6], v[5:6], v[7:8]
	v_xor_b32_e32 v8, 0x80000000, v8
.LBB127_75:
	s_andn2_saveexec_b32 s5, s5
	s_cbranch_execz .LBB127_77
; %bb.76:
	v_div_scale_f64 v[5:6], null, v[1:2], v[1:2], v[3:4]
	v_div_scale_f64 v[11:12], vcc_lo, v[3:4], v[1:2], v[3:4]
	v_rcp_f64_e32 v[7:8], v[5:6]
	v_fma_f64 v[9:10], -v[5:6], v[7:8], 1.0
	v_fma_f64 v[7:8], v[7:8], v[9:10], v[7:8]
	v_fma_f64 v[9:10], -v[5:6], v[7:8], 1.0
	v_fma_f64 v[7:8], v[7:8], v[9:10], v[7:8]
	v_mul_f64 v[9:10], v[11:12], v[7:8]
	v_fma_f64 v[5:6], -v[5:6], v[9:10], v[11:12]
	v_div_fmas_f64 v[5:6], v[5:6], v[7:8], v[9:10]
	v_div_fixup_f64 v[7:8], v[5:6], v[1:2], v[3:4]
	v_fma_f64 v[1:2], v[3:4], v[7:8], v[1:2]
	v_div_scale_f64 v[3:4], null, v[1:2], v[1:2], 1.0
	v_rcp_f64_e32 v[5:6], v[3:4]
	v_fma_f64 v[9:10], -v[3:4], v[5:6], 1.0
	v_fma_f64 v[5:6], v[5:6], v[9:10], v[5:6]
	v_fma_f64 v[9:10], -v[3:4], v[5:6], 1.0
	v_fma_f64 v[5:6], v[5:6], v[9:10], v[5:6]
	v_div_scale_f64 v[9:10], vcc_lo, 1.0, v[1:2], 1.0
	v_mul_f64 v[11:12], v[9:10], v[5:6]
	v_fma_f64 v[3:4], -v[3:4], v[11:12], v[9:10]
	v_div_fmas_f64 v[3:4], v[3:4], v[5:6], v[11:12]
	v_div_fixup_f64 v[5:6], v[3:4], v[1:2], 1.0
	v_mul_f64 v[7:8], v[7:8], -v[5:6]
.LBB127_77:
	s_or_b32 exec_lo, exec_lo, s5
	ds_write2_b64 v23, v[5:6], v[7:8] offset1:1
.LBB127_78:
	s_or_b32 exec_lo, exec_lo, s6
	s_waitcnt lgkmcnt(0)
	s_barrier
	buffer_gl0_inv
	ds_read2_b64 v[136:139], v23 offset1:1
	s_mov_b32 s5, exec_lo
	v_cmpx_lt_u32_e32 5, v0
	s_cbranch_execz .LBB127_81
; %bb.79:
	s_clause 0x3
	buffer_load_dword v1, off, s[0:3], 0 offset:88
	buffer_load_dword v2, off, s[0:3], 0 offset:92
	;; [unrolled: 1-line block ×4, first 2 shown]
	s_movk_i32 s6, 0x60
	s_waitcnt vmcnt(2) lgkmcnt(0)
	v_mul_f64 v[5:6], v[138:139], v[1:2]
	v_mul_f64 v[1:2], v[136:137], v[1:2]
	s_waitcnt vmcnt(0)
	v_fma_f64 v[5:6], v[136:137], v[3:4], -v[5:6]
	v_fma_f64 v[1:2], v[138:139], v[3:4], v[1:2]
	buffer_store_dword v5, off, s[0:3], 0 offset:80
	buffer_store_dword v6, off, s[0:3], 0 offset:84
	;; [unrolled: 1-line block ×4, first 2 shown]
.LBB127_80:                             ; =>This Inner Loop Header: Depth=1
	s_clause 0x3
	buffer_load_dword v9, off, s[0:3], 0 offset:88
	buffer_load_dword v10, off, s[0:3], 0 offset:92
	;; [unrolled: 1-line block ×4, first 2 shown]
	v_mov_b32_e32 v19, s6
	v_add_nc_u32_e32 v5, s6, v24
	s_add_i32 s6, s6, 32
	s_clause 0x3
	buffer_load_dword v13, v19, s[0:3], 0 offen
	buffer_load_dword v14, v19, s[0:3], 0 offen offset:4
	buffer_load_dword v15, v19, s[0:3], 0 offen offset:8
	;; [unrolled: 1-line block ×3, first 2 shown]
	ds_read2_b64 v[1:4], v5 offset1:1
	ds_read2_b64 v[5:8], v5 offset0:2 offset1:3
	s_cmpk_lg_i32 s6, 0x400
	s_waitcnt vmcnt(6) lgkmcnt(1)
	v_mul_f64 v[17:18], v[3:4], v[9:10]
	v_mul_f64 v[9:10], v[1:2], v[9:10]
	s_waitcnt vmcnt(4)
	v_fma_f64 v[1:2], v[1:2], v[11:12], -v[17:18]
	v_fma_f64 v[3:4], v[3:4], v[11:12], v[9:10]
	s_clause 0x3
	buffer_load_dword v9, v19, s[0:3], 0 offen offset:16
	buffer_load_dword v10, v19, s[0:3], 0 offen offset:20
	;; [unrolled: 1-line block ×4, first 2 shown]
	s_waitcnt vmcnt(6)
	v_add_f64 v[1:2], v[13:14], -v[1:2]
	s_waitcnt vmcnt(4)
	v_add_f64 v[3:4], v[15:16], -v[3:4]
	buffer_store_dword v2, v19, s[0:3], 0 offen offset:4
	buffer_store_dword v1, v19, s[0:3], 0 offen
	buffer_store_dword v4, v19, s[0:3], 0 offen offset:12
	buffer_store_dword v3, v19, s[0:3], 0 offen offset:8
	s_clause 0x3
	buffer_load_dword v2, off, s[0:3], 0 offset:92
	buffer_load_dword v1, off, s[0:3], 0 offset:88
	;; [unrolled: 1-line block ×4, first 2 shown]
	s_waitcnt vmcnt(2) lgkmcnt(0)
	v_mul_f64 v[13:14], v[7:8], v[1:2]
	v_mul_f64 v[1:2], v[5:6], v[1:2]
	s_waitcnt vmcnt(0)
	v_fma_f64 v[5:6], v[5:6], v[3:4], -v[13:14]
	v_fma_f64 v[1:2], v[7:8], v[3:4], v[1:2]
	v_add_f64 v[3:4], v[9:10], -v[5:6]
	v_add_f64 v[1:2], v[11:12], -v[1:2]
	buffer_store_dword v4, v19, s[0:3], 0 offen offset:20
	buffer_store_dword v3, v19, s[0:3], 0 offen offset:16
	;; [unrolled: 1-line block ×4, first 2 shown]
	s_cbranch_scc1 .LBB127_80
.LBB127_81:
	s_or_b32 exec_lo, exec_lo, s5
	s_mov_b32 s6, exec_lo
	s_waitcnt lgkmcnt(0)
	s_waitcnt_vscnt null, 0x0
	s_barrier
	buffer_gl0_inv
	v_cmpx_eq_u32_e32 6, v0
	s_cbranch_execz .LBB127_90
; %bb.82:
	v_mov_b32_e32 v4, s73
	s_movk_i32 s5, 0x70
	s_clause 0x3
	buffer_load_dword v1, v4, s[0:3], 0 offen
	buffer_load_dword v2, v4, s[0:3], 0 offen offset:4
	buffer_load_dword v3, v4, s[0:3], 0 offen offset:8
	;; [unrolled: 1-line block ×3, first 2 shown]
	s_waitcnt vmcnt(0)
	ds_write2_b64 v23, v[1:2], v[3:4] offset1:1
	s_inst_prefetch 0x1
	.p2align	6
.LBB127_83:                             ; =>This Inner Loop Header: Depth=1
	v_mov_b32_e32 v12, s5
	v_add_nc_u32_e32 v13, s5, v24
	s_add_i32 s5, s5, 48
	s_clause 0xb
	buffer_load_dword v1, v12, s[0:3], 0 offen
	buffer_load_dword v2, v12, s[0:3], 0 offen offset:4
	buffer_load_dword v3, v12, s[0:3], 0 offen offset:8
	;; [unrolled: 1-line block ×11, first 2 shown]
	s_cmpk_lg_i32 s5, 0x400
	s_waitcnt vmcnt(8)
	ds_write2_b64 v13, v[1:2], v[3:4] offset1:1
	s_waitcnt vmcnt(4)
	ds_write2_b64 v13, v[5:6], v[7:8] offset0:2 offset1:3
	s_waitcnt vmcnt(0)
	ds_write2_b64 v13, v[9:10], v[11:12] offset0:4 offset1:5
	s_cbranch_scc1 .LBB127_83
; %bb.84:
	s_inst_prefetch 0x2
	ds_read2_b64 v[1:4], v23 offset1:1
	s_waitcnt lgkmcnt(0)
	v_cmp_neq_f64_e32 vcc_lo, 0, v[1:2]
	v_cmp_neq_f64_e64 s5, 0, v[3:4]
	s_or_b32 s5, vcc_lo, s5
	s_and_b32 exec_lo, exec_lo, s5
	s_cbranch_execz .LBB127_90
; %bb.85:
	v_cmp_ngt_f64_e64 s5, |v[1:2]|, |v[3:4]|
                                        ; implicit-def: $vgpr5_vgpr6
	s_and_saveexec_b32 s7, s5
	s_xor_b32 s5, exec_lo, s7
                                        ; implicit-def: $vgpr7_vgpr8
	s_cbranch_execz .LBB127_87
; %bb.86:
	v_div_scale_f64 v[5:6], null, v[3:4], v[3:4], v[1:2]
	v_div_scale_f64 v[11:12], vcc_lo, v[1:2], v[3:4], v[1:2]
	v_rcp_f64_e32 v[7:8], v[5:6]
	v_fma_f64 v[9:10], -v[5:6], v[7:8], 1.0
	v_fma_f64 v[7:8], v[7:8], v[9:10], v[7:8]
	v_fma_f64 v[9:10], -v[5:6], v[7:8], 1.0
	v_fma_f64 v[7:8], v[7:8], v[9:10], v[7:8]
	v_mul_f64 v[9:10], v[11:12], v[7:8]
	v_fma_f64 v[5:6], -v[5:6], v[9:10], v[11:12]
	v_div_fmas_f64 v[5:6], v[5:6], v[7:8], v[9:10]
	v_div_fixup_f64 v[5:6], v[5:6], v[3:4], v[1:2]
	v_fma_f64 v[1:2], v[1:2], v[5:6], v[3:4]
	v_div_scale_f64 v[3:4], null, v[1:2], v[1:2], 1.0
	v_rcp_f64_e32 v[7:8], v[3:4]
	v_fma_f64 v[9:10], -v[3:4], v[7:8], 1.0
	v_fma_f64 v[7:8], v[7:8], v[9:10], v[7:8]
	v_fma_f64 v[9:10], -v[3:4], v[7:8], 1.0
	v_fma_f64 v[7:8], v[7:8], v[9:10], v[7:8]
	v_div_scale_f64 v[9:10], vcc_lo, 1.0, v[1:2], 1.0
	v_mul_f64 v[11:12], v[9:10], v[7:8]
	v_fma_f64 v[3:4], -v[3:4], v[11:12], v[9:10]
	v_div_fmas_f64 v[3:4], v[3:4], v[7:8], v[11:12]
	v_div_fixup_f64 v[7:8], v[3:4], v[1:2], 1.0
                                        ; implicit-def: $vgpr1_vgpr2
	v_mul_f64 v[5:6], v[5:6], v[7:8]
	v_xor_b32_e32 v8, 0x80000000, v8
.LBB127_87:
	s_andn2_saveexec_b32 s5, s5
	s_cbranch_execz .LBB127_89
; %bb.88:
	v_div_scale_f64 v[5:6], null, v[1:2], v[1:2], v[3:4]
	v_div_scale_f64 v[11:12], vcc_lo, v[3:4], v[1:2], v[3:4]
	v_rcp_f64_e32 v[7:8], v[5:6]
	v_fma_f64 v[9:10], -v[5:6], v[7:8], 1.0
	v_fma_f64 v[7:8], v[7:8], v[9:10], v[7:8]
	v_fma_f64 v[9:10], -v[5:6], v[7:8], 1.0
	v_fma_f64 v[7:8], v[7:8], v[9:10], v[7:8]
	v_mul_f64 v[9:10], v[11:12], v[7:8]
	v_fma_f64 v[5:6], -v[5:6], v[9:10], v[11:12]
	v_div_fmas_f64 v[5:6], v[5:6], v[7:8], v[9:10]
	v_div_fixup_f64 v[7:8], v[5:6], v[1:2], v[3:4]
	v_fma_f64 v[1:2], v[3:4], v[7:8], v[1:2]
	v_div_scale_f64 v[3:4], null, v[1:2], v[1:2], 1.0
	v_rcp_f64_e32 v[5:6], v[3:4]
	v_fma_f64 v[9:10], -v[3:4], v[5:6], 1.0
	v_fma_f64 v[5:6], v[5:6], v[9:10], v[5:6]
	v_fma_f64 v[9:10], -v[3:4], v[5:6], 1.0
	v_fma_f64 v[5:6], v[5:6], v[9:10], v[5:6]
	v_div_scale_f64 v[9:10], vcc_lo, 1.0, v[1:2], 1.0
	v_mul_f64 v[11:12], v[9:10], v[5:6]
	v_fma_f64 v[3:4], -v[3:4], v[11:12], v[9:10]
	v_div_fmas_f64 v[3:4], v[3:4], v[5:6], v[11:12]
	v_div_fixup_f64 v[5:6], v[3:4], v[1:2], 1.0
	v_mul_f64 v[7:8], v[7:8], -v[5:6]
.LBB127_89:
	s_or_b32 exec_lo, exec_lo, s5
	ds_write2_b64 v23, v[5:6], v[7:8] offset1:1
.LBB127_90:
	s_or_b32 exec_lo, exec_lo, s6
	s_waitcnt lgkmcnt(0)
	s_barrier
	buffer_gl0_inv
	ds_read2_b64 v[140:143], v23 offset1:1
	s_mov_b32 s5, exec_lo
	v_cmpx_lt_u32_e32 6, v0
	s_cbranch_execz .LBB127_93
; %bb.91:
	s_clause 0x3
	buffer_load_dword v1, off, s[0:3], 0 offset:104
	buffer_load_dword v2, off, s[0:3], 0 offset:108
	;; [unrolled: 1-line block ×4, first 2 shown]
	s_movk_i32 s6, 0x70
	s_waitcnt vmcnt(2) lgkmcnt(0)
	v_mul_f64 v[5:6], v[142:143], v[1:2]
	v_mul_f64 v[1:2], v[140:141], v[1:2]
	s_waitcnt vmcnt(0)
	v_fma_f64 v[5:6], v[140:141], v[3:4], -v[5:6]
	v_fma_f64 v[1:2], v[142:143], v[3:4], v[1:2]
	buffer_store_dword v5, off, s[0:3], 0 offset:96
	buffer_store_dword v6, off, s[0:3], 0 offset:100
	;; [unrolled: 1-line block ×4, first 2 shown]
.LBB127_92:                             ; =>This Inner Loop Header: Depth=1
	s_clause 0x3
	buffer_load_dword v9, off, s[0:3], 0 offset:104
	buffer_load_dword v10, off, s[0:3], 0 offset:108
	;; [unrolled: 1-line block ×4, first 2 shown]
	v_mov_b32_e32 v19, s6
	v_add_nc_u32_e32 v20, s6, v24
	s_add_i32 s6, s6, 48
	s_clause 0x3
	buffer_load_dword v13, v19, s[0:3], 0 offen
	buffer_load_dword v14, v19, s[0:3], 0 offen offset:4
	buffer_load_dword v15, v19, s[0:3], 0 offen offset:8
	;; [unrolled: 1-line block ×3, first 2 shown]
	ds_read2_b64 v[1:4], v20 offset1:1
	ds_read2_b64 v[5:8], v20 offset0:2 offset1:3
	s_cmpk_lg_i32 s6, 0x400
	s_waitcnt vmcnt(6) lgkmcnt(1)
	v_mul_f64 v[17:18], v[3:4], v[9:10]
	v_mul_f64 v[9:10], v[1:2], v[9:10]
	s_waitcnt vmcnt(4)
	v_fma_f64 v[1:2], v[1:2], v[11:12], -v[17:18]
	v_fma_f64 v[3:4], v[3:4], v[11:12], v[9:10]
	s_clause 0x3
	buffer_load_dword v9, v19, s[0:3], 0 offen offset:16
	buffer_load_dword v10, v19, s[0:3], 0 offen offset:20
	buffer_load_dword v11, v19, s[0:3], 0 offen offset:24
	buffer_load_dword v12, v19, s[0:3], 0 offen offset:28
	s_waitcnt vmcnt(6)
	v_add_f64 v[1:2], v[13:14], -v[1:2]
	s_waitcnt vmcnt(4)
	v_add_f64 v[3:4], v[15:16], -v[3:4]
	buffer_store_dword v2, v19, s[0:3], 0 offen offset:4
	buffer_store_dword v1, v19, s[0:3], 0 offen
	buffer_store_dword v4, v19, s[0:3], 0 offen offset:12
	buffer_store_dword v3, v19, s[0:3], 0 offen offset:8
	s_clause 0x3
	buffer_load_dword v2, off, s[0:3], 0 offset:108
	buffer_load_dword v1, off, s[0:3], 0 offset:104
	;; [unrolled: 1-line block ×4, first 2 shown]
	s_waitcnt vmcnt(2) lgkmcnt(0)
	v_mul_f64 v[13:14], v[7:8], v[1:2]
	v_mul_f64 v[1:2], v[5:6], v[1:2]
	s_waitcnt vmcnt(0)
	v_fma_f64 v[5:6], v[5:6], v[3:4], -v[13:14]
	v_fma_f64 v[1:2], v[7:8], v[3:4], v[1:2]
	v_add_f64 v[3:4], v[9:10], -v[5:6]
	v_add_f64 v[1:2], v[11:12], -v[1:2]
	s_clause 0x3
	buffer_load_dword v5, v19, s[0:3], 0 offen offset:32
	buffer_load_dword v6, v19, s[0:3], 0 offen offset:36
	;; [unrolled: 1-line block ×4, first 2 shown]
	buffer_store_dword v4, v19, s[0:3], 0 offen offset:20
	buffer_store_dword v3, v19, s[0:3], 0 offen offset:16
	;; [unrolled: 1-line block ×4, first 2 shown]
	s_clause 0x3
	buffer_load_dword v9, off, s[0:3], 0 offset:104
	buffer_load_dword v10, off, s[0:3], 0 offset:108
	;; [unrolled: 1-line block ×4, first 2 shown]
	ds_read2_b64 v[1:4], v20 offset0:4 offset1:5
	s_waitcnt vmcnt(2) lgkmcnt(0)
	v_mul_f64 v[13:14], v[3:4], v[9:10]
	v_mul_f64 v[9:10], v[1:2], v[9:10]
	s_waitcnt vmcnt(0)
	v_fma_f64 v[1:2], v[1:2], v[11:12], -v[13:14]
	v_fma_f64 v[3:4], v[3:4], v[11:12], v[9:10]
	v_add_f64 v[1:2], v[5:6], -v[1:2]
	v_add_f64 v[3:4], v[7:8], -v[3:4]
	buffer_store_dword v2, v19, s[0:3], 0 offen offset:36
	buffer_store_dword v1, v19, s[0:3], 0 offen offset:32
	;; [unrolled: 1-line block ×4, first 2 shown]
	s_cbranch_scc1 .LBB127_92
.LBB127_93:
	s_or_b32 exec_lo, exec_lo, s5
	s_mov_b32 s6, exec_lo
	s_waitcnt lgkmcnt(0)
	s_waitcnt_vscnt null, 0x0
	s_barrier
	buffer_gl0_inv
	v_cmpx_eq_u32_e32 7, v0
	s_cbranch_execz .LBB127_102
; %bb.94:
	v_mov_b32_e32 v4, s72
	s_movk_i32 s5, 0x80
	s_clause 0x3
	buffer_load_dword v1, v4, s[0:3], 0 offen
	buffer_load_dword v2, v4, s[0:3], 0 offen offset:4
	buffer_load_dword v3, v4, s[0:3], 0 offen offset:8
	;; [unrolled: 1-line block ×3, first 2 shown]
	s_waitcnt vmcnt(0)
	ds_write2_b64 v23, v[1:2], v[3:4] offset1:1
.LBB127_95:                             ; =>This Inner Loop Header: Depth=1
	v_mov_b32_e32 v25, s5
	s_clause 0x37
	buffer_load_dword v1, v25, s[0:3], 0 offen
	buffer_load_dword v2, v25, s[0:3], 0 offen offset:4
	buffer_load_dword v3, v25, s[0:3], 0 offen offset:8
	;; [unrolled: 1-line block ×55, first 2 shown]
	v_add_nc_u32_e32 v25, s5, v24
	s_addk_i32 s5, 0xe0
	s_waitcnt vmcnt(52)
	ds_write2_b64 v25, v[1:2], v[3:4] offset1:1
	s_waitcnt vmcnt(48)
	ds_write2_b64 v25, v[5:6], v[7:8] offset0:2 offset1:3
	s_waitcnt vmcnt(44)
	ds_write2_b64 v25, v[9:10], v[11:12] offset0:4 offset1:5
	;; [unrolled: 2-line block ×4, first 2 shown]
	ds_write2_b64 v25, v[21:22], v[19:20] offset0:10 offset1:11
	s_waitcnt vmcnt(24)
	ds_write2_b64 v25, v[37:38], v[31:32] offset0:12 offset1:13
	ds_write2_b64 v25, v[35:36], v[33:34] offset0:14 offset1:15
	s_waitcnt vmcnt(20)
	ds_write2_b64 v25, v[39:40], v[41:42] offset0:16 offset1:17
	s_waitcnt vmcnt(16)
	;; [unrolled: 2-line block ×6, first 2 shown]
	ds_write2_b64 v25, v[59:60], v[61:62] offset0:26 offset1:27
	s_cmpk_lg_i32 s5, 0x400
	s_cbranch_scc1 .LBB127_95
; %bb.96:
	ds_read2_b64 v[1:4], v23 offset1:1
	s_waitcnt lgkmcnt(0)
	v_cmp_neq_f64_e32 vcc_lo, 0, v[1:2]
	v_cmp_neq_f64_e64 s5, 0, v[3:4]
	s_or_b32 s5, vcc_lo, s5
	s_and_b32 exec_lo, exec_lo, s5
	s_cbranch_execz .LBB127_102
; %bb.97:
	v_cmp_ngt_f64_e64 s5, |v[1:2]|, |v[3:4]|
                                        ; implicit-def: $vgpr5_vgpr6
	s_and_saveexec_b32 s7, s5
	s_xor_b32 s5, exec_lo, s7
                                        ; implicit-def: $vgpr7_vgpr8
	s_cbranch_execz .LBB127_99
; %bb.98:
	v_div_scale_f64 v[5:6], null, v[3:4], v[3:4], v[1:2]
	v_div_scale_f64 v[11:12], vcc_lo, v[1:2], v[3:4], v[1:2]
	v_rcp_f64_e32 v[7:8], v[5:6]
	v_fma_f64 v[9:10], -v[5:6], v[7:8], 1.0
	v_fma_f64 v[7:8], v[7:8], v[9:10], v[7:8]
	v_fma_f64 v[9:10], -v[5:6], v[7:8], 1.0
	v_fma_f64 v[7:8], v[7:8], v[9:10], v[7:8]
	v_mul_f64 v[9:10], v[11:12], v[7:8]
	v_fma_f64 v[5:6], -v[5:6], v[9:10], v[11:12]
	v_div_fmas_f64 v[5:6], v[5:6], v[7:8], v[9:10]
	v_div_fixup_f64 v[5:6], v[5:6], v[3:4], v[1:2]
	v_fma_f64 v[1:2], v[1:2], v[5:6], v[3:4]
	v_div_scale_f64 v[3:4], null, v[1:2], v[1:2], 1.0
	v_rcp_f64_e32 v[7:8], v[3:4]
	v_fma_f64 v[9:10], -v[3:4], v[7:8], 1.0
	v_fma_f64 v[7:8], v[7:8], v[9:10], v[7:8]
	v_fma_f64 v[9:10], -v[3:4], v[7:8], 1.0
	v_fma_f64 v[7:8], v[7:8], v[9:10], v[7:8]
	v_div_scale_f64 v[9:10], vcc_lo, 1.0, v[1:2], 1.0
	v_mul_f64 v[11:12], v[9:10], v[7:8]
	v_fma_f64 v[3:4], -v[3:4], v[11:12], v[9:10]
	v_div_fmas_f64 v[3:4], v[3:4], v[7:8], v[11:12]
	v_div_fixup_f64 v[7:8], v[3:4], v[1:2], 1.0
                                        ; implicit-def: $vgpr1_vgpr2
	v_mul_f64 v[5:6], v[5:6], v[7:8]
	v_xor_b32_e32 v8, 0x80000000, v8
.LBB127_99:
	s_andn2_saveexec_b32 s5, s5
	s_cbranch_execz .LBB127_101
; %bb.100:
	v_div_scale_f64 v[5:6], null, v[1:2], v[1:2], v[3:4]
	v_div_scale_f64 v[11:12], vcc_lo, v[3:4], v[1:2], v[3:4]
	v_rcp_f64_e32 v[7:8], v[5:6]
	v_fma_f64 v[9:10], -v[5:6], v[7:8], 1.0
	v_fma_f64 v[7:8], v[7:8], v[9:10], v[7:8]
	v_fma_f64 v[9:10], -v[5:6], v[7:8], 1.0
	v_fma_f64 v[7:8], v[7:8], v[9:10], v[7:8]
	v_mul_f64 v[9:10], v[11:12], v[7:8]
	v_fma_f64 v[5:6], -v[5:6], v[9:10], v[11:12]
	v_div_fmas_f64 v[5:6], v[5:6], v[7:8], v[9:10]
	v_div_fixup_f64 v[7:8], v[5:6], v[1:2], v[3:4]
	v_fma_f64 v[1:2], v[3:4], v[7:8], v[1:2]
	v_div_scale_f64 v[3:4], null, v[1:2], v[1:2], 1.0
	v_rcp_f64_e32 v[5:6], v[3:4]
	v_fma_f64 v[9:10], -v[3:4], v[5:6], 1.0
	v_fma_f64 v[5:6], v[5:6], v[9:10], v[5:6]
	v_fma_f64 v[9:10], -v[3:4], v[5:6], 1.0
	v_fma_f64 v[5:6], v[5:6], v[9:10], v[5:6]
	v_div_scale_f64 v[9:10], vcc_lo, 1.0, v[1:2], 1.0
	v_mul_f64 v[11:12], v[9:10], v[5:6]
	v_fma_f64 v[3:4], -v[3:4], v[11:12], v[9:10]
	v_div_fmas_f64 v[3:4], v[3:4], v[5:6], v[11:12]
	v_div_fixup_f64 v[5:6], v[3:4], v[1:2], 1.0
	v_mul_f64 v[7:8], v[7:8], -v[5:6]
.LBB127_101:
	s_or_b32 exec_lo, exec_lo, s5
	ds_write2_b64 v23, v[5:6], v[7:8] offset1:1
.LBB127_102:
	s_or_b32 exec_lo, exec_lo, s6
	s_waitcnt lgkmcnt(0)
	s_barrier
	buffer_gl0_inv
	ds_read2_b64 v[27:30], v23 offset1:1
	s_mov_b32 s5, exec_lo
	v_cmpx_lt_u32_e32 7, v0
	s_cbranch_execz .LBB127_105
; %bb.103:
	s_clause 0x3
	buffer_load_dword v1, off, s[0:3], 0 offset:120
	buffer_load_dword v2, off, s[0:3], 0 offset:124
	;; [unrolled: 1-line block ×4, first 2 shown]
	s_movk_i32 s6, 0x80
	s_waitcnt vmcnt(2) lgkmcnt(0)
	v_mul_f64 v[5:6], v[29:30], v[1:2]
	v_mul_f64 v[7:8], v[27:28], v[1:2]
	s_waitcnt vmcnt(0)
	v_fma_f64 v[1:2], v[27:28], v[3:4], -v[5:6]
	v_fma_f64 v[3:4], v[29:30], v[3:4], v[7:8]
	buffer_store_dword v1, off, s[0:3], 0 offset:112
	buffer_store_dword v2, off, s[0:3], 0 offset:116
	;; [unrolled: 1-line block ×4, first 2 shown]
.LBB127_104:                            ; =>This Inner Loop Header: Depth=1
	v_mov_b32_e32 v25, s6
	v_add_nc_u32_e32 v26, s6, v24
	s_addk_i32 s6, 0x70
	s_clause 0x3
	buffer_load_dword v13, v25, s[0:3], 0 offen
	buffer_load_dword v14, v25, s[0:3], 0 offen offset:4
	buffer_load_dword v15, v25, s[0:3], 0 offen offset:8
	;; [unrolled: 1-line block ×3, first 2 shown]
	ds_read2_b64 v[5:8], v26 offset1:1
	ds_read2_b64 v[9:12], v26 offset0:2 offset1:3
	s_clause 0x7
	buffer_load_dword v17, v25, s[0:3], 0 offen offset:16
	buffer_load_dword v19, v25, s[0:3], 0 offen offset:24
	;; [unrolled: 1-line block ×8, first 2 shown]
	s_cmpk_lg_i32 s6, 0x400
	s_waitcnt lgkmcnt(1)
	v_mul_f64 v[38:39], v[7:8], v[3:4]
	v_mul_f64 v[3:4], v[5:6], v[3:4]
	v_fma_f64 v[5:6], v[5:6], v[1:2], -v[38:39]
	v_fma_f64 v[1:2], v[7:8], v[1:2], v[3:4]
	s_waitcnt vmcnt(10)
	v_add_f64 v[3:4], v[13:14], -v[5:6]
	s_waitcnt vmcnt(8)
	v_add_f64 v[1:2], v[15:16], -v[1:2]
	buffer_store_dword v4, v25, s[0:3], 0 offen offset:4
	buffer_store_dword v3, v25, s[0:3], 0 offen
	buffer_store_dword v2, v25, s[0:3], 0 offen offset:12
	buffer_store_dword v1, v25, s[0:3], 0 offen offset:8
	s_clause 0x7
	buffer_load_dword v2, off, s[0:3], 0 offset:124
	buffer_load_dword v1, off, s[0:3], 0 offset:120
	;; [unrolled: 1-line block ×4, first 2 shown]
	buffer_load_dword v21, v25, s[0:3], 0 offen offset:32
	buffer_load_dword v36, v25, s[0:3], 0 offen offset:44
	;; [unrolled: 1-line block ×4, first 2 shown]
	s_waitcnt vmcnt(6) lgkmcnt(0)
	v_mul_f64 v[5:6], v[11:12], v[1:2]
	v_mul_f64 v[1:2], v[9:10], v[1:2]
	s_waitcnt vmcnt(4)
	v_fma_f64 v[5:6], v[9:10], v[3:4], -v[5:6]
	v_fma_f64 v[1:2], v[11:12], v[3:4], v[1:2]
	v_add_f64 v[3:4], v[17:18], -v[5:6]
	v_add_f64 v[1:2], v[19:20], -v[1:2]
	buffer_store_dword v4, v25, s[0:3], 0 offen offset:20
	buffer_store_dword v3, v25, s[0:3], 0 offen offset:16
	;; [unrolled: 1-line block ×4, first 2 shown]
	s_clause 0x3
	buffer_load_dword v9, off, s[0:3], 0 offset:120
	buffer_load_dword v10, off, s[0:3], 0 offset:124
	;; [unrolled: 1-line block ×4, first 2 shown]
	ds_read2_b64 v[1:4], v26 offset0:4 offset1:5
	ds_read2_b64 v[5:8], v26 offset0:6 offset1:7
	s_waitcnt vmcnt(2) lgkmcnt(1)
	v_mul_f64 v[14:15], v[3:4], v[9:10]
	v_mul_f64 v[9:10], v[1:2], v[9:10]
	s_waitcnt vmcnt(0)
	v_fma_f64 v[1:2], v[1:2], v[11:12], -v[14:15]
	v_fma_f64 v[3:4], v[3:4], v[11:12], v[9:10]
	v_add_f64 v[1:2], v[21:22], -v[1:2]
	v_add_f64 v[3:4], v[35:36], -v[3:4]
	buffer_store_dword v2, v25, s[0:3], 0 offen offset:36
	buffer_store_dword v1, v25, s[0:3], 0 offen offset:32
	;; [unrolled: 1-line block ×4, first 2 shown]
	s_clause 0x7
	buffer_load_dword v1, off, s[0:3], 0 offset:120
	buffer_load_dword v2, off, s[0:3], 0 offset:124
	;; [unrolled: 1-line block ×4, first 2 shown]
	buffer_load_dword v33, v25, s[0:3], 0 offen offset:48
	buffer_load_dword v10, v25, s[0:3], 0 offen offset:68
	;; [unrolled: 1-line block ×4, first 2 shown]
	s_waitcnt vmcnt(6) lgkmcnt(0)
	v_mul_f64 v[14:15], v[7:8], v[1:2]
	v_mul_f64 v[1:2], v[5:6], v[1:2]
	s_waitcnt vmcnt(4)
	v_fma_f64 v[5:6], v[5:6], v[3:4], -v[14:15]
	v_fma_f64 v[1:2], v[7:8], v[3:4], v[1:2]
	s_waitcnt vmcnt(3)
	v_add_f64 v[3:4], v[33:34], -v[5:6]
	v_add_f64 v[1:2], v[37:38], -v[1:2]
	buffer_store_dword v4, v25, s[0:3], 0 offen offset:52
	buffer_store_dword v3, v25, s[0:3], 0 offen offset:48
	;; [unrolled: 1-line block ×4, first 2 shown]
	s_clause 0x5
	buffer_load_dword v15, off, s[0:3], 0 offset:120
	buffer_load_dword v16, off, s[0:3], 0 offset:124
	;; [unrolled: 1-line block ×4, first 2 shown]
	buffer_load_dword v9, v25, s[0:3], 0 offen offset:64
	buffer_load_dword v14, v25, s[0:3], 0 offen offset:76
	ds_read2_b64 v[1:4], v26 offset0:8 offset1:9
	ds_read2_b64 v[5:8], v26 offset0:10 offset1:11
	s_clause 0x1
	buffer_load_dword v19, v25, s[0:3], 0 offen offset:88
	buffer_load_dword v21, v25, s[0:3], 0 offen offset:104
	s_waitcnt vmcnt(6) lgkmcnt(1)
	v_mul_f64 v[33:34], v[3:4], v[15:16]
	v_mul_f64 v[15:16], v[1:2], v[15:16]
	s_waitcnt vmcnt(4)
	v_fma_f64 v[1:2], v[1:2], v[17:18], -v[33:34]
	v_fma_f64 v[3:4], v[3:4], v[17:18], v[15:16]
	s_waitcnt vmcnt(3)
	v_add_f64 v[1:2], v[9:10], -v[1:2]
	s_waitcnt vmcnt(2)
	v_add_f64 v[3:4], v[13:14], -v[3:4]
	buffer_store_dword v2, v25, s[0:3], 0 offen offset:68
	buffer_store_dword v1, v25, s[0:3], 0 offen offset:64
	;; [unrolled: 1-line block ×4, first 2 shown]
	s_clause 0x6
	buffer_load_dword v1, off, s[0:3], 0 offset:120
	buffer_load_dword v2, off, s[0:3], 0 offset:124
	;; [unrolled: 1-line block ×4, first 2 shown]
	buffer_load_dword v10, v25, s[0:3], 0 offen offset:80
	buffer_load_dword v20, v25, s[0:3], 0 offen offset:92
	;; [unrolled: 1-line block ×3, first 2 shown]
	s_waitcnt vmcnt(5) lgkmcnt(0)
	v_mul_f64 v[13:14], v[7:8], v[1:2]
	v_mul_f64 v[1:2], v[5:6], v[1:2]
	s_waitcnt vmcnt(3)
	v_fma_f64 v[5:6], v[5:6], v[3:4], -v[13:14]
	v_fma_f64 v[1:2], v[7:8], v[3:4], v[1:2]
	s_waitcnt vmcnt(2)
	v_add_f64 v[3:4], v[10:11], -v[5:6]
	s_waitcnt vmcnt(1)
	v_add_f64 v[1:2], v[19:20], -v[1:2]
	buffer_store_dword v4, v25, s[0:3], 0 offen offset:84
	buffer_store_dword v3, v25, s[0:3], 0 offen offset:80
	;; [unrolled: 1-line block ×4, first 2 shown]
	s_clause 0x4
	buffer_load_dword v3, off, s[0:3], 0 offset:120
	buffer_load_dword v4, off, s[0:3], 0 offset:124
	;; [unrolled: 1-line block ×4, first 2 shown]
	buffer_load_dword v11, v25, s[0:3], 0 offen offset:96
	ds_read2_b64 v[5:8], v26 offset0:12 offset1:13
	s_waitcnt vmcnt(3) lgkmcnt(0)
	v_mul_f64 v[9:10], v[7:8], v[3:4]
	v_mul_f64 v[13:14], v[5:6], v[3:4]
	s_waitcnt vmcnt(1)
	v_fma_f64 v[5:6], v[5:6], v[1:2], -v[9:10]
	v_fma_f64 v[7:8], v[7:8], v[1:2], v[13:14]
	s_waitcnt vmcnt(0)
	v_add_f64 v[5:6], v[11:12], -v[5:6]
	v_add_f64 v[7:8], v[21:22], -v[7:8]
	buffer_store_dword v6, v25, s[0:3], 0 offen offset:100
	buffer_store_dword v5, v25, s[0:3], 0 offen offset:96
	;; [unrolled: 1-line block ×4, first 2 shown]
	s_cbranch_scc1 .LBB127_104
.LBB127_105:
	s_or_b32 exec_lo, exec_lo, s5
	s_mov_b32 s6, exec_lo
	s_waitcnt lgkmcnt(0)
	s_waitcnt_vscnt null, 0x0
	s_barrier
	buffer_gl0_inv
	v_cmpx_eq_u32_e32 8, v0
	s_cbranch_execz .LBB127_114
; %bb.106:
	v_mov_b32_e32 v4, s71
	s_movk_i32 s5, 0x90
	s_clause 0x3
	buffer_load_dword v1, v4, s[0:3], 0 offen
	buffer_load_dword v2, v4, s[0:3], 0 offen offset:4
	buffer_load_dword v3, v4, s[0:3], 0 offen offset:8
	;; [unrolled: 1-line block ×3, first 2 shown]
	s_waitcnt vmcnt(0)
	ds_write2_b64 v23, v[1:2], v[3:4] offset1:1
.LBB127_107:                            ; =>This Inner Loop Header: Depth=1
	v_mov_b32_e32 v25, s5
	s_clause 0x2b
	buffer_load_dword v1, v25, s[0:3], 0 offen
	buffer_load_dword v2, v25, s[0:3], 0 offen offset:4
	buffer_load_dword v3, v25, s[0:3], 0 offen offset:8
	;; [unrolled: 1-line block ×43, first 2 shown]
	v_add_nc_u32_e32 v25, s5, v24
	s_addk_i32 s5, 0xb0
	s_waitcnt vmcnt(40)
	ds_write2_b64 v25, v[1:2], v[3:4] offset1:1
	s_waitcnt vmcnt(36)
	ds_write2_b64 v25, v[5:6], v[7:8] offset0:2 offset1:3
	s_waitcnt vmcnt(32)
	ds_write2_b64 v25, v[9:10], v[11:12] offset0:4 offset1:5
	;; [unrolled: 2-line block ×4, first 2 shown]
	ds_write2_b64 v25, v[21:22], v[19:20] offset0:10 offset1:11
	s_waitcnt vmcnt(12)
	ds_write2_b64 v25, v[41:42], v[35:36] offset0:12 offset1:13
	ds_write2_b64 v25, v[39:40], v[37:38] offset0:14 offset1:15
	s_waitcnt vmcnt(8)
	ds_write2_b64 v25, v[43:44], v[45:46] offset0:16 offset1:17
	s_waitcnt vmcnt(4)
	;; [unrolled: 2-line block ×3, first 2 shown]
	ds_write2_b64 v25, v[51:52], v[53:54] offset0:20 offset1:21
	s_cmpk_lg_i32 s5, 0x400
	s_cbranch_scc1 .LBB127_107
; %bb.108:
	ds_read2_b64 v[1:4], v23 offset1:1
	s_waitcnt lgkmcnt(0)
	v_cmp_neq_f64_e32 vcc_lo, 0, v[1:2]
	v_cmp_neq_f64_e64 s5, 0, v[3:4]
	s_or_b32 s5, vcc_lo, s5
	s_and_b32 exec_lo, exec_lo, s5
	s_cbranch_execz .LBB127_114
; %bb.109:
	v_cmp_ngt_f64_e64 s5, |v[1:2]|, |v[3:4]|
                                        ; implicit-def: $vgpr5_vgpr6
	s_and_saveexec_b32 s7, s5
	s_xor_b32 s5, exec_lo, s7
                                        ; implicit-def: $vgpr7_vgpr8
	s_cbranch_execz .LBB127_111
; %bb.110:
	v_div_scale_f64 v[5:6], null, v[3:4], v[3:4], v[1:2]
	v_div_scale_f64 v[11:12], vcc_lo, v[1:2], v[3:4], v[1:2]
	v_rcp_f64_e32 v[7:8], v[5:6]
	v_fma_f64 v[9:10], -v[5:6], v[7:8], 1.0
	v_fma_f64 v[7:8], v[7:8], v[9:10], v[7:8]
	v_fma_f64 v[9:10], -v[5:6], v[7:8], 1.0
	v_fma_f64 v[7:8], v[7:8], v[9:10], v[7:8]
	v_mul_f64 v[9:10], v[11:12], v[7:8]
	v_fma_f64 v[5:6], -v[5:6], v[9:10], v[11:12]
	v_div_fmas_f64 v[5:6], v[5:6], v[7:8], v[9:10]
	v_div_fixup_f64 v[5:6], v[5:6], v[3:4], v[1:2]
	v_fma_f64 v[1:2], v[1:2], v[5:6], v[3:4]
	v_div_scale_f64 v[3:4], null, v[1:2], v[1:2], 1.0
	v_rcp_f64_e32 v[7:8], v[3:4]
	v_fma_f64 v[9:10], -v[3:4], v[7:8], 1.0
	v_fma_f64 v[7:8], v[7:8], v[9:10], v[7:8]
	v_fma_f64 v[9:10], -v[3:4], v[7:8], 1.0
	v_fma_f64 v[7:8], v[7:8], v[9:10], v[7:8]
	v_div_scale_f64 v[9:10], vcc_lo, 1.0, v[1:2], 1.0
	v_mul_f64 v[11:12], v[9:10], v[7:8]
	v_fma_f64 v[3:4], -v[3:4], v[11:12], v[9:10]
	v_div_fmas_f64 v[3:4], v[3:4], v[7:8], v[11:12]
	v_div_fixup_f64 v[7:8], v[3:4], v[1:2], 1.0
                                        ; implicit-def: $vgpr1_vgpr2
	v_mul_f64 v[5:6], v[5:6], v[7:8]
	v_xor_b32_e32 v8, 0x80000000, v8
.LBB127_111:
	s_andn2_saveexec_b32 s5, s5
	s_cbranch_execz .LBB127_113
; %bb.112:
	v_div_scale_f64 v[5:6], null, v[1:2], v[1:2], v[3:4]
	v_div_scale_f64 v[11:12], vcc_lo, v[3:4], v[1:2], v[3:4]
	v_rcp_f64_e32 v[7:8], v[5:6]
	v_fma_f64 v[9:10], -v[5:6], v[7:8], 1.0
	v_fma_f64 v[7:8], v[7:8], v[9:10], v[7:8]
	v_fma_f64 v[9:10], -v[5:6], v[7:8], 1.0
	v_fma_f64 v[7:8], v[7:8], v[9:10], v[7:8]
	v_mul_f64 v[9:10], v[11:12], v[7:8]
	v_fma_f64 v[5:6], -v[5:6], v[9:10], v[11:12]
	v_div_fmas_f64 v[5:6], v[5:6], v[7:8], v[9:10]
	v_div_fixup_f64 v[7:8], v[5:6], v[1:2], v[3:4]
	v_fma_f64 v[1:2], v[3:4], v[7:8], v[1:2]
	v_div_scale_f64 v[3:4], null, v[1:2], v[1:2], 1.0
	v_rcp_f64_e32 v[5:6], v[3:4]
	v_fma_f64 v[9:10], -v[3:4], v[5:6], 1.0
	v_fma_f64 v[5:6], v[5:6], v[9:10], v[5:6]
	v_fma_f64 v[9:10], -v[3:4], v[5:6], 1.0
	v_fma_f64 v[5:6], v[5:6], v[9:10], v[5:6]
	v_div_scale_f64 v[9:10], vcc_lo, 1.0, v[1:2], 1.0
	v_mul_f64 v[11:12], v[9:10], v[5:6]
	v_fma_f64 v[3:4], -v[3:4], v[11:12], v[9:10]
	v_div_fmas_f64 v[3:4], v[3:4], v[5:6], v[11:12]
	v_div_fixup_f64 v[5:6], v[3:4], v[1:2], 1.0
	v_mul_f64 v[7:8], v[7:8], -v[5:6]
.LBB127_113:
	s_or_b32 exec_lo, exec_lo, s5
	ds_write2_b64 v23, v[5:6], v[7:8] offset1:1
.LBB127_114:
	s_or_b32 exec_lo, exec_lo, s6
	s_waitcnt lgkmcnt(0)
	s_barrier
	buffer_gl0_inv
	ds_read2_b64 v[33:36], v23 offset1:1
	s_mov_b32 s5, exec_lo
	v_cmpx_lt_u32_e32 8, v0
	s_cbranch_execz .LBB127_117
; %bb.115:
	s_clause 0x3
	buffer_load_dword v1, off, s[0:3], 0 offset:136
	buffer_load_dword v2, off, s[0:3], 0 offset:140
	buffer_load_dword v3, off, s[0:3], 0 offset:128
	buffer_load_dword v4, off, s[0:3], 0 offset:132
	s_movk_i32 s6, 0x90
	s_waitcnt vmcnt(2) lgkmcnt(0)
	v_mul_f64 v[5:6], v[35:36], v[1:2]
	v_mul_f64 v[1:2], v[33:34], v[1:2]
	s_waitcnt vmcnt(0)
	v_fma_f64 v[5:6], v[33:34], v[3:4], -v[5:6]
	v_fma_f64 v[1:2], v[35:36], v[3:4], v[1:2]
	buffer_store_dword v5, off, s[0:3], 0 offset:128
	buffer_store_dword v6, off, s[0:3], 0 offset:132
	;; [unrolled: 1-line block ×4, first 2 shown]
.LBB127_116:                            ; =>This Inner Loop Header: Depth=1
	s_clause 0x3
	buffer_load_dword v9, off, s[0:3], 0 offset:136
	buffer_load_dword v10, off, s[0:3], 0 offset:140
	;; [unrolled: 1-line block ×4, first 2 shown]
	v_mov_b32_e32 v19, s6
	v_add_nc_u32_e32 v20, s6, v24
	s_addk_i32 s6, 0x50
	s_clause 0x3
	buffer_load_dword v13, v19, s[0:3], 0 offen
	buffer_load_dword v14, v19, s[0:3], 0 offen offset:4
	buffer_load_dword v15, v19, s[0:3], 0 offen offset:8
	;; [unrolled: 1-line block ×3, first 2 shown]
	ds_read2_b64 v[1:4], v20 offset1:1
	ds_read2_b64 v[5:8], v20 offset0:2 offset1:3
	s_cmpk_lg_i32 s6, 0x400
	s_waitcnt vmcnt(6) lgkmcnt(1)
	v_mul_f64 v[17:18], v[3:4], v[9:10]
	v_mul_f64 v[9:10], v[1:2], v[9:10]
	s_waitcnt vmcnt(4)
	v_fma_f64 v[1:2], v[1:2], v[11:12], -v[17:18]
	v_fma_f64 v[3:4], v[3:4], v[11:12], v[9:10]
	s_clause 0x3
	buffer_load_dword v9, v19, s[0:3], 0 offen offset:16
	buffer_load_dword v10, v19, s[0:3], 0 offen offset:20
	;; [unrolled: 1-line block ×4, first 2 shown]
	s_waitcnt vmcnt(6)
	v_add_f64 v[1:2], v[13:14], -v[1:2]
	s_waitcnt vmcnt(4)
	v_add_f64 v[3:4], v[15:16], -v[3:4]
	buffer_store_dword v2, v19, s[0:3], 0 offen offset:4
	buffer_store_dword v1, v19, s[0:3], 0 offen
	buffer_store_dword v4, v19, s[0:3], 0 offen offset:12
	buffer_store_dword v3, v19, s[0:3], 0 offen offset:8
	s_clause 0x3
	buffer_load_dword v2, off, s[0:3], 0 offset:140
	buffer_load_dword v1, off, s[0:3], 0 offset:136
	;; [unrolled: 1-line block ×4, first 2 shown]
	s_waitcnt vmcnt(2) lgkmcnt(0)
	v_mul_f64 v[13:14], v[7:8], v[1:2]
	v_mul_f64 v[1:2], v[5:6], v[1:2]
	s_waitcnt vmcnt(0)
	v_fma_f64 v[5:6], v[5:6], v[3:4], -v[13:14]
	v_fma_f64 v[1:2], v[7:8], v[3:4], v[1:2]
	v_add_f64 v[3:4], v[9:10], -v[5:6]
	v_add_f64 v[1:2], v[11:12], -v[1:2]
	s_clause 0x3
	buffer_load_dword v9, v19, s[0:3], 0 offen offset:32
	buffer_load_dword v10, v19, s[0:3], 0 offen offset:36
	buffer_load_dword v11, v19, s[0:3], 0 offen offset:40
	buffer_load_dword v12, v19, s[0:3], 0 offen offset:44
	buffer_store_dword v4, v19, s[0:3], 0 offen offset:20
	buffer_store_dword v3, v19, s[0:3], 0 offen offset:16
	buffer_store_dword v2, v19, s[0:3], 0 offen offset:28
	buffer_store_dword v1, v19, s[0:3], 0 offen offset:24
	s_clause 0x3
	buffer_load_dword v13, off, s[0:3], 0 offset:136
	buffer_load_dword v14, off, s[0:3], 0 offset:140
	;; [unrolled: 1-line block ×4, first 2 shown]
	ds_read2_b64 v[1:4], v20 offset0:4 offset1:5
	ds_read2_b64 v[5:8], v20 offset0:6 offset1:7
	s_waitcnt vmcnt(2) lgkmcnt(1)
	v_mul_f64 v[17:18], v[3:4], v[13:14]
	v_mul_f64 v[13:14], v[1:2], v[13:14]
	s_waitcnt vmcnt(0)
	v_fma_f64 v[1:2], v[1:2], v[15:16], -v[17:18]
	v_fma_f64 v[3:4], v[3:4], v[15:16], v[13:14]
	v_add_f64 v[1:2], v[9:10], -v[1:2]
	v_add_f64 v[3:4], v[11:12], -v[3:4]
	buffer_store_dword v2, v19, s[0:3], 0 offen offset:36
	buffer_store_dword v1, v19, s[0:3], 0 offen offset:32
	;; [unrolled: 1-line block ×4, first 2 shown]
	s_clause 0x7
	buffer_load_dword v1, off, s[0:3], 0 offset:136
	buffer_load_dword v2, off, s[0:3], 0 offset:140
	;; [unrolled: 1-line block ×4, first 2 shown]
	buffer_load_dword v9, v19, s[0:3], 0 offen offset:48
	buffer_load_dword v10, v19, s[0:3], 0 offen offset:52
	;; [unrolled: 1-line block ×4, first 2 shown]
	s_waitcnt vmcnt(6) lgkmcnt(0)
	v_mul_f64 v[13:14], v[7:8], v[1:2]
	v_mul_f64 v[1:2], v[5:6], v[1:2]
	s_waitcnt vmcnt(4)
	v_fma_f64 v[5:6], v[5:6], v[3:4], -v[13:14]
	v_fma_f64 v[1:2], v[7:8], v[3:4], v[1:2]
	s_waitcnt vmcnt(2)
	v_add_f64 v[3:4], v[9:10], -v[5:6]
	s_waitcnt vmcnt(0)
	v_add_f64 v[1:2], v[11:12], -v[1:2]
	buffer_store_dword v4, v19, s[0:3], 0 offen offset:52
	buffer_store_dword v3, v19, s[0:3], 0 offen offset:48
	;; [unrolled: 1-line block ×4, first 2 shown]
	s_clause 0x7
	buffer_load_dword v5, off, s[0:3], 0 offset:136
	buffer_load_dword v6, off, s[0:3], 0 offset:140
	;; [unrolled: 1-line block ×4, first 2 shown]
	buffer_load_dword v9, v19, s[0:3], 0 offen offset:64
	buffer_load_dword v10, v19, s[0:3], 0 offen offset:68
	;; [unrolled: 1-line block ×4, first 2 shown]
	ds_read2_b64 v[1:4], v20 offset0:8 offset1:9
	s_waitcnt vmcnt(6) lgkmcnt(0)
	v_mul_f64 v[13:14], v[3:4], v[5:6]
	v_mul_f64 v[5:6], v[1:2], v[5:6]
	s_waitcnt vmcnt(4)
	v_fma_f64 v[1:2], v[1:2], v[7:8], -v[13:14]
	v_fma_f64 v[3:4], v[3:4], v[7:8], v[5:6]
	s_waitcnt vmcnt(2)
	v_add_f64 v[1:2], v[9:10], -v[1:2]
	s_waitcnt vmcnt(0)
	v_add_f64 v[3:4], v[11:12], -v[3:4]
	buffer_store_dword v2, v19, s[0:3], 0 offen offset:68
	buffer_store_dword v1, v19, s[0:3], 0 offen offset:64
	;; [unrolled: 1-line block ×4, first 2 shown]
	s_cbranch_scc1 .LBB127_116
.LBB127_117:
	s_or_b32 exec_lo, exec_lo, s5
	s_mov_b32 s6, exec_lo
	s_waitcnt lgkmcnt(0)
	s_waitcnt_vscnt null, 0x0
	s_barrier
	buffer_gl0_inv
	v_cmpx_eq_u32_e32 9, v0
	s_cbranch_execz .LBB127_126
; %bb.118:
	v_mov_b32_e32 v4, s70
	s_movk_i32 s5, 0xa0
	s_clause 0x3
	buffer_load_dword v1, v4, s[0:3], 0 offen
	buffer_load_dword v2, v4, s[0:3], 0 offen offset:4
	buffer_load_dword v3, v4, s[0:3], 0 offen offset:8
	;; [unrolled: 1-line block ×3, first 2 shown]
	s_waitcnt vmcnt(0)
	ds_write2_b64 v23, v[1:2], v[3:4] offset1:1
.LBB127_119:                            ; =>This Inner Loop Header: Depth=1
	v_mov_b32_e32 v25, s5
	s_clause 0x3e
	buffer_load_dword v1, v25, s[0:3], 0 offen
	buffer_load_dword v2, v25, s[0:3], 0 offen offset:4
	buffer_load_dword v3, v25, s[0:3], 0 offen offset:8
	;; [unrolled: 1-line block ×62, first 2 shown]
	s_clause 0x8
	buffer_load_dword v78, v25, s[0:3], 0 offen offset:252
	buffer_load_dword v79, v25, s[0:3], 0 offen offset:256
	;; [unrolled: 1-line block ×9, first 2 shown]
	v_add_nc_u32_e32 v25, s5, v24
	s_addk_i32 s5, 0x120
	s_waitcnt vmcnt(62)
	ds_write2_b64 v25, v[1:2], v[3:4] offset1:1
	ds_write2_b64 v25, v[5:6], v[7:8] offset0:2 offset1:3
	s_waitcnt vmcnt(60)
	ds_write2_b64 v25, v[9:10], v[11:12] offset0:4 offset1:5
	s_waitcnt vmcnt(56)
	;; [unrolled: 2-line block ×3, first 2 shown]
	ds_write2_b64 v25, v[37:38], v[17:18] offset0:8 offset1:9
	ds_write2_b64 v25, v[21:22], v[19:20] offset0:10 offset1:11
	s_waitcnt vmcnt(40)
	ds_write2_b64 v25, v[45:46], v[39:40] offset0:12 offset1:13
	ds_write2_b64 v25, v[43:44], v[41:42] offset0:14 offset1:15
	s_waitcnt vmcnt(36)
	ds_write2_b64 v25, v[47:48], v[49:50] offset0:16 offset1:17
	s_waitcnt vmcnt(32)
	;; [unrolled: 2-line block ×10, first 2 shown]
	ds_write2_b64 v25, v[83:84], v[85:86] offset0:34 offset1:35
	s_cmpk_lg_i32 s5, 0x400
	s_cbranch_scc1 .LBB127_119
; %bb.120:
	ds_read2_b64 v[1:4], v23 offset1:1
	s_waitcnt lgkmcnt(0)
	v_cmp_neq_f64_e32 vcc_lo, 0, v[1:2]
	v_cmp_neq_f64_e64 s5, 0, v[3:4]
	s_or_b32 s5, vcc_lo, s5
	s_and_b32 exec_lo, exec_lo, s5
	s_cbranch_execz .LBB127_126
; %bb.121:
	v_cmp_ngt_f64_e64 s5, |v[1:2]|, |v[3:4]|
                                        ; implicit-def: $vgpr5_vgpr6
	s_and_saveexec_b32 s7, s5
	s_xor_b32 s5, exec_lo, s7
                                        ; implicit-def: $vgpr7_vgpr8
	s_cbranch_execz .LBB127_123
; %bb.122:
	v_div_scale_f64 v[5:6], null, v[3:4], v[3:4], v[1:2]
	v_div_scale_f64 v[11:12], vcc_lo, v[1:2], v[3:4], v[1:2]
	v_rcp_f64_e32 v[7:8], v[5:6]
	v_fma_f64 v[9:10], -v[5:6], v[7:8], 1.0
	v_fma_f64 v[7:8], v[7:8], v[9:10], v[7:8]
	v_fma_f64 v[9:10], -v[5:6], v[7:8], 1.0
	v_fma_f64 v[7:8], v[7:8], v[9:10], v[7:8]
	v_mul_f64 v[9:10], v[11:12], v[7:8]
	v_fma_f64 v[5:6], -v[5:6], v[9:10], v[11:12]
	v_div_fmas_f64 v[5:6], v[5:6], v[7:8], v[9:10]
	v_div_fixup_f64 v[5:6], v[5:6], v[3:4], v[1:2]
	v_fma_f64 v[1:2], v[1:2], v[5:6], v[3:4]
	v_div_scale_f64 v[3:4], null, v[1:2], v[1:2], 1.0
	v_rcp_f64_e32 v[7:8], v[3:4]
	v_fma_f64 v[9:10], -v[3:4], v[7:8], 1.0
	v_fma_f64 v[7:8], v[7:8], v[9:10], v[7:8]
	v_fma_f64 v[9:10], -v[3:4], v[7:8], 1.0
	v_fma_f64 v[7:8], v[7:8], v[9:10], v[7:8]
	v_div_scale_f64 v[9:10], vcc_lo, 1.0, v[1:2], 1.0
	v_mul_f64 v[11:12], v[9:10], v[7:8]
	v_fma_f64 v[3:4], -v[3:4], v[11:12], v[9:10]
	v_div_fmas_f64 v[3:4], v[3:4], v[7:8], v[11:12]
	v_div_fixup_f64 v[7:8], v[3:4], v[1:2], 1.0
                                        ; implicit-def: $vgpr1_vgpr2
	v_mul_f64 v[5:6], v[5:6], v[7:8]
	v_xor_b32_e32 v8, 0x80000000, v8
.LBB127_123:
	s_andn2_saveexec_b32 s5, s5
	s_cbranch_execz .LBB127_125
; %bb.124:
	v_div_scale_f64 v[5:6], null, v[1:2], v[1:2], v[3:4]
	v_div_scale_f64 v[11:12], vcc_lo, v[3:4], v[1:2], v[3:4]
	v_rcp_f64_e32 v[7:8], v[5:6]
	v_fma_f64 v[9:10], -v[5:6], v[7:8], 1.0
	v_fma_f64 v[7:8], v[7:8], v[9:10], v[7:8]
	v_fma_f64 v[9:10], -v[5:6], v[7:8], 1.0
	v_fma_f64 v[7:8], v[7:8], v[9:10], v[7:8]
	v_mul_f64 v[9:10], v[11:12], v[7:8]
	v_fma_f64 v[5:6], -v[5:6], v[9:10], v[11:12]
	v_div_fmas_f64 v[5:6], v[5:6], v[7:8], v[9:10]
	v_div_fixup_f64 v[7:8], v[5:6], v[1:2], v[3:4]
	v_fma_f64 v[1:2], v[3:4], v[7:8], v[1:2]
	v_div_scale_f64 v[3:4], null, v[1:2], v[1:2], 1.0
	v_rcp_f64_e32 v[5:6], v[3:4]
	v_fma_f64 v[9:10], -v[3:4], v[5:6], 1.0
	v_fma_f64 v[5:6], v[5:6], v[9:10], v[5:6]
	v_fma_f64 v[9:10], -v[3:4], v[5:6], 1.0
	v_fma_f64 v[5:6], v[5:6], v[9:10], v[5:6]
	v_div_scale_f64 v[9:10], vcc_lo, 1.0, v[1:2], 1.0
	v_mul_f64 v[11:12], v[9:10], v[5:6]
	v_fma_f64 v[3:4], -v[3:4], v[11:12], v[9:10]
	v_div_fmas_f64 v[3:4], v[3:4], v[5:6], v[11:12]
	v_div_fixup_f64 v[5:6], v[3:4], v[1:2], 1.0
	v_mul_f64 v[7:8], v[7:8], -v[5:6]
.LBB127_125:
	s_or_b32 exec_lo, exec_lo, s5
	ds_write2_b64 v23, v[5:6], v[7:8] offset1:1
.LBB127_126:
	s_or_b32 exec_lo, exec_lo, s6
	s_waitcnt lgkmcnt(0)
	s_barrier
	buffer_gl0_inv
	ds_read2_b64 v[37:40], v23 offset1:1
	s_mov_b32 s5, exec_lo
	v_cmpx_lt_u32_e32 9, v0
	s_cbranch_execz .LBB127_129
; %bb.127:
	s_clause 0x3
	buffer_load_dword v1, off, s[0:3], 0 offset:152
	buffer_load_dword v2, off, s[0:3], 0 offset:156
	buffer_load_dword v3, off, s[0:3], 0 offset:144
	buffer_load_dword v4, off, s[0:3], 0 offset:148
	s_movk_i32 s6, 0xa0
	s_waitcnt vmcnt(2) lgkmcnt(0)
	v_mul_f64 v[5:6], v[39:40], v[1:2]
	v_mul_f64 v[1:2], v[37:38], v[1:2]
	s_waitcnt vmcnt(0)
	v_fma_f64 v[5:6], v[37:38], v[3:4], -v[5:6]
	v_fma_f64 v[1:2], v[39:40], v[3:4], v[1:2]
	buffer_store_dword v5, off, s[0:3], 0 offset:144
	buffer_store_dword v6, off, s[0:3], 0 offset:148
	;; [unrolled: 1-line block ×4, first 2 shown]
.LBB127_128:                            ; =>This Inner Loop Header: Depth=1
	s_clause 0x3
	buffer_load_dword v9, off, s[0:3], 0 offset:152
	buffer_load_dword v10, off, s[0:3], 0 offset:156
	;; [unrolled: 1-line block ×4, first 2 shown]
	v_mov_b32_e32 v25, s6
	v_add_nc_u32_e32 v26, s6, v24
	s_addk_i32 s6, 0x60
	s_clause 0x3
	buffer_load_dword v13, v25, s[0:3], 0 offen
	buffer_load_dword v14, v25, s[0:3], 0 offen offset:4
	buffer_load_dword v15, v25, s[0:3], 0 offen offset:8
	;; [unrolled: 1-line block ×3, first 2 shown]
	ds_read2_b64 v[1:4], v26 offset1:1
	s_clause 0x3
	buffer_load_dword v17, v25, s[0:3], 0 offen offset:16
	buffer_load_dword v18, v25, s[0:3], 0 offen offset:20
	;; [unrolled: 1-line block ×4, first 2 shown]
	ds_read2_b64 v[5:8], v26 offset0:2 offset1:3
	s_cmpk_lg_i32 s6, 0x400
	s_waitcnt vmcnt(10) lgkmcnt(1)
	v_mul_f64 v[21:22], v[3:4], v[9:10]
	v_mul_f64 v[9:10], v[1:2], v[9:10]
	s_waitcnt vmcnt(8)
	v_fma_f64 v[1:2], v[1:2], v[11:12], -v[21:22]
	v_fma_f64 v[3:4], v[3:4], v[11:12], v[9:10]
	s_waitcnt vmcnt(6)
	v_add_f64 v[1:2], v[13:14], -v[1:2]
	s_waitcnt vmcnt(4)
	v_add_f64 v[3:4], v[15:16], -v[3:4]
	buffer_store_dword v2, v25, s[0:3], 0 offen offset:4
	buffer_store_dword v1, v25, s[0:3], 0 offen
	buffer_store_dword v4, v25, s[0:3], 0 offen offset:12
	buffer_store_dword v3, v25, s[0:3], 0 offen offset:8
	s_clause 0x3
	buffer_load_dword v2, off, s[0:3], 0 offset:156
	buffer_load_dword v1, off, s[0:3], 0 offset:152
	;; [unrolled: 1-line block ×4, first 2 shown]
	s_waitcnt vmcnt(2) lgkmcnt(0)
	v_mul_f64 v[9:10], v[7:8], v[1:2]
	v_mul_f64 v[1:2], v[5:6], v[1:2]
	s_waitcnt vmcnt(0)
	v_fma_f64 v[5:6], v[5:6], v[3:4], -v[9:10]
	v_fma_f64 v[1:2], v[7:8], v[3:4], v[1:2]
	s_clause 0x3
	buffer_load_dword v9, v25, s[0:3], 0 offen offset:32
	buffer_load_dword v10, v25, s[0:3], 0 offen offset:36
	;; [unrolled: 1-line block ×4, first 2 shown]
	v_add_f64 v[3:4], v[17:18], -v[5:6]
	v_add_f64 v[1:2], v[19:20], -v[1:2]
	buffer_store_dword v4, v25, s[0:3], 0 offen offset:20
	buffer_store_dword v3, v25, s[0:3], 0 offen offset:16
	;; [unrolled: 1-line block ×4, first 2 shown]
	s_clause 0x3
	buffer_load_dword v13, off, s[0:3], 0 offset:152
	buffer_load_dword v14, off, s[0:3], 0 offset:156
	;; [unrolled: 1-line block ×4, first 2 shown]
	ds_read2_b64 v[1:4], v26 offset0:4 offset1:5
	ds_read2_b64 v[5:8], v26 offset0:6 offset1:7
	s_waitcnt vmcnt(2) lgkmcnt(1)
	v_mul_f64 v[17:18], v[3:4], v[13:14]
	v_mul_f64 v[13:14], v[1:2], v[13:14]
	s_waitcnt vmcnt(0)
	v_fma_f64 v[1:2], v[1:2], v[15:16], -v[17:18]
	v_fma_f64 v[3:4], v[3:4], v[15:16], v[13:14]
	v_add_f64 v[1:2], v[9:10], -v[1:2]
	v_add_f64 v[3:4], v[11:12], -v[3:4]
	buffer_store_dword v2, v25, s[0:3], 0 offen offset:36
	buffer_store_dword v1, v25, s[0:3], 0 offen offset:32
	;; [unrolled: 1-line block ×4, first 2 shown]
	s_clause 0x7
	buffer_load_dword v1, off, s[0:3], 0 offset:152
	buffer_load_dword v2, off, s[0:3], 0 offset:156
	;; [unrolled: 1-line block ×4, first 2 shown]
	buffer_load_dword v9, v25, s[0:3], 0 offen offset:48
	buffer_load_dword v10, v25, s[0:3], 0 offen offset:52
	;; [unrolled: 1-line block ×4, first 2 shown]
	s_waitcnt vmcnt(6) lgkmcnt(0)
	v_mul_f64 v[13:14], v[7:8], v[1:2]
	v_mul_f64 v[1:2], v[5:6], v[1:2]
	s_waitcnt vmcnt(4)
	v_fma_f64 v[5:6], v[5:6], v[3:4], -v[13:14]
	v_fma_f64 v[1:2], v[7:8], v[3:4], v[1:2]
	s_waitcnt vmcnt(2)
	v_add_f64 v[3:4], v[9:10], -v[5:6]
	s_waitcnt vmcnt(0)
	v_add_f64 v[1:2], v[11:12], -v[1:2]
	buffer_store_dword v4, v25, s[0:3], 0 offen offset:52
	buffer_store_dword v3, v25, s[0:3], 0 offen offset:48
	;; [unrolled: 1-line block ×4, first 2 shown]
	s_clause 0x7
	buffer_load_dword v9, off, s[0:3], 0 offset:152
	buffer_load_dword v10, off, s[0:3], 0 offset:156
	;; [unrolled: 1-line block ×4, first 2 shown]
	buffer_load_dword v13, v25, s[0:3], 0 offen offset:64
	buffer_load_dword v14, v25, s[0:3], 0 offen offset:68
	;; [unrolled: 1-line block ×4, first 2 shown]
	ds_read2_b64 v[1:4], v26 offset0:8 offset1:9
	ds_read2_b64 v[5:8], v26 offset0:10 offset1:11
	s_waitcnt vmcnt(6) lgkmcnt(1)
	v_mul_f64 v[17:18], v[3:4], v[9:10]
	v_mul_f64 v[9:10], v[1:2], v[9:10]
	s_waitcnt vmcnt(4)
	v_fma_f64 v[1:2], v[1:2], v[11:12], -v[17:18]
	v_fma_f64 v[3:4], v[3:4], v[11:12], v[9:10]
	s_waitcnt vmcnt(2)
	v_add_f64 v[1:2], v[13:14], -v[1:2]
	s_waitcnt vmcnt(0)
	v_add_f64 v[3:4], v[15:16], -v[3:4]
	buffer_store_dword v2, v25, s[0:3], 0 offen offset:68
	buffer_store_dword v1, v25, s[0:3], 0 offen offset:64
	;; [unrolled: 1-line block ×4, first 2 shown]
	s_clause 0x7
	buffer_load_dword v1, off, s[0:3], 0 offset:152
	buffer_load_dword v2, off, s[0:3], 0 offset:156
	;; [unrolled: 1-line block ×4, first 2 shown]
	buffer_load_dword v9, v25, s[0:3], 0 offen offset:80
	buffer_load_dword v10, v25, s[0:3], 0 offen offset:84
	;; [unrolled: 1-line block ×4, first 2 shown]
	s_waitcnt vmcnt(6) lgkmcnt(0)
	v_mul_f64 v[13:14], v[7:8], v[1:2]
	v_mul_f64 v[1:2], v[5:6], v[1:2]
	s_waitcnt vmcnt(4)
	v_fma_f64 v[5:6], v[5:6], v[3:4], -v[13:14]
	v_fma_f64 v[1:2], v[7:8], v[3:4], v[1:2]
	s_waitcnt vmcnt(2)
	v_add_f64 v[3:4], v[9:10], -v[5:6]
	s_waitcnt vmcnt(0)
	v_add_f64 v[1:2], v[11:12], -v[1:2]
	buffer_store_dword v4, v25, s[0:3], 0 offen offset:84
	buffer_store_dword v3, v25, s[0:3], 0 offen offset:80
	;; [unrolled: 1-line block ×4, first 2 shown]
	s_cbranch_scc1 .LBB127_128
.LBB127_129:
	s_or_b32 exec_lo, exec_lo, s5
	s_mov_b32 s6, exec_lo
	s_waitcnt lgkmcnt(0)
	s_waitcnt_vscnt null, 0x0
	s_barrier
	buffer_gl0_inv
	v_cmpx_eq_u32_e32 10, v0
	s_cbranch_execz .LBB127_140
; %bb.130:
	v_mov_b32_e32 v4, s69
	s_movk_i32 s5, 0xb0
	s_clause 0x3
	buffer_load_dword v1, v4, s[0:3], 0 offen
	buffer_load_dword v2, v4, s[0:3], 0 offen offset:4
	buffer_load_dword v3, v4, s[0:3], 0 offen offset:8
	;; [unrolled: 1-line block ×3, first 2 shown]
	s_waitcnt vmcnt(0)
	ds_write2_b64 v23, v[1:2], v[3:4] offset1:1
	s_branch .LBB127_132
.LBB127_131:                            ;   in Loop: Header=BB127_132 Depth=1
	s_andn2_b32 vcc_lo, exec_lo, s8
	s_cbranch_vccz .LBB127_134
.LBB127_132:                            ; =>This Inner Loop Header: Depth=1
	v_mov_b32_e32 v1, s5
	s_mov_b32 s7, s5
	s_mov_b32 s8, -1
	s_cmpk_eq_i32 s5, 0x3b0
	s_clause 0x13
	buffer_load_dword v2, v1, s[0:3], 0 offen
	buffer_load_dword v3, v1, s[0:3], 0 offen offset:4
	buffer_load_dword v4, v1, s[0:3], 0 offen offset:8
	;; [unrolled: 1-line block ×19, first 2 shown]
	v_add_nc_u32_e32 v1, s5, v24
	s_waitcnt vmcnt(16)
	ds_write2_b64 v1, v[2:3], v[4:5] offset1:1
	s_waitcnt vmcnt(12)
	ds_write2_b64 v1, v[6:7], v[8:9] offset0:2 offset1:3
	s_waitcnt vmcnt(8)
	ds_write2_b64 v1, v[10:11], v[12:13] offset0:4 offset1:5
	;; [unrolled: 2-line block ×4, first 2 shown]
	s_cbranch_scc1 .LBB127_131
; %bb.133:                              ;   in Loop: Header=BB127_132 Depth=1
	v_mov_b32_e32 v13, s7
	s_addk_i32 s5, 0x80
	s_mov_b32 s8, 0
	s_clause 0xb
	buffer_load_dword v2, v13, s[0:3], 0 offen offset:80
	buffer_load_dword v3, v13, s[0:3], 0 offen offset:84
	;; [unrolled: 1-line block ×12, first 2 shown]
	s_waitcnt vmcnt(8)
	ds_write2_b64 v1, v[2:3], v[4:5] offset0:10 offset1:11
	s_waitcnt vmcnt(4)
	ds_write2_b64 v1, v[6:7], v[8:9] offset0:12 offset1:13
	;; [unrolled: 2-line block ×3, first 2 shown]
	s_branch .LBB127_131
.LBB127_134:
	ds_read2_b64 v[1:4], v23 offset1:1
	s_waitcnt lgkmcnt(0)
	v_cmp_neq_f64_e32 vcc_lo, 0, v[1:2]
	v_cmp_neq_f64_e64 s5, 0, v[3:4]
	s_or_b32 s5, vcc_lo, s5
	s_and_b32 exec_lo, exec_lo, s5
	s_cbranch_execz .LBB127_140
; %bb.135:
	v_cmp_ngt_f64_e64 s5, |v[1:2]|, |v[3:4]|
                                        ; implicit-def: $vgpr5_vgpr6
	s_and_saveexec_b32 s7, s5
	s_xor_b32 s5, exec_lo, s7
                                        ; implicit-def: $vgpr7_vgpr8
	s_cbranch_execz .LBB127_137
; %bb.136:
	v_div_scale_f64 v[5:6], null, v[3:4], v[3:4], v[1:2]
	v_div_scale_f64 v[11:12], vcc_lo, v[1:2], v[3:4], v[1:2]
	v_rcp_f64_e32 v[7:8], v[5:6]
	v_fma_f64 v[9:10], -v[5:6], v[7:8], 1.0
	v_fma_f64 v[7:8], v[7:8], v[9:10], v[7:8]
	v_fma_f64 v[9:10], -v[5:6], v[7:8], 1.0
	v_fma_f64 v[7:8], v[7:8], v[9:10], v[7:8]
	v_mul_f64 v[9:10], v[11:12], v[7:8]
	v_fma_f64 v[5:6], -v[5:6], v[9:10], v[11:12]
	v_div_fmas_f64 v[5:6], v[5:6], v[7:8], v[9:10]
	v_div_fixup_f64 v[5:6], v[5:6], v[3:4], v[1:2]
	v_fma_f64 v[1:2], v[1:2], v[5:6], v[3:4]
	v_div_scale_f64 v[3:4], null, v[1:2], v[1:2], 1.0
	v_rcp_f64_e32 v[7:8], v[3:4]
	v_fma_f64 v[9:10], -v[3:4], v[7:8], 1.0
	v_fma_f64 v[7:8], v[7:8], v[9:10], v[7:8]
	v_fma_f64 v[9:10], -v[3:4], v[7:8], 1.0
	v_fma_f64 v[7:8], v[7:8], v[9:10], v[7:8]
	v_div_scale_f64 v[9:10], vcc_lo, 1.0, v[1:2], 1.0
	v_mul_f64 v[11:12], v[9:10], v[7:8]
	v_fma_f64 v[3:4], -v[3:4], v[11:12], v[9:10]
	v_div_fmas_f64 v[3:4], v[3:4], v[7:8], v[11:12]
	v_div_fixup_f64 v[7:8], v[3:4], v[1:2], 1.0
                                        ; implicit-def: $vgpr1_vgpr2
	v_mul_f64 v[5:6], v[5:6], v[7:8]
	v_xor_b32_e32 v8, 0x80000000, v8
.LBB127_137:
	s_andn2_saveexec_b32 s5, s5
	s_cbranch_execz .LBB127_139
; %bb.138:
	v_div_scale_f64 v[5:6], null, v[1:2], v[1:2], v[3:4]
	v_div_scale_f64 v[11:12], vcc_lo, v[3:4], v[1:2], v[3:4]
	v_rcp_f64_e32 v[7:8], v[5:6]
	v_fma_f64 v[9:10], -v[5:6], v[7:8], 1.0
	v_fma_f64 v[7:8], v[7:8], v[9:10], v[7:8]
	v_fma_f64 v[9:10], -v[5:6], v[7:8], 1.0
	v_fma_f64 v[7:8], v[7:8], v[9:10], v[7:8]
	v_mul_f64 v[9:10], v[11:12], v[7:8]
	v_fma_f64 v[5:6], -v[5:6], v[9:10], v[11:12]
	v_div_fmas_f64 v[5:6], v[5:6], v[7:8], v[9:10]
	v_div_fixup_f64 v[7:8], v[5:6], v[1:2], v[3:4]
	v_fma_f64 v[1:2], v[3:4], v[7:8], v[1:2]
	v_div_scale_f64 v[3:4], null, v[1:2], v[1:2], 1.0
	v_rcp_f64_e32 v[5:6], v[3:4]
	v_fma_f64 v[9:10], -v[3:4], v[5:6], 1.0
	v_fma_f64 v[5:6], v[5:6], v[9:10], v[5:6]
	v_fma_f64 v[9:10], -v[3:4], v[5:6], 1.0
	v_fma_f64 v[5:6], v[5:6], v[9:10], v[5:6]
	v_div_scale_f64 v[9:10], vcc_lo, 1.0, v[1:2], 1.0
	v_mul_f64 v[11:12], v[9:10], v[5:6]
	v_fma_f64 v[3:4], -v[3:4], v[11:12], v[9:10]
	v_div_fmas_f64 v[3:4], v[3:4], v[5:6], v[11:12]
	v_div_fixup_f64 v[5:6], v[3:4], v[1:2], 1.0
	v_mul_f64 v[7:8], v[7:8], -v[5:6]
.LBB127_139:
	s_or_b32 exec_lo, exec_lo, s5
	ds_write2_b64 v23, v[5:6], v[7:8] offset1:1
.LBB127_140:
	s_or_b32 exec_lo, exec_lo, s6
	s_waitcnt lgkmcnt(0)
	s_barrier
	buffer_gl0_inv
	ds_read2_b64 v[41:44], v23 offset1:1
	s_mov_b32 s5, exec_lo
	v_cmpx_lt_u32_e32 10, v0
	s_cbranch_execz .LBB127_145
; %bb.141:
	s_clause 0x3
	buffer_load_dword v1, off, s[0:3], 0 offset:168
	buffer_load_dword v2, off, s[0:3], 0 offset:172
	buffer_load_dword v3, off, s[0:3], 0 offset:160
	buffer_load_dword v4, off, s[0:3], 0 offset:164
	s_movk_i32 s6, 0xb0
	s_waitcnt vmcnt(2) lgkmcnt(0)
	v_mul_f64 v[5:6], v[43:44], v[1:2]
	v_mul_f64 v[7:8], v[41:42], v[1:2]
	s_waitcnt vmcnt(0)
	v_fma_f64 v[1:2], v[41:42], v[3:4], -v[5:6]
	v_fma_f64 v[3:4], v[43:44], v[3:4], v[7:8]
	buffer_store_dword v1, off, s[0:3], 0 offset:160
	buffer_store_dword v2, off, s[0:3], 0 offset:164
	buffer_store_dword v3, off, s[0:3], 0 offset:168
	buffer_store_dword v4, off, s[0:3], 0 offset:172
	s_branch .LBB127_143
.LBB127_142:                            ;   in Loop: Header=BB127_143 Depth=1
	s_andn2_b32 vcc_lo, exec_lo, s8
	s_cbranch_vccz .LBB127_145
.LBB127_143:                            ; =>This Inner Loop Header: Depth=1
	v_mov_b32_e32 v16, s6
	v_add_nc_u32_e32 v5, s6, v24
	s_mov_b32 s7, s6
	s_mov_b32 s8, -1
	s_cmpk_eq_i32 s6, 0x3f0
	s_clause 0x3
	buffer_load_dword v10, v16, s[0:3], 0 offen
	buffer_load_dword v11, v16, s[0:3], 0 offen offset:4
	buffer_load_dword v12, v16, s[0:3], 0 offen offset:8
	;; [unrolled: 1-line block ×3, first 2 shown]
	ds_read2_b64 v[6:9], v5 offset1:1
	s_waitcnt vmcnt(4) lgkmcnt(0)
	v_mul_f64 v[14:15], v[8:9], v[3:4]
	v_mul_f64 v[3:4], v[6:7], v[3:4]
	v_fma_f64 v[6:7], v[6:7], v[1:2], -v[14:15]
	v_fma_f64 v[1:2], v[8:9], v[1:2], v[3:4]
	s_waitcnt vmcnt(2)
	v_add_f64 v[3:4], v[10:11], -v[6:7]
	s_waitcnt vmcnt(0)
	v_add_f64 v[1:2], v[12:13], -v[1:2]
	buffer_store_dword v3, v16, s[0:3], 0 offen
	buffer_store_dword v4, v16, s[0:3], 0 offen offset:4
	buffer_store_dword v1, v16, s[0:3], 0 offen offset:8
	;; [unrolled: 1-line block ×3, first 2 shown]
                                        ; implicit-def: $vgpr1_vgpr2
                                        ; implicit-def: $vgpr3_vgpr4
	s_cbranch_scc1 .LBB127_142
; %bb.144:                              ;   in Loop: Header=BB127_143 Depth=1
	s_clause 0x3
	buffer_load_dword v10, off, s[0:3], 0 offset:168
	buffer_load_dword v11, off, s[0:3], 0 offset:172
	;; [unrolled: 1-line block ×4, first 2 shown]
	v_mov_b32_e32 v20, s7
	s_add_i32 s6, s6, 64
	s_mov_b32 s8, 0
	s_clause 0x3
	buffer_load_dword v14, v20, s[0:3], 0 offen offset:16
	buffer_load_dword v15, v20, s[0:3], 0 offen offset:20
	;; [unrolled: 1-line block ×4, first 2 shown]
	ds_read2_b64 v[1:4], v5 offset0:2 offset1:3
	ds_read2_b64 v[6:9], v5 offset0:4 offset1:5
	s_waitcnt vmcnt(6) lgkmcnt(1)
	v_mul_f64 v[18:19], v[3:4], v[10:11]
	v_mul_f64 v[10:11], v[1:2], v[10:11]
	s_waitcnt vmcnt(4)
	v_fma_f64 v[1:2], v[1:2], v[12:13], -v[18:19]
	v_fma_f64 v[3:4], v[3:4], v[12:13], v[10:11]
	s_waitcnt vmcnt(2)
	v_add_f64 v[1:2], v[14:15], -v[1:2]
	s_waitcnt vmcnt(0)
	v_add_f64 v[3:4], v[16:17], -v[3:4]
	buffer_store_dword v2, v20, s[0:3], 0 offen offset:20
	buffer_store_dword v1, v20, s[0:3], 0 offen offset:16
	;; [unrolled: 1-line block ×4, first 2 shown]
	s_clause 0x7
	buffer_load_dword v2, v20, s[0:3], 0 offen offset:36
	buffer_load_dword v3, v20, s[0:3], 0 offen offset:40
	;; [unrolled: 1-line block ×3, first 2 shown]
	buffer_load_dword v11, off, s[0:3], 0 offset:172
	buffer_load_dword v10, off, s[0:3], 0 offset:168
	;; [unrolled: 1-line block ×4, first 2 shown]
	buffer_load_dword v1, v20, s[0:3], 0 offen offset:32
	s_waitcnt vmcnt(3) lgkmcnt(0)
	v_mul_f64 v[14:15], v[8:9], v[10:11]
	v_mul_f64 v[10:11], v[6:7], v[10:11]
	s_waitcnt vmcnt(1)
	v_fma_f64 v[6:7], v[6:7], v[12:13], -v[14:15]
	v_fma_f64 v[8:9], v[8:9], v[12:13], v[10:11]
	s_waitcnt vmcnt(0)
	v_add_f64 v[1:2], v[1:2], -v[6:7]
	v_add_f64 v[3:4], v[3:4], -v[8:9]
	buffer_store_dword v2, v20, s[0:3], 0 offen offset:36
	buffer_store_dword v1, v20, s[0:3], 0 offen offset:32
	;; [unrolled: 1-line block ×4, first 2 shown]
	s_clause 0x7
	buffer_load_dword v7, v20, s[0:3], 0 offen offset:52
	buffer_load_dword v8, v20, s[0:3], 0 offen offset:56
	;; [unrolled: 1-line block ×3, first 2 shown]
	buffer_load_dword v10, off, s[0:3], 0 offset:168
	buffer_load_dword v11, off, s[0:3], 0 offset:172
	buffer_load_dword v12, off, s[0:3], 0 offset:160
	buffer_load_dword v13, off, s[0:3], 0 offset:164
	buffer_load_dword v6, v20, s[0:3], 0 offen offset:48
	ds_read2_b64 v[1:4], v5 offset0:6 offset1:7
	s_waitcnt vmcnt(3) lgkmcnt(0)
	v_mul_f64 v[14:15], v[3:4], v[10:11]
	v_mul_f64 v[10:11], v[1:2], v[10:11]
	s_waitcnt vmcnt(1)
	v_fma_f64 v[1:2], v[1:2], v[12:13], -v[14:15]
	v_fma_f64 v[3:4], v[3:4], v[12:13], v[10:11]
	s_waitcnt vmcnt(0)
	v_add_f64 v[1:2], v[6:7], -v[1:2]
	v_add_f64 v[3:4], v[8:9], -v[3:4]
	buffer_store_dword v2, v20, s[0:3], 0 offen offset:52
	buffer_store_dword v1, v20, s[0:3], 0 offen offset:48
	buffer_store_dword v4, v20, s[0:3], 0 offen offset:60
	buffer_store_dword v3, v20, s[0:3], 0 offen offset:56
	s_clause 0x3
	buffer_load_dword v1, off, s[0:3], 0 offset:160
	buffer_load_dword v2, off, s[0:3], 0 offset:164
	;; [unrolled: 1-line block ×4, first 2 shown]
	s_branch .LBB127_142
.LBB127_145:
	s_or_b32 exec_lo, exec_lo, s5
	s_mov_b32 s6, exec_lo
	s_waitcnt vmcnt(0) lgkmcnt(0)
	s_waitcnt_vscnt null, 0x0
	s_barrier
	buffer_gl0_inv
	v_cmpx_eq_u32_e32 11, v0
	s_cbranch_execz .LBB127_154
; %bb.146:
	v_mov_b32_e32 v4, s68
	s_movk_i32 s5, 0xc0
	s_clause 0x3
	buffer_load_dword v1, v4, s[0:3], 0 offen
	buffer_load_dword v2, v4, s[0:3], 0 offen offset:4
	buffer_load_dword v3, v4, s[0:3], 0 offen offset:8
	;; [unrolled: 1-line block ×3, first 2 shown]
	s_waitcnt vmcnt(0)
	ds_write2_b64 v23, v[1:2], v[3:4] offset1:1
.LBB127_147:                            ; =>This Inner Loop Header: Depth=1
	v_mov_b32_e32 v25, s5
	s_clause 0x33
	buffer_load_dword v1, v25, s[0:3], 0 offen
	buffer_load_dword v2, v25, s[0:3], 0 offen offset:4
	buffer_load_dword v3, v25, s[0:3], 0 offen offset:8
	;; [unrolled: 1-line block ×51, first 2 shown]
	v_add_nc_u32_e32 v25, s5, v24
	s_addk_i32 s5, 0xd0
	s_waitcnt vmcnt(48)
	ds_write2_b64 v25, v[1:2], v[3:4] offset1:1
	s_waitcnt vmcnt(44)
	ds_write2_b64 v25, v[5:6], v[7:8] offset0:2 offset1:3
	s_waitcnt vmcnt(40)
	ds_write2_b64 v25, v[9:10], v[11:12] offset0:4 offset1:5
	;; [unrolled: 2-line block ×4, first 2 shown]
	ds_write2_b64 v25, v[21:22], v[19:20] offset0:10 offset1:11
	s_waitcnt vmcnt(20)
	ds_write2_b64 v25, v[53:54], v[47:48] offset0:12 offset1:13
	ds_write2_b64 v25, v[51:52], v[49:50] offset0:14 offset1:15
	s_waitcnt vmcnt(16)
	ds_write2_b64 v25, v[55:56], v[57:58] offset0:16 offset1:17
	s_waitcnt vmcnt(12)
	;; [unrolled: 2-line block ×5, first 2 shown]
	ds_write2_b64 v25, v[71:72], v[73:74] offset0:24 offset1:25
	s_cmpk_lg_i32 s5, 0x400
	s_cbranch_scc1 .LBB127_147
; %bb.148:
	ds_read2_b64 v[1:4], v23 offset1:1
	s_waitcnt lgkmcnt(0)
	v_cmp_neq_f64_e32 vcc_lo, 0, v[1:2]
	v_cmp_neq_f64_e64 s5, 0, v[3:4]
	s_or_b32 s5, vcc_lo, s5
	s_and_b32 exec_lo, exec_lo, s5
	s_cbranch_execz .LBB127_154
; %bb.149:
	v_cmp_ngt_f64_e64 s5, |v[1:2]|, |v[3:4]|
                                        ; implicit-def: $vgpr5_vgpr6
	s_and_saveexec_b32 s7, s5
	s_xor_b32 s5, exec_lo, s7
                                        ; implicit-def: $vgpr7_vgpr8
	s_cbranch_execz .LBB127_151
; %bb.150:
	v_div_scale_f64 v[5:6], null, v[3:4], v[3:4], v[1:2]
	v_div_scale_f64 v[11:12], vcc_lo, v[1:2], v[3:4], v[1:2]
	v_rcp_f64_e32 v[7:8], v[5:6]
	v_fma_f64 v[9:10], -v[5:6], v[7:8], 1.0
	v_fma_f64 v[7:8], v[7:8], v[9:10], v[7:8]
	v_fma_f64 v[9:10], -v[5:6], v[7:8], 1.0
	v_fma_f64 v[7:8], v[7:8], v[9:10], v[7:8]
	v_mul_f64 v[9:10], v[11:12], v[7:8]
	v_fma_f64 v[5:6], -v[5:6], v[9:10], v[11:12]
	v_div_fmas_f64 v[5:6], v[5:6], v[7:8], v[9:10]
	v_div_fixup_f64 v[5:6], v[5:6], v[3:4], v[1:2]
	v_fma_f64 v[1:2], v[1:2], v[5:6], v[3:4]
	v_div_scale_f64 v[3:4], null, v[1:2], v[1:2], 1.0
	v_rcp_f64_e32 v[7:8], v[3:4]
	v_fma_f64 v[9:10], -v[3:4], v[7:8], 1.0
	v_fma_f64 v[7:8], v[7:8], v[9:10], v[7:8]
	v_fma_f64 v[9:10], -v[3:4], v[7:8], 1.0
	v_fma_f64 v[7:8], v[7:8], v[9:10], v[7:8]
	v_div_scale_f64 v[9:10], vcc_lo, 1.0, v[1:2], 1.0
	v_mul_f64 v[11:12], v[9:10], v[7:8]
	v_fma_f64 v[3:4], -v[3:4], v[11:12], v[9:10]
	v_div_fmas_f64 v[3:4], v[3:4], v[7:8], v[11:12]
	v_div_fixup_f64 v[7:8], v[3:4], v[1:2], 1.0
                                        ; implicit-def: $vgpr1_vgpr2
	v_mul_f64 v[5:6], v[5:6], v[7:8]
	v_xor_b32_e32 v8, 0x80000000, v8
.LBB127_151:
	s_andn2_saveexec_b32 s5, s5
	s_cbranch_execz .LBB127_153
; %bb.152:
	v_div_scale_f64 v[5:6], null, v[1:2], v[1:2], v[3:4]
	v_div_scale_f64 v[11:12], vcc_lo, v[3:4], v[1:2], v[3:4]
	v_rcp_f64_e32 v[7:8], v[5:6]
	v_fma_f64 v[9:10], -v[5:6], v[7:8], 1.0
	v_fma_f64 v[7:8], v[7:8], v[9:10], v[7:8]
	v_fma_f64 v[9:10], -v[5:6], v[7:8], 1.0
	v_fma_f64 v[7:8], v[7:8], v[9:10], v[7:8]
	v_mul_f64 v[9:10], v[11:12], v[7:8]
	v_fma_f64 v[5:6], -v[5:6], v[9:10], v[11:12]
	v_div_fmas_f64 v[5:6], v[5:6], v[7:8], v[9:10]
	v_div_fixup_f64 v[7:8], v[5:6], v[1:2], v[3:4]
	v_fma_f64 v[1:2], v[3:4], v[7:8], v[1:2]
	v_div_scale_f64 v[3:4], null, v[1:2], v[1:2], 1.0
	v_rcp_f64_e32 v[5:6], v[3:4]
	v_fma_f64 v[9:10], -v[3:4], v[5:6], 1.0
	v_fma_f64 v[5:6], v[5:6], v[9:10], v[5:6]
	v_fma_f64 v[9:10], -v[3:4], v[5:6], 1.0
	v_fma_f64 v[5:6], v[5:6], v[9:10], v[5:6]
	v_div_scale_f64 v[9:10], vcc_lo, 1.0, v[1:2], 1.0
	v_mul_f64 v[11:12], v[9:10], v[5:6]
	v_fma_f64 v[3:4], -v[3:4], v[11:12], v[9:10]
	v_div_fmas_f64 v[3:4], v[3:4], v[5:6], v[11:12]
	v_div_fixup_f64 v[5:6], v[3:4], v[1:2], 1.0
	v_mul_f64 v[7:8], v[7:8], -v[5:6]
.LBB127_153:
	s_or_b32 exec_lo, exec_lo, s5
	ds_write2_b64 v23, v[5:6], v[7:8] offset1:1
.LBB127_154:
	s_or_b32 exec_lo, exec_lo, s6
	s_waitcnt lgkmcnt(0)
	s_barrier
	buffer_gl0_inv
	ds_read2_b64 v[45:48], v23 offset1:1
	s_mov_b32 s5, exec_lo
	v_cmpx_lt_u32_e32 11, v0
	s_cbranch_execz .LBB127_157
; %bb.155:
	s_clause 0x3
	buffer_load_dword v1, off, s[0:3], 0 offset:184
	buffer_load_dword v2, off, s[0:3], 0 offset:188
	;; [unrolled: 1-line block ×4, first 2 shown]
	s_movk_i32 s6, 0xc0
	s_waitcnt vmcnt(2) lgkmcnt(0)
	v_mul_f64 v[5:6], v[47:48], v[1:2]
	v_mul_f64 v[1:2], v[45:46], v[1:2]
	s_waitcnt vmcnt(0)
	v_fma_f64 v[5:6], v[45:46], v[3:4], -v[5:6]
	v_fma_f64 v[1:2], v[47:48], v[3:4], v[1:2]
	buffer_store_dword v5, off, s[0:3], 0 offset:176
	buffer_store_dword v6, off, s[0:3], 0 offset:180
	;; [unrolled: 1-line block ×4, first 2 shown]
.LBB127_156:                            ; =>This Inner Loop Header: Depth=1
	s_clause 0x3
	buffer_load_dword v9, off, s[0:3], 0 offset:184
	buffer_load_dword v10, off, s[0:3], 0 offset:188
	buffer_load_dword v11, off, s[0:3], 0 offset:176
	buffer_load_dword v12, off, s[0:3], 0 offset:180
	v_mov_b32_e32 v19, s6
	v_add_nc_u32_e32 v20, s6, v24
	s_add_i32 s6, s6, 64
	s_clause 0x3
	buffer_load_dword v13, v19, s[0:3], 0 offen
	buffer_load_dword v14, v19, s[0:3], 0 offen offset:4
	buffer_load_dword v15, v19, s[0:3], 0 offen offset:8
	;; [unrolled: 1-line block ×3, first 2 shown]
	ds_read2_b64 v[1:4], v20 offset1:1
	ds_read2_b64 v[5:8], v20 offset0:2 offset1:3
	s_cmpk_lg_i32 s6, 0x400
	s_waitcnt vmcnt(6) lgkmcnt(1)
	v_mul_f64 v[17:18], v[3:4], v[9:10]
	v_mul_f64 v[9:10], v[1:2], v[9:10]
	s_waitcnt vmcnt(4)
	v_fma_f64 v[1:2], v[1:2], v[11:12], -v[17:18]
	v_fma_f64 v[3:4], v[3:4], v[11:12], v[9:10]
	s_clause 0x3
	buffer_load_dword v9, v19, s[0:3], 0 offen offset:16
	buffer_load_dword v10, v19, s[0:3], 0 offen offset:20
	buffer_load_dword v11, v19, s[0:3], 0 offen offset:24
	buffer_load_dword v12, v19, s[0:3], 0 offen offset:28
	s_waitcnt vmcnt(6)
	v_add_f64 v[1:2], v[13:14], -v[1:2]
	s_waitcnt vmcnt(4)
	v_add_f64 v[3:4], v[15:16], -v[3:4]
	buffer_store_dword v2, v19, s[0:3], 0 offen offset:4
	buffer_store_dword v1, v19, s[0:3], 0 offen
	buffer_store_dword v4, v19, s[0:3], 0 offen offset:12
	buffer_store_dword v3, v19, s[0:3], 0 offen offset:8
	s_clause 0x3
	buffer_load_dword v2, off, s[0:3], 0 offset:188
	buffer_load_dword v1, off, s[0:3], 0 offset:184
	;; [unrolled: 1-line block ×4, first 2 shown]
	s_waitcnt vmcnt(2) lgkmcnt(0)
	v_mul_f64 v[13:14], v[7:8], v[1:2]
	v_mul_f64 v[1:2], v[5:6], v[1:2]
	s_waitcnt vmcnt(0)
	v_fma_f64 v[5:6], v[5:6], v[3:4], -v[13:14]
	v_fma_f64 v[1:2], v[7:8], v[3:4], v[1:2]
	v_add_f64 v[3:4], v[9:10], -v[5:6]
	v_add_f64 v[1:2], v[11:12], -v[1:2]
	s_clause 0x3
	buffer_load_dword v9, v19, s[0:3], 0 offen offset:32
	buffer_load_dword v10, v19, s[0:3], 0 offen offset:36
	;; [unrolled: 1-line block ×4, first 2 shown]
	buffer_store_dword v4, v19, s[0:3], 0 offen offset:20
	buffer_store_dword v3, v19, s[0:3], 0 offen offset:16
	;; [unrolled: 1-line block ×4, first 2 shown]
	s_clause 0x3
	buffer_load_dword v13, off, s[0:3], 0 offset:184
	buffer_load_dword v14, off, s[0:3], 0 offset:188
	;; [unrolled: 1-line block ×4, first 2 shown]
	ds_read2_b64 v[1:4], v20 offset0:4 offset1:5
	ds_read2_b64 v[5:8], v20 offset0:6 offset1:7
	s_waitcnt vmcnt(2) lgkmcnt(1)
	v_mul_f64 v[17:18], v[3:4], v[13:14]
	v_mul_f64 v[13:14], v[1:2], v[13:14]
	s_waitcnt vmcnt(0)
	v_fma_f64 v[1:2], v[1:2], v[15:16], -v[17:18]
	v_fma_f64 v[3:4], v[3:4], v[15:16], v[13:14]
	v_add_f64 v[1:2], v[9:10], -v[1:2]
	v_add_f64 v[3:4], v[11:12], -v[3:4]
	buffer_store_dword v2, v19, s[0:3], 0 offen offset:36
	buffer_store_dword v1, v19, s[0:3], 0 offen offset:32
	;; [unrolled: 1-line block ×4, first 2 shown]
	s_clause 0x7
	buffer_load_dword v1, off, s[0:3], 0 offset:184
	buffer_load_dword v2, off, s[0:3], 0 offset:188
	;; [unrolled: 1-line block ×4, first 2 shown]
	buffer_load_dword v9, v19, s[0:3], 0 offen offset:48
	buffer_load_dword v10, v19, s[0:3], 0 offen offset:52
	;; [unrolled: 1-line block ×4, first 2 shown]
	s_waitcnt vmcnt(6) lgkmcnt(0)
	v_mul_f64 v[13:14], v[7:8], v[1:2]
	v_mul_f64 v[1:2], v[5:6], v[1:2]
	s_waitcnt vmcnt(4)
	v_fma_f64 v[5:6], v[5:6], v[3:4], -v[13:14]
	v_fma_f64 v[1:2], v[7:8], v[3:4], v[1:2]
	s_waitcnt vmcnt(2)
	v_add_f64 v[3:4], v[9:10], -v[5:6]
	s_waitcnt vmcnt(0)
	v_add_f64 v[1:2], v[11:12], -v[1:2]
	buffer_store_dword v4, v19, s[0:3], 0 offen offset:52
	buffer_store_dword v3, v19, s[0:3], 0 offen offset:48
	;; [unrolled: 1-line block ×4, first 2 shown]
	s_cbranch_scc1 .LBB127_156
.LBB127_157:
	s_or_b32 exec_lo, exec_lo, s5
	s_mov_b32 s6, exec_lo
	s_waitcnt lgkmcnt(0)
	s_waitcnt_vscnt null, 0x0
	s_barrier
	buffer_gl0_inv
	v_cmpx_eq_u32_e32 12, v0
	s_cbranch_execz .LBB127_166
; %bb.158:
	v_mov_b32_e32 v4, s67
	s_movk_i32 s5, 0xd0
	s_clause 0x3
	buffer_load_dword v1, v4, s[0:3], 0 offen
	buffer_load_dword v2, v4, s[0:3], 0 offen offset:4
	buffer_load_dword v3, v4, s[0:3], 0 offen offset:8
	;; [unrolled: 1-line block ×3, first 2 shown]
	s_waitcnt vmcnt(0)
	ds_write2_b64 v23, v[1:2], v[3:4] offset1:1
.LBB127_159:                            ; =>This Inner Loop Header: Depth=1
	v_mov_b32_e32 v25, s5
	s_clause 0x3e
	buffer_load_dword v1, v25, s[0:3], 0 offen
	buffer_load_dword v2, v25, s[0:3], 0 offen offset:4
	buffer_load_dword v3, v25, s[0:3], 0 offen offset:8
	;; [unrolled: 1-line block ×62, first 2 shown]
	s_clause 0x4
	buffer_load_dword v99, v25, s[0:3], 0 offen offset:252
	buffer_load_dword v100, v25, s[0:3], 0 offen offset:256
	;; [unrolled: 1-line block ×5, first 2 shown]
	v_add_nc_u32_e32 v25, s5, v24
	s_addk_i32 s5, 0x110
	s_waitcnt vmcnt(62)
	ds_write2_b64 v25, v[1:2], v[3:4] offset1:1
	s_waitcnt vmcnt(60)
	ds_write2_b64 v25, v[5:6], v[7:8] offset0:2 offset1:3
	s_waitcnt vmcnt(56)
	ds_write2_b64 v25, v[9:10], v[11:12] offset0:4 offset1:5
	;; [unrolled: 2-line block ×4, first 2 shown]
	ds_write2_b64 v25, v[21:22], v[19:20] offset0:10 offset1:11
	s_waitcnt vmcnt(36)
	ds_write2_b64 v25, v[57:58], v[51:52] offset0:12 offset1:13
	ds_write2_b64 v25, v[55:56], v[53:54] offset0:14 offset1:15
	s_waitcnt vmcnt(32)
	ds_write2_b64 v25, v[59:60], v[61:62] offset0:16 offset1:17
	s_waitcnt vmcnt(28)
	;; [unrolled: 2-line block ×9, first 2 shown]
	ds_write2_b64 v25, v[100:101], v[102:103] offset0:32 offset1:33
	s_cmpk_lg_i32 s5, 0x400
	s_cbranch_scc1 .LBB127_159
; %bb.160:
	ds_read2_b64 v[1:4], v23 offset1:1
	s_waitcnt lgkmcnt(0)
	v_cmp_neq_f64_e32 vcc_lo, 0, v[1:2]
	v_cmp_neq_f64_e64 s5, 0, v[3:4]
	s_or_b32 s5, vcc_lo, s5
	s_and_b32 exec_lo, exec_lo, s5
	s_cbranch_execz .LBB127_166
; %bb.161:
	v_cmp_ngt_f64_e64 s5, |v[1:2]|, |v[3:4]|
                                        ; implicit-def: $vgpr5_vgpr6
	s_and_saveexec_b32 s7, s5
	s_xor_b32 s5, exec_lo, s7
                                        ; implicit-def: $vgpr7_vgpr8
	s_cbranch_execz .LBB127_163
; %bb.162:
	v_div_scale_f64 v[5:6], null, v[3:4], v[3:4], v[1:2]
	v_div_scale_f64 v[11:12], vcc_lo, v[1:2], v[3:4], v[1:2]
	v_rcp_f64_e32 v[7:8], v[5:6]
	v_fma_f64 v[9:10], -v[5:6], v[7:8], 1.0
	v_fma_f64 v[7:8], v[7:8], v[9:10], v[7:8]
	v_fma_f64 v[9:10], -v[5:6], v[7:8], 1.0
	v_fma_f64 v[7:8], v[7:8], v[9:10], v[7:8]
	v_mul_f64 v[9:10], v[11:12], v[7:8]
	v_fma_f64 v[5:6], -v[5:6], v[9:10], v[11:12]
	v_div_fmas_f64 v[5:6], v[5:6], v[7:8], v[9:10]
	v_div_fixup_f64 v[5:6], v[5:6], v[3:4], v[1:2]
	v_fma_f64 v[1:2], v[1:2], v[5:6], v[3:4]
	v_div_scale_f64 v[3:4], null, v[1:2], v[1:2], 1.0
	v_rcp_f64_e32 v[7:8], v[3:4]
	v_fma_f64 v[9:10], -v[3:4], v[7:8], 1.0
	v_fma_f64 v[7:8], v[7:8], v[9:10], v[7:8]
	v_fma_f64 v[9:10], -v[3:4], v[7:8], 1.0
	v_fma_f64 v[7:8], v[7:8], v[9:10], v[7:8]
	v_div_scale_f64 v[9:10], vcc_lo, 1.0, v[1:2], 1.0
	v_mul_f64 v[11:12], v[9:10], v[7:8]
	v_fma_f64 v[3:4], -v[3:4], v[11:12], v[9:10]
	v_div_fmas_f64 v[3:4], v[3:4], v[7:8], v[11:12]
	v_div_fixup_f64 v[7:8], v[3:4], v[1:2], 1.0
                                        ; implicit-def: $vgpr1_vgpr2
	v_mul_f64 v[5:6], v[5:6], v[7:8]
	v_xor_b32_e32 v8, 0x80000000, v8
.LBB127_163:
	s_andn2_saveexec_b32 s5, s5
	s_cbranch_execz .LBB127_165
; %bb.164:
	v_div_scale_f64 v[5:6], null, v[1:2], v[1:2], v[3:4]
	v_div_scale_f64 v[11:12], vcc_lo, v[3:4], v[1:2], v[3:4]
	v_rcp_f64_e32 v[7:8], v[5:6]
	v_fma_f64 v[9:10], -v[5:6], v[7:8], 1.0
	v_fma_f64 v[7:8], v[7:8], v[9:10], v[7:8]
	v_fma_f64 v[9:10], -v[5:6], v[7:8], 1.0
	v_fma_f64 v[7:8], v[7:8], v[9:10], v[7:8]
	v_mul_f64 v[9:10], v[11:12], v[7:8]
	v_fma_f64 v[5:6], -v[5:6], v[9:10], v[11:12]
	v_div_fmas_f64 v[5:6], v[5:6], v[7:8], v[9:10]
	v_div_fixup_f64 v[7:8], v[5:6], v[1:2], v[3:4]
	v_fma_f64 v[1:2], v[3:4], v[7:8], v[1:2]
	v_div_scale_f64 v[3:4], null, v[1:2], v[1:2], 1.0
	v_rcp_f64_e32 v[5:6], v[3:4]
	v_fma_f64 v[9:10], -v[3:4], v[5:6], 1.0
	v_fma_f64 v[5:6], v[5:6], v[9:10], v[5:6]
	v_fma_f64 v[9:10], -v[3:4], v[5:6], 1.0
	v_fma_f64 v[5:6], v[5:6], v[9:10], v[5:6]
	v_div_scale_f64 v[9:10], vcc_lo, 1.0, v[1:2], 1.0
	v_mul_f64 v[11:12], v[9:10], v[5:6]
	v_fma_f64 v[3:4], -v[3:4], v[11:12], v[9:10]
	v_div_fmas_f64 v[3:4], v[3:4], v[5:6], v[11:12]
	v_div_fixup_f64 v[5:6], v[3:4], v[1:2], 1.0
	v_mul_f64 v[7:8], v[7:8], -v[5:6]
.LBB127_165:
	s_or_b32 exec_lo, exec_lo, s5
	ds_write2_b64 v23, v[5:6], v[7:8] offset1:1
.LBB127_166:
	s_or_b32 exec_lo, exec_lo, s6
	s_waitcnt lgkmcnt(0)
	s_barrier
	buffer_gl0_inv
	ds_read2_b64 v[49:52], v23 offset1:1
	s_mov_b32 s5, exec_lo
	v_cmpx_lt_u32_e32 12, v0
	s_cbranch_execz .LBB127_169
; %bb.167:
	s_clause 0x3
	buffer_load_dword v1, off, s[0:3], 0 offset:200
	buffer_load_dword v2, off, s[0:3], 0 offset:204
	;; [unrolled: 1-line block ×4, first 2 shown]
	s_movk_i32 s6, 0xd0
	s_waitcnt vmcnt(2) lgkmcnt(0)
	v_mul_f64 v[5:6], v[51:52], v[1:2]
	v_mul_f64 v[1:2], v[49:50], v[1:2]
	s_waitcnt vmcnt(0)
	v_fma_f64 v[5:6], v[49:50], v[3:4], -v[5:6]
	v_fma_f64 v[1:2], v[51:52], v[3:4], v[1:2]
	buffer_store_dword v5, off, s[0:3], 0 offset:192
	buffer_store_dword v6, off, s[0:3], 0 offset:196
	;; [unrolled: 1-line block ×4, first 2 shown]
.LBB127_168:                            ; =>This Inner Loop Header: Depth=1
	s_clause 0x3
	buffer_load_dword v9, off, s[0:3], 0 offset:200
	buffer_load_dword v10, off, s[0:3], 0 offset:204
	;; [unrolled: 1-line block ×4, first 2 shown]
	v_mov_b32_e32 v19, s6
	v_add_nc_u32_e32 v20, s6, v24
	s_add_i32 s6, s6, 48
	s_clause 0x3
	buffer_load_dword v13, v19, s[0:3], 0 offen
	buffer_load_dword v14, v19, s[0:3], 0 offen offset:4
	buffer_load_dword v15, v19, s[0:3], 0 offen offset:8
	;; [unrolled: 1-line block ×3, first 2 shown]
	ds_read2_b64 v[1:4], v20 offset1:1
	ds_read2_b64 v[5:8], v20 offset0:2 offset1:3
	s_cmpk_lg_i32 s6, 0x400
	s_waitcnt vmcnt(6) lgkmcnt(1)
	v_mul_f64 v[17:18], v[3:4], v[9:10]
	v_mul_f64 v[9:10], v[1:2], v[9:10]
	s_waitcnt vmcnt(4)
	v_fma_f64 v[1:2], v[1:2], v[11:12], -v[17:18]
	v_fma_f64 v[3:4], v[3:4], v[11:12], v[9:10]
	s_clause 0x3
	buffer_load_dword v9, v19, s[0:3], 0 offen offset:16
	buffer_load_dword v10, v19, s[0:3], 0 offen offset:20
	;; [unrolled: 1-line block ×4, first 2 shown]
	s_waitcnt vmcnt(6)
	v_add_f64 v[1:2], v[13:14], -v[1:2]
	s_waitcnt vmcnt(4)
	v_add_f64 v[3:4], v[15:16], -v[3:4]
	buffer_store_dword v2, v19, s[0:3], 0 offen offset:4
	buffer_store_dword v1, v19, s[0:3], 0 offen
	buffer_store_dword v4, v19, s[0:3], 0 offen offset:12
	buffer_store_dword v3, v19, s[0:3], 0 offen offset:8
	s_clause 0x3
	buffer_load_dword v2, off, s[0:3], 0 offset:204
	buffer_load_dword v1, off, s[0:3], 0 offset:200
	;; [unrolled: 1-line block ×4, first 2 shown]
	s_waitcnt vmcnt(2) lgkmcnt(0)
	v_mul_f64 v[13:14], v[7:8], v[1:2]
	v_mul_f64 v[1:2], v[5:6], v[1:2]
	s_waitcnt vmcnt(0)
	v_fma_f64 v[5:6], v[5:6], v[3:4], -v[13:14]
	v_fma_f64 v[1:2], v[7:8], v[3:4], v[1:2]
	v_add_f64 v[3:4], v[9:10], -v[5:6]
	v_add_f64 v[1:2], v[11:12], -v[1:2]
	s_clause 0x3
	buffer_load_dword v5, v19, s[0:3], 0 offen offset:32
	buffer_load_dword v6, v19, s[0:3], 0 offen offset:36
	;; [unrolled: 1-line block ×4, first 2 shown]
	buffer_store_dword v4, v19, s[0:3], 0 offen offset:20
	buffer_store_dword v3, v19, s[0:3], 0 offen offset:16
	;; [unrolled: 1-line block ×4, first 2 shown]
	s_clause 0x3
	buffer_load_dword v9, off, s[0:3], 0 offset:200
	buffer_load_dword v10, off, s[0:3], 0 offset:204
	;; [unrolled: 1-line block ×4, first 2 shown]
	ds_read2_b64 v[1:4], v20 offset0:4 offset1:5
	s_waitcnt vmcnt(2) lgkmcnt(0)
	v_mul_f64 v[13:14], v[3:4], v[9:10]
	v_mul_f64 v[9:10], v[1:2], v[9:10]
	s_waitcnt vmcnt(0)
	v_fma_f64 v[1:2], v[1:2], v[11:12], -v[13:14]
	v_fma_f64 v[3:4], v[3:4], v[11:12], v[9:10]
	v_add_f64 v[1:2], v[5:6], -v[1:2]
	v_add_f64 v[3:4], v[7:8], -v[3:4]
	buffer_store_dword v2, v19, s[0:3], 0 offen offset:36
	buffer_store_dword v1, v19, s[0:3], 0 offen offset:32
	;; [unrolled: 1-line block ×4, first 2 shown]
	s_cbranch_scc1 .LBB127_168
.LBB127_169:
	s_or_b32 exec_lo, exec_lo, s5
	s_mov_b32 s6, exec_lo
	s_waitcnt lgkmcnt(0)
	s_waitcnt_vscnt null, 0x0
	s_barrier
	buffer_gl0_inv
	v_cmpx_eq_u32_e32 13, v0
	s_cbranch_execz .LBB127_178
; %bb.170:
	v_mov_b32_e32 v4, s66
	s_movk_i32 s5, 0xe0
	s_clause 0x3
	buffer_load_dword v1, v4, s[0:3], 0 offen
	buffer_load_dword v2, v4, s[0:3], 0 offen offset:4
	buffer_load_dword v3, v4, s[0:3], 0 offen offset:8
	buffer_load_dword v4, v4, s[0:3], 0 offen offset:12
	s_waitcnt vmcnt(0)
	ds_write2_b64 v23, v[1:2], v[3:4] offset1:1
.LBB127_171:                            ; =>This Inner Loop Header: Depth=1
	v_mov_b32_e32 v25, s5
	s_clause 0x27
	buffer_load_dword v1, v25, s[0:3], 0 offen
	buffer_load_dword v2, v25, s[0:3], 0 offen offset:4
	buffer_load_dword v3, v25, s[0:3], 0 offen offset:8
	;; [unrolled: 1-line block ×39, first 2 shown]
	v_add_nc_u32_e32 v25, s5, v24
	s_addk_i32 s5, 0xa0
	s_waitcnt vmcnt(36)
	ds_write2_b64 v25, v[1:2], v[3:4] offset1:1
	s_waitcnt vmcnt(32)
	ds_write2_b64 v25, v[5:6], v[7:8] offset0:2 offset1:3
	s_waitcnt vmcnt(28)
	ds_write2_b64 v25, v[9:10], v[11:12] offset0:4 offset1:5
	;; [unrolled: 2-line block ×4, first 2 shown]
	ds_write2_b64 v25, v[21:22], v[19:20] offset0:10 offset1:11
	s_waitcnt vmcnt(8)
	ds_write2_b64 v25, v[61:62], v[55:56] offset0:12 offset1:13
	ds_write2_b64 v25, v[59:60], v[57:58] offset0:14 offset1:15
	s_waitcnt vmcnt(4)
	ds_write2_b64 v25, v[63:64], v[65:66] offset0:16 offset1:17
	s_waitcnt vmcnt(0)
	ds_write2_b64 v25, v[67:68], v[69:70] offset0:18 offset1:19
	s_cmpk_lg_i32 s5, 0x400
	s_cbranch_scc1 .LBB127_171
; %bb.172:
	ds_read2_b64 v[1:4], v23 offset1:1
	s_waitcnt lgkmcnt(0)
	v_cmp_neq_f64_e32 vcc_lo, 0, v[1:2]
	v_cmp_neq_f64_e64 s5, 0, v[3:4]
	s_or_b32 s5, vcc_lo, s5
	s_and_b32 exec_lo, exec_lo, s5
	s_cbranch_execz .LBB127_178
; %bb.173:
	v_cmp_ngt_f64_e64 s5, |v[1:2]|, |v[3:4]|
                                        ; implicit-def: $vgpr5_vgpr6
	s_and_saveexec_b32 s7, s5
	s_xor_b32 s5, exec_lo, s7
                                        ; implicit-def: $vgpr7_vgpr8
	s_cbranch_execz .LBB127_175
; %bb.174:
	v_div_scale_f64 v[5:6], null, v[3:4], v[3:4], v[1:2]
	v_div_scale_f64 v[11:12], vcc_lo, v[1:2], v[3:4], v[1:2]
	v_rcp_f64_e32 v[7:8], v[5:6]
	v_fma_f64 v[9:10], -v[5:6], v[7:8], 1.0
	v_fma_f64 v[7:8], v[7:8], v[9:10], v[7:8]
	v_fma_f64 v[9:10], -v[5:6], v[7:8], 1.0
	v_fma_f64 v[7:8], v[7:8], v[9:10], v[7:8]
	v_mul_f64 v[9:10], v[11:12], v[7:8]
	v_fma_f64 v[5:6], -v[5:6], v[9:10], v[11:12]
	v_div_fmas_f64 v[5:6], v[5:6], v[7:8], v[9:10]
	v_div_fixup_f64 v[5:6], v[5:6], v[3:4], v[1:2]
	v_fma_f64 v[1:2], v[1:2], v[5:6], v[3:4]
	v_div_scale_f64 v[3:4], null, v[1:2], v[1:2], 1.0
	v_rcp_f64_e32 v[7:8], v[3:4]
	v_fma_f64 v[9:10], -v[3:4], v[7:8], 1.0
	v_fma_f64 v[7:8], v[7:8], v[9:10], v[7:8]
	v_fma_f64 v[9:10], -v[3:4], v[7:8], 1.0
	v_fma_f64 v[7:8], v[7:8], v[9:10], v[7:8]
	v_div_scale_f64 v[9:10], vcc_lo, 1.0, v[1:2], 1.0
	v_mul_f64 v[11:12], v[9:10], v[7:8]
	v_fma_f64 v[3:4], -v[3:4], v[11:12], v[9:10]
	v_div_fmas_f64 v[3:4], v[3:4], v[7:8], v[11:12]
	v_div_fixup_f64 v[7:8], v[3:4], v[1:2], 1.0
                                        ; implicit-def: $vgpr1_vgpr2
	v_mul_f64 v[5:6], v[5:6], v[7:8]
	v_xor_b32_e32 v8, 0x80000000, v8
.LBB127_175:
	s_andn2_saveexec_b32 s5, s5
	s_cbranch_execz .LBB127_177
; %bb.176:
	v_div_scale_f64 v[5:6], null, v[1:2], v[1:2], v[3:4]
	v_div_scale_f64 v[11:12], vcc_lo, v[3:4], v[1:2], v[3:4]
	v_rcp_f64_e32 v[7:8], v[5:6]
	v_fma_f64 v[9:10], -v[5:6], v[7:8], 1.0
	v_fma_f64 v[7:8], v[7:8], v[9:10], v[7:8]
	v_fma_f64 v[9:10], -v[5:6], v[7:8], 1.0
	v_fma_f64 v[7:8], v[7:8], v[9:10], v[7:8]
	v_mul_f64 v[9:10], v[11:12], v[7:8]
	v_fma_f64 v[5:6], -v[5:6], v[9:10], v[11:12]
	v_div_fmas_f64 v[5:6], v[5:6], v[7:8], v[9:10]
	v_div_fixup_f64 v[7:8], v[5:6], v[1:2], v[3:4]
	v_fma_f64 v[1:2], v[3:4], v[7:8], v[1:2]
	v_div_scale_f64 v[3:4], null, v[1:2], v[1:2], 1.0
	v_rcp_f64_e32 v[5:6], v[3:4]
	v_fma_f64 v[9:10], -v[3:4], v[5:6], 1.0
	v_fma_f64 v[5:6], v[5:6], v[9:10], v[5:6]
	v_fma_f64 v[9:10], -v[3:4], v[5:6], 1.0
	v_fma_f64 v[5:6], v[5:6], v[9:10], v[5:6]
	v_div_scale_f64 v[9:10], vcc_lo, 1.0, v[1:2], 1.0
	v_mul_f64 v[11:12], v[9:10], v[5:6]
	v_fma_f64 v[3:4], -v[3:4], v[11:12], v[9:10]
	v_div_fmas_f64 v[3:4], v[3:4], v[5:6], v[11:12]
	v_div_fixup_f64 v[5:6], v[3:4], v[1:2], 1.0
	v_mul_f64 v[7:8], v[7:8], -v[5:6]
.LBB127_177:
	s_or_b32 exec_lo, exec_lo, s5
	ds_write2_b64 v23, v[5:6], v[7:8] offset1:1
.LBB127_178:
	s_or_b32 exec_lo, exec_lo, s6
	s_waitcnt lgkmcnt(0)
	s_barrier
	buffer_gl0_inv
	ds_read2_b64 v[53:56], v23 offset1:1
	s_mov_b32 s5, exec_lo
	v_cmpx_lt_u32_e32 13, v0
	s_cbranch_execz .LBB127_181
; %bb.179:
	s_clause 0x3
	buffer_load_dword v1, off, s[0:3], 0 offset:216
	buffer_load_dword v2, off, s[0:3], 0 offset:220
	;; [unrolled: 1-line block ×4, first 2 shown]
	s_movk_i32 s6, 0xe0
	s_waitcnt vmcnt(2) lgkmcnt(0)
	v_mul_f64 v[5:6], v[55:56], v[1:2]
	v_mul_f64 v[1:2], v[53:54], v[1:2]
	s_waitcnt vmcnt(0)
	v_fma_f64 v[5:6], v[53:54], v[3:4], -v[5:6]
	v_fma_f64 v[1:2], v[55:56], v[3:4], v[1:2]
	buffer_store_dword v5, off, s[0:3], 0 offset:208
	buffer_store_dword v6, off, s[0:3], 0 offset:212
	;; [unrolled: 1-line block ×4, first 2 shown]
.LBB127_180:                            ; =>This Inner Loop Header: Depth=1
	s_clause 0x3
	buffer_load_dword v9, off, s[0:3], 0 offset:216
	buffer_load_dword v10, off, s[0:3], 0 offset:220
	;; [unrolled: 1-line block ×4, first 2 shown]
	v_mov_b32_e32 v19, s6
	v_add_nc_u32_e32 v20, s6, v24
	s_addk_i32 s6, 0x50
	s_clause 0x3
	buffer_load_dword v13, v19, s[0:3], 0 offen
	buffer_load_dword v14, v19, s[0:3], 0 offen offset:4
	buffer_load_dword v15, v19, s[0:3], 0 offen offset:8
	buffer_load_dword v16, v19, s[0:3], 0 offen offset:12
	ds_read2_b64 v[1:4], v20 offset1:1
	ds_read2_b64 v[5:8], v20 offset0:2 offset1:3
	s_cmpk_lg_i32 s6, 0x400
	s_waitcnt vmcnt(6) lgkmcnt(1)
	v_mul_f64 v[17:18], v[3:4], v[9:10]
	v_mul_f64 v[9:10], v[1:2], v[9:10]
	s_waitcnt vmcnt(4)
	v_fma_f64 v[1:2], v[1:2], v[11:12], -v[17:18]
	v_fma_f64 v[3:4], v[3:4], v[11:12], v[9:10]
	s_clause 0x3
	buffer_load_dword v9, v19, s[0:3], 0 offen offset:16
	buffer_load_dword v10, v19, s[0:3], 0 offen offset:20
	;; [unrolled: 1-line block ×4, first 2 shown]
	s_waitcnt vmcnt(6)
	v_add_f64 v[1:2], v[13:14], -v[1:2]
	s_waitcnt vmcnt(4)
	v_add_f64 v[3:4], v[15:16], -v[3:4]
	buffer_store_dword v2, v19, s[0:3], 0 offen offset:4
	buffer_store_dword v1, v19, s[0:3], 0 offen
	buffer_store_dword v4, v19, s[0:3], 0 offen offset:12
	buffer_store_dword v3, v19, s[0:3], 0 offen offset:8
	s_clause 0x3
	buffer_load_dword v2, off, s[0:3], 0 offset:220
	buffer_load_dword v1, off, s[0:3], 0 offset:216
	;; [unrolled: 1-line block ×4, first 2 shown]
	s_waitcnt vmcnt(2) lgkmcnt(0)
	v_mul_f64 v[13:14], v[7:8], v[1:2]
	v_mul_f64 v[1:2], v[5:6], v[1:2]
	s_waitcnt vmcnt(0)
	v_fma_f64 v[5:6], v[5:6], v[3:4], -v[13:14]
	v_fma_f64 v[1:2], v[7:8], v[3:4], v[1:2]
	v_add_f64 v[3:4], v[9:10], -v[5:6]
	v_add_f64 v[1:2], v[11:12], -v[1:2]
	s_clause 0x3
	buffer_load_dword v9, v19, s[0:3], 0 offen offset:32
	buffer_load_dword v10, v19, s[0:3], 0 offen offset:36
	buffer_load_dword v11, v19, s[0:3], 0 offen offset:40
	buffer_load_dword v12, v19, s[0:3], 0 offen offset:44
	buffer_store_dword v4, v19, s[0:3], 0 offen offset:20
	buffer_store_dword v3, v19, s[0:3], 0 offen offset:16
	;; [unrolled: 1-line block ×4, first 2 shown]
	s_clause 0x3
	buffer_load_dword v13, off, s[0:3], 0 offset:216
	buffer_load_dword v14, off, s[0:3], 0 offset:220
	;; [unrolled: 1-line block ×4, first 2 shown]
	ds_read2_b64 v[1:4], v20 offset0:4 offset1:5
	ds_read2_b64 v[5:8], v20 offset0:6 offset1:7
	s_waitcnt vmcnt(2) lgkmcnt(1)
	v_mul_f64 v[17:18], v[3:4], v[13:14]
	v_mul_f64 v[13:14], v[1:2], v[13:14]
	s_waitcnt vmcnt(0)
	v_fma_f64 v[1:2], v[1:2], v[15:16], -v[17:18]
	v_fma_f64 v[3:4], v[3:4], v[15:16], v[13:14]
	v_add_f64 v[1:2], v[9:10], -v[1:2]
	v_add_f64 v[3:4], v[11:12], -v[3:4]
	buffer_store_dword v2, v19, s[0:3], 0 offen offset:36
	buffer_store_dword v1, v19, s[0:3], 0 offen offset:32
	;; [unrolled: 1-line block ×4, first 2 shown]
	s_clause 0x7
	buffer_load_dword v1, off, s[0:3], 0 offset:216
	buffer_load_dword v2, off, s[0:3], 0 offset:220
	;; [unrolled: 1-line block ×4, first 2 shown]
	buffer_load_dword v9, v19, s[0:3], 0 offen offset:48
	buffer_load_dword v10, v19, s[0:3], 0 offen offset:52
	;; [unrolled: 1-line block ×4, first 2 shown]
	s_waitcnt vmcnt(6) lgkmcnt(0)
	v_mul_f64 v[13:14], v[7:8], v[1:2]
	v_mul_f64 v[1:2], v[5:6], v[1:2]
	s_waitcnt vmcnt(4)
	v_fma_f64 v[5:6], v[5:6], v[3:4], -v[13:14]
	v_fma_f64 v[1:2], v[7:8], v[3:4], v[1:2]
	s_waitcnt vmcnt(2)
	v_add_f64 v[3:4], v[9:10], -v[5:6]
	s_waitcnt vmcnt(0)
	v_add_f64 v[1:2], v[11:12], -v[1:2]
	buffer_store_dword v4, v19, s[0:3], 0 offen offset:52
	buffer_store_dword v3, v19, s[0:3], 0 offen offset:48
	;; [unrolled: 1-line block ×4, first 2 shown]
	s_clause 0x7
	buffer_load_dword v5, off, s[0:3], 0 offset:216
	buffer_load_dword v6, off, s[0:3], 0 offset:220
	;; [unrolled: 1-line block ×4, first 2 shown]
	buffer_load_dword v9, v19, s[0:3], 0 offen offset:64
	buffer_load_dword v10, v19, s[0:3], 0 offen offset:68
	;; [unrolled: 1-line block ×4, first 2 shown]
	ds_read2_b64 v[1:4], v20 offset0:8 offset1:9
	s_waitcnt vmcnt(6) lgkmcnt(0)
	v_mul_f64 v[13:14], v[3:4], v[5:6]
	v_mul_f64 v[5:6], v[1:2], v[5:6]
	s_waitcnt vmcnt(4)
	v_fma_f64 v[1:2], v[1:2], v[7:8], -v[13:14]
	v_fma_f64 v[3:4], v[3:4], v[7:8], v[5:6]
	s_waitcnt vmcnt(2)
	v_add_f64 v[1:2], v[9:10], -v[1:2]
	s_waitcnt vmcnt(0)
	v_add_f64 v[3:4], v[11:12], -v[3:4]
	buffer_store_dword v2, v19, s[0:3], 0 offen offset:68
	buffer_store_dword v1, v19, s[0:3], 0 offen offset:64
	;; [unrolled: 1-line block ×4, first 2 shown]
	s_cbranch_scc1 .LBB127_180
.LBB127_181:
	s_or_b32 exec_lo, exec_lo, s5
	s_mov_b32 s6, exec_lo
	s_waitcnt lgkmcnt(0)
	s_waitcnt_vscnt null, 0x0
	s_barrier
	buffer_gl0_inv
	v_cmpx_eq_u32_e32 14, v0
	s_cbranch_execz .LBB127_190
; %bb.182:
	v_mov_b32_e32 v4, s65
	s_movk_i32 s5, 0xf0
	s_clause 0x3
	buffer_load_dword v1, v4, s[0:3], 0 offen
	buffer_load_dword v2, v4, s[0:3], 0 offen offset:4
	buffer_load_dword v3, v4, s[0:3], 0 offen offset:8
	;; [unrolled: 1-line block ×3, first 2 shown]
	s_waitcnt vmcnt(0)
	ds_write2_b64 v23, v[1:2], v[3:4] offset1:1
.LBB127_183:                            ; =>This Inner Loop Header: Depth=1
	v_mov_b32_e32 v25, s5
	s_clause 0x1b
	buffer_load_dword v1, v25, s[0:3], 0 offen
	buffer_load_dword v2, v25, s[0:3], 0 offen offset:4
	buffer_load_dword v3, v25, s[0:3], 0 offen offset:8
	;; [unrolled: 1-line block ×27, first 2 shown]
	v_add_nc_u32_e32 v25, s5, v24
	s_addk_i32 s5, 0x70
	s_waitcnt vmcnt(24)
	ds_write2_b64 v25, v[1:2], v[3:4] offset1:1
	s_waitcnt vmcnt(20)
	ds_write2_b64 v25, v[5:6], v[7:8] offset0:2 offset1:3
	s_waitcnt vmcnt(16)
	ds_write2_b64 v25, v[9:10], v[11:12] offset0:4 offset1:5
	;; [unrolled: 2-line block ×4, first 2 shown]
	ds_write2_b64 v25, v[21:22], v[19:20] offset0:10 offset1:11
	s_waitcnt vmcnt(0)
	ds_write2_b64 v25, v[61:62], v[59:60] offset0:12 offset1:13
	s_cmpk_lg_i32 s5, 0x400
	s_cbranch_scc1 .LBB127_183
; %bb.184:
	ds_read2_b64 v[1:4], v23 offset1:1
	s_waitcnt lgkmcnt(0)
	v_cmp_neq_f64_e32 vcc_lo, 0, v[1:2]
	v_cmp_neq_f64_e64 s5, 0, v[3:4]
	s_or_b32 s5, vcc_lo, s5
	s_and_b32 exec_lo, exec_lo, s5
	s_cbranch_execz .LBB127_190
; %bb.185:
	v_cmp_ngt_f64_e64 s5, |v[1:2]|, |v[3:4]|
                                        ; implicit-def: $vgpr5_vgpr6
	s_and_saveexec_b32 s7, s5
	s_xor_b32 s5, exec_lo, s7
                                        ; implicit-def: $vgpr7_vgpr8
	s_cbranch_execz .LBB127_187
; %bb.186:
	v_div_scale_f64 v[5:6], null, v[3:4], v[3:4], v[1:2]
	v_div_scale_f64 v[11:12], vcc_lo, v[1:2], v[3:4], v[1:2]
	v_rcp_f64_e32 v[7:8], v[5:6]
	v_fma_f64 v[9:10], -v[5:6], v[7:8], 1.0
	v_fma_f64 v[7:8], v[7:8], v[9:10], v[7:8]
	v_fma_f64 v[9:10], -v[5:6], v[7:8], 1.0
	v_fma_f64 v[7:8], v[7:8], v[9:10], v[7:8]
	v_mul_f64 v[9:10], v[11:12], v[7:8]
	v_fma_f64 v[5:6], -v[5:6], v[9:10], v[11:12]
	v_div_fmas_f64 v[5:6], v[5:6], v[7:8], v[9:10]
	v_div_fixup_f64 v[5:6], v[5:6], v[3:4], v[1:2]
	v_fma_f64 v[1:2], v[1:2], v[5:6], v[3:4]
	v_div_scale_f64 v[3:4], null, v[1:2], v[1:2], 1.0
	v_rcp_f64_e32 v[7:8], v[3:4]
	v_fma_f64 v[9:10], -v[3:4], v[7:8], 1.0
	v_fma_f64 v[7:8], v[7:8], v[9:10], v[7:8]
	v_fma_f64 v[9:10], -v[3:4], v[7:8], 1.0
	v_fma_f64 v[7:8], v[7:8], v[9:10], v[7:8]
	v_div_scale_f64 v[9:10], vcc_lo, 1.0, v[1:2], 1.0
	v_mul_f64 v[11:12], v[9:10], v[7:8]
	v_fma_f64 v[3:4], -v[3:4], v[11:12], v[9:10]
	v_div_fmas_f64 v[3:4], v[3:4], v[7:8], v[11:12]
	v_div_fixup_f64 v[7:8], v[3:4], v[1:2], 1.0
                                        ; implicit-def: $vgpr1_vgpr2
	v_mul_f64 v[5:6], v[5:6], v[7:8]
	v_xor_b32_e32 v8, 0x80000000, v8
.LBB127_187:
	s_andn2_saveexec_b32 s5, s5
	s_cbranch_execz .LBB127_189
; %bb.188:
	v_div_scale_f64 v[5:6], null, v[1:2], v[1:2], v[3:4]
	v_div_scale_f64 v[11:12], vcc_lo, v[3:4], v[1:2], v[3:4]
	v_rcp_f64_e32 v[7:8], v[5:6]
	v_fma_f64 v[9:10], -v[5:6], v[7:8], 1.0
	v_fma_f64 v[7:8], v[7:8], v[9:10], v[7:8]
	v_fma_f64 v[9:10], -v[5:6], v[7:8], 1.0
	v_fma_f64 v[7:8], v[7:8], v[9:10], v[7:8]
	v_mul_f64 v[9:10], v[11:12], v[7:8]
	v_fma_f64 v[5:6], -v[5:6], v[9:10], v[11:12]
	v_div_fmas_f64 v[5:6], v[5:6], v[7:8], v[9:10]
	v_div_fixup_f64 v[7:8], v[5:6], v[1:2], v[3:4]
	v_fma_f64 v[1:2], v[3:4], v[7:8], v[1:2]
	v_div_scale_f64 v[3:4], null, v[1:2], v[1:2], 1.0
	v_rcp_f64_e32 v[5:6], v[3:4]
	v_fma_f64 v[9:10], -v[3:4], v[5:6], 1.0
	v_fma_f64 v[5:6], v[5:6], v[9:10], v[5:6]
	v_fma_f64 v[9:10], -v[3:4], v[5:6], 1.0
	v_fma_f64 v[5:6], v[5:6], v[9:10], v[5:6]
	v_div_scale_f64 v[9:10], vcc_lo, 1.0, v[1:2], 1.0
	v_mul_f64 v[11:12], v[9:10], v[5:6]
	v_fma_f64 v[3:4], -v[3:4], v[11:12], v[9:10]
	v_div_fmas_f64 v[3:4], v[3:4], v[5:6], v[11:12]
	v_div_fixup_f64 v[5:6], v[3:4], v[1:2], 1.0
	v_mul_f64 v[7:8], v[7:8], -v[5:6]
.LBB127_189:
	s_or_b32 exec_lo, exec_lo, s5
	ds_write2_b64 v23, v[5:6], v[7:8] offset1:1
.LBB127_190:
	s_or_b32 exec_lo, exec_lo, s6
	s_waitcnt lgkmcnt(0)
	s_barrier
	buffer_gl0_inv
	ds_read2_b64 v[57:60], v23 offset1:1
	s_mov_b32 s5, exec_lo
	v_cmpx_lt_u32_e32 14, v0
	s_cbranch_execz .LBB127_193
; %bb.191:
	s_clause 0x3
	buffer_load_dword v1, off, s[0:3], 0 offset:232
	buffer_load_dword v2, off, s[0:3], 0 offset:236
	;; [unrolled: 1-line block ×4, first 2 shown]
	s_movk_i32 s6, 0xf0
	s_waitcnt vmcnt(2) lgkmcnt(0)
	v_mul_f64 v[5:6], v[59:60], v[1:2]
	v_mul_f64 v[1:2], v[57:58], v[1:2]
	s_waitcnt vmcnt(0)
	v_fma_f64 v[5:6], v[57:58], v[3:4], -v[5:6]
	v_fma_f64 v[1:2], v[59:60], v[3:4], v[1:2]
	buffer_store_dword v5, off, s[0:3], 0 offset:224
	buffer_store_dword v6, off, s[0:3], 0 offset:228
	;; [unrolled: 1-line block ×4, first 2 shown]
.LBB127_192:                            ; =>This Inner Loop Header: Depth=1
	s_clause 0x3
	buffer_load_dword v9, off, s[0:3], 0 offset:232
	buffer_load_dword v10, off, s[0:3], 0 offset:236
	buffer_load_dword v11, off, s[0:3], 0 offset:224
	buffer_load_dword v12, off, s[0:3], 0 offset:228
	v_mov_b32_e32 v25, s6
	v_add_nc_u32_e32 v26, s6, v24
	s_addk_i32 s6, 0x70
	s_clause 0x3
	buffer_load_dword v13, v25, s[0:3], 0 offen
	buffer_load_dword v14, v25, s[0:3], 0 offen offset:4
	buffer_load_dword v15, v25, s[0:3], 0 offen offset:8
	;; [unrolled: 1-line block ×3, first 2 shown]
	ds_read2_b64 v[1:4], v26 offset1:1
	s_clause 0x3
	buffer_load_dword v17, v25, s[0:3], 0 offen offset:16
	buffer_load_dword v18, v25, s[0:3], 0 offen offset:20
	;; [unrolled: 1-line block ×4, first 2 shown]
	ds_read2_b64 v[5:8], v26 offset0:2 offset1:3
	s_cmpk_lg_i32 s6, 0x400
	s_waitcnt vmcnt(10) lgkmcnt(1)
	v_mul_f64 v[21:22], v[3:4], v[9:10]
	v_mul_f64 v[9:10], v[1:2], v[9:10]
	s_waitcnt vmcnt(8)
	v_fma_f64 v[1:2], v[1:2], v[11:12], -v[21:22]
	v_fma_f64 v[3:4], v[3:4], v[11:12], v[9:10]
	s_waitcnt vmcnt(6)
	v_add_f64 v[1:2], v[13:14], -v[1:2]
	s_waitcnt vmcnt(4)
	v_add_f64 v[3:4], v[15:16], -v[3:4]
	buffer_store_dword v2, v25, s[0:3], 0 offen offset:4
	buffer_store_dword v1, v25, s[0:3], 0 offen
	buffer_store_dword v4, v25, s[0:3], 0 offen offset:12
	buffer_store_dword v3, v25, s[0:3], 0 offen offset:8
	s_clause 0x7
	buffer_load_dword v2, off, s[0:3], 0 offset:236
	buffer_load_dword v1, off, s[0:3], 0 offset:232
	;; [unrolled: 1-line block ×4, first 2 shown]
	buffer_load_dword v9, v25, s[0:3], 0 offen offset:32
	buffer_load_dword v10, v25, s[0:3], 0 offen offset:36
	;; [unrolled: 1-line block ×4, first 2 shown]
	s_waitcnt vmcnt(6) lgkmcnt(0)
	v_mul_f64 v[13:14], v[7:8], v[1:2]
	v_mul_f64 v[1:2], v[5:6], v[1:2]
	s_waitcnt vmcnt(4)
	v_fma_f64 v[5:6], v[5:6], v[3:4], -v[13:14]
	v_fma_f64 v[1:2], v[7:8], v[3:4], v[1:2]
	v_add_f64 v[3:4], v[17:18], -v[5:6]
	v_add_f64 v[1:2], v[19:20], -v[1:2]
	buffer_store_dword v4, v25, s[0:3], 0 offen offset:20
	buffer_store_dword v3, v25, s[0:3], 0 offen offset:16
	;; [unrolled: 1-line block ×4, first 2 shown]
	s_clause 0x3
	buffer_load_dword v13, off, s[0:3], 0 offset:232
	buffer_load_dword v14, off, s[0:3], 0 offset:236
	;; [unrolled: 1-line block ×4, first 2 shown]
	ds_read2_b64 v[1:4], v26 offset0:4 offset1:5
	ds_read2_b64 v[5:8], v26 offset0:6 offset1:7
	s_waitcnt vmcnt(2) lgkmcnt(1)
	v_mul_f64 v[17:18], v[3:4], v[13:14]
	v_mul_f64 v[13:14], v[1:2], v[13:14]
	s_waitcnt vmcnt(0)
	v_fma_f64 v[1:2], v[1:2], v[15:16], -v[17:18]
	v_fma_f64 v[3:4], v[3:4], v[15:16], v[13:14]
	v_add_f64 v[1:2], v[9:10], -v[1:2]
	v_add_f64 v[3:4], v[11:12], -v[3:4]
	buffer_store_dword v2, v25, s[0:3], 0 offen offset:36
	buffer_store_dword v1, v25, s[0:3], 0 offen offset:32
	;; [unrolled: 1-line block ×4, first 2 shown]
	s_clause 0x7
	buffer_load_dword v1, off, s[0:3], 0 offset:232
	buffer_load_dword v2, off, s[0:3], 0 offset:236
	;; [unrolled: 1-line block ×4, first 2 shown]
	buffer_load_dword v9, v25, s[0:3], 0 offen offset:48
	buffer_load_dword v10, v25, s[0:3], 0 offen offset:52
	;; [unrolled: 1-line block ×4, first 2 shown]
	s_waitcnt vmcnt(6) lgkmcnt(0)
	v_mul_f64 v[13:14], v[7:8], v[1:2]
	v_mul_f64 v[1:2], v[5:6], v[1:2]
	s_waitcnt vmcnt(4)
	v_fma_f64 v[5:6], v[5:6], v[3:4], -v[13:14]
	v_fma_f64 v[1:2], v[7:8], v[3:4], v[1:2]
	s_waitcnt vmcnt(2)
	v_add_f64 v[3:4], v[9:10], -v[5:6]
	s_waitcnt vmcnt(0)
	v_add_f64 v[1:2], v[11:12], -v[1:2]
	buffer_store_dword v4, v25, s[0:3], 0 offen offset:52
	buffer_store_dword v3, v25, s[0:3], 0 offen offset:48
	;; [unrolled: 1-line block ×4, first 2 shown]
	s_clause 0x7
	buffer_load_dword v9, off, s[0:3], 0 offset:232
	buffer_load_dword v10, off, s[0:3], 0 offset:236
	;; [unrolled: 1-line block ×4, first 2 shown]
	buffer_load_dword v13, v25, s[0:3], 0 offen offset:64
	buffer_load_dword v14, v25, s[0:3], 0 offen offset:68
	;; [unrolled: 1-line block ×4, first 2 shown]
	ds_read2_b64 v[1:4], v26 offset0:8 offset1:9
	ds_read2_b64 v[5:8], v26 offset0:10 offset1:11
	s_waitcnt vmcnt(6) lgkmcnt(1)
	v_mul_f64 v[17:18], v[3:4], v[9:10]
	v_mul_f64 v[9:10], v[1:2], v[9:10]
	s_waitcnt vmcnt(4)
	v_fma_f64 v[1:2], v[1:2], v[11:12], -v[17:18]
	v_fma_f64 v[3:4], v[3:4], v[11:12], v[9:10]
	s_waitcnt vmcnt(2)
	v_add_f64 v[1:2], v[13:14], -v[1:2]
	s_waitcnt vmcnt(0)
	v_add_f64 v[3:4], v[15:16], -v[3:4]
	buffer_store_dword v2, v25, s[0:3], 0 offen offset:68
	buffer_store_dword v1, v25, s[0:3], 0 offen offset:64
	;; [unrolled: 1-line block ×4, first 2 shown]
	s_clause 0x7
	buffer_load_dword v1, off, s[0:3], 0 offset:232
	buffer_load_dword v2, off, s[0:3], 0 offset:236
	;; [unrolled: 1-line block ×4, first 2 shown]
	buffer_load_dword v9, v25, s[0:3], 0 offen offset:80
	buffer_load_dword v10, v25, s[0:3], 0 offen offset:84
	;; [unrolled: 1-line block ×4, first 2 shown]
	s_waitcnt vmcnt(6) lgkmcnt(0)
	v_mul_f64 v[13:14], v[7:8], v[1:2]
	v_mul_f64 v[1:2], v[5:6], v[1:2]
	s_waitcnt vmcnt(4)
	v_fma_f64 v[5:6], v[5:6], v[3:4], -v[13:14]
	v_fma_f64 v[1:2], v[7:8], v[3:4], v[1:2]
	s_waitcnt vmcnt(2)
	v_add_f64 v[3:4], v[9:10], -v[5:6]
	s_waitcnt vmcnt(0)
	v_add_f64 v[1:2], v[11:12], -v[1:2]
	buffer_store_dword v4, v25, s[0:3], 0 offen offset:84
	buffer_store_dword v3, v25, s[0:3], 0 offen offset:80
	;; [unrolled: 1-line block ×4, first 2 shown]
	s_clause 0x7
	buffer_load_dword v5, off, s[0:3], 0 offset:232
	buffer_load_dword v6, off, s[0:3], 0 offset:236
	;; [unrolled: 1-line block ×4, first 2 shown]
	buffer_load_dword v9, v25, s[0:3], 0 offen offset:96
	buffer_load_dword v10, v25, s[0:3], 0 offen offset:100
	;; [unrolled: 1-line block ×4, first 2 shown]
	ds_read2_b64 v[1:4], v26 offset0:12 offset1:13
	s_waitcnt vmcnt(6) lgkmcnt(0)
	v_mul_f64 v[13:14], v[3:4], v[5:6]
	v_mul_f64 v[5:6], v[1:2], v[5:6]
	s_waitcnt vmcnt(4)
	v_fma_f64 v[1:2], v[1:2], v[7:8], -v[13:14]
	v_fma_f64 v[3:4], v[3:4], v[7:8], v[5:6]
	s_waitcnt vmcnt(2)
	v_add_f64 v[1:2], v[9:10], -v[1:2]
	s_waitcnt vmcnt(0)
	v_add_f64 v[3:4], v[11:12], -v[3:4]
	buffer_store_dword v2, v25, s[0:3], 0 offen offset:100
	buffer_store_dword v1, v25, s[0:3], 0 offen offset:96
	;; [unrolled: 1-line block ×4, first 2 shown]
	s_cbranch_scc1 .LBB127_192
.LBB127_193:
	s_or_b32 exec_lo, exec_lo, s5
	s_mov_b32 s6, exec_lo
	s_waitcnt lgkmcnt(0)
	s_waitcnt_vscnt null, 0x0
	s_barrier
	buffer_gl0_inv
	v_cmpx_eq_u32_e32 15, v0
	s_cbranch_execz .LBB127_202
; %bb.194:
	v_mov_b32_e32 v4, s64
	s_movk_i32 s5, 0x100
	s_clause 0x3
	buffer_load_dword v1, v4, s[0:3], 0 offen
	buffer_load_dword v2, v4, s[0:3], 0 offen offset:4
	buffer_load_dword v3, v4, s[0:3], 0 offen offset:8
	;; [unrolled: 1-line block ×3, first 2 shown]
	s_waitcnt vmcnt(0)
	ds_write2_b64 v23, v[1:2], v[3:4] offset1:1
.LBB127_195:                            ; =>This Inner Loop Header: Depth=1
	v_mov_b32_e32 v17, s5
	v_add_nc_u32_e32 v18, s5, v24
	s_addk_i32 s5, 0x100
	s_clause 0xf
	buffer_load_dword v1, v17, s[0:3], 0 offen
	buffer_load_dword v2, v17, s[0:3], 0 offen offset:4
	buffer_load_dword v3, v17, s[0:3], 0 offen offset:8
	;; [unrolled: 1-line block ×15, first 2 shown]
	s_cmpk_lg_i32 s5, 0x400
	s_waitcnt vmcnt(12)
	ds_write2_b64 v18, v[1:2], v[3:4] offset1:1
	s_waitcnt vmcnt(8)
	ds_write2_b64 v18, v[5:6], v[7:8] offset0:2 offset1:3
	s_waitcnt vmcnt(4)
	ds_write2_b64 v18, v[9:10], v[11:12] offset0:4 offset1:5
	;; [unrolled: 2-line block ×3, first 2 shown]
	s_clause 0x3
	buffer_load_dword v2, v17, s[0:3], 0 offen offset:76
	buffer_load_dword v1, v17, s[0:3], 0 offen offset:72
	buffer_load_dword v4, v17, s[0:3], 0 offen offset:68
	buffer_load_dword v3, v17, s[0:3], 0 offen offset:64
	s_waitcnt vmcnt(0)
	ds_write2_b64 v18, v[3:4], v[1:2] offset0:8 offset1:9
	s_clause 0x3
	buffer_load_dword v2, v17, s[0:3], 0 offen offset:92
	buffer_load_dword v1, v17, s[0:3], 0 offen offset:88
	buffer_load_dword v4, v17, s[0:3], 0 offen offset:84
	buffer_load_dword v3, v17, s[0:3], 0 offen offset:80
	s_waitcnt vmcnt(0)
	ds_write2_b64 v18, v[3:4], v[1:2] offset0:10 offset1:11
	;; [unrolled: 7-line block ×12, first 2 shown]
	s_cbranch_scc1 .LBB127_195
; %bb.196:
	ds_read2_b64 v[1:4], v23 offset1:1
	s_waitcnt lgkmcnt(0)
	v_cmp_neq_f64_e32 vcc_lo, 0, v[1:2]
	v_cmp_neq_f64_e64 s5, 0, v[3:4]
	s_or_b32 s5, vcc_lo, s5
	s_and_b32 exec_lo, exec_lo, s5
	s_cbranch_execz .LBB127_202
; %bb.197:
	v_cmp_ngt_f64_e64 s5, |v[1:2]|, |v[3:4]|
                                        ; implicit-def: $vgpr5_vgpr6
	s_and_saveexec_b32 s7, s5
	s_xor_b32 s5, exec_lo, s7
                                        ; implicit-def: $vgpr7_vgpr8
	s_cbranch_execz .LBB127_199
; %bb.198:
	v_div_scale_f64 v[5:6], null, v[3:4], v[3:4], v[1:2]
	v_div_scale_f64 v[11:12], vcc_lo, v[1:2], v[3:4], v[1:2]
	v_rcp_f64_e32 v[7:8], v[5:6]
	v_fma_f64 v[9:10], -v[5:6], v[7:8], 1.0
	v_fma_f64 v[7:8], v[7:8], v[9:10], v[7:8]
	v_fma_f64 v[9:10], -v[5:6], v[7:8], 1.0
	v_fma_f64 v[7:8], v[7:8], v[9:10], v[7:8]
	v_mul_f64 v[9:10], v[11:12], v[7:8]
	v_fma_f64 v[5:6], -v[5:6], v[9:10], v[11:12]
	v_div_fmas_f64 v[5:6], v[5:6], v[7:8], v[9:10]
	v_div_fixup_f64 v[5:6], v[5:6], v[3:4], v[1:2]
	v_fma_f64 v[1:2], v[1:2], v[5:6], v[3:4]
	v_div_scale_f64 v[3:4], null, v[1:2], v[1:2], 1.0
	v_rcp_f64_e32 v[7:8], v[3:4]
	v_fma_f64 v[9:10], -v[3:4], v[7:8], 1.0
	v_fma_f64 v[7:8], v[7:8], v[9:10], v[7:8]
	v_fma_f64 v[9:10], -v[3:4], v[7:8], 1.0
	v_fma_f64 v[7:8], v[7:8], v[9:10], v[7:8]
	v_div_scale_f64 v[9:10], vcc_lo, 1.0, v[1:2], 1.0
	v_mul_f64 v[11:12], v[9:10], v[7:8]
	v_fma_f64 v[3:4], -v[3:4], v[11:12], v[9:10]
	v_div_fmas_f64 v[3:4], v[3:4], v[7:8], v[11:12]
	v_div_fixup_f64 v[7:8], v[3:4], v[1:2], 1.0
                                        ; implicit-def: $vgpr1_vgpr2
	v_mul_f64 v[5:6], v[5:6], v[7:8]
	v_xor_b32_e32 v8, 0x80000000, v8
.LBB127_199:
	s_andn2_saveexec_b32 s5, s5
	s_cbranch_execz .LBB127_201
; %bb.200:
	v_div_scale_f64 v[5:6], null, v[1:2], v[1:2], v[3:4]
	v_div_scale_f64 v[11:12], vcc_lo, v[3:4], v[1:2], v[3:4]
	v_rcp_f64_e32 v[7:8], v[5:6]
	v_fma_f64 v[9:10], -v[5:6], v[7:8], 1.0
	v_fma_f64 v[7:8], v[7:8], v[9:10], v[7:8]
	v_fma_f64 v[9:10], -v[5:6], v[7:8], 1.0
	v_fma_f64 v[7:8], v[7:8], v[9:10], v[7:8]
	v_mul_f64 v[9:10], v[11:12], v[7:8]
	v_fma_f64 v[5:6], -v[5:6], v[9:10], v[11:12]
	v_div_fmas_f64 v[5:6], v[5:6], v[7:8], v[9:10]
	v_div_fixup_f64 v[7:8], v[5:6], v[1:2], v[3:4]
	v_fma_f64 v[1:2], v[3:4], v[7:8], v[1:2]
	v_div_scale_f64 v[3:4], null, v[1:2], v[1:2], 1.0
	v_rcp_f64_e32 v[5:6], v[3:4]
	v_fma_f64 v[9:10], -v[3:4], v[5:6], 1.0
	v_fma_f64 v[5:6], v[5:6], v[9:10], v[5:6]
	v_fma_f64 v[9:10], -v[3:4], v[5:6], 1.0
	v_fma_f64 v[5:6], v[5:6], v[9:10], v[5:6]
	v_div_scale_f64 v[9:10], vcc_lo, 1.0, v[1:2], 1.0
	v_mul_f64 v[11:12], v[9:10], v[5:6]
	v_fma_f64 v[3:4], -v[3:4], v[11:12], v[9:10]
	v_div_fmas_f64 v[3:4], v[3:4], v[5:6], v[11:12]
	v_div_fixup_f64 v[5:6], v[3:4], v[1:2], 1.0
	v_mul_f64 v[7:8], v[7:8], -v[5:6]
.LBB127_201:
	s_or_b32 exec_lo, exec_lo, s5
	ds_write2_b64 v23, v[5:6], v[7:8] offset1:1
.LBB127_202:
	s_or_b32 exec_lo, exec_lo, s6
	s_waitcnt lgkmcnt(0)
	s_barrier
	buffer_gl0_inv
	ds_read2_b64 v[61:64], v23 offset1:1
	s_mov_b32 s5, exec_lo
	v_cmpx_lt_u32_e32 15, v0
	s_cbranch_execz .LBB127_205
; %bb.203:
	s_clause 0x3
	buffer_load_dword v1, off, s[0:3], 0 offset:248
	buffer_load_dword v2, off, s[0:3], 0 offset:252
	;; [unrolled: 1-line block ×4, first 2 shown]
	s_movk_i32 s6, 0x100
	s_waitcnt vmcnt(2) lgkmcnt(0)
	v_mul_f64 v[5:6], v[63:64], v[1:2]
	v_mul_f64 v[1:2], v[61:62], v[1:2]
	s_waitcnt vmcnt(0)
	v_fma_f64 v[5:6], v[61:62], v[3:4], -v[5:6]
	v_fma_f64 v[1:2], v[63:64], v[3:4], v[1:2]
	buffer_store_dword v5, off, s[0:3], 0 offset:240
	buffer_store_dword v6, off, s[0:3], 0 offset:244
	;; [unrolled: 1-line block ×4, first 2 shown]
.LBB127_204:                            ; =>This Inner Loop Header: Depth=1
	s_clause 0x3
	buffer_load_dword v9, off, s[0:3], 0 offset:248
	buffer_load_dword v10, off, s[0:3], 0 offset:252
	;; [unrolled: 1-line block ×4, first 2 shown]
	v_mov_b32_e32 v25, s6
	v_add_nc_u32_e32 v26, s6, v24
	s_addk_i32 s6, 0x60
	s_clause 0x3
	buffer_load_dword v13, v25, s[0:3], 0 offen
	buffer_load_dword v14, v25, s[0:3], 0 offen offset:4
	buffer_load_dword v15, v25, s[0:3], 0 offen offset:8
	;; [unrolled: 1-line block ×3, first 2 shown]
	ds_read2_b64 v[1:4], v26 offset1:1
	s_clause 0x3
	buffer_load_dword v17, v25, s[0:3], 0 offen offset:16
	buffer_load_dword v18, v25, s[0:3], 0 offen offset:20
	;; [unrolled: 1-line block ×4, first 2 shown]
	ds_read2_b64 v[5:8], v26 offset0:2 offset1:3
	s_cmpk_lg_i32 s6, 0x400
	s_waitcnt vmcnt(10) lgkmcnt(1)
	v_mul_f64 v[21:22], v[3:4], v[9:10]
	v_mul_f64 v[9:10], v[1:2], v[9:10]
	s_waitcnt vmcnt(8)
	v_fma_f64 v[1:2], v[1:2], v[11:12], -v[21:22]
	v_fma_f64 v[3:4], v[3:4], v[11:12], v[9:10]
	s_waitcnt vmcnt(6)
	v_add_f64 v[1:2], v[13:14], -v[1:2]
	s_waitcnt vmcnt(4)
	v_add_f64 v[3:4], v[15:16], -v[3:4]
	buffer_store_dword v2, v25, s[0:3], 0 offen offset:4
	buffer_store_dword v1, v25, s[0:3], 0 offen
	buffer_store_dword v4, v25, s[0:3], 0 offen offset:12
	buffer_store_dword v3, v25, s[0:3], 0 offen offset:8
	s_clause 0x3
	buffer_load_dword v2, off, s[0:3], 0 offset:252
	buffer_load_dword v1, off, s[0:3], 0 offset:248
	;; [unrolled: 1-line block ×4, first 2 shown]
	s_waitcnt vmcnt(2) lgkmcnt(0)
	v_mul_f64 v[9:10], v[7:8], v[1:2]
	v_mul_f64 v[1:2], v[5:6], v[1:2]
	s_waitcnt vmcnt(0)
	v_fma_f64 v[5:6], v[5:6], v[3:4], -v[9:10]
	v_fma_f64 v[1:2], v[7:8], v[3:4], v[1:2]
	s_clause 0x3
	buffer_load_dword v9, v25, s[0:3], 0 offen offset:32
	buffer_load_dword v10, v25, s[0:3], 0 offen offset:36
	;; [unrolled: 1-line block ×4, first 2 shown]
	v_add_f64 v[3:4], v[17:18], -v[5:6]
	v_add_f64 v[1:2], v[19:20], -v[1:2]
	buffer_store_dword v4, v25, s[0:3], 0 offen offset:20
	buffer_store_dword v3, v25, s[0:3], 0 offen offset:16
	;; [unrolled: 1-line block ×4, first 2 shown]
	s_clause 0x3
	buffer_load_dword v13, off, s[0:3], 0 offset:248
	buffer_load_dword v14, off, s[0:3], 0 offset:252
	;; [unrolled: 1-line block ×4, first 2 shown]
	ds_read2_b64 v[1:4], v26 offset0:4 offset1:5
	ds_read2_b64 v[5:8], v26 offset0:6 offset1:7
	s_waitcnt vmcnt(2) lgkmcnt(1)
	v_mul_f64 v[17:18], v[3:4], v[13:14]
	v_mul_f64 v[13:14], v[1:2], v[13:14]
	s_waitcnt vmcnt(0)
	v_fma_f64 v[1:2], v[1:2], v[15:16], -v[17:18]
	v_fma_f64 v[3:4], v[3:4], v[15:16], v[13:14]
	v_add_f64 v[1:2], v[9:10], -v[1:2]
	v_add_f64 v[3:4], v[11:12], -v[3:4]
	buffer_store_dword v2, v25, s[0:3], 0 offen offset:36
	buffer_store_dword v1, v25, s[0:3], 0 offen offset:32
	;; [unrolled: 1-line block ×4, first 2 shown]
	s_clause 0x7
	buffer_load_dword v1, off, s[0:3], 0 offset:248
	buffer_load_dword v2, off, s[0:3], 0 offset:252
	;; [unrolled: 1-line block ×4, first 2 shown]
	buffer_load_dword v9, v25, s[0:3], 0 offen offset:48
	buffer_load_dword v10, v25, s[0:3], 0 offen offset:52
	;; [unrolled: 1-line block ×4, first 2 shown]
	s_waitcnt vmcnt(6) lgkmcnt(0)
	v_mul_f64 v[13:14], v[7:8], v[1:2]
	v_mul_f64 v[1:2], v[5:6], v[1:2]
	s_waitcnt vmcnt(4)
	v_fma_f64 v[5:6], v[5:6], v[3:4], -v[13:14]
	v_fma_f64 v[1:2], v[7:8], v[3:4], v[1:2]
	s_waitcnt vmcnt(2)
	v_add_f64 v[3:4], v[9:10], -v[5:6]
	s_waitcnt vmcnt(0)
	v_add_f64 v[1:2], v[11:12], -v[1:2]
	buffer_store_dword v4, v25, s[0:3], 0 offen offset:52
	buffer_store_dword v3, v25, s[0:3], 0 offen offset:48
	;; [unrolled: 1-line block ×4, first 2 shown]
	s_clause 0x7
	buffer_load_dword v9, off, s[0:3], 0 offset:248
	buffer_load_dword v10, off, s[0:3], 0 offset:252
	;; [unrolled: 1-line block ×4, first 2 shown]
	buffer_load_dword v13, v25, s[0:3], 0 offen offset:64
	buffer_load_dword v14, v25, s[0:3], 0 offen offset:68
	;; [unrolled: 1-line block ×4, first 2 shown]
	ds_read2_b64 v[1:4], v26 offset0:8 offset1:9
	ds_read2_b64 v[5:8], v26 offset0:10 offset1:11
	s_waitcnt vmcnt(6) lgkmcnt(1)
	v_mul_f64 v[17:18], v[3:4], v[9:10]
	v_mul_f64 v[9:10], v[1:2], v[9:10]
	s_waitcnt vmcnt(4)
	v_fma_f64 v[1:2], v[1:2], v[11:12], -v[17:18]
	v_fma_f64 v[3:4], v[3:4], v[11:12], v[9:10]
	s_waitcnt vmcnt(2)
	v_add_f64 v[1:2], v[13:14], -v[1:2]
	s_waitcnt vmcnt(0)
	v_add_f64 v[3:4], v[15:16], -v[3:4]
	buffer_store_dword v2, v25, s[0:3], 0 offen offset:68
	buffer_store_dword v1, v25, s[0:3], 0 offen offset:64
	;; [unrolled: 1-line block ×4, first 2 shown]
	s_clause 0x7
	buffer_load_dword v1, off, s[0:3], 0 offset:248
	buffer_load_dword v2, off, s[0:3], 0 offset:252
	;; [unrolled: 1-line block ×4, first 2 shown]
	buffer_load_dword v9, v25, s[0:3], 0 offen offset:80
	buffer_load_dword v10, v25, s[0:3], 0 offen offset:84
	;; [unrolled: 1-line block ×4, first 2 shown]
	s_waitcnt vmcnt(6) lgkmcnt(0)
	v_mul_f64 v[13:14], v[7:8], v[1:2]
	v_mul_f64 v[1:2], v[5:6], v[1:2]
	s_waitcnt vmcnt(4)
	v_fma_f64 v[5:6], v[5:6], v[3:4], -v[13:14]
	v_fma_f64 v[1:2], v[7:8], v[3:4], v[1:2]
	s_waitcnt vmcnt(2)
	v_add_f64 v[3:4], v[9:10], -v[5:6]
	s_waitcnt vmcnt(0)
	v_add_f64 v[1:2], v[11:12], -v[1:2]
	buffer_store_dword v4, v25, s[0:3], 0 offen offset:84
	buffer_store_dword v3, v25, s[0:3], 0 offen offset:80
	;; [unrolled: 1-line block ×4, first 2 shown]
	s_cbranch_scc1 .LBB127_204
.LBB127_205:
	s_or_b32 exec_lo, exec_lo, s5
	s_mov_b32 s6, exec_lo
	s_waitcnt lgkmcnt(0)
	s_waitcnt_vscnt null, 0x0
	s_barrier
	buffer_gl0_inv
	v_cmpx_eq_u32_e32 16, v0
	s_cbranch_execz .LBB127_216
; %bb.206:
	v_mov_b32_e32 v4, s63
	s_movk_i32 s5, 0x110
	s_clause 0x3
	buffer_load_dword v1, v4, s[0:3], 0 offen
	buffer_load_dword v2, v4, s[0:3], 0 offen offset:4
	buffer_load_dword v3, v4, s[0:3], 0 offen offset:8
	;; [unrolled: 1-line block ×3, first 2 shown]
	s_waitcnt vmcnt(0)
	ds_write2_b64 v23, v[1:2], v[3:4] offset1:1
	s_branch .LBB127_208
.LBB127_207:                            ;   in Loop: Header=BB127_208 Depth=1
	s_andn2_b32 vcc_lo, exec_lo, s8
	s_cbranch_vccz .LBB127_210
.LBB127_208:                            ; =>This Inner Loop Header: Depth=1
	v_mov_b32_e32 v1, s5
	s_mov_b32 s7, s5
	s_mov_b32 s8, -1
	s_cmpk_eq_i32 s5, 0x390
	s_clause 0x1b
	buffer_load_dword v2, v1, s[0:3], 0 offen
	buffer_load_dword v3, v1, s[0:3], 0 offen offset:4
	buffer_load_dword v4, v1, s[0:3], 0 offen offset:8
	;; [unrolled: 1-line block ×27, first 2 shown]
	v_add_nc_u32_e32 v1, s5, v24
	s_waitcnt vmcnt(24)
	ds_write2_b64 v1, v[2:3], v[4:5] offset1:1
	s_waitcnt vmcnt(20)
	ds_write2_b64 v1, v[6:7], v[8:9] offset0:2 offset1:3
	s_waitcnt vmcnt(16)
	ds_write2_b64 v1, v[10:11], v[12:13] offset0:4 offset1:5
	;; [unrolled: 2-line block ×4, first 2 shown]
	ds_write2_b64 v1, v[65:66], v[20:21] offset0:10 offset1:11
	s_waitcnt vmcnt(0)
	ds_write2_b64 v1, v[71:72], v[69:70] offset0:12 offset1:13
	s_cbranch_scc1 .LBB127_207
; %bb.209:                              ;   in Loop: Header=BB127_208 Depth=1
	v_mov_b32_e32 v5, s7
	s_addk_i32 s5, 0x80
	s_mov_b32 s8, 0
	s_clause 0x3
	buffer_load_dword v2, v5, s[0:3], 0 offen offset:112
	buffer_load_dword v3, v5, s[0:3], 0 offen offset:116
	;; [unrolled: 1-line block ×4, first 2 shown]
	s_waitcnt vmcnt(0)
	ds_write2_b64 v1, v[2:3], v[4:5] offset0:14 offset1:15
	s_branch .LBB127_207
.LBB127_210:
	ds_read2_b64 v[1:4], v23 offset1:1
	s_waitcnt lgkmcnt(0)
	v_cmp_neq_f64_e32 vcc_lo, 0, v[1:2]
	v_cmp_neq_f64_e64 s5, 0, v[3:4]
	s_or_b32 s5, vcc_lo, s5
	s_and_b32 exec_lo, exec_lo, s5
	s_cbranch_execz .LBB127_216
; %bb.211:
	v_cmp_ngt_f64_e64 s5, |v[1:2]|, |v[3:4]|
                                        ; implicit-def: $vgpr5_vgpr6
	s_and_saveexec_b32 s7, s5
	s_xor_b32 s5, exec_lo, s7
                                        ; implicit-def: $vgpr7_vgpr8
	s_cbranch_execz .LBB127_213
; %bb.212:
	v_div_scale_f64 v[5:6], null, v[3:4], v[3:4], v[1:2]
	v_div_scale_f64 v[11:12], vcc_lo, v[1:2], v[3:4], v[1:2]
	v_rcp_f64_e32 v[7:8], v[5:6]
	v_fma_f64 v[9:10], -v[5:6], v[7:8], 1.0
	v_fma_f64 v[7:8], v[7:8], v[9:10], v[7:8]
	v_fma_f64 v[9:10], -v[5:6], v[7:8], 1.0
	v_fma_f64 v[7:8], v[7:8], v[9:10], v[7:8]
	v_mul_f64 v[9:10], v[11:12], v[7:8]
	v_fma_f64 v[5:6], -v[5:6], v[9:10], v[11:12]
	v_div_fmas_f64 v[5:6], v[5:6], v[7:8], v[9:10]
	v_div_fixup_f64 v[5:6], v[5:6], v[3:4], v[1:2]
	v_fma_f64 v[1:2], v[1:2], v[5:6], v[3:4]
	v_div_scale_f64 v[3:4], null, v[1:2], v[1:2], 1.0
	v_rcp_f64_e32 v[7:8], v[3:4]
	v_fma_f64 v[9:10], -v[3:4], v[7:8], 1.0
	v_fma_f64 v[7:8], v[7:8], v[9:10], v[7:8]
	v_fma_f64 v[9:10], -v[3:4], v[7:8], 1.0
	v_fma_f64 v[7:8], v[7:8], v[9:10], v[7:8]
	v_div_scale_f64 v[9:10], vcc_lo, 1.0, v[1:2], 1.0
	v_mul_f64 v[11:12], v[9:10], v[7:8]
	v_fma_f64 v[3:4], -v[3:4], v[11:12], v[9:10]
	v_div_fmas_f64 v[3:4], v[3:4], v[7:8], v[11:12]
	v_div_fixup_f64 v[7:8], v[3:4], v[1:2], 1.0
                                        ; implicit-def: $vgpr1_vgpr2
	v_mul_f64 v[5:6], v[5:6], v[7:8]
	v_xor_b32_e32 v8, 0x80000000, v8
.LBB127_213:
	s_andn2_saveexec_b32 s5, s5
	s_cbranch_execz .LBB127_215
; %bb.214:
	v_div_scale_f64 v[5:6], null, v[1:2], v[1:2], v[3:4]
	v_div_scale_f64 v[11:12], vcc_lo, v[3:4], v[1:2], v[3:4]
	v_rcp_f64_e32 v[7:8], v[5:6]
	v_fma_f64 v[9:10], -v[5:6], v[7:8], 1.0
	v_fma_f64 v[7:8], v[7:8], v[9:10], v[7:8]
	v_fma_f64 v[9:10], -v[5:6], v[7:8], 1.0
	v_fma_f64 v[7:8], v[7:8], v[9:10], v[7:8]
	v_mul_f64 v[9:10], v[11:12], v[7:8]
	v_fma_f64 v[5:6], -v[5:6], v[9:10], v[11:12]
	v_div_fmas_f64 v[5:6], v[5:6], v[7:8], v[9:10]
	v_div_fixup_f64 v[7:8], v[5:6], v[1:2], v[3:4]
	v_fma_f64 v[1:2], v[3:4], v[7:8], v[1:2]
	v_div_scale_f64 v[3:4], null, v[1:2], v[1:2], 1.0
	v_rcp_f64_e32 v[5:6], v[3:4]
	v_fma_f64 v[9:10], -v[3:4], v[5:6], 1.0
	v_fma_f64 v[5:6], v[5:6], v[9:10], v[5:6]
	v_fma_f64 v[9:10], -v[3:4], v[5:6], 1.0
	v_fma_f64 v[5:6], v[5:6], v[9:10], v[5:6]
	v_div_scale_f64 v[9:10], vcc_lo, 1.0, v[1:2], 1.0
	v_mul_f64 v[11:12], v[9:10], v[5:6]
	v_fma_f64 v[3:4], -v[3:4], v[11:12], v[9:10]
	v_div_fmas_f64 v[3:4], v[3:4], v[5:6], v[11:12]
	v_div_fixup_f64 v[5:6], v[3:4], v[1:2], 1.0
	v_mul_f64 v[7:8], v[7:8], -v[5:6]
.LBB127_215:
	s_or_b32 exec_lo, exec_lo, s5
	ds_write2_b64 v23, v[5:6], v[7:8] offset1:1
.LBB127_216:
	s_or_b32 exec_lo, exec_lo, s6
	s_waitcnt lgkmcnt(0)
	s_barrier
	buffer_gl0_inv
	ds_read2_b64 v[65:68], v23 offset1:1
	s_mov_b32 s5, exec_lo
	v_cmpx_lt_u32_e32 16, v0
	s_cbranch_execz .LBB127_221
; %bb.217:
	s_clause 0x3
	buffer_load_dword v1, off, s[0:3], 0 offset:264
	buffer_load_dword v2, off, s[0:3], 0 offset:268
	;; [unrolled: 1-line block ×4, first 2 shown]
	s_movk_i32 s6, 0x110
	s_waitcnt vmcnt(2) lgkmcnt(0)
	v_mul_f64 v[5:6], v[67:68], v[1:2]
	v_mul_f64 v[7:8], v[65:66], v[1:2]
	s_waitcnt vmcnt(0)
	v_fma_f64 v[1:2], v[65:66], v[3:4], -v[5:6]
	v_fma_f64 v[3:4], v[67:68], v[3:4], v[7:8]
	buffer_store_dword v1, off, s[0:3], 0 offset:256
	buffer_store_dword v2, off, s[0:3], 0 offset:260
	;; [unrolled: 1-line block ×4, first 2 shown]
	s_branch .LBB127_219
.LBB127_218:                            ;   in Loop: Header=BB127_219 Depth=1
	s_andn2_b32 vcc_lo, exec_lo, s8
	s_cbranch_vccz .LBB127_221
.LBB127_219:                            ; =>This Inner Loop Header: Depth=1
	v_mov_b32_e32 v21, s6
	v_add_nc_u32_e32 v5, s6, v24
	s_mov_b32 s7, s6
	s_mov_b32 s8, -1
	s_cmpk_eq_i32 s6, 0x3d0
	s_clause 0x3
	buffer_load_dword v14, v21, s[0:3], 0 offen
	buffer_load_dword v15, v21, s[0:3], 0 offen offset:4
	buffer_load_dword v16, v21, s[0:3], 0 offen offset:8
	;; [unrolled: 1-line block ×3, first 2 shown]
	ds_read2_b64 v[6:9], v5 offset1:1
	ds_read2_b64 v[10:13], v5 offset0:2 offset1:3
	s_waitcnt vmcnt(5) lgkmcnt(1)
	v_mul_f64 v[18:19], v[8:9], v[3:4]
	v_mul_f64 v[3:4], v[6:7], v[3:4]
	s_waitcnt vmcnt(4)
	v_fma_f64 v[6:7], v[6:7], v[1:2], -v[18:19]
	v_fma_f64 v[1:2], v[8:9], v[1:2], v[3:4]
	s_clause 0x2
	buffer_load_dword v3, v21, s[0:3], 0 offen offset:20
	buffer_load_dword v8, v21, s[0:3], 0 offen offset:28
	;; [unrolled: 1-line block ×3, first 2 shown]
	s_waitcnt vmcnt(5)
	v_add_f64 v[6:7], v[14:15], -v[6:7]
	s_waitcnt vmcnt(3)
	v_add_f64 v[1:2], v[16:17], -v[1:2]
	buffer_store_dword v7, v21, s[0:3], 0 offen offset:4
	buffer_store_dword v6, v21, s[0:3], 0 offen
	buffer_store_dword v2, v21, s[0:3], 0 offen offset:12
	buffer_store_dword v1, v21, s[0:3], 0 offen offset:8
	s_clause 0x6
	buffer_load_dword v7, v21, s[0:3], 0 offen offset:24
	buffer_load_dword v14, v21, s[0:3], 0 offen offset:36
	buffer_load_dword v16, off, s[0:3], 0 offset:268
	buffer_load_dword v15, off, s[0:3], 0 offset:264
	;; [unrolled: 1-line block ×4, first 2 shown]
	buffer_load_dword v2, v21, s[0:3], 0 offen offset:16
	s_waitcnt vmcnt(3) lgkmcnt(0)
	v_mul_f64 v[19:20], v[12:13], v[15:16]
	v_mul_f64 v[15:16], v[10:11], v[15:16]
	s_waitcnt vmcnt(1)
	v_fma_f64 v[10:11], v[10:11], v[17:18], -v[19:20]
	v_fma_f64 v[12:13], v[12:13], v[17:18], v[15:16]
	s_waitcnt vmcnt(0)
	v_add_f64 v[1:2], v[2:3], -v[10:11]
	v_add_f64 v[3:4], v[7:8], -v[12:13]
	buffer_store_dword v2, v21, s[0:3], 0 offen offset:20
	buffer_store_dword v1, v21, s[0:3], 0 offen offset:16
	;; [unrolled: 1-line block ×4, first 2 shown]
	s_clause 0x5
	buffer_load_dword v10, v21, s[0:3], 0 offen offset:44
	buffer_load_dword v6, off, s[0:3], 0 offset:264
	buffer_load_dword v7, off, s[0:3], 0 offset:268
	;; [unrolled: 1-line block ×4, first 2 shown]
	buffer_load_dword v13, v21, s[0:3], 0 offen offset:32
	ds_read2_b64 v[1:4], v5 offset0:4 offset1:5
	s_waitcnt vmcnt(3) lgkmcnt(0)
	v_mul_f64 v[15:16], v[3:4], v[6:7]
	v_mul_f64 v[6:7], v[1:2], v[6:7]
	s_waitcnt vmcnt(1)
	v_fma_f64 v[1:2], v[1:2], v[11:12], -v[15:16]
	v_fma_f64 v[3:4], v[3:4], v[11:12], v[6:7]
	s_waitcnt vmcnt(0)
	v_add_f64 v[1:2], v[13:14], -v[1:2]
	v_add_f64 v[3:4], v[9:10], -v[3:4]
	buffer_store_dword v2, v21, s[0:3], 0 offen offset:36
	buffer_store_dword v1, v21, s[0:3], 0 offen offset:32
	;; [unrolled: 1-line block ×4, first 2 shown]
                                        ; implicit-def: $vgpr1_vgpr2
                                        ; implicit-def: $vgpr3_vgpr4
	s_cbranch_scc1 .LBB127_218
; %bb.220:                              ;   in Loop: Header=BB127_219 Depth=1
	s_clause 0x3
	buffer_load_dword v6, off, s[0:3], 0 offset:264
	buffer_load_dword v7, off, s[0:3], 0 offset:268
	buffer_load_dword v8, off, s[0:3], 0 offset:256
	buffer_load_dword v9, off, s[0:3], 0 offset:260
	v_mov_b32_e32 v16, s7
	s_add_i32 s6, s6, 64
	s_mov_b32 s8, 0
	s_clause 0x3
	buffer_load_dword v10, v16, s[0:3], 0 offen offset:48
	buffer_load_dword v11, v16, s[0:3], 0 offen offset:52
	;; [unrolled: 1-line block ×4, first 2 shown]
	ds_read2_b64 v[1:4], v5 offset0:6 offset1:7
	s_waitcnt vmcnt(6) lgkmcnt(0)
	v_mul_f64 v[14:15], v[3:4], v[6:7]
	v_mul_f64 v[5:6], v[1:2], v[6:7]
	s_waitcnt vmcnt(4)
	v_fma_f64 v[1:2], v[1:2], v[8:9], -v[14:15]
	v_fma_f64 v[3:4], v[3:4], v[8:9], v[5:6]
	s_waitcnt vmcnt(2)
	v_add_f64 v[1:2], v[10:11], -v[1:2]
	s_waitcnt vmcnt(0)
	v_add_f64 v[3:4], v[12:13], -v[3:4]
	buffer_store_dword v2, v16, s[0:3], 0 offen offset:52
	buffer_store_dword v1, v16, s[0:3], 0 offen offset:48
	;; [unrolled: 1-line block ×4, first 2 shown]
	s_clause 0x3
	buffer_load_dword v2, off, s[0:3], 0 offset:260
	buffer_load_dword v4, off, s[0:3], 0 offset:268
	;; [unrolled: 1-line block ×4, first 2 shown]
	s_branch .LBB127_218
.LBB127_221:
	s_or_b32 exec_lo, exec_lo, s5
	s_mov_b32 s6, exec_lo
	s_waitcnt vmcnt(0) lgkmcnt(0)
	s_waitcnt_vscnt null, 0x0
	s_barrier
	buffer_gl0_inv
	v_cmpx_eq_u32_e32 17, v0
	s_cbranch_execz .LBB127_230
; %bb.222:
	v_mov_b32_e32 v4, s62
	s_movk_i32 s5, 0x120
	s_clause 0x3
	buffer_load_dword v1, v4, s[0:3], 0 offen
	buffer_load_dword v2, v4, s[0:3], 0 offen offset:4
	buffer_load_dword v3, v4, s[0:3], 0 offen offset:8
	;; [unrolled: 1-line block ×3, first 2 shown]
	s_waitcnt vmcnt(0)
	ds_write2_b64 v23, v[1:2], v[3:4] offset1:1
	.p2align	6
.LBB127_223:                            ; =>This Inner Loop Header: Depth=1
	v_mov_b32_e32 v8, s5
	v_add_nc_u32_e32 v9, s5, v24
	s_add_i32 s5, s5, 32
	s_clause 0x7
	buffer_load_dword v1, v8, s[0:3], 0 offen
	buffer_load_dword v2, v8, s[0:3], 0 offen offset:4
	buffer_load_dword v3, v8, s[0:3], 0 offen offset:8
	;; [unrolled: 1-line block ×7, first 2 shown]
	s_cmpk_lg_i32 s5, 0x400
	s_waitcnt vmcnt(4)
	ds_write2_b64 v9, v[1:2], v[3:4] offset1:1
	s_waitcnt vmcnt(0)
	ds_write2_b64 v9, v[5:6], v[7:8] offset0:2 offset1:3
	s_cbranch_scc1 .LBB127_223
; %bb.224:
	ds_read2_b64 v[1:4], v23 offset1:1
	s_waitcnt lgkmcnt(0)
	v_cmp_neq_f64_e32 vcc_lo, 0, v[1:2]
	v_cmp_neq_f64_e64 s5, 0, v[3:4]
	s_or_b32 s5, vcc_lo, s5
	s_and_b32 exec_lo, exec_lo, s5
	s_cbranch_execz .LBB127_230
; %bb.225:
	v_cmp_ngt_f64_e64 s5, |v[1:2]|, |v[3:4]|
                                        ; implicit-def: $vgpr5_vgpr6
	s_and_saveexec_b32 s7, s5
	s_xor_b32 s5, exec_lo, s7
                                        ; implicit-def: $vgpr7_vgpr8
	s_cbranch_execz .LBB127_227
; %bb.226:
	v_div_scale_f64 v[5:6], null, v[3:4], v[3:4], v[1:2]
	v_div_scale_f64 v[11:12], vcc_lo, v[1:2], v[3:4], v[1:2]
	v_rcp_f64_e32 v[7:8], v[5:6]
	v_fma_f64 v[9:10], -v[5:6], v[7:8], 1.0
	v_fma_f64 v[7:8], v[7:8], v[9:10], v[7:8]
	v_fma_f64 v[9:10], -v[5:6], v[7:8], 1.0
	v_fma_f64 v[7:8], v[7:8], v[9:10], v[7:8]
	v_mul_f64 v[9:10], v[11:12], v[7:8]
	v_fma_f64 v[5:6], -v[5:6], v[9:10], v[11:12]
	v_div_fmas_f64 v[5:6], v[5:6], v[7:8], v[9:10]
	v_div_fixup_f64 v[5:6], v[5:6], v[3:4], v[1:2]
	v_fma_f64 v[1:2], v[1:2], v[5:6], v[3:4]
	v_div_scale_f64 v[3:4], null, v[1:2], v[1:2], 1.0
	v_rcp_f64_e32 v[7:8], v[3:4]
	v_fma_f64 v[9:10], -v[3:4], v[7:8], 1.0
	v_fma_f64 v[7:8], v[7:8], v[9:10], v[7:8]
	v_fma_f64 v[9:10], -v[3:4], v[7:8], 1.0
	v_fma_f64 v[7:8], v[7:8], v[9:10], v[7:8]
	v_div_scale_f64 v[9:10], vcc_lo, 1.0, v[1:2], 1.0
	v_mul_f64 v[11:12], v[9:10], v[7:8]
	v_fma_f64 v[3:4], -v[3:4], v[11:12], v[9:10]
	v_div_fmas_f64 v[3:4], v[3:4], v[7:8], v[11:12]
	v_div_fixup_f64 v[7:8], v[3:4], v[1:2], 1.0
                                        ; implicit-def: $vgpr1_vgpr2
	v_mul_f64 v[5:6], v[5:6], v[7:8]
	v_xor_b32_e32 v8, 0x80000000, v8
.LBB127_227:
	s_andn2_saveexec_b32 s5, s5
	s_cbranch_execz .LBB127_229
; %bb.228:
	v_div_scale_f64 v[5:6], null, v[1:2], v[1:2], v[3:4]
	v_div_scale_f64 v[11:12], vcc_lo, v[3:4], v[1:2], v[3:4]
	v_rcp_f64_e32 v[7:8], v[5:6]
	v_fma_f64 v[9:10], -v[5:6], v[7:8], 1.0
	v_fma_f64 v[7:8], v[7:8], v[9:10], v[7:8]
	v_fma_f64 v[9:10], -v[5:6], v[7:8], 1.0
	v_fma_f64 v[7:8], v[7:8], v[9:10], v[7:8]
	v_mul_f64 v[9:10], v[11:12], v[7:8]
	v_fma_f64 v[5:6], -v[5:6], v[9:10], v[11:12]
	v_div_fmas_f64 v[5:6], v[5:6], v[7:8], v[9:10]
	v_div_fixup_f64 v[7:8], v[5:6], v[1:2], v[3:4]
	v_fma_f64 v[1:2], v[3:4], v[7:8], v[1:2]
	v_div_scale_f64 v[3:4], null, v[1:2], v[1:2], 1.0
	v_rcp_f64_e32 v[5:6], v[3:4]
	v_fma_f64 v[9:10], -v[3:4], v[5:6], 1.0
	v_fma_f64 v[5:6], v[5:6], v[9:10], v[5:6]
	v_fma_f64 v[9:10], -v[3:4], v[5:6], 1.0
	v_fma_f64 v[5:6], v[5:6], v[9:10], v[5:6]
	v_div_scale_f64 v[9:10], vcc_lo, 1.0, v[1:2], 1.0
	v_mul_f64 v[11:12], v[9:10], v[5:6]
	v_fma_f64 v[3:4], -v[3:4], v[11:12], v[9:10]
	v_div_fmas_f64 v[3:4], v[3:4], v[5:6], v[11:12]
	v_div_fixup_f64 v[5:6], v[3:4], v[1:2], 1.0
	v_mul_f64 v[7:8], v[7:8], -v[5:6]
.LBB127_229:
	s_or_b32 exec_lo, exec_lo, s5
	ds_write2_b64 v23, v[5:6], v[7:8] offset1:1
.LBB127_230:
	s_or_b32 exec_lo, exec_lo, s6
	s_waitcnt lgkmcnt(0)
	s_barrier
	buffer_gl0_inv
	ds_read2_b64 v[69:72], v23 offset1:1
	s_mov_b32 s5, exec_lo
	v_cmpx_lt_u32_e32 17, v0
	s_cbranch_execz .LBB127_233
; %bb.231:
	s_clause 0x3
	buffer_load_dword v1, off, s[0:3], 0 offset:280
	buffer_load_dword v2, off, s[0:3], 0 offset:284
	;; [unrolled: 1-line block ×4, first 2 shown]
	s_movk_i32 s6, 0x120
	s_waitcnt vmcnt(2) lgkmcnt(0)
	v_mul_f64 v[5:6], v[71:72], v[1:2]
	v_mul_f64 v[1:2], v[69:70], v[1:2]
	s_waitcnt vmcnt(0)
	v_fma_f64 v[5:6], v[69:70], v[3:4], -v[5:6]
	v_fma_f64 v[1:2], v[71:72], v[3:4], v[1:2]
	buffer_store_dword v5, off, s[0:3], 0 offset:272
	buffer_store_dword v6, off, s[0:3], 0 offset:276
	;; [unrolled: 1-line block ×4, first 2 shown]
.LBB127_232:                            ; =>This Inner Loop Header: Depth=1
	s_clause 0x3
	buffer_load_dword v9, off, s[0:3], 0 offset:280
	buffer_load_dword v10, off, s[0:3], 0 offset:284
	;; [unrolled: 1-line block ×4, first 2 shown]
	v_mov_b32_e32 v19, s6
	v_add_nc_u32_e32 v5, s6, v24
	s_add_i32 s6, s6, 32
	s_clause 0x3
	buffer_load_dword v13, v19, s[0:3], 0 offen
	buffer_load_dword v14, v19, s[0:3], 0 offen offset:4
	buffer_load_dword v15, v19, s[0:3], 0 offen offset:8
	;; [unrolled: 1-line block ×3, first 2 shown]
	ds_read2_b64 v[1:4], v5 offset1:1
	ds_read2_b64 v[5:8], v5 offset0:2 offset1:3
	s_cmpk_lg_i32 s6, 0x400
	s_waitcnt vmcnt(6) lgkmcnt(1)
	v_mul_f64 v[17:18], v[3:4], v[9:10]
	v_mul_f64 v[9:10], v[1:2], v[9:10]
	s_waitcnt vmcnt(4)
	v_fma_f64 v[1:2], v[1:2], v[11:12], -v[17:18]
	v_fma_f64 v[3:4], v[3:4], v[11:12], v[9:10]
	s_clause 0x3
	buffer_load_dword v9, v19, s[0:3], 0 offen offset:16
	buffer_load_dword v10, v19, s[0:3], 0 offen offset:20
	;; [unrolled: 1-line block ×4, first 2 shown]
	s_waitcnt vmcnt(6)
	v_add_f64 v[1:2], v[13:14], -v[1:2]
	s_waitcnt vmcnt(4)
	v_add_f64 v[3:4], v[15:16], -v[3:4]
	buffer_store_dword v2, v19, s[0:3], 0 offen offset:4
	buffer_store_dword v1, v19, s[0:3], 0 offen
	buffer_store_dword v4, v19, s[0:3], 0 offen offset:12
	buffer_store_dword v3, v19, s[0:3], 0 offen offset:8
	s_clause 0x3
	buffer_load_dword v2, off, s[0:3], 0 offset:284
	buffer_load_dword v1, off, s[0:3], 0 offset:280
	;; [unrolled: 1-line block ×4, first 2 shown]
	s_waitcnt vmcnt(2) lgkmcnt(0)
	v_mul_f64 v[13:14], v[7:8], v[1:2]
	v_mul_f64 v[1:2], v[5:6], v[1:2]
	s_waitcnt vmcnt(0)
	v_fma_f64 v[5:6], v[5:6], v[3:4], -v[13:14]
	v_fma_f64 v[1:2], v[7:8], v[3:4], v[1:2]
	v_add_f64 v[3:4], v[9:10], -v[5:6]
	v_add_f64 v[1:2], v[11:12], -v[1:2]
	buffer_store_dword v4, v19, s[0:3], 0 offen offset:20
	buffer_store_dword v3, v19, s[0:3], 0 offen offset:16
	;; [unrolled: 1-line block ×4, first 2 shown]
	s_cbranch_scc1 .LBB127_232
.LBB127_233:
	s_or_b32 exec_lo, exec_lo, s5
	s_mov_b32 s6, exec_lo
	s_waitcnt lgkmcnt(0)
	s_waitcnt_vscnt null, 0x0
	s_barrier
	buffer_gl0_inv
	v_cmpx_eq_u32_e32 18, v0
	s_cbranch_execz .LBB127_242
; %bb.234:
	v_mov_b32_e32 v4, s61
	s_movk_i32 s5, 0x130
	s_clause 0x3
	buffer_load_dword v1, v4, s[0:3], 0 offen
	buffer_load_dword v2, v4, s[0:3], 0 offen offset:4
	buffer_load_dword v3, v4, s[0:3], 0 offen offset:8
	;; [unrolled: 1-line block ×3, first 2 shown]
	s_waitcnt vmcnt(0)
	ds_write2_b64 v23, v[1:2], v[3:4] offset1:1
.LBB127_235:                            ; =>This Inner Loop Header: Depth=1
	v_mov_b32_e32 v17, s5
	v_add_nc_u32_e32 v18, s5, v24
	s_addk_i32 s5, 0xf0
	s_clause 0xf
	buffer_load_dword v1, v17, s[0:3], 0 offen
	buffer_load_dword v2, v17, s[0:3], 0 offen offset:4
	buffer_load_dword v3, v17, s[0:3], 0 offen offset:8
	;; [unrolled: 1-line block ×15, first 2 shown]
	s_cmpk_lg_i32 s5, 0x400
	s_waitcnt vmcnt(12)
	ds_write2_b64 v18, v[1:2], v[3:4] offset1:1
	s_waitcnt vmcnt(8)
	ds_write2_b64 v18, v[5:6], v[7:8] offset0:2 offset1:3
	s_waitcnt vmcnt(4)
	ds_write2_b64 v18, v[9:10], v[11:12] offset0:4 offset1:5
	;; [unrolled: 2-line block ×3, first 2 shown]
	s_clause 0x3
	buffer_load_dword v2, v17, s[0:3], 0 offen offset:76
	buffer_load_dword v1, v17, s[0:3], 0 offen offset:72
	buffer_load_dword v4, v17, s[0:3], 0 offen offset:68
	buffer_load_dword v3, v17, s[0:3], 0 offen offset:64
	s_waitcnt vmcnt(0)
	ds_write2_b64 v18, v[3:4], v[1:2] offset0:8 offset1:9
	s_clause 0x3
	buffer_load_dword v2, v17, s[0:3], 0 offen offset:92
	buffer_load_dword v1, v17, s[0:3], 0 offen offset:88
	buffer_load_dword v4, v17, s[0:3], 0 offen offset:84
	buffer_load_dword v3, v17, s[0:3], 0 offen offset:80
	s_waitcnt vmcnt(0)
	ds_write2_b64 v18, v[3:4], v[1:2] offset0:10 offset1:11
	;; [unrolled: 7-line block ×11, first 2 shown]
	s_cbranch_scc1 .LBB127_235
; %bb.236:
	ds_read2_b64 v[1:4], v23 offset1:1
	s_waitcnt lgkmcnt(0)
	v_cmp_neq_f64_e32 vcc_lo, 0, v[1:2]
	v_cmp_neq_f64_e64 s5, 0, v[3:4]
	s_or_b32 s5, vcc_lo, s5
	s_and_b32 exec_lo, exec_lo, s5
	s_cbranch_execz .LBB127_242
; %bb.237:
	v_cmp_ngt_f64_e64 s5, |v[1:2]|, |v[3:4]|
                                        ; implicit-def: $vgpr5_vgpr6
	s_and_saveexec_b32 s7, s5
	s_xor_b32 s5, exec_lo, s7
                                        ; implicit-def: $vgpr7_vgpr8
	s_cbranch_execz .LBB127_239
; %bb.238:
	v_div_scale_f64 v[5:6], null, v[3:4], v[3:4], v[1:2]
	v_div_scale_f64 v[11:12], vcc_lo, v[1:2], v[3:4], v[1:2]
	v_rcp_f64_e32 v[7:8], v[5:6]
	v_fma_f64 v[9:10], -v[5:6], v[7:8], 1.0
	v_fma_f64 v[7:8], v[7:8], v[9:10], v[7:8]
	v_fma_f64 v[9:10], -v[5:6], v[7:8], 1.0
	v_fma_f64 v[7:8], v[7:8], v[9:10], v[7:8]
	v_mul_f64 v[9:10], v[11:12], v[7:8]
	v_fma_f64 v[5:6], -v[5:6], v[9:10], v[11:12]
	v_div_fmas_f64 v[5:6], v[5:6], v[7:8], v[9:10]
	v_div_fixup_f64 v[5:6], v[5:6], v[3:4], v[1:2]
	v_fma_f64 v[1:2], v[1:2], v[5:6], v[3:4]
	v_div_scale_f64 v[3:4], null, v[1:2], v[1:2], 1.0
	v_rcp_f64_e32 v[7:8], v[3:4]
	v_fma_f64 v[9:10], -v[3:4], v[7:8], 1.0
	v_fma_f64 v[7:8], v[7:8], v[9:10], v[7:8]
	v_fma_f64 v[9:10], -v[3:4], v[7:8], 1.0
	v_fma_f64 v[7:8], v[7:8], v[9:10], v[7:8]
	v_div_scale_f64 v[9:10], vcc_lo, 1.0, v[1:2], 1.0
	v_mul_f64 v[11:12], v[9:10], v[7:8]
	v_fma_f64 v[3:4], -v[3:4], v[11:12], v[9:10]
	v_div_fmas_f64 v[3:4], v[3:4], v[7:8], v[11:12]
	v_div_fixup_f64 v[7:8], v[3:4], v[1:2], 1.0
                                        ; implicit-def: $vgpr1_vgpr2
	v_mul_f64 v[5:6], v[5:6], v[7:8]
	v_xor_b32_e32 v8, 0x80000000, v8
.LBB127_239:
	s_andn2_saveexec_b32 s5, s5
	s_cbranch_execz .LBB127_241
; %bb.240:
	v_div_scale_f64 v[5:6], null, v[1:2], v[1:2], v[3:4]
	v_div_scale_f64 v[11:12], vcc_lo, v[3:4], v[1:2], v[3:4]
	v_rcp_f64_e32 v[7:8], v[5:6]
	v_fma_f64 v[9:10], -v[5:6], v[7:8], 1.0
	v_fma_f64 v[7:8], v[7:8], v[9:10], v[7:8]
	v_fma_f64 v[9:10], -v[5:6], v[7:8], 1.0
	v_fma_f64 v[7:8], v[7:8], v[9:10], v[7:8]
	v_mul_f64 v[9:10], v[11:12], v[7:8]
	v_fma_f64 v[5:6], -v[5:6], v[9:10], v[11:12]
	v_div_fmas_f64 v[5:6], v[5:6], v[7:8], v[9:10]
	v_div_fixup_f64 v[7:8], v[5:6], v[1:2], v[3:4]
	v_fma_f64 v[1:2], v[3:4], v[7:8], v[1:2]
	v_div_scale_f64 v[3:4], null, v[1:2], v[1:2], 1.0
	v_rcp_f64_e32 v[5:6], v[3:4]
	v_fma_f64 v[9:10], -v[3:4], v[5:6], 1.0
	v_fma_f64 v[5:6], v[5:6], v[9:10], v[5:6]
	v_fma_f64 v[9:10], -v[3:4], v[5:6], 1.0
	v_fma_f64 v[5:6], v[5:6], v[9:10], v[5:6]
	v_div_scale_f64 v[9:10], vcc_lo, 1.0, v[1:2], 1.0
	v_mul_f64 v[11:12], v[9:10], v[5:6]
	v_fma_f64 v[3:4], -v[3:4], v[11:12], v[9:10]
	v_div_fmas_f64 v[3:4], v[3:4], v[5:6], v[11:12]
	v_div_fixup_f64 v[5:6], v[3:4], v[1:2], 1.0
	v_mul_f64 v[7:8], v[7:8], -v[5:6]
.LBB127_241:
	s_or_b32 exec_lo, exec_lo, s5
	ds_write2_b64 v23, v[5:6], v[7:8] offset1:1
.LBB127_242:
	s_or_b32 exec_lo, exec_lo, s6
	s_waitcnt lgkmcnt(0)
	s_barrier
	buffer_gl0_inv
	ds_read2_b64 v[73:76], v23 offset1:1
	s_mov_b32 s5, exec_lo
	v_cmpx_lt_u32_e32 18, v0
	s_cbranch_execz .LBB127_245
; %bb.243:
	s_clause 0x3
	buffer_load_dword v1, off, s[0:3], 0 offset:296
	buffer_load_dword v2, off, s[0:3], 0 offset:300
	;; [unrolled: 1-line block ×4, first 2 shown]
	s_movk_i32 s6, 0x130
	s_waitcnt vmcnt(2) lgkmcnt(0)
	v_mul_f64 v[5:6], v[75:76], v[1:2]
	v_mul_f64 v[1:2], v[73:74], v[1:2]
	s_waitcnt vmcnt(0)
	v_fma_f64 v[5:6], v[73:74], v[3:4], -v[5:6]
	v_fma_f64 v[1:2], v[75:76], v[3:4], v[1:2]
	buffer_store_dword v5, off, s[0:3], 0 offset:288
	buffer_store_dword v6, off, s[0:3], 0 offset:292
	;; [unrolled: 1-line block ×4, first 2 shown]
.LBB127_244:                            ; =>This Inner Loop Header: Depth=1
	s_clause 0x3
	buffer_load_dword v9, off, s[0:3], 0 offset:296
	buffer_load_dword v10, off, s[0:3], 0 offset:300
	;; [unrolled: 1-line block ×4, first 2 shown]
	v_mov_b32_e32 v19, s6
	v_add_nc_u32_e32 v20, s6, v24
	s_addk_i32 s6, 0x50
	s_clause 0x3
	buffer_load_dword v13, v19, s[0:3], 0 offen
	buffer_load_dword v14, v19, s[0:3], 0 offen offset:4
	buffer_load_dword v15, v19, s[0:3], 0 offen offset:8
	;; [unrolled: 1-line block ×3, first 2 shown]
	ds_read2_b64 v[1:4], v20 offset1:1
	ds_read2_b64 v[5:8], v20 offset0:2 offset1:3
	s_cmpk_lg_i32 s6, 0x400
	s_waitcnt vmcnt(6) lgkmcnt(1)
	v_mul_f64 v[17:18], v[3:4], v[9:10]
	v_mul_f64 v[9:10], v[1:2], v[9:10]
	s_waitcnt vmcnt(4)
	v_fma_f64 v[1:2], v[1:2], v[11:12], -v[17:18]
	v_fma_f64 v[3:4], v[3:4], v[11:12], v[9:10]
	s_clause 0x3
	buffer_load_dword v9, v19, s[0:3], 0 offen offset:16
	buffer_load_dword v10, v19, s[0:3], 0 offen offset:20
	;; [unrolled: 1-line block ×4, first 2 shown]
	s_waitcnt vmcnt(6)
	v_add_f64 v[1:2], v[13:14], -v[1:2]
	s_waitcnt vmcnt(4)
	v_add_f64 v[3:4], v[15:16], -v[3:4]
	buffer_store_dword v2, v19, s[0:3], 0 offen offset:4
	buffer_store_dword v1, v19, s[0:3], 0 offen
	buffer_store_dword v4, v19, s[0:3], 0 offen offset:12
	buffer_store_dword v3, v19, s[0:3], 0 offen offset:8
	s_clause 0x3
	buffer_load_dword v2, off, s[0:3], 0 offset:300
	buffer_load_dword v1, off, s[0:3], 0 offset:296
	;; [unrolled: 1-line block ×4, first 2 shown]
	s_waitcnt vmcnt(2) lgkmcnt(0)
	v_mul_f64 v[13:14], v[7:8], v[1:2]
	v_mul_f64 v[1:2], v[5:6], v[1:2]
	s_waitcnt vmcnt(0)
	v_fma_f64 v[5:6], v[5:6], v[3:4], -v[13:14]
	v_fma_f64 v[1:2], v[7:8], v[3:4], v[1:2]
	v_add_f64 v[3:4], v[9:10], -v[5:6]
	v_add_f64 v[1:2], v[11:12], -v[1:2]
	s_clause 0x3
	buffer_load_dword v9, v19, s[0:3], 0 offen offset:32
	buffer_load_dword v10, v19, s[0:3], 0 offen offset:36
	;; [unrolled: 1-line block ×4, first 2 shown]
	buffer_store_dword v4, v19, s[0:3], 0 offen offset:20
	buffer_store_dword v3, v19, s[0:3], 0 offen offset:16
	;; [unrolled: 1-line block ×4, first 2 shown]
	s_clause 0x3
	buffer_load_dword v13, off, s[0:3], 0 offset:296
	buffer_load_dword v14, off, s[0:3], 0 offset:300
	;; [unrolled: 1-line block ×4, first 2 shown]
	ds_read2_b64 v[1:4], v20 offset0:4 offset1:5
	ds_read2_b64 v[5:8], v20 offset0:6 offset1:7
	s_waitcnt vmcnt(2) lgkmcnt(1)
	v_mul_f64 v[17:18], v[3:4], v[13:14]
	v_mul_f64 v[13:14], v[1:2], v[13:14]
	s_waitcnt vmcnt(0)
	v_fma_f64 v[1:2], v[1:2], v[15:16], -v[17:18]
	v_fma_f64 v[3:4], v[3:4], v[15:16], v[13:14]
	v_add_f64 v[1:2], v[9:10], -v[1:2]
	v_add_f64 v[3:4], v[11:12], -v[3:4]
	buffer_store_dword v2, v19, s[0:3], 0 offen offset:36
	buffer_store_dword v1, v19, s[0:3], 0 offen offset:32
	;; [unrolled: 1-line block ×4, first 2 shown]
	s_clause 0x7
	buffer_load_dword v1, off, s[0:3], 0 offset:296
	buffer_load_dword v2, off, s[0:3], 0 offset:300
	;; [unrolled: 1-line block ×4, first 2 shown]
	buffer_load_dword v9, v19, s[0:3], 0 offen offset:48
	buffer_load_dword v10, v19, s[0:3], 0 offen offset:52
	;; [unrolled: 1-line block ×4, first 2 shown]
	s_waitcnt vmcnt(6) lgkmcnt(0)
	v_mul_f64 v[13:14], v[7:8], v[1:2]
	v_mul_f64 v[1:2], v[5:6], v[1:2]
	s_waitcnt vmcnt(4)
	v_fma_f64 v[5:6], v[5:6], v[3:4], -v[13:14]
	v_fma_f64 v[1:2], v[7:8], v[3:4], v[1:2]
	s_waitcnt vmcnt(2)
	v_add_f64 v[3:4], v[9:10], -v[5:6]
	s_waitcnt vmcnt(0)
	v_add_f64 v[1:2], v[11:12], -v[1:2]
	buffer_store_dword v4, v19, s[0:3], 0 offen offset:52
	buffer_store_dword v3, v19, s[0:3], 0 offen offset:48
	;; [unrolled: 1-line block ×4, first 2 shown]
	s_clause 0x7
	buffer_load_dword v5, off, s[0:3], 0 offset:296
	buffer_load_dword v6, off, s[0:3], 0 offset:300
	;; [unrolled: 1-line block ×4, first 2 shown]
	buffer_load_dword v9, v19, s[0:3], 0 offen offset:64
	buffer_load_dword v10, v19, s[0:3], 0 offen offset:68
	;; [unrolled: 1-line block ×4, first 2 shown]
	ds_read2_b64 v[1:4], v20 offset0:8 offset1:9
	s_waitcnt vmcnt(6) lgkmcnt(0)
	v_mul_f64 v[13:14], v[3:4], v[5:6]
	v_mul_f64 v[5:6], v[1:2], v[5:6]
	s_waitcnt vmcnt(4)
	v_fma_f64 v[1:2], v[1:2], v[7:8], -v[13:14]
	v_fma_f64 v[3:4], v[3:4], v[7:8], v[5:6]
	s_waitcnt vmcnt(2)
	v_add_f64 v[1:2], v[9:10], -v[1:2]
	s_waitcnt vmcnt(0)
	v_add_f64 v[3:4], v[11:12], -v[3:4]
	buffer_store_dword v2, v19, s[0:3], 0 offen offset:68
	buffer_store_dword v1, v19, s[0:3], 0 offen offset:64
	;; [unrolled: 1-line block ×4, first 2 shown]
	s_cbranch_scc1 .LBB127_244
.LBB127_245:
	s_or_b32 exec_lo, exec_lo, s5
	s_mov_b32 s6, exec_lo
	s_waitcnt lgkmcnt(0)
	s_waitcnt_vscnt null, 0x0
	s_barrier
	buffer_gl0_inv
	v_cmpx_eq_u32_e32 19, v0
	s_cbranch_execz .LBB127_254
; %bb.246:
	v_mov_b32_e32 v4, s60
	s_movk_i32 s5, 0x140
	s_clause 0x3
	buffer_load_dword v1, v4, s[0:3], 0 offen
	buffer_load_dword v2, v4, s[0:3], 0 offen offset:4
	buffer_load_dword v3, v4, s[0:3], 0 offen offset:8
	;; [unrolled: 1-line block ×3, first 2 shown]
	s_waitcnt vmcnt(0)
	ds_write2_b64 v23, v[1:2], v[3:4] offset1:1
.LBB127_247:                            ; =>This Inner Loop Header: Depth=1
	v_mov_b32_e32 v25, s5
	s_clause 0x2b
	buffer_load_dword v1, v25, s[0:3], 0 offen
	buffer_load_dword v2, v25, s[0:3], 0 offen offset:4
	buffer_load_dword v3, v25, s[0:3], 0 offen offset:8
	;; [unrolled: 1-line block ×43, first 2 shown]
	v_add_nc_u32_e32 v25, s5, v24
	s_addk_i32 s5, 0xb0
	s_waitcnt vmcnt(40)
	ds_write2_b64 v25, v[1:2], v[3:4] offset1:1
	s_waitcnt vmcnt(36)
	ds_write2_b64 v25, v[5:6], v[7:8] offset0:2 offset1:3
	s_waitcnt vmcnt(32)
	ds_write2_b64 v25, v[9:10], v[11:12] offset0:4 offset1:5
	;; [unrolled: 2-line block ×4, first 2 shown]
	ds_write2_b64 v25, v[21:22], v[19:20] offset0:10 offset1:11
	s_waitcnt vmcnt(12)
	ds_write2_b64 v25, v[85:86], v[79:80] offset0:12 offset1:13
	ds_write2_b64 v25, v[83:84], v[81:82] offset0:14 offset1:15
	s_waitcnt vmcnt(8)
	ds_write2_b64 v25, v[96:97], v[98:99] offset0:16 offset1:17
	s_waitcnt vmcnt(4)
	ds_write2_b64 v25, v[100:101], v[102:103] offset0:18 offset1:19
	s_waitcnt vmcnt(0)
	ds_write2_b64 v25, v[104:105], v[106:107] offset0:20 offset1:21
	s_cmpk_lg_i32 s5, 0x400
	s_cbranch_scc1 .LBB127_247
; %bb.248:
	ds_read2_b64 v[1:4], v23 offset1:1
	s_waitcnt lgkmcnt(0)
	v_cmp_neq_f64_e32 vcc_lo, 0, v[1:2]
	v_cmp_neq_f64_e64 s5, 0, v[3:4]
	s_or_b32 s5, vcc_lo, s5
	s_and_b32 exec_lo, exec_lo, s5
	s_cbranch_execz .LBB127_254
; %bb.249:
	v_cmp_ngt_f64_e64 s5, |v[1:2]|, |v[3:4]|
                                        ; implicit-def: $vgpr5_vgpr6
	s_and_saveexec_b32 s7, s5
	s_xor_b32 s5, exec_lo, s7
                                        ; implicit-def: $vgpr7_vgpr8
	s_cbranch_execz .LBB127_251
; %bb.250:
	v_div_scale_f64 v[5:6], null, v[3:4], v[3:4], v[1:2]
	v_div_scale_f64 v[11:12], vcc_lo, v[1:2], v[3:4], v[1:2]
	v_rcp_f64_e32 v[7:8], v[5:6]
	v_fma_f64 v[9:10], -v[5:6], v[7:8], 1.0
	v_fma_f64 v[7:8], v[7:8], v[9:10], v[7:8]
	v_fma_f64 v[9:10], -v[5:6], v[7:8], 1.0
	v_fma_f64 v[7:8], v[7:8], v[9:10], v[7:8]
	v_mul_f64 v[9:10], v[11:12], v[7:8]
	v_fma_f64 v[5:6], -v[5:6], v[9:10], v[11:12]
	v_div_fmas_f64 v[5:6], v[5:6], v[7:8], v[9:10]
	v_div_fixup_f64 v[5:6], v[5:6], v[3:4], v[1:2]
	v_fma_f64 v[1:2], v[1:2], v[5:6], v[3:4]
	v_div_scale_f64 v[3:4], null, v[1:2], v[1:2], 1.0
	v_rcp_f64_e32 v[7:8], v[3:4]
	v_fma_f64 v[9:10], -v[3:4], v[7:8], 1.0
	v_fma_f64 v[7:8], v[7:8], v[9:10], v[7:8]
	v_fma_f64 v[9:10], -v[3:4], v[7:8], 1.0
	v_fma_f64 v[7:8], v[7:8], v[9:10], v[7:8]
	v_div_scale_f64 v[9:10], vcc_lo, 1.0, v[1:2], 1.0
	v_mul_f64 v[11:12], v[9:10], v[7:8]
	v_fma_f64 v[3:4], -v[3:4], v[11:12], v[9:10]
	v_div_fmas_f64 v[3:4], v[3:4], v[7:8], v[11:12]
	v_div_fixup_f64 v[7:8], v[3:4], v[1:2], 1.0
                                        ; implicit-def: $vgpr1_vgpr2
	v_mul_f64 v[5:6], v[5:6], v[7:8]
	v_xor_b32_e32 v8, 0x80000000, v8
.LBB127_251:
	s_andn2_saveexec_b32 s5, s5
	s_cbranch_execz .LBB127_253
; %bb.252:
	v_div_scale_f64 v[5:6], null, v[1:2], v[1:2], v[3:4]
	v_div_scale_f64 v[11:12], vcc_lo, v[3:4], v[1:2], v[3:4]
	v_rcp_f64_e32 v[7:8], v[5:6]
	v_fma_f64 v[9:10], -v[5:6], v[7:8], 1.0
	v_fma_f64 v[7:8], v[7:8], v[9:10], v[7:8]
	v_fma_f64 v[9:10], -v[5:6], v[7:8], 1.0
	v_fma_f64 v[7:8], v[7:8], v[9:10], v[7:8]
	v_mul_f64 v[9:10], v[11:12], v[7:8]
	v_fma_f64 v[5:6], -v[5:6], v[9:10], v[11:12]
	v_div_fmas_f64 v[5:6], v[5:6], v[7:8], v[9:10]
	v_div_fixup_f64 v[7:8], v[5:6], v[1:2], v[3:4]
	v_fma_f64 v[1:2], v[3:4], v[7:8], v[1:2]
	v_div_scale_f64 v[3:4], null, v[1:2], v[1:2], 1.0
	v_rcp_f64_e32 v[5:6], v[3:4]
	v_fma_f64 v[9:10], -v[3:4], v[5:6], 1.0
	v_fma_f64 v[5:6], v[5:6], v[9:10], v[5:6]
	v_fma_f64 v[9:10], -v[3:4], v[5:6], 1.0
	v_fma_f64 v[5:6], v[5:6], v[9:10], v[5:6]
	v_div_scale_f64 v[9:10], vcc_lo, 1.0, v[1:2], 1.0
	v_mul_f64 v[11:12], v[9:10], v[5:6]
	v_fma_f64 v[3:4], -v[3:4], v[11:12], v[9:10]
	v_div_fmas_f64 v[3:4], v[3:4], v[5:6], v[11:12]
	v_div_fixup_f64 v[5:6], v[3:4], v[1:2], 1.0
	v_mul_f64 v[7:8], v[7:8], -v[5:6]
.LBB127_253:
	s_or_b32 exec_lo, exec_lo, s5
	ds_write2_b64 v23, v[5:6], v[7:8] offset1:1
.LBB127_254:
	s_or_b32 exec_lo, exec_lo, s6
	s_waitcnt lgkmcnt(0)
	s_barrier
	buffer_gl0_inv
	ds_read2_b64 v[77:80], v23 offset1:1
	s_mov_b32 s5, exec_lo
	v_cmpx_lt_u32_e32 19, v0
	s_cbranch_execz .LBB127_257
; %bb.255:
	s_clause 0x3
	buffer_load_dword v1, off, s[0:3], 0 offset:312
	buffer_load_dword v2, off, s[0:3], 0 offset:316
	;; [unrolled: 1-line block ×4, first 2 shown]
	s_movk_i32 s6, 0x140
	s_waitcnt vmcnt(2) lgkmcnt(0)
	v_mul_f64 v[5:6], v[79:80], v[1:2]
	v_mul_f64 v[1:2], v[77:78], v[1:2]
	s_waitcnt vmcnt(0)
	v_fma_f64 v[5:6], v[77:78], v[3:4], -v[5:6]
	v_fma_f64 v[1:2], v[79:80], v[3:4], v[1:2]
	buffer_store_dword v5, off, s[0:3], 0 offset:304
	buffer_store_dword v6, off, s[0:3], 0 offset:308
	;; [unrolled: 1-line block ×4, first 2 shown]
.LBB127_256:                            ; =>This Inner Loop Header: Depth=1
	s_clause 0x3
	buffer_load_dword v9, off, s[0:3], 0 offset:312
	buffer_load_dword v10, off, s[0:3], 0 offset:316
	;; [unrolled: 1-line block ×4, first 2 shown]
	v_mov_b32_e32 v19, s6
	v_add_nc_u32_e32 v20, s6, v24
	s_add_i32 s6, s6, 64
	s_clause 0x3
	buffer_load_dword v13, v19, s[0:3], 0 offen
	buffer_load_dword v14, v19, s[0:3], 0 offen offset:4
	buffer_load_dword v15, v19, s[0:3], 0 offen offset:8
	;; [unrolled: 1-line block ×3, first 2 shown]
	ds_read2_b64 v[1:4], v20 offset1:1
	ds_read2_b64 v[5:8], v20 offset0:2 offset1:3
	s_cmpk_lg_i32 s6, 0x400
	s_waitcnt vmcnt(6) lgkmcnt(1)
	v_mul_f64 v[17:18], v[3:4], v[9:10]
	v_mul_f64 v[9:10], v[1:2], v[9:10]
	s_waitcnt vmcnt(4)
	v_fma_f64 v[1:2], v[1:2], v[11:12], -v[17:18]
	v_fma_f64 v[3:4], v[3:4], v[11:12], v[9:10]
	s_clause 0x3
	buffer_load_dword v9, v19, s[0:3], 0 offen offset:16
	buffer_load_dword v10, v19, s[0:3], 0 offen offset:20
	buffer_load_dword v11, v19, s[0:3], 0 offen offset:24
	buffer_load_dword v12, v19, s[0:3], 0 offen offset:28
	s_waitcnt vmcnt(6)
	v_add_f64 v[1:2], v[13:14], -v[1:2]
	s_waitcnt vmcnt(4)
	v_add_f64 v[3:4], v[15:16], -v[3:4]
	buffer_store_dword v2, v19, s[0:3], 0 offen offset:4
	buffer_store_dword v1, v19, s[0:3], 0 offen
	buffer_store_dword v4, v19, s[0:3], 0 offen offset:12
	buffer_store_dword v3, v19, s[0:3], 0 offen offset:8
	s_clause 0x3
	buffer_load_dword v2, off, s[0:3], 0 offset:316
	buffer_load_dword v1, off, s[0:3], 0 offset:312
	;; [unrolled: 1-line block ×4, first 2 shown]
	s_waitcnt vmcnt(2) lgkmcnt(0)
	v_mul_f64 v[13:14], v[7:8], v[1:2]
	v_mul_f64 v[1:2], v[5:6], v[1:2]
	s_waitcnt vmcnt(0)
	v_fma_f64 v[5:6], v[5:6], v[3:4], -v[13:14]
	v_fma_f64 v[1:2], v[7:8], v[3:4], v[1:2]
	v_add_f64 v[3:4], v[9:10], -v[5:6]
	v_add_f64 v[1:2], v[11:12], -v[1:2]
	s_clause 0x3
	buffer_load_dword v9, v19, s[0:3], 0 offen offset:32
	buffer_load_dword v10, v19, s[0:3], 0 offen offset:36
	buffer_load_dword v11, v19, s[0:3], 0 offen offset:40
	buffer_load_dword v12, v19, s[0:3], 0 offen offset:44
	buffer_store_dword v4, v19, s[0:3], 0 offen offset:20
	buffer_store_dword v3, v19, s[0:3], 0 offen offset:16
	;; [unrolled: 1-line block ×4, first 2 shown]
	s_clause 0x3
	buffer_load_dword v13, off, s[0:3], 0 offset:312
	buffer_load_dword v14, off, s[0:3], 0 offset:316
	buffer_load_dword v15, off, s[0:3], 0 offset:304
	buffer_load_dword v16, off, s[0:3], 0 offset:308
	ds_read2_b64 v[1:4], v20 offset0:4 offset1:5
	ds_read2_b64 v[5:8], v20 offset0:6 offset1:7
	s_waitcnt vmcnt(2) lgkmcnt(1)
	v_mul_f64 v[17:18], v[3:4], v[13:14]
	v_mul_f64 v[13:14], v[1:2], v[13:14]
	s_waitcnt vmcnt(0)
	v_fma_f64 v[1:2], v[1:2], v[15:16], -v[17:18]
	v_fma_f64 v[3:4], v[3:4], v[15:16], v[13:14]
	v_add_f64 v[1:2], v[9:10], -v[1:2]
	v_add_f64 v[3:4], v[11:12], -v[3:4]
	buffer_store_dword v2, v19, s[0:3], 0 offen offset:36
	buffer_store_dword v1, v19, s[0:3], 0 offen offset:32
	;; [unrolled: 1-line block ×4, first 2 shown]
	s_clause 0x7
	buffer_load_dword v1, off, s[0:3], 0 offset:312
	buffer_load_dword v2, off, s[0:3], 0 offset:316
	;; [unrolled: 1-line block ×4, first 2 shown]
	buffer_load_dword v9, v19, s[0:3], 0 offen offset:48
	buffer_load_dword v10, v19, s[0:3], 0 offen offset:52
	;; [unrolled: 1-line block ×4, first 2 shown]
	s_waitcnt vmcnt(6) lgkmcnt(0)
	v_mul_f64 v[13:14], v[7:8], v[1:2]
	v_mul_f64 v[1:2], v[5:6], v[1:2]
	s_waitcnt vmcnt(4)
	v_fma_f64 v[5:6], v[5:6], v[3:4], -v[13:14]
	v_fma_f64 v[1:2], v[7:8], v[3:4], v[1:2]
	s_waitcnt vmcnt(2)
	v_add_f64 v[3:4], v[9:10], -v[5:6]
	s_waitcnt vmcnt(0)
	v_add_f64 v[1:2], v[11:12], -v[1:2]
	buffer_store_dword v4, v19, s[0:3], 0 offen offset:52
	buffer_store_dword v3, v19, s[0:3], 0 offen offset:48
	;; [unrolled: 1-line block ×4, first 2 shown]
	s_cbranch_scc1 .LBB127_256
.LBB127_257:
	s_or_b32 exec_lo, exec_lo, s5
	s_mov_b32 s6, exec_lo
	s_waitcnt lgkmcnt(0)
	s_waitcnt_vscnt null, 0x0
	s_barrier
	buffer_gl0_inv
	v_cmpx_eq_u32_e32 20, v0
	s_cbranch_execz .LBB127_268
; %bb.258:
	v_mov_b32_e32 v4, s59
	s_movk_i32 s5, 0x150
	s_clause 0x3
	buffer_load_dword v1, v4, s[0:3], 0 offen
	buffer_load_dword v2, v4, s[0:3], 0 offen offset:4
	buffer_load_dword v3, v4, s[0:3], 0 offen offset:8
	;; [unrolled: 1-line block ×3, first 2 shown]
	s_waitcnt vmcnt(0)
	ds_write2_b64 v23, v[1:2], v[3:4] offset1:1
	s_branch .LBB127_260
.LBB127_259:                            ;   in Loop: Header=BB127_260 Depth=1
	s_andn2_b32 vcc_lo, exec_lo, s8
	s_cbranch_vccz .LBB127_262
.LBB127_260:                            ; =>This Inner Loop Header: Depth=1
	v_mov_b32_e32 v1, s5
	s_mov_b32 s7, s5
	s_mov_b32 s8, -1
	s_cmpk_eq_i32 s5, 0x3d0
	s_clause 0xb
	buffer_load_dword v2, v1, s[0:3], 0 offen
	buffer_load_dword v3, v1, s[0:3], 0 offen offset:4
	buffer_load_dword v4, v1, s[0:3], 0 offen offset:8
	;; [unrolled: 1-line block ×11, first 2 shown]
	v_add_nc_u32_e32 v1, s5, v24
	s_waitcnt vmcnt(8)
	ds_write2_b64 v1, v[2:3], v[4:5] offset1:1
	s_waitcnt vmcnt(4)
	ds_write2_b64 v1, v[6:7], v[8:9] offset0:2 offset1:3
	s_waitcnt vmcnt(0)
	ds_write2_b64 v1, v[10:11], v[12:13] offset0:4 offset1:5
	s_cbranch_scc1 .LBB127_259
; %bb.261:                              ;   in Loop: Header=BB127_260 Depth=1
	v_mov_b32_e32 v20, s7
	s_addk_i32 s5, 0x80
	s_mov_b32 s8, 0
	s_clause 0x13
	buffer_load_dword v2, v20, s[0:3], 0 offen offset:48
	buffer_load_dword v3, v20, s[0:3], 0 offen offset:52
	;; [unrolled: 1-line block ×20, first 2 shown]
	s_waitcnt vmcnt(16)
	ds_write2_b64 v1, v[2:3], v[4:5] offset0:6 offset1:7
	s_waitcnt vmcnt(12)
	ds_write2_b64 v1, v[6:7], v[8:9] offset0:8 offset1:9
	;; [unrolled: 2-line block ×5, first 2 shown]
	s_branch .LBB127_259
.LBB127_262:
	ds_read2_b64 v[1:4], v23 offset1:1
	s_waitcnt lgkmcnt(0)
	v_cmp_neq_f64_e32 vcc_lo, 0, v[1:2]
	v_cmp_neq_f64_e64 s5, 0, v[3:4]
	s_or_b32 s5, vcc_lo, s5
	s_and_b32 exec_lo, exec_lo, s5
	s_cbranch_execz .LBB127_268
; %bb.263:
	v_cmp_ngt_f64_e64 s5, |v[1:2]|, |v[3:4]|
                                        ; implicit-def: $vgpr5_vgpr6
	s_and_saveexec_b32 s7, s5
	s_xor_b32 s5, exec_lo, s7
                                        ; implicit-def: $vgpr7_vgpr8
	s_cbranch_execz .LBB127_265
; %bb.264:
	v_div_scale_f64 v[5:6], null, v[3:4], v[3:4], v[1:2]
	v_div_scale_f64 v[11:12], vcc_lo, v[1:2], v[3:4], v[1:2]
	v_rcp_f64_e32 v[7:8], v[5:6]
	v_fma_f64 v[9:10], -v[5:6], v[7:8], 1.0
	v_fma_f64 v[7:8], v[7:8], v[9:10], v[7:8]
	v_fma_f64 v[9:10], -v[5:6], v[7:8], 1.0
	v_fma_f64 v[7:8], v[7:8], v[9:10], v[7:8]
	v_mul_f64 v[9:10], v[11:12], v[7:8]
	v_fma_f64 v[5:6], -v[5:6], v[9:10], v[11:12]
	v_div_fmas_f64 v[5:6], v[5:6], v[7:8], v[9:10]
	v_div_fixup_f64 v[5:6], v[5:6], v[3:4], v[1:2]
	v_fma_f64 v[1:2], v[1:2], v[5:6], v[3:4]
	v_div_scale_f64 v[3:4], null, v[1:2], v[1:2], 1.0
	v_rcp_f64_e32 v[7:8], v[3:4]
	v_fma_f64 v[9:10], -v[3:4], v[7:8], 1.0
	v_fma_f64 v[7:8], v[7:8], v[9:10], v[7:8]
	v_fma_f64 v[9:10], -v[3:4], v[7:8], 1.0
	v_fma_f64 v[7:8], v[7:8], v[9:10], v[7:8]
	v_div_scale_f64 v[9:10], vcc_lo, 1.0, v[1:2], 1.0
	v_mul_f64 v[11:12], v[9:10], v[7:8]
	v_fma_f64 v[3:4], -v[3:4], v[11:12], v[9:10]
	v_div_fmas_f64 v[3:4], v[3:4], v[7:8], v[11:12]
	v_div_fixup_f64 v[7:8], v[3:4], v[1:2], 1.0
                                        ; implicit-def: $vgpr1_vgpr2
	v_mul_f64 v[5:6], v[5:6], v[7:8]
	v_xor_b32_e32 v8, 0x80000000, v8
.LBB127_265:
	s_andn2_saveexec_b32 s5, s5
	s_cbranch_execz .LBB127_267
; %bb.266:
	v_div_scale_f64 v[5:6], null, v[1:2], v[1:2], v[3:4]
	v_div_scale_f64 v[11:12], vcc_lo, v[3:4], v[1:2], v[3:4]
	v_rcp_f64_e32 v[7:8], v[5:6]
	v_fma_f64 v[9:10], -v[5:6], v[7:8], 1.0
	v_fma_f64 v[7:8], v[7:8], v[9:10], v[7:8]
	v_fma_f64 v[9:10], -v[5:6], v[7:8], 1.0
	v_fma_f64 v[7:8], v[7:8], v[9:10], v[7:8]
	v_mul_f64 v[9:10], v[11:12], v[7:8]
	v_fma_f64 v[5:6], -v[5:6], v[9:10], v[11:12]
	v_div_fmas_f64 v[5:6], v[5:6], v[7:8], v[9:10]
	v_div_fixup_f64 v[7:8], v[5:6], v[1:2], v[3:4]
	v_fma_f64 v[1:2], v[3:4], v[7:8], v[1:2]
	v_div_scale_f64 v[3:4], null, v[1:2], v[1:2], 1.0
	v_rcp_f64_e32 v[5:6], v[3:4]
	v_fma_f64 v[9:10], -v[3:4], v[5:6], 1.0
	v_fma_f64 v[5:6], v[5:6], v[9:10], v[5:6]
	v_fma_f64 v[9:10], -v[3:4], v[5:6], 1.0
	v_fma_f64 v[5:6], v[5:6], v[9:10], v[5:6]
	v_div_scale_f64 v[9:10], vcc_lo, 1.0, v[1:2], 1.0
	v_mul_f64 v[11:12], v[9:10], v[5:6]
	v_fma_f64 v[3:4], -v[3:4], v[11:12], v[9:10]
	v_div_fmas_f64 v[3:4], v[3:4], v[5:6], v[11:12]
	v_div_fixup_f64 v[5:6], v[3:4], v[1:2], 1.0
	v_mul_f64 v[7:8], v[7:8], -v[5:6]
.LBB127_267:
	s_or_b32 exec_lo, exec_lo, s5
	ds_write2_b64 v23, v[5:6], v[7:8] offset1:1
.LBB127_268:
	s_or_b32 exec_lo, exec_lo, s6
	s_waitcnt lgkmcnt(0)
	s_barrier
	buffer_gl0_inv
	ds_read2_b64 v[81:84], v23 offset1:1
	s_mov_b32 s5, exec_lo
	v_cmpx_lt_u32_e32 20, v0
	s_cbranch_execz .LBB127_273
; %bb.269:
	s_clause 0x3
	buffer_load_dword v1, off, s[0:3], 0 offset:328
	buffer_load_dword v2, off, s[0:3], 0 offset:332
	;; [unrolled: 1-line block ×4, first 2 shown]
	s_movk_i32 s6, 0x150
	s_waitcnt vmcnt(2) lgkmcnt(0)
	v_mul_f64 v[5:6], v[83:84], v[1:2]
	v_mul_f64 v[7:8], v[81:82], v[1:2]
	s_waitcnt vmcnt(0)
	v_fma_f64 v[1:2], v[81:82], v[3:4], -v[5:6]
	v_fma_f64 v[3:4], v[83:84], v[3:4], v[7:8]
	buffer_store_dword v1, off, s[0:3], 0 offset:320
	buffer_store_dword v2, off, s[0:3], 0 offset:324
	;; [unrolled: 1-line block ×4, first 2 shown]
	s_branch .LBB127_271
.LBB127_270:                            ;   in Loop: Header=BB127_271 Depth=1
	s_andn2_b32 vcc_lo, exec_lo, s8
	s_cbranch_vccz .LBB127_273
.LBB127_271:                            ; =>This Inner Loop Header: Depth=1
	v_mov_b32_e32 v21, s6
	v_add_nc_u32_e32 v5, s6, v24
	s_mov_b32 s7, s6
	s_mov_b32 s8, -1
	s_cmpk_eq_i32 s6, 0x3d0
	s_clause 0x3
	buffer_load_dword v14, v21, s[0:3], 0 offen
	buffer_load_dword v15, v21, s[0:3], 0 offen offset:4
	buffer_load_dword v16, v21, s[0:3], 0 offen offset:8
	buffer_load_dword v17, v21, s[0:3], 0 offen offset:12
	ds_read2_b64 v[6:9], v5 offset1:1
	ds_read2_b64 v[10:13], v5 offset0:2 offset1:3
	s_waitcnt vmcnt(5) lgkmcnt(1)
	v_mul_f64 v[18:19], v[8:9], v[3:4]
	v_mul_f64 v[3:4], v[6:7], v[3:4]
	s_waitcnt vmcnt(4)
	v_fma_f64 v[6:7], v[6:7], v[1:2], -v[18:19]
	v_fma_f64 v[1:2], v[8:9], v[1:2], v[3:4]
	s_clause 0x2
	buffer_load_dword v3, v21, s[0:3], 0 offen offset:20
	buffer_load_dword v8, v21, s[0:3], 0 offen offset:28
	;; [unrolled: 1-line block ×3, first 2 shown]
	s_waitcnt vmcnt(5)
	v_add_f64 v[6:7], v[14:15], -v[6:7]
	s_waitcnt vmcnt(3)
	v_add_f64 v[1:2], v[16:17], -v[1:2]
	buffer_store_dword v7, v21, s[0:3], 0 offen offset:4
	buffer_store_dword v6, v21, s[0:3], 0 offen
	buffer_store_dword v2, v21, s[0:3], 0 offen offset:12
	buffer_store_dword v1, v21, s[0:3], 0 offen offset:8
	s_clause 0x6
	buffer_load_dword v7, v21, s[0:3], 0 offen offset:24
	buffer_load_dword v14, v21, s[0:3], 0 offen offset:36
	buffer_load_dword v16, off, s[0:3], 0 offset:332
	buffer_load_dword v15, off, s[0:3], 0 offset:328
	;; [unrolled: 1-line block ×4, first 2 shown]
	buffer_load_dword v2, v21, s[0:3], 0 offen offset:16
	s_waitcnt vmcnt(3) lgkmcnt(0)
	v_mul_f64 v[19:20], v[12:13], v[15:16]
	v_mul_f64 v[15:16], v[10:11], v[15:16]
	s_waitcnt vmcnt(1)
	v_fma_f64 v[10:11], v[10:11], v[17:18], -v[19:20]
	v_fma_f64 v[12:13], v[12:13], v[17:18], v[15:16]
	s_waitcnt vmcnt(0)
	v_add_f64 v[1:2], v[2:3], -v[10:11]
	v_add_f64 v[3:4], v[7:8], -v[12:13]
	buffer_store_dword v2, v21, s[0:3], 0 offen offset:20
	buffer_store_dword v1, v21, s[0:3], 0 offen offset:16
	buffer_store_dword v4, v21, s[0:3], 0 offen offset:28
	buffer_store_dword v3, v21, s[0:3], 0 offen offset:24
	s_clause 0x5
	buffer_load_dword v10, v21, s[0:3], 0 offen offset:44
	buffer_load_dword v6, off, s[0:3], 0 offset:328
	buffer_load_dword v7, off, s[0:3], 0 offset:332
	buffer_load_dword v11, off, s[0:3], 0 offset:320
	buffer_load_dword v12, off, s[0:3], 0 offset:324
	buffer_load_dword v13, v21, s[0:3], 0 offen offset:32
	ds_read2_b64 v[1:4], v5 offset0:4 offset1:5
	s_waitcnt vmcnt(3) lgkmcnt(0)
	v_mul_f64 v[15:16], v[3:4], v[6:7]
	v_mul_f64 v[6:7], v[1:2], v[6:7]
	s_waitcnt vmcnt(1)
	v_fma_f64 v[1:2], v[1:2], v[11:12], -v[15:16]
	v_fma_f64 v[3:4], v[3:4], v[11:12], v[6:7]
	s_waitcnt vmcnt(0)
	v_add_f64 v[1:2], v[13:14], -v[1:2]
	v_add_f64 v[3:4], v[9:10], -v[3:4]
	buffer_store_dword v2, v21, s[0:3], 0 offen offset:36
	buffer_store_dword v1, v21, s[0:3], 0 offen offset:32
	;; [unrolled: 1-line block ×4, first 2 shown]
                                        ; implicit-def: $vgpr1_vgpr2
                                        ; implicit-def: $vgpr3_vgpr4
	s_cbranch_scc1 .LBB127_270
; %bb.272:                              ;   in Loop: Header=BB127_271 Depth=1
	s_clause 0x3
	buffer_load_dword v6, off, s[0:3], 0 offset:328
	buffer_load_dword v7, off, s[0:3], 0 offset:332
	;; [unrolled: 1-line block ×4, first 2 shown]
	v_mov_b32_e32 v16, s7
	s_add_i32 s6, s6, 64
	s_mov_b32 s8, 0
	s_clause 0x3
	buffer_load_dword v10, v16, s[0:3], 0 offen offset:48
	buffer_load_dword v11, v16, s[0:3], 0 offen offset:52
	;; [unrolled: 1-line block ×4, first 2 shown]
	ds_read2_b64 v[1:4], v5 offset0:6 offset1:7
	s_waitcnt vmcnt(6) lgkmcnt(0)
	v_mul_f64 v[14:15], v[3:4], v[6:7]
	v_mul_f64 v[5:6], v[1:2], v[6:7]
	s_waitcnt vmcnt(4)
	v_fma_f64 v[1:2], v[1:2], v[8:9], -v[14:15]
	v_fma_f64 v[3:4], v[3:4], v[8:9], v[5:6]
	s_waitcnt vmcnt(2)
	v_add_f64 v[1:2], v[10:11], -v[1:2]
	s_waitcnt vmcnt(0)
	v_add_f64 v[3:4], v[12:13], -v[3:4]
	buffer_store_dword v2, v16, s[0:3], 0 offen offset:52
	buffer_store_dword v1, v16, s[0:3], 0 offen offset:48
	;; [unrolled: 1-line block ×4, first 2 shown]
	s_clause 0x3
	buffer_load_dword v2, off, s[0:3], 0 offset:324
	buffer_load_dword v4, off, s[0:3], 0 offset:332
	;; [unrolled: 1-line block ×4, first 2 shown]
	s_branch .LBB127_270
.LBB127_273:
	s_or_b32 exec_lo, exec_lo, s5
	s_mov_b32 s6, exec_lo
	s_waitcnt vmcnt(0) lgkmcnt(0)
	s_waitcnt_vscnt null, 0x0
	s_barrier
	buffer_gl0_inv
	v_cmpx_eq_u32_e32 21, v0
	s_cbranch_execz .LBB127_282
; %bb.274:
	v_mov_b32_e32 v4, s58
	s_movk_i32 s5, 0x160
	s_clause 0x3
	buffer_load_dword v1, v4, s[0:3], 0 offen
	buffer_load_dword v2, v4, s[0:3], 0 offen offset:4
	buffer_load_dword v3, v4, s[0:3], 0 offen offset:8
	;; [unrolled: 1-line block ×3, first 2 shown]
	s_waitcnt vmcnt(0)
	ds_write2_b64 v23, v[1:2], v[3:4] offset1:1
.LBB127_275:                            ; =>This Inner Loop Header: Depth=1
	v_mov_b32_e32 v17, s5
	v_add_nc_u32_e32 v18, s5, v24
	s_addk_i32 s5, 0xe0
	s_clause 0xf
	buffer_load_dword v1, v17, s[0:3], 0 offen
	buffer_load_dword v2, v17, s[0:3], 0 offen offset:4
	buffer_load_dword v3, v17, s[0:3], 0 offen offset:8
	;; [unrolled: 1-line block ×15, first 2 shown]
	s_cmpk_lg_i32 s5, 0x400
	s_waitcnt vmcnt(12)
	ds_write2_b64 v18, v[1:2], v[3:4] offset1:1
	s_waitcnt vmcnt(8)
	ds_write2_b64 v18, v[5:6], v[7:8] offset0:2 offset1:3
	s_waitcnt vmcnt(4)
	ds_write2_b64 v18, v[9:10], v[11:12] offset0:4 offset1:5
	;; [unrolled: 2-line block ×3, first 2 shown]
	s_clause 0x3
	buffer_load_dword v2, v17, s[0:3], 0 offen offset:76
	buffer_load_dword v1, v17, s[0:3], 0 offen offset:72
	buffer_load_dword v4, v17, s[0:3], 0 offen offset:68
	buffer_load_dword v3, v17, s[0:3], 0 offen offset:64
	s_waitcnt vmcnt(0)
	ds_write2_b64 v18, v[3:4], v[1:2] offset0:8 offset1:9
	s_clause 0x3
	buffer_load_dword v2, v17, s[0:3], 0 offen offset:92
	buffer_load_dword v1, v17, s[0:3], 0 offen offset:88
	buffer_load_dword v4, v17, s[0:3], 0 offen offset:84
	buffer_load_dword v3, v17, s[0:3], 0 offen offset:80
	s_waitcnt vmcnt(0)
	ds_write2_b64 v18, v[3:4], v[1:2] offset0:10 offset1:11
	;; [unrolled: 7-line block ×10, first 2 shown]
	s_cbranch_scc1 .LBB127_275
; %bb.276:
	ds_read2_b64 v[1:4], v23 offset1:1
	s_waitcnt lgkmcnt(0)
	v_cmp_neq_f64_e32 vcc_lo, 0, v[1:2]
	v_cmp_neq_f64_e64 s5, 0, v[3:4]
	s_or_b32 s5, vcc_lo, s5
	s_and_b32 exec_lo, exec_lo, s5
	s_cbranch_execz .LBB127_282
; %bb.277:
	v_cmp_ngt_f64_e64 s5, |v[1:2]|, |v[3:4]|
                                        ; implicit-def: $vgpr5_vgpr6
	s_and_saveexec_b32 s7, s5
	s_xor_b32 s5, exec_lo, s7
                                        ; implicit-def: $vgpr7_vgpr8
	s_cbranch_execz .LBB127_279
; %bb.278:
	v_div_scale_f64 v[5:6], null, v[3:4], v[3:4], v[1:2]
	v_div_scale_f64 v[11:12], vcc_lo, v[1:2], v[3:4], v[1:2]
	v_rcp_f64_e32 v[7:8], v[5:6]
	v_fma_f64 v[9:10], -v[5:6], v[7:8], 1.0
	v_fma_f64 v[7:8], v[7:8], v[9:10], v[7:8]
	v_fma_f64 v[9:10], -v[5:6], v[7:8], 1.0
	v_fma_f64 v[7:8], v[7:8], v[9:10], v[7:8]
	v_mul_f64 v[9:10], v[11:12], v[7:8]
	v_fma_f64 v[5:6], -v[5:6], v[9:10], v[11:12]
	v_div_fmas_f64 v[5:6], v[5:6], v[7:8], v[9:10]
	v_div_fixup_f64 v[5:6], v[5:6], v[3:4], v[1:2]
	v_fma_f64 v[1:2], v[1:2], v[5:6], v[3:4]
	v_div_scale_f64 v[3:4], null, v[1:2], v[1:2], 1.0
	v_rcp_f64_e32 v[7:8], v[3:4]
	v_fma_f64 v[9:10], -v[3:4], v[7:8], 1.0
	v_fma_f64 v[7:8], v[7:8], v[9:10], v[7:8]
	v_fma_f64 v[9:10], -v[3:4], v[7:8], 1.0
	v_fma_f64 v[7:8], v[7:8], v[9:10], v[7:8]
	v_div_scale_f64 v[9:10], vcc_lo, 1.0, v[1:2], 1.0
	v_mul_f64 v[11:12], v[9:10], v[7:8]
	v_fma_f64 v[3:4], -v[3:4], v[11:12], v[9:10]
	v_div_fmas_f64 v[3:4], v[3:4], v[7:8], v[11:12]
	v_div_fixup_f64 v[7:8], v[3:4], v[1:2], 1.0
                                        ; implicit-def: $vgpr1_vgpr2
	v_mul_f64 v[5:6], v[5:6], v[7:8]
	v_xor_b32_e32 v8, 0x80000000, v8
.LBB127_279:
	s_andn2_saveexec_b32 s5, s5
	s_cbranch_execz .LBB127_281
; %bb.280:
	v_div_scale_f64 v[5:6], null, v[1:2], v[1:2], v[3:4]
	v_div_scale_f64 v[11:12], vcc_lo, v[3:4], v[1:2], v[3:4]
	v_rcp_f64_e32 v[7:8], v[5:6]
	v_fma_f64 v[9:10], -v[5:6], v[7:8], 1.0
	v_fma_f64 v[7:8], v[7:8], v[9:10], v[7:8]
	v_fma_f64 v[9:10], -v[5:6], v[7:8], 1.0
	v_fma_f64 v[7:8], v[7:8], v[9:10], v[7:8]
	v_mul_f64 v[9:10], v[11:12], v[7:8]
	v_fma_f64 v[5:6], -v[5:6], v[9:10], v[11:12]
	v_div_fmas_f64 v[5:6], v[5:6], v[7:8], v[9:10]
	v_div_fixup_f64 v[7:8], v[5:6], v[1:2], v[3:4]
	v_fma_f64 v[1:2], v[3:4], v[7:8], v[1:2]
	v_div_scale_f64 v[3:4], null, v[1:2], v[1:2], 1.0
	v_rcp_f64_e32 v[5:6], v[3:4]
	v_fma_f64 v[9:10], -v[3:4], v[5:6], 1.0
	v_fma_f64 v[5:6], v[5:6], v[9:10], v[5:6]
	v_fma_f64 v[9:10], -v[3:4], v[5:6], 1.0
	v_fma_f64 v[5:6], v[5:6], v[9:10], v[5:6]
	v_div_scale_f64 v[9:10], vcc_lo, 1.0, v[1:2], 1.0
	v_mul_f64 v[11:12], v[9:10], v[5:6]
	v_fma_f64 v[3:4], -v[3:4], v[11:12], v[9:10]
	v_div_fmas_f64 v[3:4], v[3:4], v[5:6], v[11:12]
	v_div_fixup_f64 v[5:6], v[3:4], v[1:2], 1.0
	v_mul_f64 v[7:8], v[7:8], -v[5:6]
.LBB127_281:
	s_or_b32 exec_lo, exec_lo, s5
	ds_write2_b64 v23, v[5:6], v[7:8] offset1:1
.LBB127_282:
	s_or_b32 exec_lo, exec_lo, s6
	s_waitcnt lgkmcnt(0)
	s_barrier
	buffer_gl0_inv
	ds_read2_b64 v[5:8], v23 offset1:1
	s_mov_b32 s5, exec_lo
	v_cmpx_lt_u32_e32 21, v0
	s_cbranch_execz .LBB127_285
; %bb.283:
	s_clause 0x3
	buffer_load_dword v1, off, s[0:3], 0 offset:344
	buffer_load_dword v2, off, s[0:3], 0 offset:348
	;; [unrolled: 1-line block ×4, first 2 shown]
	s_movk_i32 s6, 0x160
	s_waitcnt vmcnt(2) lgkmcnt(0)
	v_mul_f64 v[9:10], v[7:8], v[1:2]
	v_mul_f64 v[1:2], v[5:6], v[1:2]
	s_waitcnt vmcnt(0)
	v_fma_f64 v[9:10], v[5:6], v[3:4], -v[9:10]
	v_fma_f64 v[1:2], v[7:8], v[3:4], v[1:2]
	buffer_store_dword v9, off, s[0:3], 0 offset:336
	buffer_store_dword v10, off, s[0:3], 0 offset:340
	;; [unrolled: 1-line block ×4, first 2 shown]
.LBB127_284:                            ; =>This Inner Loop Header: Depth=1
	s_clause 0x3
	buffer_load_dword v13, off, s[0:3], 0 offset:344
	buffer_load_dword v14, off, s[0:3], 0 offset:348
	;; [unrolled: 1-line block ×4, first 2 shown]
	v_mov_b32_e32 v25, s6
	v_add_nc_u32_e32 v26, s6, v24
	s_addk_i32 s6, 0x70
	s_clause 0x3
	buffer_load_dword v17, v25, s[0:3], 0 offen
	buffer_load_dword v18, v25, s[0:3], 0 offen offset:4
	buffer_load_dword v19, v25, s[0:3], 0 offen offset:8
	;; [unrolled: 1-line block ×3, first 2 shown]
	ds_read2_b64 v[1:4], v26 offset1:1
	s_clause 0x3
	buffer_load_dword v21, v25, s[0:3], 0 offen offset:16
	buffer_load_dword v22, v25, s[0:3], 0 offen offset:20
	;; [unrolled: 1-line block ×4, first 2 shown]
	ds_read2_b64 v[9:12], v26 offset0:2 offset1:3
	s_cmpk_lg_i32 s6, 0x400
	s_waitcnt vmcnt(10) lgkmcnt(1)
	v_mul_f64 v[96:97], v[3:4], v[13:14]
	v_mul_f64 v[13:14], v[1:2], v[13:14]
	s_waitcnt vmcnt(8)
	v_fma_f64 v[1:2], v[1:2], v[15:16], -v[96:97]
	v_fma_f64 v[3:4], v[3:4], v[15:16], v[13:14]
	s_waitcnt vmcnt(6)
	v_add_f64 v[1:2], v[17:18], -v[1:2]
	s_waitcnt vmcnt(4)
	v_add_f64 v[3:4], v[19:20], -v[3:4]
	buffer_store_dword v2, v25, s[0:3], 0 offen offset:4
	buffer_store_dword v1, v25, s[0:3], 0 offen
	buffer_store_dword v4, v25, s[0:3], 0 offen offset:12
	buffer_store_dword v3, v25, s[0:3], 0 offen offset:8
	s_clause 0x7
	buffer_load_dword v2, off, s[0:3], 0 offset:348
	buffer_load_dword v1, off, s[0:3], 0 offset:344
	;; [unrolled: 1-line block ×4, first 2 shown]
	buffer_load_dword v13, v25, s[0:3], 0 offen offset:32
	buffer_load_dword v14, v25, s[0:3], 0 offen offset:36
	;; [unrolled: 1-line block ×4, first 2 shown]
	s_waitcnt vmcnt(6) lgkmcnt(0)
	v_mul_f64 v[17:18], v[11:12], v[1:2]
	v_mul_f64 v[1:2], v[9:10], v[1:2]
	s_waitcnt vmcnt(4)
	v_fma_f64 v[9:10], v[9:10], v[3:4], -v[17:18]
	v_fma_f64 v[1:2], v[11:12], v[3:4], v[1:2]
	v_add_f64 v[3:4], v[21:22], -v[9:10]
	v_add_f64 v[1:2], v[85:86], -v[1:2]
	buffer_store_dword v4, v25, s[0:3], 0 offen offset:20
	buffer_store_dword v3, v25, s[0:3], 0 offen offset:16
	;; [unrolled: 1-line block ×4, first 2 shown]
	s_clause 0x3
	buffer_load_dword v17, off, s[0:3], 0 offset:344
	buffer_load_dword v18, off, s[0:3], 0 offset:348
	;; [unrolled: 1-line block ×4, first 2 shown]
	ds_read2_b64 v[1:4], v26 offset0:4 offset1:5
	ds_read2_b64 v[9:12], v26 offset0:6 offset1:7
	s_waitcnt vmcnt(2) lgkmcnt(1)
	v_mul_f64 v[21:22], v[3:4], v[17:18]
	v_mul_f64 v[17:18], v[1:2], v[17:18]
	s_waitcnt vmcnt(0)
	v_fma_f64 v[1:2], v[1:2], v[19:20], -v[21:22]
	v_fma_f64 v[3:4], v[3:4], v[19:20], v[17:18]
	v_add_f64 v[1:2], v[13:14], -v[1:2]
	v_add_f64 v[3:4], v[15:16], -v[3:4]
	buffer_store_dword v2, v25, s[0:3], 0 offen offset:36
	buffer_store_dword v1, v25, s[0:3], 0 offen offset:32
	;; [unrolled: 1-line block ×4, first 2 shown]
	s_clause 0x7
	buffer_load_dword v1, off, s[0:3], 0 offset:344
	buffer_load_dword v2, off, s[0:3], 0 offset:348
	;; [unrolled: 1-line block ×4, first 2 shown]
	buffer_load_dword v13, v25, s[0:3], 0 offen offset:48
	buffer_load_dword v14, v25, s[0:3], 0 offen offset:52
	;; [unrolled: 1-line block ×4, first 2 shown]
	s_waitcnt vmcnt(6) lgkmcnt(0)
	v_mul_f64 v[17:18], v[11:12], v[1:2]
	v_mul_f64 v[1:2], v[9:10], v[1:2]
	s_waitcnt vmcnt(4)
	v_fma_f64 v[9:10], v[9:10], v[3:4], -v[17:18]
	v_fma_f64 v[1:2], v[11:12], v[3:4], v[1:2]
	s_waitcnt vmcnt(2)
	v_add_f64 v[3:4], v[13:14], -v[9:10]
	s_waitcnt vmcnt(0)
	v_add_f64 v[1:2], v[15:16], -v[1:2]
	buffer_store_dword v4, v25, s[0:3], 0 offen offset:52
	buffer_store_dword v3, v25, s[0:3], 0 offen offset:48
	;; [unrolled: 1-line block ×4, first 2 shown]
	s_clause 0x7
	buffer_load_dword v13, off, s[0:3], 0 offset:344
	buffer_load_dword v14, off, s[0:3], 0 offset:348
	;; [unrolled: 1-line block ×4, first 2 shown]
	buffer_load_dword v17, v25, s[0:3], 0 offen offset:64
	buffer_load_dword v18, v25, s[0:3], 0 offen offset:68
	;; [unrolled: 1-line block ×4, first 2 shown]
	ds_read2_b64 v[1:4], v26 offset0:8 offset1:9
	ds_read2_b64 v[9:12], v26 offset0:10 offset1:11
	s_waitcnt vmcnt(6) lgkmcnt(1)
	v_mul_f64 v[21:22], v[3:4], v[13:14]
	v_mul_f64 v[13:14], v[1:2], v[13:14]
	s_waitcnt vmcnt(4)
	v_fma_f64 v[1:2], v[1:2], v[15:16], -v[21:22]
	v_fma_f64 v[3:4], v[3:4], v[15:16], v[13:14]
	s_waitcnt vmcnt(2)
	v_add_f64 v[1:2], v[17:18], -v[1:2]
	s_waitcnt vmcnt(0)
	v_add_f64 v[3:4], v[19:20], -v[3:4]
	buffer_store_dword v2, v25, s[0:3], 0 offen offset:68
	buffer_store_dword v1, v25, s[0:3], 0 offen offset:64
	;; [unrolled: 1-line block ×4, first 2 shown]
	s_clause 0x7
	buffer_load_dword v1, off, s[0:3], 0 offset:344
	buffer_load_dword v2, off, s[0:3], 0 offset:348
	;; [unrolled: 1-line block ×4, first 2 shown]
	buffer_load_dword v13, v25, s[0:3], 0 offen offset:80
	buffer_load_dword v14, v25, s[0:3], 0 offen offset:84
	;; [unrolled: 1-line block ×4, first 2 shown]
	s_waitcnt vmcnt(6) lgkmcnt(0)
	v_mul_f64 v[17:18], v[11:12], v[1:2]
	v_mul_f64 v[1:2], v[9:10], v[1:2]
	s_waitcnt vmcnt(4)
	v_fma_f64 v[9:10], v[9:10], v[3:4], -v[17:18]
	v_fma_f64 v[1:2], v[11:12], v[3:4], v[1:2]
	s_waitcnt vmcnt(2)
	v_add_f64 v[3:4], v[13:14], -v[9:10]
	s_waitcnt vmcnt(0)
	v_add_f64 v[1:2], v[15:16], -v[1:2]
	buffer_store_dword v4, v25, s[0:3], 0 offen offset:84
	buffer_store_dword v3, v25, s[0:3], 0 offen offset:80
	;; [unrolled: 1-line block ×4, first 2 shown]
	s_clause 0x7
	buffer_load_dword v9, off, s[0:3], 0 offset:344
	buffer_load_dword v10, off, s[0:3], 0 offset:348
	;; [unrolled: 1-line block ×4, first 2 shown]
	buffer_load_dword v13, v25, s[0:3], 0 offen offset:96
	buffer_load_dword v14, v25, s[0:3], 0 offen offset:100
	;; [unrolled: 1-line block ×4, first 2 shown]
	ds_read2_b64 v[1:4], v26 offset0:12 offset1:13
	s_waitcnt vmcnt(6) lgkmcnt(0)
	v_mul_f64 v[17:18], v[3:4], v[9:10]
	v_mul_f64 v[9:10], v[1:2], v[9:10]
	s_waitcnt vmcnt(4)
	v_fma_f64 v[1:2], v[1:2], v[11:12], -v[17:18]
	v_fma_f64 v[3:4], v[3:4], v[11:12], v[9:10]
	s_waitcnt vmcnt(2)
	v_add_f64 v[1:2], v[13:14], -v[1:2]
	s_waitcnt vmcnt(0)
	v_add_f64 v[3:4], v[15:16], -v[3:4]
	buffer_store_dword v2, v25, s[0:3], 0 offen offset:100
	buffer_store_dword v1, v25, s[0:3], 0 offen offset:96
	;; [unrolled: 1-line block ×4, first 2 shown]
	s_cbranch_scc1 .LBB127_284
.LBB127_285:
	s_or_b32 exec_lo, exec_lo, s5
	s_mov_b32 s6, exec_lo
	s_waitcnt lgkmcnt(0)
	s_waitcnt_vscnt null, 0x0
	s_barrier
	buffer_gl0_inv
	v_cmpx_eq_u32_e32 22, v0
	s_cbranch_execz .LBB127_296
; %bb.286:
	v_mov_b32_e32 v4, s57
	s_movk_i32 s5, 0x170
	s_clause 0x3
	buffer_load_dword v1, v4, s[0:3], 0 offen
	buffer_load_dword v2, v4, s[0:3], 0 offen offset:4
	buffer_load_dword v3, v4, s[0:3], 0 offen offset:8
	;; [unrolled: 1-line block ×3, first 2 shown]
	s_waitcnt vmcnt(0)
	ds_write2_b64 v23, v[1:2], v[3:4] offset1:1
	s_branch .LBB127_288
.LBB127_287:                            ;   in Loop: Header=BB127_288 Depth=1
	s_andn2_b32 vcc_lo, exec_lo, s8
	s_cbranch_vccz .LBB127_290
.LBB127_288:                            ; =>This Inner Loop Header: Depth=1
	v_mov_b32_e32 v1, s5
	s_mov_b32 s7, s5
	s_cmpk_eq_i32 s5, 0x3f0
	s_mov_b32 s8, -1
	s_clause 0x3
	buffer_load_dword v2, v1, s[0:3], 0 offen
	buffer_load_dword v3, v1, s[0:3], 0 offen offset:4
	buffer_load_dword v9, v1, s[0:3], 0 offen offset:8
	buffer_load_dword v10, v1, s[0:3], 0 offen offset:12
	v_add_nc_u32_e32 v1, s5, v24
	s_waitcnt vmcnt(0)
	ds_write2_b64 v1, v[2:3], v[9:10] offset1:1
	s_cbranch_scc1 .LBB127_287
; %bb.289:                              ;   in Loop: Header=BB127_288 Depth=1
	v_mov_b32_e32 v4, s7
	s_addk_i32 s5, 0x80
	s_mov_b32 s8, 0
	s_clause 0x1b
	buffer_load_dword v2, v4, s[0:3], 0 offen offset:16
	buffer_load_dword v3, v4, s[0:3], 0 offen offset:20
	;; [unrolled: 1-line block ×28, first 2 shown]
	s_waitcnt vmcnt(24)
	ds_write2_b64 v1, v[2:3], v[9:10] offset0:2 offset1:3
	s_waitcnt vmcnt(20)
	ds_write2_b64 v1, v[11:12], v[13:14] offset0:4 offset1:5
	;; [unrolled: 2-line block ×5, first 2 shown]
	ds_write2_b64 v1, v[98:99], v[96:97] offset0:12 offset1:13
	s_waitcnt vmcnt(0)
	ds_write2_b64 v1, v[104:105], v[102:103] offset0:14 offset1:15
	s_branch .LBB127_287
.LBB127_290:
	ds_read2_b64 v[1:4], v23 offset1:1
	s_waitcnt lgkmcnt(0)
	v_cmp_neq_f64_e32 vcc_lo, 0, v[1:2]
	v_cmp_neq_f64_e64 s5, 0, v[3:4]
	s_or_b32 s5, vcc_lo, s5
	s_and_b32 exec_lo, exec_lo, s5
	s_cbranch_execz .LBB127_296
; %bb.291:
	v_cmp_ngt_f64_e64 s5, |v[1:2]|, |v[3:4]|
                                        ; implicit-def: $vgpr9_vgpr10
	s_and_saveexec_b32 s7, s5
	s_xor_b32 s5, exec_lo, s7
                                        ; implicit-def: $vgpr11_vgpr12
	s_cbranch_execz .LBB127_293
; %bb.292:
	v_div_scale_f64 v[9:10], null, v[3:4], v[3:4], v[1:2]
	v_div_scale_f64 v[15:16], vcc_lo, v[1:2], v[3:4], v[1:2]
	v_rcp_f64_e32 v[11:12], v[9:10]
	v_fma_f64 v[13:14], -v[9:10], v[11:12], 1.0
	v_fma_f64 v[11:12], v[11:12], v[13:14], v[11:12]
	v_fma_f64 v[13:14], -v[9:10], v[11:12], 1.0
	v_fma_f64 v[11:12], v[11:12], v[13:14], v[11:12]
	v_mul_f64 v[13:14], v[15:16], v[11:12]
	v_fma_f64 v[9:10], -v[9:10], v[13:14], v[15:16]
	v_div_fmas_f64 v[9:10], v[9:10], v[11:12], v[13:14]
	v_div_fixup_f64 v[9:10], v[9:10], v[3:4], v[1:2]
	v_fma_f64 v[1:2], v[1:2], v[9:10], v[3:4]
	v_div_scale_f64 v[3:4], null, v[1:2], v[1:2], 1.0
	v_rcp_f64_e32 v[11:12], v[3:4]
	v_fma_f64 v[13:14], -v[3:4], v[11:12], 1.0
	v_fma_f64 v[11:12], v[11:12], v[13:14], v[11:12]
	v_fma_f64 v[13:14], -v[3:4], v[11:12], 1.0
	v_fma_f64 v[11:12], v[11:12], v[13:14], v[11:12]
	v_div_scale_f64 v[13:14], vcc_lo, 1.0, v[1:2], 1.0
	v_mul_f64 v[15:16], v[13:14], v[11:12]
	v_fma_f64 v[3:4], -v[3:4], v[15:16], v[13:14]
	v_div_fmas_f64 v[3:4], v[3:4], v[11:12], v[15:16]
	v_div_fixup_f64 v[11:12], v[3:4], v[1:2], 1.0
                                        ; implicit-def: $vgpr1_vgpr2
	v_mul_f64 v[9:10], v[9:10], v[11:12]
	v_xor_b32_e32 v12, 0x80000000, v12
.LBB127_293:
	s_andn2_saveexec_b32 s5, s5
	s_cbranch_execz .LBB127_295
; %bb.294:
	v_div_scale_f64 v[9:10], null, v[1:2], v[1:2], v[3:4]
	v_div_scale_f64 v[15:16], vcc_lo, v[3:4], v[1:2], v[3:4]
	v_rcp_f64_e32 v[11:12], v[9:10]
	v_fma_f64 v[13:14], -v[9:10], v[11:12], 1.0
	v_fma_f64 v[11:12], v[11:12], v[13:14], v[11:12]
	v_fma_f64 v[13:14], -v[9:10], v[11:12], 1.0
	v_fma_f64 v[11:12], v[11:12], v[13:14], v[11:12]
	v_mul_f64 v[13:14], v[15:16], v[11:12]
	v_fma_f64 v[9:10], -v[9:10], v[13:14], v[15:16]
	v_div_fmas_f64 v[9:10], v[9:10], v[11:12], v[13:14]
	v_div_fixup_f64 v[11:12], v[9:10], v[1:2], v[3:4]
	v_fma_f64 v[1:2], v[3:4], v[11:12], v[1:2]
	v_div_scale_f64 v[3:4], null, v[1:2], v[1:2], 1.0
	v_rcp_f64_e32 v[9:10], v[3:4]
	v_fma_f64 v[13:14], -v[3:4], v[9:10], 1.0
	v_fma_f64 v[9:10], v[9:10], v[13:14], v[9:10]
	v_fma_f64 v[13:14], -v[3:4], v[9:10], 1.0
	v_fma_f64 v[9:10], v[9:10], v[13:14], v[9:10]
	v_div_scale_f64 v[13:14], vcc_lo, 1.0, v[1:2], 1.0
	v_mul_f64 v[15:16], v[13:14], v[9:10]
	v_fma_f64 v[3:4], -v[3:4], v[15:16], v[13:14]
	v_div_fmas_f64 v[3:4], v[3:4], v[9:10], v[15:16]
	v_div_fixup_f64 v[9:10], v[3:4], v[1:2], 1.0
	v_mul_f64 v[11:12], v[11:12], -v[9:10]
.LBB127_295:
	s_or_b32 exec_lo, exec_lo, s5
	ds_write2_b64 v23, v[9:10], v[11:12] offset1:1
.LBB127_296:
	s_or_b32 exec_lo, exec_lo, s6
	s_waitcnt lgkmcnt(0)
	s_barrier
	buffer_gl0_inv
	ds_read2_b64 v[9:12], v23 offset1:1
	s_mov_b32 s5, exec_lo
	v_cmpx_lt_u32_e32 22, v0
	s_cbranch_execz .LBB127_301
; %bb.297:
	s_clause 0x3
	buffer_load_dword v1, off, s[0:3], 0 offset:360
	buffer_load_dword v2, off, s[0:3], 0 offset:364
	;; [unrolled: 1-line block ×4, first 2 shown]
	s_movk_i32 s6, 0x170
	s_waitcnt vmcnt(2) lgkmcnt(0)
	v_mul_f64 v[13:14], v[11:12], v[1:2]
	v_mul_f64 v[15:16], v[9:10], v[1:2]
	s_waitcnt vmcnt(0)
	v_fma_f64 v[1:2], v[9:10], v[3:4], -v[13:14]
	v_fma_f64 v[3:4], v[11:12], v[3:4], v[15:16]
	buffer_store_dword v1, off, s[0:3], 0 offset:352
	buffer_store_dword v2, off, s[0:3], 0 offset:356
	;; [unrolled: 1-line block ×4, first 2 shown]
	s_branch .LBB127_299
.LBB127_298:                            ;   in Loop: Header=BB127_299 Depth=1
	s_andn2_b32 vcc_lo, exec_lo, s8
	s_cbranch_vccz .LBB127_301
.LBB127_299:                            ; =>This Inner Loop Header: Depth=1
	v_mov_b32_e32 v22, s6
	v_add_nc_u32_e32 v13, s6, v24
	s_mov_b32 s7, s6
	s_mov_b32 s8, -1
	s_cmpk_eq_i32 s6, 0x3f0
	s_clause 0x3
	buffer_load_dword v18, v22, s[0:3], 0 offen
	buffer_load_dword v19, v22, s[0:3], 0 offen offset:4
	buffer_load_dword v20, v22, s[0:3], 0 offen offset:8
	;; [unrolled: 1-line block ×3, first 2 shown]
	ds_read2_b64 v[14:17], v13 offset1:1
	s_waitcnt vmcnt(4) lgkmcnt(0)
	v_mul_f64 v[85:86], v[16:17], v[3:4]
	v_mul_f64 v[3:4], v[14:15], v[3:4]
	v_fma_f64 v[14:15], v[14:15], v[1:2], -v[85:86]
	v_fma_f64 v[1:2], v[16:17], v[1:2], v[3:4]
	s_waitcnt vmcnt(2)
	v_add_f64 v[3:4], v[18:19], -v[14:15]
	s_waitcnt vmcnt(0)
	v_add_f64 v[1:2], v[20:21], -v[1:2]
	buffer_store_dword v3, v22, s[0:3], 0 offen
	buffer_store_dword v4, v22, s[0:3], 0 offen offset:4
	buffer_store_dword v1, v22, s[0:3], 0 offen offset:8
	;; [unrolled: 1-line block ×3, first 2 shown]
                                        ; implicit-def: $vgpr1_vgpr2
                                        ; implicit-def: $vgpr3_vgpr4
	s_cbranch_scc1 .LBB127_298
; %bb.300:                              ;   in Loop: Header=BB127_299 Depth=1
	s_clause 0x3
	buffer_load_dword v18, off, s[0:3], 0 offset:360
	buffer_load_dword v19, off, s[0:3], 0 offset:364
	;; [unrolled: 1-line block ×4, first 2 shown]
	v_mov_b32_e32 v22, s7
	s_add_i32 s6, s6, 64
	s_mov_b32 s8, 0
	s_clause 0x3
	buffer_load_dword v85, v22, s[0:3], 0 offen offset:16
	buffer_load_dword v86, v22, s[0:3], 0 offen offset:20
	buffer_load_dword v96, v22, s[0:3], 0 offen offset:24
	buffer_load_dword v97, v22, s[0:3], 0 offen offset:28
	ds_read2_b64 v[1:4], v13 offset0:2 offset1:3
	ds_read2_b64 v[14:17], v13 offset0:4 offset1:5
	s_waitcnt vmcnt(6) lgkmcnt(1)
	v_mul_f64 v[98:99], v[3:4], v[18:19]
	v_mul_f64 v[18:19], v[1:2], v[18:19]
	s_waitcnt vmcnt(4)
	v_fma_f64 v[1:2], v[1:2], v[20:21], -v[98:99]
	v_fma_f64 v[3:4], v[3:4], v[20:21], v[18:19]
	s_waitcnt vmcnt(2)
	v_add_f64 v[1:2], v[85:86], -v[1:2]
	s_waitcnt vmcnt(0)
	v_add_f64 v[3:4], v[96:97], -v[3:4]
	buffer_store_dword v2, v22, s[0:3], 0 offen offset:20
	buffer_store_dword v1, v22, s[0:3], 0 offen offset:16
	;; [unrolled: 1-line block ×4, first 2 shown]
	s_clause 0x7
	buffer_load_dword v2, v22, s[0:3], 0 offen offset:36
	buffer_load_dword v3, v22, s[0:3], 0 offen offset:40
	;; [unrolled: 1-line block ×3, first 2 shown]
	buffer_load_dword v19, off, s[0:3], 0 offset:364
	buffer_load_dword v18, off, s[0:3], 0 offset:360
	;; [unrolled: 1-line block ×4, first 2 shown]
	buffer_load_dword v1, v22, s[0:3], 0 offen offset:32
	s_waitcnt vmcnt(3) lgkmcnt(0)
	v_mul_f64 v[85:86], v[16:17], v[18:19]
	v_mul_f64 v[18:19], v[14:15], v[18:19]
	s_waitcnt vmcnt(1)
	v_fma_f64 v[14:15], v[14:15], v[20:21], -v[85:86]
	v_fma_f64 v[16:17], v[16:17], v[20:21], v[18:19]
	s_waitcnt vmcnt(0)
	v_add_f64 v[1:2], v[1:2], -v[14:15]
	v_add_f64 v[3:4], v[3:4], -v[16:17]
	buffer_store_dword v2, v22, s[0:3], 0 offen offset:36
	buffer_store_dword v1, v22, s[0:3], 0 offen offset:32
	;; [unrolled: 1-line block ×4, first 2 shown]
	s_clause 0x7
	buffer_load_dword v15, v22, s[0:3], 0 offen offset:52
	buffer_load_dword v16, v22, s[0:3], 0 offen offset:56
	;; [unrolled: 1-line block ×3, first 2 shown]
	buffer_load_dword v18, off, s[0:3], 0 offset:360
	buffer_load_dword v19, off, s[0:3], 0 offset:364
	;; [unrolled: 1-line block ×4, first 2 shown]
	buffer_load_dword v14, v22, s[0:3], 0 offen offset:48
	ds_read2_b64 v[1:4], v13 offset0:6 offset1:7
	s_waitcnt vmcnt(3) lgkmcnt(0)
	v_mul_f64 v[85:86], v[3:4], v[18:19]
	v_mul_f64 v[18:19], v[1:2], v[18:19]
	s_waitcnt vmcnt(1)
	v_fma_f64 v[1:2], v[1:2], v[20:21], -v[85:86]
	v_fma_f64 v[3:4], v[3:4], v[20:21], v[18:19]
	s_waitcnt vmcnt(0)
	v_add_f64 v[1:2], v[14:15], -v[1:2]
	v_add_f64 v[3:4], v[16:17], -v[3:4]
	buffer_store_dword v2, v22, s[0:3], 0 offen offset:52
	buffer_store_dword v1, v22, s[0:3], 0 offen offset:48
	;; [unrolled: 1-line block ×4, first 2 shown]
	s_clause 0x3
	buffer_load_dword v1, off, s[0:3], 0 offset:352
	buffer_load_dword v2, off, s[0:3], 0 offset:356
	;; [unrolled: 1-line block ×4, first 2 shown]
	s_branch .LBB127_298
.LBB127_301:
	s_or_b32 exec_lo, exec_lo, s5
	s_mov_b32 s6, exec_lo
	s_waitcnt vmcnt(0) lgkmcnt(0)
	s_waitcnt_vscnt null, 0x0
	s_barrier
	buffer_gl0_inv
	v_cmpx_eq_u32_e32 23, v0
	s_cbranch_execz .LBB127_310
; %bb.302:
	v_mov_b32_e32 v4, s56
	s_movk_i32 s5, 0x180
	s_clause 0x3
	buffer_load_dword v1, v4, s[0:3], 0 offen
	buffer_load_dword v2, v4, s[0:3], 0 offen offset:4
	buffer_load_dword v3, v4, s[0:3], 0 offen offset:8
	buffer_load_dword v4, v4, s[0:3], 0 offen offset:12
	s_waitcnt vmcnt(0)
	ds_write2_b64 v23, v[1:2], v[3:4] offset1:1
.LBB127_303:                            ; =>This Inner Loop Header: Depth=1
	v_mov_b32_e32 v25, s5
	v_add_nc_u32_e32 v26, s5, v24
	s_addk_i32 s5, 0xa0
	s_clause 0xf
	buffer_load_dword v1, v25, s[0:3], 0 offen
	buffer_load_dword v2, v25, s[0:3], 0 offen offset:4
	buffer_load_dword v3, v25, s[0:3], 0 offen offset:8
	;; [unrolled: 1-line block ×15, first 2 shown]
	s_cmpk_lg_i32 s5, 0x400
	s_waitcnt vmcnt(12)
	ds_write2_b64 v26, v[1:2], v[3:4] offset1:1
	s_waitcnt vmcnt(8)
	ds_write2_b64 v26, v[13:14], v[15:16] offset0:2 offset1:3
	s_waitcnt vmcnt(4)
	ds_write2_b64 v26, v[17:18], v[19:20] offset0:4 offset1:5
	;; [unrolled: 2-line block ×3, first 2 shown]
	s_clause 0x3
	buffer_load_dword v2, v25, s[0:3], 0 offen offset:76
	buffer_load_dword v1, v25, s[0:3], 0 offen offset:72
	buffer_load_dword v4, v25, s[0:3], 0 offen offset:68
	buffer_load_dword v3, v25, s[0:3], 0 offen offset:64
	s_waitcnt vmcnt(0)
	ds_write2_b64 v26, v[3:4], v[1:2] offset0:8 offset1:9
	s_clause 0x3
	buffer_load_dword v2, v25, s[0:3], 0 offen offset:92
	buffer_load_dword v1, v25, s[0:3], 0 offen offset:88
	buffer_load_dword v4, v25, s[0:3], 0 offen offset:84
	buffer_load_dword v3, v25, s[0:3], 0 offen offset:80
	s_waitcnt vmcnt(0)
	ds_write2_b64 v26, v[3:4], v[1:2] offset0:10 offset1:11
	;; [unrolled: 7-line block ×6, first 2 shown]
	s_cbranch_scc1 .LBB127_303
; %bb.304:
	ds_read2_b64 v[1:4], v23 offset1:1
	s_waitcnt lgkmcnt(0)
	v_cmp_neq_f64_e32 vcc_lo, 0, v[1:2]
	v_cmp_neq_f64_e64 s5, 0, v[3:4]
	s_or_b32 s5, vcc_lo, s5
	s_and_b32 exec_lo, exec_lo, s5
	s_cbranch_execz .LBB127_310
; %bb.305:
	v_cmp_ngt_f64_e64 s5, |v[1:2]|, |v[3:4]|
                                        ; implicit-def: $vgpr13_vgpr14
	s_and_saveexec_b32 s7, s5
	s_xor_b32 s5, exec_lo, s7
                                        ; implicit-def: $vgpr15_vgpr16
	s_cbranch_execz .LBB127_307
; %bb.306:
	v_div_scale_f64 v[13:14], null, v[3:4], v[3:4], v[1:2]
	v_div_scale_f64 v[19:20], vcc_lo, v[1:2], v[3:4], v[1:2]
	v_rcp_f64_e32 v[15:16], v[13:14]
	v_fma_f64 v[17:18], -v[13:14], v[15:16], 1.0
	v_fma_f64 v[15:16], v[15:16], v[17:18], v[15:16]
	v_fma_f64 v[17:18], -v[13:14], v[15:16], 1.0
	v_fma_f64 v[15:16], v[15:16], v[17:18], v[15:16]
	v_mul_f64 v[17:18], v[19:20], v[15:16]
	v_fma_f64 v[13:14], -v[13:14], v[17:18], v[19:20]
	v_div_fmas_f64 v[13:14], v[13:14], v[15:16], v[17:18]
	v_div_fixup_f64 v[13:14], v[13:14], v[3:4], v[1:2]
	v_fma_f64 v[1:2], v[1:2], v[13:14], v[3:4]
	v_div_scale_f64 v[3:4], null, v[1:2], v[1:2], 1.0
	v_rcp_f64_e32 v[15:16], v[3:4]
	v_fma_f64 v[17:18], -v[3:4], v[15:16], 1.0
	v_fma_f64 v[15:16], v[15:16], v[17:18], v[15:16]
	v_fma_f64 v[17:18], -v[3:4], v[15:16], 1.0
	v_fma_f64 v[15:16], v[15:16], v[17:18], v[15:16]
	v_div_scale_f64 v[17:18], vcc_lo, 1.0, v[1:2], 1.0
	v_mul_f64 v[19:20], v[17:18], v[15:16]
	v_fma_f64 v[3:4], -v[3:4], v[19:20], v[17:18]
	v_div_fmas_f64 v[3:4], v[3:4], v[15:16], v[19:20]
	v_div_fixup_f64 v[15:16], v[3:4], v[1:2], 1.0
                                        ; implicit-def: $vgpr1_vgpr2
	v_mul_f64 v[13:14], v[13:14], v[15:16]
	v_xor_b32_e32 v16, 0x80000000, v16
.LBB127_307:
	s_andn2_saveexec_b32 s5, s5
	s_cbranch_execz .LBB127_309
; %bb.308:
	v_div_scale_f64 v[13:14], null, v[1:2], v[1:2], v[3:4]
	v_div_scale_f64 v[19:20], vcc_lo, v[3:4], v[1:2], v[3:4]
	v_rcp_f64_e32 v[15:16], v[13:14]
	v_fma_f64 v[17:18], -v[13:14], v[15:16], 1.0
	v_fma_f64 v[15:16], v[15:16], v[17:18], v[15:16]
	v_fma_f64 v[17:18], -v[13:14], v[15:16], 1.0
	v_fma_f64 v[15:16], v[15:16], v[17:18], v[15:16]
	v_mul_f64 v[17:18], v[19:20], v[15:16]
	v_fma_f64 v[13:14], -v[13:14], v[17:18], v[19:20]
	v_div_fmas_f64 v[13:14], v[13:14], v[15:16], v[17:18]
	v_div_fixup_f64 v[15:16], v[13:14], v[1:2], v[3:4]
	v_fma_f64 v[1:2], v[3:4], v[15:16], v[1:2]
	v_div_scale_f64 v[3:4], null, v[1:2], v[1:2], 1.0
	v_rcp_f64_e32 v[13:14], v[3:4]
	v_fma_f64 v[17:18], -v[3:4], v[13:14], 1.0
	v_fma_f64 v[13:14], v[13:14], v[17:18], v[13:14]
	v_fma_f64 v[17:18], -v[3:4], v[13:14], 1.0
	v_fma_f64 v[13:14], v[13:14], v[17:18], v[13:14]
	v_div_scale_f64 v[17:18], vcc_lo, 1.0, v[1:2], 1.0
	v_mul_f64 v[19:20], v[17:18], v[13:14]
	v_fma_f64 v[3:4], -v[3:4], v[19:20], v[17:18]
	v_div_fmas_f64 v[3:4], v[3:4], v[13:14], v[19:20]
	v_div_fixup_f64 v[13:14], v[3:4], v[1:2], 1.0
	v_mul_f64 v[15:16], v[15:16], -v[13:14]
.LBB127_309:
	s_or_b32 exec_lo, exec_lo, s5
	ds_write2_b64 v23, v[13:14], v[15:16] offset1:1
.LBB127_310:
	s_or_b32 exec_lo, exec_lo, s6
	s_waitcnt lgkmcnt(0)
	s_barrier
	buffer_gl0_inv
	ds_read2_b64 v[17:20], v23 offset1:1
	s_mov_b32 s5, exec_lo
	v_cmpx_lt_u32_e32 23, v0
	s_cbranch_execz .LBB127_313
; %bb.311:
	s_clause 0x3
	buffer_load_dword v1, off, s[0:3], 0 offset:376
	buffer_load_dword v2, off, s[0:3], 0 offset:380
	;; [unrolled: 1-line block ×4, first 2 shown]
	s_movk_i32 s6, 0x180
	s_waitcnt vmcnt(2) lgkmcnt(0)
	v_mul_f64 v[13:14], v[19:20], v[1:2]
	v_mul_f64 v[1:2], v[17:18], v[1:2]
	s_waitcnt vmcnt(0)
	v_fma_f64 v[13:14], v[17:18], v[3:4], -v[13:14]
	v_fma_f64 v[1:2], v[19:20], v[3:4], v[1:2]
	buffer_store_dword v13, off, s[0:3], 0 offset:368
	buffer_store_dword v14, off, s[0:3], 0 offset:372
	;; [unrolled: 1-line block ×4, first 2 shown]
.LBB127_312:                            ; =>This Inner Loop Header: Depth=1
	s_clause 0x3
	buffer_load_dword v21, off, s[0:3], 0 offset:376
	buffer_load_dword v22, off, s[0:3], 0 offset:380
	;; [unrolled: 1-line block ×4, first 2 shown]
	v_mov_b32_e32 v25, s6
	v_add_nc_u32_e32 v26, s6, v24
	s_addk_i32 s6, 0x50
	s_clause 0x3
	buffer_load_dword v96, v25, s[0:3], 0 offen
	buffer_load_dword v97, v25, s[0:3], 0 offen offset:4
	buffer_load_dword v98, v25, s[0:3], 0 offen offset:8
	;; [unrolled: 1-line block ×3, first 2 shown]
	ds_read2_b64 v[1:4], v26 offset1:1
	ds_read2_b64 v[13:16], v26 offset0:2 offset1:3
	s_cmpk_lg_i32 s6, 0x400
	s_waitcnt vmcnt(6) lgkmcnt(1)
	v_mul_f64 v[100:101], v[3:4], v[21:22]
	v_mul_f64 v[21:22], v[1:2], v[21:22]
	s_waitcnt vmcnt(4)
	v_fma_f64 v[1:2], v[1:2], v[85:86], -v[100:101]
	v_fma_f64 v[3:4], v[3:4], v[85:86], v[21:22]
	s_clause 0x3
	buffer_load_dword v21, v25, s[0:3], 0 offen offset:16
	buffer_load_dword v22, v25, s[0:3], 0 offen offset:20
	;; [unrolled: 1-line block ×4, first 2 shown]
	s_waitcnt vmcnt(6)
	v_add_f64 v[1:2], v[96:97], -v[1:2]
	s_waitcnt vmcnt(4)
	v_add_f64 v[3:4], v[98:99], -v[3:4]
	buffer_store_dword v2, v25, s[0:3], 0 offen offset:4
	buffer_store_dword v1, v25, s[0:3], 0 offen
	buffer_store_dword v4, v25, s[0:3], 0 offen offset:12
	buffer_store_dword v3, v25, s[0:3], 0 offen offset:8
	s_clause 0x3
	buffer_load_dword v2, off, s[0:3], 0 offset:380
	buffer_load_dword v1, off, s[0:3], 0 offset:376
	;; [unrolled: 1-line block ×4, first 2 shown]
	s_waitcnt vmcnt(2) lgkmcnt(0)
	v_mul_f64 v[96:97], v[15:16], v[1:2]
	v_mul_f64 v[1:2], v[13:14], v[1:2]
	s_waitcnt vmcnt(0)
	v_fma_f64 v[13:14], v[13:14], v[3:4], -v[96:97]
	v_fma_f64 v[1:2], v[15:16], v[3:4], v[1:2]
	v_add_f64 v[3:4], v[21:22], -v[13:14]
	v_add_f64 v[1:2], v[85:86], -v[1:2]
	s_clause 0x3
	buffer_load_dword v21, v25, s[0:3], 0 offen offset:32
	buffer_load_dword v22, v25, s[0:3], 0 offen offset:36
	;; [unrolled: 1-line block ×4, first 2 shown]
	buffer_store_dword v4, v25, s[0:3], 0 offen offset:20
	buffer_store_dword v3, v25, s[0:3], 0 offen offset:16
	;; [unrolled: 1-line block ×4, first 2 shown]
	s_clause 0x3
	buffer_load_dword v96, off, s[0:3], 0 offset:376
	buffer_load_dword v97, off, s[0:3], 0 offset:380
	;; [unrolled: 1-line block ×4, first 2 shown]
	ds_read2_b64 v[1:4], v26 offset0:4 offset1:5
	ds_read2_b64 v[13:16], v26 offset0:6 offset1:7
	s_waitcnt vmcnt(2) lgkmcnt(1)
	v_mul_f64 v[100:101], v[3:4], v[96:97]
	v_mul_f64 v[96:97], v[1:2], v[96:97]
	s_waitcnt vmcnt(0)
	v_fma_f64 v[1:2], v[1:2], v[98:99], -v[100:101]
	v_fma_f64 v[3:4], v[3:4], v[98:99], v[96:97]
	v_add_f64 v[1:2], v[21:22], -v[1:2]
	v_add_f64 v[3:4], v[85:86], -v[3:4]
	buffer_store_dword v2, v25, s[0:3], 0 offen offset:36
	buffer_store_dword v1, v25, s[0:3], 0 offen offset:32
	;; [unrolled: 1-line block ×4, first 2 shown]
	s_clause 0x7
	buffer_load_dword v1, off, s[0:3], 0 offset:376
	buffer_load_dword v2, off, s[0:3], 0 offset:380
	;; [unrolled: 1-line block ×4, first 2 shown]
	buffer_load_dword v21, v25, s[0:3], 0 offen offset:48
	buffer_load_dword v22, v25, s[0:3], 0 offen offset:52
	;; [unrolled: 1-line block ×4, first 2 shown]
	s_waitcnt vmcnt(6) lgkmcnt(0)
	v_mul_f64 v[96:97], v[15:16], v[1:2]
	v_mul_f64 v[1:2], v[13:14], v[1:2]
	s_waitcnt vmcnt(4)
	v_fma_f64 v[13:14], v[13:14], v[3:4], -v[96:97]
	v_fma_f64 v[1:2], v[15:16], v[3:4], v[1:2]
	s_waitcnt vmcnt(2)
	v_add_f64 v[3:4], v[21:22], -v[13:14]
	s_waitcnt vmcnt(0)
	v_add_f64 v[1:2], v[85:86], -v[1:2]
	buffer_store_dword v4, v25, s[0:3], 0 offen offset:52
	buffer_store_dword v3, v25, s[0:3], 0 offen offset:48
	;; [unrolled: 1-line block ×4, first 2 shown]
	s_clause 0x7
	buffer_load_dword v13, off, s[0:3], 0 offset:376
	buffer_load_dword v14, off, s[0:3], 0 offset:380
	;; [unrolled: 1-line block ×4, first 2 shown]
	buffer_load_dword v21, v25, s[0:3], 0 offen offset:64
	buffer_load_dword v22, v25, s[0:3], 0 offen offset:68
	;; [unrolled: 1-line block ×4, first 2 shown]
	ds_read2_b64 v[1:4], v26 offset0:8 offset1:9
	s_waitcnt vmcnt(6) lgkmcnt(0)
	v_mul_f64 v[96:97], v[3:4], v[13:14]
	v_mul_f64 v[13:14], v[1:2], v[13:14]
	s_waitcnt vmcnt(4)
	v_fma_f64 v[1:2], v[1:2], v[15:16], -v[96:97]
	v_fma_f64 v[3:4], v[3:4], v[15:16], v[13:14]
	s_waitcnt vmcnt(2)
	v_add_f64 v[1:2], v[21:22], -v[1:2]
	s_waitcnt vmcnt(0)
	v_add_f64 v[3:4], v[85:86], -v[3:4]
	buffer_store_dword v2, v25, s[0:3], 0 offen offset:68
	buffer_store_dword v1, v25, s[0:3], 0 offen offset:64
	;; [unrolled: 1-line block ×4, first 2 shown]
	s_cbranch_scc1 .LBB127_312
.LBB127_313:
	s_or_b32 exec_lo, exec_lo, s5
	s_mov_b32 s6, exec_lo
	s_waitcnt lgkmcnt(0)
	s_waitcnt_vscnt null, 0x0
	s_barrier
	buffer_gl0_inv
	v_cmpx_eq_u32_e32 24, v0
	s_cbranch_execz .LBB127_322
; %bb.314:
	v_mov_b32_e32 v4, s55
	s_movk_i32 s5, 0x190
	s_clause 0x3
	buffer_load_dword v1, v4, s[0:3], 0 offen
	buffer_load_dword v2, v4, s[0:3], 0 offen offset:4
	buffer_load_dword v3, v4, s[0:3], 0 offen offset:8
	;; [unrolled: 1-line block ×3, first 2 shown]
	s_waitcnt vmcnt(0)
	ds_write2_b64 v23, v[1:2], v[3:4] offset1:1
.LBB127_315:                            ; =>This Inner Loop Header: Depth=1
	v_mov_b32_e32 v25, s5
	v_add_nc_u32_e32 v26, s5, v24
	s_addk_i32 s5, 0xd0
	s_clause 0xf
	buffer_load_dword v1, v25, s[0:3], 0 offen
	buffer_load_dword v2, v25, s[0:3], 0 offen offset:4
	buffer_load_dword v3, v25, s[0:3], 0 offen offset:8
	;; [unrolled: 1-line block ×15, first 2 shown]
	s_cmpk_lg_i32 s5, 0x400
	s_waitcnt vmcnt(12)
	ds_write2_b64 v26, v[1:2], v[3:4] offset1:1
	s_waitcnt vmcnt(8)
	ds_write2_b64 v26, v[13:14], v[15:16] offset0:2 offset1:3
	s_waitcnt vmcnt(4)
	ds_write2_b64 v26, v[21:22], v[85:86] offset0:4 offset1:5
	;; [unrolled: 2-line block ×3, first 2 shown]
	s_clause 0x3
	buffer_load_dword v2, v25, s[0:3], 0 offen offset:76
	buffer_load_dword v1, v25, s[0:3], 0 offen offset:72
	buffer_load_dword v4, v25, s[0:3], 0 offen offset:68
	buffer_load_dword v3, v25, s[0:3], 0 offen offset:64
	s_waitcnt vmcnt(0)
	ds_write2_b64 v26, v[3:4], v[1:2] offset0:8 offset1:9
	s_clause 0x3
	buffer_load_dword v2, v25, s[0:3], 0 offen offset:92
	buffer_load_dword v1, v25, s[0:3], 0 offen offset:88
	buffer_load_dword v4, v25, s[0:3], 0 offen offset:84
	buffer_load_dword v3, v25, s[0:3], 0 offen offset:80
	s_waitcnt vmcnt(0)
	ds_write2_b64 v26, v[3:4], v[1:2] offset0:10 offset1:11
	;; [unrolled: 7-line block ×9, first 2 shown]
	s_cbranch_scc1 .LBB127_315
; %bb.316:
	ds_read2_b64 v[1:4], v23 offset1:1
	s_waitcnt lgkmcnt(0)
	v_cmp_neq_f64_e32 vcc_lo, 0, v[1:2]
	v_cmp_neq_f64_e64 s5, 0, v[3:4]
	s_or_b32 s5, vcc_lo, s5
	s_and_b32 exec_lo, exec_lo, s5
	s_cbranch_execz .LBB127_322
; %bb.317:
	v_cmp_ngt_f64_e64 s5, |v[1:2]|, |v[3:4]|
                                        ; implicit-def: $vgpr13_vgpr14
	s_and_saveexec_b32 s7, s5
	s_xor_b32 s5, exec_lo, s7
                                        ; implicit-def: $vgpr15_vgpr16
	s_cbranch_execz .LBB127_319
; %bb.318:
	v_div_scale_f64 v[13:14], null, v[3:4], v[3:4], v[1:2]
	v_div_scale_f64 v[85:86], vcc_lo, v[1:2], v[3:4], v[1:2]
	v_rcp_f64_e32 v[15:16], v[13:14]
	v_fma_f64 v[21:22], -v[13:14], v[15:16], 1.0
	v_fma_f64 v[15:16], v[15:16], v[21:22], v[15:16]
	v_fma_f64 v[21:22], -v[13:14], v[15:16], 1.0
	v_fma_f64 v[15:16], v[15:16], v[21:22], v[15:16]
	v_mul_f64 v[21:22], v[85:86], v[15:16]
	v_fma_f64 v[13:14], -v[13:14], v[21:22], v[85:86]
	v_div_fmas_f64 v[13:14], v[13:14], v[15:16], v[21:22]
	v_div_fixup_f64 v[13:14], v[13:14], v[3:4], v[1:2]
	v_fma_f64 v[1:2], v[1:2], v[13:14], v[3:4]
	v_div_scale_f64 v[3:4], null, v[1:2], v[1:2], 1.0
	v_rcp_f64_e32 v[15:16], v[3:4]
	v_fma_f64 v[21:22], -v[3:4], v[15:16], 1.0
	v_fma_f64 v[15:16], v[15:16], v[21:22], v[15:16]
	v_fma_f64 v[21:22], -v[3:4], v[15:16], 1.0
	v_fma_f64 v[15:16], v[15:16], v[21:22], v[15:16]
	v_div_scale_f64 v[21:22], vcc_lo, 1.0, v[1:2], 1.0
	v_mul_f64 v[85:86], v[21:22], v[15:16]
	v_fma_f64 v[3:4], -v[3:4], v[85:86], v[21:22]
	v_div_fmas_f64 v[3:4], v[3:4], v[15:16], v[85:86]
	v_div_fixup_f64 v[15:16], v[3:4], v[1:2], 1.0
                                        ; implicit-def: $vgpr1_vgpr2
	v_mul_f64 v[13:14], v[13:14], v[15:16]
	v_xor_b32_e32 v16, 0x80000000, v16
.LBB127_319:
	s_andn2_saveexec_b32 s5, s5
	s_cbranch_execz .LBB127_321
; %bb.320:
	v_div_scale_f64 v[13:14], null, v[1:2], v[1:2], v[3:4]
	v_div_scale_f64 v[85:86], vcc_lo, v[3:4], v[1:2], v[3:4]
	v_rcp_f64_e32 v[15:16], v[13:14]
	v_fma_f64 v[21:22], -v[13:14], v[15:16], 1.0
	v_fma_f64 v[15:16], v[15:16], v[21:22], v[15:16]
	v_fma_f64 v[21:22], -v[13:14], v[15:16], 1.0
	v_fma_f64 v[15:16], v[15:16], v[21:22], v[15:16]
	v_mul_f64 v[21:22], v[85:86], v[15:16]
	v_fma_f64 v[13:14], -v[13:14], v[21:22], v[85:86]
	v_div_fmas_f64 v[13:14], v[13:14], v[15:16], v[21:22]
	v_div_fixup_f64 v[15:16], v[13:14], v[1:2], v[3:4]
	v_fma_f64 v[1:2], v[3:4], v[15:16], v[1:2]
	v_div_scale_f64 v[3:4], null, v[1:2], v[1:2], 1.0
	v_rcp_f64_e32 v[13:14], v[3:4]
	v_fma_f64 v[21:22], -v[3:4], v[13:14], 1.0
	v_fma_f64 v[13:14], v[13:14], v[21:22], v[13:14]
	v_fma_f64 v[21:22], -v[3:4], v[13:14], 1.0
	v_fma_f64 v[13:14], v[13:14], v[21:22], v[13:14]
	v_div_scale_f64 v[21:22], vcc_lo, 1.0, v[1:2], 1.0
	v_mul_f64 v[85:86], v[21:22], v[13:14]
	v_fma_f64 v[3:4], -v[3:4], v[85:86], v[21:22]
	v_div_fmas_f64 v[3:4], v[3:4], v[13:14], v[85:86]
	v_div_fixup_f64 v[13:14], v[3:4], v[1:2], 1.0
	v_mul_f64 v[15:16], v[15:16], -v[13:14]
.LBB127_321:
	s_or_b32 exec_lo, exec_lo, s5
	ds_write2_b64 v23, v[13:14], v[15:16] offset1:1
.LBB127_322:
	s_or_b32 exec_lo, exec_lo, s6
	s_waitcnt lgkmcnt(0)
	s_barrier
	buffer_gl0_inv
	ds_read2_b64 v[97:100], v23 offset1:1
	s_mov_b32 s5, exec_lo
	v_cmpx_lt_u32_e32 24, v0
	s_cbranch_execz .LBB127_325
; %bb.323:
	s_clause 0x3
	buffer_load_dword v1, off, s[0:3], 0 offset:392
	buffer_load_dword v2, off, s[0:3], 0 offset:396
	;; [unrolled: 1-line block ×4, first 2 shown]
	s_movk_i32 s6, 0x190
	s_waitcnt vmcnt(2) lgkmcnt(0)
	v_mul_f64 v[13:14], v[99:100], v[1:2]
	v_mul_f64 v[1:2], v[97:98], v[1:2]
	s_waitcnt vmcnt(0)
	v_fma_f64 v[13:14], v[97:98], v[3:4], -v[13:14]
	v_fma_f64 v[1:2], v[99:100], v[3:4], v[1:2]
	buffer_store_dword v13, off, s[0:3], 0 offset:384
	buffer_store_dword v14, off, s[0:3], 0 offset:388
	;; [unrolled: 1-line block ×4, first 2 shown]
.LBB127_324:                            ; =>This Inner Loop Header: Depth=1
	s_clause 0x3
	buffer_load_dword v21, off, s[0:3], 0 offset:392
	buffer_load_dword v22, off, s[0:3], 0 offset:396
	;; [unrolled: 1-line block ×4, first 2 shown]
	v_mov_b32_e32 v25, s6
	v_add_nc_u32_e32 v26, s6, v24
	s_add_i32 s6, s6, 48
	s_clause 0x3
	buffer_load_dword v101, v25, s[0:3], 0 offen
	buffer_load_dword v102, v25, s[0:3], 0 offen offset:4
	buffer_load_dword v103, v25, s[0:3], 0 offen offset:8
	;; [unrolled: 1-line block ×3, first 2 shown]
	ds_read2_b64 v[1:4], v26 offset1:1
	ds_read2_b64 v[13:16], v26 offset0:2 offset1:3
	s_cmpk_lg_i32 s6, 0x400
	s_waitcnt vmcnt(6) lgkmcnt(1)
	v_mul_f64 v[105:106], v[3:4], v[21:22]
	v_mul_f64 v[21:22], v[1:2], v[21:22]
	s_waitcnt vmcnt(4)
	v_fma_f64 v[1:2], v[1:2], v[85:86], -v[105:106]
	v_fma_f64 v[3:4], v[3:4], v[85:86], v[21:22]
	s_clause 0x3
	buffer_load_dword v21, v25, s[0:3], 0 offen offset:16
	buffer_load_dword v22, v25, s[0:3], 0 offen offset:20
	;; [unrolled: 1-line block ×4, first 2 shown]
	s_waitcnt vmcnt(6)
	v_add_f64 v[1:2], v[101:102], -v[1:2]
	s_waitcnt vmcnt(4)
	v_add_f64 v[3:4], v[103:104], -v[3:4]
	buffer_store_dword v2, v25, s[0:3], 0 offen offset:4
	buffer_store_dword v1, v25, s[0:3], 0 offen
	buffer_store_dword v4, v25, s[0:3], 0 offen offset:12
	buffer_store_dword v3, v25, s[0:3], 0 offen offset:8
	s_clause 0x3
	buffer_load_dword v2, off, s[0:3], 0 offset:396
	buffer_load_dword v1, off, s[0:3], 0 offset:392
	;; [unrolled: 1-line block ×4, first 2 shown]
	s_waitcnt vmcnt(2) lgkmcnt(0)
	v_mul_f64 v[101:102], v[15:16], v[1:2]
	v_mul_f64 v[1:2], v[13:14], v[1:2]
	s_waitcnt vmcnt(0)
	v_fma_f64 v[13:14], v[13:14], v[3:4], -v[101:102]
	v_fma_f64 v[1:2], v[15:16], v[3:4], v[1:2]
	v_add_f64 v[3:4], v[21:22], -v[13:14]
	v_add_f64 v[1:2], v[85:86], -v[1:2]
	s_clause 0x3
	buffer_load_dword v13, v25, s[0:3], 0 offen offset:32
	buffer_load_dword v14, v25, s[0:3], 0 offen offset:36
	;; [unrolled: 1-line block ×4, first 2 shown]
	buffer_store_dword v4, v25, s[0:3], 0 offen offset:20
	buffer_store_dword v3, v25, s[0:3], 0 offen offset:16
	;; [unrolled: 1-line block ×4, first 2 shown]
	s_clause 0x3
	buffer_load_dword v21, off, s[0:3], 0 offset:392
	buffer_load_dword v22, off, s[0:3], 0 offset:396
	;; [unrolled: 1-line block ×4, first 2 shown]
	ds_read2_b64 v[1:4], v26 offset0:4 offset1:5
	s_waitcnt vmcnt(2) lgkmcnt(0)
	v_mul_f64 v[101:102], v[3:4], v[21:22]
	v_mul_f64 v[21:22], v[1:2], v[21:22]
	s_waitcnt vmcnt(0)
	v_fma_f64 v[1:2], v[1:2], v[85:86], -v[101:102]
	v_fma_f64 v[3:4], v[3:4], v[85:86], v[21:22]
	v_add_f64 v[1:2], v[13:14], -v[1:2]
	v_add_f64 v[3:4], v[15:16], -v[3:4]
	buffer_store_dword v2, v25, s[0:3], 0 offen offset:36
	buffer_store_dword v1, v25, s[0:3], 0 offen offset:32
	;; [unrolled: 1-line block ×4, first 2 shown]
	s_cbranch_scc1 .LBB127_324
.LBB127_325:
	s_or_b32 exec_lo, exec_lo, s5
	s_mov_b32 s6, exec_lo
	s_waitcnt lgkmcnt(0)
	s_waitcnt_vscnt null, 0x0
	s_barrier
	buffer_gl0_inv
	v_cmpx_eq_u32_e32 25, v0
	s_cbranch_execz .LBB127_334
; %bb.326:
	v_mov_b32_e32 v4, s54
	s_movk_i32 s5, 0x1a0
	s_clause 0x3
	buffer_load_dword v1, v4, s[0:3], 0 offen
	buffer_load_dword v2, v4, s[0:3], 0 offen offset:4
	buffer_load_dword v3, v4, s[0:3], 0 offen offset:8
	;; [unrolled: 1-line block ×3, first 2 shown]
	s_waitcnt vmcnt(0)
	ds_write2_b64 v23, v[1:2], v[3:4] offset1:1
	.p2align	6
.LBB127_327:                            ; =>This Inner Loop Header: Depth=1
	v_mov_b32_e32 v16, s5
	v_add_nc_u32_e32 v21, s5, v24
	s_add_i32 s5, s5, 32
	s_clause 0x7
	buffer_load_dword v1, v16, s[0:3], 0 offen
	buffer_load_dword v2, v16, s[0:3], 0 offen offset:4
	buffer_load_dword v3, v16, s[0:3], 0 offen offset:8
	;; [unrolled: 1-line block ×7, first 2 shown]
	s_cmpk_lg_i32 s5, 0x400
	s_waitcnt vmcnt(4)
	ds_write2_b64 v21, v[1:2], v[3:4] offset1:1
	s_waitcnt vmcnt(0)
	ds_write2_b64 v21, v[13:14], v[15:16] offset0:2 offset1:3
	s_cbranch_scc1 .LBB127_327
; %bb.328:
	ds_read2_b64 v[1:4], v23 offset1:1
	s_waitcnt lgkmcnt(0)
	v_cmp_neq_f64_e32 vcc_lo, 0, v[1:2]
	v_cmp_neq_f64_e64 s5, 0, v[3:4]
	s_or_b32 s5, vcc_lo, s5
	s_and_b32 exec_lo, exec_lo, s5
	s_cbranch_execz .LBB127_334
; %bb.329:
	v_cmp_ngt_f64_e64 s5, |v[1:2]|, |v[3:4]|
                                        ; implicit-def: $vgpr13_vgpr14
	s_and_saveexec_b32 s7, s5
	s_xor_b32 s5, exec_lo, s7
                                        ; implicit-def: $vgpr15_vgpr16
	s_cbranch_execz .LBB127_331
; %bb.330:
	v_div_scale_f64 v[13:14], null, v[3:4], v[3:4], v[1:2]
	v_div_scale_f64 v[85:86], vcc_lo, v[1:2], v[3:4], v[1:2]
	v_rcp_f64_e32 v[15:16], v[13:14]
	v_fma_f64 v[21:22], -v[13:14], v[15:16], 1.0
	v_fma_f64 v[15:16], v[15:16], v[21:22], v[15:16]
	v_fma_f64 v[21:22], -v[13:14], v[15:16], 1.0
	v_fma_f64 v[15:16], v[15:16], v[21:22], v[15:16]
	v_mul_f64 v[21:22], v[85:86], v[15:16]
	v_fma_f64 v[13:14], -v[13:14], v[21:22], v[85:86]
	v_div_fmas_f64 v[13:14], v[13:14], v[15:16], v[21:22]
	v_div_fixup_f64 v[13:14], v[13:14], v[3:4], v[1:2]
	v_fma_f64 v[1:2], v[1:2], v[13:14], v[3:4]
	v_div_scale_f64 v[3:4], null, v[1:2], v[1:2], 1.0
	v_rcp_f64_e32 v[15:16], v[3:4]
	v_fma_f64 v[21:22], -v[3:4], v[15:16], 1.0
	v_fma_f64 v[15:16], v[15:16], v[21:22], v[15:16]
	v_fma_f64 v[21:22], -v[3:4], v[15:16], 1.0
	v_fma_f64 v[15:16], v[15:16], v[21:22], v[15:16]
	v_div_scale_f64 v[21:22], vcc_lo, 1.0, v[1:2], 1.0
	v_mul_f64 v[85:86], v[21:22], v[15:16]
	v_fma_f64 v[3:4], -v[3:4], v[85:86], v[21:22]
	v_div_fmas_f64 v[3:4], v[3:4], v[15:16], v[85:86]
	v_div_fixup_f64 v[15:16], v[3:4], v[1:2], 1.0
                                        ; implicit-def: $vgpr1_vgpr2
	v_mul_f64 v[13:14], v[13:14], v[15:16]
	v_xor_b32_e32 v16, 0x80000000, v16
.LBB127_331:
	s_andn2_saveexec_b32 s5, s5
	s_cbranch_execz .LBB127_333
; %bb.332:
	v_div_scale_f64 v[13:14], null, v[1:2], v[1:2], v[3:4]
	v_div_scale_f64 v[85:86], vcc_lo, v[3:4], v[1:2], v[3:4]
	v_rcp_f64_e32 v[15:16], v[13:14]
	v_fma_f64 v[21:22], -v[13:14], v[15:16], 1.0
	v_fma_f64 v[15:16], v[15:16], v[21:22], v[15:16]
	v_fma_f64 v[21:22], -v[13:14], v[15:16], 1.0
	v_fma_f64 v[15:16], v[15:16], v[21:22], v[15:16]
	v_mul_f64 v[21:22], v[85:86], v[15:16]
	v_fma_f64 v[13:14], -v[13:14], v[21:22], v[85:86]
	v_div_fmas_f64 v[13:14], v[13:14], v[15:16], v[21:22]
	v_div_fixup_f64 v[15:16], v[13:14], v[1:2], v[3:4]
	v_fma_f64 v[1:2], v[3:4], v[15:16], v[1:2]
	v_div_scale_f64 v[3:4], null, v[1:2], v[1:2], 1.0
	v_rcp_f64_e32 v[13:14], v[3:4]
	v_fma_f64 v[21:22], -v[3:4], v[13:14], 1.0
	v_fma_f64 v[13:14], v[13:14], v[21:22], v[13:14]
	v_fma_f64 v[21:22], -v[3:4], v[13:14], 1.0
	v_fma_f64 v[13:14], v[13:14], v[21:22], v[13:14]
	v_div_scale_f64 v[21:22], vcc_lo, 1.0, v[1:2], 1.0
	v_mul_f64 v[85:86], v[21:22], v[13:14]
	v_fma_f64 v[3:4], -v[3:4], v[85:86], v[21:22]
	v_div_fmas_f64 v[3:4], v[3:4], v[13:14], v[85:86]
	v_div_fixup_f64 v[13:14], v[3:4], v[1:2], 1.0
	v_mul_f64 v[15:16], v[15:16], -v[13:14]
.LBB127_333:
	s_or_b32 exec_lo, exec_lo, s5
	ds_write2_b64 v23, v[13:14], v[15:16] offset1:1
.LBB127_334:
	s_or_b32 exec_lo, exec_lo, s6
	s_waitcnt lgkmcnt(0)
	s_barrier
	buffer_gl0_inv
	ds_read2_b64 v[101:104], v23 offset1:1
	s_mov_b32 s5, exec_lo
	v_cmpx_lt_u32_e32 25, v0
	s_cbranch_execz .LBB127_337
; %bb.335:
	s_clause 0x3
	buffer_load_dword v1, off, s[0:3], 0 offset:408
	buffer_load_dword v2, off, s[0:3], 0 offset:412
	buffer_load_dword v3, off, s[0:3], 0 offset:400
	buffer_load_dword v4, off, s[0:3], 0 offset:404
	s_movk_i32 s6, 0x1a0
	s_waitcnt vmcnt(2) lgkmcnt(0)
	v_mul_f64 v[13:14], v[103:104], v[1:2]
	v_mul_f64 v[1:2], v[101:102], v[1:2]
	s_waitcnt vmcnt(0)
	v_fma_f64 v[13:14], v[101:102], v[3:4], -v[13:14]
	v_fma_f64 v[1:2], v[103:104], v[3:4], v[1:2]
	buffer_store_dword v13, off, s[0:3], 0 offset:400
	buffer_store_dword v14, off, s[0:3], 0 offset:404
	;; [unrolled: 1-line block ×4, first 2 shown]
.LBB127_336:                            ; =>This Inner Loop Header: Depth=1
	v_add_nc_u32_e32 v25, s6, v24
	v_mov_b32_e32 v26, s6
	s_add_i32 s6, s6, 32
	s_cmpk_lg_i32 s6, 0x400
	ds_read2_b64 v[1:4], v25 offset1:1
	s_clause 0x3
	buffer_load_dword v13, off, s[0:3], 0 offset:400
	buffer_load_dword v14, off, s[0:3], 0 offset:404
	;; [unrolled: 1-line block ×4, first 2 shown]
	s_waitcnt vmcnt(0) lgkmcnt(0)
	v_mul_f64 v[21:22], v[3:4], v[15:16]
	v_fma_f64 v[21:22], v[1:2], v[13:14], -v[21:22]
	v_mul_f64 v[1:2], v[1:2], v[15:16]
	v_fma_f64 v[1:2], v[3:4], v[13:14], v[1:2]
	s_clause 0x7
	buffer_load_dword v3, v26, s[0:3], 0 offen
	buffer_load_dword v4, v26, s[0:3], 0 offen offset:4
	buffer_load_dword v13, v26, s[0:3], 0 offen offset:8
	;; [unrolled: 1-line block ×7, first 2 shown]
	s_waitcnt vmcnt(6)
	v_add_f64 v[3:4], v[3:4], -v[21:22]
	s_waitcnt vmcnt(4)
	v_add_f64 v[1:2], v[13:14], -v[1:2]
	buffer_store_dword v4, v26, s[0:3], 0 offen offset:4
	buffer_store_dword v3, v26, s[0:3], 0 offen
	buffer_store_dword v2, v26, s[0:3], 0 offen offset:12
	buffer_store_dword v1, v26, s[0:3], 0 offen offset:8
	ds_read2_b64 v[1:4], v25 offset0:2 offset1:3
	s_clause 0x3
	buffer_load_dword v14, off, s[0:3], 0 offset:404
	buffer_load_dword v13, off, s[0:3], 0 offset:400
	;; [unrolled: 1-line block ×4, first 2 shown]
	s_waitcnt vmcnt(0) lgkmcnt(0)
	v_mul_f64 v[105:106], v[3:4], v[21:22]
	v_fma_f64 v[105:106], v[1:2], v[13:14], -v[105:106]
	v_mul_f64 v[1:2], v[1:2], v[21:22]
	v_fma_f64 v[1:2], v[3:4], v[13:14], v[1:2]
	v_add_f64 v[3:4], v[15:16], -v[105:106]
	v_add_f64 v[1:2], v[85:86], -v[1:2]
	buffer_store_dword v4, v26, s[0:3], 0 offen offset:20
	buffer_store_dword v3, v26, s[0:3], 0 offen offset:16
	;; [unrolled: 1-line block ×4, first 2 shown]
	s_cbranch_scc1 .LBB127_336
.LBB127_337:
	s_or_b32 exec_lo, exec_lo, s5
	s_mov_b32 s6, exec_lo
	s_waitcnt lgkmcnt(0)
	s_waitcnt_vscnt null, 0x0
	s_barrier
	buffer_gl0_inv
	v_cmpx_eq_u32_e32 26, v0
	s_cbranch_execz .LBB127_348
; %bb.338:
	v_mov_b32_e32 v4, s53
	s_mov_b32 s5, 0
	s_clause 0x3
	buffer_load_dword v1, v4, s[0:3], 0 offen
	buffer_load_dword v2, v4, s[0:3], 0 offen offset:4
	buffer_load_dword v3, v4, s[0:3], 0 offen offset:8
	;; [unrolled: 1-line block ×3, first 2 shown]
	s_waitcnt vmcnt(0)
	ds_write2_b64 v23, v[1:2], v[3:4] offset1:1
	s_branch .LBB127_340
.LBB127_339:                            ;   in Loop: Header=BB127_340 Depth=1
	s_andn2_b32 vcc_lo, exec_lo, s8
	s_cbranch_vccz .LBB127_342
.LBB127_340:                            ; =>This Inner Loop Header: Depth=1
	s_add_i32 s7, s52, s5
	v_add3_u32 v1, v87, 0, 0x1b0
	v_mov_b32_e32 v4, s7
	s_mov_b32 s8, -1
	s_cmpk_eq_i32 s5, 0x200
	s_clause 0xf
	buffer_load_dword v2, v4, s[0:3], 0 offen
	buffer_load_dword v3, v4, s[0:3], 0 offen offset:4
	buffer_load_dword v13, v4, s[0:3], 0 offen offset:8
	;; [unrolled: 1-line block ×15, first 2 shown]
	v_add_nc_u32_e32 v1, s5, v1
	s_waitcnt vmcnt(12)
	ds_write2_b64 v1, v[2:3], v[13:14] offset1:1
	s_waitcnt vmcnt(8)
	ds_write2_b64 v1, v[15:16], v[21:22] offset0:2 offset1:3
	s_waitcnt vmcnt(4)
	ds_write2_b64 v1, v[85:86], v[105:106] offset0:4 offset1:5
	;; [unrolled: 2-line block ×3, first 2 shown]
	s_clause 0x3
	buffer_load_dword v3, v4, s[0:3], 0 offen offset:76
	buffer_load_dword v2, v4, s[0:3], 0 offen offset:72
	;; [unrolled: 1-line block ×4, first 2 shown]
	s_waitcnt vmcnt(0)
	ds_write2_b64 v1, v[13:14], v[2:3] offset0:8 offset1:9
	s_cbranch_scc1 .LBB127_339
; %bb.341:                              ;   in Loop: Header=BB127_340 Depth=1
	v_mov_b32_e32 v4, s7
	s_addk_i32 s5, 0x80
	s_mov_b32 s8, 0
	s_clause 0xb
	buffer_load_dword v2, v4, s[0:3], 0 offen offset:80
	buffer_load_dword v3, v4, s[0:3], 0 offen offset:84
	;; [unrolled: 1-line block ×12, first 2 shown]
	s_waitcnt vmcnt(8)
	ds_write2_b64 v1, v[2:3], v[13:14] offset0:10 offset1:11
	s_waitcnt vmcnt(4)
	ds_write2_b64 v1, v[15:16], v[21:22] offset0:12 offset1:13
	;; [unrolled: 2-line block ×3, first 2 shown]
	s_branch .LBB127_339
.LBB127_342:
	ds_read2_b64 v[1:4], v23 offset1:1
	s_waitcnt lgkmcnt(0)
	v_cmp_neq_f64_e32 vcc_lo, 0, v[1:2]
	v_cmp_neq_f64_e64 s5, 0, v[3:4]
	s_or_b32 s5, vcc_lo, s5
	s_and_b32 exec_lo, exec_lo, s5
	s_cbranch_execz .LBB127_348
; %bb.343:
	v_cmp_ngt_f64_e64 s5, |v[1:2]|, |v[3:4]|
                                        ; implicit-def: $vgpr13_vgpr14
	s_and_saveexec_b32 s7, s5
	s_xor_b32 s5, exec_lo, s7
                                        ; implicit-def: $vgpr15_vgpr16
	s_cbranch_execz .LBB127_345
; %bb.344:
	v_div_scale_f64 v[13:14], null, v[3:4], v[3:4], v[1:2]
	v_div_scale_f64 v[85:86], vcc_lo, v[1:2], v[3:4], v[1:2]
	v_rcp_f64_e32 v[15:16], v[13:14]
	v_fma_f64 v[21:22], -v[13:14], v[15:16], 1.0
	v_fma_f64 v[15:16], v[15:16], v[21:22], v[15:16]
	v_fma_f64 v[21:22], -v[13:14], v[15:16], 1.0
	v_fma_f64 v[15:16], v[15:16], v[21:22], v[15:16]
	v_mul_f64 v[21:22], v[85:86], v[15:16]
	v_fma_f64 v[13:14], -v[13:14], v[21:22], v[85:86]
	v_div_fmas_f64 v[13:14], v[13:14], v[15:16], v[21:22]
	v_div_fixup_f64 v[13:14], v[13:14], v[3:4], v[1:2]
	v_fma_f64 v[1:2], v[1:2], v[13:14], v[3:4]
	v_div_scale_f64 v[3:4], null, v[1:2], v[1:2], 1.0
	v_rcp_f64_e32 v[15:16], v[3:4]
	v_fma_f64 v[21:22], -v[3:4], v[15:16], 1.0
	v_fma_f64 v[15:16], v[15:16], v[21:22], v[15:16]
	v_fma_f64 v[21:22], -v[3:4], v[15:16], 1.0
	v_fma_f64 v[15:16], v[15:16], v[21:22], v[15:16]
	v_div_scale_f64 v[21:22], vcc_lo, 1.0, v[1:2], 1.0
	v_mul_f64 v[85:86], v[21:22], v[15:16]
	v_fma_f64 v[3:4], -v[3:4], v[85:86], v[21:22]
	v_div_fmas_f64 v[3:4], v[3:4], v[15:16], v[85:86]
	v_div_fixup_f64 v[15:16], v[3:4], v[1:2], 1.0
                                        ; implicit-def: $vgpr1_vgpr2
	v_mul_f64 v[13:14], v[13:14], v[15:16]
	v_xor_b32_e32 v16, 0x80000000, v16
.LBB127_345:
	s_andn2_saveexec_b32 s5, s5
	s_cbranch_execz .LBB127_347
; %bb.346:
	v_div_scale_f64 v[13:14], null, v[1:2], v[1:2], v[3:4]
	v_div_scale_f64 v[85:86], vcc_lo, v[3:4], v[1:2], v[3:4]
	v_rcp_f64_e32 v[15:16], v[13:14]
	v_fma_f64 v[21:22], -v[13:14], v[15:16], 1.0
	v_fma_f64 v[15:16], v[15:16], v[21:22], v[15:16]
	v_fma_f64 v[21:22], -v[13:14], v[15:16], 1.0
	v_fma_f64 v[15:16], v[15:16], v[21:22], v[15:16]
	v_mul_f64 v[21:22], v[85:86], v[15:16]
	v_fma_f64 v[13:14], -v[13:14], v[21:22], v[85:86]
	v_div_fmas_f64 v[13:14], v[13:14], v[15:16], v[21:22]
	v_div_fixup_f64 v[15:16], v[13:14], v[1:2], v[3:4]
	v_fma_f64 v[1:2], v[3:4], v[15:16], v[1:2]
	v_div_scale_f64 v[3:4], null, v[1:2], v[1:2], 1.0
	v_rcp_f64_e32 v[13:14], v[3:4]
	v_fma_f64 v[21:22], -v[3:4], v[13:14], 1.0
	v_fma_f64 v[13:14], v[13:14], v[21:22], v[13:14]
	v_fma_f64 v[21:22], -v[3:4], v[13:14], 1.0
	v_fma_f64 v[13:14], v[13:14], v[21:22], v[13:14]
	v_div_scale_f64 v[21:22], vcc_lo, 1.0, v[1:2], 1.0
	v_mul_f64 v[85:86], v[21:22], v[13:14]
	v_fma_f64 v[3:4], -v[3:4], v[85:86], v[21:22]
	v_div_fmas_f64 v[3:4], v[3:4], v[13:14], v[85:86]
	v_div_fixup_f64 v[13:14], v[3:4], v[1:2], 1.0
	v_mul_f64 v[15:16], v[15:16], -v[13:14]
.LBB127_347:
	s_or_b32 exec_lo, exec_lo, s5
	ds_write2_b64 v23, v[13:14], v[15:16] offset1:1
.LBB127_348:
	s_or_b32 exec_lo, exec_lo, s6
	buffer_store_dword v111, off, s[0:3], 0 offset:1496 ; 4-byte Folded Spill
	buffer_store_dword v112, off, s[0:3], 0 offset:1500 ; 4-byte Folded Spill
	;; [unrolled: 1-line block ×4, first 2 shown]
	s_waitcnt lgkmcnt(0)
	s_waitcnt_vscnt null, 0x0
	s_barrier
	buffer_gl0_inv
	ds_read2_b64 v[105:108], v23 offset1:1
	s_mov_b32 s5, exec_lo
	v_cmpx_lt_u32_e32 26, v0
	s_cbranch_execz .LBB127_353
; %bb.349:
	s_clause 0x3
	buffer_load_dword v1, off, s[0:3], 0 offset:424
	buffer_load_dword v2, off, s[0:3], 0 offset:428
	;; [unrolled: 1-line block ×4, first 2 shown]
	s_movk_i32 s6, 0x1b0
	s_waitcnt vmcnt(2) lgkmcnt(0)
	v_mul_f64 v[13:14], v[107:108], v[1:2]
	v_mul_f64 v[15:16], v[105:106], v[1:2]
	s_waitcnt vmcnt(0)
	v_fma_f64 v[1:2], v[105:106], v[3:4], -v[13:14]
	v_fma_f64 v[3:4], v[107:108], v[3:4], v[15:16]
	buffer_store_dword v1, off, s[0:3], 0 offset:416
	buffer_store_dword v2, off, s[0:3], 0 offset:420
	;; [unrolled: 1-line block ×4, first 2 shown]
	s_branch .LBB127_351
.LBB127_350:                            ;   in Loop: Header=BB127_351 Depth=1
	s_andn2_b32 vcc_lo, exec_lo, s8
	s_cbranch_vccz .LBB127_353
.LBB127_351:                            ; =>This Inner Loop Header: Depth=1
	v_add_nc_u32_e32 v13, s6, v24
	v_mov_b32_e32 v16, s6
	s_mov_b32 s7, s6
	s_mov_b32 s8, -1
	s_cmpk_eq_i32 s6, 0x3f0
	ds_read2_b64 v[109:112], v13 offset1:1
	s_waitcnt vmcnt(0) lgkmcnt(0)
	v_mul_f64 v[14:15], v[111:112], v[3:4]
	v_mul_f64 v[3:4], v[109:110], v[3:4]
	v_fma_f64 v[14:15], v[109:110], v[1:2], -v[14:15]
	v_fma_f64 v[1:2], v[111:112], v[1:2], v[3:4]
	s_clause 0x3
	buffer_load_dword v3, v16, s[0:3], 0 offen
	buffer_load_dword v4, v16, s[0:3], 0 offen offset:4
	buffer_load_dword v21, v16, s[0:3], 0 offen offset:8
	;; [unrolled: 1-line block ×3, first 2 shown]
	s_waitcnt vmcnt(2)
	v_add_f64 v[3:4], v[3:4], -v[14:15]
	s_waitcnt vmcnt(0)
	v_add_f64 v[1:2], v[21:22], -v[1:2]
	buffer_store_dword v3, v16, s[0:3], 0 offen
	buffer_store_dword v4, v16, s[0:3], 0 offen offset:4
	buffer_store_dword v1, v16, s[0:3], 0 offen offset:8
	;; [unrolled: 1-line block ×3, first 2 shown]
                                        ; implicit-def: $vgpr1_vgpr2
                                        ; implicit-def: $vgpr3_vgpr4
	s_cbranch_scc1 .LBB127_350
; %bb.352:                              ;   in Loop: Header=BB127_351 Depth=1
	s_clause 0x3
	buffer_load_dword v14, off, s[0:3], 0 offset:424
	buffer_load_dword v15, off, s[0:3], 0 offset:428
	buffer_load_dword v21, off, s[0:3], 0 offset:416
	buffer_load_dword v22, off, s[0:3], 0 offset:420
	v_mov_b32_e32 v16, s7
	s_add_i32 s6, s6, 64
	s_mov_b32 s8, 0
	s_clause 0x3
	buffer_load_dword v85, v16, s[0:3], 0 offen offset:16
	buffer_load_dword v86, v16, s[0:3], 0 offen offset:20
	buffer_load_dword v109, v16, s[0:3], 0 offen offset:24
	buffer_load_dword v110, v16, s[0:3], 0 offen offset:28
	ds_read2_b64 v[1:4], v13 offset0:2 offset1:3
	s_waitcnt vmcnt(6) lgkmcnt(0)
	v_mul_f64 v[111:112], v[3:4], v[14:15]
	v_mul_f64 v[14:15], v[1:2], v[14:15]
	s_waitcnt vmcnt(4)
	v_fma_f64 v[1:2], v[1:2], v[21:22], -v[111:112]
	v_fma_f64 v[3:4], v[3:4], v[21:22], v[14:15]
	s_waitcnt vmcnt(2)
	v_add_f64 v[1:2], v[85:86], -v[1:2]
	s_waitcnt vmcnt(0)
	v_add_f64 v[3:4], v[109:110], -v[3:4]
	buffer_store_dword v2, v16, s[0:3], 0 offen offset:20
	buffer_store_dword v1, v16, s[0:3], 0 offen offset:16
	buffer_store_dword v4, v16, s[0:3], 0 offen offset:28
	buffer_store_dword v3, v16, s[0:3], 0 offen offset:24
	s_clause 0x7
	buffer_load_dword v15, off, s[0:3], 0 offset:428
	buffer_load_dword v14, off, s[0:3], 0 offset:424
	buffer_load_dword v22, off, s[0:3], 0 offset:420
	buffer_load_dword v21, off, s[0:3], 0 offset:416
	buffer_load_dword v86, v16, s[0:3], 0 offen offset:36
	buffer_load_dword v85, v16, s[0:3], 0 offen offset:32
	buffer_load_dword v109, v16, s[0:3], 0 offen offset:40
	buffer_load_dword v110, v16, s[0:3], 0 offen offset:44
	ds_read2_b64 v[1:4], v13 offset0:4 offset1:5
	s_waitcnt vmcnt(6) lgkmcnt(0)
	v_mul_f64 v[111:112], v[3:4], v[14:15]
	v_mul_f64 v[14:15], v[1:2], v[14:15]
	s_waitcnt vmcnt(4)
	v_fma_f64 v[1:2], v[1:2], v[21:22], -v[111:112]
	v_fma_f64 v[3:4], v[3:4], v[21:22], v[14:15]
	s_waitcnt vmcnt(2)
	v_add_f64 v[1:2], v[85:86], -v[1:2]
	s_waitcnt vmcnt(0)
	v_add_f64 v[3:4], v[109:110], -v[3:4]
	buffer_store_dword v2, v16, s[0:3], 0 offen offset:36
	buffer_store_dword v1, v16, s[0:3], 0 offen offset:32
	buffer_store_dword v4, v16, s[0:3], 0 offen offset:44
	buffer_store_dword v3, v16, s[0:3], 0 offen offset:40
	s_clause 0x7
	buffer_load_dword v14, off, s[0:3], 0 offset:424
	buffer_load_dword v15, off, s[0:3], 0 offset:428
	buffer_load_dword v21, off, s[0:3], 0 offset:416
	buffer_load_dword v22, off, s[0:3], 0 offset:420
	;; [unrolled: 24-line block ×3, first 2 shown]
	s_branch .LBB127_350
.LBB127_353:
	s_or_b32 exec_lo, exec_lo, s5
	s_mov_b32 s6, exec_lo
	s_waitcnt vmcnt(0) lgkmcnt(0)
	s_waitcnt_vscnt null, 0x0
	s_barrier
	buffer_gl0_inv
	v_cmpx_eq_u32_e32 27, v0
	s_cbranch_execz .LBB127_360
; %bb.354:
	v_mov_b32_e32 v4, s52
	s_clause 0x3
	buffer_load_dword v1, v4, s[0:3], 0 offen
	buffer_load_dword v2, v4, s[0:3], 0 offen offset:4
	buffer_load_dword v3, v4, s[0:3], 0 offen offset:8
	;; [unrolled: 1-line block ×3, first 2 shown]
	s_waitcnt vmcnt(0)
	ds_write2_b64 v23, v[1:2], v[3:4] offset1:1
	v_mov_b32_e32 v4, s51
	s_clause 0x3
	buffer_load_dword v1, v4, s[0:3], 0 offen
	buffer_load_dword v2, v4, s[0:3], 0 offen offset:4
	buffer_load_dword v3, v4, s[0:3], 0 offen offset:8
	buffer_load_dword v4, v4, s[0:3], 0 offen offset:12
	s_waitcnt vmcnt(0)
	ds_write2_b64 v24, v[1:2], v[3:4] offset0:56 offset1:57
	v_mov_b32_e32 v4, s50
	s_clause 0x3
	buffer_load_dword v1, v4, s[0:3], 0 offen
	buffer_load_dword v2, v4, s[0:3], 0 offen offset:4
	buffer_load_dword v3, v4, s[0:3], 0 offen offset:8
	buffer_load_dword v4, v4, s[0:3], 0 offen offset:12
	s_waitcnt vmcnt(0)
	ds_write2_b64 v24, v[1:2], v[3:4] offset0:58 offset1:59
	;; [unrolled: 8-line block ×36, first 2 shown]
	ds_read2_b64 v[1:4], v23 offset1:1
	s_waitcnt lgkmcnt(0)
	v_cmp_neq_f64_e32 vcc_lo, 0, v[1:2]
	v_cmp_neq_f64_e64 s5, 0, v[3:4]
	s_or_b32 s5, vcc_lo, s5
	s_and_b32 exec_lo, exec_lo, s5
	s_cbranch_execz .LBB127_360
; %bb.355:
	v_cmp_ngt_f64_e64 s5, |v[1:2]|, |v[3:4]|
                                        ; implicit-def: $vgpr13_vgpr14
	s_and_saveexec_b32 s7, s5
	s_xor_b32 s5, exec_lo, s7
                                        ; implicit-def: $vgpr15_vgpr16
	s_cbranch_execz .LBB127_357
; %bb.356:
	v_div_scale_f64 v[13:14], null, v[3:4], v[3:4], v[1:2]
	v_div_scale_f64 v[85:86], vcc_lo, v[1:2], v[3:4], v[1:2]
	v_rcp_f64_e32 v[15:16], v[13:14]
	v_fma_f64 v[21:22], -v[13:14], v[15:16], 1.0
	v_fma_f64 v[15:16], v[15:16], v[21:22], v[15:16]
	v_fma_f64 v[21:22], -v[13:14], v[15:16], 1.0
	v_fma_f64 v[15:16], v[15:16], v[21:22], v[15:16]
	v_mul_f64 v[21:22], v[85:86], v[15:16]
	v_fma_f64 v[13:14], -v[13:14], v[21:22], v[85:86]
	v_div_fmas_f64 v[13:14], v[13:14], v[15:16], v[21:22]
	v_div_fixup_f64 v[13:14], v[13:14], v[3:4], v[1:2]
	v_fma_f64 v[1:2], v[1:2], v[13:14], v[3:4]
	v_div_scale_f64 v[3:4], null, v[1:2], v[1:2], 1.0
	v_rcp_f64_e32 v[15:16], v[3:4]
	v_fma_f64 v[21:22], -v[3:4], v[15:16], 1.0
	v_fma_f64 v[15:16], v[15:16], v[21:22], v[15:16]
	v_fma_f64 v[21:22], -v[3:4], v[15:16], 1.0
	v_fma_f64 v[15:16], v[15:16], v[21:22], v[15:16]
	v_div_scale_f64 v[21:22], vcc_lo, 1.0, v[1:2], 1.0
	v_mul_f64 v[85:86], v[21:22], v[15:16]
	v_fma_f64 v[3:4], -v[3:4], v[85:86], v[21:22]
	v_div_fmas_f64 v[3:4], v[3:4], v[15:16], v[85:86]
	v_div_fixup_f64 v[15:16], v[3:4], v[1:2], 1.0
                                        ; implicit-def: $vgpr1_vgpr2
	v_mul_f64 v[13:14], v[13:14], v[15:16]
	v_xor_b32_e32 v16, 0x80000000, v16
.LBB127_357:
	s_andn2_saveexec_b32 s5, s5
	s_cbranch_execz .LBB127_359
; %bb.358:
	v_div_scale_f64 v[13:14], null, v[1:2], v[1:2], v[3:4]
	v_div_scale_f64 v[85:86], vcc_lo, v[3:4], v[1:2], v[3:4]
	v_rcp_f64_e32 v[15:16], v[13:14]
	v_fma_f64 v[21:22], -v[13:14], v[15:16], 1.0
	v_fma_f64 v[15:16], v[15:16], v[21:22], v[15:16]
	v_fma_f64 v[21:22], -v[13:14], v[15:16], 1.0
	v_fma_f64 v[15:16], v[15:16], v[21:22], v[15:16]
	v_mul_f64 v[21:22], v[85:86], v[15:16]
	v_fma_f64 v[13:14], -v[13:14], v[21:22], v[85:86]
	v_div_fmas_f64 v[13:14], v[13:14], v[15:16], v[21:22]
	v_div_fixup_f64 v[15:16], v[13:14], v[1:2], v[3:4]
	v_fma_f64 v[1:2], v[3:4], v[15:16], v[1:2]
	v_div_scale_f64 v[3:4], null, v[1:2], v[1:2], 1.0
	v_rcp_f64_e32 v[13:14], v[3:4]
	v_fma_f64 v[21:22], -v[3:4], v[13:14], 1.0
	v_fma_f64 v[13:14], v[13:14], v[21:22], v[13:14]
	v_fma_f64 v[21:22], -v[3:4], v[13:14], 1.0
	v_fma_f64 v[13:14], v[13:14], v[21:22], v[13:14]
	v_div_scale_f64 v[21:22], vcc_lo, 1.0, v[1:2], 1.0
	v_mul_f64 v[85:86], v[21:22], v[13:14]
	v_fma_f64 v[3:4], -v[3:4], v[85:86], v[21:22]
	v_div_fmas_f64 v[3:4], v[3:4], v[13:14], v[85:86]
	v_div_fixup_f64 v[13:14], v[3:4], v[1:2], 1.0
	v_mul_f64 v[15:16], v[15:16], -v[13:14]
.LBB127_359:
	s_or_b32 exec_lo, exec_lo, s5
	ds_write2_b64 v23, v[13:14], v[15:16] offset1:1
.LBB127_360:
	s_or_b32 exec_lo, exec_lo, s6
	s_waitcnt lgkmcnt(0)
	s_barrier
	buffer_gl0_inv
	ds_read2_b64 v[109:112], v23 offset1:1
	s_mov_b32 s5, exec_lo
	v_cmpx_lt_u32_e32 27, v0
	s_cbranch_execz .LBB127_363
; %bb.361:
	s_clause 0x3
	buffer_load_dword v1, off, s[0:3], 0 offset:440
	buffer_load_dword v2, off, s[0:3], 0 offset:444
	;; [unrolled: 1-line block ×4, first 2 shown]
	s_movk_i32 s6, 0x1c0
	s_waitcnt vmcnt(2) lgkmcnt(0)
	v_mul_f64 v[13:14], v[111:112], v[1:2]
	v_mul_f64 v[1:2], v[109:110], v[1:2]
	s_waitcnt vmcnt(0)
	v_fma_f64 v[13:14], v[109:110], v[3:4], -v[13:14]
	v_fma_f64 v[1:2], v[111:112], v[3:4], v[1:2]
	buffer_store_dword v13, off, s[0:3], 0 offset:432
	buffer_store_dword v14, off, s[0:3], 0 offset:436
	;; [unrolled: 1-line block ×4, first 2 shown]
.LBB127_362:                            ; =>This Inner Loop Header: Depth=1
	s_clause 0x3
	buffer_load_dword v13, off, s[0:3], 0 offset:440
	buffer_load_dword v14, off, s[0:3], 0 offset:444
	;; [unrolled: 1-line block ×4, first 2 shown]
	v_mov_b32_e32 v25, s6
	v_add_nc_u32_e32 v26, s6, v24
	s_addk_i32 s6, 0x60
	s_clause 0x3
	buffer_load_dword v21, v25, s[0:3], 0 offen
	buffer_load_dword v22, v25, s[0:3], 0 offen offset:4
	buffer_load_dword v85, v25, s[0:3], 0 offen offset:8
	;; [unrolled: 1-line block ×3, first 2 shown]
	ds_read2_b64 v[1:4], v26 offset1:1
	s_cmpk_lg_i32 s6, 0x400
	s_waitcnt vmcnt(6) lgkmcnt(0)
	v_mul_f64 v[113:114], v[3:4], v[13:14]
	v_mul_f64 v[13:14], v[1:2], v[13:14]
	s_waitcnt vmcnt(4)
	v_fma_f64 v[1:2], v[1:2], v[15:16], -v[113:114]
	v_fma_f64 v[3:4], v[3:4], v[15:16], v[13:14]
	s_waitcnt vmcnt(2)
	v_add_f64 v[1:2], v[21:22], -v[1:2]
	s_waitcnt vmcnt(0)
	v_add_f64 v[3:4], v[85:86], -v[3:4]
	buffer_store_dword v2, v25, s[0:3], 0 offen offset:4
	buffer_store_dword v1, v25, s[0:3], 0 offen
	buffer_store_dword v4, v25, s[0:3], 0 offen offset:12
	buffer_store_dword v3, v25, s[0:3], 0 offen offset:8
	s_clause 0x7
	buffer_load_dword v14, off, s[0:3], 0 offset:444
	buffer_load_dword v13, off, s[0:3], 0 offset:440
	buffer_load_dword v16, off, s[0:3], 0 offset:436
	buffer_load_dword v15, off, s[0:3], 0 offset:432
	buffer_load_dword v21, v25, s[0:3], 0 offen offset:16
	buffer_load_dword v22, v25, s[0:3], 0 offen offset:20
	buffer_load_dword v85, v25, s[0:3], 0 offen offset:24
	buffer_load_dword v86, v25, s[0:3], 0 offen offset:28
	ds_read2_b64 v[1:4], v26 offset0:2 offset1:3
	s_waitcnt vmcnt(6) lgkmcnt(0)
	v_mul_f64 v[113:114], v[3:4], v[13:14]
	v_mul_f64 v[13:14], v[1:2], v[13:14]
	s_waitcnt vmcnt(4)
	v_fma_f64 v[1:2], v[1:2], v[15:16], -v[113:114]
	v_fma_f64 v[3:4], v[3:4], v[15:16], v[13:14]
	s_waitcnt vmcnt(2)
	v_add_f64 v[1:2], v[21:22], -v[1:2]
	s_waitcnt vmcnt(0)
	v_add_f64 v[3:4], v[85:86], -v[3:4]
	buffer_store_dword v2, v25, s[0:3], 0 offen offset:20
	buffer_store_dword v1, v25, s[0:3], 0 offen offset:16
	buffer_store_dword v4, v25, s[0:3], 0 offen offset:28
	buffer_store_dword v3, v25, s[0:3], 0 offen offset:24
	s_clause 0x7
	buffer_load_dword v13, off, s[0:3], 0 offset:440
	buffer_load_dword v14, off, s[0:3], 0 offset:444
	buffer_load_dword v15, off, s[0:3], 0 offset:432
	buffer_load_dword v16, off, s[0:3], 0 offset:436
	buffer_load_dword v21, v25, s[0:3], 0 offen offset:32
	buffer_load_dword v22, v25, s[0:3], 0 offen offset:36
	buffer_load_dword v85, v25, s[0:3], 0 offen offset:40
	buffer_load_dword v86, v25, s[0:3], 0 offen offset:44
	ds_read2_b64 v[1:4], v26 offset0:4 offset1:5
	s_waitcnt vmcnt(6) lgkmcnt(0)
	v_mul_f64 v[113:114], v[3:4], v[13:14]
	v_mul_f64 v[13:14], v[1:2], v[13:14]
	s_waitcnt vmcnt(4)
	v_fma_f64 v[1:2], v[1:2], v[15:16], -v[113:114]
	v_fma_f64 v[3:4], v[3:4], v[15:16], v[13:14]
	s_waitcnt vmcnt(2)
	v_add_f64 v[1:2], v[21:22], -v[1:2]
	s_waitcnt vmcnt(0)
	v_add_f64 v[3:4], v[85:86], -v[3:4]
	buffer_store_dword v2, v25, s[0:3], 0 offen offset:36
	buffer_store_dword v1, v25, s[0:3], 0 offen offset:32
	;; [unrolled: 24-line block ×5, first 2 shown]
	buffer_store_dword v4, v25, s[0:3], 0 offen offset:92
	buffer_store_dword v3, v25, s[0:3], 0 offen offset:88
	s_cbranch_scc1 .LBB127_362
.LBB127_363:
	s_or_b32 exec_lo, exec_lo, s5
	s_mov_b32 s6, exec_lo
	s_waitcnt lgkmcnt(0)
	s_waitcnt_vscnt null, 0x0
	s_barrier
	buffer_gl0_inv
	v_cmpx_eq_u32_e32 28, v0
	s_cbranch_execz .LBB127_370
; %bb.364:
	v_mov_b32_e32 v4, s51
	s_clause 0x3
	buffer_load_dword v1, v4, s[0:3], 0 offen
	buffer_load_dword v2, v4, s[0:3], 0 offen offset:4
	buffer_load_dword v3, v4, s[0:3], 0 offen offset:8
	;; [unrolled: 1-line block ×3, first 2 shown]
	s_waitcnt vmcnt(0)
	ds_write2_b64 v23, v[1:2], v[3:4] offset1:1
	v_mov_b32_e32 v4, s50
	s_clause 0x3
	buffer_load_dword v1, v4, s[0:3], 0 offen
	buffer_load_dword v2, v4, s[0:3], 0 offen offset:4
	buffer_load_dword v3, v4, s[0:3], 0 offen offset:8
	buffer_load_dword v4, v4, s[0:3], 0 offen offset:12
	s_waitcnt vmcnt(0)
	ds_write2_b64 v24, v[1:2], v[3:4] offset0:58 offset1:59
	v_mov_b32_e32 v4, s49
	s_clause 0x3
	buffer_load_dword v1, v4, s[0:3], 0 offen
	buffer_load_dword v2, v4, s[0:3], 0 offen offset:4
	buffer_load_dword v3, v4, s[0:3], 0 offen offset:8
	buffer_load_dword v4, v4, s[0:3], 0 offen offset:12
	s_waitcnt vmcnt(0)
	ds_write2_b64 v24, v[1:2], v[3:4] offset0:60 offset1:61
	;; [unrolled: 8-line block ×35, first 2 shown]
	ds_read2_b64 v[1:4], v23 offset1:1
	s_waitcnt lgkmcnt(0)
	v_cmp_neq_f64_e32 vcc_lo, 0, v[1:2]
	v_cmp_neq_f64_e64 s5, 0, v[3:4]
	s_or_b32 s5, vcc_lo, s5
	s_and_b32 exec_lo, exec_lo, s5
	s_cbranch_execz .LBB127_370
; %bb.365:
	v_cmp_ngt_f64_e64 s5, |v[1:2]|, |v[3:4]|
                                        ; implicit-def: $vgpr13_vgpr14
	s_and_saveexec_b32 s7, s5
	s_xor_b32 s5, exec_lo, s7
                                        ; implicit-def: $vgpr15_vgpr16
	s_cbranch_execz .LBB127_367
; %bb.366:
	v_div_scale_f64 v[13:14], null, v[3:4], v[3:4], v[1:2]
	v_div_scale_f64 v[85:86], vcc_lo, v[1:2], v[3:4], v[1:2]
	v_rcp_f64_e32 v[15:16], v[13:14]
	v_fma_f64 v[21:22], -v[13:14], v[15:16], 1.0
	v_fma_f64 v[15:16], v[15:16], v[21:22], v[15:16]
	v_fma_f64 v[21:22], -v[13:14], v[15:16], 1.0
	v_fma_f64 v[15:16], v[15:16], v[21:22], v[15:16]
	v_mul_f64 v[21:22], v[85:86], v[15:16]
	v_fma_f64 v[13:14], -v[13:14], v[21:22], v[85:86]
	v_div_fmas_f64 v[13:14], v[13:14], v[15:16], v[21:22]
	v_div_fixup_f64 v[13:14], v[13:14], v[3:4], v[1:2]
	v_fma_f64 v[1:2], v[1:2], v[13:14], v[3:4]
	v_div_scale_f64 v[3:4], null, v[1:2], v[1:2], 1.0
	v_rcp_f64_e32 v[15:16], v[3:4]
	v_fma_f64 v[21:22], -v[3:4], v[15:16], 1.0
	v_fma_f64 v[15:16], v[15:16], v[21:22], v[15:16]
	v_fma_f64 v[21:22], -v[3:4], v[15:16], 1.0
	v_fma_f64 v[15:16], v[15:16], v[21:22], v[15:16]
	v_div_scale_f64 v[21:22], vcc_lo, 1.0, v[1:2], 1.0
	v_mul_f64 v[85:86], v[21:22], v[15:16]
	v_fma_f64 v[3:4], -v[3:4], v[85:86], v[21:22]
	v_div_fmas_f64 v[3:4], v[3:4], v[15:16], v[85:86]
	v_div_fixup_f64 v[15:16], v[3:4], v[1:2], 1.0
                                        ; implicit-def: $vgpr1_vgpr2
	v_mul_f64 v[13:14], v[13:14], v[15:16]
	v_xor_b32_e32 v16, 0x80000000, v16
.LBB127_367:
	s_andn2_saveexec_b32 s5, s5
	s_cbranch_execz .LBB127_369
; %bb.368:
	v_div_scale_f64 v[13:14], null, v[1:2], v[1:2], v[3:4]
	v_div_scale_f64 v[85:86], vcc_lo, v[3:4], v[1:2], v[3:4]
	v_rcp_f64_e32 v[15:16], v[13:14]
	v_fma_f64 v[21:22], -v[13:14], v[15:16], 1.0
	v_fma_f64 v[15:16], v[15:16], v[21:22], v[15:16]
	v_fma_f64 v[21:22], -v[13:14], v[15:16], 1.0
	v_fma_f64 v[15:16], v[15:16], v[21:22], v[15:16]
	v_mul_f64 v[21:22], v[85:86], v[15:16]
	v_fma_f64 v[13:14], -v[13:14], v[21:22], v[85:86]
	v_div_fmas_f64 v[13:14], v[13:14], v[15:16], v[21:22]
	v_div_fixup_f64 v[15:16], v[13:14], v[1:2], v[3:4]
	v_fma_f64 v[1:2], v[3:4], v[15:16], v[1:2]
	v_div_scale_f64 v[3:4], null, v[1:2], v[1:2], 1.0
	v_rcp_f64_e32 v[13:14], v[3:4]
	v_fma_f64 v[21:22], -v[3:4], v[13:14], 1.0
	v_fma_f64 v[13:14], v[13:14], v[21:22], v[13:14]
	v_fma_f64 v[21:22], -v[3:4], v[13:14], 1.0
	v_fma_f64 v[13:14], v[13:14], v[21:22], v[13:14]
	v_div_scale_f64 v[21:22], vcc_lo, 1.0, v[1:2], 1.0
	v_mul_f64 v[85:86], v[21:22], v[13:14]
	v_fma_f64 v[3:4], -v[3:4], v[85:86], v[21:22]
	v_div_fmas_f64 v[3:4], v[3:4], v[13:14], v[85:86]
	v_div_fixup_f64 v[13:14], v[3:4], v[1:2], 1.0
	v_mul_f64 v[15:16], v[15:16], -v[13:14]
.LBB127_369:
	s_or_b32 exec_lo, exec_lo, s5
	ds_write2_b64 v23, v[13:14], v[15:16] offset1:1
.LBB127_370:
	s_or_b32 exec_lo, exec_lo, s6
	buffer_store_dword v119, off, s[0:3], 0 offset:1528 ; 4-byte Folded Spill
	buffer_store_dword v120, off, s[0:3], 0 offset:1532 ; 4-byte Folded Spill
	;; [unrolled: 1-line block ×8, first 2 shown]
	s_waitcnt lgkmcnt(0)
	s_waitcnt_vscnt null, 0x0
	s_barrier
	buffer_gl0_inv
	ds_read2_b64 v[113:116], v23 offset1:1
	s_mov_b32 s5, exec_lo
	v_cmpx_lt_u32_e32 28, v0
	s_cbranch_execz .LBB127_373
; %bb.371:
	s_clause 0x3
	buffer_load_dword v1, off, s[0:3], 0 offset:456
	buffer_load_dword v2, off, s[0:3], 0 offset:460
	;; [unrolled: 1-line block ×4, first 2 shown]
	s_movk_i32 s6, 0x1d0
	s_waitcnt vmcnt(2) lgkmcnt(0)
	v_mul_f64 v[13:14], v[115:116], v[1:2]
	v_mul_f64 v[1:2], v[113:114], v[1:2]
	s_waitcnt vmcnt(0)
	v_fma_f64 v[13:14], v[113:114], v[3:4], -v[13:14]
	v_fma_f64 v[1:2], v[115:116], v[3:4], v[1:2]
	buffer_store_dword v13, off, s[0:3], 0 offset:448
	buffer_store_dword v14, off, s[0:3], 0 offset:452
	;; [unrolled: 1-line block ×4, first 2 shown]
.LBB127_372:                            ; =>This Inner Loop Header: Depth=1
	s_clause 0x3
	buffer_load_dword v13, off, s[0:3], 0 offset:456
	buffer_load_dword v14, off, s[0:3], 0 offset:460
	;; [unrolled: 1-line block ×4, first 2 shown]
	v_mov_b32_e32 v25, s6
	v_add_nc_u32_e32 v26, s6, v24
	s_addk_i32 s6, 0x70
	s_clause 0x3
	buffer_load_dword v21, v25, s[0:3], 0 offen
	buffer_load_dword v22, v25, s[0:3], 0 offen offset:4
	buffer_load_dword v85, v25, s[0:3], 0 offen offset:8
	;; [unrolled: 1-line block ×3, first 2 shown]
	ds_read2_b64 v[1:4], v26 offset1:1
	s_clause 0x2
	buffer_load_dword v117, v25, s[0:3], 0 offen offset:16
	buffer_load_dword v118, v25, s[0:3], 0 offen offset:20
	;; [unrolled: 1-line block ×3, first 2 shown]
	s_cmpk_lg_i32 s6, 0x400
	s_waitcnt vmcnt(9) lgkmcnt(0)
	v_mul_f64 v[120:121], v[3:4], v[13:14]
	v_mul_f64 v[13:14], v[1:2], v[13:14]
	s_waitcnt vmcnt(7)
	v_fma_f64 v[1:2], v[1:2], v[15:16], -v[120:121]
	v_fma_f64 v[3:4], v[3:4], v[15:16], v[13:14]
	s_waitcnt vmcnt(5)
	v_add_f64 v[1:2], v[21:22], -v[1:2]
	s_waitcnt vmcnt(3)
	v_add_f64 v[3:4], v[85:86], -v[3:4]
	buffer_store_dword v2, v25, s[0:3], 0 offen offset:4
	buffer_store_dword v1, v25, s[0:3], 0 offen
	buffer_store_dword v4, v25, s[0:3], 0 offen offset:12
	buffer_store_dword v3, v25, s[0:3], 0 offen offset:8
	s_clause 0x4
	buffer_load_dword v14, off, s[0:3], 0 offset:460
	buffer_load_dword v13, off, s[0:3], 0 offset:456
	;; [unrolled: 1-line block ×4, first 2 shown]
	buffer_load_dword v120, v25, s[0:3], 0 offen offset:28
	ds_read2_b64 v[1:4], v26 offset0:2 offset1:3
	s_waitcnt vmcnt(3) lgkmcnt(0)
	v_mul_f64 v[21:22], v[3:4], v[13:14]
	v_mul_f64 v[13:14], v[1:2], v[13:14]
	s_waitcnt vmcnt(1)
	v_fma_f64 v[1:2], v[1:2], v[15:16], -v[21:22]
	v_fma_f64 v[3:4], v[3:4], v[15:16], v[13:14]
	v_add_f64 v[1:2], v[117:118], -v[1:2]
	s_waitcnt vmcnt(0)
	v_add_f64 v[3:4], v[119:120], -v[3:4]
	buffer_store_dword v2, v25, s[0:3], 0 offen offset:20
	buffer_store_dword v1, v25, s[0:3], 0 offen offset:16
	buffer_store_dword v4, v25, s[0:3], 0 offen offset:28
	buffer_store_dword v3, v25, s[0:3], 0 offen offset:24
	s_clause 0x7
	buffer_load_dword v13, off, s[0:3], 0 offset:456
	buffer_load_dword v14, off, s[0:3], 0 offset:460
	buffer_load_dword v15, off, s[0:3], 0 offset:448
	buffer_load_dword v16, off, s[0:3], 0 offset:452
	buffer_load_dword v21, v25, s[0:3], 0 offen offset:32
	buffer_load_dword v22, v25, s[0:3], 0 offen offset:36
	buffer_load_dword v85, v25, s[0:3], 0 offen offset:40
	buffer_load_dword v86, v25, s[0:3], 0 offen offset:44
	ds_read2_b64 v[1:4], v26 offset0:4 offset1:5
	s_waitcnt vmcnt(6) lgkmcnt(0)
	v_mul_f64 v[117:118], v[3:4], v[13:14]
	v_mul_f64 v[13:14], v[1:2], v[13:14]
	s_waitcnt vmcnt(4)
	v_fma_f64 v[1:2], v[1:2], v[15:16], -v[117:118]
	v_fma_f64 v[3:4], v[3:4], v[15:16], v[13:14]
	s_waitcnt vmcnt(2)
	v_add_f64 v[1:2], v[21:22], -v[1:2]
	s_waitcnt vmcnt(0)
	v_add_f64 v[3:4], v[85:86], -v[3:4]
	buffer_store_dword v2, v25, s[0:3], 0 offen offset:36
	buffer_store_dword v1, v25, s[0:3], 0 offen offset:32
	buffer_store_dword v4, v25, s[0:3], 0 offen offset:44
	buffer_store_dword v3, v25, s[0:3], 0 offen offset:40
	s_clause 0x7
	buffer_load_dword v13, off, s[0:3], 0 offset:456
	buffer_load_dword v14, off, s[0:3], 0 offset:460
	buffer_load_dword v15, off, s[0:3], 0 offset:448
	buffer_load_dword v16, off, s[0:3], 0 offset:452
	buffer_load_dword v21, v25, s[0:3], 0 offen offset:48
	buffer_load_dword v22, v25, s[0:3], 0 offen offset:52
	buffer_load_dword v85, v25, s[0:3], 0 offen offset:56
	buffer_load_dword v86, v25, s[0:3], 0 offen offset:60
	ds_read2_b64 v[1:4], v26 offset0:6 offset1:7
	s_waitcnt vmcnt(6) lgkmcnt(0)
	v_mul_f64 v[117:118], v[3:4], v[13:14]
	v_mul_f64 v[13:14], v[1:2], v[13:14]
	s_waitcnt vmcnt(4)
	v_fma_f64 v[1:2], v[1:2], v[15:16], -v[117:118]
	v_fma_f64 v[3:4], v[3:4], v[15:16], v[13:14]
	s_waitcnt vmcnt(2)
	;; [unrolled: 24-line block ×5, first 2 shown]
	v_add_f64 v[1:2], v[21:22], -v[1:2]
	s_waitcnt vmcnt(0)
	v_add_f64 v[3:4], v[85:86], -v[3:4]
	buffer_store_dword v2, v25, s[0:3], 0 offen offset:100
	buffer_store_dword v1, v25, s[0:3], 0 offen offset:96
	;; [unrolled: 1-line block ×4, first 2 shown]
	s_cbranch_scc1 .LBB127_372
.LBB127_373:
	s_or_b32 exec_lo, exec_lo, s5
	s_mov_b32 s6, exec_lo
	s_waitcnt lgkmcnt(0)
	s_waitcnt_vscnt null, 0x0
	s_barrier
	buffer_gl0_inv
	v_cmpx_eq_u32_e32 29, v0
	s_cbranch_execz .LBB127_380
; %bb.374:
	v_mov_b32_e32 v4, s50
	s_clause 0x3
	buffer_load_dword v1, v4, s[0:3], 0 offen
	buffer_load_dword v2, v4, s[0:3], 0 offen offset:4
	buffer_load_dword v3, v4, s[0:3], 0 offen offset:8
	;; [unrolled: 1-line block ×3, first 2 shown]
	s_waitcnt vmcnt(0)
	ds_write2_b64 v23, v[1:2], v[3:4] offset1:1
	v_mov_b32_e32 v4, s49
	s_clause 0x3
	buffer_load_dword v1, v4, s[0:3], 0 offen
	buffer_load_dword v2, v4, s[0:3], 0 offen offset:4
	buffer_load_dword v3, v4, s[0:3], 0 offen offset:8
	buffer_load_dword v4, v4, s[0:3], 0 offen offset:12
	s_waitcnt vmcnt(0)
	ds_write2_b64 v24, v[1:2], v[3:4] offset0:60 offset1:61
	v_mov_b32_e32 v4, s48
	s_clause 0x3
	buffer_load_dword v1, v4, s[0:3], 0 offen
	buffer_load_dword v2, v4, s[0:3], 0 offen offset:4
	buffer_load_dword v3, v4, s[0:3], 0 offen offset:8
	buffer_load_dword v4, v4, s[0:3], 0 offen offset:12
	s_waitcnt vmcnt(0)
	ds_write2_b64 v24, v[1:2], v[3:4] offset0:62 offset1:63
	;; [unrolled: 8-line block ×34, first 2 shown]
	ds_read2_b64 v[1:4], v23 offset1:1
	s_waitcnt lgkmcnt(0)
	v_cmp_neq_f64_e32 vcc_lo, 0, v[1:2]
	v_cmp_neq_f64_e64 s5, 0, v[3:4]
	s_or_b32 s5, vcc_lo, s5
	s_and_b32 exec_lo, exec_lo, s5
	s_cbranch_execz .LBB127_380
; %bb.375:
	v_cmp_ngt_f64_e64 s5, |v[1:2]|, |v[3:4]|
                                        ; implicit-def: $vgpr13_vgpr14
	s_and_saveexec_b32 s7, s5
	s_xor_b32 s5, exec_lo, s7
                                        ; implicit-def: $vgpr15_vgpr16
	s_cbranch_execz .LBB127_377
; %bb.376:
	v_div_scale_f64 v[13:14], null, v[3:4], v[3:4], v[1:2]
	v_div_scale_f64 v[85:86], vcc_lo, v[1:2], v[3:4], v[1:2]
	v_rcp_f64_e32 v[15:16], v[13:14]
	v_fma_f64 v[21:22], -v[13:14], v[15:16], 1.0
	v_fma_f64 v[15:16], v[15:16], v[21:22], v[15:16]
	v_fma_f64 v[21:22], -v[13:14], v[15:16], 1.0
	v_fma_f64 v[15:16], v[15:16], v[21:22], v[15:16]
	v_mul_f64 v[21:22], v[85:86], v[15:16]
	v_fma_f64 v[13:14], -v[13:14], v[21:22], v[85:86]
	v_div_fmas_f64 v[13:14], v[13:14], v[15:16], v[21:22]
	v_div_fixup_f64 v[13:14], v[13:14], v[3:4], v[1:2]
	v_fma_f64 v[1:2], v[1:2], v[13:14], v[3:4]
	v_div_scale_f64 v[3:4], null, v[1:2], v[1:2], 1.0
	v_rcp_f64_e32 v[15:16], v[3:4]
	v_fma_f64 v[21:22], -v[3:4], v[15:16], 1.0
	v_fma_f64 v[15:16], v[15:16], v[21:22], v[15:16]
	v_fma_f64 v[21:22], -v[3:4], v[15:16], 1.0
	v_fma_f64 v[15:16], v[15:16], v[21:22], v[15:16]
	v_div_scale_f64 v[21:22], vcc_lo, 1.0, v[1:2], 1.0
	v_mul_f64 v[85:86], v[21:22], v[15:16]
	v_fma_f64 v[3:4], -v[3:4], v[85:86], v[21:22]
	v_div_fmas_f64 v[3:4], v[3:4], v[15:16], v[85:86]
	v_div_fixup_f64 v[15:16], v[3:4], v[1:2], 1.0
                                        ; implicit-def: $vgpr1_vgpr2
	v_mul_f64 v[13:14], v[13:14], v[15:16]
	v_xor_b32_e32 v16, 0x80000000, v16
.LBB127_377:
	s_andn2_saveexec_b32 s5, s5
	s_cbranch_execz .LBB127_379
; %bb.378:
	v_div_scale_f64 v[13:14], null, v[1:2], v[1:2], v[3:4]
	v_div_scale_f64 v[85:86], vcc_lo, v[3:4], v[1:2], v[3:4]
	v_rcp_f64_e32 v[15:16], v[13:14]
	v_fma_f64 v[21:22], -v[13:14], v[15:16], 1.0
	v_fma_f64 v[15:16], v[15:16], v[21:22], v[15:16]
	v_fma_f64 v[21:22], -v[13:14], v[15:16], 1.0
	v_fma_f64 v[15:16], v[15:16], v[21:22], v[15:16]
	v_mul_f64 v[21:22], v[85:86], v[15:16]
	v_fma_f64 v[13:14], -v[13:14], v[21:22], v[85:86]
	v_div_fmas_f64 v[13:14], v[13:14], v[15:16], v[21:22]
	v_div_fixup_f64 v[15:16], v[13:14], v[1:2], v[3:4]
	v_fma_f64 v[1:2], v[3:4], v[15:16], v[1:2]
	v_div_scale_f64 v[3:4], null, v[1:2], v[1:2], 1.0
	v_rcp_f64_e32 v[13:14], v[3:4]
	v_fma_f64 v[21:22], -v[3:4], v[13:14], 1.0
	v_fma_f64 v[13:14], v[13:14], v[21:22], v[13:14]
	v_fma_f64 v[21:22], -v[3:4], v[13:14], 1.0
	v_fma_f64 v[13:14], v[13:14], v[21:22], v[13:14]
	v_div_scale_f64 v[21:22], vcc_lo, 1.0, v[1:2], 1.0
	v_mul_f64 v[85:86], v[21:22], v[13:14]
	v_fma_f64 v[3:4], -v[3:4], v[85:86], v[21:22]
	v_div_fmas_f64 v[3:4], v[3:4], v[13:14], v[85:86]
	v_div_fixup_f64 v[13:14], v[3:4], v[1:2], 1.0
	v_mul_f64 v[15:16], v[15:16], -v[13:14]
.LBB127_379:
	s_or_b32 exec_lo, exec_lo, s5
	ds_write2_b64 v23, v[13:14], v[15:16] offset1:1
.LBB127_380:
	s_or_b32 exec_lo, exec_lo, s6
	s_waitcnt lgkmcnt(0)
	s_barrier
	buffer_gl0_inv
	ds_read2_b64 v[117:120], v23 offset1:1
	s_mov_b32 s5, exec_lo
	v_cmpx_lt_u32_e32 29, v0
	s_cbranch_execz .LBB127_383
; %bb.381:
	s_clause 0x3
	buffer_load_dword v1, off, s[0:3], 0 offset:472
	buffer_load_dword v2, off, s[0:3], 0 offset:476
	;; [unrolled: 1-line block ×4, first 2 shown]
	s_movk_i32 s6, 0x1e0
	s_waitcnt vmcnt(2) lgkmcnt(0)
	v_mul_f64 v[13:14], v[119:120], v[1:2]
	v_mul_f64 v[1:2], v[117:118], v[1:2]
	s_waitcnt vmcnt(0)
	v_fma_f64 v[13:14], v[117:118], v[3:4], -v[13:14]
	v_fma_f64 v[1:2], v[119:120], v[3:4], v[1:2]
	buffer_store_dword v13, off, s[0:3], 0 offset:464
	buffer_store_dword v14, off, s[0:3], 0 offset:468
	;; [unrolled: 1-line block ×4, first 2 shown]
.LBB127_382:                            ; =>This Inner Loop Header: Depth=1
	v_add_nc_u32_e32 v25, s6, v24
	v_mov_b32_e32 v26, s6
	s_add_i32 s6, s6, 32
	s_cmpk_lg_i32 s6, 0x400
	ds_read2_b64 v[1:4], v25 offset1:1
	s_clause 0x3
	buffer_load_dword v13, off, s[0:3], 0 offset:464
	buffer_load_dword v14, off, s[0:3], 0 offset:468
	;; [unrolled: 1-line block ×4, first 2 shown]
	s_waitcnt vmcnt(0) lgkmcnt(0)
	v_mul_f64 v[21:22], v[3:4], v[15:16]
	v_fma_f64 v[21:22], v[1:2], v[13:14], -v[21:22]
	v_mul_f64 v[1:2], v[1:2], v[15:16]
	v_fma_f64 v[1:2], v[3:4], v[13:14], v[1:2]
	s_clause 0x7
	buffer_load_dword v3, v26, s[0:3], 0 offen
	buffer_load_dword v4, v26, s[0:3], 0 offen offset:4
	buffer_load_dword v13, v26, s[0:3], 0 offen offset:8
	;; [unrolled: 1-line block ×7, first 2 shown]
	s_waitcnt vmcnt(6)
	v_add_f64 v[3:4], v[3:4], -v[21:22]
	s_waitcnt vmcnt(4)
	v_add_f64 v[1:2], v[13:14], -v[1:2]
	buffer_store_dword v4, v26, s[0:3], 0 offen offset:4
	buffer_store_dword v3, v26, s[0:3], 0 offen
	buffer_store_dword v2, v26, s[0:3], 0 offen offset:12
	buffer_store_dword v1, v26, s[0:3], 0 offen offset:8
	ds_read2_b64 v[1:4], v25 offset0:2 offset1:3
	s_clause 0x3
	buffer_load_dword v14, off, s[0:3], 0 offset:468
	buffer_load_dword v13, off, s[0:3], 0 offset:464
	;; [unrolled: 1-line block ×4, first 2 shown]
	s_waitcnt vmcnt(0) lgkmcnt(0)
	v_mul_f64 v[121:122], v[3:4], v[21:22]
	v_fma_f64 v[121:122], v[1:2], v[13:14], -v[121:122]
	v_mul_f64 v[1:2], v[1:2], v[21:22]
	v_fma_f64 v[1:2], v[3:4], v[13:14], v[1:2]
	v_add_f64 v[3:4], v[15:16], -v[121:122]
	v_add_f64 v[1:2], v[85:86], -v[1:2]
	buffer_store_dword v4, v26, s[0:3], 0 offen offset:20
	buffer_store_dword v3, v26, s[0:3], 0 offen offset:16
	;; [unrolled: 1-line block ×4, first 2 shown]
	s_cbranch_scc1 .LBB127_382
.LBB127_383:
	s_or_b32 exec_lo, exec_lo, s5
	s_mov_b32 s6, exec_lo
	s_waitcnt lgkmcnt(0)
	s_waitcnt_vscnt null, 0x0
	s_barrier
	buffer_gl0_inv
	v_cmpx_eq_u32_e32 30, v0
	s_cbranch_execz .LBB127_390
; %bb.384:
	v_mov_b32_e32 v4, s49
	s_clause 0x3
	buffer_load_dword v1, v4, s[0:3], 0 offen
	buffer_load_dword v2, v4, s[0:3], 0 offen offset:4
	buffer_load_dword v3, v4, s[0:3], 0 offen offset:8
	;; [unrolled: 1-line block ×3, first 2 shown]
	s_waitcnt vmcnt(0)
	ds_write2_b64 v23, v[1:2], v[3:4] offset1:1
	v_mov_b32_e32 v4, s48
	s_clause 0x3
	buffer_load_dword v1, v4, s[0:3], 0 offen
	buffer_load_dword v2, v4, s[0:3], 0 offen offset:4
	buffer_load_dword v3, v4, s[0:3], 0 offen offset:8
	buffer_load_dword v4, v4, s[0:3], 0 offen offset:12
	s_waitcnt vmcnt(0)
	ds_write2_b64 v24, v[1:2], v[3:4] offset0:62 offset1:63
	v_mov_b32_e32 v4, s47
	s_clause 0x3
	buffer_load_dword v1, v4, s[0:3], 0 offen
	buffer_load_dword v2, v4, s[0:3], 0 offen offset:4
	buffer_load_dword v3, v4, s[0:3], 0 offen offset:8
	buffer_load_dword v4, v4, s[0:3], 0 offen offset:12
	s_waitcnt vmcnt(0)
	ds_write2_b64 v24, v[1:2], v[3:4] offset0:64 offset1:65
	;; [unrolled: 8-line block ×33, first 2 shown]
	ds_read2_b64 v[1:4], v23 offset1:1
	s_waitcnt lgkmcnt(0)
	v_cmp_neq_f64_e32 vcc_lo, 0, v[1:2]
	v_cmp_neq_f64_e64 s5, 0, v[3:4]
	s_or_b32 s5, vcc_lo, s5
	s_and_b32 exec_lo, exec_lo, s5
	s_cbranch_execz .LBB127_390
; %bb.385:
	v_cmp_ngt_f64_e64 s5, |v[1:2]|, |v[3:4]|
                                        ; implicit-def: $vgpr13_vgpr14
	s_and_saveexec_b32 s7, s5
	s_xor_b32 s5, exec_lo, s7
                                        ; implicit-def: $vgpr15_vgpr16
	s_cbranch_execz .LBB127_387
; %bb.386:
	v_div_scale_f64 v[13:14], null, v[3:4], v[3:4], v[1:2]
	v_div_scale_f64 v[85:86], vcc_lo, v[1:2], v[3:4], v[1:2]
	v_rcp_f64_e32 v[15:16], v[13:14]
	v_fma_f64 v[21:22], -v[13:14], v[15:16], 1.0
	v_fma_f64 v[15:16], v[15:16], v[21:22], v[15:16]
	v_fma_f64 v[21:22], -v[13:14], v[15:16], 1.0
	v_fma_f64 v[15:16], v[15:16], v[21:22], v[15:16]
	v_mul_f64 v[21:22], v[85:86], v[15:16]
	v_fma_f64 v[13:14], -v[13:14], v[21:22], v[85:86]
	v_div_fmas_f64 v[13:14], v[13:14], v[15:16], v[21:22]
	v_div_fixup_f64 v[13:14], v[13:14], v[3:4], v[1:2]
	v_fma_f64 v[1:2], v[1:2], v[13:14], v[3:4]
	v_div_scale_f64 v[3:4], null, v[1:2], v[1:2], 1.0
	v_rcp_f64_e32 v[15:16], v[3:4]
	v_fma_f64 v[21:22], -v[3:4], v[15:16], 1.0
	v_fma_f64 v[15:16], v[15:16], v[21:22], v[15:16]
	v_fma_f64 v[21:22], -v[3:4], v[15:16], 1.0
	v_fma_f64 v[15:16], v[15:16], v[21:22], v[15:16]
	v_div_scale_f64 v[21:22], vcc_lo, 1.0, v[1:2], 1.0
	v_mul_f64 v[85:86], v[21:22], v[15:16]
	v_fma_f64 v[3:4], -v[3:4], v[85:86], v[21:22]
	v_div_fmas_f64 v[3:4], v[3:4], v[15:16], v[85:86]
	v_div_fixup_f64 v[15:16], v[3:4], v[1:2], 1.0
                                        ; implicit-def: $vgpr1_vgpr2
	v_mul_f64 v[13:14], v[13:14], v[15:16]
	v_xor_b32_e32 v16, 0x80000000, v16
.LBB127_387:
	s_andn2_saveexec_b32 s5, s5
	s_cbranch_execz .LBB127_389
; %bb.388:
	v_div_scale_f64 v[13:14], null, v[1:2], v[1:2], v[3:4]
	v_div_scale_f64 v[85:86], vcc_lo, v[3:4], v[1:2], v[3:4]
	v_rcp_f64_e32 v[15:16], v[13:14]
	v_fma_f64 v[21:22], -v[13:14], v[15:16], 1.0
	v_fma_f64 v[15:16], v[15:16], v[21:22], v[15:16]
	v_fma_f64 v[21:22], -v[13:14], v[15:16], 1.0
	v_fma_f64 v[15:16], v[15:16], v[21:22], v[15:16]
	v_mul_f64 v[21:22], v[85:86], v[15:16]
	v_fma_f64 v[13:14], -v[13:14], v[21:22], v[85:86]
	v_div_fmas_f64 v[13:14], v[13:14], v[15:16], v[21:22]
	v_div_fixup_f64 v[15:16], v[13:14], v[1:2], v[3:4]
	v_fma_f64 v[1:2], v[3:4], v[15:16], v[1:2]
	v_div_scale_f64 v[3:4], null, v[1:2], v[1:2], 1.0
	v_rcp_f64_e32 v[13:14], v[3:4]
	v_fma_f64 v[21:22], -v[3:4], v[13:14], 1.0
	v_fma_f64 v[13:14], v[13:14], v[21:22], v[13:14]
	v_fma_f64 v[21:22], -v[3:4], v[13:14], 1.0
	v_fma_f64 v[13:14], v[13:14], v[21:22], v[13:14]
	v_div_scale_f64 v[21:22], vcc_lo, 1.0, v[1:2], 1.0
	v_mul_f64 v[85:86], v[21:22], v[13:14]
	v_fma_f64 v[3:4], -v[3:4], v[85:86], v[21:22]
	v_div_fmas_f64 v[3:4], v[3:4], v[13:14], v[85:86]
	v_div_fixup_f64 v[13:14], v[3:4], v[1:2], 1.0
	v_mul_f64 v[15:16], v[15:16], -v[13:14]
.LBB127_389:
	s_or_b32 exec_lo, exec_lo, s5
	ds_write2_b64 v23, v[13:14], v[15:16] offset1:1
.LBB127_390:
	s_or_b32 exec_lo, exec_lo, s6
	buffer_store_dword v128, off, s[0:3], 0 offset:1544 ; 4-byte Folded Spill
	buffer_store_dword v129, off, s[0:3], 0 offset:1548 ; 4-byte Folded Spill
	buffer_store_dword v130, off, s[0:3], 0 offset:1552 ; 4-byte Folded Spill
	buffer_store_dword v131, off, s[0:3], 0 offset:1556 ; 4-byte Folded Spill
	s_waitcnt lgkmcnt(0)
	s_waitcnt_vscnt null, 0x0
	s_barrier
	buffer_gl0_inv
	ds_read2_b64 v[121:124], v23 offset1:1
	s_mov_b32 s5, exec_lo
	v_cmpx_lt_u32_e32 30, v0
	s_cbranch_execz .LBB127_393
; %bb.391:
	s_clause 0x3
	buffer_load_dword v1, off, s[0:3], 0 offset:488
	buffer_load_dword v2, off, s[0:3], 0 offset:492
	;; [unrolled: 1-line block ×4, first 2 shown]
	s_movk_i32 s6, 0x1f0
	s_waitcnt vmcnt(2) lgkmcnt(0)
	v_mul_f64 v[13:14], v[123:124], v[1:2]
	v_mul_f64 v[1:2], v[121:122], v[1:2]
	s_waitcnt vmcnt(0)
	v_fma_f64 v[13:14], v[121:122], v[3:4], -v[13:14]
	v_fma_f64 v[1:2], v[123:124], v[3:4], v[1:2]
	buffer_store_dword v13, off, s[0:3], 0 offset:480
	buffer_store_dword v14, off, s[0:3], 0 offset:484
	;; [unrolled: 1-line block ×4, first 2 shown]
.LBB127_392:                            ; =>This Inner Loop Header: Depth=1
	s_clause 0x3
	buffer_load_dword v13, off, s[0:3], 0 offset:488
	buffer_load_dword v14, off, s[0:3], 0 offset:492
	;; [unrolled: 1-line block ×4, first 2 shown]
	v_mov_b32_e32 v25, s6
	v_add_nc_u32_e32 v26, s6, v24
	s_add_i32 s6, s6, 48
	s_clause 0x3
	buffer_load_dword v21, v25, s[0:3], 0 offen
	buffer_load_dword v22, v25, s[0:3], 0 offen offset:4
	buffer_load_dword v85, v25, s[0:3], 0 offen offset:8
	;; [unrolled: 1-line block ×3, first 2 shown]
	ds_read2_b64 v[1:4], v26 offset1:1
	s_cmpk_lg_i32 s6, 0x400
	s_waitcnt vmcnt(6) lgkmcnt(0)
	v_mul_f64 v[128:129], v[3:4], v[13:14]
	v_mul_f64 v[13:14], v[1:2], v[13:14]
	s_waitcnt vmcnt(4)
	v_fma_f64 v[1:2], v[1:2], v[15:16], -v[128:129]
	v_fma_f64 v[3:4], v[3:4], v[15:16], v[13:14]
	s_waitcnt vmcnt(2)
	v_add_f64 v[1:2], v[21:22], -v[1:2]
	s_waitcnt vmcnt(0)
	v_add_f64 v[3:4], v[85:86], -v[3:4]
	buffer_store_dword v2, v25, s[0:3], 0 offen offset:4
	buffer_store_dword v1, v25, s[0:3], 0 offen
	buffer_store_dword v4, v25, s[0:3], 0 offen offset:12
	buffer_store_dword v3, v25, s[0:3], 0 offen offset:8
	s_clause 0x7
	buffer_load_dword v14, off, s[0:3], 0 offset:492
	buffer_load_dword v13, off, s[0:3], 0 offset:488
	buffer_load_dword v16, off, s[0:3], 0 offset:484
	buffer_load_dword v15, off, s[0:3], 0 offset:480
	buffer_load_dword v21, v25, s[0:3], 0 offen offset:16
	buffer_load_dword v22, v25, s[0:3], 0 offen offset:20
	;; [unrolled: 1-line block ×4, first 2 shown]
	ds_read2_b64 v[1:4], v26 offset0:2 offset1:3
	s_waitcnt vmcnt(6) lgkmcnt(0)
	v_mul_f64 v[128:129], v[3:4], v[13:14]
	v_mul_f64 v[13:14], v[1:2], v[13:14]
	s_waitcnt vmcnt(4)
	v_fma_f64 v[1:2], v[1:2], v[15:16], -v[128:129]
	v_fma_f64 v[3:4], v[3:4], v[15:16], v[13:14]
	s_waitcnt vmcnt(2)
	v_add_f64 v[1:2], v[21:22], -v[1:2]
	s_waitcnt vmcnt(0)
	v_add_f64 v[3:4], v[85:86], -v[3:4]
	buffer_store_dword v2, v25, s[0:3], 0 offen offset:20
	buffer_store_dword v1, v25, s[0:3], 0 offen offset:16
	;; [unrolled: 1-line block ×4, first 2 shown]
	s_clause 0x7
	buffer_load_dword v13, off, s[0:3], 0 offset:488
	buffer_load_dword v14, off, s[0:3], 0 offset:492
	;; [unrolled: 1-line block ×4, first 2 shown]
	buffer_load_dword v21, v25, s[0:3], 0 offen offset:32
	buffer_load_dword v22, v25, s[0:3], 0 offen offset:36
	;; [unrolled: 1-line block ×4, first 2 shown]
	ds_read2_b64 v[1:4], v26 offset0:4 offset1:5
	s_waitcnt vmcnt(6) lgkmcnt(0)
	v_mul_f64 v[128:129], v[3:4], v[13:14]
	v_mul_f64 v[13:14], v[1:2], v[13:14]
	s_waitcnt vmcnt(4)
	v_fma_f64 v[1:2], v[1:2], v[15:16], -v[128:129]
	v_fma_f64 v[3:4], v[3:4], v[15:16], v[13:14]
	s_waitcnt vmcnt(2)
	v_add_f64 v[1:2], v[21:22], -v[1:2]
	s_waitcnt vmcnt(0)
	v_add_f64 v[3:4], v[85:86], -v[3:4]
	buffer_store_dword v2, v25, s[0:3], 0 offen offset:36
	buffer_store_dword v1, v25, s[0:3], 0 offen offset:32
	;; [unrolled: 1-line block ×4, first 2 shown]
	s_cbranch_scc1 .LBB127_392
.LBB127_393:
	s_or_b32 exec_lo, exec_lo, s5
	s_mov_b32 s6, exec_lo
	s_waitcnt lgkmcnt(0)
	s_waitcnt_vscnt null, 0x0
	s_barrier
	buffer_gl0_inv
	v_cmpx_eq_u32_e32 31, v0
	s_cbranch_execz .LBB127_400
; %bb.394:
	v_mov_b32_e32 v4, s48
	s_clause 0x3
	buffer_load_dword v1, v4, s[0:3], 0 offen
	buffer_load_dword v2, v4, s[0:3], 0 offen offset:4
	buffer_load_dword v3, v4, s[0:3], 0 offen offset:8
	;; [unrolled: 1-line block ×3, first 2 shown]
	s_waitcnt vmcnt(0)
	ds_write2_b64 v23, v[1:2], v[3:4] offset1:1
	v_mov_b32_e32 v4, s47
	s_clause 0x3
	buffer_load_dword v1, v4, s[0:3], 0 offen
	buffer_load_dword v2, v4, s[0:3], 0 offen offset:4
	buffer_load_dword v3, v4, s[0:3], 0 offen offset:8
	buffer_load_dword v4, v4, s[0:3], 0 offen offset:12
	s_waitcnt vmcnt(0)
	ds_write2_b64 v24, v[1:2], v[3:4] offset0:64 offset1:65
	v_mov_b32_e32 v4, s46
	s_clause 0x3
	buffer_load_dword v1, v4, s[0:3], 0 offen
	buffer_load_dword v2, v4, s[0:3], 0 offen offset:4
	buffer_load_dword v3, v4, s[0:3], 0 offen offset:8
	buffer_load_dword v4, v4, s[0:3], 0 offen offset:12
	s_waitcnt vmcnt(0)
	ds_write2_b64 v24, v[1:2], v[3:4] offset0:66 offset1:67
	;; [unrolled: 8-line block ×32, first 2 shown]
	ds_read2_b64 v[1:4], v23 offset1:1
	s_waitcnt lgkmcnt(0)
	v_cmp_neq_f64_e32 vcc_lo, 0, v[1:2]
	v_cmp_neq_f64_e64 s5, 0, v[3:4]
	s_or_b32 s5, vcc_lo, s5
	s_and_b32 exec_lo, exec_lo, s5
	s_cbranch_execz .LBB127_400
; %bb.395:
	v_cmp_ngt_f64_e64 s5, |v[1:2]|, |v[3:4]|
                                        ; implicit-def: $vgpr13_vgpr14
	s_and_saveexec_b32 s7, s5
	s_xor_b32 s5, exec_lo, s7
                                        ; implicit-def: $vgpr15_vgpr16
	s_cbranch_execz .LBB127_397
; %bb.396:
	v_div_scale_f64 v[13:14], null, v[3:4], v[3:4], v[1:2]
	v_div_scale_f64 v[85:86], vcc_lo, v[1:2], v[3:4], v[1:2]
	v_rcp_f64_e32 v[15:16], v[13:14]
	v_fma_f64 v[21:22], -v[13:14], v[15:16], 1.0
	v_fma_f64 v[15:16], v[15:16], v[21:22], v[15:16]
	v_fma_f64 v[21:22], -v[13:14], v[15:16], 1.0
	v_fma_f64 v[15:16], v[15:16], v[21:22], v[15:16]
	v_mul_f64 v[21:22], v[85:86], v[15:16]
	v_fma_f64 v[13:14], -v[13:14], v[21:22], v[85:86]
	v_div_fmas_f64 v[13:14], v[13:14], v[15:16], v[21:22]
	v_div_fixup_f64 v[13:14], v[13:14], v[3:4], v[1:2]
	v_fma_f64 v[1:2], v[1:2], v[13:14], v[3:4]
	v_div_scale_f64 v[3:4], null, v[1:2], v[1:2], 1.0
	v_rcp_f64_e32 v[15:16], v[3:4]
	v_fma_f64 v[21:22], -v[3:4], v[15:16], 1.0
	v_fma_f64 v[15:16], v[15:16], v[21:22], v[15:16]
	v_fma_f64 v[21:22], -v[3:4], v[15:16], 1.0
	v_fma_f64 v[15:16], v[15:16], v[21:22], v[15:16]
	v_div_scale_f64 v[21:22], vcc_lo, 1.0, v[1:2], 1.0
	v_mul_f64 v[85:86], v[21:22], v[15:16]
	v_fma_f64 v[3:4], -v[3:4], v[85:86], v[21:22]
	v_div_fmas_f64 v[3:4], v[3:4], v[15:16], v[85:86]
	v_div_fixup_f64 v[15:16], v[3:4], v[1:2], 1.0
                                        ; implicit-def: $vgpr1_vgpr2
	v_mul_f64 v[13:14], v[13:14], v[15:16]
	v_xor_b32_e32 v16, 0x80000000, v16
.LBB127_397:
	s_andn2_saveexec_b32 s5, s5
	s_cbranch_execz .LBB127_399
; %bb.398:
	v_div_scale_f64 v[13:14], null, v[1:2], v[1:2], v[3:4]
	v_div_scale_f64 v[85:86], vcc_lo, v[3:4], v[1:2], v[3:4]
	v_rcp_f64_e32 v[15:16], v[13:14]
	v_fma_f64 v[21:22], -v[13:14], v[15:16], 1.0
	v_fma_f64 v[15:16], v[15:16], v[21:22], v[15:16]
	v_fma_f64 v[21:22], -v[13:14], v[15:16], 1.0
	v_fma_f64 v[15:16], v[15:16], v[21:22], v[15:16]
	v_mul_f64 v[21:22], v[85:86], v[15:16]
	v_fma_f64 v[13:14], -v[13:14], v[21:22], v[85:86]
	v_div_fmas_f64 v[13:14], v[13:14], v[15:16], v[21:22]
	v_div_fixup_f64 v[15:16], v[13:14], v[1:2], v[3:4]
	v_fma_f64 v[1:2], v[3:4], v[15:16], v[1:2]
	v_div_scale_f64 v[3:4], null, v[1:2], v[1:2], 1.0
	v_rcp_f64_e32 v[13:14], v[3:4]
	v_fma_f64 v[21:22], -v[3:4], v[13:14], 1.0
	v_fma_f64 v[13:14], v[13:14], v[21:22], v[13:14]
	v_fma_f64 v[21:22], -v[3:4], v[13:14], 1.0
	v_fma_f64 v[13:14], v[13:14], v[21:22], v[13:14]
	v_div_scale_f64 v[21:22], vcc_lo, 1.0, v[1:2], 1.0
	v_mul_f64 v[85:86], v[21:22], v[13:14]
	v_fma_f64 v[3:4], -v[3:4], v[85:86], v[21:22]
	v_div_fmas_f64 v[3:4], v[3:4], v[13:14], v[85:86]
	v_div_fixup_f64 v[13:14], v[3:4], v[1:2], 1.0
	v_mul_f64 v[15:16], v[15:16], -v[13:14]
.LBB127_399:
	s_or_b32 exec_lo, exec_lo, s5
	ds_write2_b64 v23, v[13:14], v[15:16] offset1:1
.LBB127_400:
	s_or_b32 exec_lo, exec_lo, s6
	buffer_store_dword v140, off, s[0:3], 0 offset:1592 ; 4-byte Folded Spill
	buffer_store_dword v141, off, s[0:3], 0 offset:1596 ; 4-byte Folded Spill
	;; [unrolled: 1-line block ×12, first 2 shown]
	s_waitcnt lgkmcnt(0)
	s_waitcnt_vscnt null, 0x0
	s_barrier
	buffer_gl0_inv
	ds_read2_b64 v[13:16], v23 offset1:1
	s_mov_b32 s5, exec_lo
	v_cmpx_lt_u32_e32 31, v0
	s_cbranch_execz .LBB127_403
; %bb.401:
	s_clause 0x3
	buffer_load_dword v1, off, s[0:3], 0 offset:504
	buffer_load_dword v2, off, s[0:3], 0 offset:508
	;; [unrolled: 1-line block ×4, first 2 shown]
	s_mov_b32 s6, 0
	s_waitcnt vmcnt(2) lgkmcnt(0)
	v_mul_f64 v[21:22], v[15:16], v[1:2]
	v_mul_f64 v[85:86], v[13:14], v[1:2]
	s_waitcnt vmcnt(0)
	v_fma_f64 v[1:2], v[13:14], v[3:4], -v[21:22]
	v_fma_f64 v[3:4], v[15:16], v[3:4], v[85:86]
	buffer_store_dword v1, off, s[0:3], 0 offset:496
	buffer_store_dword v2, off, s[0:3], 0 offset:500
	;; [unrolled: 1-line block ×4, first 2 shown]
.LBB127_402:                            ; =>This Inner Loop Header: Depth=1
	v_add3_u32 v21, v87, 0, 0x200
	v_mov_b32_e32 v26, s6
	v_add_nc_u32_e32 v25, s6, v21
	s_add_i32 s6, s6, 64
	s_cmpk_lg_i32 s6, 0x200
	ds_read2_b64 v[128:131], v25 offset1:1
	s_waitcnt lgkmcnt(0)
	v_mul_f64 v[21:22], v[130:131], v[3:4]
	v_mul_f64 v[85:86], v[128:129], v[3:4]
	v_fma_f64 v[21:22], v[128:129], v[1:2], -v[21:22]
	v_fma_f64 v[85:86], v[130:131], v[1:2], v[85:86]
	s_clause 0xf
	buffer_load_dword v128, v26, s[0:3], 0 offen offset:512
	buffer_load_dword v129, v26, s[0:3], 0 offen offset:516
	;; [unrolled: 1-line block ×16, first 2 shown]
	s_waitcnt vmcnt(14)
	v_add_f64 v[21:22], v[128:129], -v[21:22]
	s_waitcnt vmcnt(12)
	v_add_f64 v[85:86], v[130:131], -v[85:86]
	buffer_store_dword v21, v26, s[0:3], 0 offen offset:512
	buffer_store_dword v22, v26, s[0:3], 0 offen offset:516
	buffer_store_dword v85, v26, s[0:3], 0 offen offset:520
	buffer_store_dword v86, v26, s[0:3], 0 offen offset:524
	ds_read2_b64 v[128:131], v25 offset0:2 offset1:3
	s_waitcnt lgkmcnt(0)
	v_mul_f64 v[21:22], v[130:131], v[3:4]
	v_mul_f64 v[85:86], v[128:129], v[3:4]
	v_fma_f64 v[21:22], v[128:129], v[1:2], -v[21:22]
	v_fma_f64 v[85:86], v[130:131], v[1:2], v[85:86]
	s_waitcnt vmcnt(10)
	v_add_f64 v[21:22], v[132:133], -v[21:22]
	s_waitcnt vmcnt(8)
	v_add_f64 v[85:86], v[134:135], -v[85:86]
	buffer_store_dword v21, v26, s[0:3], 0 offen offset:528
	buffer_store_dword v22, v26, s[0:3], 0 offen offset:532
	buffer_store_dword v85, v26, s[0:3], 0 offen offset:536
	buffer_store_dword v86, v26, s[0:3], 0 offen offset:540
	ds_read2_b64 v[128:131], v25 offset0:4 offset1:5
	s_waitcnt lgkmcnt(0)
	v_mul_f64 v[21:22], v[130:131], v[3:4]
	v_mul_f64 v[85:86], v[128:129], v[3:4]
	v_fma_f64 v[21:22], v[128:129], v[1:2], -v[21:22]
	v_fma_f64 v[85:86], v[130:131], v[1:2], v[85:86]
	;; [unrolled: 14-line block ×3, first 2 shown]
	s_waitcnt vmcnt(2)
	v_add_f64 v[21:22], v[140:141], -v[21:22]
	s_waitcnt vmcnt(0)
	v_add_f64 v[85:86], v[142:143], -v[85:86]
	buffer_store_dword v22, v26, s[0:3], 0 offen offset:564
	buffer_store_dword v21, v26, s[0:3], 0 offen offset:560
	;; [unrolled: 1-line block ×4, first 2 shown]
	s_cbranch_scc1 .LBB127_402
.LBB127_403:
	s_or_b32 exec_lo, exec_lo, s5
	s_mov_b32 s6, exec_lo
	s_waitcnt lgkmcnt(0)
	s_waitcnt_vscnt null, 0x0
	s_barrier
	buffer_gl0_inv
	v_cmpx_eq_u32_e32 32, v0
	s_cbranch_execz .LBB127_410
; %bb.404:
	v_mov_b32_e32 v4, s47
	s_clause 0x3
	buffer_load_dword v1, v4, s[0:3], 0 offen
	buffer_load_dword v2, v4, s[0:3], 0 offen offset:4
	buffer_load_dword v3, v4, s[0:3], 0 offen offset:8
	;; [unrolled: 1-line block ×3, first 2 shown]
	s_waitcnt vmcnt(0)
	ds_write2_b64 v23, v[1:2], v[3:4] offset1:1
	v_mov_b32_e32 v4, s46
	s_clause 0x3
	buffer_load_dword v1, v4, s[0:3], 0 offen
	buffer_load_dword v2, v4, s[0:3], 0 offen offset:4
	buffer_load_dword v3, v4, s[0:3], 0 offen offset:8
	buffer_load_dword v4, v4, s[0:3], 0 offen offset:12
	s_waitcnt vmcnt(0)
	ds_write2_b64 v24, v[1:2], v[3:4] offset0:66 offset1:67
	v_mov_b32_e32 v4, s45
	s_clause 0x3
	buffer_load_dword v1, v4, s[0:3], 0 offen
	buffer_load_dword v2, v4, s[0:3], 0 offen offset:4
	buffer_load_dword v3, v4, s[0:3], 0 offen offset:8
	buffer_load_dword v4, v4, s[0:3], 0 offen offset:12
	s_waitcnt vmcnt(0)
	ds_write2_b64 v24, v[1:2], v[3:4] offset0:68 offset1:69
	;; [unrolled: 8-line block ×31, first 2 shown]
	ds_read2_b64 v[1:4], v23 offset1:1
	s_waitcnt lgkmcnt(0)
	v_cmp_neq_f64_e32 vcc_lo, 0, v[1:2]
	v_cmp_neq_f64_e64 s5, 0, v[3:4]
	s_or_b32 s5, vcc_lo, s5
	s_and_b32 exec_lo, exec_lo, s5
	s_cbranch_execz .LBB127_410
; %bb.405:
	v_cmp_ngt_f64_e64 s5, |v[1:2]|, |v[3:4]|
                                        ; implicit-def: $vgpr85_vgpr86
	s_and_saveexec_b32 s7, s5
	s_xor_b32 s5, exec_lo, s7
                                        ; implicit-def: $vgpr21_vgpr22
	s_cbranch_execz .LBB127_407
; %bb.406:
	v_div_scale_f64 v[21:22], null, v[3:4], v[3:4], v[1:2]
	v_div_scale_f64 v[130:131], vcc_lo, v[1:2], v[3:4], v[1:2]
	v_rcp_f64_e32 v[85:86], v[21:22]
	v_fma_f64 v[128:129], -v[21:22], v[85:86], 1.0
	v_fma_f64 v[85:86], v[85:86], v[128:129], v[85:86]
	v_fma_f64 v[128:129], -v[21:22], v[85:86], 1.0
	v_fma_f64 v[85:86], v[85:86], v[128:129], v[85:86]
	v_mul_f64 v[128:129], v[130:131], v[85:86]
	v_fma_f64 v[21:22], -v[21:22], v[128:129], v[130:131]
	v_div_fmas_f64 v[21:22], v[21:22], v[85:86], v[128:129]
	v_div_fixup_f64 v[85:86], v[21:22], v[3:4], v[1:2]
	v_fma_f64 v[1:2], v[1:2], v[85:86], v[3:4]
	v_div_scale_f64 v[3:4], null, v[1:2], v[1:2], 1.0
	v_rcp_f64_e32 v[21:22], v[3:4]
	v_fma_f64 v[128:129], -v[3:4], v[21:22], 1.0
	v_fma_f64 v[21:22], v[21:22], v[128:129], v[21:22]
	v_fma_f64 v[128:129], -v[3:4], v[21:22], 1.0
	v_fma_f64 v[21:22], v[21:22], v[128:129], v[21:22]
	v_div_scale_f64 v[128:129], vcc_lo, 1.0, v[1:2], 1.0
	v_mul_f64 v[130:131], v[128:129], v[21:22]
	v_fma_f64 v[3:4], -v[3:4], v[130:131], v[128:129]
	v_div_fmas_f64 v[3:4], v[3:4], v[21:22], v[130:131]
	v_div_fixup_f64 v[21:22], v[3:4], v[1:2], 1.0
                                        ; implicit-def: $vgpr1_vgpr2
	v_mul_f64 v[85:86], v[85:86], v[21:22]
	v_xor_b32_e32 v22, 0x80000000, v22
.LBB127_407:
	s_andn2_saveexec_b32 s5, s5
	s_cbranch_execz .LBB127_409
; %bb.408:
	v_div_scale_f64 v[21:22], null, v[1:2], v[1:2], v[3:4]
	v_div_scale_f64 v[130:131], vcc_lo, v[3:4], v[1:2], v[3:4]
	v_rcp_f64_e32 v[85:86], v[21:22]
	v_fma_f64 v[128:129], -v[21:22], v[85:86], 1.0
	v_fma_f64 v[85:86], v[85:86], v[128:129], v[85:86]
	v_fma_f64 v[128:129], -v[21:22], v[85:86], 1.0
	v_fma_f64 v[85:86], v[85:86], v[128:129], v[85:86]
	v_mul_f64 v[128:129], v[130:131], v[85:86]
	v_fma_f64 v[21:22], -v[21:22], v[128:129], v[130:131]
	v_div_fmas_f64 v[21:22], v[21:22], v[85:86], v[128:129]
	v_div_fixup_f64 v[21:22], v[21:22], v[1:2], v[3:4]
	v_fma_f64 v[1:2], v[3:4], v[21:22], v[1:2]
	v_div_scale_f64 v[3:4], null, v[1:2], v[1:2], 1.0
	v_rcp_f64_e32 v[85:86], v[3:4]
	v_fma_f64 v[128:129], -v[3:4], v[85:86], 1.0
	v_fma_f64 v[85:86], v[85:86], v[128:129], v[85:86]
	v_fma_f64 v[128:129], -v[3:4], v[85:86], 1.0
	v_fma_f64 v[85:86], v[85:86], v[128:129], v[85:86]
	v_div_scale_f64 v[128:129], vcc_lo, 1.0, v[1:2], 1.0
	v_mul_f64 v[130:131], v[128:129], v[85:86]
	v_fma_f64 v[3:4], -v[3:4], v[130:131], v[128:129]
	v_div_fmas_f64 v[3:4], v[3:4], v[85:86], v[130:131]
	v_div_fixup_f64 v[85:86], v[3:4], v[1:2], 1.0
	v_mul_f64 v[21:22], v[21:22], -v[85:86]
.LBB127_409:
	s_or_b32 exec_lo, exec_lo, s5
	ds_write2_b64 v23, v[85:86], v[21:22] offset1:1
.LBB127_410:
	s_or_b32 exec_lo, exec_lo, s6
	buffer_store_dword v27, off, s[0:3], 0 offset:1608 ; 4-byte Folded Spill
	buffer_store_dword v28, off, s[0:3], 0 offset:1612 ; 4-byte Folded Spill
	buffer_store_dword v29, off, s[0:3], 0 offset:1616 ; 4-byte Folded Spill
	buffer_store_dword v30, off, s[0:3], 0 offset:1620 ; 4-byte Folded Spill
	s_waitcnt lgkmcnt(0)
	s_waitcnt_vscnt null, 0x0
	s_barrier
	buffer_gl0_inv
	ds_read2_b64 v[129:132], v23 offset1:1
	s_mov_b32 s5, exec_lo
	v_cmpx_lt_u32_e32 32, v0
	s_cbranch_execz .LBB127_415
; %bb.411:
	s_clause 0x3
	buffer_load_dword v1, off, s[0:3], 0 offset:520
	buffer_load_dword v2, off, s[0:3], 0 offset:524
	;; [unrolled: 1-line block ×4, first 2 shown]
	s_mov_b32 s6, 0
	s_waitcnt vmcnt(2) lgkmcnt(0)
	v_mul_f64 v[21:22], v[131:132], v[1:2]
	v_mul_f64 v[85:86], v[129:130], v[1:2]
	s_waitcnt vmcnt(0)
	v_fma_f64 v[1:2], v[129:130], v[3:4], -v[21:22]
	v_fma_f64 v[3:4], v[131:132], v[3:4], v[85:86]
	buffer_store_dword v1, off, s[0:3], 0 offset:512
	buffer_store_dword v2, off, s[0:3], 0 offset:516
	;; [unrolled: 1-line block ×4, first 2 shown]
	s_branch .LBB127_413
.LBB127_412:                            ;   in Loop: Header=BB127_413 Depth=1
	s_andn2_b32 vcc_lo, exec_lo, s8
	s_cbranch_vccz .LBB127_415
.LBB127_413:                            ; =>This Inner Loop Header: Depth=1
	v_add3_u32 v21, v87, 0, 0x210
	v_mov_b32_e32 v22, s6
	s_mov_b32 s7, s6
	s_mov_b32 s8, -1
	s_cmpk_eq_i32 s6, 0x1c0
	v_add_nc_u32_e32 v21, s6, v21
	ds_read2_b64 v[133:136], v21 offset1:1
	s_waitcnt lgkmcnt(0)
	v_mul_f64 v[85:86], v[135:136], v[3:4]
	v_fma_f64 v[85:86], v[133:134], v[1:2], -v[85:86]
	v_mul_f64 v[133:134], v[133:134], v[3:4]
	v_fma_f64 v[133:134], v[135:136], v[1:2], v[133:134]
	s_clause 0xb
	buffer_load_dword v135, v22, s[0:3], 0 offen offset:528
	buffer_load_dword v136, v22, s[0:3], 0 offen offset:532
	;; [unrolled: 1-line block ×12, first 2 shown]
	s_waitcnt vmcnt(10)
	v_add_f64 v[85:86], v[135:136], -v[85:86]
	s_waitcnt vmcnt(8)
	v_add_f64 v[133:134], v[137:138], -v[133:134]
	buffer_store_dword v85, v22, s[0:3], 0 offen offset:528
	buffer_store_dword v86, v22, s[0:3], 0 offen offset:532
	;; [unrolled: 1-line block ×4, first 2 shown]
	ds_read2_b64 v[133:136], v21 offset0:2 offset1:3
	s_waitcnt lgkmcnt(0)
	v_mul_f64 v[85:86], v[135:136], v[3:4]
	v_fma_f64 v[85:86], v[133:134], v[1:2], -v[85:86]
	v_mul_f64 v[133:134], v[133:134], v[3:4]
	s_waitcnt vmcnt(6)
	v_add_f64 v[85:86], v[139:140], -v[85:86]
	v_fma_f64 v[133:134], v[135:136], v[1:2], v[133:134]
	s_waitcnt vmcnt(4)
	v_add_f64 v[133:134], v[141:142], -v[133:134]
	buffer_store_dword v85, v22, s[0:3], 0 offen offset:544
	buffer_store_dword v86, v22, s[0:3], 0 offen offset:548
	;; [unrolled: 1-line block ×4, first 2 shown]
	ds_read2_b64 v[133:136], v21 offset0:4 offset1:5
	s_waitcnt lgkmcnt(0)
	v_mul_f64 v[85:86], v[135:136], v[3:4]
	v_fma_f64 v[85:86], v[133:134], v[1:2], -v[85:86]
	v_mul_f64 v[133:134], v[133:134], v[3:4]
	s_waitcnt vmcnt(2)
	v_add_f64 v[85:86], v[143:144], -v[85:86]
	v_fma_f64 v[133:134], v[135:136], v[1:2], v[133:134]
	s_waitcnt vmcnt(0)
	v_add_f64 v[133:134], v[145:146], -v[133:134]
	buffer_store_dword v85, v22, s[0:3], 0 offen offset:560
	buffer_store_dword v86, v22, s[0:3], 0 offen offset:564
	;; [unrolled: 1-line block ×4, first 2 shown]
	s_cbranch_scc1 .LBB127_412
; %bb.414:                              ;   in Loop: Header=BB127_413 Depth=1
	ds_read2_b64 v[133:136], v21 offset0:6 offset1:7
	v_mov_b32_e32 v25, s7
	s_add_i32 s6, s6, 64
	s_mov_b32 s8, 0
	s_waitcnt lgkmcnt(0)
	v_mul_f64 v[21:22], v[135:136], v[3:4]
	v_mul_f64 v[85:86], v[133:134], v[3:4]
	v_fma_f64 v[21:22], v[133:134], v[1:2], -v[21:22]
	v_fma_f64 v[85:86], v[135:136], v[1:2], v[85:86]
	s_clause 0x3
	buffer_load_dword v133, v25, s[0:3], 0 offen offset:576
	buffer_load_dword v134, v25, s[0:3], 0 offen offset:580
	;; [unrolled: 1-line block ×4, first 2 shown]
	s_waitcnt vmcnt(2)
	v_add_f64 v[21:22], v[133:134], -v[21:22]
	s_waitcnt vmcnt(0)
	v_add_f64 v[85:86], v[135:136], -v[85:86]
	buffer_store_dword v21, v25, s[0:3], 0 offen offset:576
	buffer_store_dword v22, v25, s[0:3], 0 offen offset:580
	;; [unrolled: 1-line block ×4, first 2 shown]
	s_branch .LBB127_412
.LBB127_415:
	s_or_b32 exec_lo, exec_lo, s5
	s_mov_b32 s6, exec_lo
	s_waitcnt lgkmcnt(0)
	s_waitcnt_vscnt null, 0x0
	s_barrier
	buffer_gl0_inv
	v_cmpx_eq_u32_e32 33, v0
	s_cbranch_execz .LBB127_422
; %bb.416:
	v_mov_b32_e32 v4, s46
	s_clause 0x3
	buffer_load_dword v1, v4, s[0:3], 0 offen
	buffer_load_dword v2, v4, s[0:3], 0 offen offset:4
	buffer_load_dword v3, v4, s[0:3], 0 offen offset:8
	;; [unrolled: 1-line block ×3, first 2 shown]
	s_waitcnt vmcnt(0)
	ds_write2_b64 v23, v[1:2], v[3:4] offset1:1
	v_mov_b32_e32 v4, s45
	s_clause 0x3
	buffer_load_dword v1, v4, s[0:3], 0 offen
	buffer_load_dword v2, v4, s[0:3], 0 offen offset:4
	buffer_load_dword v3, v4, s[0:3], 0 offen offset:8
	buffer_load_dword v4, v4, s[0:3], 0 offen offset:12
	s_waitcnt vmcnt(0)
	ds_write2_b64 v24, v[1:2], v[3:4] offset0:68 offset1:69
	v_mov_b32_e32 v4, s44
	s_clause 0x3
	buffer_load_dword v1, v4, s[0:3], 0 offen
	buffer_load_dword v2, v4, s[0:3], 0 offen offset:4
	buffer_load_dword v3, v4, s[0:3], 0 offen offset:8
	buffer_load_dword v4, v4, s[0:3], 0 offen offset:12
	s_waitcnt vmcnt(0)
	ds_write2_b64 v24, v[1:2], v[3:4] offset0:70 offset1:71
	;; [unrolled: 8-line block ×30, first 2 shown]
	ds_read2_b64 v[1:4], v23 offset1:1
	s_waitcnt lgkmcnt(0)
	v_cmp_neq_f64_e32 vcc_lo, 0, v[1:2]
	v_cmp_neq_f64_e64 s5, 0, v[3:4]
	s_or_b32 s5, vcc_lo, s5
	s_and_b32 exec_lo, exec_lo, s5
	s_cbranch_execz .LBB127_422
; %bb.417:
	v_cmp_ngt_f64_e64 s5, |v[1:2]|, |v[3:4]|
                                        ; implicit-def: $vgpr85_vgpr86
	s_and_saveexec_b32 s7, s5
	s_xor_b32 s5, exec_lo, s7
                                        ; implicit-def: $vgpr21_vgpr22
	s_cbranch_execz .LBB127_419
; %bb.418:
	v_div_scale_f64 v[21:22], null, v[3:4], v[3:4], v[1:2]
	v_div_scale_f64 v[135:136], vcc_lo, v[1:2], v[3:4], v[1:2]
	v_rcp_f64_e32 v[85:86], v[21:22]
	v_fma_f64 v[133:134], -v[21:22], v[85:86], 1.0
	v_fma_f64 v[85:86], v[85:86], v[133:134], v[85:86]
	v_fma_f64 v[133:134], -v[21:22], v[85:86], 1.0
	v_fma_f64 v[85:86], v[85:86], v[133:134], v[85:86]
	v_mul_f64 v[133:134], v[135:136], v[85:86]
	v_fma_f64 v[21:22], -v[21:22], v[133:134], v[135:136]
	v_div_fmas_f64 v[21:22], v[21:22], v[85:86], v[133:134]
	v_div_fixup_f64 v[85:86], v[21:22], v[3:4], v[1:2]
	v_fma_f64 v[1:2], v[1:2], v[85:86], v[3:4]
	v_div_scale_f64 v[3:4], null, v[1:2], v[1:2], 1.0
	v_rcp_f64_e32 v[21:22], v[3:4]
	v_fma_f64 v[133:134], -v[3:4], v[21:22], 1.0
	v_fma_f64 v[21:22], v[21:22], v[133:134], v[21:22]
	v_fma_f64 v[133:134], -v[3:4], v[21:22], 1.0
	v_fma_f64 v[21:22], v[21:22], v[133:134], v[21:22]
	v_div_scale_f64 v[133:134], vcc_lo, 1.0, v[1:2], 1.0
	v_mul_f64 v[135:136], v[133:134], v[21:22]
	v_fma_f64 v[3:4], -v[3:4], v[135:136], v[133:134]
	v_div_fmas_f64 v[3:4], v[3:4], v[21:22], v[135:136]
	v_div_fixup_f64 v[21:22], v[3:4], v[1:2], 1.0
                                        ; implicit-def: $vgpr1_vgpr2
	v_mul_f64 v[85:86], v[85:86], v[21:22]
	v_xor_b32_e32 v22, 0x80000000, v22
.LBB127_419:
	s_andn2_saveexec_b32 s5, s5
	s_cbranch_execz .LBB127_421
; %bb.420:
	v_div_scale_f64 v[21:22], null, v[1:2], v[1:2], v[3:4]
	v_div_scale_f64 v[135:136], vcc_lo, v[3:4], v[1:2], v[3:4]
	v_rcp_f64_e32 v[85:86], v[21:22]
	v_fma_f64 v[133:134], -v[21:22], v[85:86], 1.0
	v_fma_f64 v[85:86], v[85:86], v[133:134], v[85:86]
	v_fma_f64 v[133:134], -v[21:22], v[85:86], 1.0
	v_fma_f64 v[85:86], v[85:86], v[133:134], v[85:86]
	v_mul_f64 v[133:134], v[135:136], v[85:86]
	v_fma_f64 v[21:22], -v[21:22], v[133:134], v[135:136]
	v_div_fmas_f64 v[21:22], v[21:22], v[85:86], v[133:134]
	v_div_fixup_f64 v[21:22], v[21:22], v[1:2], v[3:4]
	v_fma_f64 v[1:2], v[3:4], v[21:22], v[1:2]
	v_div_scale_f64 v[3:4], null, v[1:2], v[1:2], 1.0
	v_rcp_f64_e32 v[85:86], v[3:4]
	v_fma_f64 v[133:134], -v[3:4], v[85:86], 1.0
	v_fma_f64 v[85:86], v[85:86], v[133:134], v[85:86]
	v_fma_f64 v[133:134], -v[3:4], v[85:86], 1.0
	v_fma_f64 v[85:86], v[85:86], v[133:134], v[85:86]
	v_div_scale_f64 v[133:134], vcc_lo, 1.0, v[1:2], 1.0
	v_mul_f64 v[135:136], v[133:134], v[85:86]
	v_fma_f64 v[3:4], -v[3:4], v[135:136], v[133:134]
	v_div_fmas_f64 v[3:4], v[3:4], v[85:86], v[135:136]
	v_div_fixup_f64 v[85:86], v[3:4], v[1:2], 1.0
	v_mul_f64 v[21:22], v[21:22], -v[85:86]
.LBB127_421:
	s_or_b32 exec_lo, exec_lo, s5
	ds_write2_b64 v23, v[85:86], v[21:22] offset1:1
.LBB127_422:
	s_or_b32 exec_lo, exec_lo, s6
	s_waitcnt lgkmcnt(0)
	s_barrier
	buffer_gl0_inv
	ds_read2_b64 v[133:136], v23 offset1:1
	s_mov_b32 s5, exec_lo
	v_cmpx_lt_u32_e32 33, v0
	s_cbranch_execz .LBB127_425
; %bb.423:
	s_clause 0x3
	buffer_load_dword v1, off, s[0:3], 0 offset:536
	buffer_load_dword v2, off, s[0:3], 0 offset:540
	;; [unrolled: 1-line block ×4, first 2 shown]
	s_mov_b32 s6, 0
	s_waitcnt vmcnt(2) lgkmcnt(0)
	v_mul_f64 v[21:22], v[135:136], v[1:2]
	v_mul_f64 v[85:86], v[133:134], v[1:2]
	s_waitcnt vmcnt(0)
	v_fma_f64 v[1:2], v[133:134], v[3:4], -v[21:22]
	v_fma_f64 v[3:4], v[135:136], v[3:4], v[85:86]
	buffer_store_dword v1, off, s[0:3], 0 offset:528
	buffer_store_dword v2, off, s[0:3], 0 offset:532
	;; [unrolled: 1-line block ×4, first 2 shown]
.LBB127_424:                            ; =>This Inner Loop Header: Depth=1
	v_add3_u32 v21, v87, 0, 0x220
	v_mov_b32_e32 v26, s6
	v_add_nc_u32_e32 v25, s6, v21
	s_addk_i32 s6, 0x60
	s_cmpk_lg_i32 s6, 0x1e0
	ds_read2_b64 v[137:140], v25 offset1:1
	s_waitcnt lgkmcnt(0)
	v_mul_f64 v[21:22], v[139:140], v[3:4]
	v_mul_f64 v[85:86], v[137:138], v[3:4]
	v_fma_f64 v[21:22], v[137:138], v[1:2], -v[21:22]
	v_fma_f64 v[85:86], v[139:140], v[1:2], v[85:86]
	s_clause 0xf
	buffer_load_dword v137, v26, s[0:3], 0 offen offset:544
	buffer_load_dword v138, v26, s[0:3], 0 offen offset:548
	;; [unrolled: 1-line block ×16, first 2 shown]
	s_waitcnt vmcnt(14)
	v_add_f64 v[21:22], v[137:138], -v[21:22]
	s_waitcnt vmcnt(12)
	v_add_f64 v[85:86], v[139:140], -v[85:86]
	buffer_store_dword v21, v26, s[0:3], 0 offen offset:544
	buffer_store_dword v22, v26, s[0:3], 0 offen offset:548
	buffer_store_dword v85, v26, s[0:3], 0 offen offset:552
	buffer_store_dword v86, v26, s[0:3], 0 offen offset:556
	ds_read2_b64 v[137:140], v25 offset0:2 offset1:3
	s_waitcnt lgkmcnt(0)
	v_mul_f64 v[21:22], v[139:140], v[3:4]
	v_mul_f64 v[85:86], v[137:138], v[3:4]
	v_fma_f64 v[21:22], v[137:138], v[1:2], -v[21:22]
	v_fma_f64 v[85:86], v[139:140], v[1:2], v[85:86]
	s_waitcnt vmcnt(10)
	v_add_f64 v[21:22], v[141:142], -v[21:22]
	s_waitcnt vmcnt(8)
	v_add_f64 v[85:86], v[143:144], -v[85:86]
	buffer_store_dword v21, v26, s[0:3], 0 offen offset:560
	buffer_store_dword v22, v26, s[0:3], 0 offen offset:564
	buffer_store_dword v85, v26, s[0:3], 0 offen offset:568
	buffer_store_dword v86, v26, s[0:3], 0 offen offset:572
	ds_read2_b64 v[137:140], v25 offset0:4 offset1:5
	s_waitcnt lgkmcnt(0)
	v_mul_f64 v[21:22], v[139:140], v[3:4]
	v_mul_f64 v[85:86], v[137:138], v[3:4]
	v_fma_f64 v[21:22], v[137:138], v[1:2], -v[21:22]
	v_fma_f64 v[85:86], v[139:140], v[1:2], v[85:86]
	;; [unrolled: 14-line block ×4, first 2 shown]
	s_clause 0x3
	buffer_load_dword v137, v26, s[0:3], 0 offen offset:608
	buffer_load_dword v138, v26, s[0:3], 0 offen offset:612
	;; [unrolled: 1-line block ×4, first 2 shown]
	s_waitcnt vmcnt(2)
	v_add_f64 v[21:22], v[137:138], -v[21:22]
	s_waitcnt vmcnt(0)
	v_add_f64 v[85:86], v[139:140], -v[85:86]
	buffer_store_dword v22, v26, s[0:3], 0 offen offset:612
	buffer_store_dword v21, v26, s[0:3], 0 offen offset:608
	;; [unrolled: 1-line block ×4, first 2 shown]
	ds_read2_b64 v[137:140], v25 offset0:10 offset1:11
	s_waitcnt lgkmcnt(0)
	v_mul_f64 v[21:22], v[139:140], v[3:4]
	v_mul_f64 v[85:86], v[137:138], v[3:4]
	v_fma_f64 v[21:22], v[137:138], v[1:2], -v[21:22]
	v_fma_f64 v[85:86], v[139:140], v[1:2], v[85:86]
	s_clause 0x3
	buffer_load_dword v137, v26, s[0:3], 0 offen offset:624
	buffer_load_dword v138, v26, s[0:3], 0 offen offset:628
	;; [unrolled: 1-line block ×4, first 2 shown]
	s_waitcnt vmcnt(2)
	v_add_f64 v[21:22], v[137:138], -v[21:22]
	s_waitcnt vmcnt(0)
	v_add_f64 v[85:86], v[139:140], -v[85:86]
	buffer_store_dword v22, v26, s[0:3], 0 offen offset:628
	buffer_store_dword v21, v26, s[0:3], 0 offen offset:624
	;; [unrolled: 1-line block ×4, first 2 shown]
	s_cbranch_scc1 .LBB127_424
.LBB127_425:
	s_or_b32 exec_lo, exec_lo, s5
	s_mov_b32 s6, exec_lo
	s_waitcnt lgkmcnt(0)
	s_waitcnt_vscnt null, 0x0
	s_barrier
	buffer_gl0_inv
	v_cmpx_eq_u32_e32 34, v0
	s_cbranch_execz .LBB127_432
; %bb.426:
	v_mov_b32_e32 v4, s45
	s_clause 0x3
	buffer_load_dword v1, v4, s[0:3], 0 offen
	buffer_load_dword v2, v4, s[0:3], 0 offen offset:4
	buffer_load_dword v3, v4, s[0:3], 0 offen offset:8
	;; [unrolled: 1-line block ×3, first 2 shown]
	s_waitcnt vmcnt(0)
	ds_write2_b64 v23, v[1:2], v[3:4] offset1:1
	v_mov_b32_e32 v4, s44
	s_clause 0x3
	buffer_load_dword v1, v4, s[0:3], 0 offen
	buffer_load_dword v2, v4, s[0:3], 0 offen offset:4
	buffer_load_dword v3, v4, s[0:3], 0 offen offset:8
	buffer_load_dword v4, v4, s[0:3], 0 offen offset:12
	s_waitcnt vmcnt(0)
	ds_write2_b64 v24, v[1:2], v[3:4] offset0:70 offset1:71
	v_mov_b32_e32 v4, s43
	s_clause 0x3
	buffer_load_dword v1, v4, s[0:3], 0 offen
	buffer_load_dword v2, v4, s[0:3], 0 offen offset:4
	buffer_load_dword v3, v4, s[0:3], 0 offen offset:8
	buffer_load_dword v4, v4, s[0:3], 0 offen offset:12
	s_waitcnt vmcnt(0)
	ds_write2_b64 v24, v[1:2], v[3:4] offset0:72 offset1:73
	;; [unrolled: 8-line block ×29, first 2 shown]
	ds_read2_b64 v[1:4], v23 offset1:1
	s_waitcnt lgkmcnt(0)
	v_cmp_neq_f64_e32 vcc_lo, 0, v[1:2]
	v_cmp_neq_f64_e64 s5, 0, v[3:4]
	s_or_b32 s5, vcc_lo, s5
	s_and_b32 exec_lo, exec_lo, s5
	s_cbranch_execz .LBB127_432
; %bb.427:
	v_cmp_ngt_f64_e64 s5, |v[1:2]|, |v[3:4]|
                                        ; implicit-def: $vgpr85_vgpr86
	s_and_saveexec_b32 s7, s5
	s_xor_b32 s5, exec_lo, s7
                                        ; implicit-def: $vgpr21_vgpr22
	s_cbranch_execz .LBB127_429
; %bb.428:
	v_div_scale_f64 v[21:22], null, v[3:4], v[3:4], v[1:2]
	v_div_scale_f64 v[139:140], vcc_lo, v[1:2], v[3:4], v[1:2]
	v_rcp_f64_e32 v[85:86], v[21:22]
	v_fma_f64 v[137:138], -v[21:22], v[85:86], 1.0
	v_fma_f64 v[85:86], v[85:86], v[137:138], v[85:86]
	v_fma_f64 v[137:138], -v[21:22], v[85:86], 1.0
	v_fma_f64 v[85:86], v[85:86], v[137:138], v[85:86]
	v_mul_f64 v[137:138], v[139:140], v[85:86]
	v_fma_f64 v[21:22], -v[21:22], v[137:138], v[139:140]
	v_div_fmas_f64 v[21:22], v[21:22], v[85:86], v[137:138]
	v_div_fixup_f64 v[85:86], v[21:22], v[3:4], v[1:2]
	v_fma_f64 v[1:2], v[1:2], v[85:86], v[3:4]
	v_div_scale_f64 v[3:4], null, v[1:2], v[1:2], 1.0
	v_rcp_f64_e32 v[21:22], v[3:4]
	v_fma_f64 v[137:138], -v[3:4], v[21:22], 1.0
	v_fma_f64 v[21:22], v[21:22], v[137:138], v[21:22]
	v_fma_f64 v[137:138], -v[3:4], v[21:22], 1.0
	v_fma_f64 v[21:22], v[21:22], v[137:138], v[21:22]
	v_div_scale_f64 v[137:138], vcc_lo, 1.0, v[1:2], 1.0
	v_mul_f64 v[139:140], v[137:138], v[21:22]
	v_fma_f64 v[3:4], -v[3:4], v[139:140], v[137:138]
	v_div_fmas_f64 v[3:4], v[3:4], v[21:22], v[139:140]
	v_div_fixup_f64 v[21:22], v[3:4], v[1:2], 1.0
                                        ; implicit-def: $vgpr1_vgpr2
	v_mul_f64 v[85:86], v[85:86], v[21:22]
	v_xor_b32_e32 v22, 0x80000000, v22
.LBB127_429:
	s_andn2_saveexec_b32 s5, s5
	s_cbranch_execz .LBB127_431
; %bb.430:
	v_div_scale_f64 v[21:22], null, v[1:2], v[1:2], v[3:4]
	v_div_scale_f64 v[139:140], vcc_lo, v[3:4], v[1:2], v[3:4]
	v_rcp_f64_e32 v[85:86], v[21:22]
	v_fma_f64 v[137:138], -v[21:22], v[85:86], 1.0
	v_fma_f64 v[85:86], v[85:86], v[137:138], v[85:86]
	v_fma_f64 v[137:138], -v[21:22], v[85:86], 1.0
	v_fma_f64 v[85:86], v[85:86], v[137:138], v[85:86]
	v_mul_f64 v[137:138], v[139:140], v[85:86]
	v_fma_f64 v[21:22], -v[21:22], v[137:138], v[139:140]
	v_div_fmas_f64 v[21:22], v[21:22], v[85:86], v[137:138]
	v_div_fixup_f64 v[21:22], v[21:22], v[1:2], v[3:4]
	v_fma_f64 v[1:2], v[3:4], v[21:22], v[1:2]
	v_div_scale_f64 v[3:4], null, v[1:2], v[1:2], 1.0
	v_rcp_f64_e32 v[85:86], v[3:4]
	v_fma_f64 v[137:138], -v[3:4], v[85:86], 1.0
	v_fma_f64 v[85:86], v[85:86], v[137:138], v[85:86]
	v_fma_f64 v[137:138], -v[3:4], v[85:86], 1.0
	v_fma_f64 v[85:86], v[85:86], v[137:138], v[85:86]
	v_div_scale_f64 v[137:138], vcc_lo, 1.0, v[1:2], 1.0
	v_mul_f64 v[139:140], v[137:138], v[85:86]
	v_fma_f64 v[3:4], -v[3:4], v[139:140], v[137:138]
	v_div_fmas_f64 v[3:4], v[3:4], v[85:86], v[139:140]
	v_div_fixup_f64 v[85:86], v[3:4], v[1:2], 1.0
	v_mul_f64 v[21:22], v[21:22], -v[85:86]
.LBB127_431:
	s_or_b32 exec_lo, exec_lo, s5
	ds_write2_b64 v23, v[85:86], v[21:22] offset1:1
.LBB127_432:
	s_or_b32 exec_lo, exec_lo, s6
	s_waitcnt lgkmcnt(0)
	s_barrier
	buffer_gl0_inv
	ds_read2_b64 v[137:140], v23 offset1:1
	s_mov_b32 s5, exec_lo
	v_cmpx_lt_u32_e32 34, v0
	s_cbranch_execz .LBB127_437
; %bb.433:
	s_clause 0x3
	buffer_load_dword v1, off, s[0:3], 0 offset:552
	buffer_load_dword v2, off, s[0:3], 0 offset:556
	;; [unrolled: 1-line block ×4, first 2 shown]
	s_mov_b32 s6, 0
	s_waitcnt vmcnt(2) lgkmcnt(0)
	v_mul_f64 v[21:22], v[139:140], v[1:2]
	v_mul_f64 v[85:86], v[137:138], v[1:2]
	s_waitcnt vmcnt(0)
	v_fma_f64 v[1:2], v[137:138], v[3:4], -v[21:22]
	v_fma_f64 v[3:4], v[139:140], v[3:4], v[85:86]
	buffer_store_dword v1, off, s[0:3], 0 offset:544
	buffer_store_dword v2, off, s[0:3], 0 offset:548
	;; [unrolled: 1-line block ×4, first 2 shown]
	s_branch .LBB127_435
.LBB127_434:                            ;   in Loop: Header=BB127_435 Depth=1
	s_andn2_b32 vcc_lo, exec_lo, s8
	s_cbranch_vccz .LBB127_437
.LBB127_435:                            ; =>This Inner Loop Header: Depth=1
	v_add3_u32 v21, v87, 0, 0x230
	v_mov_b32_e32 v22, s6
	s_mov_b32 s7, s6
	s_mov_b32 s8, -1
	s_cmpk_eq_i32 s6, 0x1c0
	v_add_nc_u32_e32 v21, s6, v21
	ds_read2_b64 v[141:144], v21 offset1:1
	s_waitcnt lgkmcnt(0)
	v_mul_f64 v[85:86], v[143:144], v[3:4]
	v_fma_f64 v[85:86], v[141:142], v[1:2], -v[85:86]
	v_mul_f64 v[141:142], v[141:142], v[3:4]
	v_fma_f64 v[141:142], v[143:144], v[1:2], v[141:142]
	s_clause 0x3
	buffer_load_dword v143, v22, s[0:3], 0 offen offset:560
	buffer_load_dword v144, v22, s[0:3], 0 offen offset:564
	;; [unrolled: 1-line block ×4, first 2 shown]
	s_waitcnt vmcnt(2)
	v_add_f64 v[85:86], v[143:144], -v[85:86]
	s_waitcnt vmcnt(0)
	v_add_f64 v[141:142], v[145:146], -v[141:142]
	buffer_store_dword v85, v22, s[0:3], 0 offen offset:560
	buffer_store_dword v86, v22, s[0:3], 0 offen offset:564
	;; [unrolled: 1-line block ×4, first 2 shown]
	s_cbranch_scc1 .LBB127_434
; %bb.436:                              ;   in Loop: Header=BB127_435 Depth=1
	ds_read2_b64 v[141:144], v21 offset0:2 offset1:3
	v_mov_b32_e32 v25, s7
	s_add_i32 s6, s6, 64
	s_mov_b32 s8, 0
	s_waitcnt lgkmcnt(0)
	v_mul_f64 v[85:86], v[143:144], v[3:4]
	v_fma_f64 v[85:86], v[141:142], v[1:2], -v[85:86]
	v_mul_f64 v[141:142], v[141:142], v[3:4]
	v_fma_f64 v[141:142], v[143:144], v[1:2], v[141:142]
	s_clause 0xb
	buffer_load_dword v143, v25, s[0:3], 0 offen offset:576
	buffer_load_dword v144, v25, s[0:3], 0 offen offset:580
	buffer_load_dword v145, v25, s[0:3], 0 offen offset:584
	buffer_load_dword v146, v25, s[0:3], 0 offen offset:588
	buffer_load_dword v147, v25, s[0:3], 0 offen offset:592
	buffer_load_dword v148, v25, s[0:3], 0 offen offset:596
	buffer_load_dword v149, v25, s[0:3], 0 offen offset:600
	buffer_load_dword v150, v25, s[0:3], 0 offen offset:604
	buffer_load_dword v151, v25, s[0:3], 0 offen offset:608
	buffer_load_dword v152, v25, s[0:3], 0 offen offset:612
	buffer_load_dword v153, v25, s[0:3], 0 offen offset:616
	buffer_load_dword v154, v25, s[0:3], 0 offen offset:620
	s_waitcnt vmcnt(10)
	v_add_f64 v[85:86], v[143:144], -v[85:86]
	s_waitcnt vmcnt(8)
	v_add_f64 v[141:142], v[145:146], -v[141:142]
	buffer_store_dword v85, v25, s[0:3], 0 offen offset:576
	buffer_store_dword v86, v25, s[0:3], 0 offen offset:580
	;; [unrolled: 1-line block ×4, first 2 shown]
	ds_read2_b64 v[141:144], v21 offset0:4 offset1:5
	s_waitcnt lgkmcnt(0)
	v_mul_f64 v[85:86], v[143:144], v[3:4]
	v_fma_f64 v[85:86], v[141:142], v[1:2], -v[85:86]
	v_mul_f64 v[141:142], v[141:142], v[3:4]
	s_waitcnt vmcnt(6)
	v_add_f64 v[85:86], v[147:148], -v[85:86]
	v_fma_f64 v[141:142], v[143:144], v[1:2], v[141:142]
	s_waitcnt vmcnt(4)
	v_add_f64 v[141:142], v[149:150], -v[141:142]
	buffer_store_dword v85, v25, s[0:3], 0 offen offset:592
	buffer_store_dword v86, v25, s[0:3], 0 offen offset:596
	;; [unrolled: 1-line block ×4, first 2 shown]
	ds_read2_b64 v[141:144], v21 offset0:6 offset1:7
	s_waitcnt lgkmcnt(0)
	v_mul_f64 v[21:22], v[143:144], v[3:4]
	v_mul_f64 v[85:86], v[141:142], v[3:4]
	v_fma_f64 v[21:22], v[141:142], v[1:2], -v[21:22]
	v_fma_f64 v[85:86], v[143:144], v[1:2], v[85:86]
	s_waitcnt vmcnt(2)
	v_add_f64 v[21:22], v[151:152], -v[21:22]
	s_waitcnt vmcnt(0)
	v_add_f64 v[85:86], v[153:154], -v[85:86]
	buffer_store_dword v21, v25, s[0:3], 0 offen offset:608
	buffer_store_dword v22, v25, s[0:3], 0 offen offset:612
	;; [unrolled: 1-line block ×4, first 2 shown]
	s_branch .LBB127_434
.LBB127_437:
	s_or_b32 exec_lo, exec_lo, s5
	s_mov_b32 s6, exec_lo
	s_waitcnt lgkmcnt(0)
	s_waitcnt_vscnt null, 0x0
	s_barrier
	buffer_gl0_inv
	v_cmpx_eq_u32_e32 35, v0
	s_cbranch_execz .LBB127_444
; %bb.438:
	v_mov_b32_e32 v4, s44
	s_clause 0x3
	buffer_load_dword v1, v4, s[0:3], 0 offen
	buffer_load_dword v2, v4, s[0:3], 0 offen offset:4
	buffer_load_dword v3, v4, s[0:3], 0 offen offset:8
	;; [unrolled: 1-line block ×3, first 2 shown]
	s_waitcnt vmcnt(0)
	ds_write2_b64 v23, v[1:2], v[3:4] offset1:1
	v_mov_b32_e32 v4, s43
	s_clause 0x3
	buffer_load_dword v1, v4, s[0:3], 0 offen
	buffer_load_dword v2, v4, s[0:3], 0 offen offset:4
	buffer_load_dword v3, v4, s[0:3], 0 offen offset:8
	buffer_load_dword v4, v4, s[0:3], 0 offen offset:12
	s_waitcnt vmcnt(0)
	ds_write2_b64 v24, v[1:2], v[3:4] offset0:72 offset1:73
	v_mov_b32_e32 v4, s42
	s_clause 0x3
	buffer_load_dword v1, v4, s[0:3], 0 offen
	buffer_load_dword v2, v4, s[0:3], 0 offen offset:4
	buffer_load_dword v3, v4, s[0:3], 0 offen offset:8
	buffer_load_dword v4, v4, s[0:3], 0 offen offset:12
	s_waitcnt vmcnt(0)
	ds_write2_b64 v24, v[1:2], v[3:4] offset0:74 offset1:75
	;; [unrolled: 8-line block ×28, first 2 shown]
	ds_read2_b64 v[1:4], v23 offset1:1
	s_waitcnt lgkmcnt(0)
	v_cmp_neq_f64_e32 vcc_lo, 0, v[1:2]
	v_cmp_neq_f64_e64 s5, 0, v[3:4]
	s_or_b32 s5, vcc_lo, s5
	s_and_b32 exec_lo, exec_lo, s5
	s_cbranch_execz .LBB127_444
; %bb.439:
	v_cmp_ngt_f64_e64 s5, |v[1:2]|, |v[3:4]|
                                        ; implicit-def: $vgpr85_vgpr86
	s_and_saveexec_b32 s7, s5
	s_xor_b32 s5, exec_lo, s7
                                        ; implicit-def: $vgpr21_vgpr22
	s_cbranch_execz .LBB127_441
; %bb.440:
	v_div_scale_f64 v[21:22], null, v[3:4], v[3:4], v[1:2]
	v_div_scale_f64 v[143:144], vcc_lo, v[1:2], v[3:4], v[1:2]
	v_rcp_f64_e32 v[85:86], v[21:22]
	v_fma_f64 v[141:142], -v[21:22], v[85:86], 1.0
	v_fma_f64 v[85:86], v[85:86], v[141:142], v[85:86]
	v_fma_f64 v[141:142], -v[21:22], v[85:86], 1.0
	v_fma_f64 v[85:86], v[85:86], v[141:142], v[85:86]
	v_mul_f64 v[141:142], v[143:144], v[85:86]
	v_fma_f64 v[21:22], -v[21:22], v[141:142], v[143:144]
	v_div_fmas_f64 v[21:22], v[21:22], v[85:86], v[141:142]
	v_div_fixup_f64 v[85:86], v[21:22], v[3:4], v[1:2]
	v_fma_f64 v[1:2], v[1:2], v[85:86], v[3:4]
	v_div_scale_f64 v[3:4], null, v[1:2], v[1:2], 1.0
	v_rcp_f64_e32 v[21:22], v[3:4]
	v_fma_f64 v[141:142], -v[3:4], v[21:22], 1.0
	v_fma_f64 v[21:22], v[21:22], v[141:142], v[21:22]
	v_fma_f64 v[141:142], -v[3:4], v[21:22], 1.0
	v_fma_f64 v[21:22], v[21:22], v[141:142], v[21:22]
	v_div_scale_f64 v[141:142], vcc_lo, 1.0, v[1:2], 1.0
	v_mul_f64 v[143:144], v[141:142], v[21:22]
	v_fma_f64 v[3:4], -v[3:4], v[143:144], v[141:142]
	v_div_fmas_f64 v[3:4], v[3:4], v[21:22], v[143:144]
	v_div_fixup_f64 v[21:22], v[3:4], v[1:2], 1.0
                                        ; implicit-def: $vgpr1_vgpr2
	v_mul_f64 v[85:86], v[85:86], v[21:22]
	v_xor_b32_e32 v22, 0x80000000, v22
.LBB127_441:
	s_andn2_saveexec_b32 s5, s5
	s_cbranch_execz .LBB127_443
; %bb.442:
	v_div_scale_f64 v[21:22], null, v[1:2], v[1:2], v[3:4]
	v_div_scale_f64 v[143:144], vcc_lo, v[3:4], v[1:2], v[3:4]
	v_rcp_f64_e32 v[85:86], v[21:22]
	v_fma_f64 v[141:142], -v[21:22], v[85:86], 1.0
	v_fma_f64 v[85:86], v[85:86], v[141:142], v[85:86]
	v_fma_f64 v[141:142], -v[21:22], v[85:86], 1.0
	v_fma_f64 v[85:86], v[85:86], v[141:142], v[85:86]
	v_mul_f64 v[141:142], v[143:144], v[85:86]
	v_fma_f64 v[21:22], -v[21:22], v[141:142], v[143:144]
	v_div_fmas_f64 v[21:22], v[21:22], v[85:86], v[141:142]
	v_div_fixup_f64 v[21:22], v[21:22], v[1:2], v[3:4]
	v_fma_f64 v[1:2], v[3:4], v[21:22], v[1:2]
	v_div_scale_f64 v[3:4], null, v[1:2], v[1:2], 1.0
	v_rcp_f64_e32 v[85:86], v[3:4]
	v_fma_f64 v[141:142], -v[3:4], v[85:86], 1.0
	v_fma_f64 v[85:86], v[85:86], v[141:142], v[85:86]
	v_fma_f64 v[141:142], -v[3:4], v[85:86], 1.0
	v_fma_f64 v[85:86], v[85:86], v[141:142], v[85:86]
	v_div_scale_f64 v[141:142], vcc_lo, 1.0, v[1:2], 1.0
	v_mul_f64 v[143:144], v[141:142], v[85:86]
	v_fma_f64 v[3:4], -v[3:4], v[143:144], v[141:142]
	v_div_fmas_f64 v[3:4], v[3:4], v[85:86], v[143:144]
	v_div_fixup_f64 v[85:86], v[3:4], v[1:2], 1.0
	v_mul_f64 v[21:22], v[21:22], -v[85:86]
.LBB127_443:
	s_or_b32 exec_lo, exec_lo, s5
	ds_write2_b64 v23, v[85:86], v[21:22] offset1:1
.LBB127_444:
	s_or_b32 exec_lo, exec_lo, s6
	s_waitcnt lgkmcnt(0)
	s_barrier
	buffer_gl0_inv
	ds_read2_b64 v[141:144], v23 offset1:1
	s_mov_b32 s5, exec_lo
	v_cmpx_lt_u32_e32 35, v0
	s_cbranch_execz .LBB127_447
; %bb.445:
	s_clause 0x3
	buffer_load_dword v1, off, s[0:3], 0 offset:568
	buffer_load_dword v2, off, s[0:3], 0 offset:572
	;; [unrolled: 1-line block ×4, first 2 shown]
	s_mov_b32 s6, 0
	s_waitcnt vmcnt(2) lgkmcnt(0)
	v_mul_f64 v[21:22], v[143:144], v[1:2]
	v_mul_f64 v[85:86], v[141:142], v[1:2]
	s_waitcnt vmcnt(0)
	v_fma_f64 v[1:2], v[141:142], v[3:4], -v[21:22]
	v_fma_f64 v[3:4], v[143:144], v[3:4], v[85:86]
	buffer_store_dword v1, off, s[0:3], 0 offset:560
	buffer_store_dword v2, off, s[0:3], 0 offset:564
	;; [unrolled: 1-line block ×4, first 2 shown]
.LBB127_446:                            ; =>This Inner Loop Header: Depth=1
	v_add3_u32 v21, v87, 0, 0x240
	v_add_nc_u32_e32 v25, s6, v21
	ds_read2_b64 v[145:148], v25 offset1:1
	s_waitcnt lgkmcnt(0)
	v_mul_f64 v[21:22], v[147:148], v[3:4]
	v_fma_f64 v[85:86], v[145:146], v[1:2], -v[21:22]
	v_mul_f64 v[21:22], v[145:146], v[3:4]
	v_fma_f64 v[145:146], v[147:148], v[1:2], v[21:22]
	v_mov_b32_e32 v21, s6
	s_addk_i32 s6, 0x70
	s_clause 0xf
	buffer_load_dword v147, v21, s[0:3], 0 offen offset:576
	buffer_load_dword v148, v21, s[0:3], 0 offen offset:580
	;; [unrolled: 1-line block ×16, first 2 shown]
	s_cmpk_lg_i32 s6, 0x1c0
	s_waitcnt vmcnt(14)
	v_add_f64 v[85:86], v[147:148], -v[85:86]
	s_waitcnt vmcnt(12)
	v_add_f64 v[145:146], v[149:150], -v[145:146]
	buffer_store_dword v85, v21, s[0:3], 0 offen offset:576
	buffer_store_dword v86, v21, s[0:3], 0 offen offset:580
	buffer_store_dword v145, v21, s[0:3], 0 offen offset:584
	buffer_store_dword v146, v21, s[0:3], 0 offen offset:588
	ds_read2_b64 v[145:148], v25 offset0:2 offset1:3
	s_waitcnt lgkmcnt(0)
	v_mul_f64 v[85:86], v[147:148], v[3:4]
	v_fma_f64 v[85:86], v[145:146], v[1:2], -v[85:86]
	v_mul_f64 v[145:146], v[145:146], v[3:4]
	s_waitcnt vmcnt(10)
	v_add_f64 v[85:86], v[151:152], -v[85:86]
	v_fma_f64 v[145:146], v[147:148], v[1:2], v[145:146]
	s_waitcnt vmcnt(8)
	v_add_f64 v[145:146], v[153:154], -v[145:146]
	buffer_store_dword v85, v21, s[0:3], 0 offen offset:592
	buffer_store_dword v86, v21, s[0:3], 0 offen offset:596
	buffer_store_dword v145, v21, s[0:3], 0 offen offset:600
	buffer_store_dword v146, v21, s[0:3], 0 offen offset:604
	ds_read2_b64 v[145:148], v25 offset0:4 offset1:5
	s_waitcnt lgkmcnt(0)
	v_mul_f64 v[85:86], v[147:148], v[3:4]
	v_fma_f64 v[85:86], v[145:146], v[1:2], -v[85:86]
	v_mul_f64 v[145:146], v[145:146], v[3:4]
	s_waitcnt vmcnt(6)
	v_add_f64 v[85:86], v[155:156], -v[85:86]
	v_fma_f64 v[145:146], v[147:148], v[1:2], v[145:146]
	;; [unrolled: 14-line block ×3, first 2 shown]
	s_waitcnt vmcnt(0)
	v_add_f64 v[145:146], v[161:162], -v[145:146]
	buffer_store_dword v86, v21, s[0:3], 0 offen offset:628
	buffer_store_dword v85, v21, s[0:3], 0 offen offset:624
	;; [unrolled: 1-line block ×4, first 2 shown]
	ds_read2_b64 v[145:148], v25 offset0:8 offset1:9
	s_waitcnt lgkmcnt(0)
	v_mul_f64 v[85:86], v[147:148], v[3:4]
	v_fma_f64 v[85:86], v[145:146], v[1:2], -v[85:86]
	v_mul_f64 v[145:146], v[145:146], v[3:4]
	v_fma_f64 v[145:146], v[147:148], v[1:2], v[145:146]
	s_clause 0x3
	buffer_load_dword v147, v21, s[0:3], 0 offen offset:640
	buffer_load_dword v148, v21, s[0:3], 0 offen offset:644
	;; [unrolled: 1-line block ×4, first 2 shown]
	s_waitcnt vmcnt(2)
	v_add_f64 v[85:86], v[147:148], -v[85:86]
	s_waitcnt vmcnt(0)
	v_add_f64 v[145:146], v[149:150], -v[145:146]
	buffer_store_dword v86, v21, s[0:3], 0 offen offset:644
	buffer_store_dword v85, v21, s[0:3], 0 offen offset:640
	;; [unrolled: 1-line block ×4, first 2 shown]
	ds_read2_b64 v[145:148], v25 offset0:10 offset1:11
	s_waitcnt lgkmcnt(0)
	v_mul_f64 v[85:86], v[147:148], v[3:4]
	v_mul_f64 v[3:4], v[145:146], v[3:4]
	v_fma_f64 v[85:86], v[145:146], v[1:2], -v[85:86]
	v_fma_f64 v[1:2], v[147:148], v[1:2], v[3:4]
	s_clause 0x3
	buffer_load_dword v3, v21, s[0:3], 0 offen offset:656
	buffer_load_dword v4, v21, s[0:3], 0 offen offset:660
	;; [unrolled: 1-line block ×4, first 2 shown]
	s_waitcnt vmcnt(2)
	v_add_f64 v[3:4], v[3:4], -v[85:86]
	s_waitcnt vmcnt(0)
	v_add_f64 v[1:2], v[145:146], -v[1:2]
	buffer_store_dword v4, v21, s[0:3], 0 offen offset:660
	buffer_store_dword v3, v21, s[0:3], 0 offen offset:656
	;; [unrolled: 1-line block ×4, first 2 shown]
	ds_read2_b64 v[145:148], v25 offset0:12 offset1:13
	s_clause 0x3
	buffer_load_dword v1, off, s[0:3], 0 offset:560
	buffer_load_dword v2, off, s[0:3], 0 offset:564
	;; [unrolled: 1-line block ×4, first 2 shown]
	s_waitcnt vmcnt(0) lgkmcnt(0)
	v_mul_f64 v[85:86], v[147:148], v[3:4]
	v_fma_f64 v[85:86], v[145:146], v[1:2], -v[85:86]
	v_mul_f64 v[145:146], v[145:146], v[3:4]
	v_fma_f64 v[145:146], v[147:148], v[1:2], v[145:146]
	s_clause 0x3
	buffer_load_dword v147, v21, s[0:3], 0 offen offset:672
	buffer_load_dword v148, v21, s[0:3], 0 offen offset:676
	buffer_load_dword v149, v21, s[0:3], 0 offen offset:680
	buffer_load_dword v150, v21, s[0:3], 0 offen offset:684
	s_waitcnt vmcnt(2)
	v_add_f64 v[85:86], v[147:148], -v[85:86]
	s_waitcnt vmcnt(0)
	v_add_f64 v[145:146], v[149:150], -v[145:146]
	buffer_store_dword v86, v21, s[0:3], 0 offen offset:676
	buffer_store_dword v85, v21, s[0:3], 0 offen offset:672
	buffer_store_dword v146, v21, s[0:3], 0 offen offset:684
	buffer_store_dword v145, v21, s[0:3], 0 offen offset:680
	s_cbranch_scc1 .LBB127_446
.LBB127_447:
	s_or_b32 exec_lo, exec_lo, s5
	s_mov_b32 s6, exec_lo
	s_waitcnt lgkmcnt(0)
	s_waitcnt_vscnt null, 0x0
	s_barrier
	buffer_gl0_inv
	v_cmpx_eq_u32_e32 36, v0
	s_cbranch_execz .LBB127_454
; %bb.448:
	v_mov_b32_e32 v4, s43
	s_clause 0x3
	buffer_load_dword v1, v4, s[0:3], 0 offen
	buffer_load_dword v2, v4, s[0:3], 0 offen offset:4
	buffer_load_dword v3, v4, s[0:3], 0 offen offset:8
	;; [unrolled: 1-line block ×3, first 2 shown]
	s_waitcnt vmcnt(0)
	ds_write2_b64 v23, v[1:2], v[3:4] offset1:1
	v_mov_b32_e32 v4, s42
	s_clause 0x3
	buffer_load_dword v1, v4, s[0:3], 0 offen
	buffer_load_dword v2, v4, s[0:3], 0 offen offset:4
	buffer_load_dword v3, v4, s[0:3], 0 offen offset:8
	buffer_load_dword v4, v4, s[0:3], 0 offen offset:12
	s_waitcnt vmcnt(0)
	ds_write2_b64 v24, v[1:2], v[3:4] offset0:74 offset1:75
	v_mov_b32_e32 v4, s41
	s_clause 0x3
	buffer_load_dword v1, v4, s[0:3], 0 offen
	buffer_load_dword v2, v4, s[0:3], 0 offen offset:4
	buffer_load_dword v3, v4, s[0:3], 0 offen offset:8
	buffer_load_dword v4, v4, s[0:3], 0 offen offset:12
	s_waitcnt vmcnt(0)
	ds_write2_b64 v24, v[1:2], v[3:4] offset0:76 offset1:77
	;; [unrolled: 8-line block ×27, first 2 shown]
	ds_read2_b64 v[1:4], v23 offset1:1
	s_waitcnt lgkmcnt(0)
	v_cmp_neq_f64_e32 vcc_lo, 0, v[1:2]
	v_cmp_neq_f64_e64 s5, 0, v[3:4]
	s_or_b32 s5, vcc_lo, s5
	s_and_b32 exec_lo, exec_lo, s5
	s_cbranch_execz .LBB127_454
; %bb.449:
	v_cmp_ngt_f64_e64 s5, |v[1:2]|, |v[3:4]|
                                        ; implicit-def: $vgpr85_vgpr86
	s_and_saveexec_b32 s7, s5
	s_xor_b32 s5, exec_lo, s7
                                        ; implicit-def: $vgpr21_vgpr22
	s_cbranch_execz .LBB127_451
; %bb.450:
	v_div_scale_f64 v[21:22], null, v[3:4], v[3:4], v[1:2]
	v_div_scale_f64 v[147:148], vcc_lo, v[1:2], v[3:4], v[1:2]
	v_rcp_f64_e32 v[85:86], v[21:22]
	v_fma_f64 v[145:146], -v[21:22], v[85:86], 1.0
	v_fma_f64 v[85:86], v[85:86], v[145:146], v[85:86]
	v_fma_f64 v[145:146], -v[21:22], v[85:86], 1.0
	v_fma_f64 v[85:86], v[85:86], v[145:146], v[85:86]
	v_mul_f64 v[145:146], v[147:148], v[85:86]
	v_fma_f64 v[21:22], -v[21:22], v[145:146], v[147:148]
	v_div_fmas_f64 v[21:22], v[21:22], v[85:86], v[145:146]
	v_div_fixup_f64 v[85:86], v[21:22], v[3:4], v[1:2]
	v_fma_f64 v[1:2], v[1:2], v[85:86], v[3:4]
	v_div_scale_f64 v[3:4], null, v[1:2], v[1:2], 1.0
	v_rcp_f64_e32 v[21:22], v[3:4]
	v_fma_f64 v[145:146], -v[3:4], v[21:22], 1.0
	v_fma_f64 v[21:22], v[21:22], v[145:146], v[21:22]
	v_fma_f64 v[145:146], -v[3:4], v[21:22], 1.0
	v_fma_f64 v[21:22], v[21:22], v[145:146], v[21:22]
	v_div_scale_f64 v[145:146], vcc_lo, 1.0, v[1:2], 1.0
	v_mul_f64 v[147:148], v[145:146], v[21:22]
	v_fma_f64 v[3:4], -v[3:4], v[147:148], v[145:146]
	v_div_fmas_f64 v[3:4], v[3:4], v[21:22], v[147:148]
	v_div_fixup_f64 v[21:22], v[3:4], v[1:2], 1.0
                                        ; implicit-def: $vgpr1_vgpr2
	v_mul_f64 v[85:86], v[85:86], v[21:22]
	v_xor_b32_e32 v22, 0x80000000, v22
.LBB127_451:
	s_andn2_saveexec_b32 s5, s5
	s_cbranch_execz .LBB127_453
; %bb.452:
	v_div_scale_f64 v[21:22], null, v[1:2], v[1:2], v[3:4]
	v_div_scale_f64 v[147:148], vcc_lo, v[3:4], v[1:2], v[3:4]
	v_rcp_f64_e32 v[85:86], v[21:22]
	v_fma_f64 v[145:146], -v[21:22], v[85:86], 1.0
	v_fma_f64 v[85:86], v[85:86], v[145:146], v[85:86]
	v_fma_f64 v[145:146], -v[21:22], v[85:86], 1.0
	v_fma_f64 v[85:86], v[85:86], v[145:146], v[85:86]
	v_mul_f64 v[145:146], v[147:148], v[85:86]
	v_fma_f64 v[21:22], -v[21:22], v[145:146], v[147:148]
	v_div_fmas_f64 v[21:22], v[21:22], v[85:86], v[145:146]
	v_div_fixup_f64 v[21:22], v[21:22], v[1:2], v[3:4]
	v_fma_f64 v[1:2], v[3:4], v[21:22], v[1:2]
	v_div_scale_f64 v[3:4], null, v[1:2], v[1:2], 1.0
	v_rcp_f64_e32 v[85:86], v[3:4]
	v_fma_f64 v[145:146], -v[3:4], v[85:86], 1.0
	v_fma_f64 v[85:86], v[85:86], v[145:146], v[85:86]
	v_fma_f64 v[145:146], -v[3:4], v[85:86], 1.0
	v_fma_f64 v[85:86], v[85:86], v[145:146], v[85:86]
	v_div_scale_f64 v[145:146], vcc_lo, 1.0, v[1:2], 1.0
	v_mul_f64 v[147:148], v[145:146], v[85:86]
	v_fma_f64 v[3:4], -v[3:4], v[147:148], v[145:146]
	v_div_fmas_f64 v[3:4], v[3:4], v[85:86], v[147:148]
	v_div_fixup_f64 v[85:86], v[3:4], v[1:2], 1.0
	v_mul_f64 v[21:22], v[21:22], -v[85:86]
.LBB127_453:
	s_or_b32 exec_lo, exec_lo, s5
	ds_write2_b64 v23, v[85:86], v[21:22] offset1:1
.LBB127_454:
	s_or_b32 exec_lo, exec_lo, s6
	s_waitcnt lgkmcnt(0)
	s_barrier
	buffer_gl0_inv
	ds_read2_b64 v[145:148], v23 offset1:1
	s_mov_b32 s5, exec_lo
	v_cmpx_lt_u32_e32 36, v0
	s_cbranch_execz .LBB127_457
; %bb.455:
	s_clause 0x3
	buffer_load_dword v1, off, s[0:3], 0 offset:584
	buffer_load_dword v2, off, s[0:3], 0 offset:588
	;; [unrolled: 1-line block ×4, first 2 shown]
	s_mov_b32 s6, 0
	s_waitcnt vmcnt(2) lgkmcnt(0)
	v_mul_f64 v[21:22], v[147:148], v[1:2]
	v_mul_f64 v[85:86], v[145:146], v[1:2]
	s_waitcnt vmcnt(0)
	v_fma_f64 v[1:2], v[145:146], v[3:4], -v[21:22]
	v_fma_f64 v[3:4], v[147:148], v[3:4], v[85:86]
	buffer_store_dword v1, off, s[0:3], 0 offset:576
	buffer_store_dword v2, off, s[0:3], 0 offset:580
	;; [unrolled: 1-line block ×4, first 2 shown]
.LBB127_456:                            ; =>This Inner Loop Header: Depth=1
	v_add3_u32 v21, v87, 0, 0x250
	v_mov_b32_e32 v26, s6
	v_add_nc_u32_e32 v25, s6, v21
	s_add_i32 s6, s6, 48
	s_cmpk_lg_i32 s6, 0x1b0
	ds_read2_b64 v[149:152], v25 offset1:1
	s_waitcnt lgkmcnt(0)
	v_mul_f64 v[21:22], v[151:152], v[3:4]
	v_mul_f64 v[85:86], v[149:150], v[3:4]
	v_fma_f64 v[21:22], v[149:150], v[1:2], -v[21:22]
	v_fma_f64 v[85:86], v[151:152], v[1:2], v[85:86]
	s_clause 0xb
	buffer_load_dword v149, v26, s[0:3], 0 offen offset:592
	buffer_load_dword v150, v26, s[0:3], 0 offen offset:596
	;; [unrolled: 1-line block ×12, first 2 shown]
	s_waitcnt vmcnt(10)
	v_add_f64 v[21:22], v[149:150], -v[21:22]
	s_waitcnt vmcnt(8)
	v_add_f64 v[85:86], v[151:152], -v[85:86]
	buffer_store_dword v21, v26, s[0:3], 0 offen offset:592
	buffer_store_dword v22, v26, s[0:3], 0 offen offset:596
	;; [unrolled: 1-line block ×4, first 2 shown]
	ds_read2_b64 v[149:152], v25 offset0:2 offset1:3
	s_waitcnt lgkmcnt(0)
	v_mul_f64 v[21:22], v[151:152], v[3:4]
	v_mul_f64 v[85:86], v[149:150], v[3:4]
	v_fma_f64 v[21:22], v[149:150], v[1:2], -v[21:22]
	v_fma_f64 v[85:86], v[151:152], v[1:2], v[85:86]
	s_waitcnt vmcnt(6)
	v_add_f64 v[21:22], v[153:154], -v[21:22]
	s_waitcnt vmcnt(4)
	v_add_f64 v[85:86], v[155:156], -v[85:86]
	buffer_store_dword v21, v26, s[0:3], 0 offen offset:608
	buffer_store_dword v22, v26, s[0:3], 0 offen offset:612
	;; [unrolled: 1-line block ×4, first 2 shown]
	ds_read2_b64 v[149:152], v25 offset0:4 offset1:5
	s_waitcnt lgkmcnt(0)
	v_mul_f64 v[21:22], v[151:152], v[3:4]
	v_mul_f64 v[85:86], v[149:150], v[3:4]
	v_fma_f64 v[21:22], v[149:150], v[1:2], -v[21:22]
	v_fma_f64 v[85:86], v[151:152], v[1:2], v[85:86]
	s_waitcnt vmcnt(2)
	v_add_f64 v[21:22], v[157:158], -v[21:22]
	s_waitcnt vmcnt(0)
	v_add_f64 v[85:86], v[159:160], -v[85:86]
	buffer_store_dword v21, v26, s[0:3], 0 offen offset:624
	buffer_store_dword v22, v26, s[0:3], 0 offen offset:628
	;; [unrolled: 1-line block ×4, first 2 shown]
	s_cbranch_scc1 .LBB127_456
.LBB127_457:
	s_or_b32 exec_lo, exec_lo, s5
	s_mov_b32 s6, exec_lo
	s_waitcnt lgkmcnt(0)
	s_waitcnt_vscnt null, 0x0
	s_barrier
	buffer_gl0_inv
	v_cmpx_eq_u32_e32 37, v0
	s_cbranch_execz .LBB127_464
; %bb.458:
	v_mov_b32_e32 v4, s42
	s_clause 0x3
	buffer_load_dword v1, v4, s[0:3], 0 offen
	buffer_load_dword v2, v4, s[0:3], 0 offen offset:4
	buffer_load_dword v3, v4, s[0:3], 0 offen offset:8
	;; [unrolled: 1-line block ×3, first 2 shown]
	s_waitcnt vmcnt(0)
	ds_write2_b64 v23, v[1:2], v[3:4] offset1:1
	v_mov_b32_e32 v4, s41
	s_clause 0x3
	buffer_load_dword v1, v4, s[0:3], 0 offen
	buffer_load_dword v2, v4, s[0:3], 0 offen offset:4
	buffer_load_dword v3, v4, s[0:3], 0 offen offset:8
	buffer_load_dword v4, v4, s[0:3], 0 offen offset:12
	s_waitcnt vmcnt(0)
	ds_write2_b64 v24, v[1:2], v[3:4] offset0:76 offset1:77
	v_mov_b32_e32 v4, s40
	s_clause 0x3
	buffer_load_dword v1, v4, s[0:3], 0 offen
	buffer_load_dword v2, v4, s[0:3], 0 offen offset:4
	buffer_load_dword v3, v4, s[0:3], 0 offen offset:8
	buffer_load_dword v4, v4, s[0:3], 0 offen offset:12
	s_waitcnt vmcnt(0)
	ds_write2_b64 v24, v[1:2], v[3:4] offset0:78 offset1:79
	;; [unrolled: 8-line block ×26, first 2 shown]
	ds_read2_b64 v[1:4], v23 offset1:1
	s_waitcnt lgkmcnt(0)
	v_cmp_neq_f64_e32 vcc_lo, 0, v[1:2]
	v_cmp_neq_f64_e64 s5, 0, v[3:4]
	s_or_b32 s5, vcc_lo, s5
	s_and_b32 exec_lo, exec_lo, s5
	s_cbranch_execz .LBB127_464
; %bb.459:
	v_cmp_ngt_f64_e64 s5, |v[1:2]|, |v[3:4]|
                                        ; implicit-def: $vgpr85_vgpr86
	s_and_saveexec_b32 s7, s5
	s_xor_b32 s5, exec_lo, s7
                                        ; implicit-def: $vgpr21_vgpr22
	s_cbranch_execz .LBB127_461
; %bb.460:
	v_div_scale_f64 v[21:22], null, v[3:4], v[3:4], v[1:2]
	v_div_scale_f64 v[151:152], vcc_lo, v[1:2], v[3:4], v[1:2]
	v_rcp_f64_e32 v[85:86], v[21:22]
	v_fma_f64 v[149:150], -v[21:22], v[85:86], 1.0
	v_fma_f64 v[85:86], v[85:86], v[149:150], v[85:86]
	v_fma_f64 v[149:150], -v[21:22], v[85:86], 1.0
	v_fma_f64 v[85:86], v[85:86], v[149:150], v[85:86]
	v_mul_f64 v[149:150], v[151:152], v[85:86]
	v_fma_f64 v[21:22], -v[21:22], v[149:150], v[151:152]
	v_div_fmas_f64 v[21:22], v[21:22], v[85:86], v[149:150]
	v_div_fixup_f64 v[85:86], v[21:22], v[3:4], v[1:2]
	v_fma_f64 v[1:2], v[1:2], v[85:86], v[3:4]
	v_div_scale_f64 v[3:4], null, v[1:2], v[1:2], 1.0
	v_rcp_f64_e32 v[21:22], v[3:4]
	v_fma_f64 v[149:150], -v[3:4], v[21:22], 1.0
	v_fma_f64 v[21:22], v[21:22], v[149:150], v[21:22]
	v_fma_f64 v[149:150], -v[3:4], v[21:22], 1.0
	v_fma_f64 v[21:22], v[21:22], v[149:150], v[21:22]
	v_div_scale_f64 v[149:150], vcc_lo, 1.0, v[1:2], 1.0
	v_mul_f64 v[151:152], v[149:150], v[21:22]
	v_fma_f64 v[3:4], -v[3:4], v[151:152], v[149:150]
	v_div_fmas_f64 v[3:4], v[3:4], v[21:22], v[151:152]
	v_div_fixup_f64 v[21:22], v[3:4], v[1:2], 1.0
                                        ; implicit-def: $vgpr1_vgpr2
	v_mul_f64 v[85:86], v[85:86], v[21:22]
	v_xor_b32_e32 v22, 0x80000000, v22
.LBB127_461:
	s_andn2_saveexec_b32 s5, s5
	s_cbranch_execz .LBB127_463
; %bb.462:
	v_div_scale_f64 v[21:22], null, v[1:2], v[1:2], v[3:4]
	v_div_scale_f64 v[151:152], vcc_lo, v[3:4], v[1:2], v[3:4]
	v_rcp_f64_e32 v[85:86], v[21:22]
	v_fma_f64 v[149:150], -v[21:22], v[85:86], 1.0
	v_fma_f64 v[85:86], v[85:86], v[149:150], v[85:86]
	v_fma_f64 v[149:150], -v[21:22], v[85:86], 1.0
	v_fma_f64 v[85:86], v[85:86], v[149:150], v[85:86]
	v_mul_f64 v[149:150], v[151:152], v[85:86]
	v_fma_f64 v[21:22], -v[21:22], v[149:150], v[151:152]
	v_div_fmas_f64 v[21:22], v[21:22], v[85:86], v[149:150]
	v_div_fixup_f64 v[21:22], v[21:22], v[1:2], v[3:4]
	v_fma_f64 v[1:2], v[3:4], v[21:22], v[1:2]
	v_div_scale_f64 v[3:4], null, v[1:2], v[1:2], 1.0
	v_rcp_f64_e32 v[85:86], v[3:4]
	v_fma_f64 v[149:150], -v[3:4], v[85:86], 1.0
	v_fma_f64 v[85:86], v[85:86], v[149:150], v[85:86]
	v_fma_f64 v[149:150], -v[3:4], v[85:86], 1.0
	v_fma_f64 v[85:86], v[85:86], v[149:150], v[85:86]
	v_div_scale_f64 v[149:150], vcc_lo, 1.0, v[1:2], 1.0
	v_mul_f64 v[151:152], v[149:150], v[85:86]
	v_fma_f64 v[3:4], -v[3:4], v[151:152], v[149:150]
	v_div_fmas_f64 v[3:4], v[3:4], v[85:86], v[151:152]
	v_div_fixup_f64 v[85:86], v[3:4], v[1:2], 1.0
	v_mul_f64 v[21:22], v[21:22], -v[85:86]
.LBB127_463:
	s_or_b32 exec_lo, exec_lo, s5
	ds_write2_b64 v23, v[85:86], v[21:22] offset1:1
.LBB127_464:
	s_or_b32 exec_lo, exec_lo, s6
	s_waitcnt lgkmcnt(0)
	s_barrier
	buffer_gl0_inv
	ds_read2_b64 v[149:152], v23 offset1:1
	s_mov_b32 s5, exec_lo
	v_cmpx_lt_u32_e32 37, v0
	s_cbranch_execz .LBB127_467
; %bb.465:
	s_clause 0x3
	buffer_load_dword v1, off, s[0:3], 0 offset:600
	buffer_load_dword v2, off, s[0:3], 0 offset:604
	;; [unrolled: 1-line block ×4, first 2 shown]
	s_mov_b32 s6, 0
	s_waitcnt vmcnt(2) lgkmcnt(0)
	v_mul_f64 v[21:22], v[151:152], v[1:2]
	v_mul_f64 v[85:86], v[149:150], v[1:2]
	s_waitcnt vmcnt(0)
	v_fma_f64 v[1:2], v[149:150], v[3:4], -v[21:22]
	v_fma_f64 v[3:4], v[151:152], v[3:4], v[85:86]
	buffer_store_dword v1, off, s[0:3], 0 offset:592
	buffer_store_dword v2, off, s[0:3], 0 offset:596
	;; [unrolled: 1-line block ×4, first 2 shown]
.LBB127_466:                            ; =>This Inner Loop Header: Depth=1
	v_add3_u32 v21, v87, 0, 0x260
	v_mov_b32_e32 v26, s6
	v_add_nc_u32_e32 v25, s6, v21
	s_add_i32 s6, s6, 32
	s_cmpk_lg_i32 s6, 0x1a0
	ds_read2_b64 v[153:156], v25 offset1:1
	s_waitcnt lgkmcnt(0)
	v_mul_f64 v[21:22], v[155:156], v[3:4]
	v_mul_f64 v[85:86], v[153:154], v[3:4]
	v_fma_f64 v[21:22], v[153:154], v[1:2], -v[21:22]
	v_fma_f64 v[85:86], v[155:156], v[1:2], v[85:86]
	s_clause 0x7
	buffer_load_dword v153, v26, s[0:3], 0 offen offset:608
	buffer_load_dword v154, v26, s[0:3], 0 offen offset:612
	;; [unrolled: 1-line block ×8, first 2 shown]
	s_waitcnt vmcnt(6)
	v_add_f64 v[21:22], v[153:154], -v[21:22]
	s_waitcnt vmcnt(4)
	v_add_f64 v[85:86], v[155:156], -v[85:86]
	buffer_store_dword v21, v26, s[0:3], 0 offen offset:608
	buffer_store_dword v22, v26, s[0:3], 0 offen offset:612
	;; [unrolled: 1-line block ×4, first 2 shown]
	ds_read2_b64 v[153:156], v25 offset0:2 offset1:3
	s_waitcnt lgkmcnt(0)
	v_mul_f64 v[21:22], v[155:156], v[3:4]
	v_mul_f64 v[85:86], v[153:154], v[3:4]
	v_fma_f64 v[21:22], v[153:154], v[1:2], -v[21:22]
	v_fma_f64 v[85:86], v[155:156], v[1:2], v[85:86]
	s_waitcnt vmcnt(2)
	v_add_f64 v[21:22], v[157:158], -v[21:22]
	s_waitcnt vmcnt(0)
	v_add_f64 v[85:86], v[159:160], -v[85:86]
	buffer_store_dword v21, v26, s[0:3], 0 offen offset:624
	buffer_store_dword v22, v26, s[0:3], 0 offen offset:628
	;; [unrolled: 1-line block ×4, first 2 shown]
	s_cbranch_scc1 .LBB127_466
.LBB127_467:
	s_or_b32 exec_lo, exec_lo, s5
	s_mov_b32 s6, exec_lo
	s_waitcnt lgkmcnt(0)
	s_waitcnt_vscnt null, 0x0
	s_barrier
	buffer_gl0_inv
	v_cmpx_eq_u32_e32 38, v0
	s_cbranch_execz .LBB127_474
; %bb.468:
	v_mov_b32_e32 v4, s41
	s_clause 0x3
	buffer_load_dword v1, v4, s[0:3], 0 offen
	buffer_load_dword v2, v4, s[0:3], 0 offen offset:4
	buffer_load_dword v3, v4, s[0:3], 0 offen offset:8
	;; [unrolled: 1-line block ×3, first 2 shown]
	s_waitcnt vmcnt(0)
	ds_write2_b64 v23, v[1:2], v[3:4] offset1:1
	v_mov_b32_e32 v4, s40
	s_clause 0x3
	buffer_load_dword v1, v4, s[0:3], 0 offen
	buffer_load_dword v2, v4, s[0:3], 0 offen offset:4
	buffer_load_dword v3, v4, s[0:3], 0 offen offset:8
	buffer_load_dword v4, v4, s[0:3], 0 offen offset:12
	s_waitcnt vmcnt(0)
	ds_write2_b64 v24, v[1:2], v[3:4] offset0:78 offset1:79
	v_mov_b32_e32 v4, s39
	s_clause 0x3
	buffer_load_dword v1, v4, s[0:3], 0 offen
	buffer_load_dword v2, v4, s[0:3], 0 offen offset:4
	buffer_load_dword v3, v4, s[0:3], 0 offen offset:8
	buffer_load_dword v4, v4, s[0:3], 0 offen offset:12
	s_waitcnt vmcnt(0)
	ds_write2_b64 v24, v[1:2], v[3:4] offset0:80 offset1:81
	;; [unrolled: 8-line block ×25, first 2 shown]
	ds_read2_b64 v[1:4], v23 offset1:1
	s_waitcnt lgkmcnt(0)
	v_cmp_neq_f64_e32 vcc_lo, 0, v[1:2]
	v_cmp_neq_f64_e64 s5, 0, v[3:4]
	s_or_b32 s5, vcc_lo, s5
	s_and_b32 exec_lo, exec_lo, s5
	s_cbranch_execz .LBB127_474
; %bb.469:
	v_cmp_ngt_f64_e64 s5, |v[1:2]|, |v[3:4]|
                                        ; implicit-def: $vgpr85_vgpr86
	s_and_saveexec_b32 s7, s5
	s_xor_b32 s5, exec_lo, s7
                                        ; implicit-def: $vgpr21_vgpr22
	s_cbranch_execz .LBB127_471
; %bb.470:
	v_div_scale_f64 v[21:22], null, v[3:4], v[3:4], v[1:2]
	v_div_scale_f64 v[155:156], vcc_lo, v[1:2], v[3:4], v[1:2]
	v_rcp_f64_e32 v[85:86], v[21:22]
	v_fma_f64 v[153:154], -v[21:22], v[85:86], 1.0
	v_fma_f64 v[85:86], v[85:86], v[153:154], v[85:86]
	v_fma_f64 v[153:154], -v[21:22], v[85:86], 1.0
	v_fma_f64 v[85:86], v[85:86], v[153:154], v[85:86]
	v_mul_f64 v[153:154], v[155:156], v[85:86]
	v_fma_f64 v[21:22], -v[21:22], v[153:154], v[155:156]
	v_div_fmas_f64 v[21:22], v[21:22], v[85:86], v[153:154]
	v_div_fixup_f64 v[85:86], v[21:22], v[3:4], v[1:2]
	v_fma_f64 v[1:2], v[1:2], v[85:86], v[3:4]
	v_div_scale_f64 v[3:4], null, v[1:2], v[1:2], 1.0
	v_rcp_f64_e32 v[21:22], v[3:4]
	v_fma_f64 v[153:154], -v[3:4], v[21:22], 1.0
	v_fma_f64 v[21:22], v[21:22], v[153:154], v[21:22]
	v_fma_f64 v[153:154], -v[3:4], v[21:22], 1.0
	v_fma_f64 v[21:22], v[21:22], v[153:154], v[21:22]
	v_div_scale_f64 v[153:154], vcc_lo, 1.0, v[1:2], 1.0
	v_mul_f64 v[155:156], v[153:154], v[21:22]
	v_fma_f64 v[3:4], -v[3:4], v[155:156], v[153:154]
	v_div_fmas_f64 v[3:4], v[3:4], v[21:22], v[155:156]
	v_div_fixup_f64 v[21:22], v[3:4], v[1:2], 1.0
                                        ; implicit-def: $vgpr1_vgpr2
	v_mul_f64 v[85:86], v[85:86], v[21:22]
	v_xor_b32_e32 v22, 0x80000000, v22
.LBB127_471:
	s_andn2_saveexec_b32 s5, s5
	s_cbranch_execz .LBB127_473
; %bb.472:
	v_div_scale_f64 v[21:22], null, v[1:2], v[1:2], v[3:4]
	v_div_scale_f64 v[155:156], vcc_lo, v[3:4], v[1:2], v[3:4]
	v_rcp_f64_e32 v[85:86], v[21:22]
	v_fma_f64 v[153:154], -v[21:22], v[85:86], 1.0
	v_fma_f64 v[85:86], v[85:86], v[153:154], v[85:86]
	v_fma_f64 v[153:154], -v[21:22], v[85:86], 1.0
	v_fma_f64 v[85:86], v[85:86], v[153:154], v[85:86]
	v_mul_f64 v[153:154], v[155:156], v[85:86]
	v_fma_f64 v[21:22], -v[21:22], v[153:154], v[155:156]
	v_div_fmas_f64 v[21:22], v[21:22], v[85:86], v[153:154]
	v_div_fixup_f64 v[21:22], v[21:22], v[1:2], v[3:4]
	v_fma_f64 v[1:2], v[3:4], v[21:22], v[1:2]
	v_div_scale_f64 v[3:4], null, v[1:2], v[1:2], 1.0
	v_rcp_f64_e32 v[85:86], v[3:4]
	v_fma_f64 v[153:154], -v[3:4], v[85:86], 1.0
	v_fma_f64 v[85:86], v[85:86], v[153:154], v[85:86]
	v_fma_f64 v[153:154], -v[3:4], v[85:86], 1.0
	v_fma_f64 v[85:86], v[85:86], v[153:154], v[85:86]
	v_div_scale_f64 v[153:154], vcc_lo, 1.0, v[1:2], 1.0
	v_mul_f64 v[155:156], v[153:154], v[85:86]
	v_fma_f64 v[3:4], -v[3:4], v[155:156], v[153:154]
	v_div_fmas_f64 v[3:4], v[3:4], v[85:86], v[155:156]
	v_div_fixup_f64 v[85:86], v[3:4], v[1:2], 1.0
	v_mul_f64 v[21:22], v[21:22], -v[85:86]
.LBB127_473:
	s_or_b32 exec_lo, exec_lo, s5
	ds_write2_b64 v23, v[85:86], v[21:22] offset1:1
.LBB127_474:
	s_or_b32 exec_lo, exec_lo, s6
	s_waitcnt lgkmcnt(0)
	s_barrier
	buffer_gl0_inv
	ds_read2_b64 v[153:156], v23 offset1:1
	s_mov_b32 s5, exec_lo
	v_cmpx_lt_u32_e32 38, v0
	s_cbranch_execz .LBB127_477
; %bb.475:
	s_clause 0x3
	buffer_load_dword v1, off, s[0:3], 0 offset:616
	buffer_load_dword v2, off, s[0:3], 0 offset:620
	;; [unrolled: 1-line block ×4, first 2 shown]
	s_mov_b32 s6, 0
	s_waitcnt vmcnt(2) lgkmcnt(0)
	v_mul_f64 v[21:22], v[155:156], v[1:2]
	v_mul_f64 v[85:86], v[153:154], v[1:2]
	s_waitcnt vmcnt(0)
	v_fma_f64 v[1:2], v[153:154], v[3:4], -v[21:22]
	v_fma_f64 v[3:4], v[155:156], v[3:4], v[85:86]
	buffer_store_dword v1, off, s[0:3], 0 offset:608
	buffer_store_dword v2, off, s[0:3], 0 offset:612
	buffer_store_dword v3, off, s[0:3], 0 offset:616
	buffer_store_dword v4, off, s[0:3], 0 offset:620
.LBB127_476:                            ; =>This Inner Loop Header: Depth=1
	v_add3_u32 v21, v87, 0, 0x270
	v_mov_b32_e32 v26, s6
	v_add_nc_u32_e32 v25, s6, v21
	s_addk_i32 s6, 0x50
	s_cmpk_lg_i32 s6, 0x190
	ds_read2_b64 v[157:160], v25 offset1:1
	s_waitcnt lgkmcnt(0)
	v_mul_f64 v[21:22], v[159:160], v[3:4]
	v_mul_f64 v[85:86], v[157:158], v[3:4]
	v_fma_f64 v[21:22], v[157:158], v[1:2], -v[21:22]
	v_fma_f64 v[85:86], v[159:160], v[1:2], v[85:86]
	s_clause 0xf
	buffer_load_dword v157, v26, s[0:3], 0 offen offset:624
	buffer_load_dword v158, v26, s[0:3], 0 offen offset:628
	buffer_load_dword v159, v26, s[0:3], 0 offen offset:632
	buffer_load_dword v160, v26, s[0:3], 0 offen offset:636
	buffer_load_dword v161, v26, s[0:3], 0 offen offset:640
	buffer_load_dword v162, v26, s[0:3], 0 offen offset:644
	buffer_load_dword v163, v26, s[0:3], 0 offen offset:648
	buffer_load_dword v164, v26, s[0:3], 0 offen offset:652
	buffer_load_dword v165, v26, s[0:3], 0 offen offset:656
	buffer_load_dword v166, v26, s[0:3], 0 offen offset:660
	buffer_load_dword v167, v26, s[0:3], 0 offen offset:664
	buffer_load_dword v168, v26, s[0:3], 0 offen offset:668
	buffer_load_dword v169, v26, s[0:3], 0 offen offset:672
	buffer_load_dword v170, v26, s[0:3], 0 offen offset:676
	buffer_load_dword v171, v26, s[0:3], 0 offen offset:680
	buffer_load_dword v172, v26, s[0:3], 0 offen offset:684
	s_waitcnt vmcnt(14)
	v_add_f64 v[21:22], v[157:158], -v[21:22]
	s_waitcnt vmcnt(12)
	v_add_f64 v[85:86], v[159:160], -v[85:86]
	buffer_store_dword v21, v26, s[0:3], 0 offen offset:624
	buffer_store_dword v22, v26, s[0:3], 0 offen offset:628
	buffer_store_dword v85, v26, s[0:3], 0 offen offset:632
	buffer_store_dword v86, v26, s[0:3], 0 offen offset:636
	ds_read2_b64 v[157:160], v25 offset0:2 offset1:3
	s_waitcnt lgkmcnt(0)
	v_mul_f64 v[21:22], v[159:160], v[3:4]
	v_mul_f64 v[85:86], v[157:158], v[3:4]
	v_fma_f64 v[21:22], v[157:158], v[1:2], -v[21:22]
	v_fma_f64 v[85:86], v[159:160], v[1:2], v[85:86]
	s_waitcnt vmcnt(10)
	v_add_f64 v[21:22], v[161:162], -v[21:22]
	s_waitcnt vmcnt(8)
	v_add_f64 v[85:86], v[163:164], -v[85:86]
	buffer_store_dword v21, v26, s[0:3], 0 offen offset:640
	buffer_store_dword v22, v26, s[0:3], 0 offen offset:644
	buffer_store_dword v85, v26, s[0:3], 0 offen offset:648
	buffer_store_dword v86, v26, s[0:3], 0 offen offset:652
	ds_read2_b64 v[157:160], v25 offset0:4 offset1:5
	s_waitcnt lgkmcnt(0)
	v_mul_f64 v[21:22], v[159:160], v[3:4]
	v_mul_f64 v[85:86], v[157:158], v[3:4]
	v_fma_f64 v[21:22], v[157:158], v[1:2], -v[21:22]
	v_fma_f64 v[85:86], v[159:160], v[1:2], v[85:86]
	;; [unrolled: 14-line block ×4, first 2 shown]
	s_clause 0x3
	buffer_load_dword v157, v26, s[0:3], 0 offen offset:688
	buffer_load_dword v158, v26, s[0:3], 0 offen offset:692
	;; [unrolled: 1-line block ×4, first 2 shown]
	s_waitcnt vmcnt(2)
	v_add_f64 v[21:22], v[157:158], -v[21:22]
	s_waitcnt vmcnt(0)
	v_add_f64 v[85:86], v[159:160], -v[85:86]
	buffer_store_dword v22, v26, s[0:3], 0 offen offset:692
	buffer_store_dword v21, v26, s[0:3], 0 offen offset:688
	;; [unrolled: 1-line block ×4, first 2 shown]
	s_cbranch_scc1 .LBB127_476
.LBB127_477:
	s_or_b32 exec_lo, exec_lo, s5
	s_mov_b32 s6, exec_lo
	s_waitcnt lgkmcnt(0)
	s_waitcnt_vscnt null, 0x0
	s_barrier
	buffer_gl0_inv
	v_cmpx_eq_u32_e32 39, v0
	s_cbranch_execz .LBB127_484
; %bb.478:
	v_mov_b32_e32 v4, s40
	s_clause 0x3
	buffer_load_dword v1, v4, s[0:3], 0 offen
	buffer_load_dword v2, v4, s[0:3], 0 offen offset:4
	buffer_load_dword v3, v4, s[0:3], 0 offen offset:8
	;; [unrolled: 1-line block ×3, first 2 shown]
	s_waitcnt vmcnt(0)
	ds_write2_b64 v23, v[1:2], v[3:4] offset1:1
	v_mov_b32_e32 v4, s39
	s_clause 0x3
	buffer_load_dword v1, v4, s[0:3], 0 offen
	buffer_load_dword v2, v4, s[0:3], 0 offen offset:4
	buffer_load_dword v3, v4, s[0:3], 0 offen offset:8
	buffer_load_dword v4, v4, s[0:3], 0 offen offset:12
	s_waitcnt vmcnt(0)
	ds_write2_b64 v24, v[1:2], v[3:4] offset0:80 offset1:81
	v_mov_b32_e32 v4, s38
	s_clause 0x3
	buffer_load_dword v1, v4, s[0:3], 0 offen
	buffer_load_dword v2, v4, s[0:3], 0 offen offset:4
	buffer_load_dword v3, v4, s[0:3], 0 offen offset:8
	buffer_load_dword v4, v4, s[0:3], 0 offen offset:12
	s_waitcnt vmcnt(0)
	ds_write2_b64 v24, v[1:2], v[3:4] offset0:82 offset1:83
	;; [unrolled: 8-line block ×24, first 2 shown]
	ds_read2_b64 v[1:4], v23 offset1:1
	s_waitcnt lgkmcnt(0)
	v_cmp_neq_f64_e32 vcc_lo, 0, v[1:2]
	v_cmp_neq_f64_e64 s5, 0, v[3:4]
	s_or_b32 s5, vcc_lo, s5
	s_and_b32 exec_lo, exec_lo, s5
	s_cbranch_execz .LBB127_484
; %bb.479:
	v_cmp_ngt_f64_e64 s5, |v[1:2]|, |v[3:4]|
                                        ; implicit-def: $vgpr85_vgpr86
	s_and_saveexec_b32 s7, s5
	s_xor_b32 s5, exec_lo, s7
                                        ; implicit-def: $vgpr21_vgpr22
	s_cbranch_execz .LBB127_481
; %bb.480:
	v_div_scale_f64 v[21:22], null, v[3:4], v[3:4], v[1:2]
	v_div_scale_f64 v[159:160], vcc_lo, v[1:2], v[3:4], v[1:2]
	v_rcp_f64_e32 v[85:86], v[21:22]
	v_fma_f64 v[157:158], -v[21:22], v[85:86], 1.0
	v_fma_f64 v[85:86], v[85:86], v[157:158], v[85:86]
	v_fma_f64 v[157:158], -v[21:22], v[85:86], 1.0
	v_fma_f64 v[85:86], v[85:86], v[157:158], v[85:86]
	v_mul_f64 v[157:158], v[159:160], v[85:86]
	v_fma_f64 v[21:22], -v[21:22], v[157:158], v[159:160]
	v_div_fmas_f64 v[21:22], v[21:22], v[85:86], v[157:158]
	v_div_fixup_f64 v[85:86], v[21:22], v[3:4], v[1:2]
	v_fma_f64 v[1:2], v[1:2], v[85:86], v[3:4]
	v_div_scale_f64 v[3:4], null, v[1:2], v[1:2], 1.0
	v_rcp_f64_e32 v[21:22], v[3:4]
	v_fma_f64 v[157:158], -v[3:4], v[21:22], 1.0
	v_fma_f64 v[21:22], v[21:22], v[157:158], v[21:22]
	v_fma_f64 v[157:158], -v[3:4], v[21:22], 1.0
	v_fma_f64 v[21:22], v[21:22], v[157:158], v[21:22]
	v_div_scale_f64 v[157:158], vcc_lo, 1.0, v[1:2], 1.0
	v_mul_f64 v[159:160], v[157:158], v[21:22]
	v_fma_f64 v[3:4], -v[3:4], v[159:160], v[157:158]
	v_div_fmas_f64 v[3:4], v[3:4], v[21:22], v[159:160]
	v_div_fixup_f64 v[21:22], v[3:4], v[1:2], 1.0
                                        ; implicit-def: $vgpr1_vgpr2
	v_mul_f64 v[85:86], v[85:86], v[21:22]
	v_xor_b32_e32 v22, 0x80000000, v22
.LBB127_481:
	s_andn2_saveexec_b32 s5, s5
	s_cbranch_execz .LBB127_483
; %bb.482:
	v_div_scale_f64 v[21:22], null, v[1:2], v[1:2], v[3:4]
	v_div_scale_f64 v[159:160], vcc_lo, v[3:4], v[1:2], v[3:4]
	v_rcp_f64_e32 v[85:86], v[21:22]
	v_fma_f64 v[157:158], -v[21:22], v[85:86], 1.0
	v_fma_f64 v[85:86], v[85:86], v[157:158], v[85:86]
	v_fma_f64 v[157:158], -v[21:22], v[85:86], 1.0
	v_fma_f64 v[85:86], v[85:86], v[157:158], v[85:86]
	v_mul_f64 v[157:158], v[159:160], v[85:86]
	v_fma_f64 v[21:22], -v[21:22], v[157:158], v[159:160]
	v_div_fmas_f64 v[21:22], v[21:22], v[85:86], v[157:158]
	v_div_fixup_f64 v[21:22], v[21:22], v[1:2], v[3:4]
	v_fma_f64 v[1:2], v[3:4], v[21:22], v[1:2]
	v_div_scale_f64 v[3:4], null, v[1:2], v[1:2], 1.0
	v_rcp_f64_e32 v[85:86], v[3:4]
	v_fma_f64 v[157:158], -v[3:4], v[85:86], 1.0
	v_fma_f64 v[85:86], v[85:86], v[157:158], v[85:86]
	v_fma_f64 v[157:158], -v[3:4], v[85:86], 1.0
	v_fma_f64 v[85:86], v[85:86], v[157:158], v[85:86]
	v_div_scale_f64 v[157:158], vcc_lo, 1.0, v[1:2], 1.0
	v_mul_f64 v[159:160], v[157:158], v[85:86]
	v_fma_f64 v[3:4], -v[3:4], v[159:160], v[157:158]
	v_div_fmas_f64 v[3:4], v[3:4], v[85:86], v[159:160]
	v_div_fixup_f64 v[85:86], v[3:4], v[1:2], 1.0
	v_mul_f64 v[21:22], v[21:22], -v[85:86]
.LBB127_483:
	s_or_b32 exec_lo, exec_lo, s5
	ds_write2_b64 v23, v[85:86], v[21:22] offset1:1
.LBB127_484:
	s_or_b32 exec_lo, exec_lo, s6
	s_waitcnt lgkmcnt(0)
	s_barrier
	buffer_gl0_inv
	ds_read2_b64 v[157:160], v23 offset1:1
	s_mov_b32 s5, exec_lo
	v_cmpx_lt_u32_e32 39, v0
	s_cbranch_execz .LBB127_487
; %bb.485:
	s_clause 0x3
	buffer_load_dword v1, off, s[0:3], 0 offset:632
	buffer_load_dword v2, off, s[0:3], 0 offset:636
	;; [unrolled: 1-line block ×4, first 2 shown]
	s_mov_b32 s6, 0
	s_waitcnt vmcnt(2) lgkmcnt(0)
	v_mul_f64 v[21:22], v[159:160], v[1:2]
	v_mul_f64 v[85:86], v[157:158], v[1:2]
	s_waitcnt vmcnt(0)
	v_fma_f64 v[1:2], v[157:158], v[3:4], -v[21:22]
	v_fma_f64 v[3:4], v[159:160], v[3:4], v[85:86]
	buffer_store_dword v1, off, s[0:3], 0 offset:624
	buffer_store_dword v2, off, s[0:3], 0 offset:628
	;; [unrolled: 1-line block ×4, first 2 shown]
.LBB127_486:                            ; =>This Inner Loop Header: Depth=1
	v_add3_u32 v21, v87, 0, 0x280
	v_mov_b32_e32 v26, s6
	v_add_nc_u32_e32 v25, s6, v21
	s_addk_i32 s6, 0x60
	s_cmpk_lg_i32 s6, 0x180
	ds_read2_b64 v[161:164], v25 offset1:1
	s_waitcnt lgkmcnt(0)
	v_mul_f64 v[21:22], v[163:164], v[3:4]
	v_mul_f64 v[85:86], v[161:162], v[3:4]
	v_fma_f64 v[21:22], v[161:162], v[1:2], -v[21:22]
	v_fma_f64 v[85:86], v[163:164], v[1:2], v[85:86]
	s_clause 0xf
	buffer_load_dword v161, v26, s[0:3], 0 offen offset:640
	buffer_load_dword v162, v26, s[0:3], 0 offen offset:644
	;; [unrolled: 1-line block ×16, first 2 shown]
	s_waitcnt vmcnt(14)
	v_add_f64 v[21:22], v[161:162], -v[21:22]
	s_waitcnt vmcnt(12)
	v_add_f64 v[85:86], v[163:164], -v[85:86]
	buffer_store_dword v21, v26, s[0:3], 0 offen offset:640
	buffer_store_dword v22, v26, s[0:3], 0 offen offset:644
	buffer_store_dword v85, v26, s[0:3], 0 offen offset:648
	buffer_store_dword v86, v26, s[0:3], 0 offen offset:652
	ds_read2_b64 v[161:164], v25 offset0:2 offset1:3
	s_waitcnt lgkmcnt(0)
	v_mul_f64 v[21:22], v[163:164], v[3:4]
	v_mul_f64 v[85:86], v[161:162], v[3:4]
	v_fma_f64 v[21:22], v[161:162], v[1:2], -v[21:22]
	v_fma_f64 v[85:86], v[163:164], v[1:2], v[85:86]
	s_waitcnt vmcnt(10)
	v_add_f64 v[21:22], v[165:166], -v[21:22]
	s_waitcnt vmcnt(8)
	v_add_f64 v[85:86], v[167:168], -v[85:86]
	buffer_store_dword v21, v26, s[0:3], 0 offen offset:656
	buffer_store_dword v22, v26, s[0:3], 0 offen offset:660
	buffer_store_dword v85, v26, s[0:3], 0 offen offset:664
	buffer_store_dword v86, v26, s[0:3], 0 offen offset:668
	ds_read2_b64 v[161:164], v25 offset0:4 offset1:5
	s_waitcnt lgkmcnt(0)
	v_mul_f64 v[21:22], v[163:164], v[3:4]
	v_mul_f64 v[85:86], v[161:162], v[3:4]
	v_fma_f64 v[21:22], v[161:162], v[1:2], -v[21:22]
	v_fma_f64 v[85:86], v[163:164], v[1:2], v[85:86]
	;; [unrolled: 14-line block ×4, first 2 shown]
	s_clause 0x3
	buffer_load_dword v161, v26, s[0:3], 0 offen offset:704
	buffer_load_dword v162, v26, s[0:3], 0 offen offset:708
	;; [unrolled: 1-line block ×4, first 2 shown]
	s_waitcnt vmcnt(2)
	v_add_f64 v[21:22], v[161:162], -v[21:22]
	s_waitcnt vmcnt(0)
	v_add_f64 v[85:86], v[163:164], -v[85:86]
	buffer_store_dword v22, v26, s[0:3], 0 offen offset:708
	buffer_store_dword v21, v26, s[0:3], 0 offen offset:704
	;; [unrolled: 1-line block ×4, first 2 shown]
	ds_read2_b64 v[161:164], v25 offset0:10 offset1:11
	s_waitcnt lgkmcnt(0)
	v_mul_f64 v[21:22], v[163:164], v[3:4]
	v_mul_f64 v[85:86], v[161:162], v[3:4]
	v_fma_f64 v[21:22], v[161:162], v[1:2], -v[21:22]
	v_fma_f64 v[85:86], v[163:164], v[1:2], v[85:86]
	s_clause 0x3
	buffer_load_dword v161, v26, s[0:3], 0 offen offset:720
	buffer_load_dword v162, v26, s[0:3], 0 offen offset:724
	;; [unrolled: 1-line block ×4, first 2 shown]
	s_waitcnt vmcnt(2)
	v_add_f64 v[21:22], v[161:162], -v[21:22]
	s_waitcnt vmcnt(0)
	v_add_f64 v[85:86], v[163:164], -v[85:86]
	buffer_store_dword v22, v26, s[0:3], 0 offen offset:724
	buffer_store_dword v21, v26, s[0:3], 0 offen offset:720
	;; [unrolled: 1-line block ×4, first 2 shown]
	s_cbranch_scc1 .LBB127_486
.LBB127_487:
	s_or_b32 exec_lo, exec_lo, s5
	s_mov_b32 s6, exec_lo
	s_waitcnt lgkmcnt(0)
	s_waitcnt_vscnt null, 0x0
	s_barrier
	buffer_gl0_inv
	v_cmpx_eq_u32_e32 40, v0
	s_cbranch_execz .LBB127_494
; %bb.488:
	v_mov_b32_e32 v4, s39
	s_clause 0x3
	buffer_load_dword v1, v4, s[0:3], 0 offen
	buffer_load_dword v2, v4, s[0:3], 0 offen offset:4
	buffer_load_dword v3, v4, s[0:3], 0 offen offset:8
	;; [unrolled: 1-line block ×3, first 2 shown]
	s_waitcnt vmcnt(0)
	ds_write2_b64 v23, v[1:2], v[3:4] offset1:1
	v_mov_b32_e32 v4, s38
	s_clause 0x3
	buffer_load_dword v1, v4, s[0:3], 0 offen
	buffer_load_dword v2, v4, s[0:3], 0 offen offset:4
	buffer_load_dword v3, v4, s[0:3], 0 offen offset:8
	buffer_load_dword v4, v4, s[0:3], 0 offen offset:12
	s_waitcnt vmcnt(0)
	ds_write2_b64 v24, v[1:2], v[3:4] offset0:82 offset1:83
	v_mov_b32_e32 v4, s37
	s_clause 0x3
	buffer_load_dword v1, v4, s[0:3], 0 offen
	buffer_load_dword v2, v4, s[0:3], 0 offen offset:4
	buffer_load_dword v3, v4, s[0:3], 0 offen offset:8
	buffer_load_dword v4, v4, s[0:3], 0 offen offset:12
	s_waitcnt vmcnt(0)
	ds_write2_b64 v24, v[1:2], v[3:4] offset0:84 offset1:85
	;; [unrolled: 8-line block ×23, first 2 shown]
	ds_read2_b64 v[1:4], v23 offset1:1
	s_waitcnt lgkmcnt(0)
	v_cmp_neq_f64_e32 vcc_lo, 0, v[1:2]
	v_cmp_neq_f64_e64 s5, 0, v[3:4]
	s_or_b32 s5, vcc_lo, s5
	s_and_b32 exec_lo, exec_lo, s5
	s_cbranch_execz .LBB127_494
; %bb.489:
	v_cmp_ngt_f64_e64 s5, |v[1:2]|, |v[3:4]|
                                        ; implicit-def: $vgpr85_vgpr86
	s_and_saveexec_b32 s7, s5
	s_xor_b32 s5, exec_lo, s7
                                        ; implicit-def: $vgpr21_vgpr22
	s_cbranch_execz .LBB127_491
; %bb.490:
	v_div_scale_f64 v[21:22], null, v[3:4], v[3:4], v[1:2]
	v_div_scale_f64 v[163:164], vcc_lo, v[1:2], v[3:4], v[1:2]
	v_rcp_f64_e32 v[85:86], v[21:22]
	v_fma_f64 v[161:162], -v[21:22], v[85:86], 1.0
	v_fma_f64 v[85:86], v[85:86], v[161:162], v[85:86]
	v_fma_f64 v[161:162], -v[21:22], v[85:86], 1.0
	v_fma_f64 v[85:86], v[85:86], v[161:162], v[85:86]
	v_mul_f64 v[161:162], v[163:164], v[85:86]
	v_fma_f64 v[21:22], -v[21:22], v[161:162], v[163:164]
	v_div_fmas_f64 v[21:22], v[21:22], v[85:86], v[161:162]
	v_div_fixup_f64 v[85:86], v[21:22], v[3:4], v[1:2]
	v_fma_f64 v[1:2], v[1:2], v[85:86], v[3:4]
	v_div_scale_f64 v[3:4], null, v[1:2], v[1:2], 1.0
	v_rcp_f64_e32 v[21:22], v[3:4]
	v_fma_f64 v[161:162], -v[3:4], v[21:22], 1.0
	v_fma_f64 v[21:22], v[21:22], v[161:162], v[21:22]
	v_fma_f64 v[161:162], -v[3:4], v[21:22], 1.0
	v_fma_f64 v[21:22], v[21:22], v[161:162], v[21:22]
	v_div_scale_f64 v[161:162], vcc_lo, 1.0, v[1:2], 1.0
	v_mul_f64 v[163:164], v[161:162], v[21:22]
	v_fma_f64 v[3:4], -v[3:4], v[163:164], v[161:162]
	v_div_fmas_f64 v[3:4], v[3:4], v[21:22], v[163:164]
	v_div_fixup_f64 v[21:22], v[3:4], v[1:2], 1.0
                                        ; implicit-def: $vgpr1_vgpr2
	v_mul_f64 v[85:86], v[85:86], v[21:22]
	v_xor_b32_e32 v22, 0x80000000, v22
.LBB127_491:
	s_andn2_saveexec_b32 s5, s5
	s_cbranch_execz .LBB127_493
; %bb.492:
	v_div_scale_f64 v[21:22], null, v[1:2], v[1:2], v[3:4]
	v_div_scale_f64 v[163:164], vcc_lo, v[3:4], v[1:2], v[3:4]
	v_rcp_f64_e32 v[85:86], v[21:22]
	v_fma_f64 v[161:162], -v[21:22], v[85:86], 1.0
	v_fma_f64 v[85:86], v[85:86], v[161:162], v[85:86]
	v_fma_f64 v[161:162], -v[21:22], v[85:86], 1.0
	v_fma_f64 v[85:86], v[85:86], v[161:162], v[85:86]
	v_mul_f64 v[161:162], v[163:164], v[85:86]
	v_fma_f64 v[21:22], -v[21:22], v[161:162], v[163:164]
	v_div_fmas_f64 v[21:22], v[21:22], v[85:86], v[161:162]
	v_div_fixup_f64 v[21:22], v[21:22], v[1:2], v[3:4]
	v_fma_f64 v[1:2], v[3:4], v[21:22], v[1:2]
	v_div_scale_f64 v[3:4], null, v[1:2], v[1:2], 1.0
	v_rcp_f64_e32 v[85:86], v[3:4]
	v_fma_f64 v[161:162], -v[3:4], v[85:86], 1.0
	v_fma_f64 v[85:86], v[85:86], v[161:162], v[85:86]
	v_fma_f64 v[161:162], -v[3:4], v[85:86], 1.0
	v_fma_f64 v[85:86], v[85:86], v[161:162], v[85:86]
	v_div_scale_f64 v[161:162], vcc_lo, 1.0, v[1:2], 1.0
	v_mul_f64 v[163:164], v[161:162], v[85:86]
	v_fma_f64 v[3:4], -v[3:4], v[163:164], v[161:162]
	v_div_fmas_f64 v[3:4], v[3:4], v[85:86], v[163:164]
	v_div_fixup_f64 v[85:86], v[3:4], v[1:2], 1.0
	v_mul_f64 v[21:22], v[21:22], -v[85:86]
.LBB127_493:
	s_or_b32 exec_lo, exec_lo, s5
	ds_write2_b64 v23, v[85:86], v[21:22] offset1:1
.LBB127_494:
	s_or_b32 exec_lo, exec_lo, s6
	s_waitcnt lgkmcnt(0)
	s_barrier
	buffer_gl0_inv
	ds_read2_b64 v[161:164], v23 offset1:1
	s_mov_b32 s5, exec_lo
	v_cmpx_lt_u32_e32 40, v0
	s_cbranch_execz .LBB127_499
; %bb.495:
	s_clause 0x3
	buffer_load_dword v1, off, s[0:3], 0 offset:648
	buffer_load_dword v2, off, s[0:3], 0 offset:652
	;; [unrolled: 1-line block ×4, first 2 shown]
	s_mov_b32 s6, 0
	s_waitcnt vmcnt(2) lgkmcnt(0)
	v_mul_f64 v[21:22], v[163:164], v[1:2]
	v_mul_f64 v[85:86], v[161:162], v[1:2]
	s_waitcnt vmcnt(0)
	v_fma_f64 v[1:2], v[161:162], v[3:4], -v[21:22]
	v_fma_f64 v[3:4], v[163:164], v[3:4], v[85:86]
	buffer_store_dword v1, off, s[0:3], 0 offset:640
	buffer_store_dword v2, off, s[0:3], 0 offset:644
	;; [unrolled: 1-line block ×4, first 2 shown]
	s_branch .LBB127_497
.LBB127_496:                            ;   in Loop: Header=BB127_497 Depth=1
	s_andn2_b32 vcc_lo, exec_lo, s8
	s_cbranch_vccz .LBB127_499
.LBB127_497:                            ; =>This Inner Loop Header: Depth=1
	v_add3_u32 v21, v87, 0, 0x290
	v_mov_b32_e32 v22, s6
	s_mov_b32 s7, s6
	s_mov_b32 s8, -1
	s_cmpk_eq_i32 s6, 0x140
	v_add_nc_u32_e32 v21, s6, v21
	ds_read2_b64 v[165:168], v21 offset1:1
	s_waitcnt lgkmcnt(0)
	v_mul_f64 v[85:86], v[167:168], v[3:4]
	v_fma_f64 v[85:86], v[165:166], v[1:2], -v[85:86]
	v_mul_f64 v[165:166], v[165:166], v[3:4]
	v_fma_f64 v[165:166], v[167:168], v[1:2], v[165:166]
	s_clause 0xb
	buffer_load_dword v167, v22, s[0:3], 0 offen offset:656
	buffer_load_dword v168, v22, s[0:3], 0 offen offset:660
	;; [unrolled: 1-line block ×12, first 2 shown]
	s_waitcnt vmcnt(10)
	v_add_f64 v[85:86], v[167:168], -v[85:86]
	s_waitcnt vmcnt(8)
	v_add_f64 v[165:166], v[169:170], -v[165:166]
	buffer_store_dword v85, v22, s[0:3], 0 offen offset:656
	buffer_store_dword v86, v22, s[0:3], 0 offen offset:660
	;; [unrolled: 1-line block ×4, first 2 shown]
	ds_read2_b64 v[165:168], v21 offset0:2 offset1:3
	s_waitcnt lgkmcnt(0)
	v_mul_f64 v[85:86], v[167:168], v[3:4]
	v_fma_f64 v[85:86], v[165:166], v[1:2], -v[85:86]
	v_mul_f64 v[165:166], v[165:166], v[3:4]
	s_waitcnt vmcnt(6)
	v_add_f64 v[85:86], v[171:172], -v[85:86]
	v_fma_f64 v[165:166], v[167:168], v[1:2], v[165:166]
	s_waitcnt vmcnt(4)
	v_add_f64 v[165:166], v[173:174], -v[165:166]
	buffer_store_dword v85, v22, s[0:3], 0 offen offset:672
	buffer_store_dword v86, v22, s[0:3], 0 offen offset:676
	;; [unrolled: 1-line block ×4, first 2 shown]
	ds_read2_b64 v[165:168], v21 offset0:4 offset1:5
	s_waitcnt lgkmcnt(0)
	v_mul_f64 v[85:86], v[167:168], v[3:4]
	v_fma_f64 v[85:86], v[165:166], v[1:2], -v[85:86]
	v_mul_f64 v[165:166], v[165:166], v[3:4]
	s_waitcnt vmcnt(2)
	v_add_f64 v[85:86], v[175:176], -v[85:86]
	v_fma_f64 v[165:166], v[167:168], v[1:2], v[165:166]
	s_waitcnt vmcnt(0)
	v_add_f64 v[165:166], v[177:178], -v[165:166]
	buffer_store_dword v85, v22, s[0:3], 0 offen offset:688
	buffer_store_dword v86, v22, s[0:3], 0 offen offset:692
	;; [unrolled: 1-line block ×4, first 2 shown]
	s_cbranch_scc1 .LBB127_496
; %bb.498:                              ;   in Loop: Header=BB127_497 Depth=1
	ds_read2_b64 v[165:168], v21 offset0:6 offset1:7
	v_mov_b32_e32 v25, s7
	s_add_i32 s6, s6, 64
	s_mov_b32 s8, 0
	s_waitcnt lgkmcnt(0)
	v_mul_f64 v[21:22], v[167:168], v[3:4]
	v_mul_f64 v[85:86], v[165:166], v[3:4]
	v_fma_f64 v[21:22], v[165:166], v[1:2], -v[21:22]
	v_fma_f64 v[85:86], v[167:168], v[1:2], v[85:86]
	s_clause 0x3
	buffer_load_dword v165, v25, s[0:3], 0 offen offset:704
	buffer_load_dword v166, v25, s[0:3], 0 offen offset:708
	;; [unrolled: 1-line block ×4, first 2 shown]
	s_waitcnt vmcnt(2)
	v_add_f64 v[21:22], v[165:166], -v[21:22]
	s_waitcnt vmcnt(0)
	v_add_f64 v[85:86], v[167:168], -v[85:86]
	buffer_store_dword v21, v25, s[0:3], 0 offen offset:704
	buffer_store_dword v22, v25, s[0:3], 0 offen offset:708
	buffer_store_dword v85, v25, s[0:3], 0 offen offset:712
	buffer_store_dword v86, v25, s[0:3], 0 offen offset:716
	s_branch .LBB127_496
.LBB127_499:
	s_or_b32 exec_lo, exec_lo, s5
	s_mov_b32 s6, exec_lo
	s_waitcnt lgkmcnt(0)
	s_waitcnt_vscnt null, 0x0
	s_barrier
	buffer_gl0_inv
	v_cmpx_eq_u32_e32 41, v0
	s_cbranch_execz .LBB127_506
; %bb.500:
	v_mov_b32_e32 v4, s38
	s_clause 0x3
	buffer_load_dword v1, v4, s[0:3], 0 offen
	buffer_load_dword v2, v4, s[0:3], 0 offen offset:4
	buffer_load_dword v3, v4, s[0:3], 0 offen offset:8
	;; [unrolled: 1-line block ×3, first 2 shown]
	s_waitcnt vmcnt(0)
	ds_write2_b64 v23, v[1:2], v[3:4] offset1:1
	v_mov_b32_e32 v4, s37
	s_clause 0x3
	buffer_load_dword v1, v4, s[0:3], 0 offen
	buffer_load_dword v2, v4, s[0:3], 0 offen offset:4
	buffer_load_dword v3, v4, s[0:3], 0 offen offset:8
	buffer_load_dword v4, v4, s[0:3], 0 offen offset:12
	s_waitcnt vmcnt(0)
	ds_write2_b64 v24, v[1:2], v[3:4] offset0:84 offset1:85
	v_mov_b32_e32 v4, s36
	s_clause 0x3
	buffer_load_dword v1, v4, s[0:3], 0 offen
	buffer_load_dword v2, v4, s[0:3], 0 offen offset:4
	buffer_load_dword v3, v4, s[0:3], 0 offen offset:8
	buffer_load_dword v4, v4, s[0:3], 0 offen offset:12
	s_waitcnt vmcnt(0)
	ds_write2_b64 v24, v[1:2], v[3:4] offset0:86 offset1:87
	v_mov_b32_e32 v4, s35
	s_clause 0x3
	buffer_load_dword v1, v4, s[0:3], 0 offen
	buffer_load_dword v2, v4, s[0:3], 0 offen offset:4
	buffer_load_dword v3, v4, s[0:3], 0 offen offset:8
	buffer_load_dword v4, v4, s[0:3], 0 offen offset:12
	s_waitcnt vmcnt(0)
	ds_write2_b64 v24, v[1:2], v[3:4] offset0:88 offset1:89
	v_mov_b32_e32 v4, s34
	s_clause 0x3
	buffer_load_dword v1, v4, s[0:3], 0 offen
	buffer_load_dword v2, v4, s[0:3], 0 offen offset:4
	buffer_load_dword v3, v4, s[0:3], 0 offen offset:8
	buffer_load_dword v4, v4, s[0:3], 0 offen offset:12
	s_waitcnt vmcnt(0)
	ds_write2_b64 v24, v[1:2], v[3:4] offset0:90 offset1:91
	v_mov_b32_e32 v4, s33
	s_clause 0x3
	buffer_load_dword v1, v4, s[0:3], 0 offen
	buffer_load_dword v2, v4, s[0:3], 0 offen offset:4
	buffer_load_dword v3, v4, s[0:3], 0 offen offset:8
	buffer_load_dword v4, v4, s[0:3], 0 offen offset:12
	s_waitcnt vmcnt(0)
	ds_write2_b64 v24, v[1:2], v[3:4] offset0:92 offset1:93
	v_mov_b32_e32 v4, s31
	s_clause 0x3
	buffer_load_dword v1, v4, s[0:3], 0 offen
	buffer_load_dword v2, v4, s[0:3], 0 offen offset:4
	buffer_load_dword v3, v4, s[0:3], 0 offen offset:8
	buffer_load_dword v4, v4, s[0:3], 0 offen offset:12
	s_waitcnt vmcnt(0)
	ds_write2_b64 v24, v[1:2], v[3:4] offset0:94 offset1:95
	v_mov_b32_e32 v4, s30
	s_clause 0x3
	buffer_load_dword v1, v4, s[0:3], 0 offen
	buffer_load_dword v2, v4, s[0:3], 0 offen offset:4
	buffer_load_dword v3, v4, s[0:3], 0 offen offset:8
	buffer_load_dword v4, v4, s[0:3], 0 offen offset:12
	s_waitcnt vmcnt(0)
	ds_write2_b64 v24, v[1:2], v[3:4] offset0:96 offset1:97
	v_mov_b32_e32 v4, s29
	s_clause 0x3
	buffer_load_dword v1, v4, s[0:3], 0 offen
	buffer_load_dword v2, v4, s[0:3], 0 offen offset:4
	buffer_load_dword v3, v4, s[0:3], 0 offen offset:8
	buffer_load_dword v4, v4, s[0:3], 0 offen offset:12
	s_waitcnt vmcnt(0)
	ds_write2_b64 v24, v[1:2], v[3:4] offset0:98 offset1:99
	v_mov_b32_e32 v4, s28
	s_clause 0x3
	buffer_load_dword v1, v4, s[0:3], 0 offen
	buffer_load_dword v2, v4, s[0:3], 0 offen offset:4
	buffer_load_dword v3, v4, s[0:3], 0 offen offset:8
	buffer_load_dword v4, v4, s[0:3], 0 offen offset:12
	s_waitcnt vmcnt(0)
	ds_write2_b64 v24, v[1:2], v[3:4] offset0:100 offset1:101
	v_mov_b32_e32 v4, s27
	s_clause 0x3
	buffer_load_dword v1, v4, s[0:3], 0 offen
	buffer_load_dword v2, v4, s[0:3], 0 offen offset:4
	buffer_load_dword v3, v4, s[0:3], 0 offen offset:8
	buffer_load_dword v4, v4, s[0:3], 0 offen offset:12
	s_waitcnt vmcnt(0)
	ds_write2_b64 v24, v[1:2], v[3:4] offset0:102 offset1:103
	v_mov_b32_e32 v4, s26
	s_clause 0x3
	buffer_load_dword v1, v4, s[0:3], 0 offen
	buffer_load_dword v2, v4, s[0:3], 0 offen offset:4
	buffer_load_dword v3, v4, s[0:3], 0 offen offset:8
	buffer_load_dword v4, v4, s[0:3], 0 offen offset:12
	s_waitcnt vmcnt(0)
	ds_write2_b64 v24, v[1:2], v[3:4] offset0:104 offset1:105
	v_mov_b32_e32 v4, s25
	s_clause 0x3
	buffer_load_dword v1, v4, s[0:3], 0 offen
	buffer_load_dword v2, v4, s[0:3], 0 offen offset:4
	buffer_load_dword v3, v4, s[0:3], 0 offen offset:8
	buffer_load_dword v4, v4, s[0:3], 0 offen offset:12
	s_waitcnt vmcnt(0)
	ds_write2_b64 v24, v[1:2], v[3:4] offset0:106 offset1:107
	v_mov_b32_e32 v4, s24
	s_clause 0x3
	buffer_load_dword v1, v4, s[0:3], 0 offen
	buffer_load_dword v2, v4, s[0:3], 0 offen offset:4
	buffer_load_dword v3, v4, s[0:3], 0 offen offset:8
	buffer_load_dword v4, v4, s[0:3], 0 offen offset:12
	s_waitcnt vmcnt(0)
	ds_write2_b64 v24, v[1:2], v[3:4] offset0:108 offset1:109
	v_mov_b32_e32 v4, s23
	s_clause 0x3
	buffer_load_dword v1, v4, s[0:3], 0 offen
	buffer_load_dword v2, v4, s[0:3], 0 offen offset:4
	buffer_load_dword v3, v4, s[0:3], 0 offen offset:8
	buffer_load_dword v4, v4, s[0:3], 0 offen offset:12
	s_waitcnt vmcnt(0)
	ds_write2_b64 v24, v[1:2], v[3:4] offset0:110 offset1:111
	v_mov_b32_e32 v4, s22
	s_clause 0x3
	buffer_load_dword v1, v4, s[0:3], 0 offen
	buffer_load_dword v2, v4, s[0:3], 0 offen offset:4
	buffer_load_dword v3, v4, s[0:3], 0 offen offset:8
	buffer_load_dword v4, v4, s[0:3], 0 offen offset:12
	s_waitcnt vmcnt(0)
	ds_write2_b64 v24, v[1:2], v[3:4] offset0:112 offset1:113
	v_mov_b32_e32 v4, s21
	s_clause 0x3
	buffer_load_dword v1, v4, s[0:3], 0 offen
	buffer_load_dword v2, v4, s[0:3], 0 offen offset:4
	buffer_load_dword v3, v4, s[0:3], 0 offen offset:8
	buffer_load_dword v4, v4, s[0:3], 0 offen offset:12
	s_waitcnt vmcnt(0)
	ds_write2_b64 v24, v[1:2], v[3:4] offset0:114 offset1:115
	v_mov_b32_e32 v4, s20
	s_clause 0x3
	buffer_load_dword v1, v4, s[0:3], 0 offen
	buffer_load_dword v2, v4, s[0:3], 0 offen offset:4
	buffer_load_dword v3, v4, s[0:3], 0 offen offset:8
	buffer_load_dword v4, v4, s[0:3], 0 offen offset:12
	s_waitcnt vmcnt(0)
	ds_write2_b64 v24, v[1:2], v[3:4] offset0:116 offset1:117
	v_mov_b32_e32 v4, s19
	s_clause 0x3
	buffer_load_dword v1, v4, s[0:3], 0 offen
	buffer_load_dword v2, v4, s[0:3], 0 offen offset:4
	buffer_load_dword v3, v4, s[0:3], 0 offen offset:8
	buffer_load_dword v4, v4, s[0:3], 0 offen offset:12
	s_waitcnt vmcnt(0)
	ds_write2_b64 v24, v[1:2], v[3:4] offset0:118 offset1:119
	v_mov_b32_e32 v4, s18
	s_clause 0x3
	buffer_load_dword v1, v4, s[0:3], 0 offen
	buffer_load_dword v2, v4, s[0:3], 0 offen offset:4
	buffer_load_dword v3, v4, s[0:3], 0 offen offset:8
	buffer_load_dword v4, v4, s[0:3], 0 offen offset:12
	s_waitcnt vmcnt(0)
	ds_write2_b64 v24, v[1:2], v[3:4] offset0:120 offset1:121
	v_mov_b32_e32 v4, s16
	s_clause 0x3
	buffer_load_dword v1, v4, s[0:3], 0 offen
	buffer_load_dword v2, v4, s[0:3], 0 offen offset:4
	buffer_load_dword v3, v4, s[0:3], 0 offen offset:8
	buffer_load_dword v4, v4, s[0:3], 0 offen offset:12
	s_waitcnt vmcnt(0)
	ds_write2_b64 v24, v[1:2], v[3:4] offset0:122 offset1:123
	v_mov_b32_e32 v4, s13
	s_clause 0x3
	buffer_load_dword v1, v4, s[0:3], 0 offen
	buffer_load_dword v2, v4, s[0:3], 0 offen offset:4
	buffer_load_dword v3, v4, s[0:3], 0 offen offset:8
	buffer_load_dword v4, v4, s[0:3], 0 offen offset:12
	s_waitcnt vmcnt(0)
	ds_write2_b64 v24, v[1:2], v[3:4] offset0:124 offset1:125
	v_mov_b32_e32 v4, s12
	s_clause 0x3
	buffer_load_dword v1, v4, s[0:3], 0 offen
	buffer_load_dword v2, v4, s[0:3], 0 offen offset:4
	buffer_load_dword v3, v4, s[0:3], 0 offen offset:8
	buffer_load_dword v4, v4, s[0:3], 0 offen offset:12
	s_waitcnt vmcnt(0)
	ds_write2_b64 v24, v[1:2], v[3:4] offset0:126 offset1:127
	ds_read2_b64 v[1:4], v23 offset1:1
	s_waitcnt lgkmcnt(0)
	v_cmp_neq_f64_e32 vcc_lo, 0, v[1:2]
	v_cmp_neq_f64_e64 s5, 0, v[3:4]
	s_or_b32 s5, vcc_lo, s5
	s_and_b32 exec_lo, exec_lo, s5
	s_cbranch_execz .LBB127_506
; %bb.501:
	v_cmp_ngt_f64_e64 s5, |v[1:2]|, |v[3:4]|
                                        ; implicit-def: $vgpr85_vgpr86
	s_and_saveexec_b32 s7, s5
	s_xor_b32 s5, exec_lo, s7
                                        ; implicit-def: $vgpr21_vgpr22
	s_cbranch_execz .LBB127_503
; %bb.502:
	v_div_scale_f64 v[21:22], null, v[3:4], v[3:4], v[1:2]
	v_div_scale_f64 v[167:168], vcc_lo, v[1:2], v[3:4], v[1:2]
	v_rcp_f64_e32 v[85:86], v[21:22]
	v_fma_f64 v[165:166], -v[21:22], v[85:86], 1.0
	v_fma_f64 v[85:86], v[85:86], v[165:166], v[85:86]
	v_fma_f64 v[165:166], -v[21:22], v[85:86], 1.0
	v_fma_f64 v[85:86], v[85:86], v[165:166], v[85:86]
	v_mul_f64 v[165:166], v[167:168], v[85:86]
	v_fma_f64 v[21:22], -v[21:22], v[165:166], v[167:168]
	v_div_fmas_f64 v[21:22], v[21:22], v[85:86], v[165:166]
	v_div_fixup_f64 v[85:86], v[21:22], v[3:4], v[1:2]
	v_fma_f64 v[1:2], v[1:2], v[85:86], v[3:4]
	v_div_scale_f64 v[3:4], null, v[1:2], v[1:2], 1.0
	v_rcp_f64_e32 v[21:22], v[3:4]
	v_fma_f64 v[165:166], -v[3:4], v[21:22], 1.0
	v_fma_f64 v[21:22], v[21:22], v[165:166], v[21:22]
	v_fma_f64 v[165:166], -v[3:4], v[21:22], 1.0
	v_fma_f64 v[21:22], v[21:22], v[165:166], v[21:22]
	v_div_scale_f64 v[165:166], vcc_lo, 1.0, v[1:2], 1.0
	v_mul_f64 v[167:168], v[165:166], v[21:22]
	v_fma_f64 v[3:4], -v[3:4], v[167:168], v[165:166]
	v_div_fmas_f64 v[3:4], v[3:4], v[21:22], v[167:168]
	v_div_fixup_f64 v[21:22], v[3:4], v[1:2], 1.0
                                        ; implicit-def: $vgpr1_vgpr2
	v_mul_f64 v[85:86], v[85:86], v[21:22]
	v_xor_b32_e32 v22, 0x80000000, v22
.LBB127_503:
	s_andn2_saveexec_b32 s5, s5
	s_cbranch_execz .LBB127_505
; %bb.504:
	v_div_scale_f64 v[21:22], null, v[1:2], v[1:2], v[3:4]
	v_div_scale_f64 v[167:168], vcc_lo, v[3:4], v[1:2], v[3:4]
	v_rcp_f64_e32 v[85:86], v[21:22]
	v_fma_f64 v[165:166], -v[21:22], v[85:86], 1.0
	v_fma_f64 v[85:86], v[85:86], v[165:166], v[85:86]
	v_fma_f64 v[165:166], -v[21:22], v[85:86], 1.0
	v_fma_f64 v[85:86], v[85:86], v[165:166], v[85:86]
	v_mul_f64 v[165:166], v[167:168], v[85:86]
	v_fma_f64 v[21:22], -v[21:22], v[165:166], v[167:168]
	v_div_fmas_f64 v[21:22], v[21:22], v[85:86], v[165:166]
	v_div_fixup_f64 v[21:22], v[21:22], v[1:2], v[3:4]
	v_fma_f64 v[1:2], v[3:4], v[21:22], v[1:2]
	v_div_scale_f64 v[3:4], null, v[1:2], v[1:2], 1.0
	v_rcp_f64_e32 v[85:86], v[3:4]
	v_fma_f64 v[165:166], -v[3:4], v[85:86], 1.0
	v_fma_f64 v[85:86], v[85:86], v[165:166], v[85:86]
	v_fma_f64 v[165:166], -v[3:4], v[85:86], 1.0
	v_fma_f64 v[85:86], v[85:86], v[165:166], v[85:86]
	v_div_scale_f64 v[165:166], vcc_lo, 1.0, v[1:2], 1.0
	v_mul_f64 v[167:168], v[165:166], v[85:86]
	v_fma_f64 v[3:4], -v[3:4], v[167:168], v[165:166]
	v_div_fmas_f64 v[3:4], v[3:4], v[85:86], v[167:168]
	v_div_fixup_f64 v[85:86], v[3:4], v[1:2], 1.0
	v_mul_f64 v[21:22], v[21:22], -v[85:86]
.LBB127_505:
	s_or_b32 exec_lo, exec_lo, s5
	ds_write2_b64 v23, v[85:86], v[21:22] offset1:1
.LBB127_506:
	s_or_b32 exec_lo, exec_lo, s6
	s_waitcnt lgkmcnt(0)
	s_barrier
	buffer_gl0_inv
	ds_read2_b64 v[165:168], v23 offset1:1
	s_mov_b32 s5, exec_lo
	v_cmpx_lt_u32_e32 41, v0
	s_cbranch_execz .LBB127_509
; %bb.507:
	s_clause 0x3
	buffer_load_dword v1, off, s[0:3], 0 offset:664
	buffer_load_dword v2, off, s[0:3], 0 offset:668
	;; [unrolled: 1-line block ×4, first 2 shown]
	s_mov_b32 s6, 0
	s_waitcnt vmcnt(2) lgkmcnt(0)
	v_mul_f64 v[21:22], v[167:168], v[1:2]
	v_mul_f64 v[85:86], v[165:166], v[1:2]
	s_waitcnt vmcnt(0)
	v_fma_f64 v[1:2], v[165:166], v[3:4], -v[21:22]
	v_fma_f64 v[3:4], v[167:168], v[3:4], v[85:86]
	buffer_store_dword v1, off, s[0:3], 0 offset:656
	buffer_store_dword v2, off, s[0:3], 0 offset:660
	;; [unrolled: 1-line block ×4, first 2 shown]
.LBB127_508:                            ; =>This Inner Loop Header: Depth=1
	v_add3_u32 v21, v87, 0, 0x2a0
	v_mov_b32_e32 v26, s6
	v_add_nc_u32_e32 v25, s6, v21
	s_add_i32 s6, s6, 32
	s_cmpk_lg_i32 s6, 0x160
	ds_read2_b64 v[169:172], v25 offset1:1
	s_waitcnt lgkmcnt(0)
	v_mul_f64 v[21:22], v[171:172], v[3:4]
	v_mul_f64 v[85:86], v[169:170], v[3:4]
	v_fma_f64 v[21:22], v[169:170], v[1:2], -v[21:22]
	v_fma_f64 v[85:86], v[171:172], v[1:2], v[85:86]
	s_clause 0x7
	buffer_load_dword v169, v26, s[0:3], 0 offen offset:672
	buffer_load_dword v170, v26, s[0:3], 0 offen offset:676
	;; [unrolled: 1-line block ×8, first 2 shown]
	s_waitcnt vmcnt(6)
	v_add_f64 v[21:22], v[169:170], -v[21:22]
	s_waitcnt vmcnt(4)
	v_add_f64 v[85:86], v[171:172], -v[85:86]
	buffer_store_dword v21, v26, s[0:3], 0 offen offset:672
	buffer_store_dword v22, v26, s[0:3], 0 offen offset:676
	;; [unrolled: 1-line block ×4, first 2 shown]
	ds_read2_b64 v[169:172], v25 offset0:2 offset1:3
	s_waitcnt lgkmcnt(0)
	v_mul_f64 v[21:22], v[171:172], v[3:4]
	v_mul_f64 v[85:86], v[169:170], v[3:4]
	v_fma_f64 v[21:22], v[169:170], v[1:2], -v[21:22]
	v_fma_f64 v[85:86], v[171:172], v[1:2], v[85:86]
	s_waitcnt vmcnt(2)
	v_add_f64 v[21:22], v[173:174], -v[21:22]
	s_waitcnt vmcnt(0)
	v_add_f64 v[85:86], v[175:176], -v[85:86]
	buffer_store_dword v21, v26, s[0:3], 0 offen offset:688
	buffer_store_dword v22, v26, s[0:3], 0 offen offset:692
	;; [unrolled: 1-line block ×4, first 2 shown]
	s_cbranch_scc1 .LBB127_508
.LBB127_509:
	s_or_b32 exec_lo, exec_lo, s5
	s_mov_b32 s6, exec_lo
	s_waitcnt lgkmcnt(0)
	s_waitcnt_vscnt null, 0x0
	s_barrier
	buffer_gl0_inv
	v_cmpx_eq_u32_e32 42, v0
	s_cbranch_execz .LBB127_516
; %bb.510:
	v_mov_b32_e32 v4, s37
	s_clause 0x3
	buffer_load_dword v1, v4, s[0:3], 0 offen
	buffer_load_dword v2, v4, s[0:3], 0 offen offset:4
	buffer_load_dword v3, v4, s[0:3], 0 offen offset:8
	;; [unrolled: 1-line block ×3, first 2 shown]
	s_waitcnt vmcnt(0)
	ds_write2_b64 v23, v[1:2], v[3:4] offset1:1
	v_mov_b32_e32 v4, s36
	s_clause 0x3
	buffer_load_dword v1, v4, s[0:3], 0 offen
	buffer_load_dword v2, v4, s[0:3], 0 offen offset:4
	buffer_load_dword v3, v4, s[0:3], 0 offen offset:8
	buffer_load_dword v4, v4, s[0:3], 0 offen offset:12
	s_waitcnt vmcnt(0)
	ds_write2_b64 v24, v[1:2], v[3:4] offset0:86 offset1:87
	v_mov_b32_e32 v4, s35
	s_clause 0x3
	buffer_load_dword v1, v4, s[0:3], 0 offen
	buffer_load_dword v2, v4, s[0:3], 0 offen offset:4
	buffer_load_dword v3, v4, s[0:3], 0 offen offset:8
	buffer_load_dword v4, v4, s[0:3], 0 offen offset:12
	s_waitcnt vmcnt(0)
	ds_write2_b64 v24, v[1:2], v[3:4] offset0:88 offset1:89
	;; [unrolled: 8-line block ×21, first 2 shown]
	ds_read2_b64 v[1:4], v23 offset1:1
	s_waitcnt lgkmcnt(0)
	v_cmp_neq_f64_e32 vcc_lo, 0, v[1:2]
	v_cmp_neq_f64_e64 s5, 0, v[3:4]
	s_or_b32 s5, vcc_lo, s5
	s_and_b32 exec_lo, exec_lo, s5
	s_cbranch_execz .LBB127_516
; %bb.511:
	v_cmp_ngt_f64_e64 s5, |v[1:2]|, |v[3:4]|
                                        ; implicit-def: $vgpr85_vgpr86
	s_and_saveexec_b32 s7, s5
	s_xor_b32 s5, exec_lo, s7
                                        ; implicit-def: $vgpr21_vgpr22
	s_cbranch_execz .LBB127_513
; %bb.512:
	v_div_scale_f64 v[21:22], null, v[3:4], v[3:4], v[1:2]
	v_div_scale_f64 v[171:172], vcc_lo, v[1:2], v[3:4], v[1:2]
	v_rcp_f64_e32 v[85:86], v[21:22]
	v_fma_f64 v[169:170], -v[21:22], v[85:86], 1.0
	v_fma_f64 v[85:86], v[85:86], v[169:170], v[85:86]
	v_fma_f64 v[169:170], -v[21:22], v[85:86], 1.0
	v_fma_f64 v[85:86], v[85:86], v[169:170], v[85:86]
	v_mul_f64 v[169:170], v[171:172], v[85:86]
	v_fma_f64 v[21:22], -v[21:22], v[169:170], v[171:172]
	v_div_fmas_f64 v[21:22], v[21:22], v[85:86], v[169:170]
	v_div_fixup_f64 v[85:86], v[21:22], v[3:4], v[1:2]
	v_fma_f64 v[1:2], v[1:2], v[85:86], v[3:4]
	v_div_scale_f64 v[3:4], null, v[1:2], v[1:2], 1.0
	v_rcp_f64_e32 v[21:22], v[3:4]
	v_fma_f64 v[169:170], -v[3:4], v[21:22], 1.0
	v_fma_f64 v[21:22], v[21:22], v[169:170], v[21:22]
	v_fma_f64 v[169:170], -v[3:4], v[21:22], 1.0
	v_fma_f64 v[21:22], v[21:22], v[169:170], v[21:22]
	v_div_scale_f64 v[169:170], vcc_lo, 1.0, v[1:2], 1.0
	v_mul_f64 v[171:172], v[169:170], v[21:22]
	v_fma_f64 v[3:4], -v[3:4], v[171:172], v[169:170]
	v_div_fmas_f64 v[3:4], v[3:4], v[21:22], v[171:172]
	v_div_fixup_f64 v[21:22], v[3:4], v[1:2], 1.0
                                        ; implicit-def: $vgpr1_vgpr2
	v_mul_f64 v[85:86], v[85:86], v[21:22]
	v_xor_b32_e32 v22, 0x80000000, v22
.LBB127_513:
	s_andn2_saveexec_b32 s5, s5
	s_cbranch_execz .LBB127_515
; %bb.514:
	v_div_scale_f64 v[21:22], null, v[1:2], v[1:2], v[3:4]
	v_div_scale_f64 v[171:172], vcc_lo, v[3:4], v[1:2], v[3:4]
	v_rcp_f64_e32 v[85:86], v[21:22]
	v_fma_f64 v[169:170], -v[21:22], v[85:86], 1.0
	v_fma_f64 v[85:86], v[85:86], v[169:170], v[85:86]
	v_fma_f64 v[169:170], -v[21:22], v[85:86], 1.0
	v_fma_f64 v[85:86], v[85:86], v[169:170], v[85:86]
	v_mul_f64 v[169:170], v[171:172], v[85:86]
	v_fma_f64 v[21:22], -v[21:22], v[169:170], v[171:172]
	v_div_fmas_f64 v[21:22], v[21:22], v[85:86], v[169:170]
	v_div_fixup_f64 v[21:22], v[21:22], v[1:2], v[3:4]
	v_fma_f64 v[1:2], v[3:4], v[21:22], v[1:2]
	v_div_scale_f64 v[3:4], null, v[1:2], v[1:2], 1.0
	v_rcp_f64_e32 v[85:86], v[3:4]
	v_fma_f64 v[169:170], -v[3:4], v[85:86], 1.0
	v_fma_f64 v[85:86], v[85:86], v[169:170], v[85:86]
	v_fma_f64 v[169:170], -v[3:4], v[85:86], 1.0
	v_fma_f64 v[85:86], v[85:86], v[169:170], v[85:86]
	v_div_scale_f64 v[169:170], vcc_lo, 1.0, v[1:2], 1.0
	v_mul_f64 v[171:172], v[169:170], v[85:86]
	v_fma_f64 v[3:4], -v[3:4], v[171:172], v[169:170]
	v_div_fmas_f64 v[3:4], v[3:4], v[85:86], v[171:172]
	v_div_fixup_f64 v[85:86], v[3:4], v[1:2], 1.0
	v_mul_f64 v[21:22], v[21:22], -v[85:86]
.LBB127_515:
	s_or_b32 exec_lo, exec_lo, s5
	ds_write2_b64 v23, v[85:86], v[21:22] offset1:1
.LBB127_516:
	s_or_b32 exec_lo, exec_lo, s6
	s_waitcnt lgkmcnt(0)
	s_barrier
	buffer_gl0_inv
	ds_read2_b64 v[169:172], v23 offset1:1
	s_mov_b32 s5, exec_lo
	v_cmpx_lt_u32_e32 42, v0
	s_cbranch_execz .LBB127_519
; %bb.517:
	s_clause 0x3
	buffer_load_dword v1, off, s[0:3], 0 offset:680
	buffer_load_dword v2, off, s[0:3], 0 offset:684
	;; [unrolled: 1-line block ×4, first 2 shown]
	s_mov_b32 s6, 0
	s_waitcnt vmcnt(2) lgkmcnt(0)
	v_mul_f64 v[21:22], v[171:172], v[1:2]
	v_mul_f64 v[85:86], v[169:170], v[1:2]
	s_waitcnt vmcnt(0)
	v_fma_f64 v[1:2], v[169:170], v[3:4], -v[21:22]
	v_fma_f64 v[3:4], v[171:172], v[3:4], v[85:86]
	buffer_store_dword v1, off, s[0:3], 0 offset:672
	buffer_store_dword v2, off, s[0:3], 0 offset:676
	;; [unrolled: 1-line block ×4, first 2 shown]
.LBB127_518:                            ; =>This Inner Loop Header: Depth=1
	v_add3_u32 v21, v87, 0, 0x2b0
	v_add_nc_u32_e32 v25, s6, v21
	ds_read2_b64 v[173:176], v25 offset1:1
	s_waitcnt lgkmcnt(0)
	v_mul_f64 v[21:22], v[175:176], v[3:4]
	v_fma_f64 v[85:86], v[173:174], v[1:2], -v[21:22]
	v_mul_f64 v[21:22], v[173:174], v[3:4]
	v_fma_f64 v[173:174], v[175:176], v[1:2], v[21:22]
	v_mov_b32_e32 v21, s6
	s_addk_i32 s6, 0x70
	s_clause 0xf
	buffer_load_dword v175, v21, s[0:3], 0 offen offset:688
	buffer_load_dword v176, v21, s[0:3], 0 offen offset:692
	;; [unrolled: 1-line block ×16, first 2 shown]
	s_cmpk_lg_i32 s6, 0x150
	s_waitcnt vmcnt(14)
	v_add_f64 v[85:86], v[175:176], -v[85:86]
	s_waitcnt vmcnt(12)
	v_add_f64 v[173:174], v[177:178], -v[173:174]
	buffer_store_dword v85, v21, s[0:3], 0 offen offset:688
	buffer_store_dword v86, v21, s[0:3], 0 offen offset:692
	buffer_store_dword v173, v21, s[0:3], 0 offen offset:696
	buffer_store_dword v174, v21, s[0:3], 0 offen offset:700
	ds_read2_b64 v[173:176], v25 offset0:2 offset1:3
	s_waitcnt lgkmcnt(0)
	v_mul_f64 v[85:86], v[175:176], v[3:4]
	v_fma_f64 v[85:86], v[173:174], v[1:2], -v[85:86]
	v_mul_f64 v[173:174], v[173:174], v[3:4]
	s_waitcnt vmcnt(10)
	v_add_f64 v[85:86], v[179:180], -v[85:86]
	v_fma_f64 v[173:174], v[175:176], v[1:2], v[173:174]
	s_waitcnt vmcnt(8)
	v_add_f64 v[173:174], v[181:182], -v[173:174]
	buffer_store_dword v85, v21, s[0:3], 0 offen offset:704
	buffer_store_dword v86, v21, s[0:3], 0 offen offset:708
	buffer_store_dword v173, v21, s[0:3], 0 offen offset:712
	buffer_store_dword v174, v21, s[0:3], 0 offen offset:716
	ds_read2_b64 v[173:176], v25 offset0:4 offset1:5
	s_waitcnt lgkmcnt(0)
	v_mul_f64 v[85:86], v[175:176], v[3:4]
	v_fma_f64 v[85:86], v[173:174], v[1:2], -v[85:86]
	v_mul_f64 v[173:174], v[173:174], v[3:4]
	s_waitcnt vmcnt(6)
	v_add_f64 v[85:86], v[183:184], -v[85:86]
	v_fma_f64 v[173:174], v[175:176], v[1:2], v[173:174]
	;; [unrolled: 14-line block ×3, first 2 shown]
	s_waitcnt vmcnt(0)
	v_add_f64 v[173:174], v[189:190], -v[173:174]
	buffer_store_dword v86, v21, s[0:3], 0 offen offset:740
	buffer_store_dword v85, v21, s[0:3], 0 offen offset:736
	buffer_store_dword v173, v21, s[0:3], 0 offen offset:744
	buffer_store_dword v174, v21, s[0:3], 0 offen offset:748
	ds_read2_b64 v[173:176], v25 offset0:8 offset1:9
	s_waitcnt lgkmcnt(0)
	v_mul_f64 v[85:86], v[175:176], v[3:4]
	v_fma_f64 v[85:86], v[173:174], v[1:2], -v[85:86]
	v_mul_f64 v[173:174], v[173:174], v[3:4]
	v_fma_f64 v[173:174], v[175:176], v[1:2], v[173:174]
	s_clause 0x3
	buffer_load_dword v175, v21, s[0:3], 0 offen offset:752
	buffer_load_dword v176, v21, s[0:3], 0 offen offset:756
	;; [unrolled: 1-line block ×4, first 2 shown]
	s_waitcnt vmcnt(2)
	v_add_f64 v[85:86], v[175:176], -v[85:86]
	s_waitcnt vmcnt(0)
	v_add_f64 v[173:174], v[177:178], -v[173:174]
	buffer_store_dword v86, v21, s[0:3], 0 offen offset:756
	buffer_store_dword v85, v21, s[0:3], 0 offen offset:752
	;; [unrolled: 1-line block ×4, first 2 shown]
	ds_read2_b64 v[173:176], v25 offset0:10 offset1:11
	s_waitcnt lgkmcnt(0)
	v_mul_f64 v[85:86], v[175:176], v[3:4]
	v_mul_f64 v[3:4], v[173:174], v[3:4]
	v_fma_f64 v[85:86], v[173:174], v[1:2], -v[85:86]
	v_fma_f64 v[1:2], v[175:176], v[1:2], v[3:4]
	s_clause 0x3
	buffer_load_dword v3, v21, s[0:3], 0 offen offset:768
	buffer_load_dword v4, v21, s[0:3], 0 offen offset:772
	;; [unrolled: 1-line block ×4, first 2 shown]
	s_waitcnt vmcnt(2)
	v_add_f64 v[3:4], v[3:4], -v[85:86]
	s_waitcnt vmcnt(0)
	v_add_f64 v[1:2], v[173:174], -v[1:2]
	buffer_store_dword v4, v21, s[0:3], 0 offen offset:772
	buffer_store_dword v3, v21, s[0:3], 0 offen offset:768
	;; [unrolled: 1-line block ×4, first 2 shown]
	ds_read2_b64 v[173:176], v25 offset0:12 offset1:13
	s_clause 0x3
	buffer_load_dword v1, off, s[0:3], 0 offset:672
	buffer_load_dword v2, off, s[0:3], 0 offset:676
	;; [unrolled: 1-line block ×4, first 2 shown]
	s_waitcnt vmcnt(0) lgkmcnt(0)
	v_mul_f64 v[85:86], v[175:176], v[3:4]
	v_fma_f64 v[85:86], v[173:174], v[1:2], -v[85:86]
	v_mul_f64 v[173:174], v[173:174], v[3:4]
	v_fma_f64 v[173:174], v[175:176], v[1:2], v[173:174]
	s_clause 0x3
	buffer_load_dword v175, v21, s[0:3], 0 offen offset:784
	buffer_load_dword v176, v21, s[0:3], 0 offen offset:788
	;; [unrolled: 1-line block ×4, first 2 shown]
	s_waitcnt vmcnt(2)
	v_add_f64 v[85:86], v[175:176], -v[85:86]
	s_waitcnt vmcnt(0)
	v_add_f64 v[173:174], v[177:178], -v[173:174]
	buffer_store_dword v86, v21, s[0:3], 0 offen offset:788
	buffer_store_dword v85, v21, s[0:3], 0 offen offset:784
	buffer_store_dword v174, v21, s[0:3], 0 offen offset:796
	buffer_store_dword v173, v21, s[0:3], 0 offen offset:792
	s_cbranch_scc1 .LBB127_518
.LBB127_519:
	s_or_b32 exec_lo, exec_lo, s5
	s_mov_b32 s6, exec_lo
	s_waitcnt lgkmcnt(0)
	s_waitcnt_vscnt null, 0x0
	s_barrier
	buffer_gl0_inv
	v_cmpx_eq_u32_e32 43, v0
	s_cbranch_execz .LBB127_526
; %bb.520:
	v_mov_b32_e32 v4, s36
	s_clause 0x3
	buffer_load_dword v1, v4, s[0:3], 0 offen
	buffer_load_dword v2, v4, s[0:3], 0 offen offset:4
	buffer_load_dword v3, v4, s[0:3], 0 offen offset:8
	;; [unrolled: 1-line block ×3, first 2 shown]
	s_waitcnt vmcnt(0)
	ds_write2_b64 v23, v[1:2], v[3:4] offset1:1
	v_mov_b32_e32 v4, s35
	s_clause 0x3
	buffer_load_dword v1, v4, s[0:3], 0 offen
	buffer_load_dword v2, v4, s[0:3], 0 offen offset:4
	buffer_load_dword v3, v4, s[0:3], 0 offen offset:8
	buffer_load_dword v4, v4, s[0:3], 0 offen offset:12
	s_waitcnt vmcnt(0)
	ds_write2_b64 v24, v[1:2], v[3:4] offset0:88 offset1:89
	v_mov_b32_e32 v4, s34
	s_clause 0x3
	buffer_load_dword v1, v4, s[0:3], 0 offen
	buffer_load_dword v2, v4, s[0:3], 0 offen offset:4
	buffer_load_dword v3, v4, s[0:3], 0 offen offset:8
	buffer_load_dword v4, v4, s[0:3], 0 offen offset:12
	s_waitcnt vmcnt(0)
	ds_write2_b64 v24, v[1:2], v[3:4] offset0:90 offset1:91
	;; [unrolled: 8-line block ×20, first 2 shown]
	ds_read2_b64 v[1:4], v23 offset1:1
	s_waitcnt lgkmcnt(0)
	v_cmp_neq_f64_e32 vcc_lo, 0, v[1:2]
	v_cmp_neq_f64_e64 s5, 0, v[3:4]
	s_or_b32 s5, vcc_lo, s5
	s_and_b32 exec_lo, exec_lo, s5
	s_cbranch_execz .LBB127_526
; %bb.521:
	v_cmp_ngt_f64_e64 s5, |v[1:2]|, |v[3:4]|
                                        ; implicit-def: $vgpr85_vgpr86
	s_and_saveexec_b32 s7, s5
	s_xor_b32 s5, exec_lo, s7
                                        ; implicit-def: $vgpr21_vgpr22
	s_cbranch_execz .LBB127_523
; %bb.522:
	v_div_scale_f64 v[21:22], null, v[3:4], v[3:4], v[1:2]
	v_div_scale_f64 v[175:176], vcc_lo, v[1:2], v[3:4], v[1:2]
	v_rcp_f64_e32 v[85:86], v[21:22]
	v_fma_f64 v[173:174], -v[21:22], v[85:86], 1.0
	v_fma_f64 v[85:86], v[85:86], v[173:174], v[85:86]
	v_fma_f64 v[173:174], -v[21:22], v[85:86], 1.0
	v_fma_f64 v[85:86], v[85:86], v[173:174], v[85:86]
	v_mul_f64 v[173:174], v[175:176], v[85:86]
	v_fma_f64 v[21:22], -v[21:22], v[173:174], v[175:176]
	v_div_fmas_f64 v[21:22], v[21:22], v[85:86], v[173:174]
	v_div_fixup_f64 v[85:86], v[21:22], v[3:4], v[1:2]
	v_fma_f64 v[1:2], v[1:2], v[85:86], v[3:4]
	v_div_scale_f64 v[3:4], null, v[1:2], v[1:2], 1.0
	v_rcp_f64_e32 v[21:22], v[3:4]
	v_fma_f64 v[173:174], -v[3:4], v[21:22], 1.0
	v_fma_f64 v[21:22], v[21:22], v[173:174], v[21:22]
	v_fma_f64 v[173:174], -v[3:4], v[21:22], 1.0
	v_fma_f64 v[21:22], v[21:22], v[173:174], v[21:22]
	v_div_scale_f64 v[173:174], vcc_lo, 1.0, v[1:2], 1.0
	v_mul_f64 v[175:176], v[173:174], v[21:22]
	v_fma_f64 v[3:4], -v[3:4], v[175:176], v[173:174]
	v_div_fmas_f64 v[3:4], v[3:4], v[21:22], v[175:176]
	v_div_fixup_f64 v[21:22], v[3:4], v[1:2], 1.0
                                        ; implicit-def: $vgpr1_vgpr2
	v_mul_f64 v[85:86], v[85:86], v[21:22]
	v_xor_b32_e32 v22, 0x80000000, v22
.LBB127_523:
	s_andn2_saveexec_b32 s5, s5
	s_cbranch_execz .LBB127_525
; %bb.524:
	v_div_scale_f64 v[21:22], null, v[1:2], v[1:2], v[3:4]
	v_div_scale_f64 v[175:176], vcc_lo, v[3:4], v[1:2], v[3:4]
	v_rcp_f64_e32 v[85:86], v[21:22]
	v_fma_f64 v[173:174], -v[21:22], v[85:86], 1.0
	v_fma_f64 v[85:86], v[85:86], v[173:174], v[85:86]
	v_fma_f64 v[173:174], -v[21:22], v[85:86], 1.0
	v_fma_f64 v[85:86], v[85:86], v[173:174], v[85:86]
	v_mul_f64 v[173:174], v[175:176], v[85:86]
	v_fma_f64 v[21:22], -v[21:22], v[173:174], v[175:176]
	v_div_fmas_f64 v[21:22], v[21:22], v[85:86], v[173:174]
	v_div_fixup_f64 v[21:22], v[21:22], v[1:2], v[3:4]
	v_fma_f64 v[1:2], v[3:4], v[21:22], v[1:2]
	v_div_scale_f64 v[3:4], null, v[1:2], v[1:2], 1.0
	v_rcp_f64_e32 v[85:86], v[3:4]
	v_fma_f64 v[173:174], -v[3:4], v[85:86], 1.0
	v_fma_f64 v[85:86], v[85:86], v[173:174], v[85:86]
	v_fma_f64 v[173:174], -v[3:4], v[85:86], 1.0
	v_fma_f64 v[85:86], v[85:86], v[173:174], v[85:86]
	v_div_scale_f64 v[173:174], vcc_lo, 1.0, v[1:2], 1.0
	v_mul_f64 v[175:176], v[173:174], v[85:86]
	v_fma_f64 v[3:4], -v[3:4], v[175:176], v[173:174]
	v_div_fmas_f64 v[3:4], v[3:4], v[85:86], v[175:176]
	v_div_fixup_f64 v[85:86], v[3:4], v[1:2], 1.0
	v_mul_f64 v[21:22], v[21:22], -v[85:86]
.LBB127_525:
	s_or_b32 exec_lo, exec_lo, s5
	ds_write2_b64 v23, v[85:86], v[21:22] offset1:1
.LBB127_526:
	s_or_b32 exec_lo, exec_lo, s6
	s_waitcnt lgkmcnt(0)
	s_barrier
	buffer_gl0_inv
	ds_read2_b64 v[173:176], v23 offset1:1
	s_mov_b32 s5, exec_lo
	v_cmpx_lt_u32_e32 43, v0
	s_cbranch_execz .LBB127_529
; %bb.527:
	s_clause 0x3
	buffer_load_dword v1, off, s[0:3], 0 offset:696
	buffer_load_dword v2, off, s[0:3], 0 offset:700
	;; [unrolled: 1-line block ×4, first 2 shown]
	s_mov_b32 s6, 0
	s_waitcnt vmcnt(2) lgkmcnt(0)
	v_mul_f64 v[21:22], v[175:176], v[1:2]
	v_mul_f64 v[85:86], v[173:174], v[1:2]
	s_waitcnt vmcnt(0)
	v_fma_f64 v[1:2], v[173:174], v[3:4], -v[21:22]
	v_fma_f64 v[3:4], v[175:176], v[3:4], v[85:86]
	buffer_store_dword v1, off, s[0:3], 0 offset:688
	buffer_store_dword v2, off, s[0:3], 0 offset:692
	;; [unrolled: 1-line block ×4, first 2 shown]
.LBB127_528:                            ; =>This Inner Loop Header: Depth=1
	v_add3_u32 v21, v87, 0, 0x2c0
	v_mov_b32_e32 v26, s6
	v_add_nc_u32_e32 v25, s6, v21
	s_addk_i32 s6, 0x50
	s_cmpk_lg_i32 s6, 0x140
	ds_read2_b64 v[177:180], v25 offset1:1
	s_waitcnt lgkmcnt(0)
	v_mul_f64 v[21:22], v[179:180], v[3:4]
	v_mul_f64 v[85:86], v[177:178], v[3:4]
	v_fma_f64 v[21:22], v[177:178], v[1:2], -v[21:22]
	v_fma_f64 v[85:86], v[179:180], v[1:2], v[85:86]
	s_clause 0xf
	buffer_load_dword v177, v26, s[0:3], 0 offen offset:704
	buffer_load_dword v178, v26, s[0:3], 0 offen offset:708
	;; [unrolled: 1-line block ×16, first 2 shown]
	s_waitcnt vmcnt(14)
	v_add_f64 v[21:22], v[177:178], -v[21:22]
	s_waitcnt vmcnt(12)
	v_add_f64 v[85:86], v[179:180], -v[85:86]
	buffer_store_dword v21, v26, s[0:3], 0 offen offset:704
	buffer_store_dword v22, v26, s[0:3], 0 offen offset:708
	buffer_store_dword v85, v26, s[0:3], 0 offen offset:712
	buffer_store_dword v86, v26, s[0:3], 0 offen offset:716
	ds_read2_b64 v[177:180], v25 offset0:2 offset1:3
	s_waitcnt lgkmcnt(0)
	v_mul_f64 v[21:22], v[179:180], v[3:4]
	v_mul_f64 v[85:86], v[177:178], v[3:4]
	v_fma_f64 v[21:22], v[177:178], v[1:2], -v[21:22]
	v_fma_f64 v[85:86], v[179:180], v[1:2], v[85:86]
	s_waitcnt vmcnt(10)
	v_add_f64 v[21:22], v[181:182], -v[21:22]
	s_waitcnt vmcnt(8)
	v_add_f64 v[85:86], v[183:184], -v[85:86]
	buffer_store_dword v21, v26, s[0:3], 0 offen offset:720
	buffer_store_dword v22, v26, s[0:3], 0 offen offset:724
	buffer_store_dword v85, v26, s[0:3], 0 offen offset:728
	buffer_store_dword v86, v26, s[0:3], 0 offen offset:732
	ds_read2_b64 v[177:180], v25 offset0:4 offset1:5
	s_waitcnt lgkmcnt(0)
	v_mul_f64 v[21:22], v[179:180], v[3:4]
	v_mul_f64 v[85:86], v[177:178], v[3:4]
	v_fma_f64 v[21:22], v[177:178], v[1:2], -v[21:22]
	v_fma_f64 v[85:86], v[179:180], v[1:2], v[85:86]
	;; [unrolled: 14-line block ×4, first 2 shown]
	s_clause 0x3
	buffer_load_dword v177, v26, s[0:3], 0 offen offset:768
	buffer_load_dword v178, v26, s[0:3], 0 offen offset:772
	;; [unrolled: 1-line block ×4, first 2 shown]
	s_waitcnt vmcnt(2)
	v_add_f64 v[21:22], v[177:178], -v[21:22]
	s_waitcnt vmcnt(0)
	v_add_f64 v[85:86], v[179:180], -v[85:86]
	buffer_store_dword v22, v26, s[0:3], 0 offen offset:772
	buffer_store_dword v21, v26, s[0:3], 0 offen offset:768
	;; [unrolled: 1-line block ×4, first 2 shown]
	s_cbranch_scc1 .LBB127_528
.LBB127_529:
	s_or_b32 exec_lo, exec_lo, s5
	s_mov_b32 s6, exec_lo
	s_waitcnt lgkmcnt(0)
	s_waitcnt_vscnt null, 0x0
	s_barrier
	buffer_gl0_inv
	v_cmpx_eq_u32_e32 44, v0
	s_cbranch_execz .LBB127_536
; %bb.530:
	v_mov_b32_e32 v4, s35
	s_clause 0x3
	buffer_load_dword v1, v4, s[0:3], 0 offen
	buffer_load_dword v2, v4, s[0:3], 0 offen offset:4
	buffer_load_dword v3, v4, s[0:3], 0 offen offset:8
	;; [unrolled: 1-line block ×3, first 2 shown]
	s_waitcnt vmcnt(0)
	ds_write2_b64 v23, v[1:2], v[3:4] offset1:1
	v_mov_b32_e32 v4, s34
	s_clause 0x3
	buffer_load_dword v1, v4, s[0:3], 0 offen
	buffer_load_dword v2, v4, s[0:3], 0 offen offset:4
	buffer_load_dword v3, v4, s[0:3], 0 offen offset:8
	buffer_load_dword v4, v4, s[0:3], 0 offen offset:12
	s_waitcnt vmcnt(0)
	ds_write2_b64 v24, v[1:2], v[3:4] offset0:90 offset1:91
	v_mov_b32_e32 v4, s33
	s_clause 0x3
	buffer_load_dword v1, v4, s[0:3], 0 offen
	buffer_load_dword v2, v4, s[0:3], 0 offen offset:4
	buffer_load_dword v3, v4, s[0:3], 0 offen offset:8
	buffer_load_dword v4, v4, s[0:3], 0 offen offset:12
	s_waitcnt vmcnt(0)
	ds_write2_b64 v24, v[1:2], v[3:4] offset0:92 offset1:93
	;; [unrolled: 8-line block ×19, first 2 shown]
	ds_read2_b64 v[1:4], v23 offset1:1
	s_waitcnt lgkmcnt(0)
	v_cmp_neq_f64_e32 vcc_lo, 0, v[1:2]
	v_cmp_neq_f64_e64 s5, 0, v[3:4]
	s_or_b32 s5, vcc_lo, s5
	s_and_b32 exec_lo, exec_lo, s5
	s_cbranch_execz .LBB127_536
; %bb.531:
	v_cmp_ngt_f64_e64 s5, |v[1:2]|, |v[3:4]|
                                        ; implicit-def: $vgpr85_vgpr86
	s_and_saveexec_b32 s7, s5
	s_xor_b32 s5, exec_lo, s7
                                        ; implicit-def: $vgpr21_vgpr22
	s_cbranch_execz .LBB127_533
; %bb.532:
	v_div_scale_f64 v[21:22], null, v[3:4], v[3:4], v[1:2]
	v_div_scale_f64 v[179:180], vcc_lo, v[1:2], v[3:4], v[1:2]
	v_rcp_f64_e32 v[85:86], v[21:22]
	v_fma_f64 v[177:178], -v[21:22], v[85:86], 1.0
	v_fma_f64 v[85:86], v[85:86], v[177:178], v[85:86]
	v_fma_f64 v[177:178], -v[21:22], v[85:86], 1.0
	v_fma_f64 v[85:86], v[85:86], v[177:178], v[85:86]
	v_mul_f64 v[177:178], v[179:180], v[85:86]
	v_fma_f64 v[21:22], -v[21:22], v[177:178], v[179:180]
	v_div_fmas_f64 v[21:22], v[21:22], v[85:86], v[177:178]
	v_div_fixup_f64 v[85:86], v[21:22], v[3:4], v[1:2]
	v_fma_f64 v[1:2], v[1:2], v[85:86], v[3:4]
	v_div_scale_f64 v[3:4], null, v[1:2], v[1:2], 1.0
	v_rcp_f64_e32 v[21:22], v[3:4]
	v_fma_f64 v[177:178], -v[3:4], v[21:22], 1.0
	v_fma_f64 v[21:22], v[21:22], v[177:178], v[21:22]
	v_fma_f64 v[177:178], -v[3:4], v[21:22], 1.0
	v_fma_f64 v[21:22], v[21:22], v[177:178], v[21:22]
	v_div_scale_f64 v[177:178], vcc_lo, 1.0, v[1:2], 1.0
	v_mul_f64 v[179:180], v[177:178], v[21:22]
	v_fma_f64 v[3:4], -v[3:4], v[179:180], v[177:178]
	v_div_fmas_f64 v[3:4], v[3:4], v[21:22], v[179:180]
	v_div_fixup_f64 v[21:22], v[3:4], v[1:2], 1.0
                                        ; implicit-def: $vgpr1_vgpr2
	v_mul_f64 v[85:86], v[85:86], v[21:22]
	v_xor_b32_e32 v22, 0x80000000, v22
.LBB127_533:
	s_andn2_saveexec_b32 s5, s5
	s_cbranch_execz .LBB127_535
; %bb.534:
	v_div_scale_f64 v[21:22], null, v[1:2], v[1:2], v[3:4]
	v_div_scale_f64 v[179:180], vcc_lo, v[3:4], v[1:2], v[3:4]
	v_rcp_f64_e32 v[85:86], v[21:22]
	v_fma_f64 v[177:178], -v[21:22], v[85:86], 1.0
	v_fma_f64 v[85:86], v[85:86], v[177:178], v[85:86]
	v_fma_f64 v[177:178], -v[21:22], v[85:86], 1.0
	v_fma_f64 v[85:86], v[85:86], v[177:178], v[85:86]
	v_mul_f64 v[177:178], v[179:180], v[85:86]
	v_fma_f64 v[21:22], -v[21:22], v[177:178], v[179:180]
	v_div_fmas_f64 v[21:22], v[21:22], v[85:86], v[177:178]
	v_div_fixup_f64 v[21:22], v[21:22], v[1:2], v[3:4]
	v_fma_f64 v[1:2], v[3:4], v[21:22], v[1:2]
	v_div_scale_f64 v[3:4], null, v[1:2], v[1:2], 1.0
	v_rcp_f64_e32 v[85:86], v[3:4]
	v_fma_f64 v[177:178], -v[3:4], v[85:86], 1.0
	v_fma_f64 v[85:86], v[85:86], v[177:178], v[85:86]
	v_fma_f64 v[177:178], -v[3:4], v[85:86], 1.0
	v_fma_f64 v[85:86], v[85:86], v[177:178], v[85:86]
	v_div_scale_f64 v[177:178], vcc_lo, 1.0, v[1:2], 1.0
	v_mul_f64 v[179:180], v[177:178], v[85:86]
	v_fma_f64 v[3:4], -v[3:4], v[179:180], v[177:178]
	v_div_fmas_f64 v[3:4], v[3:4], v[85:86], v[179:180]
	v_div_fixup_f64 v[85:86], v[3:4], v[1:2], 1.0
	v_mul_f64 v[21:22], v[21:22], -v[85:86]
.LBB127_535:
	s_or_b32 exec_lo, exec_lo, s5
	ds_write2_b64 v23, v[85:86], v[21:22] offset1:1
.LBB127_536:
	s_or_b32 exec_lo, exec_lo, s6
	s_waitcnt lgkmcnt(0)
	s_barrier
	buffer_gl0_inv
	ds_read2_b64 v[177:180], v23 offset1:1
	s_mov_b32 s5, exec_lo
	v_cmpx_lt_u32_e32 44, v0
	s_cbranch_execz .LBB127_541
; %bb.537:
	s_clause 0x3
	buffer_load_dword v1, off, s[0:3], 0 offset:712
	buffer_load_dword v2, off, s[0:3], 0 offset:716
	;; [unrolled: 1-line block ×4, first 2 shown]
	s_mov_b32 s6, 0
	s_waitcnt vmcnt(2) lgkmcnt(0)
	v_mul_f64 v[21:22], v[179:180], v[1:2]
	v_mul_f64 v[85:86], v[177:178], v[1:2]
	s_waitcnt vmcnt(0)
	v_fma_f64 v[1:2], v[177:178], v[3:4], -v[21:22]
	v_fma_f64 v[3:4], v[179:180], v[3:4], v[85:86]
	buffer_store_dword v1, off, s[0:3], 0 offset:704
	buffer_store_dword v2, off, s[0:3], 0 offset:708
	;; [unrolled: 1-line block ×4, first 2 shown]
	s_branch .LBB127_539
.LBB127_538:                            ;   in Loop: Header=BB127_539 Depth=1
	s_andn2_b32 vcc_lo, exec_lo, s8
	s_cbranch_vccz .LBB127_541
.LBB127_539:                            ; =>This Inner Loop Header: Depth=1
	v_add3_u32 v21, v87, 0, 0x2d0
	v_mov_b32_e32 v22, s6
	s_mov_b32 s7, s6
	s_mov_b32 s8, -1
	s_cmpk_eq_i32 s6, 0x100
	v_add_nc_u32_e32 v21, s6, v21
	ds_read2_b64 v[181:184], v21 offset1:1
	s_waitcnt lgkmcnt(0)
	v_mul_f64 v[85:86], v[183:184], v[3:4]
	v_fma_f64 v[85:86], v[181:182], v[1:2], -v[85:86]
	v_mul_f64 v[181:182], v[181:182], v[3:4]
	v_fma_f64 v[181:182], v[183:184], v[1:2], v[181:182]
	s_clause 0xb
	buffer_load_dword v183, v22, s[0:3], 0 offen offset:720
	buffer_load_dword v184, v22, s[0:3], 0 offen offset:724
	;; [unrolled: 1-line block ×12, first 2 shown]
	s_waitcnt vmcnt(10)
	v_add_f64 v[85:86], v[183:184], -v[85:86]
	s_waitcnt vmcnt(8)
	v_add_f64 v[181:182], v[185:186], -v[181:182]
	buffer_store_dword v85, v22, s[0:3], 0 offen offset:720
	buffer_store_dword v86, v22, s[0:3], 0 offen offset:724
	;; [unrolled: 1-line block ×4, first 2 shown]
	ds_read2_b64 v[181:184], v21 offset0:2 offset1:3
	s_waitcnt lgkmcnt(0)
	v_mul_f64 v[85:86], v[183:184], v[3:4]
	v_fma_f64 v[85:86], v[181:182], v[1:2], -v[85:86]
	v_mul_f64 v[181:182], v[181:182], v[3:4]
	s_waitcnt vmcnt(6)
	v_add_f64 v[85:86], v[187:188], -v[85:86]
	v_fma_f64 v[181:182], v[183:184], v[1:2], v[181:182]
	s_waitcnt vmcnt(4)
	v_add_f64 v[181:182], v[189:190], -v[181:182]
	buffer_store_dword v85, v22, s[0:3], 0 offen offset:736
	buffer_store_dword v86, v22, s[0:3], 0 offen offset:740
	;; [unrolled: 1-line block ×4, first 2 shown]
	ds_read2_b64 v[181:184], v21 offset0:4 offset1:5
	s_waitcnt lgkmcnt(0)
	v_mul_f64 v[85:86], v[183:184], v[3:4]
	v_fma_f64 v[85:86], v[181:182], v[1:2], -v[85:86]
	v_mul_f64 v[181:182], v[181:182], v[3:4]
	s_waitcnt vmcnt(2)
	v_add_f64 v[85:86], v[191:192], -v[85:86]
	v_fma_f64 v[181:182], v[183:184], v[1:2], v[181:182]
	s_waitcnt vmcnt(0)
	v_add_f64 v[181:182], v[193:194], -v[181:182]
	buffer_store_dword v85, v22, s[0:3], 0 offen offset:752
	buffer_store_dword v86, v22, s[0:3], 0 offen offset:756
	;; [unrolled: 1-line block ×4, first 2 shown]
	s_cbranch_scc1 .LBB127_538
; %bb.540:                              ;   in Loop: Header=BB127_539 Depth=1
	ds_read2_b64 v[181:184], v21 offset0:6 offset1:7
	v_mov_b32_e32 v25, s7
	s_add_i32 s6, s6, 64
	s_mov_b32 s8, 0
	s_waitcnt lgkmcnt(0)
	v_mul_f64 v[21:22], v[183:184], v[3:4]
	v_mul_f64 v[85:86], v[181:182], v[3:4]
	v_fma_f64 v[21:22], v[181:182], v[1:2], -v[21:22]
	v_fma_f64 v[85:86], v[183:184], v[1:2], v[85:86]
	s_clause 0x3
	buffer_load_dword v181, v25, s[0:3], 0 offen offset:768
	buffer_load_dword v182, v25, s[0:3], 0 offen offset:772
	;; [unrolled: 1-line block ×4, first 2 shown]
	s_waitcnt vmcnt(2)
	v_add_f64 v[21:22], v[181:182], -v[21:22]
	s_waitcnt vmcnt(0)
	v_add_f64 v[85:86], v[183:184], -v[85:86]
	buffer_store_dword v21, v25, s[0:3], 0 offen offset:768
	buffer_store_dword v22, v25, s[0:3], 0 offen offset:772
	;; [unrolled: 1-line block ×4, first 2 shown]
	s_branch .LBB127_538
.LBB127_541:
	s_or_b32 exec_lo, exec_lo, s5
	s_mov_b32 s6, exec_lo
	s_waitcnt lgkmcnt(0)
	s_waitcnt_vscnt null, 0x0
	s_barrier
	buffer_gl0_inv
	v_cmpx_eq_u32_e32 45, v0
	s_cbranch_execz .LBB127_548
; %bb.542:
	v_mov_b32_e32 v4, s34
	s_clause 0x3
	buffer_load_dword v1, v4, s[0:3], 0 offen
	buffer_load_dword v2, v4, s[0:3], 0 offen offset:4
	buffer_load_dword v3, v4, s[0:3], 0 offen offset:8
	;; [unrolled: 1-line block ×3, first 2 shown]
	s_waitcnt vmcnt(0)
	ds_write2_b64 v23, v[1:2], v[3:4] offset1:1
	v_mov_b32_e32 v4, s33
	s_clause 0x3
	buffer_load_dword v1, v4, s[0:3], 0 offen
	buffer_load_dword v2, v4, s[0:3], 0 offen offset:4
	buffer_load_dword v3, v4, s[0:3], 0 offen offset:8
	buffer_load_dword v4, v4, s[0:3], 0 offen offset:12
	s_waitcnt vmcnt(0)
	ds_write2_b64 v24, v[1:2], v[3:4] offset0:92 offset1:93
	v_mov_b32_e32 v4, s31
	s_clause 0x3
	buffer_load_dword v1, v4, s[0:3], 0 offen
	buffer_load_dword v2, v4, s[0:3], 0 offen offset:4
	buffer_load_dword v3, v4, s[0:3], 0 offen offset:8
	buffer_load_dword v4, v4, s[0:3], 0 offen offset:12
	s_waitcnt vmcnt(0)
	ds_write2_b64 v24, v[1:2], v[3:4] offset0:94 offset1:95
	;; [unrolled: 8-line block ×18, first 2 shown]
	ds_read2_b64 v[1:4], v23 offset1:1
	s_waitcnt lgkmcnt(0)
	v_cmp_neq_f64_e32 vcc_lo, 0, v[1:2]
	v_cmp_neq_f64_e64 s5, 0, v[3:4]
	s_or_b32 s5, vcc_lo, s5
	s_and_b32 exec_lo, exec_lo, s5
	s_cbranch_execz .LBB127_548
; %bb.543:
	v_cmp_ngt_f64_e64 s5, |v[1:2]|, |v[3:4]|
                                        ; implicit-def: $vgpr85_vgpr86
	s_and_saveexec_b32 s7, s5
	s_xor_b32 s5, exec_lo, s7
                                        ; implicit-def: $vgpr21_vgpr22
	s_cbranch_execz .LBB127_545
; %bb.544:
	v_div_scale_f64 v[21:22], null, v[3:4], v[3:4], v[1:2]
	v_div_scale_f64 v[183:184], vcc_lo, v[1:2], v[3:4], v[1:2]
	v_rcp_f64_e32 v[85:86], v[21:22]
	v_fma_f64 v[181:182], -v[21:22], v[85:86], 1.0
	v_fma_f64 v[85:86], v[85:86], v[181:182], v[85:86]
	v_fma_f64 v[181:182], -v[21:22], v[85:86], 1.0
	v_fma_f64 v[85:86], v[85:86], v[181:182], v[85:86]
	v_mul_f64 v[181:182], v[183:184], v[85:86]
	v_fma_f64 v[21:22], -v[21:22], v[181:182], v[183:184]
	v_div_fmas_f64 v[21:22], v[21:22], v[85:86], v[181:182]
	v_div_fixup_f64 v[85:86], v[21:22], v[3:4], v[1:2]
	v_fma_f64 v[1:2], v[1:2], v[85:86], v[3:4]
	v_div_scale_f64 v[3:4], null, v[1:2], v[1:2], 1.0
	v_rcp_f64_e32 v[21:22], v[3:4]
	v_fma_f64 v[181:182], -v[3:4], v[21:22], 1.0
	v_fma_f64 v[21:22], v[21:22], v[181:182], v[21:22]
	v_fma_f64 v[181:182], -v[3:4], v[21:22], 1.0
	v_fma_f64 v[21:22], v[21:22], v[181:182], v[21:22]
	v_div_scale_f64 v[181:182], vcc_lo, 1.0, v[1:2], 1.0
	v_mul_f64 v[183:184], v[181:182], v[21:22]
	v_fma_f64 v[3:4], -v[3:4], v[183:184], v[181:182]
	v_div_fmas_f64 v[3:4], v[3:4], v[21:22], v[183:184]
	v_div_fixup_f64 v[21:22], v[3:4], v[1:2], 1.0
                                        ; implicit-def: $vgpr1_vgpr2
	v_mul_f64 v[85:86], v[85:86], v[21:22]
	v_xor_b32_e32 v22, 0x80000000, v22
.LBB127_545:
	s_andn2_saveexec_b32 s5, s5
	s_cbranch_execz .LBB127_547
; %bb.546:
	v_div_scale_f64 v[21:22], null, v[1:2], v[1:2], v[3:4]
	v_div_scale_f64 v[183:184], vcc_lo, v[3:4], v[1:2], v[3:4]
	v_rcp_f64_e32 v[85:86], v[21:22]
	v_fma_f64 v[181:182], -v[21:22], v[85:86], 1.0
	v_fma_f64 v[85:86], v[85:86], v[181:182], v[85:86]
	v_fma_f64 v[181:182], -v[21:22], v[85:86], 1.0
	v_fma_f64 v[85:86], v[85:86], v[181:182], v[85:86]
	v_mul_f64 v[181:182], v[183:184], v[85:86]
	v_fma_f64 v[21:22], -v[21:22], v[181:182], v[183:184]
	v_div_fmas_f64 v[21:22], v[21:22], v[85:86], v[181:182]
	v_div_fixup_f64 v[21:22], v[21:22], v[1:2], v[3:4]
	v_fma_f64 v[1:2], v[3:4], v[21:22], v[1:2]
	v_div_scale_f64 v[3:4], null, v[1:2], v[1:2], 1.0
	v_rcp_f64_e32 v[85:86], v[3:4]
	v_fma_f64 v[181:182], -v[3:4], v[85:86], 1.0
	v_fma_f64 v[85:86], v[85:86], v[181:182], v[85:86]
	v_fma_f64 v[181:182], -v[3:4], v[85:86], 1.0
	v_fma_f64 v[85:86], v[85:86], v[181:182], v[85:86]
	v_div_scale_f64 v[181:182], vcc_lo, 1.0, v[1:2], 1.0
	v_mul_f64 v[183:184], v[181:182], v[85:86]
	v_fma_f64 v[3:4], -v[3:4], v[183:184], v[181:182]
	v_div_fmas_f64 v[3:4], v[3:4], v[85:86], v[183:184]
	v_div_fixup_f64 v[85:86], v[3:4], v[1:2], 1.0
	v_mul_f64 v[21:22], v[21:22], -v[85:86]
.LBB127_547:
	s_or_b32 exec_lo, exec_lo, s5
	ds_write2_b64 v23, v[85:86], v[21:22] offset1:1
.LBB127_548:
	s_or_b32 exec_lo, exec_lo, s6
	s_waitcnt lgkmcnt(0)
	s_barrier
	buffer_gl0_inv
	ds_read2_b64 v[181:184], v23 offset1:1
	s_mov_b32 s5, exec_lo
	v_cmpx_lt_u32_e32 45, v0
	s_cbranch_execz .LBB127_551
; %bb.549:
	s_clause 0x3
	buffer_load_dword v1, off, s[0:3], 0 offset:728
	buffer_load_dword v2, off, s[0:3], 0 offset:732
	;; [unrolled: 1-line block ×4, first 2 shown]
	s_mov_b32 s6, 0
	s_waitcnt vmcnt(2) lgkmcnt(0)
	v_mul_f64 v[21:22], v[183:184], v[1:2]
	v_mul_f64 v[85:86], v[181:182], v[1:2]
	s_waitcnt vmcnt(0)
	v_fma_f64 v[1:2], v[181:182], v[3:4], -v[21:22]
	v_fma_f64 v[3:4], v[183:184], v[3:4], v[85:86]
	v_add3_u32 v21, v87, 0, 0x2e0
	buffer_store_dword v1, off, s[0:3], 0 offset:720
	buffer_store_dword v2, off, s[0:3], 0 offset:724
	;; [unrolled: 1-line block ×4, first 2 shown]
.LBB127_550:                            ; =>This Inner Loop Header: Depth=1
	v_add_nc_u32_e32 v22, s6, v21
	v_mov_b32_e32 v25, s6
	s_addk_i32 s6, 0x60
	s_cmpk_lg_i32 s6, 0x120
	ds_read2_b64 v[185:188], v22 offset1:1
	s_waitcnt lgkmcnt(0)
	v_mul_f64 v[85:86], v[187:188], v[3:4]
	v_fma_f64 v[85:86], v[185:186], v[1:2], -v[85:86]
	v_mul_f64 v[185:186], v[185:186], v[3:4]
	v_fma_f64 v[185:186], v[187:188], v[1:2], v[185:186]
	s_clause 0xf
	buffer_load_dword v187, v25, s[0:3], 0 offen offset:736
	buffer_load_dword v188, v25, s[0:3], 0 offen offset:740
	;; [unrolled: 1-line block ×16, first 2 shown]
	s_waitcnt vmcnt(14)
	v_add_f64 v[85:86], v[187:188], -v[85:86]
	s_waitcnt vmcnt(12)
	v_add_f64 v[185:186], v[189:190], -v[185:186]
	buffer_store_dword v85, v25, s[0:3], 0 offen offset:736
	buffer_store_dword v86, v25, s[0:3], 0 offen offset:740
	buffer_store_dword v185, v25, s[0:3], 0 offen offset:744
	buffer_store_dword v186, v25, s[0:3], 0 offen offset:748
	ds_read2_b64 v[185:188], v22 offset0:2 offset1:3
	s_waitcnt lgkmcnt(0)
	v_mul_f64 v[85:86], v[187:188], v[3:4]
	v_fma_f64 v[85:86], v[185:186], v[1:2], -v[85:86]
	v_mul_f64 v[185:186], v[185:186], v[3:4]
	s_waitcnt vmcnt(10)
	v_add_f64 v[85:86], v[191:192], -v[85:86]
	v_fma_f64 v[185:186], v[187:188], v[1:2], v[185:186]
	s_waitcnt vmcnt(8)
	v_add_f64 v[185:186], v[193:194], -v[185:186]
	buffer_store_dword v85, v25, s[0:3], 0 offen offset:752
	buffer_store_dword v86, v25, s[0:3], 0 offen offset:756
	buffer_store_dword v185, v25, s[0:3], 0 offen offset:760
	buffer_store_dword v186, v25, s[0:3], 0 offen offset:764
	ds_read2_b64 v[185:188], v22 offset0:4 offset1:5
	s_waitcnt lgkmcnt(0)
	v_mul_f64 v[85:86], v[187:188], v[3:4]
	v_fma_f64 v[85:86], v[185:186], v[1:2], -v[85:86]
	v_mul_f64 v[185:186], v[185:186], v[3:4]
	s_waitcnt vmcnt(6)
	v_add_f64 v[85:86], v[195:196], -v[85:86]
	v_fma_f64 v[185:186], v[187:188], v[1:2], v[185:186]
	;; [unrolled: 14-line block ×3, first 2 shown]
	s_waitcnt vmcnt(0)
	v_add_f64 v[185:186], v[201:202], -v[185:186]
	buffer_store_dword v86, v25, s[0:3], 0 offen offset:788
	buffer_store_dword v85, v25, s[0:3], 0 offen offset:784
	;; [unrolled: 1-line block ×4, first 2 shown]
	ds_read2_b64 v[185:188], v22 offset0:8 offset1:9
	s_waitcnt lgkmcnt(0)
	v_mul_f64 v[85:86], v[187:188], v[3:4]
	v_fma_f64 v[85:86], v[185:186], v[1:2], -v[85:86]
	v_mul_f64 v[185:186], v[185:186], v[3:4]
	v_fma_f64 v[185:186], v[187:188], v[1:2], v[185:186]
	s_clause 0x3
	buffer_load_dword v187, v25, s[0:3], 0 offen offset:800
	buffer_load_dword v188, v25, s[0:3], 0 offen offset:804
	;; [unrolled: 1-line block ×4, first 2 shown]
	s_waitcnt vmcnt(2)
	v_add_f64 v[85:86], v[187:188], -v[85:86]
	s_waitcnt vmcnt(0)
	v_add_f64 v[185:186], v[189:190], -v[185:186]
	buffer_store_dword v86, v25, s[0:3], 0 offen offset:804
	buffer_store_dword v85, v25, s[0:3], 0 offen offset:800
	;; [unrolled: 1-line block ×4, first 2 shown]
	ds_read2_b64 v[185:188], v22 offset0:10 offset1:11
	s_waitcnt lgkmcnt(0)
	v_mul_f64 v[85:86], v[187:188], v[3:4]
	v_fma_f64 v[85:86], v[185:186], v[1:2], -v[85:86]
	v_mul_f64 v[185:186], v[185:186], v[3:4]
	v_fma_f64 v[185:186], v[187:188], v[1:2], v[185:186]
	s_clause 0x3
	buffer_load_dword v187, v25, s[0:3], 0 offen offset:816
	buffer_load_dword v188, v25, s[0:3], 0 offen offset:820
	;; [unrolled: 1-line block ×4, first 2 shown]
	s_waitcnt vmcnt(2)
	v_add_f64 v[85:86], v[187:188], -v[85:86]
	s_waitcnt vmcnt(0)
	v_add_f64 v[185:186], v[189:190], -v[185:186]
	buffer_store_dword v86, v25, s[0:3], 0 offen offset:820
	buffer_store_dword v85, v25, s[0:3], 0 offen offset:816
	;; [unrolled: 1-line block ×4, first 2 shown]
	s_cbranch_scc1 .LBB127_550
.LBB127_551:
	s_or_b32 exec_lo, exec_lo, s5
	s_mov_b32 s6, exec_lo
	s_waitcnt lgkmcnt(0)
	s_waitcnt_vscnt null, 0x0
	s_barrier
	buffer_gl0_inv
	v_cmpx_eq_u32_e32 46, v0
	s_cbranch_execz .LBB127_558
; %bb.552:
	v_mov_b32_e32 v4, s33
	s_clause 0x3
	buffer_load_dword v1, v4, s[0:3], 0 offen
	buffer_load_dword v2, v4, s[0:3], 0 offen offset:4
	buffer_load_dword v3, v4, s[0:3], 0 offen offset:8
	;; [unrolled: 1-line block ×3, first 2 shown]
	s_waitcnt vmcnt(0)
	ds_write2_b64 v23, v[1:2], v[3:4] offset1:1
	v_mov_b32_e32 v4, s31
	s_clause 0x3
	buffer_load_dword v1, v4, s[0:3], 0 offen
	buffer_load_dword v2, v4, s[0:3], 0 offen offset:4
	buffer_load_dword v3, v4, s[0:3], 0 offen offset:8
	buffer_load_dword v4, v4, s[0:3], 0 offen offset:12
	s_waitcnt vmcnt(0)
	ds_write2_b64 v24, v[1:2], v[3:4] offset0:94 offset1:95
	v_mov_b32_e32 v4, s30
	s_clause 0x3
	buffer_load_dword v1, v4, s[0:3], 0 offen
	buffer_load_dword v2, v4, s[0:3], 0 offen offset:4
	buffer_load_dword v3, v4, s[0:3], 0 offen offset:8
	buffer_load_dword v4, v4, s[0:3], 0 offen offset:12
	s_waitcnt vmcnt(0)
	ds_write2_b64 v24, v[1:2], v[3:4] offset0:96 offset1:97
	;; [unrolled: 8-line block ×17, first 2 shown]
	ds_read2_b64 v[1:4], v23 offset1:1
	s_waitcnt lgkmcnt(0)
	v_cmp_neq_f64_e32 vcc_lo, 0, v[1:2]
	v_cmp_neq_f64_e64 s5, 0, v[3:4]
	s_or_b32 s5, vcc_lo, s5
	s_and_b32 exec_lo, exec_lo, s5
	s_cbranch_execz .LBB127_558
; %bb.553:
	v_cmp_ngt_f64_e64 s5, |v[1:2]|, |v[3:4]|
                                        ; implicit-def: $vgpr85_vgpr86
	s_and_saveexec_b32 s7, s5
	s_xor_b32 s5, exec_lo, s7
                                        ; implicit-def: $vgpr21_vgpr22
	s_cbranch_execz .LBB127_555
; %bb.554:
	v_div_scale_f64 v[21:22], null, v[3:4], v[3:4], v[1:2]
	v_div_scale_f64 v[187:188], vcc_lo, v[1:2], v[3:4], v[1:2]
	v_rcp_f64_e32 v[85:86], v[21:22]
	v_fma_f64 v[185:186], -v[21:22], v[85:86], 1.0
	v_fma_f64 v[85:86], v[85:86], v[185:186], v[85:86]
	v_fma_f64 v[185:186], -v[21:22], v[85:86], 1.0
	v_fma_f64 v[85:86], v[85:86], v[185:186], v[85:86]
	v_mul_f64 v[185:186], v[187:188], v[85:86]
	v_fma_f64 v[21:22], -v[21:22], v[185:186], v[187:188]
	v_div_fmas_f64 v[21:22], v[21:22], v[85:86], v[185:186]
	v_div_fixup_f64 v[85:86], v[21:22], v[3:4], v[1:2]
	v_fma_f64 v[1:2], v[1:2], v[85:86], v[3:4]
	v_div_scale_f64 v[3:4], null, v[1:2], v[1:2], 1.0
	v_rcp_f64_e32 v[21:22], v[3:4]
	v_fma_f64 v[185:186], -v[3:4], v[21:22], 1.0
	v_fma_f64 v[21:22], v[21:22], v[185:186], v[21:22]
	v_fma_f64 v[185:186], -v[3:4], v[21:22], 1.0
	v_fma_f64 v[21:22], v[21:22], v[185:186], v[21:22]
	v_div_scale_f64 v[185:186], vcc_lo, 1.0, v[1:2], 1.0
	v_mul_f64 v[187:188], v[185:186], v[21:22]
	v_fma_f64 v[3:4], -v[3:4], v[187:188], v[185:186]
	v_div_fmas_f64 v[3:4], v[3:4], v[21:22], v[187:188]
	v_div_fixup_f64 v[21:22], v[3:4], v[1:2], 1.0
                                        ; implicit-def: $vgpr1_vgpr2
	v_mul_f64 v[85:86], v[85:86], v[21:22]
	v_xor_b32_e32 v22, 0x80000000, v22
.LBB127_555:
	s_andn2_saveexec_b32 s5, s5
	s_cbranch_execz .LBB127_557
; %bb.556:
	v_div_scale_f64 v[21:22], null, v[1:2], v[1:2], v[3:4]
	v_div_scale_f64 v[187:188], vcc_lo, v[3:4], v[1:2], v[3:4]
	v_rcp_f64_e32 v[85:86], v[21:22]
	v_fma_f64 v[185:186], -v[21:22], v[85:86], 1.0
	v_fma_f64 v[85:86], v[85:86], v[185:186], v[85:86]
	v_fma_f64 v[185:186], -v[21:22], v[85:86], 1.0
	v_fma_f64 v[85:86], v[85:86], v[185:186], v[85:86]
	v_mul_f64 v[185:186], v[187:188], v[85:86]
	v_fma_f64 v[21:22], -v[21:22], v[185:186], v[187:188]
	v_div_fmas_f64 v[21:22], v[21:22], v[85:86], v[185:186]
	v_div_fixup_f64 v[21:22], v[21:22], v[1:2], v[3:4]
	v_fma_f64 v[1:2], v[3:4], v[21:22], v[1:2]
	v_div_scale_f64 v[3:4], null, v[1:2], v[1:2], 1.0
	v_rcp_f64_e32 v[85:86], v[3:4]
	v_fma_f64 v[185:186], -v[3:4], v[85:86], 1.0
	v_fma_f64 v[85:86], v[85:86], v[185:186], v[85:86]
	v_fma_f64 v[185:186], -v[3:4], v[85:86], 1.0
	v_fma_f64 v[85:86], v[85:86], v[185:186], v[85:86]
	v_div_scale_f64 v[185:186], vcc_lo, 1.0, v[1:2], 1.0
	v_mul_f64 v[187:188], v[185:186], v[85:86]
	v_fma_f64 v[3:4], -v[3:4], v[187:188], v[185:186]
	v_div_fmas_f64 v[3:4], v[3:4], v[85:86], v[187:188]
	v_div_fixup_f64 v[85:86], v[3:4], v[1:2], 1.0
	v_mul_f64 v[21:22], v[21:22], -v[85:86]
.LBB127_557:
	s_or_b32 exec_lo, exec_lo, s5
	ds_write2_b64 v23, v[85:86], v[21:22] offset1:1
.LBB127_558:
	s_or_b32 exec_lo, exec_lo, s6
	s_waitcnt lgkmcnt(0)
	s_barrier
	buffer_gl0_inv
	ds_read2_b64 v[185:188], v23 offset1:1
	s_mov_b32 s5, exec_lo
	v_cmpx_lt_u32_e32 46, v0
	s_cbranch_execz .LBB127_560
; %bb.559:
	s_clause 0xf
	buffer_load_dword v1, off, s[0:3], 0 offset:736
	buffer_load_dword v2, off, s[0:3], 0 offset:740
	;; [unrolled: 1-line block ×16, first 2 shown]
	s_waitcnt vmcnt(12) lgkmcnt(0)
	v_mul_f64 v[197:198], v[187:188], v[3:4]
	v_mul_f64 v[3:4], v[185:186], v[3:4]
	v_fma_f64 v[197:198], v[185:186], v[1:2], -v[197:198]
	v_fma_f64 v[199:200], v[187:188], v[1:2], v[3:4]
	buffer_store_dword v197, off, s[0:3], 0 offset:736
	buffer_store_dword v198, off, s[0:3], 0 offset:740
	buffer_store_dword v199, off, s[0:3], 0 offset:744
	buffer_store_dword v200, off, s[0:3], 0 offset:748
	ds_read2_b64 v[1:4], v24 offset0:94 offset1:95
	s_waitcnt lgkmcnt(0)
	v_mul_f64 v[201:202], v[3:4], v[199:200]
	v_fma_f64 v[201:202], v[1:2], v[197:198], -v[201:202]
	v_mul_f64 v[1:2], v[1:2], v[199:200]
	v_fma_f64 v[1:2], v[3:4], v[197:198], v[1:2]
	s_waitcnt vmcnt(10)
	v_add_f64 v[3:4], v[21:22], -v[201:202]
	s_waitcnt vmcnt(8)
	v_add_f64 v[1:2], v[85:86], -v[1:2]
	buffer_store_dword v3, off, s[0:3], 0 offset:752
	buffer_store_dword v4, off, s[0:3], 0 offset:756
	buffer_store_dword v1, off, s[0:3], 0 offset:760
	buffer_store_dword v2, off, s[0:3], 0 offset:764
	ds_read2_b64 v[1:4], v24 offset0:96 offset1:97
	s_waitcnt lgkmcnt(0)
	v_mul_f64 v[21:22], v[3:4], v[199:200]
	v_fma_f64 v[21:22], v[1:2], v[197:198], -v[21:22]
	v_mul_f64 v[1:2], v[1:2], v[199:200]
	v_fma_f64 v[1:2], v[3:4], v[197:198], v[1:2]
	s_waitcnt vmcnt(6)
	v_add_f64 v[3:4], v[189:190], -v[21:22]
	s_waitcnt vmcnt(4)
	v_add_f64 v[1:2], v[191:192], -v[1:2]
	;; [unrolled: 14-line block ×3, first 2 shown]
	buffer_store_dword v4, off, s[0:3], 0 offset:788
	buffer_store_dword v3, off, s[0:3], 0 offset:784
	buffer_store_dword v1, off, s[0:3], 0 offset:792
	buffer_store_dword v2, off, s[0:3], 0 offset:796
	ds_read2_b64 v[1:4], v24 offset0:100 offset1:101
	s_waitcnt lgkmcnt(0)
	v_mul_f64 v[21:22], v[3:4], v[199:200]
	v_fma_f64 v[21:22], v[1:2], v[197:198], -v[21:22]
	v_mul_f64 v[1:2], v[1:2], v[199:200]
	v_fma_f64 v[1:2], v[3:4], v[197:198], v[1:2]
	s_clause 0x3
	buffer_load_dword v3, off, s[0:3], 0 offset:800
	buffer_load_dword v4, off, s[0:3], 0 offset:804
	buffer_load_dword v85, off, s[0:3], 0 offset:808
	buffer_load_dword v86, off, s[0:3], 0 offset:812
	s_waitcnt vmcnt(2)
	v_add_f64 v[3:4], v[3:4], -v[21:22]
	s_waitcnt vmcnt(0)
	v_add_f64 v[1:2], v[85:86], -v[1:2]
	buffer_store_dword v4, off, s[0:3], 0 offset:804
	buffer_store_dword v3, off, s[0:3], 0 offset:800
	buffer_store_dword v2, off, s[0:3], 0 offset:812
	buffer_store_dword v1, off, s[0:3], 0 offset:808
	ds_read2_b64 v[1:4], v24 offset0:102 offset1:103
	s_waitcnt lgkmcnt(0)
	v_mul_f64 v[21:22], v[3:4], v[199:200]
	v_fma_f64 v[21:22], v[1:2], v[197:198], -v[21:22]
	v_mul_f64 v[1:2], v[1:2], v[199:200]
	v_fma_f64 v[1:2], v[3:4], v[197:198], v[1:2]
	s_clause 0x3
	buffer_load_dword v3, off, s[0:3], 0 offset:816
	buffer_load_dword v4, off, s[0:3], 0 offset:820
	buffer_load_dword v85, off, s[0:3], 0 offset:824
	buffer_load_dword v86, off, s[0:3], 0 offset:828
	s_waitcnt vmcnt(2)
	v_add_f64 v[3:4], v[3:4], -v[21:22]
	s_waitcnt vmcnt(0)
	v_add_f64 v[1:2], v[85:86], -v[1:2]
	;; [unrolled: 19-line block ×3, first 2 shown]
	buffer_store_dword v4, off, s[0:3], 0 offset:836
	buffer_store_dword v3, off, s[0:3], 0 offset:832
	;; [unrolled: 1-line block ×4, first 2 shown]
	ds_read2_b64 v[1:4], v24 offset0:106 offset1:107
	s_clause 0x3
	buffer_load_dword v21, off, s[0:3], 0 offset:736
	buffer_load_dword v22, off, s[0:3], 0 offset:740
	;; [unrolled: 1-line block ×4, first 2 shown]
	s_waitcnt vmcnt(0) lgkmcnt(0)
	v_mul_f64 v[189:190], v[3:4], v[85:86]
	v_fma_f64 v[189:190], v[1:2], v[21:22], -v[189:190]
	v_mul_f64 v[1:2], v[1:2], v[85:86]
	v_fma_f64 v[1:2], v[3:4], v[21:22], v[1:2]
	s_clause 0x1
	buffer_load_dword v4, off, s[0:3], 0 offset:852
	buffer_load_dword v3, off, s[0:3], 0 offset:848
	s_waitcnt vmcnt(0)
	v_add_f64 v[3:4], v[3:4], -v[189:190]
	s_clause 0x1
	buffer_load_dword v190, off, s[0:3], 0 offset:860
	buffer_load_dword v189, off, s[0:3], 0 offset:856
	s_waitcnt vmcnt(0)
	v_add_f64 v[1:2], v[189:190], -v[1:2]
	buffer_store_dword v4, off, s[0:3], 0 offset:852
	buffer_store_dword v3, off, s[0:3], 0 offset:848
	buffer_store_dword v2, off, s[0:3], 0 offset:860
	buffer_store_dword v1, off, s[0:3], 0 offset:856
	ds_read2_b64 v[1:4], v24 offset0:108 offset1:109
	s_waitcnt lgkmcnt(0)
	v_mul_f64 v[189:190], v[3:4], v[85:86]
	v_fma_f64 v[189:190], v[1:2], v[21:22], -v[189:190]
	v_mul_f64 v[1:2], v[1:2], v[85:86]
	v_fma_f64 v[1:2], v[3:4], v[21:22], v[1:2]
	s_clause 0x3
	buffer_load_dword v3, off, s[0:3], 0 offset:864
	buffer_load_dword v4, off, s[0:3], 0 offset:868
	buffer_load_dword v191, off, s[0:3], 0 offset:872
	buffer_load_dword v192, off, s[0:3], 0 offset:876
	s_waitcnt vmcnt(2)
	v_add_f64 v[3:4], v[3:4], -v[189:190]
	s_waitcnt vmcnt(0)
	v_add_f64 v[1:2], v[191:192], -v[1:2]
	buffer_store_dword v4, off, s[0:3], 0 offset:868
	buffer_store_dword v3, off, s[0:3], 0 offset:864
	buffer_store_dword v2, off, s[0:3], 0 offset:876
	buffer_store_dword v1, off, s[0:3], 0 offset:872
	ds_read2_b64 v[1:4], v24 offset0:110 offset1:111
	s_waitcnt lgkmcnt(0)
	v_mul_f64 v[189:190], v[3:4], v[85:86]
	v_fma_f64 v[189:190], v[1:2], v[21:22], -v[189:190]
	v_mul_f64 v[1:2], v[1:2], v[85:86]
	v_fma_f64 v[1:2], v[3:4], v[21:22], v[1:2]
	s_clause 0x3
	buffer_load_dword v3, off, s[0:3], 0 offset:880
	buffer_load_dword v4, off, s[0:3], 0 offset:884
	buffer_load_dword v191, off, s[0:3], 0 offset:888
	buffer_load_dword v192, off, s[0:3], 0 offset:892
	s_waitcnt vmcnt(2)
	v_add_f64 v[3:4], v[3:4], -v[189:190]
	s_waitcnt vmcnt(0)
	v_add_f64 v[1:2], v[191:192], -v[1:2]
	buffer_store_dword v4, off, s[0:3], 0 offset:884
	buffer_store_dword v3, off, s[0:3], 0 offset:880
	buffer_store_dword v2, off, s[0:3], 0 offset:892
	buffer_store_dword v1, off, s[0:3], 0 offset:888
	ds_read2_b64 v[1:4], v24 offset0:112 offset1:113
	s_waitcnt lgkmcnt(0)
	v_mul_f64 v[189:190], v[3:4], v[85:86]
	v_fma_f64 v[189:190], v[1:2], v[21:22], -v[189:190]
	v_mul_f64 v[1:2], v[1:2], v[85:86]
	v_fma_f64 v[1:2], v[3:4], v[21:22], v[1:2]
	s_clause 0x3
	buffer_load_dword v3, off, s[0:3], 0 offset:896
	buffer_load_dword v4, off, s[0:3], 0 offset:900
	buffer_load_dword v191, off, s[0:3], 0 offset:904
	buffer_load_dword v192, off, s[0:3], 0 offset:908
	s_waitcnt vmcnt(2)
	v_add_f64 v[3:4], v[3:4], -v[189:190]
	s_waitcnt vmcnt(0)
	v_add_f64 v[1:2], v[191:192], -v[1:2]
	buffer_store_dword v4, off, s[0:3], 0 offset:900
	buffer_store_dword v3, off, s[0:3], 0 offset:896
	buffer_store_dword v2, off, s[0:3], 0 offset:908
	buffer_store_dword v1, off, s[0:3], 0 offset:904
	ds_read2_b64 v[1:4], v24 offset0:114 offset1:115
	s_waitcnt lgkmcnt(0)
	v_mul_f64 v[189:190], v[3:4], v[85:86]
	v_fma_f64 v[189:190], v[1:2], v[21:22], -v[189:190]
	v_mul_f64 v[1:2], v[1:2], v[85:86]
	v_fma_f64 v[1:2], v[3:4], v[21:22], v[1:2]
	s_clause 0x3
	buffer_load_dword v3, off, s[0:3], 0 offset:912
	buffer_load_dword v4, off, s[0:3], 0 offset:916
	buffer_load_dword v191, off, s[0:3], 0 offset:920
	buffer_load_dword v192, off, s[0:3], 0 offset:924
	s_waitcnt vmcnt(2)
	v_add_f64 v[3:4], v[3:4], -v[189:190]
	s_waitcnt vmcnt(0)
	v_add_f64 v[1:2], v[191:192], -v[1:2]
	buffer_store_dword v4, off, s[0:3], 0 offset:916
	buffer_store_dword v3, off, s[0:3], 0 offset:912
	buffer_store_dword v2, off, s[0:3], 0 offset:924
	buffer_store_dword v1, off, s[0:3], 0 offset:920
	ds_read2_b64 v[1:4], v24 offset0:116 offset1:117
	s_waitcnt lgkmcnt(0)
	v_mul_f64 v[189:190], v[3:4], v[85:86]
	v_fma_f64 v[189:190], v[1:2], v[21:22], -v[189:190]
	v_mul_f64 v[1:2], v[1:2], v[85:86]
	v_fma_f64 v[1:2], v[3:4], v[21:22], v[1:2]
	s_clause 0x3
	buffer_load_dword v3, off, s[0:3], 0 offset:928
	buffer_load_dword v4, off, s[0:3], 0 offset:932
	buffer_load_dword v21, off, s[0:3], 0 offset:936
	buffer_load_dword v22, off, s[0:3], 0 offset:940
	s_waitcnt vmcnt(2)
	v_add_f64 v[3:4], v[3:4], -v[189:190]
	s_waitcnt vmcnt(0)
	v_add_f64 v[1:2], v[21:22], -v[1:2]
	buffer_store_dword v4, off, s[0:3], 0 offset:932
	buffer_store_dword v3, off, s[0:3], 0 offset:928
	;; [unrolled: 1-line block ×4, first 2 shown]
	ds_read2_b64 v[189:192], v24 offset0:118 offset1:119
	s_clause 0x3
	buffer_load_dword v1, off, s[0:3], 0 offset:736
	buffer_load_dword v2, off, s[0:3], 0 offset:740
	;; [unrolled: 1-line block ×4, first 2 shown]
	s_waitcnt vmcnt(0) lgkmcnt(0)
	v_mul_f64 v[21:22], v[191:192], v[3:4]
	v_mul_f64 v[85:86], v[189:190], v[3:4]
	v_fma_f64 v[21:22], v[189:190], v[1:2], -v[21:22]
	s_clause 0x1
	buffer_load_dword v190, off, s[0:3], 0 offset:948
	buffer_load_dword v189, off, s[0:3], 0 offset:944
	v_fma_f64 v[85:86], v[191:192], v[1:2], v[85:86]
	s_waitcnt vmcnt(0)
	v_add_f64 v[21:22], v[189:190], -v[21:22]
	s_clause 0x1
	buffer_load_dword v190, off, s[0:3], 0 offset:956
	buffer_load_dword v189, off, s[0:3], 0 offset:952
	s_waitcnt vmcnt(0)
	v_add_f64 v[85:86], v[189:190], -v[85:86]
	buffer_store_dword v22, off, s[0:3], 0 offset:948
	buffer_store_dword v21, off, s[0:3], 0 offset:944
	buffer_store_dword v86, off, s[0:3], 0 offset:956
	buffer_store_dword v85, off, s[0:3], 0 offset:952
	ds_read2_b64 v[189:192], v24 offset0:120 offset1:121
	s_waitcnt lgkmcnt(0)
	v_mul_f64 v[21:22], v[191:192], v[3:4]
	v_mul_f64 v[85:86], v[189:190], v[3:4]
	v_fma_f64 v[21:22], v[189:190], v[1:2], -v[21:22]
	v_fma_f64 v[85:86], v[191:192], v[1:2], v[85:86]
	s_clause 0x3
	buffer_load_dword v189, off, s[0:3], 0 offset:960
	buffer_load_dword v190, off, s[0:3], 0 offset:964
	buffer_load_dword v191, off, s[0:3], 0 offset:968
	buffer_load_dword v192, off, s[0:3], 0 offset:972
	s_waitcnt vmcnt(2)
	v_add_f64 v[21:22], v[189:190], -v[21:22]
	s_waitcnt vmcnt(0)
	v_add_f64 v[85:86], v[191:192], -v[85:86]
	buffer_store_dword v22, off, s[0:3], 0 offset:964
	buffer_store_dword v21, off, s[0:3], 0 offset:960
	buffer_store_dword v86, off, s[0:3], 0 offset:972
	buffer_store_dword v85, off, s[0:3], 0 offset:968
	ds_read2_b64 v[189:192], v24 offset0:122 offset1:123
	s_waitcnt lgkmcnt(0)
	v_mul_f64 v[21:22], v[191:192], v[3:4]
	v_mul_f64 v[85:86], v[189:190], v[3:4]
	v_fma_f64 v[21:22], v[189:190], v[1:2], -v[21:22]
	v_fma_f64 v[85:86], v[191:192], v[1:2], v[85:86]
	s_clause 0x3
	buffer_load_dword v189, off, s[0:3], 0 offset:976
	buffer_load_dword v190, off, s[0:3], 0 offset:980
	buffer_load_dword v191, off, s[0:3], 0 offset:984
	buffer_load_dword v192, off, s[0:3], 0 offset:988
	s_waitcnt vmcnt(2)
	v_add_f64 v[21:22], v[189:190], -v[21:22]
	s_waitcnt vmcnt(0)
	v_add_f64 v[85:86], v[191:192], -v[85:86]
	buffer_store_dword v22, off, s[0:3], 0 offset:980
	buffer_store_dword v21, off, s[0:3], 0 offset:976
	buffer_store_dword v86, off, s[0:3], 0 offset:988
	buffer_store_dword v85, off, s[0:3], 0 offset:984
	ds_read2_b64 v[189:192], v24 offset0:124 offset1:125
	s_waitcnt lgkmcnt(0)
	v_mul_f64 v[21:22], v[191:192], v[3:4]
	v_mul_f64 v[85:86], v[189:190], v[3:4]
	v_fma_f64 v[21:22], v[189:190], v[1:2], -v[21:22]
	v_fma_f64 v[85:86], v[191:192], v[1:2], v[85:86]
	s_clause 0x3
	buffer_load_dword v189, off, s[0:3], 0 offset:992
	buffer_load_dword v190, off, s[0:3], 0 offset:996
	buffer_load_dword v191, off, s[0:3], 0 offset:1000
	buffer_load_dword v192, off, s[0:3], 0 offset:1004
	s_waitcnt vmcnt(2)
	v_add_f64 v[21:22], v[189:190], -v[21:22]
	s_waitcnt vmcnt(0)
	v_add_f64 v[85:86], v[191:192], -v[85:86]
	buffer_store_dword v22, off, s[0:3], 0 offset:996
	buffer_store_dword v21, off, s[0:3], 0 offset:992
	buffer_store_dword v86, off, s[0:3], 0 offset:1004
	buffer_store_dword v85, off, s[0:3], 0 offset:1000
	ds_read2_b64 v[189:192], v24 offset0:126 offset1:127
	s_waitcnt lgkmcnt(0)
	v_mul_f64 v[21:22], v[191:192], v[3:4]
	v_mul_f64 v[3:4], v[189:190], v[3:4]
	v_fma_f64 v[21:22], v[189:190], v[1:2], -v[21:22]
	v_fma_f64 v[1:2], v[191:192], v[1:2], v[3:4]
	s_clause 0x3
	buffer_load_dword v3, off, s[0:3], 0 offset:1008
	buffer_load_dword v4, off, s[0:3], 0 offset:1012
	buffer_load_dword v85, off, s[0:3], 0 offset:1016
	buffer_load_dword v86, off, s[0:3], 0 offset:1020
	s_waitcnt vmcnt(2)
	v_add_f64 v[3:4], v[3:4], -v[21:22]
	s_waitcnt vmcnt(0)
	v_add_f64 v[1:2], v[85:86], -v[1:2]
	buffer_store_dword v4, off, s[0:3], 0 offset:1012
	buffer_store_dword v3, off, s[0:3], 0 offset:1008
	buffer_store_dword v2, off, s[0:3], 0 offset:1020
	buffer_store_dword v1, off, s[0:3], 0 offset:1016
.LBB127_560:
	s_or_b32 exec_lo, exec_lo, s5
	s_mov_b32 s6, exec_lo
	s_waitcnt lgkmcnt(0)
	s_waitcnt_vscnt null, 0x0
	s_barrier
	buffer_gl0_inv
	v_cmpx_eq_u32_e32 47, v0
	s_cbranch_execz .LBB127_567
; %bb.561:
	v_mov_b32_e32 v4, s31
	s_clause 0x3
	buffer_load_dword v1, v4, s[0:3], 0 offen
	buffer_load_dword v2, v4, s[0:3], 0 offen offset:4
	buffer_load_dword v3, v4, s[0:3], 0 offen offset:8
	;; [unrolled: 1-line block ×3, first 2 shown]
	s_waitcnt vmcnt(0)
	ds_write2_b64 v23, v[1:2], v[3:4] offset1:1
	v_mov_b32_e32 v4, s30
	s_clause 0x3
	buffer_load_dword v1, v4, s[0:3], 0 offen
	buffer_load_dword v2, v4, s[0:3], 0 offen offset:4
	buffer_load_dword v3, v4, s[0:3], 0 offen offset:8
	buffer_load_dword v4, v4, s[0:3], 0 offen offset:12
	s_waitcnt vmcnt(0)
	ds_write2_b64 v24, v[1:2], v[3:4] offset0:96 offset1:97
	v_mov_b32_e32 v4, s29
	s_clause 0x3
	buffer_load_dword v1, v4, s[0:3], 0 offen
	buffer_load_dword v2, v4, s[0:3], 0 offen offset:4
	buffer_load_dword v3, v4, s[0:3], 0 offen offset:8
	buffer_load_dword v4, v4, s[0:3], 0 offen offset:12
	s_waitcnt vmcnt(0)
	ds_write2_b64 v24, v[1:2], v[3:4] offset0:98 offset1:99
	;; [unrolled: 8-line block ×16, first 2 shown]
	ds_read2_b64 v[1:4], v23 offset1:1
	s_waitcnt lgkmcnt(0)
	v_cmp_neq_f64_e32 vcc_lo, 0, v[1:2]
	v_cmp_neq_f64_e64 s5, 0, v[3:4]
	s_or_b32 s5, vcc_lo, s5
	s_and_b32 exec_lo, exec_lo, s5
	s_cbranch_execz .LBB127_567
; %bb.562:
	v_cmp_ngt_f64_e64 s5, |v[1:2]|, |v[3:4]|
                                        ; implicit-def: $vgpr85_vgpr86
	s_and_saveexec_b32 s7, s5
	s_xor_b32 s5, exec_lo, s7
                                        ; implicit-def: $vgpr21_vgpr22
	s_cbranch_execz .LBB127_564
; %bb.563:
	v_div_scale_f64 v[21:22], null, v[3:4], v[3:4], v[1:2]
	v_div_scale_f64 v[191:192], vcc_lo, v[1:2], v[3:4], v[1:2]
	v_rcp_f64_e32 v[85:86], v[21:22]
	v_fma_f64 v[189:190], -v[21:22], v[85:86], 1.0
	v_fma_f64 v[85:86], v[85:86], v[189:190], v[85:86]
	v_fma_f64 v[189:190], -v[21:22], v[85:86], 1.0
	v_fma_f64 v[85:86], v[85:86], v[189:190], v[85:86]
	v_mul_f64 v[189:190], v[191:192], v[85:86]
	v_fma_f64 v[21:22], -v[21:22], v[189:190], v[191:192]
	v_div_fmas_f64 v[21:22], v[21:22], v[85:86], v[189:190]
	v_div_fixup_f64 v[85:86], v[21:22], v[3:4], v[1:2]
	v_fma_f64 v[1:2], v[1:2], v[85:86], v[3:4]
	v_div_scale_f64 v[3:4], null, v[1:2], v[1:2], 1.0
	v_rcp_f64_e32 v[21:22], v[3:4]
	v_fma_f64 v[189:190], -v[3:4], v[21:22], 1.0
	v_fma_f64 v[21:22], v[21:22], v[189:190], v[21:22]
	v_fma_f64 v[189:190], -v[3:4], v[21:22], 1.0
	v_fma_f64 v[21:22], v[21:22], v[189:190], v[21:22]
	v_div_scale_f64 v[189:190], vcc_lo, 1.0, v[1:2], 1.0
	v_mul_f64 v[191:192], v[189:190], v[21:22]
	v_fma_f64 v[3:4], -v[3:4], v[191:192], v[189:190]
	v_div_fmas_f64 v[3:4], v[3:4], v[21:22], v[191:192]
	v_div_fixup_f64 v[21:22], v[3:4], v[1:2], 1.0
                                        ; implicit-def: $vgpr1_vgpr2
	v_mul_f64 v[85:86], v[85:86], v[21:22]
	v_xor_b32_e32 v22, 0x80000000, v22
.LBB127_564:
	s_andn2_saveexec_b32 s5, s5
	s_cbranch_execz .LBB127_566
; %bb.565:
	v_div_scale_f64 v[21:22], null, v[1:2], v[1:2], v[3:4]
	v_div_scale_f64 v[191:192], vcc_lo, v[3:4], v[1:2], v[3:4]
	v_rcp_f64_e32 v[85:86], v[21:22]
	v_fma_f64 v[189:190], -v[21:22], v[85:86], 1.0
	v_fma_f64 v[85:86], v[85:86], v[189:190], v[85:86]
	v_fma_f64 v[189:190], -v[21:22], v[85:86], 1.0
	v_fma_f64 v[85:86], v[85:86], v[189:190], v[85:86]
	v_mul_f64 v[189:190], v[191:192], v[85:86]
	v_fma_f64 v[21:22], -v[21:22], v[189:190], v[191:192]
	v_div_fmas_f64 v[21:22], v[21:22], v[85:86], v[189:190]
	v_div_fixup_f64 v[21:22], v[21:22], v[1:2], v[3:4]
	v_fma_f64 v[1:2], v[3:4], v[21:22], v[1:2]
	v_div_scale_f64 v[3:4], null, v[1:2], v[1:2], 1.0
	v_rcp_f64_e32 v[85:86], v[3:4]
	v_fma_f64 v[189:190], -v[3:4], v[85:86], 1.0
	v_fma_f64 v[85:86], v[85:86], v[189:190], v[85:86]
	v_fma_f64 v[189:190], -v[3:4], v[85:86], 1.0
	v_fma_f64 v[85:86], v[85:86], v[189:190], v[85:86]
	v_div_scale_f64 v[189:190], vcc_lo, 1.0, v[1:2], 1.0
	v_mul_f64 v[191:192], v[189:190], v[85:86]
	v_fma_f64 v[3:4], -v[3:4], v[191:192], v[189:190]
	v_div_fmas_f64 v[3:4], v[3:4], v[85:86], v[191:192]
	v_div_fixup_f64 v[85:86], v[3:4], v[1:2], 1.0
	v_mul_f64 v[21:22], v[21:22], -v[85:86]
.LBB127_566:
	s_or_b32 exec_lo, exec_lo, s5
	ds_write2_b64 v23, v[85:86], v[21:22] offset1:1
.LBB127_567:
	s_or_b32 exec_lo, exec_lo, s6
	s_waitcnt lgkmcnt(0)
	s_barrier
	buffer_gl0_inv
	ds_read2_b64 v[189:192], v23 offset1:1
	s_mov_b32 s5, exec_lo
	v_cmpx_lt_u32_e32 47, v0
	s_cbranch_execz .LBB127_569
; %bb.568:
	s_clause 0xf
	buffer_load_dword v1, off, s[0:3], 0 offset:752
	buffer_load_dword v2, off, s[0:3], 0 offset:756
	;; [unrolled: 1-line block ×16, first 2 shown]
	s_waitcnt vmcnt(12) lgkmcnt(0)
	v_mul_f64 v[201:202], v[191:192], v[3:4]
	v_mul_f64 v[3:4], v[189:190], v[3:4]
	v_fma_f64 v[201:202], v[189:190], v[1:2], -v[201:202]
	v_fma_f64 v[203:204], v[191:192], v[1:2], v[3:4]
	buffer_store_dword v201, off, s[0:3], 0 offset:752
	buffer_store_dword v202, off, s[0:3], 0 offset:756
	buffer_store_dword v203, off, s[0:3], 0 offset:760
	buffer_store_dword v204, off, s[0:3], 0 offset:764
	ds_read2_b64 v[1:4], v24 offset0:96 offset1:97
	s_waitcnt lgkmcnt(0)
	v_mul_f64 v[205:206], v[3:4], v[203:204]
	v_fma_f64 v[205:206], v[1:2], v[201:202], -v[205:206]
	v_mul_f64 v[1:2], v[1:2], v[203:204]
	v_fma_f64 v[1:2], v[3:4], v[201:202], v[1:2]
	s_waitcnt vmcnt(10)
	v_add_f64 v[3:4], v[21:22], -v[205:206]
	s_waitcnt vmcnt(8)
	v_add_f64 v[1:2], v[85:86], -v[1:2]
	buffer_store_dword v3, off, s[0:3], 0 offset:768
	buffer_store_dword v4, off, s[0:3], 0 offset:772
	buffer_store_dword v1, off, s[0:3], 0 offset:776
	buffer_store_dword v2, off, s[0:3], 0 offset:780
	ds_read2_b64 v[1:4], v24 offset0:98 offset1:99
	s_waitcnt lgkmcnt(0)
	v_mul_f64 v[21:22], v[3:4], v[203:204]
	v_fma_f64 v[21:22], v[1:2], v[201:202], -v[21:22]
	v_mul_f64 v[1:2], v[1:2], v[203:204]
	v_fma_f64 v[1:2], v[3:4], v[201:202], v[1:2]
	s_waitcnt vmcnt(6)
	v_add_f64 v[3:4], v[193:194], -v[21:22]
	s_waitcnt vmcnt(4)
	v_add_f64 v[1:2], v[195:196], -v[1:2]
	;; [unrolled: 14-line block ×3, first 2 shown]
	buffer_store_dword v4, off, s[0:3], 0 offset:804
	buffer_store_dword v3, off, s[0:3], 0 offset:800
	buffer_store_dword v1, off, s[0:3], 0 offset:808
	buffer_store_dword v2, off, s[0:3], 0 offset:812
	ds_read2_b64 v[1:4], v24 offset0:102 offset1:103
	s_waitcnt lgkmcnt(0)
	v_mul_f64 v[21:22], v[3:4], v[203:204]
	v_fma_f64 v[21:22], v[1:2], v[201:202], -v[21:22]
	v_mul_f64 v[1:2], v[1:2], v[203:204]
	v_fma_f64 v[1:2], v[3:4], v[201:202], v[1:2]
	s_clause 0x3
	buffer_load_dword v3, off, s[0:3], 0 offset:816
	buffer_load_dword v4, off, s[0:3], 0 offset:820
	buffer_load_dword v85, off, s[0:3], 0 offset:824
	buffer_load_dword v86, off, s[0:3], 0 offset:828
	s_waitcnt vmcnt(2)
	v_add_f64 v[3:4], v[3:4], -v[21:22]
	s_waitcnt vmcnt(0)
	v_add_f64 v[1:2], v[85:86], -v[1:2]
	buffer_store_dword v4, off, s[0:3], 0 offset:820
	buffer_store_dword v3, off, s[0:3], 0 offset:816
	buffer_store_dword v2, off, s[0:3], 0 offset:828
	buffer_store_dword v1, off, s[0:3], 0 offset:824
	ds_read2_b64 v[1:4], v24 offset0:104 offset1:105
	s_waitcnt lgkmcnt(0)
	v_mul_f64 v[21:22], v[3:4], v[203:204]
	v_fma_f64 v[21:22], v[1:2], v[201:202], -v[21:22]
	v_mul_f64 v[1:2], v[1:2], v[203:204]
	v_fma_f64 v[1:2], v[3:4], v[201:202], v[1:2]
	s_clause 0x3
	buffer_load_dword v3, off, s[0:3], 0 offset:832
	buffer_load_dword v4, off, s[0:3], 0 offset:836
	buffer_load_dword v85, off, s[0:3], 0 offset:840
	buffer_load_dword v86, off, s[0:3], 0 offset:844
	s_waitcnt vmcnt(2)
	v_add_f64 v[3:4], v[3:4], -v[21:22]
	s_waitcnt vmcnt(0)
	v_add_f64 v[1:2], v[85:86], -v[1:2]
	;; [unrolled: 19-line block ×3, first 2 shown]
	buffer_store_dword v4, off, s[0:3], 0 offset:852
	buffer_store_dword v3, off, s[0:3], 0 offset:848
	;; [unrolled: 1-line block ×4, first 2 shown]
	ds_read2_b64 v[1:4], v24 offset0:108 offset1:109
	s_clause 0x3
	buffer_load_dword v21, off, s[0:3], 0 offset:752
	buffer_load_dword v22, off, s[0:3], 0 offset:756
	;; [unrolled: 1-line block ×4, first 2 shown]
	s_waitcnt vmcnt(0) lgkmcnt(0)
	v_mul_f64 v[193:194], v[3:4], v[85:86]
	v_fma_f64 v[193:194], v[1:2], v[21:22], -v[193:194]
	v_mul_f64 v[1:2], v[1:2], v[85:86]
	v_fma_f64 v[1:2], v[3:4], v[21:22], v[1:2]
	s_clause 0x1
	buffer_load_dword v4, off, s[0:3], 0 offset:868
	buffer_load_dword v3, off, s[0:3], 0 offset:864
	s_waitcnt vmcnt(0)
	v_add_f64 v[3:4], v[3:4], -v[193:194]
	s_clause 0x1
	buffer_load_dword v194, off, s[0:3], 0 offset:876
	buffer_load_dword v193, off, s[0:3], 0 offset:872
	s_waitcnt vmcnt(0)
	v_add_f64 v[1:2], v[193:194], -v[1:2]
	buffer_store_dword v4, off, s[0:3], 0 offset:868
	buffer_store_dword v3, off, s[0:3], 0 offset:864
	buffer_store_dword v2, off, s[0:3], 0 offset:876
	buffer_store_dword v1, off, s[0:3], 0 offset:872
	ds_read2_b64 v[1:4], v24 offset0:110 offset1:111
	s_waitcnt lgkmcnt(0)
	v_mul_f64 v[193:194], v[3:4], v[85:86]
	v_fma_f64 v[193:194], v[1:2], v[21:22], -v[193:194]
	v_mul_f64 v[1:2], v[1:2], v[85:86]
	v_fma_f64 v[1:2], v[3:4], v[21:22], v[1:2]
	s_clause 0x3
	buffer_load_dword v3, off, s[0:3], 0 offset:880
	buffer_load_dword v4, off, s[0:3], 0 offset:884
	buffer_load_dword v195, off, s[0:3], 0 offset:888
	buffer_load_dword v196, off, s[0:3], 0 offset:892
	s_waitcnt vmcnt(2)
	v_add_f64 v[3:4], v[3:4], -v[193:194]
	s_waitcnt vmcnt(0)
	v_add_f64 v[1:2], v[195:196], -v[1:2]
	buffer_store_dword v4, off, s[0:3], 0 offset:884
	buffer_store_dword v3, off, s[0:3], 0 offset:880
	buffer_store_dword v2, off, s[0:3], 0 offset:892
	buffer_store_dword v1, off, s[0:3], 0 offset:888
	ds_read2_b64 v[1:4], v24 offset0:112 offset1:113
	s_waitcnt lgkmcnt(0)
	v_mul_f64 v[193:194], v[3:4], v[85:86]
	v_fma_f64 v[193:194], v[1:2], v[21:22], -v[193:194]
	v_mul_f64 v[1:2], v[1:2], v[85:86]
	v_fma_f64 v[1:2], v[3:4], v[21:22], v[1:2]
	s_clause 0x3
	buffer_load_dword v3, off, s[0:3], 0 offset:896
	buffer_load_dword v4, off, s[0:3], 0 offset:900
	buffer_load_dword v195, off, s[0:3], 0 offset:904
	buffer_load_dword v196, off, s[0:3], 0 offset:908
	s_waitcnt vmcnt(2)
	v_add_f64 v[3:4], v[3:4], -v[193:194]
	;; [unrolled: 19-line block ×5, first 2 shown]
	s_waitcnt vmcnt(0)
	v_add_f64 v[1:2], v[21:22], -v[1:2]
	buffer_store_dword v4, off, s[0:3], 0 offset:948
	buffer_store_dword v3, off, s[0:3], 0 offset:944
	;; [unrolled: 1-line block ×4, first 2 shown]
	ds_read2_b64 v[193:196], v24 offset0:120 offset1:121
	s_clause 0x3
	buffer_load_dword v1, off, s[0:3], 0 offset:752
	buffer_load_dword v2, off, s[0:3], 0 offset:756
	;; [unrolled: 1-line block ×4, first 2 shown]
	s_waitcnt vmcnt(0) lgkmcnt(0)
	v_mul_f64 v[21:22], v[195:196], v[3:4]
	v_mul_f64 v[85:86], v[193:194], v[3:4]
	v_fma_f64 v[21:22], v[193:194], v[1:2], -v[21:22]
	s_clause 0x1
	buffer_load_dword v194, off, s[0:3], 0 offset:964
	buffer_load_dword v193, off, s[0:3], 0 offset:960
	v_fma_f64 v[85:86], v[195:196], v[1:2], v[85:86]
	s_waitcnt vmcnt(0)
	v_add_f64 v[21:22], v[193:194], -v[21:22]
	s_clause 0x1
	buffer_load_dword v194, off, s[0:3], 0 offset:972
	buffer_load_dword v193, off, s[0:3], 0 offset:968
	s_waitcnt vmcnt(0)
	v_add_f64 v[85:86], v[193:194], -v[85:86]
	buffer_store_dword v22, off, s[0:3], 0 offset:964
	buffer_store_dword v21, off, s[0:3], 0 offset:960
	buffer_store_dword v86, off, s[0:3], 0 offset:972
	buffer_store_dword v85, off, s[0:3], 0 offset:968
	ds_read2_b64 v[193:196], v24 offset0:122 offset1:123
	s_waitcnt lgkmcnt(0)
	v_mul_f64 v[21:22], v[195:196], v[3:4]
	v_mul_f64 v[85:86], v[193:194], v[3:4]
	v_fma_f64 v[21:22], v[193:194], v[1:2], -v[21:22]
	v_fma_f64 v[85:86], v[195:196], v[1:2], v[85:86]
	s_clause 0x3
	buffer_load_dword v193, off, s[0:3], 0 offset:976
	buffer_load_dword v194, off, s[0:3], 0 offset:980
	buffer_load_dword v195, off, s[0:3], 0 offset:984
	buffer_load_dword v196, off, s[0:3], 0 offset:988
	s_waitcnt vmcnt(2)
	v_add_f64 v[21:22], v[193:194], -v[21:22]
	s_waitcnt vmcnt(0)
	v_add_f64 v[85:86], v[195:196], -v[85:86]
	buffer_store_dword v22, off, s[0:3], 0 offset:980
	buffer_store_dword v21, off, s[0:3], 0 offset:976
	buffer_store_dword v86, off, s[0:3], 0 offset:988
	buffer_store_dword v85, off, s[0:3], 0 offset:984
	ds_read2_b64 v[193:196], v24 offset0:124 offset1:125
	s_waitcnt lgkmcnt(0)
	v_mul_f64 v[21:22], v[195:196], v[3:4]
	v_mul_f64 v[85:86], v[193:194], v[3:4]
	v_fma_f64 v[21:22], v[193:194], v[1:2], -v[21:22]
	v_fma_f64 v[85:86], v[195:196], v[1:2], v[85:86]
	s_clause 0x3
	buffer_load_dword v193, off, s[0:3], 0 offset:992
	buffer_load_dword v194, off, s[0:3], 0 offset:996
	buffer_load_dword v195, off, s[0:3], 0 offset:1000
	buffer_load_dword v196, off, s[0:3], 0 offset:1004
	s_waitcnt vmcnt(2)
	v_add_f64 v[21:22], v[193:194], -v[21:22]
	;; [unrolled: 19-line block ×3, first 2 shown]
	s_waitcnt vmcnt(0)
	v_add_f64 v[1:2], v[85:86], -v[1:2]
	buffer_store_dword v4, off, s[0:3], 0 offset:1012
	buffer_store_dword v3, off, s[0:3], 0 offset:1008
	;; [unrolled: 1-line block ×4, first 2 shown]
.LBB127_569:
	s_or_b32 exec_lo, exec_lo, s5
	s_mov_b32 s6, exec_lo
	s_waitcnt lgkmcnt(0)
	s_waitcnt_vscnt null, 0x0
	s_barrier
	buffer_gl0_inv
	v_cmpx_eq_u32_e32 48, v0
	s_cbranch_execz .LBB127_576
; %bb.570:
	v_mov_b32_e32 v4, s30
	s_clause 0x3
	buffer_load_dword v1, v4, s[0:3], 0 offen
	buffer_load_dword v2, v4, s[0:3], 0 offen offset:4
	buffer_load_dword v3, v4, s[0:3], 0 offen offset:8
	;; [unrolled: 1-line block ×3, first 2 shown]
	s_waitcnt vmcnt(0)
	ds_write2_b64 v23, v[1:2], v[3:4] offset1:1
	v_mov_b32_e32 v4, s29
	s_clause 0x3
	buffer_load_dword v1, v4, s[0:3], 0 offen
	buffer_load_dword v2, v4, s[0:3], 0 offen offset:4
	buffer_load_dword v3, v4, s[0:3], 0 offen offset:8
	buffer_load_dword v4, v4, s[0:3], 0 offen offset:12
	s_waitcnt vmcnt(0)
	ds_write2_b64 v24, v[1:2], v[3:4] offset0:98 offset1:99
	v_mov_b32_e32 v4, s28
	s_clause 0x3
	buffer_load_dword v1, v4, s[0:3], 0 offen
	buffer_load_dword v2, v4, s[0:3], 0 offen offset:4
	buffer_load_dword v3, v4, s[0:3], 0 offen offset:8
	buffer_load_dword v4, v4, s[0:3], 0 offen offset:12
	s_waitcnt vmcnt(0)
	ds_write2_b64 v24, v[1:2], v[3:4] offset0:100 offset1:101
	;; [unrolled: 8-line block ×15, first 2 shown]
	ds_read2_b64 v[1:4], v23 offset1:1
	s_waitcnt lgkmcnt(0)
	v_cmp_neq_f64_e32 vcc_lo, 0, v[1:2]
	v_cmp_neq_f64_e64 s5, 0, v[3:4]
	s_or_b32 s5, vcc_lo, s5
	s_and_b32 exec_lo, exec_lo, s5
	s_cbranch_execz .LBB127_576
; %bb.571:
	v_cmp_ngt_f64_e64 s5, |v[1:2]|, |v[3:4]|
                                        ; implicit-def: $vgpr85_vgpr86
	s_and_saveexec_b32 s7, s5
	s_xor_b32 s5, exec_lo, s7
                                        ; implicit-def: $vgpr21_vgpr22
	s_cbranch_execz .LBB127_573
; %bb.572:
	v_div_scale_f64 v[21:22], null, v[3:4], v[3:4], v[1:2]
	v_div_scale_f64 v[195:196], vcc_lo, v[1:2], v[3:4], v[1:2]
	v_rcp_f64_e32 v[85:86], v[21:22]
	v_fma_f64 v[193:194], -v[21:22], v[85:86], 1.0
	v_fma_f64 v[85:86], v[85:86], v[193:194], v[85:86]
	v_fma_f64 v[193:194], -v[21:22], v[85:86], 1.0
	v_fma_f64 v[85:86], v[85:86], v[193:194], v[85:86]
	v_mul_f64 v[193:194], v[195:196], v[85:86]
	v_fma_f64 v[21:22], -v[21:22], v[193:194], v[195:196]
	v_div_fmas_f64 v[21:22], v[21:22], v[85:86], v[193:194]
	v_div_fixup_f64 v[85:86], v[21:22], v[3:4], v[1:2]
	v_fma_f64 v[1:2], v[1:2], v[85:86], v[3:4]
	v_div_scale_f64 v[3:4], null, v[1:2], v[1:2], 1.0
	v_rcp_f64_e32 v[21:22], v[3:4]
	v_fma_f64 v[193:194], -v[3:4], v[21:22], 1.0
	v_fma_f64 v[21:22], v[21:22], v[193:194], v[21:22]
	v_fma_f64 v[193:194], -v[3:4], v[21:22], 1.0
	v_fma_f64 v[21:22], v[21:22], v[193:194], v[21:22]
	v_div_scale_f64 v[193:194], vcc_lo, 1.0, v[1:2], 1.0
	v_mul_f64 v[195:196], v[193:194], v[21:22]
	v_fma_f64 v[3:4], -v[3:4], v[195:196], v[193:194]
	v_div_fmas_f64 v[3:4], v[3:4], v[21:22], v[195:196]
	v_div_fixup_f64 v[21:22], v[3:4], v[1:2], 1.0
                                        ; implicit-def: $vgpr1_vgpr2
	v_mul_f64 v[85:86], v[85:86], v[21:22]
	v_xor_b32_e32 v22, 0x80000000, v22
.LBB127_573:
	s_andn2_saveexec_b32 s5, s5
	s_cbranch_execz .LBB127_575
; %bb.574:
	v_div_scale_f64 v[21:22], null, v[1:2], v[1:2], v[3:4]
	v_div_scale_f64 v[195:196], vcc_lo, v[3:4], v[1:2], v[3:4]
	v_rcp_f64_e32 v[85:86], v[21:22]
	v_fma_f64 v[193:194], -v[21:22], v[85:86], 1.0
	v_fma_f64 v[85:86], v[85:86], v[193:194], v[85:86]
	v_fma_f64 v[193:194], -v[21:22], v[85:86], 1.0
	v_fma_f64 v[85:86], v[85:86], v[193:194], v[85:86]
	v_mul_f64 v[193:194], v[195:196], v[85:86]
	v_fma_f64 v[21:22], -v[21:22], v[193:194], v[195:196]
	v_div_fmas_f64 v[21:22], v[21:22], v[85:86], v[193:194]
	v_div_fixup_f64 v[21:22], v[21:22], v[1:2], v[3:4]
	v_fma_f64 v[1:2], v[3:4], v[21:22], v[1:2]
	v_div_scale_f64 v[3:4], null, v[1:2], v[1:2], 1.0
	v_rcp_f64_e32 v[85:86], v[3:4]
	v_fma_f64 v[193:194], -v[3:4], v[85:86], 1.0
	v_fma_f64 v[85:86], v[85:86], v[193:194], v[85:86]
	v_fma_f64 v[193:194], -v[3:4], v[85:86], 1.0
	v_fma_f64 v[85:86], v[85:86], v[193:194], v[85:86]
	v_div_scale_f64 v[193:194], vcc_lo, 1.0, v[1:2], 1.0
	v_mul_f64 v[195:196], v[193:194], v[85:86]
	v_fma_f64 v[3:4], -v[3:4], v[195:196], v[193:194]
	v_div_fmas_f64 v[3:4], v[3:4], v[85:86], v[195:196]
	v_div_fixup_f64 v[85:86], v[3:4], v[1:2], 1.0
	v_mul_f64 v[21:22], v[21:22], -v[85:86]
.LBB127_575:
	s_or_b32 exec_lo, exec_lo, s5
	ds_write2_b64 v23, v[85:86], v[21:22] offset1:1
.LBB127_576:
	s_or_b32 exec_lo, exec_lo, s6
	s_waitcnt lgkmcnt(0)
	s_barrier
	buffer_gl0_inv
	ds_read2_b64 v[193:196], v23 offset1:1
	s_mov_b32 s5, exec_lo
	v_cmpx_lt_u32_e32 48, v0
	s_cbranch_execz .LBB127_578
; %bb.577:
	s_clause 0xf
	buffer_load_dword v1, off, s[0:3], 0 offset:768
	buffer_load_dword v2, off, s[0:3], 0 offset:772
	;; [unrolled: 1-line block ×16, first 2 shown]
	s_waitcnt vmcnt(12) lgkmcnt(0)
	v_mul_f64 v[205:206], v[195:196], v[3:4]
	v_mul_f64 v[3:4], v[193:194], v[3:4]
	v_fma_f64 v[205:206], v[193:194], v[1:2], -v[205:206]
	v_fma_f64 v[207:208], v[195:196], v[1:2], v[3:4]
	buffer_store_dword v205, off, s[0:3], 0 offset:768
	buffer_store_dword v206, off, s[0:3], 0 offset:772
	buffer_store_dword v207, off, s[0:3], 0 offset:776
	buffer_store_dword v208, off, s[0:3], 0 offset:780
	ds_read2_b64 v[1:4], v24 offset0:98 offset1:99
	s_waitcnt lgkmcnt(0)
	v_mul_f64 v[209:210], v[3:4], v[207:208]
	v_fma_f64 v[209:210], v[1:2], v[205:206], -v[209:210]
	v_mul_f64 v[1:2], v[1:2], v[207:208]
	v_fma_f64 v[1:2], v[3:4], v[205:206], v[1:2]
	s_waitcnt vmcnt(10)
	v_add_f64 v[3:4], v[21:22], -v[209:210]
	s_waitcnt vmcnt(8)
	v_add_f64 v[1:2], v[85:86], -v[1:2]
	buffer_store_dword v3, off, s[0:3], 0 offset:784
	buffer_store_dword v4, off, s[0:3], 0 offset:788
	buffer_store_dword v1, off, s[0:3], 0 offset:792
	buffer_store_dword v2, off, s[0:3], 0 offset:796
	ds_read2_b64 v[1:4], v24 offset0:100 offset1:101
	s_waitcnt lgkmcnt(0)
	v_mul_f64 v[21:22], v[3:4], v[207:208]
	v_fma_f64 v[21:22], v[1:2], v[205:206], -v[21:22]
	v_mul_f64 v[1:2], v[1:2], v[207:208]
	v_fma_f64 v[1:2], v[3:4], v[205:206], v[1:2]
	s_waitcnt vmcnt(6)
	v_add_f64 v[3:4], v[197:198], -v[21:22]
	s_waitcnt vmcnt(4)
	v_add_f64 v[1:2], v[199:200], -v[1:2]
	;; [unrolled: 14-line block ×3, first 2 shown]
	buffer_store_dword v4, off, s[0:3], 0 offset:820
	buffer_store_dword v3, off, s[0:3], 0 offset:816
	buffer_store_dword v1, off, s[0:3], 0 offset:824
	buffer_store_dword v2, off, s[0:3], 0 offset:828
	ds_read2_b64 v[1:4], v24 offset0:104 offset1:105
	s_waitcnt lgkmcnt(0)
	v_mul_f64 v[21:22], v[3:4], v[207:208]
	v_fma_f64 v[21:22], v[1:2], v[205:206], -v[21:22]
	v_mul_f64 v[1:2], v[1:2], v[207:208]
	v_fma_f64 v[1:2], v[3:4], v[205:206], v[1:2]
	s_clause 0x3
	buffer_load_dword v3, off, s[0:3], 0 offset:832
	buffer_load_dword v4, off, s[0:3], 0 offset:836
	buffer_load_dword v85, off, s[0:3], 0 offset:840
	buffer_load_dword v86, off, s[0:3], 0 offset:844
	s_waitcnt vmcnt(2)
	v_add_f64 v[3:4], v[3:4], -v[21:22]
	s_waitcnt vmcnt(0)
	v_add_f64 v[1:2], v[85:86], -v[1:2]
	buffer_store_dword v4, off, s[0:3], 0 offset:836
	buffer_store_dword v3, off, s[0:3], 0 offset:832
	buffer_store_dword v2, off, s[0:3], 0 offset:844
	buffer_store_dword v1, off, s[0:3], 0 offset:840
	ds_read2_b64 v[1:4], v24 offset0:106 offset1:107
	s_waitcnt lgkmcnt(0)
	v_mul_f64 v[21:22], v[3:4], v[207:208]
	v_fma_f64 v[21:22], v[1:2], v[205:206], -v[21:22]
	v_mul_f64 v[1:2], v[1:2], v[207:208]
	v_fma_f64 v[1:2], v[3:4], v[205:206], v[1:2]
	s_clause 0x3
	buffer_load_dword v3, off, s[0:3], 0 offset:848
	buffer_load_dword v4, off, s[0:3], 0 offset:852
	buffer_load_dword v85, off, s[0:3], 0 offset:856
	buffer_load_dword v86, off, s[0:3], 0 offset:860
	s_waitcnt vmcnt(2)
	v_add_f64 v[3:4], v[3:4], -v[21:22]
	s_waitcnt vmcnt(0)
	v_add_f64 v[1:2], v[85:86], -v[1:2]
	;; [unrolled: 19-line block ×3, first 2 shown]
	buffer_store_dword v4, off, s[0:3], 0 offset:868
	buffer_store_dword v3, off, s[0:3], 0 offset:864
	;; [unrolled: 1-line block ×4, first 2 shown]
	ds_read2_b64 v[1:4], v24 offset0:110 offset1:111
	s_clause 0x3
	buffer_load_dword v21, off, s[0:3], 0 offset:768
	buffer_load_dword v22, off, s[0:3], 0 offset:772
	;; [unrolled: 1-line block ×4, first 2 shown]
	s_waitcnt vmcnt(0) lgkmcnt(0)
	v_mul_f64 v[197:198], v[3:4], v[85:86]
	v_fma_f64 v[197:198], v[1:2], v[21:22], -v[197:198]
	v_mul_f64 v[1:2], v[1:2], v[85:86]
	v_fma_f64 v[1:2], v[3:4], v[21:22], v[1:2]
	s_clause 0x1
	buffer_load_dword v4, off, s[0:3], 0 offset:884
	buffer_load_dword v3, off, s[0:3], 0 offset:880
	s_waitcnt vmcnt(0)
	v_add_f64 v[3:4], v[3:4], -v[197:198]
	s_clause 0x1
	buffer_load_dword v198, off, s[0:3], 0 offset:892
	buffer_load_dword v197, off, s[0:3], 0 offset:888
	s_waitcnt vmcnt(0)
	v_add_f64 v[1:2], v[197:198], -v[1:2]
	buffer_store_dword v4, off, s[0:3], 0 offset:884
	buffer_store_dword v3, off, s[0:3], 0 offset:880
	buffer_store_dword v2, off, s[0:3], 0 offset:892
	buffer_store_dword v1, off, s[0:3], 0 offset:888
	ds_read2_b64 v[1:4], v24 offset0:112 offset1:113
	s_waitcnt lgkmcnt(0)
	v_mul_f64 v[197:198], v[3:4], v[85:86]
	v_fma_f64 v[197:198], v[1:2], v[21:22], -v[197:198]
	v_mul_f64 v[1:2], v[1:2], v[85:86]
	v_fma_f64 v[1:2], v[3:4], v[21:22], v[1:2]
	s_clause 0x3
	buffer_load_dword v3, off, s[0:3], 0 offset:896
	buffer_load_dword v4, off, s[0:3], 0 offset:900
	buffer_load_dword v199, off, s[0:3], 0 offset:904
	buffer_load_dword v200, off, s[0:3], 0 offset:908
	s_waitcnt vmcnt(2)
	v_add_f64 v[3:4], v[3:4], -v[197:198]
	s_waitcnt vmcnt(0)
	v_add_f64 v[1:2], v[199:200], -v[1:2]
	buffer_store_dword v4, off, s[0:3], 0 offset:900
	buffer_store_dword v3, off, s[0:3], 0 offset:896
	buffer_store_dword v2, off, s[0:3], 0 offset:908
	buffer_store_dword v1, off, s[0:3], 0 offset:904
	ds_read2_b64 v[1:4], v24 offset0:114 offset1:115
	s_waitcnt lgkmcnt(0)
	v_mul_f64 v[197:198], v[3:4], v[85:86]
	v_fma_f64 v[197:198], v[1:2], v[21:22], -v[197:198]
	v_mul_f64 v[1:2], v[1:2], v[85:86]
	v_fma_f64 v[1:2], v[3:4], v[21:22], v[1:2]
	s_clause 0x3
	buffer_load_dword v3, off, s[0:3], 0 offset:912
	buffer_load_dword v4, off, s[0:3], 0 offset:916
	buffer_load_dword v199, off, s[0:3], 0 offset:920
	buffer_load_dword v200, off, s[0:3], 0 offset:924
	s_waitcnt vmcnt(2)
	v_add_f64 v[3:4], v[3:4], -v[197:198]
	;; [unrolled: 19-line block ×5, first 2 shown]
	s_waitcnt vmcnt(0)
	v_add_f64 v[1:2], v[21:22], -v[1:2]
	buffer_store_dword v4, off, s[0:3], 0 offset:964
	buffer_store_dword v3, off, s[0:3], 0 offset:960
	;; [unrolled: 1-line block ×4, first 2 shown]
	ds_read2_b64 v[197:200], v24 offset0:122 offset1:123
	s_clause 0x3
	buffer_load_dword v1, off, s[0:3], 0 offset:768
	buffer_load_dword v2, off, s[0:3], 0 offset:772
	;; [unrolled: 1-line block ×4, first 2 shown]
	s_waitcnt vmcnt(0) lgkmcnt(0)
	v_mul_f64 v[21:22], v[199:200], v[3:4]
	v_mul_f64 v[85:86], v[197:198], v[3:4]
	v_fma_f64 v[21:22], v[197:198], v[1:2], -v[21:22]
	s_clause 0x1
	buffer_load_dword v198, off, s[0:3], 0 offset:980
	buffer_load_dword v197, off, s[0:3], 0 offset:976
	v_fma_f64 v[85:86], v[199:200], v[1:2], v[85:86]
	s_waitcnt vmcnt(0)
	v_add_f64 v[21:22], v[197:198], -v[21:22]
	s_clause 0x1
	buffer_load_dword v198, off, s[0:3], 0 offset:988
	buffer_load_dword v197, off, s[0:3], 0 offset:984
	s_waitcnt vmcnt(0)
	v_add_f64 v[85:86], v[197:198], -v[85:86]
	buffer_store_dword v22, off, s[0:3], 0 offset:980
	buffer_store_dword v21, off, s[0:3], 0 offset:976
	;; [unrolled: 1-line block ×4, first 2 shown]
	ds_read2_b64 v[197:200], v24 offset0:124 offset1:125
	s_waitcnt lgkmcnt(0)
	v_mul_f64 v[21:22], v[199:200], v[3:4]
	v_mul_f64 v[85:86], v[197:198], v[3:4]
	v_fma_f64 v[21:22], v[197:198], v[1:2], -v[21:22]
	v_fma_f64 v[85:86], v[199:200], v[1:2], v[85:86]
	s_clause 0x3
	buffer_load_dword v197, off, s[0:3], 0 offset:992
	buffer_load_dword v198, off, s[0:3], 0 offset:996
	;; [unrolled: 1-line block ×4, first 2 shown]
	s_waitcnt vmcnt(2)
	v_add_f64 v[21:22], v[197:198], -v[21:22]
	s_waitcnt vmcnt(0)
	v_add_f64 v[85:86], v[199:200], -v[85:86]
	buffer_store_dword v22, off, s[0:3], 0 offset:996
	buffer_store_dword v21, off, s[0:3], 0 offset:992
	;; [unrolled: 1-line block ×4, first 2 shown]
	ds_read2_b64 v[197:200], v24 offset0:126 offset1:127
	s_waitcnt lgkmcnt(0)
	v_mul_f64 v[21:22], v[199:200], v[3:4]
	v_mul_f64 v[3:4], v[197:198], v[3:4]
	v_fma_f64 v[21:22], v[197:198], v[1:2], -v[21:22]
	v_fma_f64 v[1:2], v[199:200], v[1:2], v[3:4]
	s_clause 0x3
	buffer_load_dword v3, off, s[0:3], 0 offset:1008
	buffer_load_dword v4, off, s[0:3], 0 offset:1012
	;; [unrolled: 1-line block ×4, first 2 shown]
	s_waitcnt vmcnt(2)
	v_add_f64 v[3:4], v[3:4], -v[21:22]
	s_waitcnt vmcnt(0)
	v_add_f64 v[1:2], v[85:86], -v[1:2]
	buffer_store_dword v4, off, s[0:3], 0 offset:1012
	buffer_store_dword v3, off, s[0:3], 0 offset:1008
	;; [unrolled: 1-line block ×4, first 2 shown]
.LBB127_578:
	s_or_b32 exec_lo, exec_lo, s5
	s_mov_b32 s6, exec_lo
	s_waitcnt lgkmcnt(0)
	s_waitcnt_vscnt null, 0x0
	s_barrier
	buffer_gl0_inv
	v_cmpx_eq_u32_e32 49, v0
	s_cbranch_execz .LBB127_585
; %bb.579:
	v_mov_b32_e32 v4, s29
	s_clause 0x3
	buffer_load_dword v1, v4, s[0:3], 0 offen
	buffer_load_dword v2, v4, s[0:3], 0 offen offset:4
	buffer_load_dword v3, v4, s[0:3], 0 offen offset:8
	;; [unrolled: 1-line block ×3, first 2 shown]
	s_waitcnt vmcnt(0)
	ds_write2_b64 v23, v[1:2], v[3:4] offset1:1
	v_mov_b32_e32 v4, s28
	s_clause 0x3
	buffer_load_dword v1, v4, s[0:3], 0 offen
	buffer_load_dword v2, v4, s[0:3], 0 offen offset:4
	buffer_load_dword v3, v4, s[0:3], 0 offen offset:8
	buffer_load_dword v4, v4, s[0:3], 0 offen offset:12
	s_waitcnt vmcnt(0)
	ds_write2_b64 v24, v[1:2], v[3:4] offset0:100 offset1:101
	v_mov_b32_e32 v4, s27
	s_clause 0x3
	buffer_load_dword v1, v4, s[0:3], 0 offen
	buffer_load_dword v2, v4, s[0:3], 0 offen offset:4
	buffer_load_dword v3, v4, s[0:3], 0 offen offset:8
	buffer_load_dword v4, v4, s[0:3], 0 offen offset:12
	s_waitcnt vmcnt(0)
	ds_write2_b64 v24, v[1:2], v[3:4] offset0:102 offset1:103
	v_mov_b32_e32 v4, s26
	s_clause 0x3
	buffer_load_dword v1, v4, s[0:3], 0 offen
	buffer_load_dword v2, v4, s[0:3], 0 offen offset:4
	buffer_load_dword v3, v4, s[0:3], 0 offen offset:8
	buffer_load_dword v4, v4, s[0:3], 0 offen offset:12
	s_waitcnt vmcnt(0)
	ds_write2_b64 v24, v[1:2], v[3:4] offset0:104 offset1:105
	v_mov_b32_e32 v4, s25
	s_clause 0x3
	buffer_load_dword v1, v4, s[0:3], 0 offen
	buffer_load_dword v2, v4, s[0:3], 0 offen offset:4
	buffer_load_dword v3, v4, s[0:3], 0 offen offset:8
	buffer_load_dword v4, v4, s[0:3], 0 offen offset:12
	s_waitcnt vmcnt(0)
	ds_write2_b64 v24, v[1:2], v[3:4] offset0:106 offset1:107
	v_mov_b32_e32 v4, s24
	s_clause 0x3
	buffer_load_dword v1, v4, s[0:3], 0 offen
	buffer_load_dword v2, v4, s[0:3], 0 offen offset:4
	buffer_load_dword v3, v4, s[0:3], 0 offen offset:8
	buffer_load_dword v4, v4, s[0:3], 0 offen offset:12
	s_waitcnt vmcnt(0)
	ds_write2_b64 v24, v[1:2], v[3:4] offset0:108 offset1:109
	v_mov_b32_e32 v4, s23
	s_clause 0x3
	buffer_load_dword v1, v4, s[0:3], 0 offen
	buffer_load_dword v2, v4, s[0:3], 0 offen offset:4
	buffer_load_dword v3, v4, s[0:3], 0 offen offset:8
	buffer_load_dword v4, v4, s[0:3], 0 offen offset:12
	s_waitcnt vmcnt(0)
	ds_write2_b64 v24, v[1:2], v[3:4] offset0:110 offset1:111
	v_mov_b32_e32 v4, s22
	s_clause 0x3
	buffer_load_dword v1, v4, s[0:3], 0 offen
	buffer_load_dword v2, v4, s[0:3], 0 offen offset:4
	buffer_load_dword v3, v4, s[0:3], 0 offen offset:8
	buffer_load_dword v4, v4, s[0:3], 0 offen offset:12
	s_waitcnt vmcnt(0)
	ds_write2_b64 v24, v[1:2], v[3:4] offset0:112 offset1:113
	v_mov_b32_e32 v4, s21
	s_clause 0x3
	buffer_load_dword v1, v4, s[0:3], 0 offen
	buffer_load_dword v2, v4, s[0:3], 0 offen offset:4
	buffer_load_dword v3, v4, s[0:3], 0 offen offset:8
	buffer_load_dword v4, v4, s[0:3], 0 offen offset:12
	s_waitcnt vmcnt(0)
	ds_write2_b64 v24, v[1:2], v[3:4] offset0:114 offset1:115
	v_mov_b32_e32 v4, s20
	s_clause 0x3
	buffer_load_dword v1, v4, s[0:3], 0 offen
	buffer_load_dword v2, v4, s[0:3], 0 offen offset:4
	buffer_load_dword v3, v4, s[0:3], 0 offen offset:8
	buffer_load_dword v4, v4, s[0:3], 0 offen offset:12
	s_waitcnt vmcnt(0)
	ds_write2_b64 v24, v[1:2], v[3:4] offset0:116 offset1:117
	v_mov_b32_e32 v4, s19
	s_clause 0x3
	buffer_load_dword v1, v4, s[0:3], 0 offen
	buffer_load_dword v2, v4, s[0:3], 0 offen offset:4
	buffer_load_dword v3, v4, s[0:3], 0 offen offset:8
	buffer_load_dword v4, v4, s[0:3], 0 offen offset:12
	s_waitcnt vmcnt(0)
	ds_write2_b64 v24, v[1:2], v[3:4] offset0:118 offset1:119
	v_mov_b32_e32 v4, s18
	s_clause 0x3
	buffer_load_dword v1, v4, s[0:3], 0 offen
	buffer_load_dword v2, v4, s[0:3], 0 offen offset:4
	buffer_load_dword v3, v4, s[0:3], 0 offen offset:8
	buffer_load_dword v4, v4, s[0:3], 0 offen offset:12
	s_waitcnt vmcnt(0)
	ds_write2_b64 v24, v[1:2], v[3:4] offset0:120 offset1:121
	v_mov_b32_e32 v4, s16
	s_clause 0x3
	buffer_load_dword v1, v4, s[0:3], 0 offen
	buffer_load_dword v2, v4, s[0:3], 0 offen offset:4
	buffer_load_dword v3, v4, s[0:3], 0 offen offset:8
	buffer_load_dword v4, v4, s[0:3], 0 offen offset:12
	s_waitcnt vmcnt(0)
	ds_write2_b64 v24, v[1:2], v[3:4] offset0:122 offset1:123
	v_mov_b32_e32 v4, s13
	s_clause 0x3
	buffer_load_dword v1, v4, s[0:3], 0 offen
	buffer_load_dword v2, v4, s[0:3], 0 offen offset:4
	buffer_load_dword v3, v4, s[0:3], 0 offen offset:8
	buffer_load_dword v4, v4, s[0:3], 0 offen offset:12
	s_waitcnt vmcnt(0)
	ds_write2_b64 v24, v[1:2], v[3:4] offset0:124 offset1:125
	v_mov_b32_e32 v4, s12
	s_clause 0x3
	buffer_load_dword v1, v4, s[0:3], 0 offen
	buffer_load_dword v2, v4, s[0:3], 0 offen offset:4
	buffer_load_dword v3, v4, s[0:3], 0 offen offset:8
	buffer_load_dword v4, v4, s[0:3], 0 offen offset:12
	s_waitcnt vmcnt(0)
	ds_write2_b64 v24, v[1:2], v[3:4] offset0:126 offset1:127
	ds_read2_b64 v[1:4], v23 offset1:1
	s_waitcnt lgkmcnt(0)
	v_cmp_neq_f64_e32 vcc_lo, 0, v[1:2]
	v_cmp_neq_f64_e64 s5, 0, v[3:4]
	s_or_b32 s5, vcc_lo, s5
	s_and_b32 exec_lo, exec_lo, s5
	s_cbranch_execz .LBB127_585
; %bb.580:
	v_cmp_ngt_f64_e64 s5, |v[1:2]|, |v[3:4]|
                                        ; implicit-def: $vgpr85_vgpr86
	s_and_saveexec_b32 s7, s5
	s_xor_b32 s5, exec_lo, s7
                                        ; implicit-def: $vgpr21_vgpr22
	s_cbranch_execz .LBB127_582
; %bb.581:
	v_div_scale_f64 v[21:22], null, v[3:4], v[3:4], v[1:2]
	v_div_scale_f64 v[199:200], vcc_lo, v[1:2], v[3:4], v[1:2]
	v_rcp_f64_e32 v[85:86], v[21:22]
	v_fma_f64 v[197:198], -v[21:22], v[85:86], 1.0
	v_fma_f64 v[85:86], v[85:86], v[197:198], v[85:86]
	v_fma_f64 v[197:198], -v[21:22], v[85:86], 1.0
	v_fma_f64 v[85:86], v[85:86], v[197:198], v[85:86]
	v_mul_f64 v[197:198], v[199:200], v[85:86]
	v_fma_f64 v[21:22], -v[21:22], v[197:198], v[199:200]
	v_div_fmas_f64 v[21:22], v[21:22], v[85:86], v[197:198]
	v_div_fixup_f64 v[85:86], v[21:22], v[3:4], v[1:2]
	v_fma_f64 v[1:2], v[1:2], v[85:86], v[3:4]
	v_div_scale_f64 v[3:4], null, v[1:2], v[1:2], 1.0
	v_rcp_f64_e32 v[21:22], v[3:4]
	v_fma_f64 v[197:198], -v[3:4], v[21:22], 1.0
	v_fma_f64 v[21:22], v[21:22], v[197:198], v[21:22]
	v_fma_f64 v[197:198], -v[3:4], v[21:22], 1.0
	v_fma_f64 v[21:22], v[21:22], v[197:198], v[21:22]
	v_div_scale_f64 v[197:198], vcc_lo, 1.0, v[1:2], 1.0
	v_mul_f64 v[199:200], v[197:198], v[21:22]
	v_fma_f64 v[3:4], -v[3:4], v[199:200], v[197:198]
	v_div_fmas_f64 v[3:4], v[3:4], v[21:22], v[199:200]
	v_div_fixup_f64 v[21:22], v[3:4], v[1:2], 1.0
                                        ; implicit-def: $vgpr1_vgpr2
	v_mul_f64 v[85:86], v[85:86], v[21:22]
	v_xor_b32_e32 v22, 0x80000000, v22
.LBB127_582:
	s_andn2_saveexec_b32 s5, s5
	s_cbranch_execz .LBB127_584
; %bb.583:
	v_div_scale_f64 v[21:22], null, v[1:2], v[1:2], v[3:4]
	v_div_scale_f64 v[199:200], vcc_lo, v[3:4], v[1:2], v[3:4]
	v_rcp_f64_e32 v[85:86], v[21:22]
	v_fma_f64 v[197:198], -v[21:22], v[85:86], 1.0
	v_fma_f64 v[85:86], v[85:86], v[197:198], v[85:86]
	v_fma_f64 v[197:198], -v[21:22], v[85:86], 1.0
	v_fma_f64 v[85:86], v[85:86], v[197:198], v[85:86]
	v_mul_f64 v[197:198], v[199:200], v[85:86]
	v_fma_f64 v[21:22], -v[21:22], v[197:198], v[199:200]
	v_div_fmas_f64 v[21:22], v[21:22], v[85:86], v[197:198]
	v_div_fixup_f64 v[21:22], v[21:22], v[1:2], v[3:4]
	v_fma_f64 v[1:2], v[3:4], v[21:22], v[1:2]
	v_div_scale_f64 v[3:4], null, v[1:2], v[1:2], 1.0
	v_rcp_f64_e32 v[85:86], v[3:4]
	v_fma_f64 v[197:198], -v[3:4], v[85:86], 1.0
	v_fma_f64 v[85:86], v[85:86], v[197:198], v[85:86]
	v_fma_f64 v[197:198], -v[3:4], v[85:86], 1.0
	v_fma_f64 v[85:86], v[85:86], v[197:198], v[85:86]
	v_div_scale_f64 v[197:198], vcc_lo, 1.0, v[1:2], 1.0
	v_mul_f64 v[199:200], v[197:198], v[85:86]
	v_fma_f64 v[3:4], -v[3:4], v[199:200], v[197:198]
	v_div_fmas_f64 v[3:4], v[3:4], v[85:86], v[199:200]
	v_div_fixup_f64 v[85:86], v[3:4], v[1:2], 1.0
	v_mul_f64 v[21:22], v[21:22], -v[85:86]
.LBB127_584:
	s_or_b32 exec_lo, exec_lo, s5
	ds_write2_b64 v23, v[85:86], v[21:22] offset1:1
.LBB127_585:
	s_or_b32 exec_lo, exec_lo, s6
	s_waitcnt lgkmcnt(0)
	s_barrier
	buffer_gl0_inv
	ds_read2_b64 v[197:200], v23 offset1:1
	s_mov_b32 s5, exec_lo
	v_cmpx_lt_u32_e32 49, v0
	s_cbranch_execz .LBB127_587
; %bb.586:
	s_clause 0xf
	buffer_load_dword v1, off, s[0:3], 0 offset:784
	buffer_load_dword v2, off, s[0:3], 0 offset:788
	;; [unrolled: 1-line block ×16, first 2 shown]
	s_waitcnt vmcnt(12) lgkmcnt(0)
	v_mul_f64 v[209:210], v[199:200], v[3:4]
	v_mul_f64 v[3:4], v[197:198], v[3:4]
	v_fma_f64 v[209:210], v[197:198], v[1:2], -v[209:210]
	v_fma_f64 v[211:212], v[199:200], v[1:2], v[3:4]
	buffer_store_dword v209, off, s[0:3], 0 offset:784
	buffer_store_dword v210, off, s[0:3], 0 offset:788
	buffer_store_dword v211, off, s[0:3], 0 offset:792
	buffer_store_dword v212, off, s[0:3], 0 offset:796
	ds_read2_b64 v[1:4], v24 offset0:100 offset1:101
	s_waitcnt lgkmcnt(0)
	v_mul_f64 v[213:214], v[3:4], v[211:212]
	v_fma_f64 v[213:214], v[1:2], v[209:210], -v[213:214]
	v_mul_f64 v[1:2], v[1:2], v[211:212]
	v_fma_f64 v[1:2], v[3:4], v[209:210], v[1:2]
	s_waitcnt vmcnt(10)
	v_add_f64 v[3:4], v[21:22], -v[213:214]
	s_waitcnt vmcnt(8)
	v_add_f64 v[1:2], v[85:86], -v[1:2]
	buffer_store_dword v3, off, s[0:3], 0 offset:800
	buffer_store_dword v4, off, s[0:3], 0 offset:804
	buffer_store_dword v1, off, s[0:3], 0 offset:808
	buffer_store_dword v2, off, s[0:3], 0 offset:812
	ds_read2_b64 v[1:4], v24 offset0:102 offset1:103
	s_waitcnt lgkmcnt(0)
	v_mul_f64 v[21:22], v[3:4], v[211:212]
	v_fma_f64 v[21:22], v[1:2], v[209:210], -v[21:22]
	v_mul_f64 v[1:2], v[1:2], v[211:212]
	v_fma_f64 v[1:2], v[3:4], v[209:210], v[1:2]
	s_waitcnt vmcnt(6)
	v_add_f64 v[3:4], v[201:202], -v[21:22]
	s_waitcnt vmcnt(4)
	v_add_f64 v[1:2], v[203:204], -v[1:2]
	;; [unrolled: 14-line block ×3, first 2 shown]
	buffer_store_dword v4, off, s[0:3], 0 offset:836
	buffer_store_dword v3, off, s[0:3], 0 offset:832
	buffer_store_dword v1, off, s[0:3], 0 offset:840
	buffer_store_dword v2, off, s[0:3], 0 offset:844
	ds_read2_b64 v[1:4], v24 offset0:106 offset1:107
	s_waitcnt lgkmcnt(0)
	v_mul_f64 v[21:22], v[3:4], v[211:212]
	v_fma_f64 v[21:22], v[1:2], v[209:210], -v[21:22]
	v_mul_f64 v[1:2], v[1:2], v[211:212]
	v_fma_f64 v[1:2], v[3:4], v[209:210], v[1:2]
	s_clause 0x3
	buffer_load_dword v3, off, s[0:3], 0 offset:848
	buffer_load_dword v4, off, s[0:3], 0 offset:852
	buffer_load_dword v85, off, s[0:3], 0 offset:856
	buffer_load_dword v86, off, s[0:3], 0 offset:860
	s_waitcnt vmcnt(2)
	v_add_f64 v[3:4], v[3:4], -v[21:22]
	s_waitcnt vmcnt(0)
	v_add_f64 v[1:2], v[85:86], -v[1:2]
	buffer_store_dword v4, off, s[0:3], 0 offset:852
	buffer_store_dword v3, off, s[0:3], 0 offset:848
	buffer_store_dword v2, off, s[0:3], 0 offset:860
	buffer_store_dword v1, off, s[0:3], 0 offset:856
	ds_read2_b64 v[1:4], v24 offset0:108 offset1:109
	s_waitcnt lgkmcnt(0)
	v_mul_f64 v[21:22], v[3:4], v[211:212]
	v_fma_f64 v[21:22], v[1:2], v[209:210], -v[21:22]
	v_mul_f64 v[1:2], v[1:2], v[211:212]
	v_fma_f64 v[1:2], v[3:4], v[209:210], v[1:2]
	s_clause 0x3
	buffer_load_dword v3, off, s[0:3], 0 offset:864
	buffer_load_dword v4, off, s[0:3], 0 offset:868
	buffer_load_dword v85, off, s[0:3], 0 offset:872
	buffer_load_dword v86, off, s[0:3], 0 offset:876
	s_waitcnt vmcnt(2)
	v_add_f64 v[3:4], v[3:4], -v[21:22]
	s_waitcnt vmcnt(0)
	v_add_f64 v[1:2], v[85:86], -v[1:2]
	;; [unrolled: 19-line block ×3, first 2 shown]
	buffer_store_dword v4, off, s[0:3], 0 offset:884
	buffer_store_dword v3, off, s[0:3], 0 offset:880
	;; [unrolled: 1-line block ×4, first 2 shown]
	ds_read2_b64 v[1:4], v24 offset0:112 offset1:113
	s_clause 0x3
	buffer_load_dword v21, off, s[0:3], 0 offset:784
	buffer_load_dword v22, off, s[0:3], 0 offset:788
	;; [unrolled: 1-line block ×4, first 2 shown]
	s_waitcnt vmcnt(0) lgkmcnt(0)
	v_mul_f64 v[201:202], v[3:4], v[85:86]
	v_fma_f64 v[201:202], v[1:2], v[21:22], -v[201:202]
	v_mul_f64 v[1:2], v[1:2], v[85:86]
	v_fma_f64 v[1:2], v[3:4], v[21:22], v[1:2]
	s_clause 0x1
	buffer_load_dword v4, off, s[0:3], 0 offset:900
	buffer_load_dword v3, off, s[0:3], 0 offset:896
	s_waitcnt vmcnt(0)
	v_add_f64 v[3:4], v[3:4], -v[201:202]
	s_clause 0x1
	buffer_load_dword v202, off, s[0:3], 0 offset:908
	buffer_load_dword v201, off, s[0:3], 0 offset:904
	s_waitcnt vmcnt(0)
	v_add_f64 v[1:2], v[201:202], -v[1:2]
	buffer_store_dword v4, off, s[0:3], 0 offset:900
	buffer_store_dword v3, off, s[0:3], 0 offset:896
	buffer_store_dword v2, off, s[0:3], 0 offset:908
	buffer_store_dword v1, off, s[0:3], 0 offset:904
	ds_read2_b64 v[1:4], v24 offset0:114 offset1:115
	s_waitcnt lgkmcnt(0)
	v_mul_f64 v[201:202], v[3:4], v[85:86]
	v_fma_f64 v[201:202], v[1:2], v[21:22], -v[201:202]
	v_mul_f64 v[1:2], v[1:2], v[85:86]
	v_fma_f64 v[1:2], v[3:4], v[21:22], v[1:2]
	s_clause 0x3
	buffer_load_dword v3, off, s[0:3], 0 offset:912
	buffer_load_dword v4, off, s[0:3], 0 offset:916
	buffer_load_dword v203, off, s[0:3], 0 offset:920
	buffer_load_dword v204, off, s[0:3], 0 offset:924
	s_waitcnt vmcnt(2)
	v_add_f64 v[3:4], v[3:4], -v[201:202]
	s_waitcnt vmcnt(0)
	v_add_f64 v[1:2], v[203:204], -v[1:2]
	buffer_store_dword v4, off, s[0:3], 0 offset:916
	buffer_store_dword v3, off, s[0:3], 0 offset:912
	buffer_store_dword v2, off, s[0:3], 0 offset:924
	buffer_store_dword v1, off, s[0:3], 0 offset:920
	ds_read2_b64 v[1:4], v24 offset0:116 offset1:117
	s_waitcnt lgkmcnt(0)
	v_mul_f64 v[201:202], v[3:4], v[85:86]
	v_fma_f64 v[201:202], v[1:2], v[21:22], -v[201:202]
	v_mul_f64 v[1:2], v[1:2], v[85:86]
	v_fma_f64 v[1:2], v[3:4], v[21:22], v[1:2]
	s_clause 0x3
	buffer_load_dword v3, off, s[0:3], 0 offset:928
	buffer_load_dword v4, off, s[0:3], 0 offset:932
	buffer_load_dword v203, off, s[0:3], 0 offset:936
	buffer_load_dword v204, off, s[0:3], 0 offset:940
	s_waitcnt vmcnt(2)
	v_add_f64 v[3:4], v[3:4], -v[201:202]
	;; [unrolled: 19-line block ×5, first 2 shown]
	s_waitcnt vmcnt(0)
	v_add_f64 v[1:2], v[21:22], -v[1:2]
	buffer_store_dword v4, off, s[0:3], 0 offset:980
	buffer_store_dword v3, off, s[0:3], 0 offset:976
	;; [unrolled: 1-line block ×4, first 2 shown]
	ds_read2_b64 v[1:4], v24 offset0:124 offset1:125
	s_clause 0x3
	buffer_load_dword v21, off, s[0:3], 0 offset:784
	buffer_load_dword v22, off, s[0:3], 0 offset:788
	;; [unrolled: 1-line block ×4, first 2 shown]
	s_waitcnt vmcnt(0) lgkmcnt(0)
	v_mul_f64 v[201:202], v[3:4], v[85:86]
	v_fma_f64 v[201:202], v[1:2], v[21:22], -v[201:202]
	v_mul_f64 v[1:2], v[1:2], v[85:86]
	v_fma_f64 v[1:2], v[3:4], v[21:22], v[1:2]
	s_clause 0x1
	buffer_load_dword v4, off, s[0:3], 0 offset:996
	buffer_load_dword v3, off, s[0:3], 0 offset:992
	s_waitcnt vmcnt(0)
	v_add_f64 v[3:4], v[3:4], -v[201:202]
	s_clause 0x1
	buffer_load_dword v202, off, s[0:3], 0 offset:1004
	buffer_load_dword v201, off, s[0:3], 0 offset:1000
	s_waitcnt vmcnt(0)
	v_add_f64 v[1:2], v[201:202], -v[1:2]
	buffer_store_dword v4, off, s[0:3], 0 offset:996
	buffer_store_dword v3, off, s[0:3], 0 offset:992
	;; [unrolled: 1-line block ×4, first 2 shown]
	ds_read2_b64 v[1:4], v24 offset0:126 offset1:127
	s_waitcnt lgkmcnt(0)
	v_mul_f64 v[201:202], v[3:4], v[85:86]
	v_fma_f64 v[201:202], v[1:2], v[21:22], -v[201:202]
	v_mul_f64 v[1:2], v[1:2], v[85:86]
	v_fma_f64 v[1:2], v[3:4], v[21:22], v[1:2]
	s_clause 0x3
	buffer_load_dword v3, off, s[0:3], 0 offset:1008
	buffer_load_dword v4, off, s[0:3], 0 offset:1012
	;; [unrolled: 1-line block ×4, first 2 shown]
	s_waitcnt vmcnt(2)
	v_add_f64 v[3:4], v[3:4], -v[201:202]
	s_waitcnt vmcnt(0)
	v_add_f64 v[1:2], v[21:22], -v[1:2]
	buffer_store_dword v4, off, s[0:3], 0 offset:1012
	buffer_store_dword v3, off, s[0:3], 0 offset:1008
	;; [unrolled: 1-line block ×4, first 2 shown]
.LBB127_587:
	s_or_b32 exec_lo, exec_lo, s5
	s_mov_b32 s6, exec_lo
	s_waitcnt lgkmcnt(0)
	s_waitcnt_vscnt null, 0x0
	s_barrier
	buffer_gl0_inv
	v_cmpx_eq_u32_e32 50, v0
	s_cbranch_execz .LBB127_594
; %bb.588:
	v_mov_b32_e32 v4, s28
	s_clause 0x3
	buffer_load_dword v1, v4, s[0:3], 0 offen
	buffer_load_dword v2, v4, s[0:3], 0 offen offset:4
	buffer_load_dword v3, v4, s[0:3], 0 offen offset:8
	;; [unrolled: 1-line block ×3, first 2 shown]
	s_waitcnt vmcnt(0)
	ds_write2_b64 v23, v[1:2], v[3:4] offset1:1
	v_mov_b32_e32 v4, s27
	s_clause 0x3
	buffer_load_dword v1, v4, s[0:3], 0 offen
	buffer_load_dword v2, v4, s[0:3], 0 offen offset:4
	buffer_load_dword v3, v4, s[0:3], 0 offen offset:8
	buffer_load_dword v4, v4, s[0:3], 0 offen offset:12
	s_waitcnt vmcnt(0)
	ds_write2_b64 v24, v[1:2], v[3:4] offset0:102 offset1:103
	v_mov_b32_e32 v4, s26
	s_clause 0x3
	buffer_load_dword v1, v4, s[0:3], 0 offen
	buffer_load_dword v2, v4, s[0:3], 0 offen offset:4
	buffer_load_dword v3, v4, s[0:3], 0 offen offset:8
	buffer_load_dword v4, v4, s[0:3], 0 offen offset:12
	s_waitcnt vmcnt(0)
	ds_write2_b64 v24, v[1:2], v[3:4] offset0:104 offset1:105
	;; [unrolled: 8-line block ×13, first 2 shown]
	ds_read2_b64 v[1:4], v23 offset1:1
	s_waitcnt lgkmcnt(0)
	v_cmp_neq_f64_e32 vcc_lo, 0, v[1:2]
	v_cmp_neq_f64_e64 s5, 0, v[3:4]
	s_or_b32 s5, vcc_lo, s5
	s_and_b32 exec_lo, exec_lo, s5
	s_cbranch_execz .LBB127_594
; %bb.589:
	v_cmp_ngt_f64_e64 s5, |v[1:2]|, |v[3:4]|
                                        ; implicit-def: $vgpr85_vgpr86
	s_and_saveexec_b32 s7, s5
	s_xor_b32 s5, exec_lo, s7
                                        ; implicit-def: $vgpr21_vgpr22
	s_cbranch_execz .LBB127_591
; %bb.590:
	v_div_scale_f64 v[21:22], null, v[3:4], v[3:4], v[1:2]
	v_div_scale_f64 v[203:204], vcc_lo, v[1:2], v[3:4], v[1:2]
	v_rcp_f64_e32 v[85:86], v[21:22]
	v_fma_f64 v[201:202], -v[21:22], v[85:86], 1.0
	v_fma_f64 v[85:86], v[85:86], v[201:202], v[85:86]
	v_fma_f64 v[201:202], -v[21:22], v[85:86], 1.0
	v_fma_f64 v[85:86], v[85:86], v[201:202], v[85:86]
	v_mul_f64 v[201:202], v[203:204], v[85:86]
	v_fma_f64 v[21:22], -v[21:22], v[201:202], v[203:204]
	v_div_fmas_f64 v[21:22], v[21:22], v[85:86], v[201:202]
	v_div_fixup_f64 v[85:86], v[21:22], v[3:4], v[1:2]
	v_fma_f64 v[1:2], v[1:2], v[85:86], v[3:4]
	v_div_scale_f64 v[3:4], null, v[1:2], v[1:2], 1.0
	v_rcp_f64_e32 v[21:22], v[3:4]
	v_fma_f64 v[201:202], -v[3:4], v[21:22], 1.0
	v_fma_f64 v[21:22], v[21:22], v[201:202], v[21:22]
	v_fma_f64 v[201:202], -v[3:4], v[21:22], 1.0
	v_fma_f64 v[21:22], v[21:22], v[201:202], v[21:22]
	v_div_scale_f64 v[201:202], vcc_lo, 1.0, v[1:2], 1.0
	v_mul_f64 v[203:204], v[201:202], v[21:22]
	v_fma_f64 v[3:4], -v[3:4], v[203:204], v[201:202]
	v_div_fmas_f64 v[3:4], v[3:4], v[21:22], v[203:204]
	v_div_fixup_f64 v[21:22], v[3:4], v[1:2], 1.0
                                        ; implicit-def: $vgpr1_vgpr2
	v_mul_f64 v[85:86], v[85:86], v[21:22]
	v_xor_b32_e32 v22, 0x80000000, v22
.LBB127_591:
	s_andn2_saveexec_b32 s5, s5
	s_cbranch_execz .LBB127_593
; %bb.592:
	v_div_scale_f64 v[21:22], null, v[1:2], v[1:2], v[3:4]
	v_div_scale_f64 v[203:204], vcc_lo, v[3:4], v[1:2], v[3:4]
	v_rcp_f64_e32 v[85:86], v[21:22]
	v_fma_f64 v[201:202], -v[21:22], v[85:86], 1.0
	v_fma_f64 v[85:86], v[85:86], v[201:202], v[85:86]
	v_fma_f64 v[201:202], -v[21:22], v[85:86], 1.0
	v_fma_f64 v[85:86], v[85:86], v[201:202], v[85:86]
	v_mul_f64 v[201:202], v[203:204], v[85:86]
	v_fma_f64 v[21:22], -v[21:22], v[201:202], v[203:204]
	v_div_fmas_f64 v[21:22], v[21:22], v[85:86], v[201:202]
	v_div_fixup_f64 v[21:22], v[21:22], v[1:2], v[3:4]
	v_fma_f64 v[1:2], v[3:4], v[21:22], v[1:2]
	v_div_scale_f64 v[3:4], null, v[1:2], v[1:2], 1.0
	v_rcp_f64_e32 v[85:86], v[3:4]
	v_fma_f64 v[201:202], -v[3:4], v[85:86], 1.0
	v_fma_f64 v[85:86], v[85:86], v[201:202], v[85:86]
	v_fma_f64 v[201:202], -v[3:4], v[85:86], 1.0
	v_fma_f64 v[85:86], v[85:86], v[201:202], v[85:86]
	v_div_scale_f64 v[201:202], vcc_lo, 1.0, v[1:2], 1.0
	v_mul_f64 v[203:204], v[201:202], v[85:86]
	v_fma_f64 v[3:4], -v[3:4], v[203:204], v[201:202]
	v_div_fmas_f64 v[3:4], v[3:4], v[85:86], v[203:204]
	v_div_fixup_f64 v[85:86], v[3:4], v[1:2], 1.0
	v_mul_f64 v[21:22], v[21:22], -v[85:86]
.LBB127_593:
	s_or_b32 exec_lo, exec_lo, s5
	ds_write2_b64 v23, v[85:86], v[21:22] offset1:1
.LBB127_594:
	s_or_b32 exec_lo, exec_lo, s6
	s_waitcnt lgkmcnt(0)
	s_barrier
	buffer_gl0_inv
	ds_read2_b64 v[201:204], v23 offset1:1
	s_mov_b32 s5, exec_lo
	v_cmpx_lt_u32_e32 50, v0
	s_cbranch_execz .LBB127_596
; %bb.595:
	s_clause 0xf
	buffer_load_dword v1, off, s[0:3], 0 offset:800
	buffer_load_dword v2, off, s[0:3], 0 offset:804
	;; [unrolled: 1-line block ×16, first 2 shown]
	s_waitcnt vmcnt(12) lgkmcnt(0)
	v_mul_f64 v[213:214], v[203:204], v[3:4]
	v_mul_f64 v[3:4], v[201:202], v[3:4]
	v_fma_f64 v[213:214], v[201:202], v[1:2], -v[213:214]
	v_fma_f64 v[215:216], v[203:204], v[1:2], v[3:4]
	buffer_store_dword v213, off, s[0:3], 0 offset:800
	buffer_store_dword v214, off, s[0:3], 0 offset:804
	buffer_store_dword v215, off, s[0:3], 0 offset:808
	buffer_store_dword v216, off, s[0:3], 0 offset:812
	ds_read2_b64 v[1:4], v24 offset0:102 offset1:103
	s_waitcnt lgkmcnt(0)
	v_mul_f64 v[217:218], v[3:4], v[215:216]
	v_fma_f64 v[217:218], v[1:2], v[213:214], -v[217:218]
	v_mul_f64 v[1:2], v[1:2], v[215:216]
	v_fma_f64 v[1:2], v[3:4], v[213:214], v[1:2]
	s_waitcnt vmcnt(10)
	v_add_f64 v[3:4], v[21:22], -v[217:218]
	s_waitcnt vmcnt(8)
	v_add_f64 v[1:2], v[85:86], -v[1:2]
	buffer_store_dword v3, off, s[0:3], 0 offset:816
	buffer_store_dword v4, off, s[0:3], 0 offset:820
	buffer_store_dword v1, off, s[0:3], 0 offset:824
	buffer_store_dword v2, off, s[0:3], 0 offset:828
	ds_read2_b64 v[1:4], v24 offset0:104 offset1:105
	s_waitcnt lgkmcnt(0)
	v_mul_f64 v[21:22], v[3:4], v[215:216]
	v_fma_f64 v[21:22], v[1:2], v[213:214], -v[21:22]
	v_mul_f64 v[1:2], v[1:2], v[215:216]
	v_fma_f64 v[1:2], v[3:4], v[213:214], v[1:2]
	s_waitcnt vmcnt(6)
	v_add_f64 v[3:4], v[205:206], -v[21:22]
	s_waitcnt vmcnt(4)
	v_add_f64 v[1:2], v[207:208], -v[1:2]
	;; [unrolled: 14-line block ×3, first 2 shown]
	buffer_store_dword v4, off, s[0:3], 0 offset:852
	buffer_store_dword v3, off, s[0:3], 0 offset:848
	buffer_store_dword v1, off, s[0:3], 0 offset:856
	buffer_store_dword v2, off, s[0:3], 0 offset:860
	ds_read2_b64 v[1:4], v24 offset0:108 offset1:109
	s_waitcnt lgkmcnt(0)
	v_mul_f64 v[21:22], v[3:4], v[215:216]
	v_fma_f64 v[21:22], v[1:2], v[213:214], -v[21:22]
	v_mul_f64 v[1:2], v[1:2], v[215:216]
	v_fma_f64 v[1:2], v[3:4], v[213:214], v[1:2]
	s_clause 0x3
	buffer_load_dword v3, off, s[0:3], 0 offset:864
	buffer_load_dword v4, off, s[0:3], 0 offset:868
	buffer_load_dword v85, off, s[0:3], 0 offset:872
	buffer_load_dword v86, off, s[0:3], 0 offset:876
	s_waitcnt vmcnt(2)
	v_add_f64 v[3:4], v[3:4], -v[21:22]
	s_waitcnt vmcnt(0)
	v_add_f64 v[1:2], v[85:86], -v[1:2]
	buffer_store_dword v4, off, s[0:3], 0 offset:868
	buffer_store_dword v3, off, s[0:3], 0 offset:864
	buffer_store_dword v2, off, s[0:3], 0 offset:876
	buffer_store_dword v1, off, s[0:3], 0 offset:872
	ds_read2_b64 v[1:4], v24 offset0:110 offset1:111
	s_waitcnt lgkmcnt(0)
	v_mul_f64 v[21:22], v[3:4], v[215:216]
	v_fma_f64 v[21:22], v[1:2], v[213:214], -v[21:22]
	v_mul_f64 v[1:2], v[1:2], v[215:216]
	v_fma_f64 v[1:2], v[3:4], v[213:214], v[1:2]
	s_clause 0x3
	buffer_load_dword v3, off, s[0:3], 0 offset:880
	buffer_load_dword v4, off, s[0:3], 0 offset:884
	buffer_load_dword v85, off, s[0:3], 0 offset:888
	buffer_load_dword v86, off, s[0:3], 0 offset:892
	s_waitcnt vmcnt(2)
	v_add_f64 v[3:4], v[3:4], -v[21:22]
	s_waitcnt vmcnt(0)
	v_add_f64 v[1:2], v[85:86], -v[1:2]
	;; [unrolled: 19-line block ×3, first 2 shown]
	buffer_store_dword v4, off, s[0:3], 0 offset:900
	buffer_store_dword v3, off, s[0:3], 0 offset:896
	;; [unrolled: 1-line block ×4, first 2 shown]
	ds_read2_b64 v[1:4], v24 offset0:114 offset1:115
	s_clause 0x3
	buffer_load_dword v21, off, s[0:3], 0 offset:800
	buffer_load_dword v22, off, s[0:3], 0 offset:804
	buffer_load_dword v85, off, s[0:3], 0 offset:808
	buffer_load_dword v86, off, s[0:3], 0 offset:812
	s_waitcnt vmcnt(0) lgkmcnt(0)
	v_mul_f64 v[205:206], v[3:4], v[85:86]
	v_fma_f64 v[205:206], v[1:2], v[21:22], -v[205:206]
	v_mul_f64 v[1:2], v[1:2], v[85:86]
	v_fma_f64 v[1:2], v[3:4], v[21:22], v[1:2]
	s_clause 0x1
	buffer_load_dword v4, off, s[0:3], 0 offset:916
	buffer_load_dword v3, off, s[0:3], 0 offset:912
	s_waitcnt vmcnt(0)
	v_add_f64 v[3:4], v[3:4], -v[205:206]
	s_clause 0x1
	buffer_load_dword v206, off, s[0:3], 0 offset:924
	buffer_load_dword v205, off, s[0:3], 0 offset:920
	s_waitcnt vmcnt(0)
	v_add_f64 v[1:2], v[205:206], -v[1:2]
	buffer_store_dword v4, off, s[0:3], 0 offset:916
	buffer_store_dword v3, off, s[0:3], 0 offset:912
	buffer_store_dword v2, off, s[0:3], 0 offset:924
	buffer_store_dword v1, off, s[0:3], 0 offset:920
	ds_read2_b64 v[1:4], v24 offset0:116 offset1:117
	s_waitcnt lgkmcnt(0)
	v_mul_f64 v[205:206], v[3:4], v[85:86]
	v_fma_f64 v[205:206], v[1:2], v[21:22], -v[205:206]
	v_mul_f64 v[1:2], v[1:2], v[85:86]
	v_fma_f64 v[1:2], v[3:4], v[21:22], v[1:2]
	s_clause 0x3
	buffer_load_dword v3, off, s[0:3], 0 offset:928
	buffer_load_dword v4, off, s[0:3], 0 offset:932
	buffer_load_dword v207, off, s[0:3], 0 offset:936
	buffer_load_dword v208, off, s[0:3], 0 offset:940
	s_waitcnt vmcnt(2)
	v_add_f64 v[3:4], v[3:4], -v[205:206]
	s_waitcnt vmcnt(0)
	v_add_f64 v[1:2], v[207:208], -v[1:2]
	buffer_store_dword v4, off, s[0:3], 0 offset:932
	buffer_store_dword v3, off, s[0:3], 0 offset:928
	buffer_store_dword v2, off, s[0:3], 0 offset:940
	buffer_store_dword v1, off, s[0:3], 0 offset:936
	ds_read2_b64 v[1:4], v24 offset0:118 offset1:119
	s_waitcnt lgkmcnt(0)
	v_mul_f64 v[205:206], v[3:4], v[85:86]
	v_fma_f64 v[205:206], v[1:2], v[21:22], -v[205:206]
	v_mul_f64 v[1:2], v[1:2], v[85:86]
	v_fma_f64 v[1:2], v[3:4], v[21:22], v[1:2]
	s_clause 0x3
	buffer_load_dword v3, off, s[0:3], 0 offset:944
	buffer_load_dword v4, off, s[0:3], 0 offset:948
	buffer_load_dword v207, off, s[0:3], 0 offset:952
	buffer_load_dword v208, off, s[0:3], 0 offset:956
	s_waitcnt vmcnt(2)
	v_add_f64 v[3:4], v[3:4], -v[205:206]
	s_waitcnt vmcnt(0)
	v_add_f64 v[1:2], v[207:208], -v[1:2]
	buffer_store_dword v4, off, s[0:3], 0 offset:948
	buffer_store_dword v3, off, s[0:3], 0 offset:944
	buffer_store_dword v2, off, s[0:3], 0 offset:956
	buffer_store_dword v1, off, s[0:3], 0 offset:952
	ds_read2_b64 v[1:4], v24 offset0:120 offset1:121
	s_waitcnt lgkmcnt(0)
	v_mul_f64 v[205:206], v[3:4], v[85:86]
	v_fma_f64 v[205:206], v[1:2], v[21:22], -v[205:206]
	v_mul_f64 v[1:2], v[1:2], v[85:86]
	v_fma_f64 v[1:2], v[3:4], v[21:22], v[1:2]
	s_clause 0x3
	buffer_load_dword v3, off, s[0:3], 0 offset:960
	buffer_load_dword v4, off, s[0:3], 0 offset:964
	buffer_load_dword v207, off, s[0:3], 0 offset:968
	buffer_load_dword v208, off, s[0:3], 0 offset:972
	s_waitcnt vmcnt(2)
	v_add_f64 v[3:4], v[3:4], -v[205:206]
	s_waitcnt vmcnt(0)
	v_add_f64 v[1:2], v[207:208], -v[1:2]
	buffer_store_dword v4, off, s[0:3], 0 offset:964
	buffer_store_dword v3, off, s[0:3], 0 offset:960
	buffer_store_dword v2, off, s[0:3], 0 offset:972
	buffer_store_dword v1, off, s[0:3], 0 offset:968
	ds_read2_b64 v[1:4], v24 offset0:122 offset1:123
	s_waitcnt lgkmcnt(0)
	v_mul_f64 v[205:206], v[3:4], v[85:86]
	v_fma_f64 v[205:206], v[1:2], v[21:22], -v[205:206]
	v_mul_f64 v[1:2], v[1:2], v[85:86]
	v_fma_f64 v[1:2], v[3:4], v[21:22], v[1:2]
	s_clause 0x3
	buffer_load_dword v3, off, s[0:3], 0 offset:976
	buffer_load_dword v4, off, s[0:3], 0 offset:980
	buffer_load_dword v207, off, s[0:3], 0 offset:984
	buffer_load_dword v208, off, s[0:3], 0 offset:988
	s_waitcnt vmcnt(2)
	v_add_f64 v[3:4], v[3:4], -v[205:206]
	s_waitcnt vmcnt(0)
	v_add_f64 v[1:2], v[207:208], -v[1:2]
	buffer_store_dword v4, off, s[0:3], 0 offset:980
	buffer_store_dword v3, off, s[0:3], 0 offset:976
	buffer_store_dword v2, off, s[0:3], 0 offset:988
	buffer_store_dword v1, off, s[0:3], 0 offset:984
	ds_read2_b64 v[1:4], v24 offset0:124 offset1:125
	s_waitcnt lgkmcnt(0)
	v_mul_f64 v[205:206], v[3:4], v[85:86]
	v_fma_f64 v[205:206], v[1:2], v[21:22], -v[205:206]
	v_mul_f64 v[1:2], v[1:2], v[85:86]
	v_fma_f64 v[1:2], v[3:4], v[21:22], v[1:2]
	s_clause 0x3
	buffer_load_dword v3, off, s[0:3], 0 offset:992
	buffer_load_dword v4, off, s[0:3], 0 offset:996
	buffer_load_dword v21, off, s[0:3], 0 offset:1000
	buffer_load_dword v22, off, s[0:3], 0 offset:1004
	s_waitcnt vmcnt(2)
	v_add_f64 v[3:4], v[3:4], -v[205:206]
	s_waitcnt vmcnt(0)
	v_add_f64 v[1:2], v[21:22], -v[1:2]
	buffer_store_dword v4, off, s[0:3], 0 offset:996
	buffer_store_dword v3, off, s[0:3], 0 offset:992
	;; [unrolled: 1-line block ×4, first 2 shown]
	ds_read2_b64 v[1:4], v24 offset0:126 offset1:127
	s_clause 0x3
	buffer_load_dword v21, off, s[0:3], 0 offset:800
	buffer_load_dword v22, off, s[0:3], 0 offset:804
	;; [unrolled: 1-line block ×4, first 2 shown]
	s_waitcnt vmcnt(0) lgkmcnt(0)
	v_mul_f64 v[205:206], v[3:4], v[85:86]
	v_fma_f64 v[205:206], v[1:2], v[21:22], -v[205:206]
	v_mul_f64 v[1:2], v[1:2], v[85:86]
	v_fma_f64 v[1:2], v[3:4], v[21:22], v[1:2]
	s_clause 0x3
	buffer_load_dword v4, off, s[0:3], 0 offset:1012
	buffer_load_dword v3, off, s[0:3], 0 offset:1008
	;; [unrolled: 1-line block ×4, first 2 shown]
	s_waitcnt vmcnt(2)
	v_add_f64 v[3:4], v[3:4], -v[205:206]
	s_waitcnt vmcnt(0)
	v_add_f64 v[1:2], v[21:22], -v[1:2]
	buffer_store_dword v4, off, s[0:3], 0 offset:1012
	buffer_store_dword v3, off, s[0:3], 0 offset:1008
	;; [unrolled: 1-line block ×4, first 2 shown]
.LBB127_596:
	s_or_b32 exec_lo, exec_lo, s5
	s_mov_b32 s6, exec_lo
	s_waitcnt lgkmcnt(0)
	s_waitcnt_vscnt null, 0x0
	s_barrier
	buffer_gl0_inv
	v_cmpx_eq_u32_e32 51, v0
	s_cbranch_execz .LBB127_603
; %bb.597:
	v_mov_b32_e32 v4, s27
	s_clause 0x3
	buffer_load_dword v1, v4, s[0:3], 0 offen
	buffer_load_dword v2, v4, s[0:3], 0 offen offset:4
	buffer_load_dword v3, v4, s[0:3], 0 offen offset:8
	;; [unrolled: 1-line block ×3, first 2 shown]
	s_waitcnt vmcnt(0)
	ds_write2_b64 v23, v[1:2], v[3:4] offset1:1
	v_mov_b32_e32 v4, s26
	s_clause 0x3
	buffer_load_dword v1, v4, s[0:3], 0 offen
	buffer_load_dword v2, v4, s[0:3], 0 offen offset:4
	buffer_load_dword v3, v4, s[0:3], 0 offen offset:8
	buffer_load_dword v4, v4, s[0:3], 0 offen offset:12
	s_waitcnt vmcnt(0)
	ds_write2_b64 v24, v[1:2], v[3:4] offset0:104 offset1:105
	v_mov_b32_e32 v4, s25
	s_clause 0x3
	buffer_load_dword v1, v4, s[0:3], 0 offen
	buffer_load_dword v2, v4, s[0:3], 0 offen offset:4
	buffer_load_dword v3, v4, s[0:3], 0 offen offset:8
	buffer_load_dword v4, v4, s[0:3], 0 offen offset:12
	s_waitcnt vmcnt(0)
	ds_write2_b64 v24, v[1:2], v[3:4] offset0:106 offset1:107
	;; [unrolled: 8-line block ×12, first 2 shown]
	ds_read2_b64 v[1:4], v23 offset1:1
	s_waitcnt lgkmcnt(0)
	v_cmp_neq_f64_e32 vcc_lo, 0, v[1:2]
	v_cmp_neq_f64_e64 s5, 0, v[3:4]
	s_or_b32 s5, vcc_lo, s5
	s_and_b32 exec_lo, exec_lo, s5
	s_cbranch_execz .LBB127_603
; %bb.598:
	v_cmp_ngt_f64_e64 s5, |v[1:2]|, |v[3:4]|
                                        ; implicit-def: $vgpr85_vgpr86
	s_and_saveexec_b32 s7, s5
	s_xor_b32 s5, exec_lo, s7
                                        ; implicit-def: $vgpr21_vgpr22
	s_cbranch_execz .LBB127_600
; %bb.599:
	v_div_scale_f64 v[21:22], null, v[3:4], v[3:4], v[1:2]
	v_div_scale_f64 v[207:208], vcc_lo, v[1:2], v[3:4], v[1:2]
	v_rcp_f64_e32 v[85:86], v[21:22]
	v_fma_f64 v[205:206], -v[21:22], v[85:86], 1.0
	v_fma_f64 v[85:86], v[85:86], v[205:206], v[85:86]
	v_fma_f64 v[205:206], -v[21:22], v[85:86], 1.0
	v_fma_f64 v[85:86], v[85:86], v[205:206], v[85:86]
	v_mul_f64 v[205:206], v[207:208], v[85:86]
	v_fma_f64 v[21:22], -v[21:22], v[205:206], v[207:208]
	v_div_fmas_f64 v[21:22], v[21:22], v[85:86], v[205:206]
	v_div_fixup_f64 v[85:86], v[21:22], v[3:4], v[1:2]
	v_fma_f64 v[1:2], v[1:2], v[85:86], v[3:4]
	v_div_scale_f64 v[3:4], null, v[1:2], v[1:2], 1.0
	v_rcp_f64_e32 v[21:22], v[3:4]
	v_fma_f64 v[205:206], -v[3:4], v[21:22], 1.0
	v_fma_f64 v[21:22], v[21:22], v[205:206], v[21:22]
	v_fma_f64 v[205:206], -v[3:4], v[21:22], 1.0
	v_fma_f64 v[21:22], v[21:22], v[205:206], v[21:22]
	v_div_scale_f64 v[205:206], vcc_lo, 1.0, v[1:2], 1.0
	v_mul_f64 v[207:208], v[205:206], v[21:22]
	v_fma_f64 v[3:4], -v[3:4], v[207:208], v[205:206]
	v_div_fmas_f64 v[3:4], v[3:4], v[21:22], v[207:208]
	v_div_fixup_f64 v[21:22], v[3:4], v[1:2], 1.0
                                        ; implicit-def: $vgpr1_vgpr2
	v_mul_f64 v[85:86], v[85:86], v[21:22]
	v_xor_b32_e32 v22, 0x80000000, v22
.LBB127_600:
	s_andn2_saveexec_b32 s5, s5
	s_cbranch_execz .LBB127_602
; %bb.601:
	v_div_scale_f64 v[21:22], null, v[1:2], v[1:2], v[3:4]
	v_div_scale_f64 v[207:208], vcc_lo, v[3:4], v[1:2], v[3:4]
	v_rcp_f64_e32 v[85:86], v[21:22]
	v_fma_f64 v[205:206], -v[21:22], v[85:86], 1.0
	v_fma_f64 v[85:86], v[85:86], v[205:206], v[85:86]
	v_fma_f64 v[205:206], -v[21:22], v[85:86], 1.0
	v_fma_f64 v[85:86], v[85:86], v[205:206], v[85:86]
	v_mul_f64 v[205:206], v[207:208], v[85:86]
	v_fma_f64 v[21:22], -v[21:22], v[205:206], v[207:208]
	v_div_fmas_f64 v[21:22], v[21:22], v[85:86], v[205:206]
	v_div_fixup_f64 v[21:22], v[21:22], v[1:2], v[3:4]
	v_fma_f64 v[1:2], v[3:4], v[21:22], v[1:2]
	v_div_scale_f64 v[3:4], null, v[1:2], v[1:2], 1.0
	v_rcp_f64_e32 v[85:86], v[3:4]
	v_fma_f64 v[205:206], -v[3:4], v[85:86], 1.0
	v_fma_f64 v[85:86], v[85:86], v[205:206], v[85:86]
	v_fma_f64 v[205:206], -v[3:4], v[85:86], 1.0
	v_fma_f64 v[85:86], v[85:86], v[205:206], v[85:86]
	v_div_scale_f64 v[205:206], vcc_lo, 1.0, v[1:2], 1.0
	v_mul_f64 v[207:208], v[205:206], v[85:86]
	v_fma_f64 v[3:4], -v[3:4], v[207:208], v[205:206]
	v_div_fmas_f64 v[3:4], v[3:4], v[85:86], v[207:208]
	v_div_fixup_f64 v[85:86], v[3:4], v[1:2], 1.0
	v_mul_f64 v[21:22], v[21:22], -v[85:86]
.LBB127_602:
	s_or_b32 exec_lo, exec_lo, s5
	ds_write2_b64 v23, v[85:86], v[21:22] offset1:1
.LBB127_603:
	s_or_b32 exec_lo, exec_lo, s6
	s_waitcnt lgkmcnt(0)
	s_barrier
	buffer_gl0_inv
	ds_read2_b64 v[205:208], v23 offset1:1
	s_mov_b32 s5, exec_lo
	v_cmpx_lt_u32_e32 51, v0
	s_cbranch_execz .LBB127_605
; %bb.604:
	s_clause 0xf
	buffer_load_dword v1, off, s[0:3], 0 offset:816
	buffer_load_dword v2, off, s[0:3], 0 offset:820
	;; [unrolled: 1-line block ×16, first 2 shown]
	s_waitcnt vmcnt(12) lgkmcnt(0)
	v_mul_f64 v[217:218], v[207:208], v[3:4]
	v_mul_f64 v[3:4], v[205:206], v[3:4]
	v_fma_f64 v[217:218], v[205:206], v[1:2], -v[217:218]
	v_fma_f64 v[219:220], v[207:208], v[1:2], v[3:4]
	buffer_store_dword v217, off, s[0:3], 0 offset:816
	buffer_store_dword v218, off, s[0:3], 0 offset:820
	buffer_store_dword v219, off, s[0:3], 0 offset:824
	buffer_store_dword v220, off, s[0:3], 0 offset:828
	ds_read2_b64 v[1:4], v24 offset0:104 offset1:105
	s_waitcnt lgkmcnt(0)
	v_mul_f64 v[221:222], v[3:4], v[219:220]
	v_fma_f64 v[221:222], v[1:2], v[217:218], -v[221:222]
	v_mul_f64 v[1:2], v[1:2], v[219:220]
	v_fma_f64 v[1:2], v[3:4], v[217:218], v[1:2]
	s_waitcnt vmcnt(10)
	v_add_f64 v[3:4], v[21:22], -v[221:222]
	s_waitcnt vmcnt(8)
	v_add_f64 v[1:2], v[85:86], -v[1:2]
	buffer_store_dword v3, off, s[0:3], 0 offset:832
	buffer_store_dword v4, off, s[0:3], 0 offset:836
	buffer_store_dword v1, off, s[0:3], 0 offset:840
	buffer_store_dword v2, off, s[0:3], 0 offset:844
	ds_read2_b64 v[1:4], v24 offset0:106 offset1:107
	s_waitcnt lgkmcnt(0)
	v_mul_f64 v[21:22], v[3:4], v[219:220]
	v_fma_f64 v[21:22], v[1:2], v[217:218], -v[21:22]
	v_mul_f64 v[1:2], v[1:2], v[219:220]
	v_fma_f64 v[1:2], v[3:4], v[217:218], v[1:2]
	s_waitcnt vmcnt(6)
	v_add_f64 v[3:4], v[209:210], -v[21:22]
	s_waitcnt vmcnt(4)
	v_add_f64 v[1:2], v[211:212], -v[1:2]
	;; [unrolled: 14-line block ×3, first 2 shown]
	buffer_store_dword v4, off, s[0:3], 0 offset:868
	buffer_store_dword v3, off, s[0:3], 0 offset:864
	buffer_store_dword v1, off, s[0:3], 0 offset:872
	buffer_store_dword v2, off, s[0:3], 0 offset:876
	ds_read2_b64 v[1:4], v24 offset0:110 offset1:111
	s_waitcnt lgkmcnt(0)
	v_mul_f64 v[21:22], v[3:4], v[219:220]
	v_fma_f64 v[21:22], v[1:2], v[217:218], -v[21:22]
	v_mul_f64 v[1:2], v[1:2], v[219:220]
	v_fma_f64 v[1:2], v[3:4], v[217:218], v[1:2]
	s_clause 0x3
	buffer_load_dword v3, off, s[0:3], 0 offset:880
	buffer_load_dword v4, off, s[0:3], 0 offset:884
	buffer_load_dword v85, off, s[0:3], 0 offset:888
	buffer_load_dword v86, off, s[0:3], 0 offset:892
	s_waitcnt vmcnt(2)
	v_add_f64 v[3:4], v[3:4], -v[21:22]
	s_waitcnt vmcnt(0)
	v_add_f64 v[1:2], v[85:86], -v[1:2]
	buffer_store_dword v4, off, s[0:3], 0 offset:884
	buffer_store_dword v3, off, s[0:3], 0 offset:880
	buffer_store_dword v2, off, s[0:3], 0 offset:892
	buffer_store_dword v1, off, s[0:3], 0 offset:888
	ds_read2_b64 v[1:4], v24 offset0:112 offset1:113
	s_waitcnt lgkmcnt(0)
	v_mul_f64 v[21:22], v[3:4], v[219:220]
	v_fma_f64 v[21:22], v[1:2], v[217:218], -v[21:22]
	v_mul_f64 v[1:2], v[1:2], v[219:220]
	v_fma_f64 v[1:2], v[3:4], v[217:218], v[1:2]
	s_clause 0x3
	buffer_load_dword v3, off, s[0:3], 0 offset:896
	buffer_load_dword v4, off, s[0:3], 0 offset:900
	buffer_load_dword v85, off, s[0:3], 0 offset:904
	buffer_load_dword v86, off, s[0:3], 0 offset:908
	s_waitcnt vmcnt(2)
	v_add_f64 v[3:4], v[3:4], -v[21:22]
	s_waitcnt vmcnt(0)
	v_add_f64 v[1:2], v[85:86], -v[1:2]
	;; [unrolled: 19-line block ×3, first 2 shown]
	buffer_store_dword v4, off, s[0:3], 0 offset:916
	buffer_store_dword v3, off, s[0:3], 0 offset:912
	;; [unrolled: 1-line block ×4, first 2 shown]
	ds_read2_b64 v[209:212], v24 offset0:116 offset1:117
	s_clause 0x3
	buffer_load_dword v1, off, s[0:3], 0 offset:816
	buffer_load_dword v2, off, s[0:3], 0 offset:820
	;; [unrolled: 1-line block ×4, first 2 shown]
	s_waitcnt vmcnt(0) lgkmcnt(0)
	v_mul_f64 v[21:22], v[211:212], v[3:4]
	v_mul_f64 v[85:86], v[209:210], v[3:4]
	v_fma_f64 v[21:22], v[209:210], v[1:2], -v[21:22]
	s_clause 0x1
	buffer_load_dword v210, off, s[0:3], 0 offset:932
	buffer_load_dword v209, off, s[0:3], 0 offset:928
	v_fma_f64 v[85:86], v[211:212], v[1:2], v[85:86]
	s_waitcnt vmcnt(0)
	v_add_f64 v[21:22], v[209:210], -v[21:22]
	s_clause 0x1
	buffer_load_dword v210, off, s[0:3], 0 offset:940
	buffer_load_dword v209, off, s[0:3], 0 offset:936
	s_waitcnt vmcnt(0)
	v_add_f64 v[85:86], v[209:210], -v[85:86]
	buffer_store_dword v22, off, s[0:3], 0 offset:932
	buffer_store_dword v21, off, s[0:3], 0 offset:928
	buffer_store_dword v86, off, s[0:3], 0 offset:940
	buffer_store_dword v85, off, s[0:3], 0 offset:936
	ds_read2_b64 v[209:212], v24 offset0:118 offset1:119
	s_waitcnt lgkmcnt(0)
	v_mul_f64 v[21:22], v[211:212], v[3:4]
	v_mul_f64 v[85:86], v[209:210], v[3:4]
	v_fma_f64 v[21:22], v[209:210], v[1:2], -v[21:22]
	v_fma_f64 v[85:86], v[211:212], v[1:2], v[85:86]
	s_clause 0x3
	buffer_load_dword v209, off, s[0:3], 0 offset:944
	buffer_load_dword v210, off, s[0:3], 0 offset:948
	buffer_load_dword v211, off, s[0:3], 0 offset:952
	buffer_load_dword v212, off, s[0:3], 0 offset:956
	s_waitcnt vmcnt(2)
	v_add_f64 v[21:22], v[209:210], -v[21:22]
	s_waitcnt vmcnt(0)
	v_add_f64 v[85:86], v[211:212], -v[85:86]
	buffer_store_dword v22, off, s[0:3], 0 offset:948
	buffer_store_dword v21, off, s[0:3], 0 offset:944
	buffer_store_dword v86, off, s[0:3], 0 offset:956
	buffer_store_dword v85, off, s[0:3], 0 offset:952
	ds_read2_b64 v[209:212], v24 offset0:120 offset1:121
	s_waitcnt lgkmcnt(0)
	v_mul_f64 v[21:22], v[211:212], v[3:4]
	v_mul_f64 v[85:86], v[209:210], v[3:4]
	v_fma_f64 v[21:22], v[209:210], v[1:2], -v[21:22]
	v_fma_f64 v[85:86], v[211:212], v[1:2], v[85:86]
	s_clause 0x3
	buffer_load_dword v209, off, s[0:3], 0 offset:960
	buffer_load_dword v210, off, s[0:3], 0 offset:964
	buffer_load_dword v211, off, s[0:3], 0 offset:968
	buffer_load_dword v212, off, s[0:3], 0 offset:972
	s_waitcnt vmcnt(2)
	v_add_f64 v[21:22], v[209:210], -v[21:22]
	;; [unrolled: 19-line block ×5, first 2 shown]
	s_waitcnt vmcnt(0)
	v_add_f64 v[1:2], v[85:86], -v[1:2]
	buffer_store_dword v4, off, s[0:3], 0 offset:1012
	buffer_store_dword v3, off, s[0:3], 0 offset:1008
	;; [unrolled: 1-line block ×4, first 2 shown]
.LBB127_605:
	s_or_b32 exec_lo, exec_lo, s5
	s_mov_b32 s6, exec_lo
	s_waitcnt lgkmcnt(0)
	s_waitcnt_vscnt null, 0x0
	s_barrier
	buffer_gl0_inv
	v_cmpx_eq_u32_e32 52, v0
	s_cbranch_execz .LBB127_612
; %bb.606:
	v_mov_b32_e32 v4, s26
	s_clause 0x3
	buffer_load_dword v1, v4, s[0:3], 0 offen
	buffer_load_dword v2, v4, s[0:3], 0 offen offset:4
	buffer_load_dword v3, v4, s[0:3], 0 offen offset:8
	;; [unrolled: 1-line block ×3, first 2 shown]
	s_waitcnt vmcnt(0)
	ds_write2_b64 v23, v[1:2], v[3:4] offset1:1
	v_mov_b32_e32 v4, s25
	s_clause 0x3
	buffer_load_dword v1, v4, s[0:3], 0 offen
	buffer_load_dword v2, v4, s[0:3], 0 offen offset:4
	buffer_load_dword v3, v4, s[0:3], 0 offen offset:8
	buffer_load_dword v4, v4, s[0:3], 0 offen offset:12
	s_waitcnt vmcnt(0)
	ds_write2_b64 v24, v[1:2], v[3:4] offset0:106 offset1:107
	v_mov_b32_e32 v4, s24
	s_clause 0x3
	buffer_load_dword v1, v4, s[0:3], 0 offen
	buffer_load_dword v2, v4, s[0:3], 0 offen offset:4
	buffer_load_dword v3, v4, s[0:3], 0 offen offset:8
	buffer_load_dword v4, v4, s[0:3], 0 offen offset:12
	s_waitcnt vmcnt(0)
	ds_write2_b64 v24, v[1:2], v[3:4] offset0:108 offset1:109
	v_mov_b32_e32 v4, s23
	s_clause 0x3
	buffer_load_dword v1, v4, s[0:3], 0 offen
	buffer_load_dword v2, v4, s[0:3], 0 offen offset:4
	buffer_load_dword v3, v4, s[0:3], 0 offen offset:8
	buffer_load_dword v4, v4, s[0:3], 0 offen offset:12
	s_waitcnt vmcnt(0)
	ds_write2_b64 v24, v[1:2], v[3:4] offset0:110 offset1:111
	v_mov_b32_e32 v4, s22
	s_clause 0x3
	buffer_load_dword v1, v4, s[0:3], 0 offen
	buffer_load_dword v2, v4, s[0:3], 0 offen offset:4
	buffer_load_dword v3, v4, s[0:3], 0 offen offset:8
	buffer_load_dword v4, v4, s[0:3], 0 offen offset:12
	s_waitcnt vmcnt(0)
	ds_write2_b64 v24, v[1:2], v[3:4] offset0:112 offset1:113
	v_mov_b32_e32 v4, s21
	s_clause 0x3
	buffer_load_dword v1, v4, s[0:3], 0 offen
	buffer_load_dword v2, v4, s[0:3], 0 offen offset:4
	buffer_load_dword v3, v4, s[0:3], 0 offen offset:8
	buffer_load_dword v4, v4, s[0:3], 0 offen offset:12
	s_waitcnt vmcnt(0)
	ds_write2_b64 v24, v[1:2], v[3:4] offset0:114 offset1:115
	v_mov_b32_e32 v4, s20
	s_clause 0x3
	buffer_load_dword v1, v4, s[0:3], 0 offen
	buffer_load_dword v2, v4, s[0:3], 0 offen offset:4
	buffer_load_dword v3, v4, s[0:3], 0 offen offset:8
	buffer_load_dword v4, v4, s[0:3], 0 offen offset:12
	s_waitcnt vmcnt(0)
	ds_write2_b64 v24, v[1:2], v[3:4] offset0:116 offset1:117
	v_mov_b32_e32 v4, s19
	s_clause 0x3
	buffer_load_dword v1, v4, s[0:3], 0 offen
	buffer_load_dword v2, v4, s[0:3], 0 offen offset:4
	buffer_load_dword v3, v4, s[0:3], 0 offen offset:8
	buffer_load_dword v4, v4, s[0:3], 0 offen offset:12
	s_waitcnt vmcnt(0)
	ds_write2_b64 v24, v[1:2], v[3:4] offset0:118 offset1:119
	v_mov_b32_e32 v4, s18
	s_clause 0x3
	buffer_load_dword v1, v4, s[0:3], 0 offen
	buffer_load_dword v2, v4, s[0:3], 0 offen offset:4
	buffer_load_dword v3, v4, s[0:3], 0 offen offset:8
	buffer_load_dword v4, v4, s[0:3], 0 offen offset:12
	s_waitcnt vmcnt(0)
	ds_write2_b64 v24, v[1:2], v[3:4] offset0:120 offset1:121
	v_mov_b32_e32 v4, s16
	s_clause 0x3
	buffer_load_dword v1, v4, s[0:3], 0 offen
	buffer_load_dword v2, v4, s[0:3], 0 offen offset:4
	buffer_load_dword v3, v4, s[0:3], 0 offen offset:8
	buffer_load_dword v4, v4, s[0:3], 0 offen offset:12
	s_waitcnt vmcnt(0)
	ds_write2_b64 v24, v[1:2], v[3:4] offset0:122 offset1:123
	v_mov_b32_e32 v4, s13
	s_clause 0x3
	buffer_load_dword v1, v4, s[0:3], 0 offen
	buffer_load_dword v2, v4, s[0:3], 0 offen offset:4
	buffer_load_dword v3, v4, s[0:3], 0 offen offset:8
	buffer_load_dword v4, v4, s[0:3], 0 offen offset:12
	s_waitcnt vmcnt(0)
	ds_write2_b64 v24, v[1:2], v[3:4] offset0:124 offset1:125
	v_mov_b32_e32 v4, s12
	s_clause 0x3
	buffer_load_dword v1, v4, s[0:3], 0 offen
	buffer_load_dword v2, v4, s[0:3], 0 offen offset:4
	buffer_load_dword v3, v4, s[0:3], 0 offen offset:8
	buffer_load_dword v4, v4, s[0:3], 0 offen offset:12
	s_waitcnt vmcnt(0)
	ds_write2_b64 v24, v[1:2], v[3:4] offset0:126 offset1:127
	ds_read2_b64 v[1:4], v23 offset1:1
	s_waitcnt lgkmcnt(0)
	v_cmp_neq_f64_e32 vcc_lo, 0, v[1:2]
	v_cmp_neq_f64_e64 s5, 0, v[3:4]
	s_or_b32 s5, vcc_lo, s5
	s_and_b32 exec_lo, exec_lo, s5
	s_cbranch_execz .LBB127_612
; %bb.607:
	v_cmp_ngt_f64_e64 s5, |v[1:2]|, |v[3:4]|
                                        ; implicit-def: $vgpr85_vgpr86
	s_and_saveexec_b32 s7, s5
	s_xor_b32 s5, exec_lo, s7
                                        ; implicit-def: $vgpr21_vgpr22
	s_cbranch_execz .LBB127_609
; %bb.608:
	v_div_scale_f64 v[21:22], null, v[3:4], v[3:4], v[1:2]
	v_div_scale_f64 v[211:212], vcc_lo, v[1:2], v[3:4], v[1:2]
	v_rcp_f64_e32 v[85:86], v[21:22]
	v_fma_f64 v[209:210], -v[21:22], v[85:86], 1.0
	v_fma_f64 v[85:86], v[85:86], v[209:210], v[85:86]
	v_fma_f64 v[209:210], -v[21:22], v[85:86], 1.0
	v_fma_f64 v[85:86], v[85:86], v[209:210], v[85:86]
	v_mul_f64 v[209:210], v[211:212], v[85:86]
	v_fma_f64 v[21:22], -v[21:22], v[209:210], v[211:212]
	v_div_fmas_f64 v[21:22], v[21:22], v[85:86], v[209:210]
	v_div_fixup_f64 v[85:86], v[21:22], v[3:4], v[1:2]
	v_fma_f64 v[1:2], v[1:2], v[85:86], v[3:4]
	v_div_scale_f64 v[3:4], null, v[1:2], v[1:2], 1.0
	v_rcp_f64_e32 v[21:22], v[3:4]
	v_fma_f64 v[209:210], -v[3:4], v[21:22], 1.0
	v_fma_f64 v[21:22], v[21:22], v[209:210], v[21:22]
	v_fma_f64 v[209:210], -v[3:4], v[21:22], 1.0
	v_fma_f64 v[21:22], v[21:22], v[209:210], v[21:22]
	v_div_scale_f64 v[209:210], vcc_lo, 1.0, v[1:2], 1.0
	v_mul_f64 v[211:212], v[209:210], v[21:22]
	v_fma_f64 v[3:4], -v[3:4], v[211:212], v[209:210]
	v_div_fmas_f64 v[3:4], v[3:4], v[21:22], v[211:212]
	v_div_fixup_f64 v[21:22], v[3:4], v[1:2], 1.0
                                        ; implicit-def: $vgpr1_vgpr2
	v_mul_f64 v[85:86], v[85:86], v[21:22]
	v_xor_b32_e32 v22, 0x80000000, v22
.LBB127_609:
	s_andn2_saveexec_b32 s5, s5
	s_cbranch_execz .LBB127_611
; %bb.610:
	v_div_scale_f64 v[21:22], null, v[1:2], v[1:2], v[3:4]
	v_div_scale_f64 v[211:212], vcc_lo, v[3:4], v[1:2], v[3:4]
	v_rcp_f64_e32 v[85:86], v[21:22]
	v_fma_f64 v[209:210], -v[21:22], v[85:86], 1.0
	v_fma_f64 v[85:86], v[85:86], v[209:210], v[85:86]
	v_fma_f64 v[209:210], -v[21:22], v[85:86], 1.0
	v_fma_f64 v[85:86], v[85:86], v[209:210], v[85:86]
	v_mul_f64 v[209:210], v[211:212], v[85:86]
	v_fma_f64 v[21:22], -v[21:22], v[209:210], v[211:212]
	v_div_fmas_f64 v[21:22], v[21:22], v[85:86], v[209:210]
	v_div_fixup_f64 v[21:22], v[21:22], v[1:2], v[3:4]
	v_fma_f64 v[1:2], v[3:4], v[21:22], v[1:2]
	v_div_scale_f64 v[3:4], null, v[1:2], v[1:2], 1.0
	v_rcp_f64_e32 v[85:86], v[3:4]
	v_fma_f64 v[209:210], -v[3:4], v[85:86], 1.0
	v_fma_f64 v[85:86], v[85:86], v[209:210], v[85:86]
	v_fma_f64 v[209:210], -v[3:4], v[85:86], 1.0
	v_fma_f64 v[85:86], v[85:86], v[209:210], v[85:86]
	v_div_scale_f64 v[209:210], vcc_lo, 1.0, v[1:2], 1.0
	v_mul_f64 v[211:212], v[209:210], v[85:86]
	v_fma_f64 v[3:4], -v[3:4], v[211:212], v[209:210]
	v_div_fmas_f64 v[3:4], v[3:4], v[85:86], v[211:212]
	v_div_fixup_f64 v[85:86], v[3:4], v[1:2], 1.0
	v_mul_f64 v[21:22], v[21:22], -v[85:86]
.LBB127_611:
	s_or_b32 exec_lo, exec_lo, s5
	ds_write2_b64 v23, v[85:86], v[21:22] offset1:1
.LBB127_612:
	s_or_b32 exec_lo, exec_lo, s6
	s_waitcnt lgkmcnt(0)
	s_barrier
	buffer_gl0_inv
	ds_read2_b64 v[209:212], v23 offset1:1
	s_mov_b32 s5, exec_lo
	v_cmpx_lt_u32_e32 52, v0
	s_cbranch_execz .LBB127_614
; %bb.613:
	s_clause 0xf
	buffer_load_dword v1, off, s[0:3], 0 offset:832
	buffer_load_dword v2, off, s[0:3], 0 offset:836
	buffer_load_dword v3, off, s[0:3], 0 offset:840
	buffer_load_dword v4, off, s[0:3], 0 offset:844
	buffer_load_dword v21, off, s[0:3], 0 offset:848
	buffer_load_dword v22, off, s[0:3], 0 offset:852
	buffer_load_dword v85, off, s[0:3], 0 offset:856
	buffer_load_dword v86, off, s[0:3], 0 offset:860
	buffer_load_dword v213, off, s[0:3], 0 offset:864
	buffer_load_dword v214, off, s[0:3], 0 offset:868
	buffer_load_dword v215, off, s[0:3], 0 offset:872
	buffer_load_dword v216, off, s[0:3], 0 offset:876
	buffer_load_dword v217, off, s[0:3], 0 offset:880
	buffer_load_dword v218, off, s[0:3], 0 offset:884
	buffer_load_dword v219, off, s[0:3], 0 offset:888
	buffer_load_dword v220, off, s[0:3], 0 offset:892
	s_waitcnt vmcnt(12) lgkmcnt(0)
	v_mul_f64 v[221:222], v[211:212], v[3:4]
	v_mul_f64 v[3:4], v[209:210], v[3:4]
	v_fma_f64 v[221:222], v[209:210], v[1:2], -v[221:222]
	v_fma_f64 v[223:224], v[211:212], v[1:2], v[3:4]
	buffer_store_dword v221, off, s[0:3], 0 offset:832
	buffer_store_dword v222, off, s[0:3], 0 offset:836
	buffer_store_dword v223, off, s[0:3], 0 offset:840
	buffer_store_dword v224, off, s[0:3], 0 offset:844
	ds_read2_b64 v[1:4], v24 offset0:106 offset1:107
	s_waitcnt lgkmcnt(0)
	v_mul_f64 v[225:226], v[3:4], v[223:224]
	v_fma_f64 v[225:226], v[1:2], v[221:222], -v[225:226]
	v_mul_f64 v[1:2], v[1:2], v[223:224]
	v_fma_f64 v[1:2], v[3:4], v[221:222], v[1:2]
	s_waitcnt vmcnt(10)
	v_add_f64 v[3:4], v[21:22], -v[225:226]
	s_waitcnt vmcnt(8)
	v_add_f64 v[1:2], v[85:86], -v[1:2]
	buffer_store_dword v3, off, s[0:3], 0 offset:848
	buffer_store_dword v4, off, s[0:3], 0 offset:852
	buffer_store_dword v1, off, s[0:3], 0 offset:856
	buffer_store_dword v2, off, s[0:3], 0 offset:860
	ds_read2_b64 v[1:4], v24 offset0:108 offset1:109
	s_waitcnt lgkmcnt(0)
	v_mul_f64 v[21:22], v[3:4], v[223:224]
	v_fma_f64 v[21:22], v[1:2], v[221:222], -v[21:22]
	v_mul_f64 v[1:2], v[1:2], v[223:224]
	v_fma_f64 v[1:2], v[3:4], v[221:222], v[1:2]
	s_waitcnt vmcnt(6)
	v_add_f64 v[3:4], v[213:214], -v[21:22]
	s_waitcnt vmcnt(4)
	v_add_f64 v[1:2], v[215:216], -v[1:2]
	;; [unrolled: 14-line block ×3, first 2 shown]
	buffer_store_dword v4, off, s[0:3], 0 offset:884
	buffer_store_dword v3, off, s[0:3], 0 offset:880
	buffer_store_dword v1, off, s[0:3], 0 offset:888
	buffer_store_dword v2, off, s[0:3], 0 offset:892
	ds_read2_b64 v[1:4], v24 offset0:112 offset1:113
	s_waitcnt lgkmcnt(0)
	v_mul_f64 v[21:22], v[3:4], v[223:224]
	v_fma_f64 v[21:22], v[1:2], v[221:222], -v[21:22]
	v_mul_f64 v[1:2], v[1:2], v[223:224]
	v_fma_f64 v[1:2], v[3:4], v[221:222], v[1:2]
	s_clause 0x3
	buffer_load_dword v3, off, s[0:3], 0 offset:896
	buffer_load_dword v4, off, s[0:3], 0 offset:900
	buffer_load_dword v85, off, s[0:3], 0 offset:904
	buffer_load_dword v86, off, s[0:3], 0 offset:908
	s_waitcnt vmcnt(2)
	v_add_f64 v[3:4], v[3:4], -v[21:22]
	s_waitcnt vmcnt(0)
	v_add_f64 v[1:2], v[85:86], -v[1:2]
	buffer_store_dword v4, off, s[0:3], 0 offset:900
	buffer_store_dword v3, off, s[0:3], 0 offset:896
	buffer_store_dword v2, off, s[0:3], 0 offset:908
	buffer_store_dword v1, off, s[0:3], 0 offset:904
	ds_read2_b64 v[1:4], v24 offset0:114 offset1:115
	s_waitcnt lgkmcnt(0)
	v_mul_f64 v[21:22], v[3:4], v[223:224]
	v_fma_f64 v[21:22], v[1:2], v[221:222], -v[21:22]
	v_mul_f64 v[1:2], v[1:2], v[223:224]
	v_fma_f64 v[1:2], v[3:4], v[221:222], v[1:2]
	s_clause 0x3
	buffer_load_dword v3, off, s[0:3], 0 offset:912
	buffer_load_dword v4, off, s[0:3], 0 offset:916
	buffer_load_dword v85, off, s[0:3], 0 offset:920
	buffer_load_dword v86, off, s[0:3], 0 offset:924
	s_waitcnt vmcnt(2)
	v_add_f64 v[3:4], v[3:4], -v[21:22]
	s_waitcnt vmcnt(0)
	v_add_f64 v[1:2], v[85:86], -v[1:2]
	;; [unrolled: 19-line block ×3, first 2 shown]
	buffer_store_dword v4, off, s[0:3], 0 offset:932
	buffer_store_dword v3, off, s[0:3], 0 offset:928
	;; [unrolled: 1-line block ×4, first 2 shown]
	ds_read2_b64 v[213:216], v24 offset0:118 offset1:119
	s_clause 0x3
	buffer_load_dword v1, off, s[0:3], 0 offset:832
	buffer_load_dword v2, off, s[0:3], 0 offset:836
	;; [unrolled: 1-line block ×4, first 2 shown]
	s_waitcnt vmcnt(0) lgkmcnt(0)
	v_mul_f64 v[21:22], v[215:216], v[3:4]
	v_mul_f64 v[85:86], v[213:214], v[3:4]
	v_fma_f64 v[21:22], v[213:214], v[1:2], -v[21:22]
	s_clause 0x1
	buffer_load_dword v214, off, s[0:3], 0 offset:948
	buffer_load_dword v213, off, s[0:3], 0 offset:944
	v_fma_f64 v[85:86], v[215:216], v[1:2], v[85:86]
	s_waitcnt vmcnt(0)
	v_add_f64 v[21:22], v[213:214], -v[21:22]
	s_clause 0x1
	buffer_load_dword v214, off, s[0:3], 0 offset:956
	buffer_load_dword v213, off, s[0:3], 0 offset:952
	s_waitcnt vmcnt(0)
	v_add_f64 v[85:86], v[213:214], -v[85:86]
	buffer_store_dword v22, off, s[0:3], 0 offset:948
	buffer_store_dword v21, off, s[0:3], 0 offset:944
	buffer_store_dword v86, off, s[0:3], 0 offset:956
	buffer_store_dword v85, off, s[0:3], 0 offset:952
	ds_read2_b64 v[213:216], v24 offset0:120 offset1:121
	s_waitcnt lgkmcnt(0)
	v_mul_f64 v[21:22], v[215:216], v[3:4]
	v_mul_f64 v[85:86], v[213:214], v[3:4]
	v_fma_f64 v[21:22], v[213:214], v[1:2], -v[21:22]
	v_fma_f64 v[85:86], v[215:216], v[1:2], v[85:86]
	s_clause 0x3
	buffer_load_dword v213, off, s[0:3], 0 offset:960
	buffer_load_dword v214, off, s[0:3], 0 offset:964
	buffer_load_dword v215, off, s[0:3], 0 offset:968
	buffer_load_dword v216, off, s[0:3], 0 offset:972
	s_waitcnt vmcnt(2)
	v_add_f64 v[21:22], v[213:214], -v[21:22]
	s_waitcnt vmcnt(0)
	v_add_f64 v[85:86], v[215:216], -v[85:86]
	buffer_store_dword v22, off, s[0:3], 0 offset:964
	buffer_store_dword v21, off, s[0:3], 0 offset:960
	buffer_store_dword v86, off, s[0:3], 0 offset:972
	buffer_store_dword v85, off, s[0:3], 0 offset:968
	ds_read2_b64 v[213:216], v24 offset0:122 offset1:123
	s_waitcnt lgkmcnt(0)
	v_mul_f64 v[21:22], v[215:216], v[3:4]
	v_mul_f64 v[85:86], v[213:214], v[3:4]
	v_fma_f64 v[21:22], v[213:214], v[1:2], -v[21:22]
	v_fma_f64 v[85:86], v[215:216], v[1:2], v[85:86]
	s_clause 0x3
	buffer_load_dword v213, off, s[0:3], 0 offset:976
	buffer_load_dword v214, off, s[0:3], 0 offset:980
	buffer_load_dword v215, off, s[0:3], 0 offset:984
	buffer_load_dword v216, off, s[0:3], 0 offset:988
	s_waitcnt vmcnt(2)
	v_add_f64 v[21:22], v[213:214], -v[21:22]
	;; [unrolled: 19-line block ×4, first 2 shown]
	s_waitcnt vmcnt(0)
	v_add_f64 v[1:2], v[85:86], -v[1:2]
	buffer_store_dword v4, off, s[0:3], 0 offset:1012
	buffer_store_dword v3, off, s[0:3], 0 offset:1008
	;; [unrolled: 1-line block ×4, first 2 shown]
.LBB127_614:
	s_or_b32 exec_lo, exec_lo, s5
	s_mov_b32 s6, exec_lo
	s_waitcnt lgkmcnt(0)
	s_waitcnt_vscnt null, 0x0
	s_barrier
	buffer_gl0_inv
	v_cmpx_eq_u32_e32 53, v0
	s_cbranch_execz .LBB127_621
; %bb.615:
	v_mov_b32_e32 v4, s25
	s_clause 0x3
	buffer_load_dword v1, v4, s[0:3], 0 offen
	buffer_load_dword v2, v4, s[0:3], 0 offen offset:4
	buffer_load_dword v3, v4, s[0:3], 0 offen offset:8
	;; [unrolled: 1-line block ×3, first 2 shown]
	s_waitcnt vmcnt(0)
	ds_write2_b64 v23, v[1:2], v[3:4] offset1:1
	v_mov_b32_e32 v4, s24
	s_clause 0x3
	buffer_load_dword v1, v4, s[0:3], 0 offen
	buffer_load_dword v2, v4, s[0:3], 0 offen offset:4
	buffer_load_dword v3, v4, s[0:3], 0 offen offset:8
	buffer_load_dword v4, v4, s[0:3], 0 offen offset:12
	s_waitcnt vmcnt(0)
	ds_write2_b64 v24, v[1:2], v[3:4] offset0:108 offset1:109
	v_mov_b32_e32 v4, s23
	s_clause 0x3
	buffer_load_dword v1, v4, s[0:3], 0 offen
	buffer_load_dword v2, v4, s[0:3], 0 offen offset:4
	buffer_load_dword v3, v4, s[0:3], 0 offen offset:8
	buffer_load_dword v4, v4, s[0:3], 0 offen offset:12
	s_waitcnt vmcnt(0)
	ds_write2_b64 v24, v[1:2], v[3:4] offset0:110 offset1:111
	;; [unrolled: 8-line block ×10, first 2 shown]
	ds_read2_b64 v[1:4], v23 offset1:1
	s_waitcnt lgkmcnt(0)
	v_cmp_neq_f64_e32 vcc_lo, 0, v[1:2]
	v_cmp_neq_f64_e64 s5, 0, v[3:4]
	s_or_b32 s5, vcc_lo, s5
	s_and_b32 exec_lo, exec_lo, s5
	s_cbranch_execz .LBB127_621
; %bb.616:
	v_cmp_ngt_f64_e64 s5, |v[1:2]|, |v[3:4]|
                                        ; implicit-def: $vgpr85_vgpr86
	s_and_saveexec_b32 s7, s5
	s_xor_b32 s5, exec_lo, s7
                                        ; implicit-def: $vgpr21_vgpr22
	s_cbranch_execz .LBB127_618
; %bb.617:
	v_div_scale_f64 v[21:22], null, v[3:4], v[3:4], v[1:2]
	v_div_scale_f64 v[215:216], vcc_lo, v[1:2], v[3:4], v[1:2]
	v_rcp_f64_e32 v[85:86], v[21:22]
	v_fma_f64 v[213:214], -v[21:22], v[85:86], 1.0
	v_fma_f64 v[85:86], v[85:86], v[213:214], v[85:86]
	v_fma_f64 v[213:214], -v[21:22], v[85:86], 1.0
	v_fma_f64 v[85:86], v[85:86], v[213:214], v[85:86]
	v_mul_f64 v[213:214], v[215:216], v[85:86]
	v_fma_f64 v[21:22], -v[21:22], v[213:214], v[215:216]
	v_div_fmas_f64 v[21:22], v[21:22], v[85:86], v[213:214]
	v_div_fixup_f64 v[85:86], v[21:22], v[3:4], v[1:2]
	v_fma_f64 v[1:2], v[1:2], v[85:86], v[3:4]
	v_div_scale_f64 v[3:4], null, v[1:2], v[1:2], 1.0
	v_rcp_f64_e32 v[21:22], v[3:4]
	v_fma_f64 v[213:214], -v[3:4], v[21:22], 1.0
	v_fma_f64 v[21:22], v[21:22], v[213:214], v[21:22]
	v_fma_f64 v[213:214], -v[3:4], v[21:22], 1.0
	v_fma_f64 v[21:22], v[21:22], v[213:214], v[21:22]
	v_div_scale_f64 v[213:214], vcc_lo, 1.0, v[1:2], 1.0
	v_mul_f64 v[215:216], v[213:214], v[21:22]
	v_fma_f64 v[3:4], -v[3:4], v[215:216], v[213:214]
	v_div_fmas_f64 v[3:4], v[3:4], v[21:22], v[215:216]
	v_div_fixup_f64 v[21:22], v[3:4], v[1:2], 1.0
                                        ; implicit-def: $vgpr1_vgpr2
	v_mul_f64 v[85:86], v[85:86], v[21:22]
	v_xor_b32_e32 v22, 0x80000000, v22
.LBB127_618:
	s_andn2_saveexec_b32 s5, s5
	s_cbranch_execz .LBB127_620
; %bb.619:
	v_div_scale_f64 v[21:22], null, v[1:2], v[1:2], v[3:4]
	v_div_scale_f64 v[215:216], vcc_lo, v[3:4], v[1:2], v[3:4]
	v_rcp_f64_e32 v[85:86], v[21:22]
	v_fma_f64 v[213:214], -v[21:22], v[85:86], 1.0
	v_fma_f64 v[85:86], v[85:86], v[213:214], v[85:86]
	v_fma_f64 v[213:214], -v[21:22], v[85:86], 1.0
	v_fma_f64 v[85:86], v[85:86], v[213:214], v[85:86]
	v_mul_f64 v[213:214], v[215:216], v[85:86]
	v_fma_f64 v[21:22], -v[21:22], v[213:214], v[215:216]
	v_div_fmas_f64 v[21:22], v[21:22], v[85:86], v[213:214]
	v_div_fixup_f64 v[21:22], v[21:22], v[1:2], v[3:4]
	v_fma_f64 v[1:2], v[3:4], v[21:22], v[1:2]
	v_div_scale_f64 v[3:4], null, v[1:2], v[1:2], 1.0
	v_rcp_f64_e32 v[85:86], v[3:4]
	v_fma_f64 v[213:214], -v[3:4], v[85:86], 1.0
	v_fma_f64 v[85:86], v[85:86], v[213:214], v[85:86]
	v_fma_f64 v[213:214], -v[3:4], v[85:86], 1.0
	v_fma_f64 v[85:86], v[85:86], v[213:214], v[85:86]
	v_div_scale_f64 v[213:214], vcc_lo, 1.0, v[1:2], 1.0
	v_mul_f64 v[215:216], v[213:214], v[85:86]
	v_fma_f64 v[3:4], -v[3:4], v[215:216], v[213:214]
	v_div_fmas_f64 v[3:4], v[3:4], v[85:86], v[215:216]
	v_div_fixup_f64 v[85:86], v[3:4], v[1:2], 1.0
	v_mul_f64 v[21:22], v[21:22], -v[85:86]
.LBB127_620:
	s_or_b32 exec_lo, exec_lo, s5
	ds_write2_b64 v23, v[85:86], v[21:22] offset1:1
.LBB127_621:
	s_or_b32 exec_lo, exec_lo, s6
	s_waitcnt lgkmcnt(0)
	s_barrier
	buffer_gl0_inv
	ds_read2_b64 v[213:216], v23 offset1:1
	s_mov_b32 s5, exec_lo
	v_cmpx_lt_u32_e32 53, v0
	s_cbranch_execz .LBB127_623
; %bb.622:
	s_clause 0xf
	buffer_load_dword v1, off, s[0:3], 0 offset:848
	buffer_load_dword v2, off, s[0:3], 0 offset:852
	;; [unrolled: 1-line block ×16, first 2 shown]
	s_waitcnt vmcnt(12) lgkmcnt(0)
	v_mul_f64 v[225:226], v[215:216], v[3:4]
	v_mul_f64 v[3:4], v[213:214], v[3:4]
	v_fma_f64 v[225:226], v[213:214], v[1:2], -v[225:226]
	v_fma_f64 v[227:228], v[215:216], v[1:2], v[3:4]
	buffer_store_dword v225, off, s[0:3], 0 offset:848
	buffer_store_dword v226, off, s[0:3], 0 offset:852
	buffer_store_dword v227, off, s[0:3], 0 offset:856
	buffer_store_dword v228, off, s[0:3], 0 offset:860
	ds_read2_b64 v[1:4], v24 offset0:108 offset1:109
	s_waitcnt lgkmcnt(0)
	v_mul_f64 v[229:230], v[3:4], v[227:228]
	v_fma_f64 v[229:230], v[1:2], v[225:226], -v[229:230]
	v_mul_f64 v[1:2], v[1:2], v[227:228]
	v_fma_f64 v[1:2], v[3:4], v[225:226], v[1:2]
	s_waitcnt vmcnt(10)
	v_add_f64 v[3:4], v[21:22], -v[229:230]
	s_waitcnt vmcnt(8)
	v_add_f64 v[1:2], v[85:86], -v[1:2]
	buffer_store_dword v3, off, s[0:3], 0 offset:864
	buffer_store_dword v4, off, s[0:3], 0 offset:868
	buffer_store_dword v1, off, s[0:3], 0 offset:872
	buffer_store_dword v2, off, s[0:3], 0 offset:876
	ds_read2_b64 v[1:4], v24 offset0:110 offset1:111
	s_waitcnt lgkmcnt(0)
	v_mul_f64 v[21:22], v[3:4], v[227:228]
	v_fma_f64 v[21:22], v[1:2], v[225:226], -v[21:22]
	v_mul_f64 v[1:2], v[1:2], v[227:228]
	v_fma_f64 v[1:2], v[3:4], v[225:226], v[1:2]
	s_waitcnt vmcnt(6)
	v_add_f64 v[3:4], v[217:218], -v[21:22]
	s_waitcnt vmcnt(4)
	v_add_f64 v[1:2], v[219:220], -v[1:2]
	;; [unrolled: 14-line block ×3, first 2 shown]
	buffer_store_dword v4, off, s[0:3], 0 offset:900
	buffer_store_dword v3, off, s[0:3], 0 offset:896
	buffer_store_dword v1, off, s[0:3], 0 offset:904
	buffer_store_dword v2, off, s[0:3], 0 offset:908
	ds_read2_b64 v[1:4], v24 offset0:114 offset1:115
	s_waitcnt lgkmcnt(0)
	v_mul_f64 v[21:22], v[3:4], v[227:228]
	v_fma_f64 v[21:22], v[1:2], v[225:226], -v[21:22]
	v_mul_f64 v[1:2], v[1:2], v[227:228]
	v_fma_f64 v[1:2], v[3:4], v[225:226], v[1:2]
	s_clause 0x3
	buffer_load_dword v3, off, s[0:3], 0 offset:912
	buffer_load_dword v4, off, s[0:3], 0 offset:916
	buffer_load_dword v85, off, s[0:3], 0 offset:920
	buffer_load_dword v86, off, s[0:3], 0 offset:924
	s_waitcnt vmcnt(2)
	v_add_f64 v[3:4], v[3:4], -v[21:22]
	s_waitcnt vmcnt(0)
	v_add_f64 v[1:2], v[85:86], -v[1:2]
	buffer_store_dword v4, off, s[0:3], 0 offset:916
	buffer_store_dword v3, off, s[0:3], 0 offset:912
	buffer_store_dword v2, off, s[0:3], 0 offset:924
	buffer_store_dword v1, off, s[0:3], 0 offset:920
	ds_read2_b64 v[1:4], v24 offset0:116 offset1:117
	s_waitcnt lgkmcnt(0)
	v_mul_f64 v[21:22], v[3:4], v[227:228]
	v_fma_f64 v[21:22], v[1:2], v[225:226], -v[21:22]
	v_mul_f64 v[1:2], v[1:2], v[227:228]
	v_fma_f64 v[1:2], v[3:4], v[225:226], v[1:2]
	s_clause 0x3
	buffer_load_dword v3, off, s[0:3], 0 offset:928
	buffer_load_dword v4, off, s[0:3], 0 offset:932
	buffer_load_dword v85, off, s[0:3], 0 offset:936
	buffer_load_dword v86, off, s[0:3], 0 offset:940
	s_waitcnt vmcnt(2)
	v_add_f64 v[3:4], v[3:4], -v[21:22]
	s_waitcnt vmcnt(0)
	v_add_f64 v[1:2], v[85:86], -v[1:2]
	;; [unrolled: 19-line block ×3, first 2 shown]
	buffer_store_dword v4, off, s[0:3], 0 offset:948
	buffer_store_dword v3, off, s[0:3], 0 offset:944
	;; [unrolled: 1-line block ×4, first 2 shown]
	ds_read2_b64 v[217:220], v24 offset0:120 offset1:121
	s_clause 0x3
	buffer_load_dword v1, off, s[0:3], 0 offset:848
	buffer_load_dword v2, off, s[0:3], 0 offset:852
	;; [unrolled: 1-line block ×4, first 2 shown]
	s_waitcnt vmcnt(0) lgkmcnt(0)
	v_mul_f64 v[21:22], v[219:220], v[3:4]
	v_mul_f64 v[85:86], v[217:218], v[3:4]
	v_fma_f64 v[21:22], v[217:218], v[1:2], -v[21:22]
	s_clause 0x1
	buffer_load_dword v218, off, s[0:3], 0 offset:964
	buffer_load_dword v217, off, s[0:3], 0 offset:960
	v_fma_f64 v[85:86], v[219:220], v[1:2], v[85:86]
	s_waitcnt vmcnt(0)
	v_add_f64 v[21:22], v[217:218], -v[21:22]
	s_clause 0x1
	buffer_load_dword v218, off, s[0:3], 0 offset:972
	buffer_load_dword v217, off, s[0:3], 0 offset:968
	s_waitcnt vmcnt(0)
	v_add_f64 v[85:86], v[217:218], -v[85:86]
	buffer_store_dword v22, off, s[0:3], 0 offset:964
	buffer_store_dword v21, off, s[0:3], 0 offset:960
	buffer_store_dword v86, off, s[0:3], 0 offset:972
	buffer_store_dword v85, off, s[0:3], 0 offset:968
	ds_read2_b64 v[217:220], v24 offset0:122 offset1:123
	s_waitcnt lgkmcnt(0)
	v_mul_f64 v[21:22], v[219:220], v[3:4]
	v_mul_f64 v[85:86], v[217:218], v[3:4]
	v_fma_f64 v[21:22], v[217:218], v[1:2], -v[21:22]
	v_fma_f64 v[85:86], v[219:220], v[1:2], v[85:86]
	s_clause 0x3
	buffer_load_dword v217, off, s[0:3], 0 offset:976
	buffer_load_dword v218, off, s[0:3], 0 offset:980
	buffer_load_dword v219, off, s[0:3], 0 offset:984
	buffer_load_dword v220, off, s[0:3], 0 offset:988
	s_waitcnt vmcnt(2)
	v_add_f64 v[21:22], v[217:218], -v[21:22]
	s_waitcnt vmcnt(0)
	v_add_f64 v[85:86], v[219:220], -v[85:86]
	buffer_store_dword v22, off, s[0:3], 0 offset:980
	buffer_store_dword v21, off, s[0:3], 0 offset:976
	buffer_store_dword v86, off, s[0:3], 0 offset:988
	buffer_store_dword v85, off, s[0:3], 0 offset:984
	ds_read2_b64 v[217:220], v24 offset0:124 offset1:125
	s_waitcnt lgkmcnt(0)
	v_mul_f64 v[21:22], v[219:220], v[3:4]
	v_mul_f64 v[85:86], v[217:218], v[3:4]
	v_fma_f64 v[21:22], v[217:218], v[1:2], -v[21:22]
	v_fma_f64 v[85:86], v[219:220], v[1:2], v[85:86]
	s_clause 0x3
	buffer_load_dword v217, off, s[0:3], 0 offset:992
	buffer_load_dword v218, off, s[0:3], 0 offset:996
	buffer_load_dword v219, off, s[0:3], 0 offset:1000
	buffer_load_dword v220, off, s[0:3], 0 offset:1004
	s_waitcnt vmcnt(2)
	v_add_f64 v[21:22], v[217:218], -v[21:22]
	;; [unrolled: 19-line block ×3, first 2 shown]
	s_waitcnt vmcnt(0)
	v_add_f64 v[1:2], v[85:86], -v[1:2]
	buffer_store_dword v4, off, s[0:3], 0 offset:1012
	buffer_store_dword v3, off, s[0:3], 0 offset:1008
	;; [unrolled: 1-line block ×4, first 2 shown]
.LBB127_623:
	s_or_b32 exec_lo, exec_lo, s5
	s_mov_b32 s6, exec_lo
	s_waitcnt lgkmcnt(0)
	s_waitcnt_vscnt null, 0x0
	s_barrier
	buffer_gl0_inv
	v_cmpx_eq_u32_e32 54, v0
	s_cbranch_execz .LBB127_630
; %bb.624:
	v_mov_b32_e32 v4, s24
	s_clause 0x3
	buffer_load_dword v1, v4, s[0:3], 0 offen
	buffer_load_dword v2, v4, s[0:3], 0 offen offset:4
	buffer_load_dword v3, v4, s[0:3], 0 offen offset:8
	;; [unrolled: 1-line block ×3, first 2 shown]
	s_waitcnt vmcnt(0)
	ds_write2_b64 v23, v[1:2], v[3:4] offset1:1
	v_mov_b32_e32 v4, s23
	s_clause 0x3
	buffer_load_dword v1, v4, s[0:3], 0 offen
	buffer_load_dword v2, v4, s[0:3], 0 offen offset:4
	buffer_load_dword v3, v4, s[0:3], 0 offen offset:8
	buffer_load_dword v4, v4, s[0:3], 0 offen offset:12
	s_waitcnt vmcnt(0)
	ds_write2_b64 v24, v[1:2], v[3:4] offset0:110 offset1:111
	v_mov_b32_e32 v4, s22
	s_clause 0x3
	buffer_load_dword v1, v4, s[0:3], 0 offen
	buffer_load_dword v2, v4, s[0:3], 0 offen offset:4
	buffer_load_dword v3, v4, s[0:3], 0 offen offset:8
	buffer_load_dword v4, v4, s[0:3], 0 offen offset:12
	s_waitcnt vmcnt(0)
	ds_write2_b64 v24, v[1:2], v[3:4] offset0:112 offset1:113
	v_mov_b32_e32 v4, s21
	s_clause 0x3
	buffer_load_dword v1, v4, s[0:3], 0 offen
	buffer_load_dword v2, v4, s[0:3], 0 offen offset:4
	buffer_load_dword v3, v4, s[0:3], 0 offen offset:8
	buffer_load_dword v4, v4, s[0:3], 0 offen offset:12
	s_waitcnt vmcnt(0)
	ds_write2_b64 v24, v[1:2], v[3:4] offset0:114 offset1:115
	v_mov_b32_e32 v4, s20
	s_clause 0x3
	buffer_load_dword v1, v4, s[0:3], 0 offen
	buffer_load_dword v2, v4, s[0:3], 0 offen offset:4
	buffer_load_dword v3, v4, s[0:3], 0 offen offset:8
	buffer_load_dword v4, v4, s[0:3], 0 offen offset:12
	s_waitcnt vmcnt(0)
	ds_write2_b64 v24, v[1:2], v[3:4] offset0:116 offset1:117
	v_mov_b32_e32 v4, s19
	s_clause 0x3
	buffer_load_dword v1, v4, s[0:3], 0 offen
	buffer_load_dword v2, v4, s[0:3], 0 offen offset:4
	buffer_load_dword v3, v4, s[0:3], 0 offen offset:8
	buffer_load_dword v4, v4, s[0:3], 0 offen offset:12
	s_waitcnt vmcnt(0)
	ds_write2_b64 v24, v[1:2], v[3:4] offset0:118 offset1:119
	v_mov_b32_e32 v4, s18
	s_clause 0x3
	buffer_load_dword v1, v4, s[0:3], 0 offen
	buffer_load_dword v2, v4, s[0:3], 0 offen offset:4
	buffer_load_dword v3, v4, s[0:3], 0 offen offset:8
	buffer_load_dword v4, v4, s[0:3], 0 offen offset:12
	s_waitcnt vmcnt(0)
	ds_write2_b64 v24, v[1:2], v[3:4] offset0:120 offset1:121
	v_mov_b32_e32 v4, s16
	s_clause 0x3
	buffer_load_dword v1, v4, s[0:3], 0 offen
	buffer_load_dword v2, v4, s[0:3], 0 offen offset:4
	buffer_load_dword v3, v4, s[0:3], 0 offen offset:8
	buffer_load_dword v4, v4, s[0:3], 0 offen offset:12
	s_waitcnt vmcnt(0)
	ds_write2_b64 v24, v[1:2], v[3:4] offset0:122 offset1:123
	v_mov_b32_e32 v4, s13
	s_clause 0x3
	buffer_load_dword v1, v4, s[0:3], 0 offen
	buffer_load_dword v2, v4, s[0:3], 0 offen offset:4
	buffer_load_dword v3, v4, s[0:3], 0 offen offset:8
	buffer_load_dword v4, v4, s[0:3], 0 offen offset:12
	s_waitcnt vmcnt(0)
	ds_write2_b64 v24, v[1:2], v[3:4] offset0:124 offset1:125
	v_mov_b32_e32 v4, s12
	s_clause 0x3
	buffer_load_dword v1, v4, s[0:3], 0 offen
	buffer_load_dword v2, v4, s[0:3], 0 offen offset:4
	buffer_load_dword v3, v4, s[0:3], 0 offen offset:8
	buffer_load_dword v4, v4, s[0:3], 0 offen offset:12
	s_waitcnt vmcnt(0)
	ds_write2_b64 v24, v[1:2], v[3:4] offset0:126 offset1:127
	ds_read2_b64 v[1:4], v23 offset1:1
	s_waitcnt lgkmcnt(0)
	v_cmp_neq_f64_e32 vcc_lo, 0, v[1:2]
	v_cmp_neq_f64_e64 s5, 0, v[3:4]
	s_or_b32 s5, vcc_lo, s5
	s_and_b32 exec_lo, exec_lo, s5
	s_cbranch_execz .LBB127_630
; %bb.625:
	v_cmp_ngt_f64_e64 s5, |v[1:2]|, |v[3:4]|
                                        ; implicit-def: $vgpr85_vgpr86
	s_and_saveexec_b32 s7, s5
	s_xor_b32 s5, exec_lo, s7
                                        ; implicit-def: $vgpr21_vgpr22
	s_cbranch_execz .LBB127_627
; %bb.626:
	v_div_scale_f64 v[21:22], null, v[3:4], v[3:4], v[1:2]
	v_div_scale_f64 v[219:220], vcc_lo, v[1:2], v[3:4], v[1:2]
	v_rcp_f64_e32 v[85:86], v[21:22]
	v_fma_f64 v[217:218], -v[21:22], v[85:86], 1.0
	v_fma_f64 v[85:86], v[85:86], v[217:218], v[85:86]
	v_fma_f64 v[217:218], -v[21:22], v[85:86], 1.0
	v_fma_f64 v[85:86], v[85:86], v[217:218], v[85:86]
	v_mul_f64 v[217:218], v[219:220], v[85:86]
	v_fma_f64 v[21:22], -v[21:22], v[217:218], v[219:220]
	v_div_fmas_f64 v[21:22], v[21:22], v[85:86], v[217:218]
	v_div_fixup_f64 v[85:86], v[21:22], v[3:4], v[1:2]
	v_fma_f64 v[1:2], v[1:2], v[85:86], v[3:4]
	v_div_scale_f64 v[3:4], null, v[1:2], v[1:2], 1.0
	v_rcp_f64_e32 v[21:22], v[3:4]
	v_fma_f64 v[217:218], -v[3:4], v[21:22], 1.0
	v_fma_f64 v[21:22], v[21:22], v[217:218], v[21:22]
	v_fma_f64 v[217:218], -v[3:4], v[21:22], 1.0
	v_fma_f64 v[21:22], v[21:22], v[217:218], v[21:22]
	v_div_scale_f64 v[217:218], vcc_lo, 1.0, v[1:2], 1.0
	v_mul_f64 v[219:220], v[217:218], v[21:22]
	v_fma_f64 v[3:4], -v[3:4], v[219:220], v[217:218]
	v_div_fmas_f64 v[3:4], v[3:4], v[21:22], v[219:220]
	v_div_fixup_f64 v[21:22], v[3:4], v[1:2], 1.0
                                        ; implicit-def: $vgpr1_vgpr2
	v_mul_f64 v[85:86], v[85:86], v[21:22]
	v_xor_b32_e32 v22, 0x80000000, v22
.LBB127_627:
	s_andn2_saveexec_b32 s5, s5
	s_cbranch_execz .LBB127_629
; %bb.628:
	v_div_scale_f64 v[21:22], null, v[1:2], v[1:2], v[3:4]
	v_div_scale_f64 v[219:220], vcc_lo, v[3:4], v[1:2], v[3:4]
	v_rcp_f64_e32 v[85:86], v[21:22]
	v_fma_f64 v[217:218], -v[21:22], v[85:86], 1.0
	v_fma_f64 v[85:86], v[85:86], v[217:218], v[85:86]
	v_fma_f64 v[217:218], -v[21:22], v[85:86], 1.0
	v_fma_f64 v[85:86], v[85:86], v[217:218], v[85:86]
	v_mul_f64 v[217:218], v[219:220], v[85:86]
	v_fma_f64 v[21:22], -v[21:22], v[217:218], v[219:220]
	v_div_fmas_f64 v[21:22], v[21:22], v[85:86], v[217:218]
	v_div_fixup_f64 v[21:22], v[21:22], v[1:2], v[3:4]
	v_fma_f64 v[1:2], v[3:4], v[21:22], v[1:2]
	v_div_scale_f64 v[3:4], null, v[1:2], v[1:2], 1.0
	v_rcp_f64_e32 v[85:86], v[3:4]
	v_fma_f64 v[217:218], -v[3:4], v[85:86], 1.0
	v_fma_f64 v[85:86], v[85:86], v[217:218], v[85:86]
	v_fma_f64 v[217:218], -v[3:4], v[85:86], 1.0
	v_fma_f64 v[85:86], v[85:86], v[217:218], v[85:86]
	v_div_scale_f64 v[217:218], vcc_lo, 1.0, v[1:2], 1.0
	v_mul_f64 v[219:220], v[217:218], v[85:86]
	v_fma_f64 v[3:4], -v[3:4], v[219:220], v[217:218]
	v_div_fmas_f64 v[3:4], v[3:4], v[85:86], v[219:220]
	v_div_fixup_f64 v[85:86], v[3:4], v[1:2], 1.0
	v_mul_f64 v[21:22], v[21:22], -v[85:86]
.LBB127_629:
	s_or_b32 exec_lo, exec_lo, s5
	ds_write2_b64 v23, v[85:86], v[21:22] offset1:1
.LBB127_630:
	s_or_b32 exec_lo, exec_lo, s6
	s_waitcnt lgkmcnt(0)
	s_barrier
	buffer_gl0_inv
	ds_read2_b64 v[217:220], v23 offset1:1
	s_mov_b32 s5, exec_lo
	v_cmpx_lt_u32_e32 54, v0
	s_cbranch_execz .LBB127_632
; %bb.631:
	s_clause 0xf
	buffer_load_dword v1, off, s[0:3], 0 offset:864
	buffer_load_dword v2, off, s[0:3], 0 offset:868
	;; [unrolled: 1-line block ×16, first 2 shown]
	s_waitcnt vmcnt(12) lgkmcnt(0)
	v_mul_f64 v[229:230], v[219:220], v[3:4]
	v_mul_f64 v[3:4], v[217:218], v[3:4]
	v_fma_f64 v[229:230], v[217:218], v[1:2], -v[229:230]
	v_fma_f64 v[231:232], v[219:220], v[1:2], v[3:4]
	buffer_store_dword v229, off, s[0:3], 0 offset:864
	buffer_store_dword v230, off, s[0:3], 0 offset:868
	buffer_store_dword v231, off, s[0:3], 0 offset:872
	buffer_store_dword v232, off, s[0:3], 0 offset:876
	ds_read2_b64 v[1:4], v24 offset0:110 offset1:111
	s_waitcnt lgkmcnt(0)
	v_mul_f64 v[233:234], v[3:4], v[231:232]
	v_fma_f64 v[233:234], v[1:2], v[229:230], -v[233:234]
	v_mul_f64 v[1:2], v[1:2], v[231:232]
	v_fma_f64 v[1:2], v[3:4], v[229:230], v[1:2]
	s_waitcnt vmcnt(10)
	v_add_f64 v[3:4], v[21:22], -v[233:234]
	s_waitcnt vmcnt(8)
	v_add_f64 v[1:2], v[85:86], -v[1:2]
	buffer_store_dword v3, off, s[0:3], 0 offset:880
	buffer_store_dword v4, off, s[0:3], 0 offset:884
	buffer_store_dword v1, off, s[0:3], 0 offset:888
	buffer_store_dword v2, off, s[0:3], 0 offset:892
	ds_read2_b64 v[1:4], v24 offset0:112 offset1:113
	s_waitcnt lgkmcnt(0)
	v_mul_f64 v[21:22], v[3:4], v[231:232]
	v_fma_f64 v[21:22], v[1:2], v[229:230], -v[21:22]
	v_mul_f64 v[1:2], v[1:2], v[231:232]
	v_fma_f64 v[1:2], v[3:4], v[229:230], v[1:2]
	s_waitcnt vmcnt(6)
	v_add_f64 v[3:4], v[221:222], -v[21:22]
	s_waitcnt vmcnt(4)
	v_add_f64 v[1:2], v[223:224], -v[1:2]
	;; [unrolled: 14-line block ×3, first 2 shown]
	buffer_store_dword v4, off, s[0:3], 0 offset:916
	buffer_store_dword v3, off, s[0:3], 0 offset:912
	buffer_store_dword v1, off, s[0:3], 0 offset:920
	buffer_store_dword v2, off, s[0:3], 0 offset:924
	ds_read2_b64 v[1:4], v24 offset0:116 offset1:117
	s_waitcnt lgkmcnt(0)
	v_mul_f64 v[21:22], v[3:4], v[231:232]
	v_fma_f64 v[21:22], v[1:2], v[229:230], -v[21:22]
	v_mul_f64 v[1:2], v[1:2], v[231:232]
	v_fma_f64 v[1:2], v[3:4], v[229:230], v[1:2]
	s_clause 0x3
	buffer_load_dword v3, off, s[0:3], 0 offset:928
	buffer_load_dword v4, off, s[0:3], 0 offset:932
	buffer_load_dword v85, off, s[0:3], 0 offset:936
	buffer_load_dword v86, off, s[0:3], 0 offset:940
	s_waitcnt vmcnt(2)
	v_add_f64 v[3:4], v[3:4], -v[21:22]
	s_waitcnt vmcnt(0)
	v_add_f64 v[1:2], v[85:86], -v[1:2]
	buffer_store_dword v4, off, s[0:3], 0 offset:932
	buffer_store_dword v3, off, s[0:3], 0 offset:928
	buffer_store_dword v2, off, s[0:3], 0 offset:940
	buffer_store_dword v1, off, s[0:3], 0 offset:936
	ds_read2_b64 v[1:4], v24 offset0:118 offset1:119
	s_waitcnt lgkmcnt(0)
	v_mul_f64 v[21:22], v[3:4], v[231:232]
	v_fma_f64 v[21:22], v[1:2], v[229:230], -v[21:22]
	v_mul_f64 v[1:2], v[1:2], v[231:232]
	v_fma_f64 v[1:2], v[3:4], v[229:230], v[1:2]
	s_clause 0x3
	buffer_load_dword v3, off, s[0:3], 0 offset:944
	buffer_load_dword v4, off, s[0:3], 0 offset:948
	buffer_load_dword v85, off, s[0:3], 0 offset:952
	buffer_load_dword v86, off, s[0:3], 0 offset:956
	s_waitcnt vmcnt(2)
	v_add_f64 v[3:4], v[3:4], -v[21:22]
	s_waitcnt vmcnt(0)
	v_add_f64 v[1:2], v[85:86], -v[1:2]
	;; [unrolled: 19-line block ×3, first 2 shown]
	buffer_store_dword v4, off, s[0:3], 0 offset:964
	buffer_store_dword v3, off, s[0:3], 0 offset:960
	;; [unrolled: 1-line block ×4, first 2 shown]
	ds_read2_b64 v[1:4], v24 offset0:122 offset1:123
	s_clause 0x3
	buffer_load_dword v21, off, s[0:3], 0 offset:864
	buffer_load_dword v22, off, s[0:3], 0 offset:868
	;; [unrolled: 1-line block ×4, first 2 shown]
	s_waitcnt vmcnt(0) lgkmcnt(0)
	v_mul_f64 v[221:222], v[3:4], v[85:86]
	v_fma_f64 v[221:222], v[1:2], v[21:22], -v[221:222]
	v_mul_f64 v[1:2], v[1:2], v[85:86]
	v_fma_f64 v[1:2], v[3:4], v[21:22], v[1:2]
	s_clause 0x1
	buffer_load_dword v4, off, s[0:3], 0 offset:980
	buffer_load_dword v3, off, s[0:3], 0 offset:976
	s_waitcnt vmcnt(0)
	v_add_f64 v[3:4], v[3:4], -v[221:222]
	s_clause 0x1
	buffer_load_dword v222, off, s[0:3], 0 offset:988
	buffer_load_dword v221, off, s[0:3], 0 offset:984
	s_waitcnt vmcnt(0)
	v_add_f64 v[1:2], v[221:222], -v[1:2]
	buffer_store_dword v4, off, s[0:3], 0 offset:980
	buffer_store_dword v3, off, s[0:3], 0 offset:976
	buffer_store_dword v2, off, s[0:3], 0 offset:988
	buffer_store_dword v1, off, s[0:3], 0 offset:984
	ds_read2_b64 v[1:4], v24 offset0:124 offset1:125
	s_waitcnt lgkmcnt(0)
	v_mul_f64 v[221:222], v[3:4], v[85:86]
	v_fma_f64 v[221:222], v[1:2], v[21:22], -v[221:222]
	v_mul_f64 v[1:2], v[1:2], v[85:86]
	v_fma_f64 v[1:2], v[3:4], v[21:22], v[1:2]
	s_clause 0x3
	buffer_load_dword v3, off, s[0:3], 0 offset:992
	buffer_load_dword v4, off, s[0:3], 0 offset:996
	;; [unrolled: 1-line block ×4, first 2 shown]
	s_waitcnt vmcnt(2)
	v_add_f64 v[3:4], v[3:4], -v[221:222]
	s_waitcnt vmcnt(0)
	v_add_f64 v[1:2], v[223:224], -v[1:2]
	buffer_store_dword v4, off, s[0:3], 0 offset:996
	buffer_store_dword v3, off, s[0:3], 0 offset:992
	buffer_store_dword v2, off, s[0:3], 0 offset:1004
	buffer_store_dword v1, off, s[0:3], 0 offset:1000
	ds_read2_b64 v[1:4], v24 offset0:126 offset1:127
	s_waitcnt lgkmcnt(0)
	v_mul_f64 v[221:222], v[3:4], v[85:86]
	v_fma_f64 v[221:222], v[1:2], v[21:22], -v[221:222]
	v_mul_f64 v[1:2], v[1:2], v[85:86]
	v_fma_f64 v[1:2], v[3:4], v[21:22], v[1:2]
	s_clause 0x3
	buffer_load_dword v3, off, s[0:3], 0 offset:1008
	buffer_load_dword v4, off, s[0:3], 0 offset:1012
	;; [unrolled: 1-line block ×4, first 2 shown]
	s_waitcnt vmcnt(2)
	v_add_f64 v[3:4], v[3:4], -v[221:222]
	s_waitcnt vmcnt(0)
	v_add_f64 v[1:2], v[21:22], -v[1:2]
	buffer_store_dword v4, off, s[0:3], 0 offset:1012
	buffer_store_dword v3, off, s[0:3], 0 offset:1008
	;; [unrolled: 1-line block ×4, first 2 shown]
.LBB127_632:
	s_or_b32 exec_lo, exec_lo, s5
	s_mov_b32 s6, exec_lo
	s_waitcnt lgkmcnt(0)
	s_waitcnt_vscnt null, 0x0
	s_barrier
	buffer_gl0_inv
	v_cmpx_eq_u32_e32 55, v0
	s_cbranch_execz .LBB127_639
; %bb.633:
	v_mov_b32_e32 v4, s23
	s_clause 0x3
	buffer_load_dword v1, v4, s[0:3], 0 offen
	buffer_load_dword v2, v4, s[0:3], 0 offen offset:4
	buffer_load_dword v3, v4, s[0:3], 0 offen offset:8
	;; [unrolled: 1-line block ×3, first 2 shown]
	s_waitcnt vmcnt(0)
	ds_write2_b64 v23, v[1:2], v[3:4] offset1:1
	v_mov_b32_e32 v4, s22
	s_clause 0x3
	buffer_load_dword v1, v4, s[0:3], 0 offen
	buffer_load_dword v2, v4, s[0:3], 0 offen offset:4
	buffer_load_dword v3, v4, s[0:3], 0 offen offset:8
	buffer_load_dword v4, v4, s[0:3], 0 offen offset:12
	s_waitcnt vmcnt(0)
	ds_write2_b64 v24, v[1:2], v[3:4] offset0:112 offset1:113
	v_mov_b32_e32 v4, s21
	s_clause 0x3
	buffer_load_dword v1, v4, s[0:3], 0 offen
	buffer_load_dword v2, v4, s[0:3], 0 offen offset:4
	buffer_load_dword v3, v4, s[0:3], 0 offen offset:8
	buffer_load_dword v4, v4, s[0:3], 0 offen offset:12
	s_waitcnt vmcnt(0)
	ds_write2_b64 v24, v[1:2], v[3:4] offset0:114 offset1:115
	;; [unrolled: 8-line block ×8, first 2 shown]
	ds_read2_b64 v[1:4], v23 offset1:1
	s_waitcnt lgkmcnt(0)
	v_cmp_neq_f64_e32 vcc_lo, 0, v[1:2]
	v_cmp_neq_f64_e64 s5, 0, v[3:4]
	s_or_b32 s5, vcc_lo, s5
	s_and_b32 exec_lo, exec_lo, s5
	s_cbranch_execz .LBB127_639
; %bb.634:
	v_cmp_ngt_f64_e64 s5, |v[1:2]|, |v[3:4]|
                                        ; implicit-def: $vgpr85_vgpr86
	s_and_saveexec_b32 s7, s5
	s_xor_b32 s5, exec_lo, s7
                                        ; implicit-def: $vgpr21_vgpr22
	s_cbranch_execz .LBB127_636
; %bb.635:
	v_div_scale_f64 v[21:22], null, v[3:4], v[3:4], v[1:2]
	v_div_scale_f64 v[223:224], vcc_lo, v[1:2], v[3:4], v[1:2]
	v_rcp_f64_e32 v[85:86], v[21:22]
	v_fma_f64 v[221:222], -v[21:22], v[85:86], 1.0
	v_fma_f64 v[85:86], v[85:86], v[221:222], v[85:86]
	v_fma_f64 v[221:222], -v[21:22], v[85:86], 1.0
	v_fma_f64 v[85:86], v[85:86], v[221:222], v[85:86]
	v_mul_f64 v[221:222], v[223:224], v[85:86]
	v_fma_f64 v[21:22], -v[21:22], v[221:222], v[223:224]
	v_div_fmas_f64 v[21:22], v[21:22], v[85:86], v[221:222]
	v_div_fixup_f64 v[85:86], v[21:22], v[3:4], v[1:2]
	v_fma_f64 v[1:2], v[1:2], v[85:86], v[3:4]
	v_div_scale_f64 v[3:4], null, v[1:2], v[1:2], 1.0
	v_rcp_f64_e32 v[21:22], v[3:4]
	v_fma_f64 v[221:222], -v[3:4], v[21:22], 1.0
	v_fma_f64 v[21:22], v[21:22], v[221:222], v[21:22]
	v_fma_f64 v[221:222], -v[3:4], v[21:22], 1.0
	v_fma_f64 v[21:22], v[21:22], v[221:222], v[21:22]
	v_div_scale_f64 v[221:222], vcc_lo, 1.0, v[1:2], 1.0
	v_mul_f64 v[223:224], v[221:222], v[21:22]
	v_fma_f64 v[3:4], -v[3:4], v[223:224], v[221:222]
	v_div_fmas_f64 v[3:4], v[3:4], v[21:22], v[223:224]
	v_div_fixup_f64 v[21:22], v[3:4], v[1:2], 1.0
                                        ; implicit-def: $vgpr1_vgpr2
	v_mul_f64 v[85:86], v[85:86], v[21:22]
	v_xor_b32_e32 v22, 0x80000000, v22
.LBB127_636:
	s_andn2_saveexec_b32 s5, s5
	s_cbranch_execz .LBB127_638
; %bb.637:
	v_div_scale_f64 v[21:22], null, v[1:2], v[1:2], v[3:4]
	v_div_scale_f64 v[223:224], vcc_lo, v[3:4], v[1:2], v[3:4]
	v_rcp_f64_e32 v[85:86], v[21:22]
	v_fma_f64 v[221:222], -v[21:22], v[85:86], 1.0
	v_fma_f64 v[85:86], v[85:86], v[221:222], v[85:86]
	v_fma_f64 v[221:222], -v[21:22], v[85:86], 1.0
	v_fma_f64 v[85:86], v[85:86], v[221:222], v[85:86]
	v_mul_f64 v[221:222], v[223:224], v[85:86]
	v_fma_f64 v[21:22], -v[21:22], v[221:222], v[223:224]
	v_div_fmas_f64 v[21:22], v[21:22], v[85:86], v[221:222]
	v_div_fixup_f64 v[21:22], v[21:22], v[1:2], v[3:4]
	v_fma_f64 v[1:2], v[3:4], v[21:22], v[1:2]
	v_div_scale_f64 v[3:4], null, v[1:2], v[1:2], 1.0
	v_rcp_f64_e32 v[85:86], v[3:4]
	v_fma_f64 v[221:222], -v[3:4], v[85:86], 1.0
	v_fma_f64 v[85:86], v[85:86], v[221:222], v[85:86]
	v_fma_f64 v[221:222], -v[3:4], v[85:86], 1.0
	v_fma_f64 v[85:86], v[85:86], v[221:222], v[85:86]
	v_div_scale_f64 v[221:222], vcc_lo, 1.0, v[1:2], 1.0
	v_mul_f64 v[223:224], v[221:222], v[85:86]
	v_fma_f64 v[3:4], -v[3:4], v[223:224], v[221:222]
	v_div_fmas_f64 v[3:4], v[3:4], v[85:86], v[223:224]
	v_div_fixup_f64 v[85:86], v[3:4], v[1:2], 1.0
	v_mul_f64 v[21:22], v[21:22], -v[85:86]
.LBB127_638:
	s_or_b32 exec_lo, exec_lo, s5
	ds_write2_b64 v23, v[85:86], v[21:22] offset1:1
.LBB127_639:
	s_or_b32 exec_lo, exec_lo, s6
	s_waitcnt lgkmcnt(0)
	s_barrier
	buffer_gl0_inv
	ds_read2_b64 v[221:224], v23 offset1:1
	s_mov_b32 s5, exec_lo
	v_cmpx_lt_u32_e32 55, v0
	s_cbranch_execz .LBB127_641
; %bb.640:
	s_clause 0xf
	buffer_load_dword v1, off, s[0:3], 0 offset:880
	buffer_load_dword v2, off, s[0:3], 0 offset:884
	;; [unrolled: 1-line block ×16, first 2 shown]
	s_waitcnt vmcnt(12) lgkmcnt(0)
	v_mul_f64 v[233:234], v[223:224], v[3:4]
	v_mul_f64 v[3:4], v[221:222], v[3:4]
	v_fma_f64 v[233:234], v[221:222], v[1:2], -v[233:234]
	v_fma_f64 v[235:236], v[223:224], v[1:2], v[3:4]
	buffer_store_dword v233, off, s[0:3], 0 offset:880
	buffer_store_dword v234, off, s[0:3], 0 offset:884
	buffer_store_dword v235, off, s[0:3], 0 offset:888
	buffer_store_dword v236, off, s[0:3], 0 offset:892
	ds_read2_b64 v[1:4], v24 offset0:112 offset1:113
	s_waitcnt lgkmcnt(0)
	v_mul_f64 v[237:238], v[3:4], v[235:236]
	v_fma_f64 v[237:238], v[1:2], v[233:234], -v[237:238]
	v_mul_f64 v[1:2], v[1:2], v[235:236]
	v_fma_f64 v[1:2], v[3:4], v[233:234], v[1:2]
	s_waitcnt vmcnt(10)
	v_add_f64 v[3:4], v[21:22], -v[237:238]
	s_waitcnt vmcnt(8)
	v_add_f64 v[1:2], v[85:86], -v[1:2]
	buffer_store_dword v3, off, s[0:3], 0 offset:896
	buffer_store_dword v4, off, s[0:3], 0 offset:900
	buffer_store_dword v1, off, s[0:3], 0 offset:904
	buffer_store_dword v2, off, s[0:3], 0 offset:908
	ds_read2_b64 v[1:4], v24 offset0:114 offset1:115
	s_waitcnt lgkmcnt(0)
	v_mul_f64 v[21:22], v[3:4], v[235:236]
	v_fma_f64 v[21:22], v[1:2], v[233:234], -v[21:22]
	v_mul_f64 v[1:2], v[1:2], v[235:236]
	v_fma_f64 v[1:2], v[3:4], v[233:234], v[1:2]
	s_waitcnt vmcnt(6)
	v_add_f64 v[3:4], v[225:226], -v[21:22]
	s_waitcnt vmcnt(4)
	v_add_f64 v[1:2], v[227:228], -v[1:2]
	;; [unrolled: 14-line block ×3, first 2 shown]
	buffer_store_dword v4, off, s[0:3], 0 offset:932
	buffer_store_dword v3, off, s[0:3], 0 offset:928
	buffer_store_dword v1, off, s[0:3], 0 offset:936
	buffer_store_dword v2, off, s[0:3], 0 offset:940
	ds_read2_b64 v[1:4], v24 offset0:118 offset1:119
	s_waitcnt lgkmcnt(0)
	v_mul_f64 v[21:22], v[3:4], v[235:236]
	v_fma_f64 v[21:22], v[1:2], v[233:234], -v[21:22]
	v_mul_f64 v[1:2], v[1:2], v[235:236]
	v_fma_f64 v[1:2], v[3:4], v[233:234], v[1:2]
	s_clause 0x3
	buffer_load_dword v3, off, s[0:3], 0 offset:944
	buffer_load_dword v4, off, s[0:3], 0 offset:948
	buffer_load_dword v85, off, s[0:3], 0 offset:952
	buffer_load_dword v86, off, s[0:3], 0 offset:956
	s_waitcnt vmcnt(2)
	v_add_f64 v[3:4], v[3:4], -v[21:22]
	s_waitcnt vmcnt(0)
	v_add_f64 v[1:2], v[85:86], -v[1:2]
	buffer_store_dword v4, off, s[0:3], 0 offset:948
	buffer_store_dword v3, off, s[0:3], 0 offset:944
	buffer_store_dword v2, off, s[0:3], 0 offset:956
	buffer_store_dword v1, off, s[0:3], 0 offset:952
	ds_read2_b64 v[1:4], v24 offset0:120 offset1:121
	s_waitcnt lgkmcnt(0)
	v_mul_f64 v[21:22], v[3:4], v[235:236]
	v_fma_f64 v[21:22], v[1:2], v[233:234], -v[21:22]
	v_mul_f64 v[1:2], v[1:2], v[235:236]
	v_fma_f64 v[1:2], v[3:4], v[233:234], v[1:2]
	s_clause 0x3
	buffer_load_dword v3, off, s[0:3], 0 offset:960
	buffer_load_dword v4, off, s[0:3], 0 offset:964
	buffer_load_dword v85, off, s[0:3], 0 offset:968
	buffer_load_dword v86, off, s[0:3], 0 offset:972
	s_waitcnt vmcnt(2)
	v_add_f64 v[3:4], v[3:4], -v[21:22]
	s_waitcnt vmcnt(0)
	v_add_f64 v[1:2], v[85:86], -v[1:2]
	buffer_store_dword v4, off, s[0:3], 0 offset:964
	buffer_store_dword v3, off, s[0:3], 0 offset:960
	buffer_store_dword v2, off, s[0:3], 0 offset:972
	buffer_store_dword v1, off, s[0:3], 0 offset:968
	ds_read2_b64 v[1:4], v24 offset0:122 offset1:123
	s_waitcnt lgkmcnt(0)
	v_mul_f64 v[21:22], v[3:4], v[235:236]
	v_fma_f64 v[21:22], v[1:2], v[233:234], -v[21:22]
	v_mul_f64 v[1:2], v[1:2], v[235:236]
	v_fma_f64 v[1:2], v[3:4], v[233:234], v[1:2]
	s_clause 0x3
	buffer_load_dword v3, off, s[0:3], 0 offset:976
	buffer_load_dword v4, off, s[0:3], 0 offset:980
	buffer_load_dword v85, off, s[0:3], 0 offset:984
	buffer_load_dword v86, off, s[0:3], 0 offset:988
	s_waitcnt vmcnt(2)
	v_add_f64 v[3:4], v[3:4], -v[21:22]
	s_waitcnt vmcnt(0)
	v_add_f64 v[1:2], v[85:86], -v[1:2]
	buffer_store_dword v4, off, s[0:3], 0 offset:980
	buffer_store_dword v3, off, s[0:3], 0 offset:976
	;; [unrolled: 1-line block ×4, first 2 shown]
	ds_read2_b64 v[1:4], v24 offset0:124 offset1:125
	s_clause 0x3
	buffer_load_dword v21, off, s[0:3], 0 offset:880
	buffer_load_dword v22, off, s[0:3], 0 offset:884
	;; [unrolled: 1-line block ×4, first 2 shown]
	s_waitcnt vmcnt(0) lgkmcnt(0)
	v_mul_f64 v[225:226], v[3:4], v[85:86]
	v_fma_f64 v[225:226], v[1:2], v[21:22], -v[225:226]
	v_mul_f64 v[1:2], v[1:2], v[85:86]
	v_fma_f64 v[1:2], v[3:4], v[21:22], v[1:2]
	s_clause 0x1
	buffer_load_dword v4, off, s[0:3], 0 offset:996
	buffer_load_dword v3, off, s[0:3], 0 offset:992
	s_waitcnt vmcnt(0)
	v_add_f64 v[3:4], v[3:4], -v[225:226]
	s_clause 0x1
	buffer_load_dword v226, off, s[0:3], 0 offset:1004
	buffer_load_dword v225, off, s[0:3], 0 offset:1000
	s_waitcnt vmcnt(0)
	v_add_f64 v[1:2], v[225:226], -v[1:2]
	buffer_store_dword v4, off, s[0:3], 0 offset:996
	buffer_store_dword v3, off, s[0:3], 0 offset:992
	;; [unrolled: 1-line block ×4, first 2 shown]
	ds_read2_b64 v[1:4], v24 offset0:126 offset1:127
	s_waitcnt lgkmcnt(0)
	v_mul_f64 v[225:226], v[3:4], v[85:86]
	v_fma_f64 v[225:226], v[1:2], v[21:22], -v[225:226]
	v_mul_f64 v[1:2], v[1:2], v[85:86]
	v_fma_f64 v[1:2], v[3:4], v[21:22], v[1:2]
	s_clause 0x3
	buffer_load_dword v3, off, s[0:3], 0 offset:1008
	buffer_load_dword v4, off, s[0:3], 0 offset:1012
	;; [unrolled: 1-line block ×4, first 2 shown]
	s_waitcnt vmcnt(2)
	v_add_f64 v[3:4], v[3:4], -v[225:226]
	s_waitcnt vmcnt(0)
	v_add_f64 v[1:2], v[21:22], -v[1:2]
	buffer_store_dword v4, off, s[0:3], 0 offset:1012
	buffer_store_dword v3, off, s[0:3], 0 offset:1008
	;; [unrolled: 1-line block ×4, first 2 shown]
.LBB127_641:
	s_or_b32 exec_lo, exec_lo, s5
	s_mov_b32 s6, exec_lo
	s_waitcnt lgkmcnt(0)
	s_waitcnt_vscnt null, 0x0
	s_barrier
	buffer_gl0_inv
	v_cmpx_eq_u32_e32 56, v0
	s_cbranch_execz .LBB127_648
; %bb.642:
	v_mov_b32_e32 v4, s22
	s_clause 0x3
	buffer_load_dword v1, v4, s[0:3], 0 offen
	buffer_load_dword v2, v4, s[0:3], 0 offen offset:4
	buffer_load_dword v3, v4, s[0:3], 0 offen offset:8
	;; [unrolled: 1-line block ×3, first 2 shown]
	s_waitcnt vmcnt(0)
	ds_write2_b64 v23, v[1:2], v[3:4] offset1:1
	v_mov_b32_e32 v4, s21
	s_clause 0x3
	buffer_load_dword v1, v4, s[0:3], 0 offen
	buffer_load_dword v2, v4, s[0:3], 0 offen offset:4
	buffer_load_dword v3, v4, s[0:3], 0 offen offset:8
	buffer_load_dword v4, v4, s[0:3], 0 offen offset:12
	s_waitcnt vmcnt(0)
	ds_write2_b64 v24, v[1:2], v[3:4] offset0:114 offset1:115
	v_mov_b32_e32 v4, s20
	s_clause 0x3
	buffer_load_dword v1, v4, s[0:3], 0 offen
	buffer_load_dword v2, v4, s[0:3], 0 offen offset:4
	buffer_load_dword v3, v4, s[0:3], 0 offen offset:8
	buffer_load_dword v4, v4, s[0:3], 0 offen offset:12
	s_waitcnt vmcnt(0)
	ds_write2_b64 v24, v[1:2], v[3:4] offset0:116 offset1:117
	;; [unrolled: 8-line block ×7, first 2 shown]
	ds_read2_b64 v[1:4], v23 offset1:1
	s_waitcnt lgkmcnt(0)
	v_cmp_neq_f64_e32 vcc_lo, 0, v[1:2]
	v_cmp_neq_f64_e64 s5, 0, v[3:4]
	s_or_b32 s5, vcc_lo, s5
	s_and_b32 exec_lo, exec_lo, s5
	s_cbranch_execz .LBB127_648
; %bb.643:
	v_cmp_ngt_f64_e64 s5, |v[1:2]|, |v[3:4]|
                                        ; implicit-def: $vgpr85_vgpr86
	s_and_saveexec_b32 s7, s5
	s_xor_b32 s5, exec_lo, s7
                                        ; implicit-def: $vgpr21_vgpr22
	s_cbranch_execz .LBB127_645
; %bb.644:
	v_div_scale_f64 v[21:22], null, v[3:4], v[3:4], v[1:2]
	v_div_scale_f64 v[227:228], vcc_lo, v[1:2], v[3:4], v[1:2]
	v_rcp_f64_e32 v[85:86], v[21:22]
	v_fma_f64 v[225:226], -v[21:22], v[85:86], 1.0
	v_fma_f64 v[85:86], v[85:86], v[225:226], v[85:86]
	v_fma_f64 v[225:226], -v[21:22], v[85:86], 1.0
	v_fma_f64 v[85:86], v[85:86], v[225:226], v[85:86]
	v_mul_f64 v[225:226], v[227:228], v[85:86]
	v_fma_f64 v[21:22], -v[21:22], v[225:226], v[227:228]
	v_div_fmas_f64 v[21:22], v[21:22], v[85:86], v[225:226]
	v_div_fixup_f64 v[85:86], v[21:22], v[3:4], v[1:2]
	v_fma_f64 v[1:2], v[1:2], v[85:86], v[3:4]
	v_div_scale_f64 v[3:4], null, v[1:2], v[1:2], 1.0
	v_rcp_f64_e32 v[21:22], v[3:4]
	v_fma_f64 v[225:226], -v[3:4], v[21:22], 1.0
	v_fma_f64 v[21:22], v[21:22], v[225:226], v[21:22]
	v_fma_f64 v[225:226], -v[3:4], v[21:22], 1.0
	v_fma_f64 v[21:22], v[21:22], v[225:226], v[21:22]
	v_div_scale_f64 v[225:226], vcc_lo, 1.0, v[1:2], 1.0
	v_mul_f64 v[227:228], v[225:226], v[21:22]
	v_fma_f64 v[3:4], -v[3:4], v[227:228], v[225:226]
	v_div_fmas_f64 v[3:4], v[3:4], v[21:22], v[227:228]
	v_div_fixup_f64 v[21:22], v[3:4], v[1:2], 1.0
                                        ; implicit-def: $vgpr1_vgpr2
	v_mul_f64 v[85:86], v[85:86], v[21:22]
	v_xor_b32_e32 v22, 0x80000000, v22
.LBB127_645:
	s_andn2_saveexec_b32 s5, s5
	s_cbranch_execz .LBB127_647
; %bb.646:
	v_div_scale_f64 v[21:22], null, v[1:2], v[1:2], v[3:4]
	v_div_scale_f64 v[227:228], vcc_lo, v[3:4], v[1:2], v[3:4]
	v_rcp_f64_e32 v[85:86], v[21:22]
	v_fma_f64 v[225:226], -v[21:22], v[85:86], 1.0
	v_fma_f64 v[85:86], v[85:86], v[225:226], v[85:86]
	v_fma_f64 v[225:226], -v[21:22], v[85:86], 1.0
	v_fma_f64 v[85:86], v[85:86], v[225:226], v[85:86]
	v_mul_f64 v[225:226], v[227:228], v[85:86]
	v_fma_f64 v[21:22], -v[21:22], v[225:226], v[227:228]
	v_div_fmas_f64 v[21:22], v[21:22], v[85:86], v[225:226]
	v_div_fixup_f64 v[21:22], v[21:22], v[1:2], v[3:4]
	v_fma_f64 v[1:2], v[3:4], v[21:22], v[1:2]
	v_div_scale_f64 v[3:4], null, v[1:2], v[1:2], 1.0
	v_rcp_f64_e32 v[85:86], v[3:4]
	v_fma_f64 v[225:226], -v[3:4], v[85:86], 1.0
	v_fma_f64 v[85:86], v[85:86], v[225:226], v[85:86]
	v_fma_f64 v[225:226], -v[3:4], v[85:86], 1.0
	v_fma_f64 v[85:86], v[85:86], v[225:226], v[85:86]
	v_div_scale_f64 v[225:226], vcc_lo, 1.0, v[1:2], 1.0
	v_mul_f64 v[227:228], v[225:226], v[85:86]
	v_fma_f64 v[3:4], -v[3:4], v[227:228], v[225:226]
	v_div_fmas_f64 v[3:4], v[3:4], v[85:86], v[227:228]
	v_div_fixup_f64 v[85:86], v[3:4], v[1:2], 1.0
	v_mul_f64 v[21:22], v[21:22], -v[85:86]
.LBB127_647:
	s_or_b32 exec_lo, exec_lo, s5
	ds_write2_b64 v23, v[85:86], v[21:22] offset1:1
.LBB127_648:
	s_or_b32 exec_lo, exec_lo, s6
	s_waitcnt lgkmcnt(0)
	s_barrier
	buffer_gl0_inv
	ds_read2_b64 v[225:228], v23 offset1:1
	s_mov_b32 s5, exec_lo
	v_cmpx_lt_u32_e32 56, v0
	s_cbranch_execz .LBB127_650
; %bb.649:
	s_clause 0xf
	buffer_load_dword v1, off, s[0:3], 0 offset:896
	buffer_load_dword v2, off, s[0:3], 0 offset:900
	;; [unrolled: 1-line block ×16, first 2 shown]
	s_waitcnt vmcnt(12) lgkmcnt(0)
	v_mul_f64 v[237:238], v[227:228], v[3:4]
	v_mul_f64 v[3:4], v[225:226], v[3:4]
	v_fma_f64 v[237:238], v[225:226], v[1:2], -v[237:238]
	v_fma_f64 v[239:240], v[227:228], v[1:2], v[3:4]
	buffer_store_dword v237, off, s[0:3], 0 offset:896
	buffer_store_dword v238, off, s[0:3], 0 offset:900
	buffer_store_dword v239, off, s[0:3], 0 offset:904
	buffer_store_dword v240, off, s[0:3], 0 offset:908
	ds_read2_b64 v[1:4], v24 offset0:114 offset1:115
	s_waitcnt lgkmcnt(0)
	v_mul_f64 v[241:242], v[3:4], v[239:240]
	v_fma_f64 v[241:242], v[1:2], v[237:238], -v[241:242]
	v_mul_f64 v[1:2], v[1:2], v[239:240]
	v_fma_f64 v[1:2], v[3:4], v[237:238], v[1:2]
	s_waitcnt vmcnt(10)
	v_add_f64 v[3:4], v[21:22], -v[241:242]
	s_waitcnt vmcnt(8)
	v_add_f64 v[1:2], v[85:86], -v[1:2]
	buffer_store_dword v3, off, s[0:3], 0 offset:912
	buffer_store_dword v4, off, s[0:3], 0 offset:916
	buffer_store_dword v1, off, s[0:3], 0 offset:920
	buffer_store_dword v2, off, s[0:3], 0 offset:924
	ds_read2_b64 v[1:4], v24 offset0:116 offset1:117
	s_waitcnt lgkmcnt(0)
	v_mul_f64 v[21:22], v[3:4], v[239:240]
	v_fma_f64 v[21:22], v[1:2], v[237:238], -v[21:22]
	v_mul_f64 v[1:2], v[1:2], v[239:240]
	v_fma_f64 v[1:2], v[3:4], v[237:238], v[1:2]
	s_waitcnt vmcnt(6)
	v_add_f64 v[3:4], v[229:230], -v[21:22]
	s_waitcnt vmcnt(4)
	v_add_f64 v[1:2], v[231:232], -v[1:2]
	;; [unrolled: 14-line block ×3, first 2 shown]
	buffer_store_dword v4, off, s[0:3], 0 offset:948
	buffer_store_dword v3, off, s[0:3], 0 offset:944
	buffer_store_dword v1, off, s[0:3], 0 offset:952
	buffer_store_dword v2, off, s[0:3], 0 offset:956
	ds_read2_b64 v[1:4], v24 offset0:120 offset1:121
	s_waitcnt lgkmcnt(0)
	v_mul_f64 v[21:22], v[3:4], v[239:240]
	v_fma_f64 v[21:22], v[1:2], v[237:238], -v[21:22]
	v_mul_f64 v[1:2], v[1:2], v[239:240]
	v_fma_f64 v[1:2], v[3:4], v[237:238], v[1:2]
	s_clause 0x3
	buffer_load_dword v3, off, s[0:3], 0 offset:960
	buffer_load_dword v4, off, s[0:3], 0 offset:964
	buffer_load_dword v85, off, s[0:3], 0 offset:968
	buffer_load_dword v86, off, s[0:3], 0 offset:972
	s_waitcnt vmcnt(2)
	v_add_f64 v[3:4], v[3:4], -v[21:22]
	s_waitcnt vmcnt(0)
	v_add_f64 v[1:2], v[85:86], -v[1:2]
	buffer_store_dword v4, off, s[0:3], 0 offset:964
	buffer_store_dword v3, off, s[0:3], 0 offset:960
	buffer_store_dword v2, off, s[0:3], 0 offset:972
	buffer_store_dword v1, off, s[0:3], 0 offset:968
	ds_read2_b64 v[1:4], v24 offset0:122 offset1:123
	s_waitcnt lgkmcnt(0)
	v_mul_f64 v[21:22], v[3:4], v[239:240]
	v_fma_f64 v[21:22], v[1:2], v[237:238], -v[21:22]
	v_mul_f64 v[1:2], v[1:2], v[239:240]
	v_fma_f64 v[1:2], v[3:4], v[237:238], v[1:2]
	s_clause 0x3
	buffer_load_dword v3, off, s[0:3], 0 offset:976
	buffer_load_dword v4, off, s[0:3], 0 offset:980
	buffer_load_dword v85, off, s[0:3], 0 offset:984
	buffer_load_dword v86, off, s[0:3], 0 offset:988
	s_waitcnt vmcnt(2)
	v_add_f64 v[3:4], v[3:4], -v[21:22]
	s_waitcnt vmcnt(0)
	v_add_f64 v[1:2], v[85:86], -v[1:2]
	;; [unrolled: 19-line block ×3, first 2 shown]
	buffer_store_dword v4, off, s[0:3], 0 offset:996
	buffer_store_dword v3, off, s[0:3], 0 offset:992
	;; [unrolled: 1-line block ×4, first 2 shown]
	ds_read2_b64 v[1:4], v24 offset0:126 offset1:127
	s_clause 0x3
	buffer_load_dword v21, off, s[0:3], 0 offset:896
	buffer_load_dword v22, off, s[0:3], 0 offset:900
	buffer_load_dword v85, off, s[0:3], 0 offset:904
	buffer_load_dword v86, off, s[0:3], 0 offset:908
	s_waitcnt vmcnt(0) lgkmcnt(0)
	v_mul_f64 v[229:230], v[3:4], v[85:86]
	v_fma_f64 v[229:230], v[1:2], v[21:22], -v[229:230]
	v_mul_f64 v[1:2], v[1:2], v[85:86]
	v_fma_f64 v[1:2], v[3:4], v[21:22], v[1:2]
	s_clause 0x3
	buffer_load_dword v4, off, s[0:3], 0 offset:1012
	buffer_load_dword v3, off, s[0:3], 0 offset:1008
	;; [unrolled: 1-line block ×4, first 2 shown]
	s_waitcnt vmcnt(2)
	v_add_f64 v[3:4], v[3:4], -v[229:230]
	s_waitcnt vmcnt(0)
	v_add_f64 v[1:2], v[21:22], -v[1:2]
	buffer_store_dword v4, off, s[0:3], 0 offset:1012
	buffer_store_dword v3, off, s[0:3], 0 offset:1008
	;; [unrolled: 1-line block ×4, first 2 shown]
.LBB127_650:
	s_or_b32 exec_lo, exec_lo, s5
	s_mov_b32 s6, exec_lo
	s_waitcnt lgkmcnt(0)
	s_waitcnt_vscnt null, 0x0
	s_barrier
	buffer_gl0_inv
	v_cmpx_eq_u32_e32 57, v0
	s_cbranch_execz .LBB127_657
; %bb.651:
	v_mov_b32_e32 v4, s21
	s_clause 0x3
	buffer_load_dword v1, v4, s[0:3], 0 offen
	buffer_load_dword v2, v4, s[0:3], 0 offen offset:4
	buffer_load_dword v3, v4, s[0:3], 0 offen offset:8
	;; [unrolled: 1-line block ×3, first 2 shown]
	s_waitcnt vmcnt(0)
	ds_write2_b64 v23, v[1:2], v[3:4] offset1:1
	v_mov_b32_e32 v4, s20
	s_clause 0x3
	buffer_load_dword v1, v4, s[0:3], 0 offen
	buffer_load_dword v2, v4, s[0:3], 0 offen offset:4
	buffer_load_dword v3, v4, s[0:3], 0 offen offset:8
	buffer_load_dword v4, v4, s[0:3], 0 offen offset:12
	s_waitcnt vmcnt(0)
	ds_write2_b64 v24, v[1:2], v[3:4] offset0:116 offset1:117
	v_mov_b32_e32 v4, s19
	s_clause 0x3
	buffer_load_dword v1, v4, s[0:3], 0 offen
	buffer_load_dword v2, v4, s[0:3], 0 offen offset:4
	buffer_load_dword v3, v4, s[0:3], 0 offen offset:8
	buffer_load_dword v4, v4, s[0:3], 0 offen offset:12
	s_waitcnt vmcnt(0)
	ds_write2_b64 v24, v[1:2], v[3:4] offset0:118 offset1:119
	;; [unrolled: 8-line block ×6, first 2 shown]
	ds_read2_b64 v[1:4], v23 offset1:1
	s_waitcnt lgkmcnt(0)
	v_cmp_neq_f64_e32 vcc_lo, 0, v[1:2]
	v_cmp_neq_f64_e64 s5, 0, v[3:4]
	s_or_b32 s5, vcc_lo, s5
	s_and_b32 exec_lo, exec_lo, s5
	s_cbranch_execz .LBB127_657
; %bb.652:
	v_cmp_ngt_f64_e64 s5, |v[1:2]|, |v[3:4]|
                                        ; implicit-def: $vgpr85_vgpr86
	s_and_saveexec_b32 s7, s5
	s_xor_b32 s5, exec_lo, s7
                                        ; implicit-def: $vgpr21_vgpr22
	s_cbranch_execz .LBB127_654
; %bb.653:
	v_div_scale_f64 v[21:22], null, v[3:4], v[3:4], v[1:2]
	v_div_scale_f64 v[231:232], vcc_lo, v[1:2], v[3:4], v[1:2]
	v_rcp_f64_e32 v[85:86], v[21:22]
	v_fma_f64 v[229:230], -v[21:22], v[85:86], 1.0
	v_fma_f64 v[85:86], v[85:86], v[229:230], v[85:86]
	v_fma_f64 v[229:230], -v[21:22], v[85:86], 1.0
	v_fma_f64 v[85:86], v[85:86], v[229:230], v[85:86]
	v_mul_f64 v[229:230], v[231:232], v[85:86]
	v_fma_f64 v[21:22], -v[21:22], v[229:230], v[231:232]
	v_div_fmas_f64 v[21:22], v[21:22], v[85:86], v[229:230]
	v_div_fixup_f64 v[85:86], v[21:22], v[3:4], v[1:2]
	v_fma_f64 v[1:2], v[1:2], v[85:86], v[3:4]
	v_div_scale_f64 v[3:4], null, v[1:2], v[1:2], 1.0
	v_rcp_f64_e32 v[21:22], v[3:4]
	v_fma_f64 v[229:230], -v[3:4], v[21:22], 1.0
	v_fma_f64 v[21:22], v[21:22], v[229:230], v[21:22]
	v_fma_f64 v[229:230], -v[3:4], v[21:22], 1.0
	v_fma_f64 v[21:22], v[21:22], v[229:230], v[21:22]
	v_div_scale_f64 v[229:230], vcc_lo, 1.0, v[1:2], 1.0
	v_mul_f64 v[231:232], v[229:230], v[21:22]
	v_fma_f64 v[3:4], -v[3:4], v[231:232], v[229:230]
	v_div_fmas_f64 v[3:4], v[3:4], v[21:22], v[231:232]
	v_div_fixup_f64 v[21:22], v[3:4], v[1:2], 1.0
                                        ; implicit-def: $vgpr1_vgpr2
	v_mul_f64 v[85:86], v[85:86], v[21:22]
	v_xor_b32_e32 v22, 0x80000000, v22
.LBB127_654:
	s_andn2_saveexec_b32 s5, s5
	s_cbranch_execz .LBB127_656
; %bb.655:
	v_div_scale_f64 v[21:22], null, v[1:2], v[1:2], v[3:4]
	v_div_scale_f64 v[231:232], vcc_lo, v[3:4], v[1:2], v[3:4]
	v_rcp_f64_e32 v[85:86], v[21:22]
	v_fma_f64 v[229:230], -v[21:22], v[85:86], 1.0
	v_fma_f64 v[85:86], v[85:86], v[229:230], v[85:86]
	v_fma_f64 v[229:230], -v[21:22], v[85:86], 1.0
	v_fma_f64 v[85:86], v[85:86], v[229:230], v[85:86]
	v_mul_f64 v[229:230], v[231:232], v[85:86]
	v_fma_f64 v[21:22], -v[21:22], v[229:230], v[231:232]
	v_div_fmas_f64 v[21:22], v[21:22], v[85:86], v[229:230]
	v_div_fixup_f64 v[21:22], v[21:22], v[1:2], v[3:4]
	v_fma_f64 v[1:2], v[3:4], v[21:22], v[1:2]
	v_div_scale_f64 v[3:4], null, v[1:2], v[1:2], 1.0
	v_rcp_f64_e32 v[85:86], v[3:4]
	v_fma_f64 v[229:230], -v[3:4], v[85:86], 1.0
	v_fma_f64 v[85:86], v[85:86], v[229:230], v[85:86]
	v_fma_f64 v[229:230], -v[3:4], v[85:86], 1.0
	v_fma_f64 v[85:86], v[85:86], v[229:230], v[85:86]
	v_div_scale_f64 v[229:230], vcc_lo, 1.0, v[1:2], 1.0
	v_mul_f64 v[231:232], v[229:230], v[85:86]
	v_fma_f64 v[3:4], -v[3:4], v[231:232], v[229:230]
	v_div_fmas_f64 v[3:4], v[3:4], v[85:86], v[231:232]
	v_div_fixup_f64 v[85:86], v[3:4], v[1:2], 1.0
	v_mul_f64 v[21:22], v[21:22], -v[85:86]
.LBB127_656:
	s_or_b32 exec_lo, exec_lo, s5
	ds_write2_b64 v23, v[85:86], v[21:22] offset1:1
.LBB127_657:
	s_or_b32 exec_lo, exec_lo, s6
	s_waitcnt lgkmcnt(0)
	s_barrier
	buffer_gl0_inv
	ds_read2_b64 v[229:232], v23 offset1:1
	s_mov_b32 s5, exec_lo
	v_cmpx_lt_u32_e32 57, v0
	s_cbranch_execz .LBB127_659
; %bb.658:
	s_clause 0xf
	buffer_load_dword v1, off, s[0:3], 0 offset:912
	buffer_load_dword v2, off, s[0:3], 0 offset:916
	;; [unrolled: 1-line block ×16, first 2 shown]
	s_waitcnt vmcnt(12) lgkmcnt(0)
	v_mul_f64 v[241:242], v[231:232], v[3:4]
	v_mul_f64 v[3:4], v[229:230], v[3:4]
	v_fma_f64 v[241:242], v[229:230], v[1:2], -v[241:242]
	v_fma_f64 v[243:244], v[231:232], v[1:2], v[3:4]
	buffer_store_dword v241, off, s[0:3], 0 offset:912
	buffer_store_dword v242, off, s[0:3], 0 offset:916
	buffer_store_dword v243, off, s[0:3], 0 offset:920
	buffer_store_dword v244, off, s[0:3], 0 offset:924
	ds_read2_b64 v[1:4], v24 offset0:116 offset1:117
	s_waitcnt lgkmcnt(0)
	v_mul_f64 v[245:246], v[3:4], v[243:244]
	v_fma_f64 v[245:246], v[1:2], v[241:242], -v[245:246]
	v_mul_f64 v[1:2], v[1:2], v[243:244]
	v_fma_f64 v[1:2], v[3:4], v[241:242], v[1:2]
	s_waitcnt vmcnt(10)
	v_add_f64 v[3:4], v[21:22], -v[245:246]
	s_waitcnt vmcnt(8)
	v_add_f64 v[1:2], v[85:86], -v[1:2]
	buffer_store_dword v3, off, s[0:3], 0 offset:928
	buffer_store_dword v4, off, s[0:3], 0 offset:932
	buffer_store_dword v1, off, s[0:3], 0 offset:936
	buffer_store_dword v2, off, s[0:3], 0 offset:940
	ds_read2_b64 v[1:4], v24 offset0:118 offset1:119
	s_waitcnt lgkmcnt(0)
	v_mul_f64 v[21:22], v[3:4], v[243:244]
	v_fma_f64 v[21:22], v[1:2], v[241:242], -v[21:22]
	v_mul_f64 v[1:2], v[1:2], v[243:244]
	v_fma_f64 v[1:2], v[3:4], v[241:242], v[1:2]
	s_waitcnt vmcnt(6)
	v_add_f64 v[3:4], v[233:234], -v[21:22]
	s_waitcnt vmcnt(4)
	v_add_f64 v[1:2], v[235:236], -v[1:2]
	;; [unrolled: 14-line block ×3, first 2 shown]
	buffer_store_dword v4, off, s[0:3], 0 offset:964
	buffer_store_dword v3, off, s[0:3], 0 offset:960
	buffer_store_dword v1, off, s[0:3], 0 offset:968
	buffer_store_dword v2, off, s[0:3], 0 offset:972
	ds_read2_b64 v[1:4], v24 offset0:122 offset1:123
	s_waitcnt lgkmcnt(0)
	v_mul_f64 v[21:22], v[3:4], v[243:244]
	v_fma_f64 v[21:22], v[1:2], v[241:242], -v[21:22]
	v_mul_f64 v[1:2], v[1:2], v[243:244]
	v_fma_f64 v[1:2], v[3:4], v[241:242], v[1:2]
	s_clause 0x3
	buffer_load_dword v3, off, s[0:3], 0 offset:976
	buffer_load_dword v4, off, s[0:3], 0 offset:980
	buffer_load_dword v85, off, s[0:3], 0 offset:984
	buffer_load_dword v86, off, s[0:3], 0 offset:988
	s_waitcnt vmcnt(2)
	v_add_f64 v[3:4], v[3:4], -v[21:22]
	s_waitcnt vmcnt(0)
	v_add_f64 v[1:2], v[85:86], -v[1:2]
	buffer_store_dword v4, off, s[0:3], 0 offset:980
	buffer_store_dword v3, off, s[0:3], 0 offset:976
	buffer_store_dword v2, off, s[0:3], 0 offset:988
	buffer_store_dword v1, off, s[0:3], 0 offset:984
	ds_read2_b64 v[1:4], v24 offset0:124 offset1:125
	s_waitcnt lgkmcnt(0)
	v_mul_f64 v[21:22], v[3:4], v[243:244]
	v_fma_f64 v[21:22], v[1:2], v[241:242], -v[21:22]
	v_mul_f64 v[1:2], v[1:2], v[243:244]
	v_fma_f64 v[1:2], v[3:4], v[241:242], v[1:2]
	s_clause 0x3
	buffer_load_dword v3, off, s[0:3], 0 offset:992
	buffer_load_dword v4, off, s[0:3], 0 offset:996
	buffer_load_dword v85, off, s[0:3], 0 offset:1000
	buffer_load_dword v86, off, s[0:3], 0 offset:1004
	s_waitcnt vmcnt(2)
	v_add_f64 v[3:4], v[3:4], -v[21:22]
	s_waitcnt vmcnt(0)
	v_add_f64 v[1:2], v[85:86], -v[1:2]
	;; [unrolled: 19-line block ×3, first 2 shown]
	buffer_store_dword v4, off, s[0:3], 0 offset:1012
	buffer_store_dword v3, off, s[0:3], 0 offset:1008
	;; [unrolled: 1-line block ×4, first 2 shown]
.LBB127_659:
	s_or_b32 exec_lo, exec_lo, s5
	s_mov_b32 s6, exec_lo
	s_waitcnt lgkmcnt(0)
	s_waitcnt_vscnt null, 0x0
	s_barrier
	buffer_gl0_inv
	v_cmpx_eq_u32_e32 58, v0
	s_cbranch_execz .LBB127_666
; %bb.660:
	v_mov_b32_e32 v4, s20
	s_clause 0x3
	buffer_load_dword v1, v4, s[0:3], 0 offen
	buffer_load_dword v2, v4, s[0:3], 0 offen offset:4
	buffer_load_dword v3, v4, s[0:3], 0 offen offset:8
	;; [unrolled: 1-line block ×3, first 2 shown]
	s_waitcnt vmcnt(0)
	ds_write2_b64 v23, v[1:2], v[3:4] offset1:1
	v_mov_b32_e32 v4, s19
	s_clause 0x3
	buffer_load_dword v1, v4, s[0:3], 0 offen
	buffer_load_dword v2, v4, s[0:3], 0 offen offset:4
	buffer_load_dword v3, v4, s[0:3], 0 offen offset:8
	buffer_load_dword v4, v4, s[0:3], 0 offen offset:12
	s_waitcnt vmcnt(0)
	ds_write2_b64 v24, v[1:2], v[3:4] offset0:118 offset1:119
	v_mov_b32_e32 v4, s18
	s_clause 0x3
	buffer_load_dword v1, v4, s[0:3], 0 offen
	buffer_load_dword v2, v4, s[0:3], 0 offen offset:4
	buffer_load_dword v3, v4, s[0:3], 0 offen offset:8
	buffer_load_dword v4, v4, s[0:3], 0 offen offset:12
	s_waitcnt vmcnt(0)
	ds_write2_b64 v24, v[1:2], v[3:4] offset0:120 offset1:121
	;; [unrolled: 8-line block ×5, first 2 shown]
	ds_read2_b64 v[1:4], v23 offset1:1
	s_waitcnt lgkmcnt(0)
	v_cmp_neq_f64_e32 vcc_lo, 0, v[1:2]
	v_cmp_neq_f64_e64 s5, 0, v[3:4]
	s_or_b32 s5, vcc_lo, s5
	s_and_b32 exec_lo, exec_lo, s5
	s_cbranch_execz .LBB127_666
; %bb.661:
	v_cmp_ngt_f64_e64 s5, |v[1:2]|, |v[3:4]|
                                        ; implicit-def: $vgpr85_vgpr86
	s_and_saveexec_b32 s7, s5
	s_xor_b32 s5, exec_lo, s7
                                        ; implicit-def: $vgpr21_vgpr22
	s_cbranch_execz .LBB127_663
; %bb.662:
	v_div_scale_f64 v[21:22], null, v[3:4], v[3:4], v[1:2]
	v_div_scale_f64 v[235:236], vcc_lo, v[1:2], v[3:4], v[1:2]
	v_rcp_f64_e32 v[85:86], v[21:22]
	v_fma_f64 v[233:234], -v[21:22], v[85:86], 1.0
	v_fma_f64 v[85:86], v[85:86], v[233:234], v[85:86]
	v_fma_f64 v[233:234], -v[21:22], v[85:86], 1.0
	v_fma_f64 v[85:86], v[85:86], v[233:234], v[85:86]
	v_mul_f64 v[233:234], v[235:236], v[85:86]
	v_fma_f64 v[21:22], -v[21:22], v[233:234], v[235:236]
	v_div_fmas_f64 v[21:22], v[21:22], v[85:86], v[233:234]
	v_div_fixup_f64 v[85:86], v[21:22], v[3:4], v[1:2]
	v_fma_f64 v[1:2], v[1:2], v[85:86], v[3:4]
	v_div_scale_f64 v[3:4], null, v[1:2], v[1:2], 1.0
	v_rcp_f64_e32 v[21:22], v[3:4]
	v_fma_f64 v[233:234], -v[3:4], v[21:22], 1.0
	v_fma_f64 v[21:22], v[21:22], v[233:234], v[21:22]
	v_fma_f64 v[233:234], -v[3:4], v[21:22], 1.0
	v_fma_f64 v[21:22], v[21:22], v[233:234], v[21:22]
	v_div_scale_f64 v[233:234], vcc_lo, 1.0, v[1:2], 1.0
	v_mul_f64 v[235:236], v[233:234], v[21:22]
	v_fma_f64 v[3:4], -v[3:4], v[235:236], v[233:234]
	v_div_fmas_f64 v[3:4], v[3:4], v[21:22], v[235:236]
	v_div_fixup_f64 v[21:22], v[3:4], v[1:2], 1.0
                                        ; implicit-def: $vgpr1_vgpr2
	v_mul_f64 v[85:86], v[85:86], v[21:22]
	v_xor_b32_e32 v22, 0x80000000, v22
.LBB127_663:
	s_andn2_saveexec_b32 s5, s5
	s_cbranch_execz .LBB127_665
; %bb.664:
	v_div_scale_f64 v[21:22], null, v[1:2], v[1:2], v[3:4]
	v_div_scale_f64 v[235:236], vcc_lo, v[3:4], v[1:2], v[3:4]
	v_rcp_f64_e32 v[85:86], v[21:22]
	v_fma_f64 v[233:234], -v[21:22], v[85:86], 1.0
	v_fma_f64 v[85:86], v[85:86], v[233:234], v[85:86]
	v_fma_f64 v[233:234], -v[21:22], v[85:86], 1.0
	v_fma_f64 v[85:86], v[85:86], v[233:234], v[85:86]
	v_mul_f64 v[233:234], v[235:236], v[85:86]
	v_fma_f64 v[21:22], -v[21:22], v[233:234], v[235:236]
	v_div_fmas_f64 v[21:22], v[21:22], v[85:86], v[233:234]
	v_div_fixup_f64 v[21:22], v[21:22], v[1:2], v[3:4]
	v_fma_f64 v[1:2], v[3:4], v[21:22], v[1:2]
	v_div_scale_f64 v[3:4], null, v[1:2], v[1:2], 1.0
	v_rcp_f64_e32 v[85:86], v[3:4]
	v_fma_f64 v[233:234], -v[3:4], v[85:86], 1.0
	v_fma_f64 v[85:86], v[85:86], v[233:234], v[85:86]
	v_fma_f64 v[233:234], -v[3:4], v[85:86], 1.0
	v_fma_f64 v[85:86], v[85:86], v[233:234], v[85:86]
	v_div_scale_f64 v[233:234], vcc_lo, 1.0, v[1:2], 1.0
	v_mul_f64 v[235:236], v[233:234], v[85:86]
	v_fma_f64 v[3:4], -v[3:4], v[235:236], v[233:234]
	v_div_fmas_f64 v[3:4], v[3:4], v[85:86], v[235:236]
	v_div_fixup_f64 v[85:86], v[3:4], v[1:2], 1.0
	v_mul_f64 v[21:22], v[21:22], -v[85:86]
.LBB127_665:
	s_or_b32 exec_lo, exec_lo, s5
	ds_write2_b64 v23, v[85:86], v[21:22] offset1:1
.LBB127_666:
	s_or_b32 exec_lo, exec_lo, s6
	s_waitcnt lgkmcnt(0)
	s_barrier
	buffer_gl0_inv
	ds_read2_b64 v[233:236], v23 offset1:1
	s_mov_b32 s5, exec_lo
	v_cmpx_lt_u32_e32 58, v0
	s_cbranch_execz .LBB127_668
; %bb.667:
	s_clause 0xf
	buffer_load_dword v1, off, s[0:3], 0 offset:928
	buffer_load_dword v2, off, s[0:3], 0 offset:932
	buffer_load_dword v3, off, s[0:3], 0 offset:936
	buffer_load_dword v4, off, s[0:3], 0 offset:940
	buffer_load_dword v21, off, s[0:3], 0 offset:944
	buffer_load_dword v22, off, s[0:3], 0 offset:948
	buffer_load_dword v85, off, s[0:3], 0 offset:952
	buffer_load_dword v86, off, s[0:3], 0 offset:956
	buffer_load_dword v237, off, s[0:3], 0 offset:960
	buffer_load_dword v238, off, s[0:3], 0 offset:964
	buffer_load_dword v239, off, s[0:3], 0 offset:968
	buffer_load_dword v240, off, s[0:3], 0 offset:972
	buffer_load_dword v241, off, s[0:3], 0 offset:976
	buffer_load_dword v242, off, s[0:3], 0 offset:980
	buffer_load_dword v243, off, s[0:3], 0 offset:984
	buffer_load_dword v244, off, s[0:3], 0 offset:988
	s_waitcnt vmcnt(12) lgkmcnt(0)
	v_mul_f64 v[245:246], v[235:236], v[3:4]
	v_mul_f64 v[3:4], v[233:234], v[3:4]
	v_fma_f64 v[245:246], v[233:234], v[1:2], -v[245:246]
	v_fma_f64 v[247:248], v[235:236], v[1:2], v[3:4]
	buffer_store_dword v245, off, s[0:3], 0 offset:928
	buffer_store_dword v246, off, s[0:3], 0 offset:932
	buffer_store_dword v247, off, s[0:3], 0 offset:936
	buffer_store_dword v248, off, s[0:3], 0 offset:940
	ds_read2_b64 v[1:4], v24 offset0:118 offset1:119
	s_waitcnt lgkmcnt(0)
	v_mul_f64 v[249:250], v[3:4], v[247:248]
	v_fma_f64 v[249:250], v[1:2], v[245:246], -v[249:250]
	v_mul_f64 v[1:2], v[1:2], v[247:248]
	v_fma_f64 v[1:2], v[3:4], v[245:246], v[1:2]
	s_waitcnt vmcnt(10)
	v_add_f64 v[3:4], v[21:22], -v[249:250]
	s_waitcnt vmcnt(8)
	v_add_f64 v[1:2], v[85:86], -v[1:2]
	buffer_store_dword v3, off, s[0:3], 0 offset:944
	buffer_store_dword v4, off, s[0:3], 0 offset:948
	buffer_store_dword v1, off, s[0:3], 0 offset:952
	buffer_store_dword v2, off, s[0:3], 0 offset:956
	ds_read2_b64 v[1:4], v24 offset0:120 offset1:121
	s_waitcnt lgkmcnt(0)
	v_mul_f64 v[21:22], v[3:4], v[247:248]
	v_fma_f64 v[21:22], v[1:2], v[245:246], -v[21:22]
	v_mul_f64 v[1:2], v[1:2], v[247:248]
	v_fma_f64 v[1:2], v[3:4], v[245:246], v[1:2]
	s_waitcnt vmcnt(6)
	v_add_f64 v[3:4], v[237:238], -v[21:22]
	s_waitcnt vmcnt(4)
	v_add_f64 v[1:2], v[239:240], -v[1:2]
	;; [unrolled: 14-line block ×3, first 2 shown]
	buffer_store_dword v4, off, s[0:3], 0 offset:980
	buffer_store_dword v3, off, s[0:3], 0 offset:976
	;; [unrolled: 1-line block ×4, first 2 shown]
	ds_read2_b64 v[1:4], v24 offset0:124 offset1:125
	s_waitcnt lgkmcnt(0)
	v_mul_f64 v[21:22], v[3:4], v[247:248]
	v_fma_f64 v[21:22], v[1:2], v[245:246], -v[21:22]
	v_mul_f64 v[1:2], v[1:2], v[247:248]
	v_fma_f64 v[1:2], v[3:4], v[245:246], v[1:2]
	s_clause 0x3
	buffer_load_dword v3, off, s[0:3], 0 offset:992
	buffer_load_dword v4, off, s[0:3], 0 offset:996
	;; [unrolled: 1-line block ×4, first 2 shown]
	s_waitcnt vmcnt(2)
	v_add_f64 v[3:4], v[3:4], -v[21:22]
	s_waitcnt vmcnt(0)
	v_add_f64 v[1:2], v[85:86], -v[1:2]
	buffer_store_dword v4, off, s[0:3], 0 offset:996
	buffer_store_dword v3, off, s[0:3], 0 offset:992
	;; [unrolled: 1-line block ×4, first 2 shown]
	ds_read2_b64 v[1:4], v24 offset0:126 offset1:127
	s_waitcnt lgkmcnt(0)
	v_mul_f64 v[21:22], v[3:4], v[247:248]
	v_fma_f64 v[21:22], v[1:2], v[245:246], -v[21:22]
	v_mul_f64 v[1:2], v[1:2], v[247:248]
	v_fma_f64 v[1:2], v[3:4], v[245:246], v[1:2]
	s_clause 0x3
	buffer_load_dword v3, off, s[0:3], 0 offset:1008
	buffer_load_dword v4, off, s[0:3], 0 offset:1012
	;; [unrolled: 1-line block ×4, first 2 shown]
	s_waitcnt vmcnt(2)
	v_add_f64 v[3:4], v[3:4], -v[21:22]
	s_waitcnt vmcnt(0)
	v_add_f64 v[1:2], v[85:86], -v[1:2]
	buffer_store_dword v4, off, s[0:3], 0 offset:1012
	buffer_store_dword v3, off, s[0:3], 0 offset:1008
	buffer_store_dword v2, off, s[0:3], 0 offset:1020
	buffer_store_dword v1, off, s[0:3], 0 offset:1016
.LBB127_668:
	s_or_b32 exec_lo, exec_lo, s5
	s_mov_b32 s6, exec_lo
	s_waitcnt lgkmcnt(0)
	s_waitcnt_vscnt null, 0x0
	s_barrier
	buffer_gl0_inv
	v_cmpx_eq_u32_e32 59, v0
	s_cbranch_execz .LBB127_675
; %bb.669:
	v_mov_b32_e32 v4, s19
	s_clause 0x3
	buffer_load_dword v1, v4, s[0:3], 0 offen
	buffer_load_dword v2, v4, s[0:3], 0 offen offset:4
	buffer_load_dword v3, v4, s[0:3], 0 offen offset:8
	;; [unrolled: 1-line block ×3, first 2 shown]
	s_waitcnt vmcnt(0)
	ds_write2_b64 v23, v[1:2], v[3:4] offset1:1
	v_mov_b32_e32 v4, s18
	s_clause 0x3
	buffer_load_dword v1, v4, s[0:3], 0 offen
	buffer_load_dword v2, v4, s[0:3], 0 offen offset:4
	buffer_load_dword v3, v4, s[0:3], 0 offen offset:8
	buffer_load_dword v4, v4, s[0:3], 0 offen offset:12
	s_waitcnt vmcnt(0)
	ds_write2_b64 v24, v[1:2], v[3:4] offset0:120 offset1:121
	v_mov_b32_e32 v4, s16
	s_clause 0x3
	buffer_load_dword v1, v4, s[0:3], 0 offen
	buffer_load_dword v2, v4, s[0:3], 0 offen offset:4
	buffer_load_dword v3, v4, s[0:3], 0 offen offset:8
	buffer_load_dword v4, v4, s[0:3], 0 offen offset:12
	s_waitcnt vmcnt(0)
	ds_write2_b64 v24, v[1:2], v[3:4] offset0:122 offset1:123
	;; [unrolled: 8-line block ×4, first 2 shown]
	ds_read2_b64 v[1:4], v23 offset1:1
	s_waitcnt lgkmcnt(0)
	v_cmp_neq_f64_e32 vcc_lo, 0, v[1:2]
	v_cmp_neq_f64_e64 s5, 0, v[3:4]
	s_or_b32 s5, vcc_lo, s5
	s_and_b32 exec_lo, exec_lo, s5
	s_cbranch_execz .LBB127_675
; %bb.670:
	v_cmp_ngt_f64_e64 s5, |v[1:2]|, |v[3:4]|
                                        ; implicit-def: $vgpr85_vgpr86
	s_and_saveexec_b32 s7, s5
	s_xor_b32 s5, exec_lo, s7
                                        ; implicit-def: $vgpr21_vgpr22
	s_cbranch_execz .LBB127_672
; %bb.671:
	v_div_scale_f64 v[21:22], null, v[3:4], v[3:4], v[1:2]
	v_div_scale_f64 v[239:240], vcc_lo, v[1:2], v[3:4], v[1:2]
	v_rcp_f64_e32 v[85:86], v[21:22]
	v_fma_f64 v[237:238], -v[21:22], v[85:86], 1.0
	v_fma_f64 v[85:86], v[85:86], v[237:238], v[85:86]
	v_fma_f64 v[237:238], -v[21:22], v[85:86], 1.0
	v_fma_f64 v[85:86], v[85:86], v[237:238], v[85:86]
	v_mul_f64 v[237:238], v[239:240], v[85:86]
	v_fma_f64 v[21:22], -v[21:22], v[237:238], v[239:240]
	v_div_fmas_f64 v[21:22], v[21:22], v[85:86], v[237:238]
	v_div_fixup_f64 v[85:86], v[21:22], v[3:4], v[1:2]
	v_fma_f64 v[1:2], v[1:2], v[85:86], v[3:4]
	v_div_scale_f64 v[3:4], null, v[1:2], v[1:2], 1.0
	v_rcp_f64_e32 v[21:22], v[3:4]
	v_fma_f64 v[237:238], -v[3:4], v[21:22], 1.0
	v_fma_f64 v[21:22], v[21:22], v[237:238], v[21:22]
	v_fma_f64 v[237:238], -v[3:4], v[21:22], 1.0
	v_fma_f64 v[21:22], v[21:22], v[237:238], v[21:22]
	v_div_scale_f64 v[237:238], vcc_lo, 1.0, v[1:2], 1.0
	v_mul_f64 v[239:240], v[237:238], v[21:22]
	v_fma_f64 v[3:4], -v[3:4], v[239:240], v[237:238]
	v_div_fmas_f64 v[3:4], v[3:4], v[21:22], v[239:240]
	v_div_fixup_f64 v[21:22], v[3:4], v[1:2], 1.0
                                        ; implicit-def: $vgpr1_vgpr2
	v_mul_f64 v[85:86], v[85:86], v[21:22]
	v_xor_b32_e32 v22, 0x80000000, v22
.LBB127_672:
	s_andn2_saveexec_b32 s5, s5
	s_cbranch_execz .LBB127_674
; %bb.673:
	v_div_scale_f64 v[21:22], null, v[1:2], v[1:2], v[3:4]
	v_div_scale_f64 v[239:240], vcc_lo, v[3:4], v[1:2], v[3:4]
	v_rcp_f64_e32 v[85:86], v[21:22]
	v_fma_f64 v[237:238], -v[21:22], v[85:86], 1.0
	v_fma_f64 v[85:86], v[85:86], v[237:238], v[85:86]
	v_fma_f64 v[237:238], -v[21:22], v[85:86], 1.0
	v_fma_f64 v[85:86], v[85:86], v[237:238], v[85:86]
	v_mul_f64 v[237:238], v[239:240], v[85:86]
	v_fma_f64 v[21:22], -v[21:22], v[237:238], v[239:240]
	v_div_fmas_f64 v[21:22], v[21:22], v[85:86], v[237:238]
	v_div_fixup_f64 v[21:22], v[21:22], v[1:2], v[3:4]
	v_fma_f64 v[1:2], v[3:4], v[21:22], v[1:2]
	v_div_scale_f64 v[3:4], null, v[1:2], v[1:2], 1.0
	v_rcp_f64_e32 v[85:86], v[3:4]
	v_fma_f64 v[237:238], -v[3:4], v[85:86], 1.0
	v_fma_f64 v[85:86], v[85:86], v[237:238], v[85:86]
	v_fma_f64 v[237:238], -v[3:4], v[85:86], 1.0
	v_fma_f64 v[85:86], v[85:86], v[237:238], v[85:86]
	v_div_scale_f64 v[237:238], vcc_lo, 1.0, v[1:2], 1.0
	v_mul_f64 v[239:240], v[237:238], v[85:86]
	v_fma_f64 v[3:4], -v[3:4], v[239:240], v[237:238]
	v_div_fmas_f64 v[3:4], v[3:4], v[85:86], v[239:240]
	v_div_fixup_f64 v[85:86], v[3:4], v[1:2], 1.0
	v_mul_f64 v[21:22], v[21:22], -v[85:86]
.LBB127_674:
	s_or_b32 exec_lo, exec_lo, s5
	ds_write2_b64 v23, v[85:86], v[21:22] offset1:1
.LBB127_675:
	s_or_b32 exec_lo, exec_lo, s6
	s_waitcnt lgkmcnt(0)
	s_barrier
	buffer_gl0_inv
	ds_read2_b64 v[237:240], v23 offset1:1
	s_mov_b32 s5, exec_lo
	v_cmpx_lt_u32_e32 59, v0
	s_cbranch_execz .LBB127_677
; %bb.676:
	s_clause 0xf
	buffer_load_dword v1, off, s[0:3], 0 offset:944
	buffer_load_dword v2, off, s[0:3], 0 offset:948
	;; [unrolled: 1-line block ×16, first 2 shown]
	s_waitcnt vmcnt(12) lgkmcnt(0)
	v_mul_f64 v[249:250], v[239:240], v[3:4]
	v_mul_f64 v[3:4], v[237:238], v[3:4]
	v_fma_f64 v[249:250], v[237:238], v[1:2], -v[249:250]
	v_fma_f64 v[251:252], v[239:240], v[1:2], v[3:4]
	buffer_store_dword v249, off, s[0:3], 0 offset:944
	buffer_store_dword v250, off, s[0:3], 0 offset:948
	buffer_store_dword v251, off, s[0:3], 0 offset:952
	buffer_store_dword v252, off, s[0:3], 0 offset:956
	ds_read2_b64 v[1:4], v24 offset0:120 offset1:121
	s_waitcnt lgkmcnt(0)
	v_mul_f64 v[25:26], v[3:4], v[251:252]
	v_fma_f64 v[25:26], v[1:2], v[249:250], -v[25:26]
	v_mul_f64 v[1:2], v[1:2], v[251:252]
	v_fma_f64 v[1:2], v[3:4], v[249:250], v[1:2]
	s_waitcnt vmcnt(10)
	v_add_f64 v[3:4], v[21:22], -v[25:26]
	s_waitcnt vmcnt(8)
	v_add_f64 v[1:2], v[85:86], -v[1:2]
	buffer_store_dword v3, off, s[0:3], 0 offset:960
	buffer_store_dword v4, off, s[0:3], 0 offset:964
	buffer_store_dword v1, off, s[0:3], 0 offset:968
	buffer_store_dword v2, off, s[0:3], 0 offset:972
	ds_read2_b64 v[1:4], v24 offset0:122 offset1:123
	s_waitcnt lgkmcnt(0)
	v_mul_f64 v[21:22], v[3:4], v[251:252]
	v_fma_f64 v[21:22], v[1:2], v[249:250], -v[21:22]
	v_mul_f64 v[1:2], v[1:2], v[251:252]
	v_fma_f64 v[1:2], v[3:4], v[249:250], v[1:2]
	s_waitcnt vmcnt(6)
	v_add_f64 v[3:4], v[241:242], -v[21:22]
	s_waitcnt vmcnt(4)
	v_add_f64 v[1:2], v[243:244], -v[1:2]
	buffer_store_dword v3, off, s[0:3], 0 offset:976
	buffer_store_dword v4, off, s[0:3], 0 offset:980
	buffer_store_dword v1, off, s[0:3], 0 offset:984
	buffer_store_dword v2, off, s[0:3], 0 offset:988
	ds_read2_b64 v[1:4], v24 offset0:124 offset1:125
	s_waitcnt lgkmcnt(0)
	v_mul_f64 v[21:22], v[3:4], v[251:252]
	v_fma_f64 v[21:22], v[1:2], v[249:250], -v[21:22]
	v_mul_f64 v[1:2], v[1:2], v[251:252]
	v_fma_f64 v[1:2], v[3:4], v[249:250], v[1:2]
	s_waitcnt vmcnt(2)
	v_add_f64 v[3:4], v[245:246], -v[21:22]
	s_waitcnt vmcnt(0)
	v_add_f64 v[1:2], v[247:248], -v[1:2]
	buffer_store_dword v4, off, s[0:3], 0 offset:996
	buffer_store_dword v3, off, s[0:3], 0 offset:992
	;; [unrolled: 1-line block ×4, first 2 shown]
	ds_read2_b64 v[1:4], v24 offset0:126 offset1:127
	s_waitcnt lgkmcnt(0)
	v_mul_f64 v[21:22], v[3:4], v[251:252]
	v_fma_f64 v[21:22], v[1:2], v[249:250], -v[21:22]
	v_mul_f64 v[1:2], v[1:2], v[251:252]
	v_fma_f64 v[1:2], v[3:4], v[249:250], v[1:2]
	s_clause 0x3
	buffer_load_dword v3, off, s[0:3], 0 offset:1008
	buffer_load_dword v4, off, s[0:3], 0 offset:1012
	;; [unrolled: 1-line block ×4, first 2 shown]
	s_waitcnt vmcnt(2)
	v_add_f64 v[3:4], v[3:4], -v[21:22]
	s_waitcnt vmcnt(0)
	v_add_f64 v[1:2], v[25:26], -v[1:2]
	buffer_store_dword v4, off, s[0:3], 0 offset:1012
	buffer_store_dword v3, off, s[0:3], 0 offset:1008
	;; [unrolled: 1-line block ×4, first 2 shown]
.LBB127_677:
	s_or_b32 exec_lo, exec_lo, s5
	s_mov_b32 s6, exec_lo
	s_waitcnt lgkmcnt(0)
	s_waitcnt_vscnt null, 0x0
	s_barrier
	buffer_gl0_inv
	v_cmpx_eq_u32_e32 60, v0
	s_cbranch_execz .LBB127_684
; %bb.678:
	v_mov_b32_e32 v4, s18
	s_clause 0x3
	buffer_load_dword v1, v4, s[0:3], 0 offen
	buffer_load_dword v2, v4, s[0:3], 0 offen offset:4
	buffer_load_dword v3, v4, s[0:3], 0 offen offset:8
	;; [unrolled: 1-line block ×3, first 2 shown]
	s_waitcnt vmcnt(0)
	ds_write2_b64 v23, v[1:2], v[3:4] offset1:1
	v_mov_b32_e32 v4, s16
	s_clause 0x3
	buffer_load_dword v1, v4, s[0:3], 0 offen
	buffer_load_dword v2, v4, s[0:3], 0 offen offset:4
	buffer_load_dword v3, v4, s[0:3], 0 offen offset:8
	buffer_load_dword v4, v4, s[0:3], 0 offen offset:12
	s_waitcnt vmcnt(0)
	ds_write2_b64 v24, v[1:2], v[3:4] offset0:122 offset1:123
	v_mov_b32_e32 v4, s13
	s_clause 0x3
	buffer_load_dword v1, v4, s[0:3], 0 offen
	buffer_load_dword v2, v4, s[0:3], 0 offen offset:4
	buffer_load_dword v3, v4, s[0:3], 0 offen offset:8
	buffer_load_dword v4, v4, s[0:3], 0 offen offset:12
	s_waitcnt vmcnt(0)
	ds_write2_b64 v24, v[1:2], v[3:4] offset0:124 offset1:125
	;; [unrolled: 8-line block ×3, first 2 shown]
	ds_read2_b64 v[1:4], v23 offset1:1
	s_waitcnt lgkmcnt(0)
	v_cmp_neq_f64_e32 vcc_lo, 0, v[1:2]
	v_cmp_neq_f64_e64 s5, 0, v[3:4]
	s_or_b32 s5, vcc_lo, s5
	s_and_b32 exec_lo, exec_lo, s5
	s_cbranch_execz .LBB127_684
; %bb.679:
	v_cmp_ngt_f64_e64 s5, |v[1:2]|, |v[3:4]|
                                        ; implicit-def: $vgpr85_vgpr86
	s_and_saveexec_b32 s7, s5
	s_xor_b32 s5, exec_lo, s7
                                        ; implicit-def: $vgpr21_vgpr22
	s_cbranch_execz .LBB127_681
; %bb.680:
	v_div_scale_f64 v[21:22], null, v[3:4], v[3:4], v[1:2]
	v_div_scale_f64 v[85:86], vcc_lo, v[1:2], v[3:4], v[1:2]
	v_rcp_f64_e32 v[25:26], v[21:22]
	v_fma_f64 v[27:28], -v[21:22], v[25:26], 1.0
	v_fma_f64 v[25:26], v[25:26], v[27:28], v[25:26]
	v_fma_f64 v[27:28], -v[21:22], v[25:26], 1.0
	v_fma_f64 v[25:26], v[25:26], v[27:28], v[25:26]
	v_mul_f64 v[27:28], v[85:86], v[25:26]
	v_fma_f64 v[21:22], -v[21:22], v[27:28], v[85:86]
	v_div_fmas_f64 v[21:22], v[21:22], v[25:26], v[27:28]
	v_div_fixup_f64 v[25:26], v[21:22], v[3:4], v[1:2]
	v_fma_f64 v[1:2], v[1:2], v[25:26], v[3:4]
	v_div_scale_f64 v[3:4], null, v[1:2], v[1:2], 1.0
	v_rcp_f64_e32 v[21:22], v[3:4]
	v_fma_f64 v[27:28], -v[3:4], v[21:22], 1.0
	v_fma_f64 v[21:22], v[21:22], v[27:28], v[21:22]
	v_fma_f64 v[27:28], -v[3:4], v[21:22], 1.0
	v_fma_f64 v[21:22], v[21:22], v[27:28], v[21:22]
	v_div_scale_f64 v[27:28], vcc_lo, 1.0, v[1:2], 1.0
	v_mul_f64 v[85:86], v[27:28], v[21:22]
	v_fma_f64 v[3:4], -v[3:4], v[85:86], v[27:28]
	v_div_fmas_f64 v[3:4], v[3:4], v[21:22], v[85:86]
	v_div_fixup_f64 v[21:22], v[3:4], v[1:2], 1.0
                                        ; implicit-def: $vgpr1_vgpr2
	v_mul_f64 v[85:86], v[25:26], v[21:22]
	v_xor_b32_e32 v22, 0x80000000, v22
.LBB127_681:
	s_andn2_saveexec_b32 s5, s5
	s_cbranch_execz .LBB127_683
; %bb.682:
	v_div_scale_f64 v[21:22], null, v[1:2], v[1:2], v[3:4]
	v_div_scale_f64 v[85:86], vcc_lo, v[3:4], v[1:2], v[3:4]
	v_rcp_f64_e32 v[25:26], v[21:22]
	v_fma_f64 v[27:28], -v[21:22], v[25:26], 1.0
	v_fma_f64 v[25:26], v[25:26], v[27:28], v[25:26]
	v_fma_f64 v[27:28], -v[21:22], v[25:26], 1.0
	v_fma_f64 v[25:26], v[25:26], v[27:28], v[25:26]
	v_mul_f64 v[27:28], v[85:86], v[25:26]
	v_fma_f64 v[21:22], -v[21:22], v[27:28], v[85:86]
	v_div_fmas_f64 v[21:22], v[21:22], v[25:26], v[27:28]
	v_div_fixup_f64 v[21:22], v[21:22], v[1:2], v[3:4]
	v_fma_f64 v[1:2], v[3:4], v[21:22], v[1:2]
	v_div_scale_f64 v[3:4], null, v[1:2], v[1:2], 1.0
	v_rcp_f64_e32 v[25:26], v[3:4]
	v_fma_f64 v[27:28], -v[3:4], v[25:26], 1.0
	v_fma_f64 v[25:26], v[25:26], v[27:28], v[25:26]
	v_fma_f64 v[27:28], -v[3:4], v[25:26], 1.0
	v_fma_f64 v[25:26], v[25:26], v[27:28], v[25:26]
	v_div_scale_f64 v[27:28], vcc_lo, 1.0, v[1:2], 1.0
	v_mul_f64 v[85:86], v[27:28], v[25:26]
	v_fma_f64 v[3:4], -v[3:4], v[85:86], v[27:28]
	v_div_fmas_f64 v[3:4], v[3:4], v[25:26], v[85:86]
	v_div_fixup_f64 v[85:86], v[3:4], v[1:2], 1.0
	v_mul_f64 v[21:22], v[21:22], -v[85:86]
.LBB127_683:
	s_or_b32 exec_lo, exec_lo, s5
	ds_write2_b64 v23, v[85:86], v[21:22] offset1:1
.LBB127_684:
	s_or_b32 exec_lo, exec_lo, s6
	s_waitcnt lgkmcnt(0)
	s_barrier
	buffer_gl0_inv
	ds_read2_b64 v[241:244], v23 offset1:1
	s_mov_b32 s5, exec_lo
	v_cmpx_lt_u32_e32 60, v0
	s_cbranch_execz .LBB127_686
; %bb.685:
	s_clause 0xf
	buffer_load_dword v1, off, s[0:3], 0 offset:960
	buffer_load_dword v2, off, s[0:3], 0 offset:964
	;; [unrolled: 1-line block ×16, first 2 shown]
	s_waitcnt vmcnt(12) lgkmcnt(0)
	v_mul_f64 v[249:250], v[243:244], v[3:4]
	v_mul_f64 v[3:4], v[241:242], v[3:4]
	v_fma_f64 v[249:250], v[241:242], v[1:2], -v[249:250]
	v_fma_f64 v[251:252], v[243:244], v[1:2], v[3:4]
	buffer_store_dword v249, off, s[0:3], 0 offset:960
	buffer_store_dword v250, off, s[0:3], 0 offset:964
	buffer_store_dword v251, off, s[0:3], 0 offset:968
	buffer_store_dword v252, off, s[0:3], 0 offset:972
	ds_read2_b64 v[1:4], v24 offset0:122 offset1:123
	s_waitcnt lgkmcnt(0)
	v_mul_f64 v[29:30], v[3:4], v[251:252]
	v_fma_f64 v[29:30], v[1:2], v[249:250], -v[29:30]
	v_mul_f64 v[1:2], v[1:2], v[251:252]
	v_fma_f64 v[1:2], v[3:4], v[249:250], v[1:2]
	s_waitcnt vmcnt(10)
	v_add_f64 v[3:4], v[21:22], -v[29:30]
	s_waitcnt vmcnt(8)
	v_add_f64 v[1:2], v[25:26], -v[1:2]
	buffer_store_dword v3, off, s[0:3], 0 offset:976
	buffer_store_dword v4, off, s[0:3], 0 offset:980
	buffer_store_dword v1, off, s[0:3], 0 offset:984
	buffer_store_dword v2, off, s[0:3], 0 offset:988
	ds_read2_b64 v[1:4], v24 offset0:124 offset1:125
	s_waitcnt lgkmcnt(0)
	v_mul_f64 v[21:22], v[3:4], v[251:252]
	v_fma_f64 v[21:22], v[1:2], v[249:250], -v[21:22]
	v_mul_f64 v[1:2], v[1:2], v[251:252]
	v_fma_f64 v[1:2], v[3:4], v[249:250], v[1:2]
	s_waitcnt vmcnt(6)
	v_add_f64 v[3:4], v[27:28], -v[21:22]
	s_waitcnt vmcnt(4)
	v_add_f64 v[1:2], v[85:86], -v[1:2]
	;; [unrolled: 14-line block ×3, first 2 shown]
	buffer_store_dword v4, off, s[0:3], 0 offset:1012
	buffer_store_dword v3, off, s[0:3], 0 offset:1008
	;; [unrolled: 1-line block ×4, first 2 shown]
.LBB127_686:
	s_or_b32 exec_lo, exec_lo, s5
	s_mov_b32 s6, exec_lo
	s_waitcnt lgkmcnt(0)
	s_waitcnt_vscnt null, 0x0
	s_barrier
	buffer_gl0_inv
	v_cmpx_eq_u32_e32 61, v0
	s_cbranch_execz .LBB127_693
; %bb.687:
	v_mov_b32_e32 v4, s16
	s_clause 0x3
	buffer_load_dword v1, v4, s[0:3], 0 offen
	buffer_load_dword v2, v4, s[0:3], 0 offen offset:4
	buffer_load_dword v3, v4, s[0:3], 0 offen offset:8
	;; [unrolled: 1-line block ×3, first 2 shown]
	s_waitcnt vmcnt(0)
	ds_write2_b64 v23, v[1:2], v[3:4] offset1:1
	v_mov_b32_e32 v4, s13
	s_clause 0x3
	buffer_load_dword v1, v4, s[0:3], 0 offen
	buffer_load_dword v2, v4, s[0:3], 0 offen offset:4
	buffer_load_dword v3, v4, s[0:3], 0 offen offset:8
	;; [unrolled: 1-line block ×3, first 2 shown]
	s_waitcnt vmcnt(0)
	ds_write2_b64 v24, v[1:2], v[3:4] offset0:124 offset1:125
	v_mov_b32_e32 v4, s12
	s_clause 0x3
	buffer_load_dword v1, v4, s[0:3], 0 offen
	buffer_load_dword v2, v4, s[0:3], 0 offen offset:4
	buffer_load_dword v3, v4, s[0:3], 0 offen offset:8
	buffer_load_dword v4, v4, s[0:3], 0 offen offset:12
	s_waitcnt vmcnt(0)
	ds_write2_b64 v24, v[1:2], v[3:4] offset0:126 offset1:127
	ds_read2_b64 v[1:4], v23 offset1:1
	s_waitcnt lgkmcnt(0)
	v_cmp_neq_f64_e32 vcc_lo, 0, v[1:2]
	v_cmp_neq_f64_e64 s5, 0, v[3:4]
	s_or_b32 s5, vcc_lo, s5
	s_and_b32 exec_lo, exec_lo, s5
	s_cbranch_execz .LBB127_693
; %bb.688:
	v_cmp_ngt_f64_e64 s5, |v[1:2]|, |v[3:4]|
                                        ; implicit-def: $vgpr85_vgpr86
	s_and_saveexec_b32 s7, s5
	s_xor_b32 s5, exec_lo, s7
                                        ; implicit-def: $vgpr21_vgpr22
	s_cbranch_execz .LBB127_690
; %bb.689:
	v_div_scale_f64 v[21:22], null, v[3:4], v[3:4], v[1:2]
	v_div_scale_f64 v[29:30], vcc_lo, v[1:2], v[3:4], v[1:2]
	v_rcp_f64_e32 v[25:26], v[21:22]
	v_fma_f64 v[27:28], -v[21:22], v[25:26], 1.0
	v_fma_f64 v[25:26], v[25:26], v[27:28], v[25:26]
	v_fma_f64 v[27:28], -v[21:22], v[25:26], 1.0
	v_fma_f64 v[25:26], v[25:26], v[27:28], v[25:26]
	v_mul_f64 v[27:28], v[29:30], v[25:26]
	v_fma_f64 v[21:22], -v[21:22], v[27:28], v[29:30]
	v_div_fmas_f64 v[21:22], v[21:22], v[25:26], v[27:28]
	v_div_fixup_f64 v[25:26], v[21:22], v[3:4], v[1:2]
	v_fma_f64 v[1:2], v[1:2], v[25:26], v[3:4]
	v_div_scale_f64 v[3:4], null, v[1:2], v[1:2], 1.0
	v_rcp_f64_e32 v[21:22], v[3:4]
	v_fma_f64 v[27:28], -v[3:4], v[21:22], 1.0
	v_fma_f64 v[21:22], v[21:22], v[27:28], v[21:22]
	v_fma_f64 v[27:28], -v[3:4], v[21:22], 1.0
	v_fma_f64 v[21:22], v[21:22], v[27:28], v[21:22]
	v_div_scale_f64 v[27:28], vcc_lo, 1.0, v[1:2], 1.0
	v_mul_f64 v[29:30], v[27:28], v[21:22]
	v_fma_f64 v[3:4], -v[3:4], v[29:30], v[27:28]
	v_div_fmas_f64 v[3:4], v[3:4], v[21:22], v[29:30]
	v_div_fixup_f64 v[21:22], v[3:4], v[1:2], 1.0
                                        ; implicit-def: $vgpr1_vgpr2
	v_mul_f64 v[85:86], v[25:26], v[21:22]
	v_xor_b32_e32 v22, 0x80000000, v22
.LBB127_690:
	s_andn2_saveexec_b32 s5, s5
	s_cbranch_execz .LBB127_692
; %bb.691:
	v_div_scale_f64 v[21:22], null, v[1:2], v[1:2], v[3:4]
	v_div_scale_f64 v[29:30], vcc_lo, v[3:4], v[1:2], v[3:4]
	v_rcp_f64_e32 v[25:26], v[21:22]
	v_fma_f64 v[27:28], -v[21:22], v[25:26], 1.0
	v_fma_f64 v[25:26], v[25:26], v[27:28], v[25:26]
	v_fma_f64 v[27:28], -v[21:22], v[25:26], 1.0
	v_fma_f64 v[25:26], v[25:26], v[27:28], v[25:26]
	v_mul_f64 v[27:28], v[29:30], v[25:26]
	v_fma_f64 v[21:22], -v[21:22], v[27:28], v[29:30]
	v_div_fmas_f64 v[21:22], v[21:22], v[25:26], v[27:28]
	v_div_fixup_f64 v[21:22], v[21:22], v[1:2], v[3:4]
	v_fma_f64 v[1:2], v[3:4], v[21:22], v[1:2]
	v_div_scale_f64 v[3:4], null, v[1:2], v[1:2], 1.0
	v_rcp_f64_e32 v[25:26], v[3:4]
	v_fma_f64 v[27:28], -v[3:4], v[25:26], 1.0
	v_fma_f64 v[25:26], v[25:26], v[27:28], v[25:26]
	v_fma_f64 v[27:28], -v[3:4], v[25:26], 1.0
	v_fma_f64 v[25:26], v[25:26], v[27:28], v[25:26]
	v_div_scale_f64 v[27:28], vcc_lo, 1.0, v[1:2], 1.0
	v_mul_f64 v[29:30], v[27:28], v[25:26]
	v_fma_f64 v[3:4], -v[3:4], v[29:30], v[27:28]
	v_div_fmas_f64 v[3:4], v[3:4], v[25:26], v[29:30]
	v_div_fixup_f64 v[85:86], v[3:4], v[1:2], 1.0
	v_mul_f64 v[21:22], v[21:22], -v[85:86]
.LBB127_692:
	s_or_b32 exec_lo, exec_lo, s5
	ds_write2_b64 v23, v[85:86], v[21:22] offset1:1
.LBB127_693:
	s_or_b32 exec_lo, exec_lo, s6
	s_waitcnt lgkmcnt(0)
	s_barrier
	buffer_gl0_inv
	ds_read2_b64 v[245:248], v23 offset1:1
	s_mov_b32 s5, exec_lo
	v_cmpx_lt_u32_e32 61, v0
	s_cbranch_execz .LBB127_695
; %bb.694:
	s_clause 0xb
	buffer_load_dword v1, off, s[0:3], 0 offset:976
	buffer_load_dword v2, off, s[0:3], 0 offset:980
	;; [unrolled: 1-line block ×12, first 2 shown]
	s_waitcnt vmcnt(8) lgkmcnt(0)
	v_mul_f64 v[31:32], v[247:248], v[3:4]
	v_mul_f64 v[3:4], v[245:246], v[3:4]
	v_fma_f64 v[31:32], v[245:246], v[1:2], -v[31:32]
	v_fma_f64 v[85:86], v[247:248], v[1:2], v[3:4]
	buffer_store_dword v31, off, s[0:3], 0 offset:976
	buffer_store_dword v32, off, s[0:3], 0 offset:980
	;; [unrolled: 1-line block ×4, first 2 shown]
	ds_read2_b64 v[1:4], v24 offset0:124 offset1:125
	s_waitcnt lgkmcnt(0)
	v_mul_f64 v[249:250], v[3:4], v[85:86]
	v_fma_f64 v[249:250], v[1:2], v[31:32], -v[249:250]
	v_mul_f64 v[1:2], v[1:2], v[85:86]
	v_fma_f64 v[1:2], v[3:4], v[31:32], v[1:2]
	s_waitcnt vmcnt(6)
	v_add_f64 v[3:4], v[21:22], -v[249:250]
	s_waitcnt vmcnt(4)
	v_add_f64 v[1:2], v[25:26], -v[1:2]
	buffer_store_dword v3, off, s[0:3], 0 offset:992
	buffer_store_dword v4, off, s[0:3], 0 offset:996
	;; [unrolled: 1-line block ×4, first 2 shown]
	ds_read2_b64 v[1:4], v24 offset0:126 offset1:127
	s_waitcnt lgkmcnt(0)
	v_mul_f64 v[21:22], v[3:4], v[85:86]
	v_fma_f64 v[21:22], v[1:2], v[31:32], -v[21:22]
	v_mul_f64 v[1:2], v[1:2], v[85:86]
	v_fma_f64 v[1:2], v[3:4], v[31:32], v[1:2]
	s_waitcnt vmcnt(2)
	v_add_f64 v[3:4], v[27:28], -v[21:22]
	s_waitcnt vmcnt(0)
	v_add_f64 v[1:2], v[29:30], -v[1:2]
	buffer_store_dword v3, off, s[0:3], 0 offset:1008
	buffer_store_dword v4, off, s[0:3], 0 offset:1012
	;; [unrolled: 1-line block ×4, first 2 shown]
.LBB127_695:
	s_or_b32 exec_lo, exec_lo, s5
	s_mov_b32 s6, exec_lo
	s_waitcnt lgkmcnt(0)
	s_waitcnt_vscnt null, 0x0
	s_barrier
	buffer_gl0_inv
	v_cmpx_eq_u32_e32 62, v0
	s_cbranch_execz .LBB127_702
; %bb.696:
	v_mov_b32_e32 v4, s13
	s_clause 0x3
	buffer_load_dword v1, v4, s[0:3], 0 offen
	buffer_load_dword v2, v4, s[0:3], 0 offen offset:4
	buffer_load_dword v3, v4, s[0:3], 0 offen offset:8
	;; [unrolled: 1-line block ×3, first 2 shown]
	s_waitcnt vmcnt(0)
	ds_write2_b64 v23, v[1:2], v[3:4] offset1:1
	v_mov_b32_e32 v4, s12
	s_clause 0x3
	buffer_load_dword v1, v4, s[0:3], 0 offen
	buffer_load_dword v2, v4, s[0:3], 0 offen offset:4
	buffer_load_dword v3, v4, s[0:3], 0 offen offset:8
	;; [unrolled: 1-line block ×3, first 2 shown]
	s_waitcnt vmcnt(0)
	ds_write2_b64 v24, v[1:2], v[3:4] offset0:126 offset1:127
	ds_read2_b64 v[1:4], v23 offset1:1
	s_waitcnt lgkmcnt(0)
	v_cmp_neq_f64_e32 vcc_lo, 0, v[1:2]
	v_cmp_neq_f64_e64 s5, 0, v[3:4]
	s_or_b32 s5, vcc_lo, s5
	s_and_b32 exec_lo, exec_lo, s5
	s_cbranch_execz .LBB127_702
; %bb.697:
	v_cmp_ngt_f64_e64 s5, |v[1:2]|, |v[3:4]|
                                        ; implicit-def: $vgpr85_vgpr86
	s_and_saveexec_b32 s7, s5
	s_xor_b32 s5, exec_lo, s7
                                        ; implicit-def: $vgpr21_vgpr22
	s_cbranch_execz .LBB127_699
; %bb.698:
	v_div_scale_f64 v[21:22], null, v[3:4], v[3:4], v[1:2]
	v_div_scale_f64 v[29:30], vcc_lo, v[1:2], v[3:4], v[1:2]
	v_rcp_f64_e32 v[25:26], v[21:22]
	v_fma_f64 v[27:28], -v[21:22], v[25:26], 1.0
	v_fma_f64 v[25:26], v[25:26], v[27:28], v[25:26]
	v_fma_f64 v[27:28], -v[21:22], v[25:26], 1.0
	v_fma_f64 v[25:26], v[25:26], v[27:28], v[25:26]
	v_mul_f64 v[27:28], v[29:30], v[25:26]
	v_fma_f64 v[21:22], -v[21:22], v[27:28], v[29:30]
	v_div_fmas_f64 v[21:22], v[21:22], v[25:26], v[27:28]
	v_div_fixup_f64 v[25:26], v[21:22], v[3:4], v[1:2]
	v_fma_f64 v[1:2], v[1:2], v[25:26], v[3:4]
	v_div_scale_f64 v[3:4], null, v[1:2], v[1:2], 1.0
	v_rcp_f64_e32 v[21:22], v[3:4]
	v_fma_f64 v[27:28], -v[3:4], v[21:22], 1.0
	v_fma_f64 v[21:22], v[21:22], v[27:28], v[21:22]
	v_fma_f64 v[27:28], -v[3:4], v[21:22], 1.0
	v_fma_f64 v[21:22], v[21:22], v[27:28], v[21:22]
	v_div_scale_f64 v[27:28], vcc_lo, 1.0, v[1:2], 1.0
	v_mul_f64 v[29:30], v[27:28], v[21:22]
	v_fma_f64 v[3:4], -v[3:4], v[29:30], v[27:28]
	v_div_fmas_f64 v[3:4], v[3:4], v[21:22], v[29:30]
	v_div_fixup_f64 v[21:22], v[3:4], v[1:2], 1.0
                                        ; implicit-def: $vgpr1_vgpr2
	v_mul_f64 v[85:86], v[25:26], v[21:22]
	v_xor_b32_e32 v22, 0x80000000, v22
.LBB127_699:
	s_andn2_saveexec_b32 s5, s5
	s_cbranch_execz .LBB127_701
; %bb.700:
	v_div_scale_f64 v[21:22], null, v[1:2], v[1:2], v[3:4]
	v_div_scale_f64 v[29:30], vcc_lo, v[3:4], v[1:2], v[3:4]
	v_rcp_f64_e32 v[25:26], v[21:22]
	v_fma_f64 v[27:28], -v[21:22], v[25:26], 1.0
	v_fma_f64 v[25:26], v[25:26], v[27:28], v[25:26]
	v_fma_f64 v[27:28], -v[21:22], v[25:26], 1.0
	v_fma_f64 v[25:26], v[25:26], v[27:28], v[25:26]
	v_mul_f64 v[27:28], v[29:30], v[25:26]
	v_fma_f64 v[21:22], -v[21:22], v[27:28], v[29:30]
	v_div_fmas_f64 v[21:22], v[21:22], v[25:26], v[27:28]
	v_div_fixup_f64 v[21:22], v[21:22], v[1:2], v[3:4]
	v_fma_f64 v[1:2], v[3:4], v[21:22], v[1:2]
	v_div_scale_f64 v[3:4], null, v[1:2], v[1:2], 1.0
	v_rcp_f64_e32 v[25:26], v[3:4]
	v_fma_f64 v[27:28], -v[3:4], v[25:26], 1.0
	v_fma_f64 v[25:26], v[25:26], v[27:28], v[25:26]
	v_fma_f64 v[27:28], -v[3:4], v[25:26], 1.0
	v_fma_f64 v[25:26], v[25:26], v[27:28], v[25:26]
	v_div_scale_f64 v[27:28], vcc_lo, 1.0, v[1:2], 1.0
	v_mul_f64 v[29:30], v[27:28], v[25:26]
	v_fma_f64 v[3:4], -v[3:4], v[29:30], v[27:28]
	v_div_fmas_f64 v[3:4], v[3:4], v[25:26], v[29:30]
	v_div_fixup_f64 v[85:86], v[3:4], v[1:2], 1.0
	v_mul_f64 v[21:22], v[21:22], -v[85:86]
.LBB127_701:
	s_or_b32 exec_lo, exec_lo, s5
	ds_write2_b64 v23, v[85:86], v[21:22] offset1:1
.LBB127_702:
	s_or_b32 exec_lo, exec_lo, s6
	s_waitcnt lgkmcnt(0)
	s_barrier
	buffer_gl0_inv
	ds_read2_b64 v[249:252], v23 offset1:1
	s_mov_b32 s5, exec_lo
	v_cmpx_lt_u32_e32 62, v0
	s_cbranch_execz .LBB127_704
; %bb.703:
	s_clause 0x7
	buffer_load_dword v1, off, s[0:3], 0 offset:992
	buffer_load_dword v2, off, s[0:3], 0 offset:996
	;; [unrolled: 1-line block ×8, first 2 shown]
	s_waitcnt vmcnt(4) lgkmcnt(0)
	v_mul_f64 v[27:28], v[251:252], v[3:4]
	v_mul_f64 v[3:4], v[249:250], v[3:4]
	v_fma_f64 v[27:28], v[249:250], v[1:2], -v[27:28]
	v_fma_f64 v[29:30], v[251:252], v[1:2], v[3:4]
	buffer_store_dword v27, off, s[0:3], 0 offset:992
	buffer_store_dword v28, off, s[0:3], 0 offset:996
	;; [unrolled: 1-line block ×4, first 2 shown]
	ds_read2_b64 v[1:4], v24 offset0:126 offset1:127
	s_waitcnt lgkmcnt(0)
	v_mul_f64 v[31:32], v[3:4], v[29:30]
	v_fma_f64 v[31:32], v[1:2], v[27:28], -v[31:32]
	v_mul_f64 v[1:2], v[1:2], v[29:30]
	v_fma_f64 v[1:2], v[3:4], v[27:28], v[1:2]
	s_waitcnt vmcnt(2)
	v_add_f64 v[3:4], v[21:22], -v[31:32]
	s_waitcnt vmcnt(0)
	v_add_f64 v[1:2], v[25:26], -v[1:2]
	buffer_store_dword v3, off, s[0:3], 0 offset:1008
	buffer_store_dword v4, off, s[0:3], 0 offset:1012
	;; [unrolled: 1-line block ×4, first 2 shown]
.LBB127_704:
	s_or_b32 exec_lo, exec_lo, s5
	s_mov_b32 s6, exec_lo
	s_waitcnt lgkmcnt(0)
	s_waitcnt_vscnt null, 0x0
	s_barrier
	buffer_gl0_inv
	v_cmpx_eq_u32_e32 63, v0
	s_cbranch_execz .LBB127_711
; %bb.705:
	v_mov_b32_e32 v4, s12
	s_clause 0x3
	buffer_load_dword v1, v4, s[0:3], 0 offen
	buffer_load_dword v2, v4, s[0:3], 0 offen offset:4
	buffer_load_dword v3, v4, s[0:3], 0 offen offset:8
	buffer_load_dword v4, v4, s[0:3], 0 offen offset:12
	s_waitcnt vmcnt(2)
	v_cmp_neq_f64_e32 vcc_lo, 0, v[1:2]
	s_waitcnt vmcnt(0)
	v_cmp_neq_f64_e64 s5, 0, v[3:4]
	ds_write2_b64 v23, v[1:2], v[3:4] offset1:1
	s_or_b32 s5, vcc_lo, s5
	s_and_b32 exec_lo, exec_lo, s5
	s_cbranch_execz .LBB127_711
; %bb.706:
	v_cmp_ngt_f64_e64 s5, |v[1:2]|, |v[3:4]|
                                        ; implicit-def: $vgpr85_vgpr86
	s_and_saveexec_b32 s7, s5
	s_xor_b32 s5, exec_lo, s7
                                        ; implicit-def: $vgpr21_vgpr22
	s_cbranch_execz .LBB127_708
; %bb.707:
	v_div_scale_f64 v[21:22], null, v[3:4], v[3:4], v[1:2]
	v_div_scale_f64 v[28:29], vcc_lo, v[1:2], v[3:4], v[1:2]
	v_rcp_f64_e32 v[24:25], v[21:22]
	v_fma_f64 v[26:27], -v[21:22], v[24:25], 1.0
	v_fma_f64 v[24:25], v[24:25], v[26:27], v[24:25]
	v_fma_f64 v[26:27], -v[21:22], v[24:25], 1.0
	v_fma_f64 v[24:25], v[24:25], v[26:27], v[24:25]
	v_mul_f64 v[26:27], v[28:29], v[24:25]
	v_fma_f64 v[21:22], -v[21:22], v[26:27], v[28:29]
	v_div_fmas_f64 v[21:22], v[21:22], v[24:25], v[26:27]
	v_div_fixup_f64 v[24:25], v[21:22], v[3:4], v[1:2]
	v_fma_f64 v[1:2], v[1:2], v[24:25], v[3:4]
	v_div_scale_f64 v[3:4], null, v[1:2], v[1:2], 1.0
	v_rcp_f64_e32 v[21:22], v[3:4]
	v_fma_f64 v[26:27], -v[3:4], v[21:22], 1.0
	v_fma_f64 v[21:22], v[21:22], v[26:27], v[21:22]
	v_fma_f64 v[26:27], -v[3:4], v[21:22], 1.0
	v_fma_f64 v[21:22], v[21:22], v[26:27], v[21:22]
	v_div_scale_f64 v[26:27], vcc_lo, 1.0, v[1:2], 1.0
	v_mul_f64 v[28:29], v[26:27], v[21:22]
	v_fma_f64 v[3:4], -v[3:4], v[28:29], v[26:27]
	v_div_fmas_f64 v[3:4], v[3:4], v[21:22], v[28:29]
	v_div_fixup_f64 v[21:22], v[3:4], v[1:2], 1.0
                                        ; implicit-def: $vgpr1_vgpr2
                                        ; implicit-def: $vgpr3_vgpr4
	v_mul_f64 v[85:86], v[24:25], v[21:22]
	v_xor_b32_e32 v22, 0x80000000, v22
.LBB127_708:
	s_andn2_saveexec_b32 s5, s5
	s_cbranch_execz .LBB127_710
; %bb.709:
	v_div_scale_f64 v[21:22], null, v[1:2], v[1:2], v[3:4]
	v_div_scale_f64 v[28:29], vcc_lo, v[3:4], v[1:2], v[3:4]
	v_rcp_f64_e32 v[24:25], v[21:22]
	v_fma_f64 v[26:27], -v[21:22], v[24:25], 1.0
	v_fma_f64 v[24:25], v[24:25], v[26:27], v[24:25]
	v_fma_f64 v[26:27], -v[21:22], v[24:25], 1.0
	v_fma_f64 v[24:25], v[24:25], v[26:27], v[24:25]
	v_mul_f64 v[26:27], v[28:29], v[24:25]
	v_fma_f64 v[21:22], -v[21:22], v[26:27], v[28:29]
	v_div_fmas_f64 v[21:22], v[21:22], v[24:25], v[26:27]
	v_div_fixup_f64 v[21:22], v[21:22], v[1:2], v[3:4]
	v_fma_f64 v[1:2], v[3:4], v[21:22], v[1:2]
	v_div_scale_f64 v[3:4], null, v[1:2], v[1:2], 1.0
	v_rcp_f64_e32 v[24:25], v[3:4]
	v_fma_f64 v[26:27], -v[3:4], v[24:25], 1.0
	v_fma_f64 v[24:25], v[24:25], v[26:27], v[24:25]
	v_fma_f64 v[26:27], -v[3:4], v[24:25], 1.0
	v_fma_f64 v[24:25], v[24:25], v[26:27], v[24:25]
	v_div_scale_f64 v[26:27], vcc_lo, 1.0, v[1:2], 1.0
	v_mul_f64 v[28:29], v[26:27], v[24:25]
	v_fma_f64 v[3:4], -v[3:4], v[28:29], v[26:27]
	v_div_fmas_f64 v[3:4], v[3:4], v[24:25], v[28:29]
	v_div_fixup_f64 v[85:86], v[3:4], v[1:2], 1.0
	v_mul_f64 v[21:22], v[21:22], -v[85:86]
.LBB127_710:
	s_or_b32 exec_lo, exec_lo, s5
	ds_write2_b64 v23, v[85:86], v[21:22] offset1:1
.LBB127_711:
	s_or_b32 exec_lo, exec_lo, s6
	s_waitcnt lgkmcnt(0)
	s_barrier
	buffer_gl0_inv
	ds_read2_b64 v[1:4], v23 offset1:1
	s_mov_b32 s5, exec_lo
	v_cmpx_lt_u32_e32 63, v0
	s_cbranch_execz .LBB127_713
; %bb.712:
	s_clause 0x3
	buffer_load_dword v21, off, s[0:3], 0 offset:1016
	buffer_load_dword v22, off, s[0:3], 0 offset:1020
	;; [unrolled: 1-line block ×4, first 2 shown]
	s_waitcnt vmcnt(2) lgkmcnt(0)
	v_mul_f64 v[25:26], v[3:4], v[21:22]
	v_mul_f64 v[21:22], v[1:2], v[21:22]
	s_waitcnt vmcnt(0)
	v_fma_f64 v[25:26], v[1:2], v[23:24], -v[25:26]
	v_fma_f64 v[21:22], v[3:4], v[23:24], v[21:22]
	buffer_store_dword v25, off, s[0:3], 0 offset:1008
	buffer_store_dword v26, off, s[0:3], 0 offset:1012
	;; [unrolled: 1-line block ×4, first 2 shown]
.LBB127_713:
	s_or_b32 exec_lo, exec_lo, s5
	s_waitcnt lgkmcnt(0)
	s_waitcnt_vscnt null, 0x0
	s_barrier
	buffer_gl0_inv
	s_and_saveexec_b32 s79, s4
	s_cbranch_execz .LBB127_716
; %bb.714:
	s_clause 0x3
	buffer_load_dword v21, off, s[0:3], 0 offset:1496
	buffer_load_dword v22, off, s[0:3], 0 offset:1500
	;; [unrolled: 1-line block ×4, first 2 shown]
	v_cmp_eq_f64_e64 s10, 0, v[13:14]
	v_cmp_eq_f64_e64 s11, 0, v[15:16]
	s_waitcnt vmcnt(2)
	v_cmp_eq_f64_e32 vcc_lo, 0, v[21:22]
	s_waitcnt vmcnt(0)
	v_cmp_eq_f64_e64 s4, 0, v[23:24]
	s_clause 0x3
	buffer_load_dword v21, off, s[0:3], 0 offset:1512
	buffer_load_dword v22, off, s[0:3], 0 offset:1516
	;; [unrolled: 1-line block ×4, first 2 shown]
	s_and_b32 s4, vcc_lo, s4
	v_cndmask_b32_e64 v0, 0, 1, s4
	s_waitcnt vmcnt(2)
	v_cmp_neq_f64_e64 s5, 0, v[21:22]
	s_waitcnt vmcnt(0)
	v_cmp_neq_f64_e64 s6, 0, v[23:24]
	s_clause 0x3
	buffer_load_dword v21, off, s[0:3], 0 offset:1528
	buffer_load_dword v22, off, s[0:3], 0 offset:1532
	;; [unrolled: 1-line block ×4, first 2 shown]
	s_or_b32 s5, s5, s6
	s_or_b32 s4, s5, s4
	v_cndmask_b32_e64 v0, 2, v0, s4
	v_cmp_eq_u32_e64 s4, 0, v0
	s_waitcnt vmcnt(2)
	v_cmp_eq_f64_e64 s7, 0, v[21:22]
	s_waitcnt vmcnt(0)
	v_cmp_eq_f64_e64 s8, 0, v[23:24]
	s_clause 0x3
	buffer_load_dword v21, off, s[0:3], 0 offset:1544
	buffer_load_dword v22, off, s[0:3], 0 offset:1548
	;; [unrolled: 1-line block ×4, first 2 shown]
	s_and_b32 s7, s7, s8
	s_and_b32 s4, s7, s4
	v_cndmask_b32_e64 v0, v0, 3, s4
	v_cmp_eq_u32_e64 s4, 0, v0
	s_waitcnt vmcnt(2)
	v_cmp_eq_f64_e64 s9, 0, v[21:22]
	s_waitcnt vmcnt(0)
	v_cmp_eq_f64_e32 vcc_lo, 0, v[23:24]
	s_clause 0x3
	buffer_load_dword v21, off, s[0:3], 0 offset:1560
	buffer_load_dword v22, off, s[0:3], 0 offset:1564
	;; [unrolled: 1-line block ×4, first 2 shown]
	s_and_b32 s9, s9, vcc_lo
	s_and_b32 s4, s9, s4
	v_cndmask_b32_e64 v0, v0, 4, s4
	v_cmp_eq_u32_e32 vcc_lo, 0, v0
	s_waitcnt vmcnt(2)
	v_cmp_eq_f64_e64 s5, 0, v[21:22]
	s_waitcnt vmcnt(0)
	v_cmp_eq_f64_e64 s6, 0, v[23:24]
	s_clause 0x3
	buffer_load_dword v21, off, s[0:3], 0 offset:1576
	buffer_load_dword v22, off, s[0:3], 0 offset:1580
	;; [unrolled: 1-line block ×4, first 2 shown]
	s_and_b32 s5, s5, s6
	s_and_b32 s5, s5, vcc_lo
	v_cndmask_b32_e64 v0, v0, 5, s5
	v_cmp_eq_u32_e32 vcc_lo, 0, v0
	s_waitcnt vmcnt(2)
	v_cmp_eq_f64_e64 s7, 0, v[21:22]
	s_waitcnt vmcnt(0)
	v_cmp_eq_f64_e64 s8, 0, v[23:24]
	s_clause 0x3
	buffer_load_dword v21, off, s[0:3], 0 offset:1592
	buffer_load_dword v22, off, s[0:3], 0 offset:1596
	;; [unrolled: 1-line block ×4, first 2 shown]
	s_and_b32 s7, s7, s8
	v_cmp_eq_f64_e64 s8, 0, v[35:36]
	s_and_b32 s7, s7, vcc_lo
	v_cndmask_b32_e64 v0, v0, 6, s7
	v_cmp_eq_f64_e64 s7, 0, v[33:34]
	v_cmp_eq_u32_e32 vcc_lo, 0, v0
	s_and_b32 s7, s7, s8
	v_cmp_eq_f64_e64 s8, 0, v[47:48]
	s_waitcnt vmcnt(2)
	v_cmp_eq_f64_e64 s4, 0, v[21:22]
	s_waitcnt vmcnt(0)
	v_cmp_eq_f64_e64 s9, 0, v[23:24]
	s_clause 0x3
	buffer_load_dword v21, off, s[0:3], 0 offset:1608
	buffer_load_dword v22, off, s[0:3], 0 offset:1612
	;; [unrolled: 1-line block ×4, first 2 shown]
	s_and_b32 s4, s4, s9
	v_cmp_eq_f64_e64 s9, 0, v[39:40]
	s_and_b32 s4, s4, vcc_lo
	v_cndmask_b32_e64 v0, v0, 7, s4
	v_cmp_eq_f64_e64 s4, 0, v[37:38]
	v_cmp_eq_u32_e32 vcc_lo, 0, v0
	s_and_b32 s4, s4, s9
	v_cmp_eq_f64_e64 s9, 0, v[51:52]
	s_waitcnt vmcnt(2)
	v_cmp_eq_f64_e64 s5, 0, v[21:22]
	s_waitcnt vmcnt(0)
	v_cmp_eq_f64_e64 s6, 0, v[23:24]
	s_and_b32 s5, s5, s6
	v_cmp_eq_f64_e64 s6, 0, v[43:44]
	s_and_b32 s5, s5, vcc_lo
	v_cndmask_b32_e64 v0, v0, 8, s5
	v_cmp_eq_f64_e64 s5, 0, v[41:42]
	v_cmp_eq_u32_e32 vcc_lo, 0, v0
	s_and_b32 s7, s7, vcc_lo
	v_cndmask_b32_e64 v0, v0, 9, s7
	v_cmp_eq_f64_e64 s7, 0, v[45:46]
	v_cmp_eq_u32_e32 vcc_lo, 0, v0
	s_and_b32 s4, s4, vcc_lo
	s_and_b32 s5, s5, s6
	v_cndmask_b32_e64 v0, v0, 10, s4
	v_cmp_eq_f64_e64 s4, 0, v[49:50]
	v_cmp_eq_f64_e64 s6, 0, v[55:56]
	v_cmp_eq_u32_e32 vcc_lo, 0, v0
	s_and_b32 s5, s5, vcc_lo
	s_and_b32 s7, s7, s8
	v_cndmask_b32_e64 v0, v0, 11, s5
	v_cmp_eq_f64_e64 s5, 0, v[53:54]
	;; [unrolled: 6-line block ×10, first 2 shown]
	v_cmp_eq_f64_e64 s6, 0, v[11:12]
	v_lshlrev_b64 v[5:6], 2, v[126:127]
	v_cmp_eq_u32_e32 vcc_lo, 0, v0
	s_and_b32 s5, s5, vcc_lo
	s_and_b32 s7, s7, s8
	v_cndmask_b32_e64 v0, v0, 20, s5
	v_cmp_eq_f64_e64 s5, 0, v[9:10]
	v_cmp_eq_f64_e64 s8, 0, v[19:20]
	v_cmp_eq_u32_e32 vcc_lo, 0, v0
	s_and_b32 s7, s7, vcc_lo
	s_and_b32 s4, s4, s9
	v_cndmask_b32_e64 v0, v0, 21, s7
	v_cmp_eq_f64_e64 s7, 0, v[17:18]
	v_cmp_eq_f64_e64 s9, 0, v[99:100]
	;; [unrolled: 6-line block ×9, first 2 shown]
	v_cmp_eq_u32_e32 vcc_lo, 0, v0
	s_and_b32 s5, s5, vcc_lo
	v_cndmask_b32_e64 v0, v0, 29, s5
	s_and_b32 s5, s7, s8
	v_cmp_eq_f64_e64 s7, 0, v[129:130]
	v_cmp_eq_f64_e64 s8, 0, v[131:132]
	v_cmp_eq_u32_e32 vcc_lo, 0, v0
	s_and_b32 s5, s5, vcc_lo
	s_and_b32 s4, s4, s9
	v_cndmask_b32_e64 v0, v0, 30, s5
	v_cmp_eq_f64_e64 s5, 0, v[133:134]
	v_cmp_eq_f64_e64 s9, 0, v[137:138]
	v_cmp_eq_u32_e32 vcc_lo, 0, v0
	s_and_b32 s4, s4, vcc_lo
	v_cndmask_b32_e64 v0, v0, 31, s4
	s_and_b32 s4, s10, s11
	v_cmp_eq_f64_e64 s10, 0, v[139:140]
	v_cmp_eq_u32_e32 vcc_lo, 0, v0
	s_and_b32 s4, s4, vcc_lo
	s_and_b32 s5, s5, s6
	v_cndmask_b32_e64 v0, v0, 32, s4
	s_and_b32 s4, s7, s8
	v_cmp_eq_f64_e64 s6, 0, v[147:148]
	v_add_co_u32 v5, s8, s14, v5
	v_cmp_eq_u32_e32 vcc_lo, 0, v0
	v_add_co_ci_u32_e64 v6, null, s15, v6, s8
	v_cmp_eq_f64_e64 s8, 0, v[149:150]
	s_and_b32 s4, s4, vcc_lo
	v_cmp_eq_f64_e32 vcc_lo, 0, v[141:142]
	v_cndmask_b32_e64 v0, v0, 33, s4
	v_cmp_eq_f64_e64 s4, 0, v[143:144]
	s_and_b32 s9, s9, s10
	global_load_dword v7, v[5:6], off
	v_cmp_eq_u32_e64 s7, 0, v0
	s_and_b32 s5, s5, s7
	v_cndmask_b32_e64 v0, v0, 34, s5
	v_cmp_eq_f64_e64 s5, 0, v[145:146]
	v_cmp_eq_u32_e64 s7, 0, v0
	s_and_b32 s7, s9, s7
	s_and_b32 s4, vcc_lo, s4
	v_cndmask_b32_e64 v0, v0, 35, s7
	v_cmp_eq_f64_e64 s9, 0, v[151:152]
	v_cmp_eq_u32_e64 s7, 0, v0
	s_and_b32 s4, s4, s7
	s_and_b32 s5, s5, s6
	v_cndmask_b32_e64 v0, v0, 36, s4
	v_cmp_eq_f64_e64 s4, 0, v[153:154]
	v_cmp_eq_f64_e64 s7, 0, v[155:156]
	;; [unrolled: 1-line block ×3, first 2 shown]
	v_cmp_eq_u32_e32 vcc_lo, 0, v0
	s_and_b32 s5, s5, vcc_lo
	s_and_b32 s8, s8, s9
	v_cndmask_b32_e64 v0, v0, 37, s5
	v_cmp_eq_f64_e64 s5, 0, v[157:158]
	v_cmp_eq_f64_e64 s9, 0, v[163:164]
	v_cmp_eq_u32_e32 vcc_lo, 0, v0
	s_and_b32 s8, s8, vcc_lo
	v_cndmask_b32_e64 v0, v0, 38, s8
	s_and_b32 s4, s4, s7
	v_cmp_eq_f64_e64 s8, 0, v[161:162]
	v_cmp_eq_f64_e64 s7, 0, v[167:168]
	v_cmp_eq_u32_e32 vcc_lo, 0, v0
	s_and_b32 s4, s4, vcc_lo
	s_and_b32 s5, s5, s6
	v_cndmask_b32_e64 v0, v0, 39, s4
	v_cmp_eq_f64_e64 s4, 0, v[165:166]
	v_cmp_eq_f64_e64 s6, 0, v[171:172]
	v_cmp_eq_u32_e32 vcc_lo, 0, v0
	s_and_b32 s5, s5, vcc_lo
	v_cndmask_b32_e64 v0, v0, 40, s5
	s_and_b32 s8, s8, s9
	v_cmp_eq_f64_e64 s5, 0, v[169:170]
	v_cmp_eq_f64_e64 s9, 0, v[175:176]
	;; [unrolled: 12-line block ×12, first 2 shown]
	v_cmp_eq_u32_e32 vcc_lo, 0, v0
	s_and_b32 s5, s5, vcc_lo
	s_and_b32 s8, s8, s9
	v_cndmask_b32_e64 v0, v0, 61, s5
	v_cmp_eq_f64_e64 s5, 0, v[1:2]
	v_cmp_eq_u32_e32 vcc_lo, 0, v0
	s_and_b32 s8, s8, vcc_lo
	v_cndmask_b32_e64 v0, v0, 62, s8
	s_and_b32 s4, s4, s7
	v_cmp_eq_u32_e32 vcc_lo, 0, v0
	s_and_b32 s4, s4, vcc_lo
	v_cndmask_b32_e64 v0, v0, 63, s4
	s_and_b32 s4, s5, s6
	v_cmp_eq_u32_e32 vcc_lo, 0, v0
	s_and_b32 s4, s4, vcc_lo
	s_waitcnt vmcnt(0)
	v_cmp_eq_u32_e32 vcc_lo, 0, v7
	v_cndmask_b32_e64 v0, v0, 64, s4
	v_cmp_ne_u32_e64 s4, 0, v0
	s_and_b32 s4, vcc_lo, s4
	s_and_b32 exec_lo, exec_lo, s4
	s_cbranch_execz .LBB127_716
; %bb.715:
	v_add_nc_u32_e32 v0, s17, v0
	global_store_dword v[5:6], v0, off
.LBB127_716:
	s_or_b32 exec_lo, exec_lo, s79
	v_mov_b32_e32 v3, s78
	s_clause 0x7
	buffer_load_dword v84, off, s[0:3], 0
	buffer_load_dword v85, off, s[0:3], 0 offset:4
	buffer_load_dword v86, off, s[0:3], 0 offset:8
	;; [unrolled: 1-line block ×3, first 2 shown]
	buffer_load_dword v0, v3, s[0:3], 0 offen
	buffer_load_dword v1, v3, s[0:3], 0 offen offset:4
	buffer_load_dword v2, v3, s[0:3], 0 offen offset:8
	;; [unrolled: 1-line block ×3, first 2 shown]
	v_mov_b32_e32 v7, s77
	v_mov_b32_e32 v11, s76
	;; [unrolled: 1-line block ×20, first 2 shown]
	s_clause 0x3e
	buffer_load_dword v4, v7, s[0:3], 0 offen
	buffer_load_dword v5, v7, s[0:3], 0 offen offset:4
	buffer_load_dword v6, v7, s[0:3], 0 offen offset:8
	buffer_load_dword v7, v7, s[0:3], 0 offen offset:12
	buffer_load_dword v8, v11, s[0:3], 0 offen
	buffer_load_dword v9, v11, s[0:3], 0 offen offset:4
	buffer_load_dword v10, v11, s[0:3], 0 offen offset:8
	buffer_load_dword v11, v11, s[0:3], 0 offen offset:12
	;; [unrolled: 4-line block ×15, first 2 shown]
	buffer_load_dword v64, v67, s[0:3], 0 offen
	buffer_load_dword v65, v67, s[0:3], 0 offen offset:4
	buffer_load_dword v66, v67, s[0:3], 0 offen offset:8
	s_clause 0x10
	buffer_load_dword v67, v67, s[0:3], 0 offen offset:12
	buffer_load_dword v68, v71, s[0:3], 0 offen
	buffer_load_dword v69, v71, s[0:3], 0 offen offset:4
	buffer_load_dword v70, v71, s[0:3], 0 offen offset:8
	buffer_load_dword v71, v71, s[0:3], 0 offen offset:12
	buffer_load_dword v72, v75, s[0:3], 0 offen
	buffer_load_dword v73, v75, s[0:3], 0 offen offset:4
	buffer_load_dword v74, v75, s[0:3], 0 offen offset:8
	;; [unrolled: 4-line block ×4, first 2 shown]
	buffer_load_dword v83, v83, s[0:3], 0 offen offset:12
	v_mov_b32_e32 v96, s57
	v_mov_b32_e32 v97, s56
	;; [unrolled: 1-line block ×42, first 2 shown]
	s_waitcnt vmcnt(62)
	global_store_dwordx4 v[253:254], v[84:87], off
	s_clause 0x1
	buffer_load_dword v84, off, s[0:3], 0 offset:1064
	buffer_load_dword v85, off, s[0:3], 0 offset:1068
	s_waitcnt vmcnt(0)
	global_store_dwordx4 v[84:85], v[0:3], off
	s_clause 0x9
	buffer_load_dword v0, v96, s[0:3], 0 offen
	buffer_load_dword v1, v96, s[0:3], 0 offen offset:4
	buffer_load_dword v2, v96, s[0:3], 0 offen offset:8
	buffer_load_dword v3, v96, s[0:3], 0 offen offset:12
	buffer_load_dword v84, v97, s[0:3], 0 offen
	buffer_load_dword v85, v97, s[0:3], 0 offen offset:4
	buffer_load_dword v86, v97, s[0:3], 0 offen offset:8
	buffer_load_dword v87, v97, s[0:3], 0 offen offset:12
	buffer_load_dword v96, off, s[0:3], 0 offset:1048
	buffer_load_dword v97, off, s[0:3], 0 offset:1052
	s_waitcnt vmcnt(0)
	global_store_dwordx4 v[96:97], v[4:7], off
	s_clause 0x9
	buffer_load_dword v4, v98, s[0:3], 0 offen
	buffer_load_dword v5, v98, s[0:3], 0 offen offset:4
	buffer_load_dword v6, v98, s[0:3], 0 offen offset:8
	buffer_load_dword v7, v98, s[0:3], 0 offen offset:12
	buffer_load_dword v96, v99, s[0:3], 0 offen
	buffer_load_dword v97, v99, s[0:3], 0 offen offset:4
	buffer_load_dword v98, v99, s[0:3], 0 offen offset:8
	buffer_load_dword v99, v99, s[0:3], 0 offen offset:12
	;; [unrolled: 13-line block ×19, first 2 shown]
	buffer_load_dword v172, off, s[0:3], 0 offset:1144
	buffer_load_dword v173, off, s[0:3], 0 offset:1148
	s_waitcnt vmcnt(0)
	global_store_dwordx4 v[172:173], v[76:79], off
	s_clause 0x1
	buffer_load_dword v76, off, s[0:3], 0 offset:1184
	buffer_load_dword v77, off, s[0:3], 0 offset:1188
	s_waitcnt vmcnt(0)
	global_store_dwordx4 v[76:77], v[80:83], off
	s_clause 0x11
	buffer_load_dword v76, v168, s[0:3], 0 offen
	buffer_load_dword v77, v168, s[0:3], 0 offen offset:4
	buffer_load_dword v78, v168, s[0:3], 0 offen offset:8
	buffer_load_dword v79, v168, s[0:3], 0 offen offset:12
	buffer_load_dword v80, v169, s[0:3], 0 offen
	buffer_load_dword v81, v169, s[0:3], 0 offen offset:4
	buffer_load_dword v82, v169, s[0:3], 0 offen offset:8
	buffer_load_dword v83, v169, s[0:3], 0 offen offset:12
	;; [unrolled: 4-line block ×4, first 2 shown]
	buffer_load_dword v176, off, s[0:3], 0 offset:1192
	buffer_load_dword v177, off, s[0:3], 0 offset:1196
	s_waitcnt vmcnt(0)
	global_store_dwordx4 v[176:177], v[0:3], off
	s_clause 0x1
	buffer_load_dword v0, off, s[0:3], 0 offset:1200
	buffer_load_dword v1, off, s[0:3], 0 offset:1204
	s_waitcnt vmcnt(0)
	global_store_dwordx4 v[0:1], v[84:87], off
	s_clause 0x1
	;; [unrolled: 5-line block ×37, first 2 shown]
	buffer_load_dword v0, off, s[0:3], 0 offset:1488
	buffer_load_dword v1, off, s[0:3], 0 offset:1492
	s_waitcnt vmcnt(0)
	global_store_dwordx4 v[0:1], v[164:167], off
	global_store_dwordx4 v[92:93], v[76:79], off
	;; [unrolled: 1-line block ×5, first 2 shown]
.LBB127_717:
	s_endpgm
	.section	.rodata,"a",@progbits
	.p2align	6, 0x0
	.amdhsa_kernel _ZN9rocsolver6v33100L23getf2_npvt_small_kernelILi64E19rocblas_complex_numIdEiiPS3_EEvT1_T3_lS5_lPT2_S5_S5_
		.amdhsa_group_segment_fixed_size 0
		.amdhsa_private_segment_fixed_size 1632
		.amdhsa_kernarg_size 312
		.amdhsa_user_sgpr_count 6
		.amdhsa_user_sgpr_private_segment_buffer 1
		.amdhsa_user_sgpr_dispatch_ptr 0
		.amdhsa_user_sgpr_queue_ptr 0
		.amdhsa_user_sgpr_kernarg_segment_ptr 1
		.amdhsa_user_sgpr_dispatch_id 0
		.amdhsa_user_sgpr_flat_scratch_init 0
		.amdhsa_user_sgpr_private_segment_size 0
		.amdhsa_wavefront_size32 1
		.amdhsa_uses_dynamic_stack 0
		.amdhsa_system_sgpr_private_segment_wavefront_offset 1
		.amdhsa_system_sgpr_workgroup_id_x 1
		.amdhsa_system_sgpr_workgroup_id_y 1
		.amdhsa_system_sgpr_workgroup_id_z 0
		.amdhsa_system_sgpr_workgroup_info 0
		.amdhsa_system_vgpr_workitem_id 1
		.amdhsa_next_free_vgpr 255
		.amdhsa_next_free_sgpr 105
		.amdhsa_reserve_vcc 1
		.amdhsa_reserve_flat_scratch 0
		.amdhsa_float_round_mode_32 0
		.amdhsa_float_round_mode_16_64 0
		.amdhsa_float_denorm_mode_32 3
		.amdhsa_float_denorm_mode_16_64 3
		.amdhsa_dx10_clamp 1
		.amdhsa_ieee_mode 1
		.amdhsa_fp16_overflow 0
		.amdhsa_workgroup_processor_mode 1
		.amdhsa_memory_ordered 1
		.amdhsa_forward_progress 1
		.amdhsa_shared_vgpr_count 0
		.amdhsa_exception_fp_ieee_invalid_op 0
		.amdhsa_exception_fp_denorm_src 0
		.amdhsa_exception_fp_ieee_div_zero 0
		.amdhsa_exception_fp_ieee_overflow 0
		.amdhsa_exception_fp_ieee_underflow 0
		.amdhsa_exception_fp_ieee_inexact 0
		.amdhsa_exception_int_div_zero 0
	.end_amdhsa_kernel
	.section	.text._ZN9rocsolver6v33100L23getf2_npvt_small_kernelILi64E19rocblas_complex_numIdEiiPS3_EEvT1_T3_lS5_lPT2_S5_S5_,"axG",@progbits,_ZN9rocsolver6v33100L23getf2_npvt_small_kernelILi64E19rocblas_complex_numIdEiiPS3_EEvT1_T3_lS5_lPT2_S5_S5_,comdat
.Lfunc_end127:
	.size	_ZN9rocsolver6v33100L23getf2_npvt_small_kernelILi64E19rocblas_complex_numIdEiiPS3_EEvT1_T3_lS5_lPT2_S5_S5_, .Lfunc_end127-_ZN9rocsolver6v33100L23getf2_npvt_small_kernelILi64E19rocblas_complex_numIdEiiPS3_EEvT1_T3_lS5_lPT2_S5_S5_
                                        ; -- End function
	.set _ZN9rocsolver6v33100L23getf2_npvt_small_kernelILi64E19rocblas_complex_numIdEiiPS3_EEvT1_T3_lS5_lPT2_S5_S5_.num_vgpr, 255
	.set _ZN9rocsolver6v33100L23getf2_npvt_small_kernelILi64E19rocblas_complex_numIdEiiPS3_EEvT1_T3_lS5_lPT2_S5_S5_.num_agpr, 0
	.set _ZN9rocsolver6v33100L23getf2_npvt_small_kernelILi64E19rocblas_complex_numIdEiiPS3_EEvT1_T3_lS5_lPT2_S5_S5_.numbered_sgpr, 105
	.set _ZN9rocsolver6v33100L23getf2_npvt_small_kernelILi64E19rocblas_complex_numIdEiiPS3_EEvT1_T3_lS5_lPT2_S5_S5_.num_named_barrier, 0
	.set _ZN9rocsolver6v33100L23getf2_npvt_small_kernelILi64E19rocblas_complex_numIdEiiPS3_EEvT1_T3_lS5_lPT2_S5_S5_.private_seg_size, 1632
	.set _ZN9rocsolver6v33100L23getf2_npvt_small_kernelILi64E19rocblas_complex_numIdEiiPS3_EEvT1_T3_lS5_lPT2_S5_S5_.uses_vcc, 1
	.set _ZN9rocsolver6v33100L23getf2_npvt_small_kernelILi64E19rocblas_complex_numIdEiiPS3_EEvT1_T3_lS5_lPT2_S5_S5_.uses_flat_scratch, 0
	.set _ZN9rocsolver6v33100L23getf2_npvt_small_kernelILi64E19rocblas_complex_numIdEiiPS3_EEvT1_T3_lS5_lPT2_S5_S5_.has_dyn_sized_stack, 0
	.set _ZN9rocsolver6v33100L23getf2_npvt_small_kernelILi64E19rocblas_complex_numIdEiiPS3_EEvT1_T3_lS5_lPT2_S5_S5_.has_recursion, 0
	.set _ZN9rocsolver6v33100L23getf2_npvt_small_kernelILi64E19rocblas_complex_numIdEiiPS3_EEvT1_T3_lS5_lPT2_S5_S5_.has_indirect_call, 0
	.section	.AMDGPU.csdata,"",@progbits
; Kernel info:
; codeLenInByte = 160012
; TotalNumSgprs: 107
; NumVgprs: 255
; ScratchSize: 1632
; MemoryBound: 0
; FloatMode: 240
; IeeeMode: 1
; LDSByteSize: 0 bytes/workgroup (compile time only)
; SGPRBlocks: 0
; VGPRBlocks: 31
; NumSGPRsForWavesPerEU: 107
; NumVGPRsForWavesPerEU: 255
; Occupancy: 4
; WaveLimiterHint : 1
; COMPUTE_PGM_RSRC2:SCRATCH_EN: 1
; COMPUTE_PGM_RSRC2:USER_SGPR: 6
; COMPUTE_PGM_RSRC2:TRAP_HANDLER: 0
; COMPUTE_PGM_RSRC2:TGID_X_EN: 1
; COMPUTE_PGM_RSRC2:TGID_Y_EN: 1
; COMPUTE_PGM_RSRC2:TGID_Z_EN: 0
; COMPUTE_PGM_RSRC2:TIDIG_COMP_CNT: 1
	.section	.AMDGPU.gpr_maximums,"",@progbits
	.set amdgpu.max_num_vgpr, 0
	.set amdgpu.max_num_agpr, 0
	.set amdgpu.max_num_sgpr, 0
	.section	.AMDGPU.csdata,"",@progbits
	.type	__hip_cuid_38aeab631905650a,@object ; @__hip_cuid_38aeab631905650a
	.section	.bss,"aw",@nobits
	.globl	__hip_cuid_38aeab631905650a
__hip_cuid_38aeab631905650a:
	.byte	0                               ; 0x0
	.size	__hip_cuid_38aeab631905650a, 1

	.ident	"AMD clang version 22.0.0git (https://github.com/RadeonOpenCompute/llvm-project roc-7.2.4 26084 f58b06dce1f9c15707c5f808fd002e18c2accf7e)"
	.section	".note.GNU-stack","",@progbits
	.addrsig
	.addrsig_sym __hip_cuid_38aeab631905650a
	.amdgpu_metadata
---
amdhsa.kernels:
  - .args:
      - .offset:         0
        .size:           4
        .value_kind:     by_value
      - .address_space:  global
        .offset:         8
        .size:           8
        .value_kind:     global_buffer
      - .offset:         16
        .size:           8
        .value_kind:     by_value
      - .offset:         24
        .size:           4
        .value_kind:     by_value
      - .offset:         32
        .size:           8
        .value_kind:     by_value
      - .address_space:  global
        .offset:         40
        .size:           8
        .value_kind:     global_buffer
      - .offset:         48
        .size:           8
        .value_kind:     by_value
      - .offset:         56
        .size:           8
        .value_kind:     by_value
      - .address_space:  global
        .offset:         64
        .size:           8
        .value_kind:     global_buffer
      - .offset:         72
        .size:           4
        .value_kind:     by_value
      - .offset:         76
        .size:           4
        .value_kind:     by_value
      - .address_space:  global
        .offset:         80
        .size:           8
        .value_kind:     global_buffer
      - .offset:         88
        .size:           8
        .value_kind:     by_value
      - .offset:         96
        .size:           4
        .value_kind:     hidden_block_count_x
      - .offset:         100
        .size:           4
        .value_kind:     hidden_block_count_y
      - .offset:         104
        .size:           4
        .value_kind:     hidden_block_count_z
      - .offset:         108
        .size:           2
        .value_kind:     hidden_group_size_x
      - .offset:         110
        .size:           2
        .value_kind:     hidden_group_size_y
      - .offset:         112
        .size:           2
        .value_kind:     hidden_group_size_z
      - .offset:         114
        .size:           2
        .value_kind:     hidden_remainder_x
      - .offset:         116
        .size:           2
        .value_kind:     hidden_remainder_y
      - .offset:         118
        .size:           2
        .value_kind:     hidden_remainder_z
      - .offset:         136
        .size:           8
        .value_kind:     hidden_global_offset_x
      - .offset:         144
        .size:           8
        .value_kind:     hidden_global_offset_y
      - .offset:         152
        .size:           8
        .value_kind:     hidden_global_offset_z
      - .offset:         160
        .size:           2
        .value_kind:     hidden_grid_dims
      - .offset:         216
        .size:           4
        .value_kind:     hidden_dynamic_lds_size
    .group_segment_fixed_size: 0
    .kernarg_segment_align: 8
    .kernarg_segment_size: 352
    .language:       OpenCL C
    .language_version:
      - 2
      - 0
    .max_flat_workgroup_size: 512
    .name:           _ZN9rocsolver6v33100L18getf2_small_kernelILi1E19rocblas_complex_numIdEiiPS3_EEvT1_T3_lS5_lPS5_llPT2_S5_S5_S7_l
    .private_segment_fixed_size: 0
    .sgpr_count:     20
    .sgpr_spill_count: 0
    .symbol:         _ZN9rocsolver6v33100L18getf2_small_kernelILi1E19rocblas_complex_numIdEiiPS3_EEvT1_T3_lS5_lPS5_llPT2_S5_S5_S7_l.kd
    .uniform_work_group_size: 1
    .uses_dynamic_stack: false
    .vgpr_count:     27
    .vgpr_spill_count: 0
    .wavefront_size: 32
    .workgroup_processor_mode: 1
  - .args:
      - .offset:         0
        .size:           4
        .value_kind:     by_value
      - .address_space:  global
        .offset:         8
        .size:           8
        .value_kind:     global_buffer
      - .offset:         16
        .size:           8
        .value_kind:     by_value
      - .offset:         24
        .size:           4
        .value_kind:     by_value
      - .offset:         32
        .size:           8
        .value_kind:     by_value
      - .address_space:  global
        .offset:         40
        .size:           8
        .value_kind:     global_buffer
      - .offset:         48
        .size:           4
        .value_kind:     by_value
      - .offset:         52
        .size:           4
        .value_kind:     by_value
      - .offset:         56
        .size:           4
        .value_kind:     hidden_block_count_x
      - .offset:         60
        .size:           4
        .value_kind:     hidden_block_count_y
      - .offset:         64
        .size:           4
        .value_kind:     hidden_block_count_z
      - .offset:         68
        .size:           2
        .value_kind:     hidden_group_size_x
      - .offset:         70
        .size:           2
        .value_kind:     hidden_group_size_y
      - .offset:         72
        .size:           2
        .value_kind:     hidden_group_size_z
      - .offset:         74
        .size:           2
        .value_kind:     hidden_remainder_x
      - .offset:         76
        .size:           2
        .value_kind:     hidden_remainder_y
      - .offset:         78
        .size:           2
        .value_kind:     hidden_remainder_z
      - .offset:         96
        .size:           8
        .value_kind:     hidden_global_offset_x
      - .offset:         104
        .size:           8
        .value_kind:     hidden_global_offset_y
      - .offset:         112
        .size:           8
        .value_kind:     hidden_global_offset_z
      - .offset:         120
        .size:           2
        .value_kind:     hidden_grid_dims
      - .offset:         176
        .size:           4
        .value_kind:     hidden_dynamic_lds_size
    .group_segment_fixed_size: 0
    .kernarg_segment_align: 8
    .kernarg_segment_size: 312
    .language:       OpenCL C
    .language_version:
      - 2
      - 0
    .max_flat_workgroup_size: 512
    .name:           _ZN9rocsolver6v33100L23getf2_npvt_small_kernelILi1E19rocblas_complex_numIdEiiPS3_EEvT1_T3_lS5_lPT2_S5_S5_
    .private_segment_fixed_size: 0
    .sgpr_count:     14
    .sgpr_spill_count: 0
    .symbol:         _ZN9rocsolver6v33100L23getf2_npvt_small_kernelILi1E19rocblas_complex_numIdEiiPS3_EEvT1_T3_lS5_lPT2_S5_S5_.kd
    .uniform_work_group_size: 1
    .uses_dynamic_stack: false
    .vgpr_count:     22
    .vgpr_spill_count: 0
    .wavefront_size: 32
    .workgroup_processor_mode: 1
  - .args:
      - .offset:         0
        .size:           4
        .value_kind:     by_value
      - .address_space:  global
        .offset:         8
        .size:           8
        .value_kind:     global_buffer
      - .offset:         16
        .size:           8
        .value_kind:     by_value
      - .offset:         24
        .size:           4
        .value_kind:     by_value
      - .offset:         32
        .size:           8
        .value_kind:     by_value
      - .address_space:  global
        .offset:         40
        .size:           8
        .value_kind:     global_buffer
      - .offset:         48
        .size:           8
        .value_kind:     by_value
      - .offset:         56
        .size:           8
        .value_kind:     by_value
      - .address_space:  global
        .offset:         64
        .size:           8
        .value_kind:     global_buffer
      - .offset:         72
        .size:           4
        .value_kind:     by_value
      - .offset:         76
        .size:           4
        .value_kind:     by_value
      - .address_space:  global
        .offset:         80
        .size:           8
        .value_kind:     global_buffer
      - .offset:         88
        .size:           8
        .value_kind:     by_value
      - .offset:         96
        .size:           4
        .value_kind:     hidden_block_count_x
      - .offset:         100
        .size:           4
        .value_kind:     hidden_block_count_y
      - .offset:         104
        .size:           4
        .value_kind:     hidden_block_count_z
      - .offset:         108
        .size:           2
        .value_kind:     hidden_group_size_x
      - .offset:         110
        .size:           2
        .value_kind:     hidden_group_size_y
      - .offset:         112
        .size:           2
        .value_kind:     hidden_group_size_z
      - .offset:         114
        .size:           2
        .value_kind:     hidden_remainder_x
      - .offset:         116
        .size:           2
        .value_kind:     hidden_remainder_y
      - .offset:         118
        .size:           2
        .value_kind:     hidden_remainder_z
      - .offset:         136
        .size:           8
        .value_kind:     hidden_global_offset_x
      - .offset:         144
        .size:           8
        .value_kind:     hidden_global_offset_y
      - .offset:         152
        .size:           8
        .value_kind:     hidden_global_offset_z
      - .offset:         160
        .size:           2
        .value_kind:     hidden_grid_dims
      - .offset:         216
        .size:           4
        .value_kind:     hidden_dynamic_lds_size
    .group_segment_fixed_size: 0
    .kernarg_segment_align: 8
    .kernarg_segment_size: 352
    .language:       OpenCL C
    .language_version:
      - 2
      - 0
    .max_flat_workgroup_size: 512
    .name:           _ZN9rocsolver6v33100L18getf2_small_kernelILi2E19rocblas_complex_numIdEiiPS3_EEvT1_T3_lS5_lPS5_llPT2_S5_S5_S7_l
    .private_segment_fixed_size: 0
    .sgpr_count:     20
    .sgpr_spill_count: 0
    .symbol:         _ZN9rocsolver6v33100L18getf2_small_kernelILi2E19rocblas_complex_numIdEiiPS3_EEvT1_T3_lS5_lPS5_llPT2_S5_S5_S7_l.kd
    .uniform_work_group_size: 1
    .uses_dynamic_stack: false
    .vgpr_count:     34
    .vgpr_spill_count: 0
    .wavefront_size: 32
    .workgroup_processor_mode: 1
  - .args:
      - .offset:         0
        .size:           4
        .value_kind:     by_value
      - .address_space:  global
        .offset:         8
        .size:           8
        .value_kind:     global_buffer
      - .offset:         16
        .size:           8
        .value_kind:     by_value
      - .offset:         24
        .size:           4
        .value_kind:     by_value
      - .offset:         32
        .size:           8
        .value_kind:     by_value
      - .address_space:  global
        .offset:         40
        .size:           8
        .value_kind:     global_buffer
      - .offset:         48
        .size:           4
        .value_kind:     by_value
      - .offset:         52
        .size:           4
        .value_kind:     by_value
      - .offset:         56
        .size:           4
        .value_kind:     hidden_block_count_x
      - .offset:         60
        .size:           4
        .value_kind:     hidden_block_count_y
      - .offset:         64
        .size:           4
        .value_kind:     hidden_block_count_z
      - .offset:         68
        .size:           2
        .value_kind:     hidden_group_size_x
      - .offset:         70
        .size:           2
        .value_kind:     hidden_group_size_y
      - .offset:         72
        .size:           2
        .value_kind:     hidden_group_size_z
      - .offset:         74
        .size:           2
        .value_kind:     hidden_remainder_x
      - .offset:         76
        .size:           2
        .value_kind:     hidden_remainder_y
      - .offset:         78
        .size:           2
        .value_kind:     hidden_remainder_z
      - .offset:         96
        .size:           8
        .value_kind:     hidden_global_offset_x
      - .offset:         104
        .size:           8
        .value_kind:     hidden_global_offset_y
      - .offset:         112
        .size:           8
        .value_kind:     hidden_global_offset_z
      - .offset:         120
        .size:           2
        .value_kind:     hidden_grid_dims
      - .offset:         176
        .size:           4
        .value_kind:     hidden_dynamic_lds_size
    .group_segment_fixed_size: 0
    .kernarg_segment_align: 8
    .kernarg_segment_size: 312
    .language:       OpenCL C
    .language_version:
      - 2
      - 0
    .max_flat_workgroup_size: 512
    .name:           _ZN9rocsolver6v33100L23getf2_npvt_small_kernelILi2E19rocblas_complex_numIdEiiPS3_EEvT1_T3_lS5_lPT2_S5_S5_
    .private_segment_fixed_size: 0
    .sgpr_count:     18
    .sgpr_spill_count: 0
    .symbol:         _ZN9rocsolver6v33100L23getf2_npvt_small_kernelILi2E19rocblas_complex_numIdEiiPS3_EEvT1_T3_lS5_lPT2_S5_S5_.kd
    .uniform_work_group_size: 1
    .uses_dynamic_stack: false
    .vgpr_count:     32
    .vgpr_spill_count: 0
    .wavefront_size: 32
    .workgroup_processor_mode: 1
  - .args:
      - .offset:         0
        .size:           4
        .value_kind:     by_value
      - .address_space:  global
        .offset:         8
        .size:           8
        .value_kind:     global_buffer
      - .offset:         16
        .size:           8
        .value_kind:     by_value
      - .offset:         24
        .size:           4
        .value_kind:     by_value
      - .offset:         32
        .size:           8
        .value_kind:     by_value
      - .address_space:  global
        .offset:         40
        .size:           8
        .value_kind:     global_buffer
      - .offset:         48
        .size:           8
        .value_kind:     by_value
      - .offset:         56
        .size:           8
        .value_kind:     by_value
      - .address_space:  global
        .offset:         64
        .size:           8
        .value_kind:     global_buffer
      - .offset:         72
        .size:           4
        .value_kind:     by_value
      - .offset:         76
        .size:           4
        .value_kind:     by_value
      - .address_space:  global
        .offset:         80
        .size:           8
        .value_kind:     global_buffer
      - .offset:         88
        .size:           8
        .value_kind:     by_value
      - .offset:         96
        .size:           4
        .value_kind:     hidden_block_count_x
      - .offset:         100
        .size:           4
        .value_kind:     hidden_block_count_y
      - .offset:         104
        .size:           4
        .value_kind:     hidden_block_count_z
      - .offset:         108
        .size:           2
        .value_kind:     hidden_group_size_x
      - .offset:         110
        .size:           2
        .value_kind:     hidden_group_size_y
      - .offset:         112
        .size:           2
        .value_kind:     hidden_group_size_z
      - .offset:         114
        .size:           2
        .value_kind:     hidden_remainder_x
      - .offset:         116
        .size:           2
        .value_kind:     hidden_remainder_y
      - .offset:         118
        .size:           2
        .value_kind:     hidden_remainder_z
      - .offset:         136
        .size:           8
        .value_kind:     hidden_global_offset_x
      - .offset:         144
        .size:           8
        .value_kind:     hidden_global_offset_y
      - .offset:         152
        .size:           8
        .value_kind:     hidden_global_offset_z
      - .offset:         160
        .size:           2
        .value_kind:     hidden_grid_dims
      - .offset:         216
        .size:           4
        .value_kind:     hidden_dynamic_lds_size
    .group_segment_fixed_size: 0
    .kernarg_segment_align: 8
    .kernarg_segment_size: 352
    .language:       OpenCL C
    .language_version:
      - 2
      - 0
    .max_flat_workgroup_size: 512
    .name:           _ZN9rocsolver6v33100L18getf2_small_kernelILi3E19rocblas_complex_numIdEiiPS3_EEvT1_T3_lS5_lPS5_llPT2_S5_S5_S7_l
    .private_segment_fixed_size: 0
    .sgpr_count:     26
    .sgpr_spill_count: 0
    .symbol:         _ZN9rocsolver6v33100L18getf2_small_kernelILi3E19rocblas_complex_numIdEiiPS3_EEvT1_T3_lS5_lPS5_llPT2_S5_S5_S7_l.kd
    .uniform_work_group_size: 1
    .uses_dynamic_stack: false
    .vgpr_count:     40
    .vgpr_spill_count: 0
    .wavefront_size: 32
    .workgroup_processor_mode: 1
  - .args:
      - .offset:         0
        .size:           4
        .value_kind:     by_value
      - .address_space:  global
        .offset:         8
        .size:           8
        .value_kind:     global_buffer
      - .offset:         16
        .size:           8
        .value_kind:     by_value
      - .offset:         24
        .size:           4
        .value_kind:     by_value
      - .offset:         32
        .size:           8
        .value_kind:     by_value
      - .address_space:  global
        .offset:         40
        .size:           8
        .value_kind:     global_buffer
      - .offset:         48
        .size:           4
        .value_kind:     by_value
      - .offset:         52
        .size:           4
        .value_kind:     by_value
      - .offset:         56
        .size:           4
        .value_kind:     hidden_block_count_x
      - .offset:         60
        .size:           4
        .value_kind:     hidden_block_count_y
      - .offset:         64
        .size:           4
        .value_kind:     hidden_block_count_z
      - .offset:         68
        .size:           2
        .value_kind:     hidden_group_size_x
      - .offset:         70
        .size:           2
        .value_kind:     hidden_group_size_y
      - .offset:         72
        .size:           2
        .value_kind:     hidden_group_size_z
      - .offset:         74
        .size:           2
        .value_kind:     hidden_remainder_x
      - .offset:         76
        .size:           2
        .value_kind:     hidden_remainder_y
      - .offset:         78
        .size:           2
        .value_kind:     hidden_remainder_z
      - .offset:         96
        .size:           8
        .value_kind:     hidden_global_offset_x
      - .offset:         104
        .size:           8
        .value_kind:     hidden_global_offset_y
      - .offset:         112
        .size:           8
        .value_kind:     hidden_global_offset_z
      - .offset:         120
        .size:           2
        .value_kind:     hidden_grid_dims
      - .offset:         176
        .size:           4
        .value_kind:     hidden_dynamic_lds_size
    .group_segment_fixed_size: 0
    .kernarg_segment_align: 8
    .kernarg_segment_size: 312
    .language:       OpenCL C
    .language_version:
      - 2
      - 0
    .max_flat_workgroup_size: 512
    .name:           _ZN9rocsolver6v33100L23getf2_npvt_small_kernelILi3E19rocblas_complex_numIdEiiPS3_EEvT1_T3_lS5_lPT2_S5_S5_
    .private_segment_fixed_size: 0
    .sgpr_count:     16
    .sgpr_spill_count: 0
    .symbol:         _ZN9rocsolver6v33100L23getf2_npvt_small_kernelILi3E19rocblas_complex_numIdEiiPS3_EEvT1_T3_lS5_lPT2_S5_S5_.kd
    .uniform_work_group_size: 1
    .uses_dynamic_stack: false
    .vgpr_count:     43
    .vgpr_spill_count: 0
    .wavefront_size: 32
    .workgroup_processor_mode: 1
  - .args:
      - .offset:         0
        .size:           4
        .value_kind:     by_value
      - .address_space:  global
        .offset:         8
        .size:           8
        .value_kind:     global_buffer
      - .offset:         16
        .size:           8
        .value_kind:     by_value
      - .offset:         24
        .size:           4
        .value_kind:     by_value
      - .offset:         32
        .size:           8
        .value_kind:     by_value
      - .address_space:  global
        .offset:         40
        .size:           8
        .value_kind:     global_buffer
      - .offset:         48
        .size:           8
        .value_kind:     by_value
      - .offset:         56
        .size:           8
        .value_kind:     by_value
      - .address_space:  global
        .offset:         64
        .size:           8
        .value_kind:     global_buffer
      - .offset:         72
        .size:           4
        .value_kind:     by_value
      - .offset:         76
        .size:           4
        .value_kind:     by_value
      - .address_space:  global
        .offset:         80
        .size:           8
        .value_kind:     global_buffer
      - .offset:         88
        .size:           8
        .value_kind:     by_value
      - .offset:         96
        .size:           4
        .value_kind:     hidden_block_count_x
      - .offset:         100
        .size:           4
        .value_kind:     hidden_block_count_y
      - .offset:         104
        .size:           4
        .value_kind:     hidden_block_count_z
      - .offset:         108
        .size:           2
        .value_kind:     hidden_group_size_x
      - .offset:         110
        .size:           2
        .value_kind:     hidden_group_size_y
      - .offset:         112
        .size:           2
        .value_kind:     hidden_group_size_z
      - .offset:         114
        .size:           2
        .value_kind:     hidden_remainder_x
      - .offset:         116
        .size:           2
        .value_kind:     hidden_remainder_y
      - .offset:         118
        .size:           2
        .value_kind:     hidden_remainder_z
      - .offset:         136
        .size:           8
        .value_kind:     hidden_global_offset_x
      - .offset:         144
        .size:           8
        .value_kind:     hidden_global_offset_y
      - .offset:         152
        .size:           8
        .value_kind:     hidden_global_offset_z
      - .offset:         160
        .size:           2
        .value_kind:     hidden_grid_dims
      - .offset:         216
        .size:           4
        .value_kind:     hidden_dynamic_lds_size
    .group_segment_fixed_size: 0
    .kernarg_segment_align: 8
    .kernarg_segment_size: 352
    .language:       OpenCL C
    .language_version:
      - 2
      - 0
    .max_flat_workgroup_size: 512
    .name:           _ZN9rocsolver6v33100L18getf2_small_kernelILi4E19rocblas_complex_numIdEiiPS3_EEvT1_T3_lS5_lPS5_llPT2_S5_S5_S7_l
    .private_segment_fixed_size: 0
    .sgpr_count:     26
    .sgpr_spill_count: 0
    .symbol:         _ZN9rocsolver6v33100L18getf2_small_kernelILi4E19rocblas_complex_numIdEiiPS3_EEvT1_T3_lS5_lPS5_llPT2_S5_S5_S7_l.kd
    .uniform_work_group_size: 1
    .uses_dynamic_stack: false
    .vgpr_count:     52
    .vgpr_spill_count: 0
    .wavefront_size: 32
    .workgroup_processor_mode: 1
  - .args:
      - .offset:         0
        .size:           4
        .value_kind:     by_value
      - .address_space:  global
        .offset:         8
        .size:           8
        .value_kind:     global_buffer
      - .offset:         16
        .size:           8
        .value_kind:     by_value
      - .offset:         24
        .size:           4
        .value_kind:     by_value
      - .offset:         32
        .size:           8
        .value_kind:     by_value
      - .address_space:  global
        .offset:         40
        .size:           8
        .value_kind:     global_buffer
      - .offset:         48
        .size:           4
        .value_kind:     by_value
      - .offset:         52
        .size:           4
        .value_kind:     by_value
      - .offset:         56
        .size:           4
        .value_kind:     hidden_block_count_x
      - .offset:         60
        .size:           4
        .value_kind:     hidden_block_count_y
      - .offset:         64
        .size:           4
        .value_kind:     hidden_block_count_z
      - .offset:         68
        .size:           2
        .value_kind:     hidden_group_size_x
      - .offset:         70
        .size:           2
        .value_kind:     hidden_group_size_y
      - .offset:         72
        .size:           2
        .value_kind:     hidden_group_size_z
      - .offset:         74
        .size:           2
        .value_kind:     hidden_remainder_x
      - .offset:         76
        .size:           2
        .value_kind:     hidden_remainder_y
      - .offset:         78
        .size:           2
        .value_kind:     hidden_remainder_z
      - .offset:         96
        .size:           8
        .value_kind:     hidden_global_offset_x
      - .offset:         104
        .size:           8
        .value_kind:     hidden_global_offset_y
      - .offset:         112
        .size:           8
        .value_kind:     hidden_global_offset_z
      - .offset:         120
        .size:           2
        .value_kind:     hidden_grid_dims
      - .offset:         176
        .size:           4
        .value_kind:     hidden_dynamic_lds_size
    .group_segment_fixed_size: 0
    .kernarg_segment_align: 8
    .kernarg_segment_size: 312
    .language:       OpenCL C
    .language_version:
      - 2
      - 0
    .max_flat_workgroup_size: 512
    .name:           _ZN9rocsolver6v33100L23getf2_npvt_small_kernelILi4E19rocblas_complex_numIdEiiPS3_EEvT1_T3_lS5_lPT2_S5_S5_
    .private_segment_fixed_size: 0
    .sgpr_count:     18
    .sgpr_spill_count: 0
    .symbol:         _ZN9rocsolver6v33100L23getf2_npvt_small_kernelILi4E19rocblas_complex_numIdEiiPS3_EEvT1_T3_lS5_lPT2_S5_S5_.kd
    .uniform_work_group_size: 1
    .uses_dynamic_stack: false
    .vgpr_count:     57
    .vgpr_spill_count: 0
    .wavefront_size: 32
    .workgroup_processor_mode: 1
  - .args:
      - .offset:         0
        .size:           4
        .value_kind:     by_value
      - .address_space:  global
        .offset:         8
        .size:           8
        .value_kind:     global_buffer
      - .offset:         16
        .size:           8
        .value_kind:     by_value
      - .offset:         24
        .size:           4
        .value_kind:     by_value
      - .offset:         32
        .size:           8
        .value_kind:     by_value
      - .address_space:  global
        .offset:         40
        .size:           8
        .value_kind:     global_buffer
      - .offset:         48
        .size:           8
        .value_kind:     by_value
      - .offset:         56
        .size:           8
        .value_kind:     by_value
      - .address_space:  global
        .offset:         64
        .size:           8
        .value_kind:     global_buffer
      - .offset:         72
        .size:           4
        .value_kind:     by_value
      - .offset:         76
        .size:           4
        .value_kind:     by_value
      - .address_space:  global
        .offset:         80
        .size:           8
        .value_kind:     global_buffer
      - .offset:         88
        .size:           8
        .value_kind:     by_value
      - .offset:         96
        .size:           4
        .value_kind:     hidden_block_count_x
      - .offset:         100
        .size:           4
        .value_kind:     hidden_block_count_y
      - .offset:         104
        .size:           4
        .value_kind:     hidden_block_count_z
      - .offset:         108
        .size:           2
        .value_kind:     hidden_group_size_x
      - .offset:         110
        .size:           2
        .value_kind:     hidden_group_size_y
      - .offset:         112
        .size:           2
        .value_kind:     hidden_group_size_z
      - .offset:         114
        .size:           2
        .value_kind:     hidden_remainder_x
      - .offset:         116
        .size:           2
        .value_kind:     hidden_remainder_y
      - .offset:         118
        .size:           2
        .value_kind:     hidden_remainder_z
      - .offset:         136
        .size:           8
        .value_kind:     hidden_global_offset_x
      - .offset:         144
        .size:           8
        .value_kind:     hidden_global_offset_y
      - .offset:         152
        .size:           8
        .value_kind:     hidden_global_offset_z
      - .offset:         160
        .size:           2
        .value_kind:     hidden_grid_dims
      - .offset:         216
        .size:           4
        .value_kind:     hidden_dynamic_lds_size
    .group_segment_fixed_size: 0
    .kernarg_segment_align: 8
    .kernarg_segment_size: 352
    .language:       OpenCL C
    .language_version:
      - 2
      - 0
    .max_flat_workgroup_size: 512
    .name:           _ZN9rocsolver6v33100L18getf2_small_kernelILi5E19rocblas_complex_numIdEiiPS3_EEvT1_T3_lS5_lPS5_llPT2_S5_S5_S7_l
    .private_segment_fixed_size: 0
    .sgpr_count:     26
    .sgpr_spill_count: 0
    .symbol:         _ZN9rocsolver6v33100L18getf2_small_kernelILi5E19rocblas_complex_numIdEiiPS3_EEvT1_T3_lS5_lPS5_llPT2_S5_S5_S7_l.kd
    .uniform_work_group_size: 1
    .uses_dynamic_stack: false
    .vgpr_count:     55
    .vgpr_spill_count: 0
    .wavefront_size: 32
    .workgroup_processor_mode: 1
  - .args:
      - .offset:         0
        .size:           4
        .value_kind:     by_value
      - .address_space:  global
        .offset:         8
        .size:           8
        .value_kind:     global_buffer
      - .offset:         16
        .size:           8
        .value_kind:     by_value
      - .offset:         24
        .size:           4
        .value_kind:     by_value
      - .offset:         32
        .size:           8
        .value_kind:     by_value
      - .address_space:  global
        .offset:         40
        .size:           8
        .value_kind:     global_buffer
      - .offset:         48
        .size:           4
        .value_kind:     by_value
      - .offset:         52
        .size:           4
        .value_kind:     by_value
      - .offset:         56
        .size:           4
        .value_kind:     hidden_block_count_x
      - .offset:         60
        .size:           4
        .value_kind:     hidden_block_count_y
      - .offset:         64
        .size:           4
        .value_kind:     hidden_block_count_z
      - .offset:         68
        .size:           2
        .value_kind:     hidden_group_size_x
      - .offset:         70
        .size:           2
        .value_kind:     hidden_group_size_y
      - .offset:         72
        .size:           2
        .value_kind:     hidden_group_size_z
      - .offset:         74
        .size:           2
        .value_kind:     hidden_remainder_x
      - .offset:         76
        .size:           2
        .value_kind:     hidden_remainder_y
      - .offset:         78
        .size:           2
        .value_kind:     hidden_remainder_z
      - .offset:         96
        .size:           8
        .value_kind:     hidden_global_offset_x
      - .offset:         104
        .size:           8
        .value_kind:     hidden_global_offset_y
      - .offset:         112
        .size:           8
        .value_kind:     hidden_global_offset_z
      - .offset:         120
        .size:           2
        .value_kind:     hidden_grid_dims
      - .offset:         176
        .size:           4
        .value_kind:     hidden_dynamic_lds_size
    .group_segment_fixed_size: 0
    .kernarg_segment_align: 8
    .kernarg_segment_size: 312
    .language:       OpenCL C
    .language_version:
      - 2
      - 0
    .max_flat_workgroup_size: 512
    .name:           _ZN9rocsolver6v33100L23getf2_npvt_small_kernelILi5E19rocblas_complex_numIdEiiPS3_EEvT1_T3_lS5_lPT2_S5_S5_
    .private_segment_fixed_size: 0
    .sgpr_count:     18
    .sgpr_spill_count: 0
    .symbol:         _ZN9rocsolver6v33100L23getf2_npvt_small_kernelILi5E19rocblas_complex_numIdEiiPS3_EEvT1_T3_lS5_lPT2_S5_S5_.kd
    .uniform_work_group_size: 1
    .uses_dynamic_stack: false
    .vgpr_count:     62
    .vgpr_spill_count: 0
    .wavefront_size: 32
    .workgroup_processor_mode: 1
  - .args:
      - .offset:         0
        .size:           4
        .value_kind:     by_value
      - .address_space:  global
        .offset:         8
        .size:           8
        .value_kind:     global_buffer
      - .offset:         16
        .size:           8
        .value_kind:     by_value
      - .offset:         24
        .size:           4
        .value_kind:     by_value
      - .offset:         32
        .size:           8
        .value_kind:     by_value
      - .address_space:  global
        .offset:         40
        .size:           8
        .value_kind:     global_buffer
      - .offset:         48
        .size:           8
        .value_kind:     by_value
      - .offset:         56
        .size:           8
        .value_kind:     by_value
      - .address_space:  global
        .offset:         64
        .size:           8
        .value_kind:     global_buffer
      - .offset:         72
        .size:           4
        .value_kind:     by_value
      - .offset:         76
        .size:           4
        .value_kind:     by_value
      - .address_space:  global
        .offset:         80
        .size:           8
        .value_kind:     global_buffer
      - .offset:         88
        .size:           8
        .value_kind:     by_value
      - .offset:         96
        .size:           4
        .value_kind:     hidden_block_count_x
      - .offset:         100
        .size:           4
        .value_kind:     hidden_block_count_y
      - .offset:         104
        .size:           4
        .value_kind:     hidden_block_count_z
      - .offset:         108
        .size:           2
        .value_kind:     hidden_group_size_x
      - .offset:         110
        .size:           2
        .value_kind:     hidden_group_size_y
      - .offset:         112
        .size:           2
        .value_kind:     hidden_group_size_z
      - .offset:         114
        .size:           2
        .value_kind:     hidden_remainder_x
      - .offset:         116
        .size:           2
        .value_kind:     hidden_remainder_y
      - .offset:         118
        .size:           2
        .value_kind:     hidden_remainder_z
      - .offset:         136
        .size:           8
        .value_kind:     hidden_global_offset_x
      - .offset:         144
        .size:           8
        .value_kind:     hidden_global_offset_y
      - .offset:         152
        .size:           8
        .value_kind:     hidden_global_offset_z
      - .offset:         160
        .size:           2
        .value_kind:     hidden_grid_dims
      - .offset:         216
        .size:           4
        .value_kind:     hidden_dynamic_lds_size
    .group_segment_fixed_size: 0
    .kernarg_segment_align: 8
    .kernarg_segment_size: 352
    .language:       OpenCL C
    .language_version:
      - 2
      - 0
    .max_flat_workgroup_size: 512
    .name:           _ZN9rocsolver6v33100L18getf2_small_kernelILi6E19rocblas_complex_numIdEiiPS3_EEvT1_T3_lS5_lPS5_llPT2_S5_S5_S7_l
    .private_segment_fixed_size: 0
    .sgpr_count:     20
    .sgpr_spill_count: 0
    .symbol:         _ZN9rocsolver6v33100L18getf2_small_kernelILi6E19rocblas_complex_numIdEiiPS3_EEvT1_T3_lS5_lPS5_llPT2_S5_S5_S7_l.kd
    .uniform_work_group_size: 1
    .uses_dynamic_stack: false
    .vgpr_count:     59
    .vgpr_spill_count: 0
    .wavefront_size: 32
    .workgroup_processor_mode: 1
  - .args:
      - .offset:         0
        .size:           4
        .value_kind:     by_value
      - .address_space:  global
        .offset:         8
        .size:           8
        .value_kind:     global_buffer
      - .offset:         16
        .size:           8
        .value_kind:     by_value
      - .offset:         24
        .size:           4
        .value_kind:     by_value
      - .offset:         32
        .size:           8
        .value_kind:     by_value
      - .address_space:  global
        .offset:         40
        .size:           8
        .value_kind:     global_buffer
      - .offset:         48
        .size:           4
        .value_kind:     by_value
      - .offset:         52
        .size:           4
        .value_kind:     by_value
      - .offset:         56
        .size:           4
        .value_kind:     hidden_block_count_x
      - .offset:         60
        .size:           4
        .value_kind:     hidden_block_count_y
      - .offset:         64
        .size:           4
        .value_kind:     hidden_block_count_z
      - .offset:         68
        .size:           2
        .value_kind:     hidden_group_size_x
      - .offset:         70
        .size:           2
        .value_kind:     hidden_group_size_y
      - .offset:         72
        .size:           2
        .value_kind:     hidden_group_size_z
      - .offset:         74
        .size:           2
        .value_kind:     hidden_remainder_x
      - .offset:         76
        .size:           2
        .value_kind:     hidden_remainder_y
      - .offset:         78
        .size:           2
        .value_kind:     hidden_remainder_z
      - .offset:         96
        .size:           8
        .value_kind:     hidden_global_offset_x
      - .offset:         104
        .size:           8
        .value_kind:     hidden_global_offset_y
      - .offset:         112
        .size:           8
        .value_kind:     hidden_global_offset_z
      - .offset:         120
        .size:           2
        .value_kind:     hidden_grid_dims
      - .offset:         176
        .size:           4
        .value_kind:     hidden_dynamic_lds_size
    .group_segment_fixed_size: 0
    .kernarg_segment_align: 8
    .kernarg_segment_size: 312
    .language:       OpenCL C
    .language_version:
      - 2
      - 0
    .max_flat_workgroup_size: 512
    .name:           _ZN9rocsolver6v33100L23getf2_npvt_small_kernelILi6E19rocblas_complex_numIdEiiPS3_EEvT1_T3_lS5_lPT2_S5_S5_
    .private_segment_fixed_size: 0
    .sgpr_count:     17
    .sgpr_spill_count: 0
    .symbol:         _ZN9rocsolver6v33100L23getf2_npvt_small_kernelILi6E19rocblas_complex_numIdEiiPS3_EEvT1_T3_lS5_lPT2_S5_S5_.kd
    .uniform_work_group_size: 1
    .uses_dynamic_stack: false
    .vgpr_count:     73
    .vgpr_spill_count: 0
    .wavefront_size: 32
    .workgroup_processor_mode: 1
  - .args:
      - .offset:         0
        .size:           4
        .value_kind:     by_value
      - .address_space:  global
        .offset:         8
        .size:           8
        .value_kind:     global_buffer
      - .offset:         16
        .size:           8
        .value_kind:     by_value
      - .offset:         24
        .size:           4
        .value_kind:     by_value
      - .offset:         32
        .size:           8
        .value_kind:     by_value
      - .address_space:  global
        .offset:         40
        .size:           8
        .value_kind:     global_buffer
      - .offset:         48
        .size:           8
        .value_kind:     by_value
      - .offset:         56
        .size:           8
        .value_kind:     by_value
      - .address_space:  global
        .offset:         64
        .size:           8
        .value_kind:     global_buffer
      - .offset:         72
        .size:           4
        .value_kind:     by_value
      - .offset:         76
        .size:           4
        .value_kind:     by_value
      - .address_space:  global
        .offset:         80
        .size:           8
        .value_kind:     global_buffer
      - .offset:         88
        .size:           8
        .value_kind:     by_value
      - .offset:         96
        .size:           4
        .value_kind:     hidden_block_count_x
      - .offset:         100
        .size:           4
        .value_kind:     hidden_block_count_y
      - .offset:         104
        .size:           4
        .value_kind:     hidden_block_count_z
      - .offset:         108
        .size:           2
        .value_kind:     hidden_group_size_x
      - .offset:         110
        .size:           2
        .value_kind:     hidden_group_size_y
      - .offset:         112
        .size:           2
        .value_kind:     hidden_group_size_z
      - .offset:         114
        .size:           2
        .value_kind:     hidden_remainder_x
      - .offset:         116
        .size:           2
        .value_kind:     hidden_remainder_y
      - .offset:         118
        .size:           2
        .value_kind:     hidden_remainder_z
      - .offset:         136
        .size:           8
        .value_kind:     hidden_global_offset_x
      - .offset:         144
        .size:           8
        .value_kind:     hidden_global_offset_y
      - .offset:         152
        .size:           8
        .value_kind:     hidden_global_offset_z
      - .offset:         160
        .size:           2
        .value_kind:     hidden_grid_dims
      - .offset:         216
        .size:           4
        .value_kind:     hidden_dynamic_lds_size
    .group_segment_fixed_size: 0
    .kernarg_segment_align: 8
    .kernarg_segment_size: 352
    .language:       OpenCL C
    .language_version:
      - 2
      - 0
    .max_flat_workgroup_size: 512
    .name:           _ZN9rocsolver6v33100L18getf2_small_kernelILi7E19rocblas_complex_numIdEiiPS3_EEvT1_T3_lS5_lPS5_llPT2_S5_S5_S7_l
    .private_segment_fixed_size: 0
    .sgpr_count:     20
    .sgpr_spill_count: 0
    .symbol:         _ZN9rocsolver6v33100L18getf2_small_kernelILi7E19rocblas_complex_numIdEiiPS3_EEvT1_T3_lS5_lPS5_llPT2_S5_S5_S7_l.kd
    .uniform_work_group_size: 1
    .uses_dynamic_stack: false
    .vgpr_count:     56
    .vgpr_spill_count: 0
    .wavefront_size: 32
    .workgroup_processor_mode: 1
  - .args:
      - .offset:         0
        .size:           4
        .value_kind:     by_value
      - .address_space:  global
        .offset:         8
        .size:           8
        .value_kind:     global_buffer
      - .offset:         16
        .size:           8
        .value_kind:     by_value
      - .offset:         24
        .size:           4
        .value_kind:     by_value
      - .offset:         32
        .size:           8
        .value_kind:     by_value
      - .address_space:  global
        .offset:         40
        .size:           8
        .value_kind:     global_buffer
      - .offset:         48
        .size:           4
        .value_kind:     by_value
      - .offset:         52
        .size:           4
        .value_kind:     by_value
      - .offset:         56
        .size:           4
        .value_kind:     hidden_block_count_x
      - .offset:         60
        .size:           4
        .value_kind:     hidden_block_count_y
      - .offset:         64
        .size:           4
        .value_kind:     hidden_block_count_z
      - .offset:         68
        .size:           2
        .value_kind:     hidden_group_size_x
      - .offset:         70
        .size:           2
        .value_kind:     hidden_group_size_y
      - .offset:         72
        .size:           2
        .value_kind:     hidden_group_size_z
      - .offset:         74
        .size:           2
        .value_kind:     hidden_remainder_x
      - .offset:         76
        .size:           2
        .value_kind:     hidden_remainder_y
      - .offset:         78
        .size:           2
        .value_kind:     hidden_remainder_z
      - .offset:         96
        .size:           8
        .value_kind:     hidden_global_offset_x
      - .offset:         104
        .size:           8
        .value_kind:     hidden_global_offset_y
      - .offset:         112
        .size:           8
        .value_kind:     hidden_global_offset_z
      - .offset:         120
        .size:           2
        .value_kind:     hidden_grid_dims
      - .offset:         176
        .size:           4
        .value_kind:     hidden_dynamic_lds_size
    .group_segment_fixed_size: 0
    .kernarg_segment_align: 8
    .kernarg_segment_size: 312
    .language:       OpenCL C
    .language_version:
      - 2
      - 0
    .max_flat_workgroup_size: 512
    .name:           _ZN9rocsolver6v33100L23getf2_npvt_small_kernelILi7E19rocblas_complex_numIdEiiPS3_EEvT1_T3_lS5_lPT2_S5_S5_
    .private_segment_fixed_size: 0
    .sgpr_count:     17
    .sgpr_spill_count: 0
    .symbol:         _ZN9rocsolver6v33100L23getf2_npvt_small_kernelILi7E19rocblas_complex_numIdEiiPS3_EEvT1_T3_lS5_lPT2_S5_S5_.kd
    .uniform_work_group_size: 1
    .uses_dynamic_stack: false
    .vgpr_count:     82
    .vgpr_spill_count: 0
    .wavefront_size: 32
    .workgroup_processor_mode: 1
  - .args:
      - .offset:         0
        .size:           4
        .value_kind:     by_value
      - .address_space:  global
        .offset:         8
        .size:           8
        .value_kind:     global_buffer
      - .offset:         16
        .size:           8
        .value_kind:     by_value
      - .offset:         24
        .size:           4
        .value_kind:     by_value
      - .offset:         32
        .size:           8
        .value_kind:     by_value
      - .address_space:  global
        .offset:         40
        .size:           8
        .value_kind:     global_buffer
      - .offset:         48
        .size:           8
        .value_kind:     by_value
      - .offset:         56
        .size:           8
        .value_kind:     by_value
      - .address_space:  global
        .offset:         64
        .size:           8
        .value_kind:     global_buffer
      - .offset:         72
        .size:           4
        .value_kind:     by_value
      - .offset:         76
        .size:           4
        .value_kind:     by_value
      - .address_space:  global
        .offset:         80
        .size:           8
        .value_kind:     global_buffer
      - .offset:         88
        .size:           8
        .value_kind:     by_value
      - .offset:         96
        .size:           4
        .value_kind:     hidden_block_count_x
      - .offset:         100
        .size:           4
        .value_kind:     hidden_block_count_y
      - .offset:         104
        .size:           4
        .value_kind:     hidden_block_count_z
      - .offset:         108
        .size:           2
        .value_kind:     hidden_group_size_x
      - .offset:         110
        .size:           2
        .value_kind:     hidden_group_size_y
      - .offset:         112
        .size:           2
        .value_kind:     hidden_group_size_z
      - .offset:         114
        .size:           2
        .value_kind:     hidden_remainder_x
      - .offset:         116
        .size:           2
        .value_kind:     hidden_remainder_y
      - .offset:         118
        .size:           2
        .value_kind:     hidden_remainder_z
      - .offset:         136
        .size:           8
        .value_kind:     hidden_global_offset_x
      - .offset:         144
        .size:           8
        .value_kind:     hidden_global_offset_y
      - .offset:         152
        .size:           8
        .value_kind:     hidden_global_offset_z
      - .offset:         160
        .size:           2
        .value_kind:     hidden_grid_dims
      - .offset:         216
        .size:           4
        .value_kind:     hidden_dynamic_lds_size
    .group_segment_fixed_size: 0
    .kernarg_segment_align: 8
    .kernarg_segment_size: 352
    .language:       OpenCL C
    .language_version:
      - 2
      - 0
    .max_flat_workgroup_size: 512
    .name:           _ZN9rocsolver6v33100L18getf2_small_kernelILi8E19rocblas_complex_numIdEiiPS3_EEvT1_T3_lS5_lPS5_llPT2_S5_S5_S7_l
    .private_segment_fixed_size: 0
    .sgpr_count:     20
    .sgpr_spill_count: 0
    .symbol:         _ZN9rocsolver6v33100L18getf2_small_kernelILi8E19rocblas_complex_numIdEiiPS3_EEvT1_T3_lS5_lPS5_llPT2_S5_S5_S7_l.kd
    .uniform_work_group_size: 1
    .uses_dynamic_stack: false
    .vgpr_count:     60
    .vgpr_spill_count: 0
    .wavefront_size: 32
    .workgroup_processor_mode: 1
  - .args:
      - .offset:         0
        .size:           4
        .value_kind:     by_value
      - .address_space:  global
        .offset:         8
        .size:           8
        .value_kind:     global_buffer
      - .offset:         16
        .size:           8
        .value_kind:     by_value
      - .offset:         24
        .size:           4
        .value_kind:     by_value
      - .offset:         32
        .size:           8
        .value_kind:     by_value
      - .address_space:  global
        .offset:         40
        .size:           8
        .value_kind:     global_buffer
      - .offset:         48
        .size:           4
        .value_kind:     by_value
      - .offset:         52
        .size:           4
        .value_kind:     by_value
      - .offset:         56
        .size:           4
        .value_kind:     hidden_block_count_x
      - .offset:         60
        .size:           4
        .value_kind:     hidden_block_count_y
      - .offset:         64
        .size:           4
        .value_kind:     hidden_block_count_z
      - .offset:         68
        .size:           2
        .value_kind:     hidden_group_size_x
      - .offset:         70
        .size:           2
        .value_kind:     hidden_group_size_y
      - .offset:         72
        .size:           2
        .value_kind:     hidden_group_size_z
      - .offset:         74
        .size:           2
        .value_kind:     hidden_remainder_x
      - .offset:         76
        .size:           2
        .value_kind:     hidden_remainder_y
      - .offset:         78
        .size:           2
        .value_kind:     hidden_remainder_z
      - .offset:         96
        .size:           8
        .value_kind:     hidden_global_offset_x
      - .offset:         104
        .size:           8
        .value_kind:     hidden_global_offset_y
      - .offset:         112
        .size:           8
        .value_kind:     hidden_global_offset_z
      - .offset:         120
        .size:           2
        .value_kind:     hidden_grid_dims
      - .offset:         176
        .size:           4
        .value_kind:     hidden_dynamic_lds_size
    .group_segment_fixed_size: 0
    .kernarg_segment_align: 8
    .kernarg_segment_size: 312
    .language:       OpenCL C
    .language_version:
      - 2
      - 0
    .max_flat_workgroup_size: 512
    .name:           _ZN9rocsolver6v33100L23getf2_npvt_small_kernelILi8E19rocblas_complex_numIdEiiPS3_EEvT1_T3_lS5_lPT2_S5_S5_
    .private_segment_fixed_size: 0
    .sgpr_count:     17
    .sgpr_spill_count: 0
    .symbol:         _ZN9rocsolver6v33100L23getf2_npvt_small_kernelILi8E19rocblas_complex_numIdEiiPS3_EEvT1_T3_lS5_lPT2_S5_S5_.kd
    .uniform_work_group_size: 1
    .uses_dynamic_stack: false
    .vgpr_count:     93
    .vgpr_spill_count: 0
    .wavefront_size: 32
    .workgroup_processor_mode: 1
  - .args:
      - .offset:         0
        .size:           4
        .value_kind:     by_value
      - .address_space:  global
        .offset:         8
        .size:           8
        .value_kind:     global_buffer
      - .offset:         16
        .size:           8
        .value_kind:     by_value
      - .offset:         24
        .size:           4
        .value_kind:     by_value
      - .offset:         32
        .size:           8
        .value_kind:     by_value
      - .address_space:  global
        .offset:         40
        .size:           8
        .value_kind:     global_buffer
      - .offset:         48
        .size:           8
        .value_kind:     by_value
      - .offset:         56
        .size:           8
        .value_kind:     by_value
      - .address_space:  global
        .offset:         64
        .size:           8
        .value_kind:     global_buffer
      - .offset:         72
        .size:           4
        .value_kind:     by_value
      - .offset:         76
        .size:           4
        .value_kind:     by_value
      - .address_space:  global
        .offset:         80
        .size:           8
        .value_kind:     global_buffer
      - .offset:         88
        .size:           8
        .value_kind:     by_value
      - .offset:         96
        .size:           4
        .value_kind:     hidden_block_count_x
      - .offset:         100
        .size:           4
        .value_kind:     hidden_block_count_y
      - .offset:         104
        .size:           4
        .value_kind:     hidden_block_count_z
      - .offset:         108
        .size:           2
        .value_kind:     hidden_group_size_x
      - .offset:         110
        .size:           2
        .value_kind:     hidden_group_size_y
      - .offset:         112
        .size:           2
        .value_kind:     hidden_group_size_z
      - .offset:         114
        .size:           2
        .value_kind:     hidden_remainder_x
      - .offset:         116
        .size:           2
        .value_kind:     hidden_remainder_y
      - .offset:         118
        .size:           2
        .value_kind:     hidden_remainder_z
      - .offset:         136
        .size:           8
        .value_kind:     hidden_global_offset_x
      - .offset:         144
        .size:           8
        .value_kind:     hidden_global_offset_y
      - .offset:         152
        .size:           8
        .value_kind:     hidden_global_offset_z
      - .offset:         160
        .size:           2
        .value_kind:     hidden_grid_dims
      - .offset:         216
        .size:           4
        .value_kind:     hidden_dynamic_lds_size
    .group_segment_fixed_size: 0
    .kernarg_segment_align: 8
    .kernarg_segment_size: 352
    .language:       OpenCL C
    .language_version:
      - 2
      - 0
    .max_flat_workgroup_size: 512
    .name:           _ZN9rocsolver6v33100L18getf2_small_kernelILi9E19rocblas_complex_numIdEiiPS3_EEvT1_T3_lS5_lPS5_llPT2_S5_S5_S7_l
    .private_segment_fixed_size: 0
    .sgpr_count:     20
    .sgpr_spill_count: 0
    .symbol:         _ZN9rocsolver6v33100L18getf2_small_kernelILi9E19rocblas_complex_numIdEiiPS3_EEvT1_T3_lS5_lPS5_llPT2_S5_S5_S7_l.kd
    .uniform_work_group_size: 1
    .uses_dynamic_stack: false
    .vgpr_count:     71
    .vgpr_spill_count: 0
    .wavefront_size: 32
    .workgroup_processor_mode: 1
  - .args:
      - .offset:         0
        .size:           4
        .value_kind:     by_value
      - .address_space:  global
        .offset:         8
        .size:           8
        .value_kind:     global_buffer
      - .offset:         16
        .size:           8
        .value_kind:     by_value
      - .offset:         24
        .size:           4
        .value_kind:     by_value
      - .offset:         32
        .size:           8
        .value_kind:     by_value
      - .address_space:  global
        .offset:         40
        .size:           8
        .value_kind:     global_buffer
      - .offset:         48
        .size:           4
        .value_kind:     by_value
      - .offset:         52
        .size:           4
        .value_kind:     by_value
      - .offset:         56
        .size:           4
        .value_kind:     hidden_block_count_x
      - .offset:         60
        .size:           4
        .value_kind:     hidden_block_count_y
      - .offset:         64
        .size:           4
        .value_kind:     hidden_block_count_z
      - .offset:         68
        .size:           2
        .value_kind:     hidden_group_size_x
      - .offset:         70
        .size:           2
        .value_kind:     hidden_group_size_y
      - .offset:         72
        .size:           2
        .value_kind:     hidden_group_size_z
      - .offset:         74
        .size:           2
        .value_kind:     hidden_remainder_x
      - .offset:         76
        .size:           2
        .value_kind:     hidden_remainder_y
      - .offset:         78
        .size:           2
        .value_kind:     hidden_remainder_z
      - .offset:         96
        .size:           8
        .value_kind:     hidden_global_offset_x
      - .offset:         104
        .size:           8
        .value_kind:     hidden_global_offset_y
      - .offset:         112
        .size:           8
        .value_kind:     hidden_global_offset_z
      - .offset:         120
        .size:           2
        .value_kind:     hidden_grid_dims
      - .offset:         176
        .size:           4
        .value_kind:     hidden_dynamic_lds_size
    .group_segment_fixed_size: 0
    .kernarg_segment_align: 8
    .kernarg_segment_size: 312
    .language:       OpenCL C
    .language_version:
      - 2
      - 0
    .max_flat_workgroup_size: 512
    .name:           _ZN9rocsolver6v33100L23getf2_npvt_small_kernelILi9E19rocblas_complex_numIdEiiPS3_EEvT1_T3_lS5_lPT2_S5_S5_
    .private_segment_fixed_size: 0
    .sgpr_count:     17
    .sgpr_spill_count: 0
    .symbol:         _ZN9rocsolver6v33100L23getf2_npvt_small_kernelILi9E19rocblas_complex_numIdEiiPS3_EEvT1_T3_lS5_lPT2_S5_S5_.kd
    .uniform_work_group_size: 1
    .uses_dynamic_stack: false
    .vgpr_count:     103
    .vgpr_spill_count: 0
    .wavefront_size: 32
    .workgroup_processor_mode: 1
  - .args:
      - .offset:         0
        .size:           4
        .value_kind:     by_value
      - .address_space:  global
        .offset:         8
        .size:           8
        .value_kind:     global_buffer
      - .offset:         16
        .size:           8
        .value_kind:     by_value
      - .offset:         24
        .size:           4
        .value_kind:     by_value
      - .offset:         32
        .size:           8
        .value_kind:     by_value
      - .address_space:  global
        .offset:         40
        .size:           8
        .value_kind:     global_buffer
      - .offset:         48
        .size:           8
        .value_kind:     by_value
      - .offset:         56
        .size:           8
        .value_kind:     by_value
      - .address_space:  global
        .offset:         64
        .size:           8
        .value_kind:     global_buffer
      - .offset:         72
        .size:           4
        .value_kind:     by_value
      - .offset:         76
        .size:           4
        .value_kind:     by_value
      - .address_space:  global
        .offset:         80
        .size:           8
        .value_kind:     global_buffer
      - .offset:         88
        .size:           8
        .value_kind:     by_value
      - .offset:         96
        .size:           4
        .value_kind:     hidden_block_count_x
      - .offset:         100
        .size:           4
        .value_kind:     hidden_block_count_y
      - .offset:         104
        .size:           4
        .value_kind:     hidden_block_count_z
      - .offset:         108
        .size:           2
        .value_kind:     hidden_group_size_x
      - .offset:         110
        .size:           2
        .value_kind:     hidden_group_size_y
      - .offset:         112
        .size:           2
        .value_kind:     hidden_group_size_z
      - .offset:         114
        .size:           2
        .value_kind:     hidden_remainder_x
      - .offset:         116
        .size:           2
        .value_kind:     hidden_remainder_y
      - .offset:         118
        .size:           2
        .value_kind:     hidden_remainder_z
      - .offset:         136
        .size:           8
        .value_kind:     hidden_global_offset_x
      - .offset:         144
        .size:           8
        .value_kind:     hidden_global_offset_y
      - .offset:         152
        .size:           8
        .value_kind:     hidden_global_offset_z
      - .offset:         160
        .size:           2
        .value_kind:     hidden_grid_dims
      - .offset:         216
        .size:           4
        .value_kind:     hidden_dynamic_lds_size
    .group_segment_fixed_size: 0
    .kernarg_segment_align: 8
    .kernarg_segment_size: 352
    .language:       OpenCL C
    .language_version:
      - 2
      - 0
    .max_flat_workgroup_size: 512
    .name:           _ZN9rocsolver6v33100L18getf2_small_kernelILi10E19rocblas_complex_numIdEiiPS3_EEvT1_T3_lS5_lPS5_llPT2_S5_S5_S7_l
    .private_segment_fixed_size: 0
    .sgpr_count:     20
    .sgpr_spill_count: 0
    .symbol:         _ZN9rocsolver6v33100L18getf2_small_kernelILi10E19rocblas_complex_numIdEiiPS3_EEvT1_T3_lS5_lPS5_llPT2_S5_S5_S7_l.kd
    .uniform_work_group_size: 1
    .uses_dynamic_stack: false
    .vgpr_count:     75
    .vgpr_spill_count: 0
    .wavefront_size: 32
    .workgroup_processor_mode: 1
  - .args:
      - .offset:         0
        .size:           4
        .value_kind:     by_value
      - .address_space:  global
        .offset:         8
        .size:           8
        .value_kind:     global_buffer
      - .offset:         16
        .size:           8
        .value_kind:     by_value
      - .offset:         24
        .size:           4
        .value_kind:     by_value
      - .offset:         32
        .size:           8
        .value_kind:     by_value
      - .address_space:  global
        .offset:         40
        .size:           8
        .value_kind:     global_buffer
      - .offset:         48
        .size:           4
        .value_kind:     by_value
      - .offset:         52
        .size:           4
        .value_kind:     by_value
      - .offset:         56
        .size:           4
        .value_kind:     hidden_block_count_x
      - .offset:         60
        .size:           4
        .value_kind:     hidden_block_count_y
      - .offset:         64
        .size:           4
        .value_kind:     hidden_block_count_z
      - .offset:         68
        .size:           2
        .value_kind:     hidden_group_size_x
      - .offset:         70
        .size:           2
        .value_kind:     hidden_group_size_y
      - .offset:         72
        .size:           2
        .value_kind:     hidden_group_size_z
      - .offset:         74
        .size:           2
        .value_kind:     hidden_remainder_x
      - .offset:         76
        .size:           2
        .value_kind:     hidden_remainder_y
      - .offset:         78
        .size:           2
        .value_kind:     hidden_remainder_z
      - .offset:         96
        .size:           8
        .value_kind:     hidden_global_offset_x
      - .offset:         104
        .size:           8
        .value_kind:     hidden_global_offset_y
      - .offset:         112
        .size:           8
        .value_kind:     hidden_global_offset_z
      - .offset:         120
        .size:           2
        .value_kind:     hidden_grid_dims
      - .offset:         176
        .size:           4
        .value_kind:     hidden_dynamic_lds_size
    .group_segment_fixed_size: 0
    .kernarg_segment_align: 8
    .kernarg_segment_size: 312
    .language:       OpenCL C
    .language_version:
      - 2
      - 0
    .max_flat_workgroup_size: 512
    .name:           _ZN9rocsolver6v33100L23getf2_npvt_small_kernelILi10E19rocblas_complex_numIdEiiPS3_EEvT1_T3_lS5_lPT2_S5_S5_
    .private_segment_fixed_size: 0
    .sgpr_count:     17
    .sgpr_spill_count: 0
    .symbol:         _ZN9rocsolver6v33100L23getf2_npvt_small_kernelILi10E19rocblas_complex_numIdEiiPS3_EEvT1_T3_lS5_lPT2_S5_S5_.kd
    .uniform_work_group_size: 1
    .uses_dynamic_stack: false
    .vgpr_count:     112
    .vgpr_spill_count: 0
    .wavefront_size: 32
    .workgroup_processor_mode: 1
  - .args:
      - .offset:         0
        .size:           4
        .value_kind:     by_value
      - .address_space:  global
        .offset:         8
        .size:           8
        .value_kind:     global_buffer
      - .offset:         16
        .size:           8
        .value_kind:     by_value
      - .offset:         24
        .size:           4
        .value_kind:     by_value
      - .offset:         32
        .size:           8
        .value_kind:     by_value
      - .address_space:  global
        .offset:         40
        .size:           8
        .value_kind:     global_buffer
      - .offset:         48
        .size:           8
        .value_kind:     by_value
      - .offset:         56
        .size:           8
        .value_kind:     by_value
      - .address_space:  global
        .offset:         64
        .size:           8
        .value_kind:     global_buffer
      - .offset:         72
        .size:           4
        .value_kind:     by_value
      - .offset:         76
        .size:           4
        .value_kind:     by_value
      - .address_space:  global
        .offset:         80
        .size:           8
        .value_kind:     global_buffer
      - .offset:         88
        .size:           8
        .value_kind:     by_value
      - .offset:         96
        .size:           4
        .value_kind:     hidden_block_count_x
      - .offset:         100
        .size:           4
        .value_kind:     hidden_block_count_y
      - .offset:         104
        .size:           4
        .value_kind:     hidden_block_count_z
      - .offset:         108
        .size:           2
        .value_kind:     hidden_group_size_x
      - .offset:         110
        .size:           2
        .value_kind:     hidden_group_size_y
      - .offset:         112
        .size:           2
        .value_kind:     hidden_group_size_z
      - .offset:         114
        .size:           2
        .value_kind:     hidden_remainder_x
      - .offset:         116
        .size:           2
        .value_kind:     hidden_remainder_y
      - .offset:         118
        .size:           2
        .value_kind:     hidden_remainder_z
      - .offset:         136
        .size:           8
        .value_kind:     hidden_global_offset_x
      - .offset:         144
        .size:           8
        .value_kind:     hidden_global_offset_y
      - .offset:         152
        .size:           8
        .value_kind:     hidden_global_offset_z
      - .offset:         160
        .size:           2
        .value_kind:     hidden_grid_dims
      - .offset:         216
        .size:           4
        .value_kind:     hidden_dynamic_lds_size
    .group_segment_fixed_size: 0
    .kernarg_segment_align: 8
    .kernarg_segment_size: 352
    .language:       OpenCL C
    .language_version:
      - 2
      - 0
    .max_flat_workgroup_size: 512
    .name:           _ZN9rocsolver6v33100L18getf2_small_kernelILi11E19rocblas_complex_numIdEiiPS3_EEvT1_T3_lS5_lPS5_llPT2_S5_S5_S7_l
    .private_segment_fixed_size: 0
    .sgpr_count:     20
    .sgpr_spill_count: 0
    .symbol:         _ZN9rocsolver6v33100L18getf2_small_kernelILi11E19rocblas_complex_numIdEiiPS3_EEvT1_T3_lS5_lPS5_llPT2_S5_S5_S7_l.kd
    .uniform_work_group_size: 1
    .uses_dynamic_stack: false
    .vgpr_count:     72
    .vgpr_spill_count: 0
    .wavefront_size: 32
    .workgroup_processor_mode: 1
  - .args:
      - .offset:         0
        .size:           4
        .value_kind:     by_value
      - .address_space:  global
        .offset:         8
        .size:           8
        .value_kind:     global_buffer
      - .offset:         16
        .size:           8
        .value_kind:     by_value
      - .offset:         24
        .size:           4
        .value_kind:     by_value
      - .offset:         32
        .size:           8
        .value_kind:     by_value
      - .address_space:  global
        .offset:         40
        .size:           8
        .value_kind:     global_buffer
      - .offset:         48
        .size:           4
        .value_kind:     by_value
      - .offset:         52
        .size:           4
        .value_kind:     by_value
      - .offset:         56
        .size:           4
        .value_kind:     hidden_block_count_x
      - .offset:         60
        .size:           4
        .value_kind:     hidden_block_count_y
      - .offset:         64
        .size:           4
        .value_kind:     hidden_block_count_z
      - .offset:         68
        .size:           2
        .value_kind:     hidden_group_size_x
      - .offset:         70
        .size:           2
        .value_kind:     hidden_group_size_y
      - .offset:         72
        .size:           2
        .value_kind:     hidden_group_size_z
      - .offset:         74
        .size:           2
        .value_kind:     hidden_remainder_x
      - .offset:         76
        .size:           2
        .value_kind:     hidden_remainder_y
      - .offset:         78
        .size:           2
        .value_kind:     hidden_remainder_z
      - .offset:         96
        .size:           8
        .value_kind:     hidden_global_offset_x
      - .offset:         104
        .size:           8
        .value_kind:     hidden_global_offset_y
      - .offset:         112
        .size:           8
        .value_kind:     hidden_global_offset_z
      - .offset:         120
        .size:           2
        .value_kind:     hidden_grid_dims
      - .offset:         176
        .size:           4
        .value_kind:     hidden_dynamic_lds_size
    .group_segment_fixed_size: 0
    .kernarg_segment_align: 8
    .kernarg_segment_size: 312
    .language:       OpenCL C
    .language_version:
      - 2
      - 0
    .max_flat_workgroup_size: 512
    .name:           _ZN9rocsolver6v33100L23getf2_npvt_small_kernelILi11E19rocblas_complex_numIdEiiPS3_EEvT1_T3_lS5_lPT2_S5_S5_
    .private_segment_fixed_size: 0
    .sgpr_count:     17
    .sgpr_spill_count: 0
    .symbol:         _ZN9rocsolver6v33100L23getf2_npvt_small_kernelILi11E19rocblas_complex_numIdEiiPS3_EEvT1_T3_lS5_lPT2_S5_S5_.kd
    .uniform_work_group_size: 1
    .uses_dynamic_stack: false
    .vgpr_count:     123
    .vgpr_spill_count: 0
    .wavefront_size: 32
    .workgroup_processor_mode: 1
  - .args:
      - .offset:         0
        .size:           4
        .value_kind:     by_value
      - .address_space:  global
        .offset:         8
        .size:           8
        .value_kind:     global_buffer
      - .offset:         16
        .size:           8
        .value_kind:     by_value
      - .offset:         24
        .size:           4
        .value_kind:     by_value
      - .offset:         32
        .size:           8
        .value_kind:     by_value
      - .address_space:  global
        .offset:         40
        .size:           8
        .value_kind:     global_buffer
      - .offset:         48
        .size:           8
        .value_kind:     by_value
      - .offset:         56
        .size:           8
        .value_kind:     by_value
      - .address_space:  global
        .offset:         64
        .size:           8
        .value_kind:     global_buffer
      - .offset:         72
        .size:           4
        .value_kind:     by_value
      - .offset:         76
        .size:           4
        .value_kind:     by_value
      - .address_space:  global
        .offset:         80
        .size:           8
        .value_kind:     global_buffer
      - .offset:         88
        .size:           8
        .value_kind:     by_value
      - .offset:         96
        .size:           4
        .value_kind:     hidden_block_count_x
      - .offset:         100
        .size:           4
        .value_kind:     hidden_block_count_y
      - .offset:         104
        .size:           4
        .value_kind:     hidden_block_count_z
      - .offset:         108
        .size:           2
        .value_kind:     hidden_group_size_x
      - .offset:         110
        .size:           2
        .value_kind:     hidden_group_size_y
      - .offset:         112
        .size:           2
        .value_kind:     hidden_group_size_z
      - .offset:         114
        .size:           2
        .value_kind:     hidden_remainder_x
      - .offset:         116
        .size:           2
        .value_kind:     hidden_remainder_y
      - .offset:         118
        .size:           2
        .value_kind:     hidden_remainder_z
      - .offset:         136
        .size:           8
        .value_kind:     hidden_global_offset_x
      - .offset:         144
        .size:           8
        .value_kind:     hidden_global_offset_y
      - .offset:         152
        .size:           8
        .value_kind:     hidden_global_offset_z
      - .offset:         160
        .size:           2
        .value_kind:     hidden_grid_dims
      - .offset:         216
        .size:           4
        .value_kind:     hidden_dynamic_lds_size
    .group_segment_fixed_size: 0
    .kernarg_segment_align: 8
    .kernarg_segment_size: 352
    .language:       OpenCL C
    .language_version:
      - 2
      - 0
    .max_flat_workgroup_size: 512
    .name:           _ZN9rocsolver6v33100L18getf2_small_kernelILi12E19rocblas_complex_numIdEiiPS3_EEvT1_T3_lS5_lPS5_llPT2_S5_S5_S7_l
    .private_segment_fixed_size: 0
    .sgpr_count:     21
    .sgpr_spill_count: 0
    .symbol:         _ZN9rocsolver6v33100L18getf2_small_kernelILi12E19rocblas_complex_numIdEiiPS3_EEvT1_T3_lS5_lPS5_llPT2_S5_S5_S7_l.kd
    .uniform_work_group_size: 1
    .uses_dynamic_stack: false
    .vgpr_count:     76
    .vgpr_spill_count: 0
    .wavefront_size: 32
    .workgroup_processor_mode: 1
  - .args:
      - .offset:         0
        .size:           4
        .value_kind:     by_value
      - .address_space:  global
        .offset:         8
        .size:           8
        .value_kind:     global_buffer
      - .offset:         16
        .size:           8
        .value_kind:     by_value
      - .offset:         24
        .size:           4
        .value_kind:     by_value
      - .offset:         32
        .size:           8
        .value_kind:     by_value
      - .address_space:  global
        .offset:         40
        .size:           8
        .value_kind:     global_buffer
      - .offset:         48
        .size:           4
        .value_kind:     by_value
      - .offset:         52
        .size:           4
        .value_kind:     by_value
      - .offset:         56
        .size:           4
        .value_kind:     hidden_block_count_x
      - .offset:         60
        .size:           4
        .value_kind:     hidden_block_count_y
      - .offset:         64
        .size:           4
        .value_kind:     hidden_block_count_z
      - .offset:         68
        .size:           2
        .value_kind:     hidden_group_size_x
      - .offset:         70
        .size:           2
        .value_kind:     hidden_group_size_y
      - .offset:         72
        .size:           2
        .value_kind:     hidden_group_size_z
      - .offset:         74
        .size:           2
        .value_kind:     hidden_remainder_x
      - .offset:         76
        .size:           2
        .value_kind:     hidden_remainder_y
      - .offset:         78
        .size:           2
        .value_kind:     hidden_remainder_z
      - .offset:         96
        .size:           8
        .value_kind:     hidden_global_offset_x
      - .offset:         104
        .size:           8
        .value_kind:     hidden_global_offset_y
      - .offset:         112
        .size:           8
        .value_kind:     hidden_global_offset_z
      - .offset:         120
        .size:           2
        .value_kind:     hidden_grid_dims
      - .offset:         176
        .size:           4
        .value_kind:     hidden_dynamic_lds_size
    .group_segment_fixed_size: 0
    .kernarg_segment_align: 8
    .kernarg_segment_size: 312
    .language:       OpenCL C
    .language_version:
      - 2
      - 0
    .max_flat_workgroup_size: 512
    .name:           _ZN9rocsolver6v33100L23getf2_npvt_small_kernelILi12E19rocblas_complex_numIdEiiPS3_EEvT1_T3_lS5_lPT2_S5_S5_
    .private_segment_fixed_size: 0
    .sgpr_count:     17
    .sgpr_spill_count: 0
    .symbol:         _ZN9rocsolver6v33100L23getf2_npvt_small_kernelILi12E19rocblas_complex_numIdEiiPS3_EEvT1_T3_lS5_lPT2_S5_S5_.kd
    .uniform_work_group_size: 1
    .uses_dynamic_stack: false
    .vgpr_count:     132
    .vgpr_spill_count: 0
    .wavefront_size: 32
    .workgroup_processor_mode: 1
  - .args:
      - .offset:         0
        .size:           4
        .value_kind:     by_value
      - .address_space:  global
        .offset:         8
        .size:           8
        .value_kind:     global_buffer
      - .offset:         16
        .size:           8
        .value_kind:     by_value
      - .offset:         24
        .size:           4
        .value_kind:     by_value
      - .offset:         32
        .size:           8
        .value_kind:     by_value
      - .address_space:  global
        .offset:         40
        .size:           8
        .value_kind:     global_buffer
      - .offset:         48
        .size:           8
        .value_kind:     by_value
      - .offset:         56
        .size:           8
        .value_kind:     by_value
      - .address_space:  global
        .offset:         64
        .size:           8
        .value_kind:     global_buffer
      - .offset:         72
        .size:           4
        .value_kind:     by_value
      - .offset:         76
        .size:           4
        .value_kind:     by_value
      - .address_space:  global
        .offset:         80
        .size:           8
        .value_kind:     global_buffer
      - .offset:         88
        .size:           8
        .value_kind:     by_value
      - .offset:         96
        .size:           4
        .value_kind:     hidden_block_count_x
      - .offset:         100
        .size:           4
        .value_kind:     hidden_block_count_y
      - .offset:         104
        .size:           4
        .value_kind:     hidden_block_count_z
      - .offset:         108
        .size:           2
        .value_kind:     hidden_group_size_x
      - .offset:         110
        .size:           2
        .value_kind:     hidden_group_size_y
      - .offset:         112
        .size:           2
        .value_kind:     hidden_group_size_z
      - .offset:         114
        .size:           2
        .value_kind:     hidden_remainder_x
      - .offset:         116
        .size:           2
        .value_kind:     hidden_remainder_y
      - .offset:         118
        .size:           2
        .value_kind:     hidden_remainder_z
      - .offset:         136
        .size:           8
        .value_kind:     hidden_global_offset_x
      - .offset:         144
        .size:           8
        .value_kind:     hidden_global_offset_y
      - .offset:         152
        .size:           8
        .value_kind:     hidden_global_offset_z
      - .offset:         160
        .size:           2
        .value_kind:     hidden_grid_dims
      - .offset:         216
        .size:           4
        .value_kind:     hidden_dynamic_lds_size
    .group_segment_fixed_size: 0
    .kernarg_segment_align: 8
    .kernarg_segment_size: 352
    .language:       OpenCL C
    .language_version:
      - 2
      - 0
    .max_flat_workgroup_size: 512
    .name:           _ZN9rocsolver6v33100L18getf2_small_kernelILi13E19rocblas_complex_numIdEiiPS3_EEvT1_T3_lS5_lPS5_llPT2_S5_S5_S7_l
    .private_segment_fixed_size: 0
    .sgpr_count:     21
    .sgpr_spill_count: 0
    .symbol:         _ZN9rocsolver6v33100L18getf2_small_kernelILi13E19rocblas_complex_numIdEiiPS3_EEvT1_T3_lS5_lPS5_llPT2_S5_S5_S7_l.kd
    .uniform_work_group_size: 1
    .uses_dynamic_stack: false
    .vgpr_count:     87
    .vgpr_spill_count: 0
    .wavefront_size: 32
    .workgroup_processor_mode: 1
  - .args:
      - .offset:         0
        .size:           4
        .value_kind:     by_value
      - .address_space:  global
        .offset:         8
        .size:           8
        .value_kind:     global_buffer
      - .offset:         16
        .size:           8
        .value_kind:     by_value
      - .offset:         24
        .size:           4
        .value_kind:     by_value
      - .offset:         32
        .size:           8
        .value_kind:     by_value
      - .address_space:  global
        .offset:         40
        .size:           8
        .value_kind:     global_buffer
      - .offset:         48
        .size:           4
        .value_kind:     by_value
      - .offset:         52
        .size:           4
        .value_kind:     by_value
      - .offset:         56
        .size:           4
        .value_kind:     hidden_block_count_x
      - .offset:         60
        .size:           4
        .value_kind:     hidden_block_count_y
      - .offset:         64
        .size:           4
        .value_kind:     hidden_block_count_z
      - .offset:         68
        .size:           2
        .value_kind:     hidden_group_size_x
      - .offset:         70
        .size:           2
        .value_kind:     hidden_group_size_y
      - .offset:         72
        .size:           2
        .value_kind:     hidden_group_size_z
      - .offset:         74
        .size:           2
        .value_kind:     hidden_remainder_x
      - .offset:         76
        .size:           2
        .value_kind:     hidden_remainder_y
      - .offset:         78
        .size:           2
        .value_kind:     hidden_remainder_z
      - .offset:         96
        .size:           8
        .value_kind:     hidden_global_offset_x
      - .offset:         104
        .size:           8
        .value_kind:     hidden_global_offset_y
      - .offset:         112
        .size:           8
        .value_kind:     hidden_global_offset_z
      - .offset:         120
        .size:           2
        .value_kind:     hidden_grid_dims
      - .offset:         176
        .size:           4
        .value_kind:     hidden_dynamic_lds_size
    .group_segment_fixed_size: 0
    .kernarg_segment_align: 8
    .kernarg_segment_size: 312
    .language:       OpenCL C
    .language_version:
      - 2
      - 0
    .max_flat_workgroup_size: 512
    .name:           _ZN9rocsolver6v33100L23getf2_npvt_small_kernelILi13E19rocblas_complex_numIdEiiPS3_EEvT1_T3_lS5_lPT2_S5_S5_
    .private_segment_fixed_size: 0
    .sgpr_count:     17
    .sgpr_spill_count: 0
    .symbol:         _ZN9rocsolver6v33100L23getf2_npvt_small_kernelILi13E19rocblas_complex_numIdEiiPS3_EEvT1_T3_lS5_lPT2_S5_S5_.kd
    .uniform_work_group_size: 1
    .uses_dynamic_stack: false
    .vgpr_count:     142
    .vgpr_spill_count: 0
    .wavefront_size: 32
    .workgroup_processor_mode: 1
  - .args:
      - .offset:         0
        .size:           4
        .value_kind:     by_value
      - .address_space:  global
        .offset:         8
        .size:           8
        .value_kind:     global_buffer
      - .offset:         16
        .size:           8
        .value_kind:     by_value
      - .offset:         24
        .size:           4
        .value_kind:     by_value
      - .offset:         32
        .size:           8
        .value_kind:     by_value
      - .address_space:  global
        .offset:         40
        .size:           8
        .value_kind:     global_buffer
      - .offset:         48
        .size:           8
        .value_kind:     by_value
      - .offset:         56
        .size:           8
        .value_kind:     by_value
      - .address_space:  global
        .offset:         64
        .size:           8
        .value_kind:     global_buffer
      - .offset:         72
        .size:           4
        .value_kind:     by_value
      - .offset:         76
        .size:           4
        .value_kind:     by_value
      - .address_space:  global
        .offset:         80
        .size:           8
        .value_kind:     global_buffer
      - .offset:         88
        .size:           8
        .value_kind:     by_value
      - .offset:         96
        .size:           4
        .value_kind:     hidden_block_count_x
      - .offset:         100
        .size:           4
        .value_kind:     hidden_block_count_y
      - .offset:         104
        .size:           4
        .value_kind:     hidden_block_count_z
      - .offset:         108
        .size:           2
        .value_kind:     hidden_group_size_x
      - .offset:         110
        .size:           2
        .value_kind:     hidden_group_size_y
      - .offset:         112
        .size:           2
        .value_kind:     hidden_group_size_z
      - .offset:         114
        .size:           2
        .value_kind:     hidden_remainder_x
      - .offset:         116
        .size:           2
        .value_kind:     hidden_remainder_y
      - .offset:         118
        .size:           2
        .value_kind:     hidden_remainder_z
      - .offset:         136
        .size:           8
        .value_kind:     hidden_global_offset_x
      - .offset:         144
        .size:           8
        .value_kind:     hidden_global_offset_y
      - .offset:         152
        .size:           8
        .value_kind:     hidden_global_offset_z
      - .offset:         160
        .size:           2
        .value_kind:     hidden_grid_dims
      - .offset:         216
        .size:           4
        .value_kind:     hidden_dynamic_lds_size
    .group_segment_fixed_size: 0
    .kernarg_segment_align: 8
    .kernarg_segment_size: 352
    .language:       OpenCL C
    .language_version:
      - 2
      - 0
    .max_flat_workgroup_size: 512
    .name:           _ZN9rocsolver6v33100L18getf2_small_kernelILi14E19rocblas_complex_numIdEiiPS3_EEvT1_T3_lS5_lPS5_llPT2_S5_S5_S7_l
    .private_segment_fixed_size: 0
    .sgpr_count:     21
    .sgpr_spill_count: 0
    .symbol:         _ZN9rocsolver6v33100L18getf2_small_kernelILi14E19rocblas_complex_numIdEiiPS3_EEvT1_T3_lS5_lPS5_llPT2_S5_S5_S7_l.kd
    .uniform_work_group_size: 1
    .uses_dynamic_stack: false
    .vgpr_count:     91
    .vgpr_spill_count: 0
    .wavefront_size: 32
    .workgroup_processor_mode: 1
  - .args:
      - .offset:         0
        .size:           4
        .value_kind:     by_value
      - .address_space:  global
        .offset:         8
        .size:           8
        .value_kind:     global_buffer
      - .offset:         16
        .size:           8
        .value_kind:     by_value
      - .offset:         24
        .size:           4
        .value_kind:     by_value
      - .offset:         32
        .size:           8
        .value_kind:     by_value
      - .address_space:  global
        .offset:         40
        .size:           8
        .value_kind:     global_buffer
      - .offset:         48
        .size:           4
        .value_kind:     by_value
      - .offset:         52
        .size:           4
        .value_kind:     by_value
      - .offset:         56
        .size:           4
        .value_kind:     hidden_block_count_x
      - .offset:         60
        .size:           4
        .value_kind:     hidden_block_count_y
      - .offset:         64
        .size:           4
        .value_kind:     hidden_block_count_z
      - .offset:         68
        .size:           2
        .value_kind:     hidden_group_size_x
      - .offset:         70
        .size:           2
        .value_kind:     hidden_group_size_y
      - .offset:         72
        .size:           2
        .value_kind:     hidden_group_size_z
      - .offset:         74
        .size:           2
        .value_kind:     hidden_remainder_x
      - .offset:         76
        .size:           2
        .value_kind:     hidden_remainder_y
      - .offset:         78
        .size:           2
        .value_kind:     hidden_remainder_z
      - .offset:         96
        .size:           8
        .value_kind:     hidden_global_offset_x
      - .offset:         104
        .size:           8
        .value_kind:     hidden_global_offset_y
      - .offset:         112
        .size:           8
        .value_kind:     hidden_global_offset_z
      - .offset:         120
        .size:           2
        .value_kind:     hidden_grid_dims
      - .offset:         176
        .size:           4
        .value_kind:     hidden_dynamic_lds_size
    .group_segment_fixed_size: 0
    .kernarg_segment_align: 8
    .kernarg_segment_size: 312
    .language:       OpenCL C
    .language_version:
      - 2
      - 0
    .max_flat_workgroup_size: 512
    .name:           _ZN9rocsolver6v33100L23getf2_npvt_small_kernelILi14E19rocblas_complex_numIdEiiPS3_EEvT1_T3_lS5_lPT2_S5_S5_
    .private_segment_fixed_size: 0
    .sgpr_count:     17
    .sgpr_spill_count: 0
    .symbol:         _ZN9rocsolver6v33100L23getf2_npvt_small_kernelILi14E19rocblas_complex_numIdEiiPS3_EEvT1_T3_lS5_lPT2_S5_S5_.kd
    .uniform_work_group_size: 1
    .uses_dynamic_stack: false
    .vgpr_count:     197
    .vgpr_spill_count: 0
    .wavefront_size: 32
    .workgroup_processor_mode: 1
  - .args:
      - .offset:         0
        .size:           4
        .value_kind:     by_value
      - .address_space:  global
        .offset:         8
        .size:           8
        .value_kind:     global_buffer
      - .offset:         16
        .size:           8
        .value_kind:     by_value
      - .offset:         24
        .size:           4
        .value_kind:     by_value
      - .offset:         32
        .size:           8
        .value_kind:     by_value
      - .address_space:  global
        .offset:         40
        .size:           8
        .value_kind:     global_buffer
      - .offset:         48
        .size:           8
        .value_kind:     by_value
      - .offset:         56
        .size:           8
        .value_kind:     by_value
      - .address_space:  global
        .offset:         64
        .size:           8
        .value_kind:     global_buffer
      - .offset:         72
        .size:           4
        .value_kind:     by_value
      - .offset:         76
        .size:           4
        .value_kind:     by_value
      - .address_space:  global
        .offset:         80
        .size:           8
        .value_kind:     global_buffer
      - .offset:         88
        .size:           8
        .value_kind:     by_value
      - .offset:         96
        .size:           4
        .value_kind:     hidden_block_count_x
      - .offset:         100
        .size:           4
        .value_kind:     hidden_block_count_y
      - .offset:         104
        .size:           4
        .value_kind:     hidden_block_count_z
      - .offset:         108
        .size:           2
        .value_kind:     hidden_group_size_x
      - .offset:         110
        .size:           2
        .value_kind:     hidden_group_size_y
      - .offset:         112
        .size:           2
        .value_kind:     hidden_group_size_z
      - .offset:         114
        .size:           2
        .value_kind:     hidden_remainder_x
      - .offset:         116
        .size:           2
        .value_kind:     hidden_remainder_y
      - .offset:         118
        .size:           2
        .value_kind:     hidden_remainder_z
      - .offset:         136
        .size:           8
        .value_kind:     hidden_global_offset_x
      - .offset:         144
        .size:           8
        .value_kind:     hidden_global_offset_y
      - .offset:         152
        .size:           8
        .value_kind:     hidden_global_offset_z
      - .offset:         160
        .size:           2
        .value_kind:     hidden_grid_dims
      - .offset:         216
        .size:           4
        .value_kind:     hidden_dynamic_lds_size
    .group_segment_fixed_size: 0
    .kernarg_segment_align: 8
    .kernarg_segment_size: 352
    .language:       OpenCL C
    .language_version:
      - 2
      - 0
    .max_flat_workgroup_size: 512
    .name:           _ZN9rocsolver6v33100L18getf2_small_kernelILi15E19rocblas_complex_numIdEiiPS3_EEvT1_T3_lS5_lPS5_llPT2_S5_S5_S7_l
    .private_segment_fixed_size: 0
    .sgpr_count:     21
    .sgpr_spill_count: 0
    .symbol:         _ZN9rocsolver6v33100L18getf2_small_kernelILi15E19rocblas_complex_numIdEiiPS3_EEvT1_T3_lS5_lPS5_llPT2_S5_S5_S7_l.kd
    .uniform_work_group_size: 1
    .uses_dynamic_stack: false
    .vgpr_count:     88
    .vgpr_spill_count: 0
    .wavefront_size: 32
    .workgroup_processor_mode: 1
  - .args:
      - .offset:         0
        .size:           4
        .value_kind:     by_value
      - .address_space:  global
        .offset:         8
        .size:           8
        .value_kind:     global_buffer
      - .offset:         16
        .size:           8
        .value_kind:     by_value
      - .offset:         24
        .size:           4
        .value_kind:     by_value
      - .offset:         32
        .size:           8
        .value_kind:     by_value
      - .address_space:  global
        .offset:         40
        .size:           8
        .value_kind:     global_buffer
      - .offset:         48
        .size:           4
        .value_kind:     by_value
      - .offset:         52
        .size:           4
        .value_kind:     by_value
      - .offset:         56
        .size:           4
        .value_kind:     hidden_block_count_x
      - .offset:         60
        .size:           4
        .value_kind:     hidden_block_count_y
      - .offset:         64
        .size:           4
        .value_kind:     hidden_block_count_z
      - .offset:         68
        .size:           2
        .value_kind:     hidden_group_size_x
      - .offset:         70
        .size:           2
        .value_kind:     hidden_group_size_y
      - .offset:         72
        .size:           2
        .value_kind:     hidden_group_size_z
      - .offset:         74
        .size:           2
        .value_kind:     hidden_remainder_x
      - .offset:         76
        .size:           2
        .value_kind:     hidden_remainder_y
      - .offset:         78
        .size:           2
        .value_kind:     hidden_remainder_z
      - .offset:         96
        .size:           8
        .value_kind:     hidden_global_offset_x
      - .offset:         104
        .size:           8
        .value_kind:     hidden_global_offset_y
      - .offset:         112
        .size:           8
        .value_kind:     hidden_global_offset_z
      - .offset:         120
        .size:           2
        .value_kind:     hidden_grid_dims
      - .offset:         176
        .size:           4
        .value_kind:     hidden_dynamic_lds_size
    .group_segment_fixed_size: 0
    .kernarg_segment_align: 8
    .kernarg_segment_size: 312
    .language:       OpenCL C
    .language_version:
      - 2
      - 0
    .max_flat_workgroup_size: 512
    .name:           _ZN9rocsolver6v33100L23getf2_npvt_small_kernelILi15E19rocblas_complex_numIdEiiPS3_EEvT1_T3_lS5_lPT2_S5_S5_
    .private_segment_fixed_size: 0
    .sgpr_count:     17
    .sgpr_spill_count: 0
    .symbol:         _ZN9rocsolver6v33100L23getf2_npvt_small_kernelILi15E19rocblas_complex_numIdEiiPS3_EEvT1_T3_lS5_lPT2_S5_S5_.kd
    .uniform_work_group_size: 1
    .uses_dynamic_stack: false
    .vgpr_count:     211
    .vgpr_spill_count: 0
    .wavefront_size: 32
    .workgroup_processor_mode: 1
  - .args:
      - .offset:         0
        .size:           4
        .value_kind:     by_value
      - .address_space:  global
        .offset:         8
        .size:           8
        .value_kind:     global_buffer
      - .offset:         16
        .size:           8
        .value_kind:     by_value
      - .offset:         24
        .size:           4
        .value_kind:     by_value
      - .offset:         32
        .size:           8
        .value_kind:     by_value
      - .address_space:  global
        .offset:         40
        .size:           8
        .value_kind:     global_buffer
      - .offset:         48
        .size:           8
        .value_kind:     by_value
      - .offset:         56
        .size:           8
        .value_kind:     by_value
      - .address_space:  global
        .offset:         64
        .size:           8
        .value_kind:     global_buffer
      - .offset:         72
        .size:           4
        .value_kind:     by_value
      - .offset:         76
        .size:           4
        .value_kind:     by_value
      - .address_space:  global
        .offset:         80
        .size:           8
        .value_kind:     global_buffer
      - .offset:         88
        .size:           8
        .value_kind:     by_value
      - .offset:         96
        .size:           4
        .value_kind:     hidden_block_count_x
      - .offset:         100
        .size:           4
        .value_kind:     hidden_block_count_y
      - .offset:         104
        .size:           4
        .value_kind:     hidden_block_count_z
      - .offset:         108
        .size:           2
        .value_kind:     hidden_group_size_x
      - .offset:         110
        .size:           2
        .value_kind:     hidden_group_size_y
      - .offset:         112
        .size:           2
        .value_kind:     hidden_group_size_z
      - .offset:         114
        .size:           2
        .value_kind:     hidden_remainder_x
      - .offset:         116
        .size:           2
        .value_kind:     hidden_remainder_y
      - .offset:         118
        .size:           2
        .value_kind:     hidden_remainder_z
      - .offset:         136
        .size:           8
        .value_kind:     hidden_global_offset_x
      - .offset:         144
        .size:           8
        .value_kind:     hidden_global_offset_y
      - .offset:         152
        .size:           8
        .value_kind:     hidden_global_offset_z
      - .offset:         160
        .size:           2
        .value_kind:     hidden_grid_dims
      - .offset:         216
        .size:           4
        .value_kind:     hidden_dynamic_lds_size
    .group_segment_fixed_size: 0
    .kernarg_segment_align: 8
    .kernarg_segment_size: 352
    .language:       OpenCL C
    .language_version:
      - 2
      - 0
    .max_flat_workgroup_size: 512
    .name:           _ZN9rocsolver6v33100L18getf2_small_kernelILi16E19rocblas_complex_numIdEiiPS3_EEvT1_T3_lS5_lPS5_llPT2_S5_S5_S7_l
    .private_segment_fixed_size: 0
    .sgpr_count:     21
    .sgpr_spill_count: 0
    .symbol:         _ZN9rocsolver6v33100L18getf2_small_kernelILi16E19rocblas_complex_numIdEiiPS3_EEvT1_T3_lS5_lPS5_llPT2_S5_S5_S7_l.kd
    .uniform_work_group_size: 1
    .uses_dynamic_stack: false
    .vgpr_count:     92
    .vgpr_spill_count: 0
    .wavefront_size: 32
    .workgroup_processor_mode: 1
  - .args:
      - .offset:         0
        .size:           4
        .value_kind:     by_value
      - .address_space:  global
        .offset:         8
        .size:           8
        .value_kind:     global_buffer
      - .offset:         16
        .size:           8
        .value_kind:     by_value
      - .offset:         24
        .size:           4
        .value_kind:     by_value
      - .offset:         32
        .size:           8
        .value_kind:     by_value
      - .address_space:  global
        .offset:         40
        .size:           8
        .value_kind:     global_buffer
      - .offset:         48
        .size:           4
        .value_kind:     by_value
      - .offset:         52
        .size:           4
        .value_kind:     by_value
      - .offset:         56
        .size:           4
        .value_kind:     hidden_block_count_x
      - .offset:         60
        .size:           4
        .value_kind:     hidden_block_count_y
      - .offset:         64
        .size:           4
        .value_kind:     hidden_block_count_z
      - .offset:         68
        .size:           2
        .value_kind:     hidden_group_size_x
      - .offset:         70
        .size:           2
        .value_kind:     hidden_group_size_y
      - .offset:         72
        .size:           2
        .value_kind:     hidden_group_size_z
      - .offset:         74
        .size:           2
        .value_kind:     hidden_remainder_x
      - .offset:         76
        .size:           2
        .value_kind:     hidden_remainder_y
      - .offset:         78
        .size:           2
        .value_kind:     hidden_remainder_z
      - .offset:         96
        .size:           8
        .value_kind:     hidden_global_offset_x
      - .offset:         104
        .size:           8
        .value_kind:     hidden_global_offset_y
      - .offset:         112
        .size:           8
        .value_kind:     hidden_global_offset_z
      - .offset:         120
        .size:           2
        .value_kind:     hidden_grid_dims
      - .offset:         176
        .size:           4
        .value_kind:     hidden_dynamic_lds_size
    .group_segment_fixed_size: 0
    .kernarg_segment_align: 8
    .kernarg_segment_size: 312
    .language:       OpenCL C
    .language_version:
      - 2
      - 0
    .max_flat_workgroup_size: 512
    .name:           _ZN9rocsolver6v33100L23getf2_npvt_small_kernelILi16E19rocblas_complex_numIdEiiPS3_EEvT1_T3_lS5_lPT2_S5_S5_
    .private_segment_fixed_size: 0
    .sgpr_count:     17
    .sgpr_spill_count: 0
    .symbol:         _ZN9rocsolver6v33100L23getf2_npvt_small_kernelILi16E19rocblas_complex_numIdEiiPS3_EEvT1_T3_lS5_lPT2_S5_S5_.kd
    .uniform_work_group_size: 1
    .uses_dynamic_stack: false
    .vgpr_count:     225
    .vgpr_spill_count: 0
    .wavefront_size: 32
    .workgroup_processor_mode: 1
  - .args:
      - .offset:         0
        .size:           4
        .value_kind:     by_value
      - .address_space:  global
        .offset:         8
        .size:           8
        .value_kind:     global_buffer
      - .offset:         16
        .size:           8
        .value_kind:     by_value
      - .offset:         24
        .size:           4
        .value_kind:     by_value
      - .offset:         32
        .size:           8
        .value_kind:     by_value
      - .address_space:  global
        .offset:         40
        .size:           8
        .value_kind:     global_buffer
      - .offset:         48
        .size:           8
        .value_kind:     by_value
      - .offset:         56
        .size:           8
        .value_kind:     by_value
      - .address_space:  global
        .offset:         64
        .size:           8
        .value_kind:     global_buffer
      - .offset:         72
        .size:           4
        .value_kind:     by_value
      - .offset:         76
        .size:           4
        .value_kind:     by_value
      - .address_space:  global
        .offset:         80
        .size:           8
        .value_kind:     global_buffer
      - .offset:         88
        .size:           8
        .value_kind:     by_value
      - .offset:         96
        .size:           4
        .value_kind:     hidden_block_count_x
      - .offset:         100
        .size:           4
        .value_kind:     hidden_block_count_y
      - .offset:         104
        .size:           4
        .value_kind:     hidden_block_count_z
      - .offset:         108
        .size:           2
        .value_kind:     hidden_group_size_x
      - .offset:         110
        .size:           2
        .value_kind:     hidden_group_size_y
      - .offset:         112
        .size:           2
        .value_kind:     hidden_group_size_z
      - .offset:         114
        .size:           2
        .value_kind:     hidden_remainder_x
      - .offset:         116
        .size:           2
        .value_kind:     hidden_remainder_y
      - .offset:         118
        .size:           2
        .value_kind:     hidden_remainder_z
      - .offset:         136
        .size:           8
        .value_kind:     hidden_global_offset_x
      - .offset:         144
        .size:           8
        .value_kind:     hidden_global_offset_y
      - .offset:         152
        .size:           8
        .value_kind:     hidden_global_offset_z
      - .offset:         160
        .size:           2
        .value_kind:     hidden_grid_dims
      - .offset:         216
        .size:           4
        .value_kind:     hidden_dynamic_lds_size
    .group_segment_fixed_size: 0
    .kernarg_segment_align: 8
    .kernarg_segment_size: 352
    .language:       OpenCL C
    .language_version:
      - 2
      - 0
    .max_flat_workgroup_size: 512
    .name:           _ZN9rocsolver6v33100L18getf2_small_kernelILi17E19rocblas_complex_numIdEiiPS3_EEvT1_T3_lS5_lPS5_llPT2_S5_S5_S7_l
    .private_segment_fixed_size: 0
    .sgpr_count:     21
    .sgpr_spill_count: 0
    .symbol:         _ZN9rocsolver6v33100L18getf2_small_kernelILi17E19rocblas_complex_numIdEiiPS3_EEvT1_T3_lS5_lPS5_llPT2_S5_S5_S7_l.kd
    .uniform_work_group_size: 1
    .uses_dynamic_stack: false
    .vgpr_count:     103
    .vgpr_spill_count: 0
    .wavefront_size: 32
    .workgroup_processor_mode: 1
  - .args:
      - .offset:         0
        .size:           4
        .value_kind:     by_value
      - .address_space:  global
        .offset:         8
        .size:           8
        .value_kind:     global_buffer
      - .offset:         16
        .size:           8
        .value_kind:     by_value
      - .offset:         24
        .size:           4
        .value_kind:     by_value
      - .offset:         32
        .size:           8
        .value_kind:     by_value
      - .address_space:  global
        .offset:         40
        .size:           8
        .value_kind:     global_buffer
      - .offset:         48
        .size:           4
        .value_kind:     by_value
      - .offset:         52
        .size:           4
        .value_kind:     by_value
      - .offset:         56
        .size:           4
        .value_kind:     hidden_block_count_x
      - .offset:         60
        .size:           4
        .value_kind:     hidden_block_count_y
      - .offset:         64
        .size:           4
        .value_kind:     hidden_block_count_z
      - .offset:         68
        .size:           2
        .value_kind:     hidden_group_size_x
      - .offset:         70
        .size:           2
        .value_kind:     hidden_group_size_y
      - .offset:         72
        .size:           2
        .value_kind:     hidden_group_size_z
      - .offset:         74
        .size:           2
        .value_kind:     hidden_remainder_x
      - .offset:         76
        .size:           2
        .value_kind:     hidden_remainder_y
      - .offset:         78
        .size:           2
        .value_kind:     hidden_remainder_z
      - .offset:         96
        .size:           8
        .value_kind:     hidden_global_offset_x
      - .offset:         104
        .size:           8
        .value_kind:     hidden_global_offset_y
      - .offset:         112
        .size:           8
        .value_kind:     hidden_global_offset_z
      - .offset:         120
        .size:           2
        .value_kind:     hidden_grid_dims
      - .offset:         176
        .size:           4
        .value_kind:     hidden_dynamic_lds_size
    .group_segment_fixed_size: 0
    .kernarg_segment_align: 8
    .kernarg_segment_size: 312
    .language:       OpenCL C
    .language_version:
      - 2
      - 0
    .max_flat_workgroup_size: 512
    .name:           _ZN9rocsolver6v33100L23getf2_npvt_small_kernelILi17E19rocblas_complex_numIdEiiPS3_EEvT1_T3_lS5_lPT2_S5_S5_
    .private_segment_fixed_size: 0
    .sgpr_count:     17
    .sgpr_spill_count: 0
    .symbol:         _ZN9rocsolver6v33100L23getf2_npvt_small_kernelILi17E19rocblas_complex_numIdEiiPS3_EEvT1_T3_lS5_lPT2_S5_S5_.kd
    .uniform_work_group_size: 1
    .uses_dynamic_stack: false
    .vgpr_count:     239
    .vgpr_spill_count: 0
    .wavefront_size: 32
    .workgroup_processor_mode: 1
  - .args:
      - .offset:         0
        .size:           4
        .value_kind:     by_value
      - .address_space:  global
        .offset:         8
        .size:           8
        .value_kind:     global_buffer
      - .offset:         16
        .size:           8
        .value_kind:     by_value
      - .offset:         24
        .size:           4
        .value_kind:     by_value
      - .offset:         32
        .size:           8
        .value_kind:     by_value
      - .address_space:  global
        .offset:         40
        .size:           8
        .value_kind:     global_buffer
      - .offset:         48
        .size:           8
        .value_kind:     by_value
      - .offset:         56
        .size:           8
        .value_kind:     by_value
      - .address_space:  global
        .offset:         64
        .size:           8
        .value_kind:     global_buffer
      - .offset:         72
        .size:           4
        .value_kind:     by_value
      - .offset:         76
        .size:           4
        .value_kind:     by_value
      - .address_space:  global
        .offset:         80
        .size:           8
        .value_kind:     global_buffer
      - .offset:         88
        .size:           8
        .value_kind:     by_value
      - .offset:         96
        .size:           4
        .value_kind:     hidden_block_count_x
      - .offset:         100
        .size:           4
        .value_kind:     hidden_block_count_y
      - .offset:         104
        .size:           4
        .value_kind:     hidden_block_count_z
      - .offset:         108
        .size:           2
        .value_kind:     hidden_group_size_x
      - .offset:         110
        .size:           2
        .value_kind:     hidden_group_size_y
      - .offset:         112
        .size:           2
        .value_kind:     hidden_group_size_z
      - .offset:         114
        .size:           2
        .value_kind:     hidden_remainder_x
      - .offset:         116
        .size:           2
        .value_kind:     hidden_remainder_y
      - .offset:         118
        .size:           2
        .value_kind:     hidden_remainder_z
      - .offset:         136
        .size:           8
        .value_kind:     hidden_global_offset_x
      - .offset:         144
        .size:           8
        .value_kind:     hidden_global_offset_y
      - .offset:         152
        .size:           8
        .value_kind:     hidden_global_offset_z
      - .offset:         160
        .size:           2
        .value_kind:     hidden_grid_dims
      - .offset:         216
        .size:           4
        .value_kind:     hidden_dynamic_lds_size
    .group_segment_fixed_size: 0
    .kernarg_segment_align: 8
    .kernarg_segment_size: 352
    .language:       OpenCL C
    .language_version:
      - 2
      - 0
    .max_flat_workgroup_size: 512
    .name:           _ZN9rocsolver6v33100L18getf2_small_kernelILi18E19rocblas_complex_numIdEiiPS3_EEvT1_T3_lS5_lPS5_llPT2_S5_S5_S7_l
    .private_segment_fixed_size: 0
    .sgpr_count:     21
    .sgpr_spill_count: 0
    .symbol:         _ZN9rocsolver6v33100L18getf2_small_kernelILi18E19rocblas_complex_numIdEiiPS3_EEvT1_T3_lS5_lPS5_llPT2_S5_S5_S7_l.kd
    .uniform_work_group_size: 1
    .uses_dynamic_stack: false
    .vgpr_count:     107
    .vgpr_spill_count: 0
    .wavefront_size: 32
    .workgroup_processor_mode: 1
  - .args:
      - .offset:         0
        .size:           4
        .value_kind:     by_value
      - .address_space:  global
        .offset:         8
        .size:           8
        .value_kind:     global_buffer
      - .offset:         16
        .size:           8
        .value_kind:     by_value
      - .offset:         24
        .size:           4
        .value_kind:     by_value
      - .offset:         32
        .size:           8
        .value_kind:     by_value
      - .address_space:  global
        .offset:         40
        .size:           8
        .value_kind:     global_buffer
      - .offset:         48
        .size:           4
        .value_kind:     by_value
      - .offset:         52
        .size:           4
        .value_kind:     by_value
      - .offset:         56
        .size:           4
        .value_kind:     hidden_block_count_x
      - .offset:         60
        .size:           4
        .value_kind:     hidden_block_count_y
      - .offset:         64
        .size:           4
        .value_kind:     hidden_block_count_z
      - .offset:         68
        .size:           2
        .value_kind:     hidden_group_size_x
      - .offset:         70
        .size:           2
        .value_kind:     hidden_group_size_y
      - .offset:         72
        .size:           2
        .value_kind:     hidden_group_size_z
      - .offset:         74
        .size:           2
        .value_kind:     hidden_remainder_x
      - .offset:         76
        .size:           2
        .value_kind:     hidden_remainder_y
      - .offset:         78
        .size:           2
        .value_kind:     hidden_remainder_z
      - .offset:         96
        .size:           8
        .value_kind:     hidden_global_offset_x
      - .offset:         104
        .size:           8
        .value_kind:     hidden_global_offset_y
      - .offset:         112
        .size:           8
        .value_kind:     hidden_global_offset_z
      - .offset:         120
        .size:           2
        .value_kind:     hidden_grid_dims
      - .offset:         176
        .size:           4
        .value_kind:     hidden_dynamic_lds_size
    .group_segment_fixed_size: 0
    .kernarg_segment_align: 8
    .kernarg_segment_size: 312
    .language:       OpenCL C
    .language_version:
      - 2
      - 0
    .max_flat_workgroup_size: 512
    .name:           _ZN9rocsolver6v33100L23getf2_npvt_small_kernelILi18E19rocblas_complex_numIdEiiPS3_EEvT1_T3_lS5_lPT2_S5_S5_
    .private_segment_fixed_size: 0
    .sgpr_count:     17
    .sgpr_spill_count: 0
    .symbol:         _ZN9rocsolver6v33100L23getf2_npvt_small_kernelILi18E19rocblas_complex_numIdEiiPS3_EEvT1_T3_lS5_lPT2_S5_S5_.kd
    .uniform_work_group_size: 1
    .uses_dynamic_stack: false
    .vgpr_count:     253
    .vgpr_spill_count: 0
    .wavefront_size: 32
    .workgroup_processor_mode: 1
  - .args:
      - .offset:         0
        .size:           4
        .value_kind:     by_value
      - .address_space:  global
        .offset:         8
        .size:           8
        .value_kind:     global_buffer
      - .offset:         16
        .size:           8
        .value_kind:     by_value
      - .offset:         24
        .size:           4
        .value_kind:     by_value
      - .offset:         32
        .size:           8
        .value_kind:     by_value
      - .address_space:  global
        .offset:         40
        .size:           8
        .value_kind:     global_buffer
      - .offset:         48
        .size:           8
        .value_kind:     by_value
      - .offset:         56
        .size:           8
        .value_kind:     by_value
      - .address_space:  global
        .offset:         64
        .size:           8
        .value_kind:     global_buffer
      - .offset:         72
        .size:           4
        .value_kind:     by_value
      - .offset:         76
        .size:           4
        .value_kind:     by_value
      - .address_space:  global
        .offset:         80
        .size:           8
        .value_kind:     global_buffer
      - .offset:         88
        .size:           8
        .value_kind:     by_value
      - .offset:         96
        .size:           4
        .value_kind:     hidden_block_count_x
      - .offset:         100
        .size:           4
        .value_kind:     hidden_block_count_y
      - .offset:         104
        .size:           4
        .value_kind:     hidden_block_count_z
      - .offset:         108
        .size:           2
        .value_kind:     hidden_group_size_x
      - .offset:         110
        .size:           2
        .value_kind:     hidden_group_size_y
      - .offset:         112
        .size:           2
        .value_kind:     hidden_group_size_z
      - .offset:         114
        .size:           2
        .value_kind:     hidden_remainder_x
      - .offset:         116
        .size:           2
        .value_kind:     hidden_remainder_y
      - .offset:         118
        .size:           2
        .value_kind:     hidden_remainder_z
      - .offset:         136
        .size:           8
        .value_kind:     hidden_global_offset_x
      - .offset:         144
        .size:           8
        .value_kind:     hidden_global_offset_y
      - .offset:         152
        .size:           8
        .value_kind:     hidden_global_offset_z
      - .offset:         160
        .size:           2
        .value_kind:     hidden_grid_dims
      - .offset:         216
        .size:           4
        .value_kind:     hidden_dynamic_lds_size
    .group_segment_fixed_size: 0
    .kernarg_segment_align: 8
    .kernarg_segment_size: 352
    .language:       OpenCL C
    .language_version:
      - 2
      - 0
    .max_flat_workgroup_size: 512
    .name:           _ZN9rocsolver6v33100L18getf2_small_kernelILi19E19rocblas_complex_numIdEiiPS3_EEvT1_T3_lS5_lPS5_llPT2_S5_S5_S7_l
    .private_segment_fixed_size: 0
    .sgpr_count:     21
    .sgpr_spill_count: 0
    .symbol:         _ZN9rocsolver6v33100L18getf2_small_kernelILi19E19rocblas_complex_numIdEiiPS3_EEvT1_T3_lS5_lPS5_llPT2_S5_S5_S7_l.kd
    .uniform_work_group_size: 1
    .uses_dynamic_stack: false
    .vgpr_count:     104
    .vgpr_spill_count: 0
    .wavefront_size: 32
    .workgroup_processor_mode: 1
  - .args:
      - .offset:         0
        .size:           4
        .value_kind:     by_value
      - .address_space:  global
        .offset:         8
        .size:           8
        .value_kind:     global_buffer
      - .offset:         16
        .size:           8
        .value_kind:     by_value
      - .offset:         24
        .size:           4
        .value_kind:     by_value
      - .offset:         32
        .size:           8
        .value_kind:     by_value
      - .address_space:  global
        .offset:         40
        .size:           8
        .value_kind:     global_buffer
      - .offset:         48
        .size:           4
        .value_kind:     by_value
      - .offset:         52
        .size:           4
        .value_kind:     by_value
      - .offset:         56
        .size:           4
        .value_kind:     hidden_block_count_x
      - .offset:         60
        .size:           4
        .value_kind:     hidden_block_count_y
      - .offset:         64
        .size:           4
        .value_kind:     hidden_block_count_z
      - .offset:         68
        .size:           2
        .value_kind:     hidden_group_size_x
      - .offset:         70
        .size:           2
        .value_kind:     hidden_group_size_y
      - .offset:         72
        .size:           2
        .value_kind:     hidden_group_size_z
      - .offset:         74
        .size:           2
        .value_kind:     hidden_remainder_x
      - .offset:         76
        .size:           2
        .value_kind:     hidden_remainder_y
      - .offset:         78
        .size:           2
        .value_kind:     hidden_remainder_z
      - .offset:         96
        .size:           8
        .value_kind:     hidden_global_offset_x
      - .offset:         104
        .size:           8
        .value_kind:     hidden_global_offset_y
      - .offset:         112
        .size:           8
        .value_kind:     hidden_global_offset_z
      - .offset:         120
        .size:           2
        .value_kind:     hidden_grid_dims
      - .offset:         176
        .size:           4
        .value_kind:     hidden_dynamic_lds_size
    .group_segment_fixed_size: 0
    .kernarg_segment_align: 8
    .kernarg_segment_size: 312
    .language:       OpenCL C
    .language_version:
      - 2
      - 0
    .max_flat_workgroup_size: 512
    .name:           _ZN9rocsolver6v33100L23getf2_npvt_small_kernelILi19E19rocblas_complex_numIdEiiPS3_EEvT1_T3_lS5_lPT2_S5_S5_
    .private_segment_fixed_size: 0
    .sgpr_count:     17
    .sgpr_spill_count: 0
    .symbol:         _ZN9rocsolver6v33100L23getf2_npvt_small_kernelILi19E19rocblas_complex_numIdEiiPS3_EEvT1_T3_lS5_lPT2_S5_S5_.kd
    .uniform_work_group_size: 1
    .uses_dynamic_stack: false
    .vgpr_count:     251
    .vgpr_spill_count: 0
    .wavefront_size: 32
    .workgroup_processor_mode: 1
  - .args:
      - .offset:         0
        .size:           4
        .value_kind:     by_value
      - .address_space:  global
        .offset:         8
        .size:           8
        .value_kind:     global_buffer
      - .offset:         16
        .size:           8
        .value_kind:     by_value
      - .offset:         24
        .size:           4
        .value_kind:     by_value
      - .offset:         32
        .size:           8
        .value_kind:     by_value
      - .address_space:  global
        .offset:         40
        .size:           8
        .value_kind:     global_buffer
      - .offset:         48
        .size:           8
        .value_kind:     by_value
      - .offset:         56
        .size:           8
        .value_kind:     by_value
      - .address_space:  global
        .offset:         64
        .size:           8
        .value_kind:     global_buffer
      - .offset:         72
        .size:           4
        .value_kind:     by_value
      - .offset:         76
        .size:           4
        .value_kind:     by_value
      - .address_space:  global
        .offset:         80
        .size:           8
        .value_kind:     global_buffer
      - .offset:         88
        .size:           8
        .value_kind:     by_value
      - .offset:         96
        .size:           4
        .value_kind:     hidden_block_count_x
      - .offset:         100
        .size:           4
        .value_kind:     hidden_block_count_y
      - .offset:         104
        .size:           4
        .value_kind:     hidden_block_count_z
      - .offset:         108
        .size:           2
        .value_kind:     hidden_group_size_x
      - .offset:         110
        .size:           2
        .value_kind:     hidden_group_size_y
      - .offset:         112
        .size:           2
        .value_kind:     hidden_group_size_z
      - .offset:         114
        .size:           2
        .value_kind:     hidden_remainder_x
      - .offset:         116
        .size:           2
        .value_kind:     hidden_remainder_y
      - .offset:         118
        .size:           2
        .value_kind:     hidden_remainder_z
      - .offset:         136
        .size:           8
        .value_kind:     hidden_global_offset_x
      - .offset:         144
        .size:           8
        .value_kind:     hidden_global_offset_y
      - .offset:         152
        .size:           8
        .value_kind:     hidden_global_offset_z
      - .offset:         160
        .size:           2
        .value_kind:     hidden_grid_dims
      - .offset:         216
        .size:           4
        .value_kind:     hidden_dynamic_lds_size
    .group_segment_fixed_size: 0
    .kernarg_segment_align: 8
    .kernarg_segment_size: 352
    .language:       OpenCL C
    .language_version:
      - 2
      - 0
    .max_flat_workgroup_size: 512
    .name:           _ZN9rocsolver6v33100L18getf2_small_kernelILi20E19rocblas_complex_numIdEiiPS3_EEvT1_T3_lS5_lPS5_llPT2_S5_S5_S7_l
    .private_segment_fixed_size: 0
    .sgpr_count:     21
    .sgpr_spill_count: 0
    .symbol:         _ZN9rocsolver6v33100L18getf2_small_kernelILi20E19rocblas_complex_numIdEiiPS3_EEvT1_T3_lS5_lPS5_llPT2_S5_S5_S7_l.kd
    .uniform_work_group_size: 1
    .uses_dynamic_stack: false
    .vgpr_count:     108
    .vgpr_spill_count: 0
    .wavefront_size: 32
    .workgroup_processor_mode: 1
  - .args:
      - .offset:         0
        .size:           4
        .value_kind:     by_value
      - .address_space:  global
        .offset:         8
        .size:           8
        .value_kind:     global_buffer
      - .offset:         16
        .size:           8
        .value_kind:     by_value
      - .offset:         24
        .size:           4
        .value_kind:     by_value
      - .offset:         32
        .size:           8
        .value_kind:     by_value
      - .address_space:  global
        .offset:         40
        .size:           8
        .value_kind:     global_buffer
      - .offset:         48
        .size:           4
        .value_kind:     by_value
      - .offset:         52
        .size:           4
        .value_kind:     by_value
      - .offset:         56
        .size:           4
        .value_kind:     hidden_block_count_x
      - .offset:         60
        .size:           4
        .value_kind:     hidden_block_count_y
      - .offset:         64
        .size:           4
        .value_kind:     hidden_block_count_z
      - .offset:         68
        .size:           2
        .value_kind:     hidden_group_size_x
      - .offset:         70
        .size:           2
        .value_kind:     hidden_group_size_y
      - .offset:         72
        .size:           2
        .value_kind:     hidden_group_size_z
      - .offset:         74
        .size:           2
        .value_kind:     hidden_remainder_x
      - .offset:         76
        .size:           2
        .value_kind:     hidden_remainder_y
      - .offset:         78
        .size:           2
        .value_kind:     hidden_remainder_z
      - .offset:         96
        .size:           8
        .value_kind:     hidden_global_offset_x
      - .offset:         104
        .size:           8
        .value_kind:     hidden_global_offset_y
      - .offset:         112
        .size:           8
        .value_kind:     hidden_global_offset_z
      - .offset:         120
        .size:           2
        .value_kind:     hidden_grid_dims
      - .offset:         176
        .size:           4
        .value_kind:     hidden_dynamic_lds_size
    .group_segment_fixed_size: 0
    .kernarg_segment_align: 8
    .kernarg_segment_size: 312
    .language:       OpenCL C
    .language_version:
      - 2
      - 0
    .max_flat_workgroup_size: 512
    .name:           _ZN9rocsolver6v33100L23getf2_npvt_small_kernelILi20E19rocblas_complex_numIdEiiPS3_EEvT1_T3_lS5_lPT2_S5_S5_
    .private_segment_fixed_size: 0
    .sgpr_count:     17
    .sgpr_spill_count: 0
    .symbol:         _ZN9rocsolver6v33100L23getf2_npvt_small_kernelILi20E19rocblas_complex_numIdEiiPS3_EEvT1_T3_lS5_lPT2_S5_S5_.kd
    .uniform_work_group_size: 1
    .uses_dynamic_stack: false
    .vgpr_count:     253
    .vgpr_spill_count: 0
    .wavefront_size: 32
    .workgroup_processor_mode: 1
  - .args:
      - .offset:         0
        .size:           4
        .value_kind:     by_value
      - .address_space:  global
        .offset:         8
        .size:           8
        .value_kind:     global_buffer
      - .offset:         16
        .size:           8
        .value_kind:     by_value
      - .offset:         24
        .size:           4
        .value_kind:     by_value
      - .offset:         32
        .size:           8
        .value_kind:     by_value
      - .address_space:  global
        .offset:         40
        .size:           8
        .value_kind:     global_buffer
      - .offset:         48
        .size:           8
        .value_kind:     by_value
      - .offset:         56
        .size:           8
        .value_kind:     by_value
      - .address_space:  global
        .offset:         64
        .size:           8
        .value_kind:     global_buffer
      - .offset:         72
        .size:           4
        .value_kind:     by_value
      - .offset:         76
        .size:           4
        .value_kind:     by_value
      - .address_space:  global
        .offset:         80
        .size:           8
        .value_kind:     global_buffer
      - .offset:         88
        .size:           8
        .value_kind:     by_value
      - .offset:         96
        .size:           4
        .value_kind:     hidden_block_count_x
      - .offset:         100
        .size:           4
        .value_kind:     hidden_block_count_y
      - .offset:         104
        .size:           4
        .value_kind:     hidden_block_count_z
      - .offset:         108
        .size:           2
        .value_kind:     hidden_group_size_x
      - .offset:         110
        .size:           2
        .value_kind:     hidden_group_size_y
      - .offset:         112
        .size:           2
        .value_kind:     hidden_group_size_z
      - .offset:         114
        .size:           2
        .value_kind:     hidden_remainder_x
      - .offset:         116
        .size:           2
        .value_kind:     hidden_remainder_y
      - .offset:         118
        .size:           2
        .value_kind:     hidden_remainder_z
      - .offset:         136
        .size:           8
        .value_kind:     hidden_global_offset_x
      - .offset:         144
        .size:           8
        .value_kind:     hidden_global_offset_y
      - .offset:         152
        .size:           8
        .value_kind:     hidden_global_offset_z
      - .offset:         160
        .size:           2
        .value_kind:     hidden_grid_dims
      - .offset:         216
        .size:           4
        .value_kind:     hidden_dynamic_lds_size
    .group_segment_fixed_size: 0
    .kernarg_segment_align: 8
    .kernarg_segment_size: 352
    .language:       OpenCL C
    .language_version:
      - 2
      - 0
    .max_flat_workgroup_size: 512
    .name:           _ZN9rocsolver6v33100L18getf2_small_kernelILi21E19rocblas_complex_numIdEiiPS3_EEvT1_T3_lS5_lPS5_llPT2_S5_S5_S7_l
    .private_segment_fixed_size: 0
    .sgpr_count:     21
    .sgpr_spill_count: 0
    .symbol:         _ZN9rocsolver6v33100L18getf2_small_kernelILi21E19rocblas_complex_numIdEiiPS3_EEvT1_T3_lS5_lPS5_llPT2_S5_S5_S7_l.kd
    .uniform_work_group_size: 1
    .uses_dynamic_stack: false
    .vgpr_count:     119
    .vgpr_spill_count: 0
    .wavefront_size: 32
    .workgroup_processor_mode: 1
  - .args:
      - .offset:         0
        .size:           4
        .value_kind:     by_value
      - .address_space:  global
        .offset:         8
        .size:           8
        .value_kind:     global_buffer
      - .offset:         16
        .size:           8
        .value_kind:     by_value
      - .offset:         24
        .size:           4
        .value_kind:     by_value
      - .offset:         32
        .size:           8
        .value_kind:     by_value
      - .address_space:  global
        .offset:         40
        .size:           8
        .value_kind:     global_buffer
      - .offset:         48
        .size:           4
        .value_kind:     by_value
      - .offset:         52
        .size:           4
        .value_kind:     by_value
      - .offset:         56
        .size:           4
        .value_kind:     hidden_block_count_x
      - .offset:         60
        .size:           4
        .value_kind:     hidden_block_count_y
      - .offset:         64
        .size:           4
        .value_kind:     hidden_block_count_z
      - .offset:         68
        .size:           2
        .value_kind:     hidden_group_size_x
      - .offset:         70
        .size:           2
        .value_kind:     hidden_group_size_y
      - .offset:         72
        .size:           2
        .value_kind:     hidden_group_size_z
      - .offset:         74
        .size:           2
        .value_kind:     hidden_remainder_x
      - .offset:         76
        .size:           2
        .value_kind:     hidden_remainder_y
      - .offset:         78
        .size:           2
        .value_kind:     hidden_remainder_z
      - .offset:         96
        .size:           8
        .value_kind:     hidden_global_offset_x
      - .offset:         104
        .size:           8
        .value_kind:     hidden_global_offset_y
      - .offset:         112
        .size:           8
        .value_kind:     hidden_global_offset_z
      - .offset:         120
        .size:           2
        .value_kind:     hidden_grid_dims
      - .offset:         176
        .size:           4
        .value_kind:     hidden_dynamic_lds_size
    .group_segment_fixed_size: 0
    .kernarg_segment_align: 8
    .kernarg_segment_size: 312
    .language:       OpenCL C
    .language_version:
      - 2
      - 0
    .max_flat_workgroup_size: 512
    .name:           _ZN9rocsolver6v33100L23getf2_npvt_small_kernelILi21E19rocblas_complex_numIdEiiPS3_EEvT1_T3_lS5_lPT2_S5_S5_
    .private_segment_fixed_size: 0
    .sgpr_count:     17
    .sgpr_spill_count: 0
    .symbol:         _ZN9rocsolver6v33100L23getf2_npvt_small_kernelILi21E19rocblas_complex_numIdEiiPS3_EEvT1_T3_lS5_lPT2_S5_S5_.kd
    .uniform_work_group_size: 1
    .uses_dynamic_stack: false
    .vgpr_count:     251
    .vgpr_spill_count: 0
    .wavefront_size: 32
    .workgroup_processor_mode: 1
  - .args:
      - .offset:         0
        .size:           4
        .value_kind:     by_value
      - .address_space:  global
        .offset:         8
        .size:           8
        .value_kind:     global_buffer
      - .offset:         16
        .size:           8
        .value_kind:     by_value
      - .offset:         24
        .size:           4
        .value_kind:     by_value
      - .offset:         32
        .size:           8
        .value_kind:     by_value
      - .address_space:  global
        .offset:         40
        .size:           8
        .value_kind:     global_buffer
      - .offset:         48
        .size:           8
        .value_kind:     by_value
      - .offset:         56
        .size:           8
        .value_kind:     by_value
      - .address_space:  global
        .offset:         64
        .size:           8
        .value_kind:     global_buffer
      - .offset:         72
        .size:           4
        .value_kind:     by_value
      - .offset:         76
        .size:           4
        .value_kind:     by_value
      - .address_space:  global
        .offset:         80
        .size:           8
        .value_kind:     global_buffer
      - .offset:         88
        .size:           8
        .value_kind:     by_value
      - .offset:         96
        .size:           4
        .value_kind:     hidden_block_count_x
      - .offset:         100
        .size:           4
        .value_kind:     hidden_block_count_y
      - .offset:         104
        .size:           4
        .value_kind:     hidden_block_count_z
      - .offset:         108
        .size:           2
        .value_kind:     hidden_group_size_x
      - .offset:         110
        .size:           2
        .value_kind:     hidden_group_size_y
      - .offset:         112
        .size:           2
        .value_kind:     hidden_group_size_z
      - .offset:         114
        .size:           2
        .value_kind:     hidden_remainder_x
      - .offset:         116
        .size:           2
        .value_kind:     hidden_remainder_y
      - .offset:         118
        .size:           2
        .value_kind:     hidden_remainder_z
      - .offset:         136
        .size:           8
        .value_kind:     hidden_global_offset_x
      - .offset:         144
        .size:           8
        .value_kind:     hidden_global_offset_y
      - .offset:         152
        .size:           8
        .value_kind:     hidden_global_offset_z
      - .offset:         160
        .size:           2
        .value_kind:     hidden_grid_dims
      - .offset:         216
        .size:           4
        .value_kind:     hidden_dynamic_lds_size
    .group_segment_fixed_size: 0
    .kernarg_segment_align: 8
    .kernarg_segment_size: 352
    .language:       OpenCL C
    .language_version:
      - 2
      - 0
    .max_flat_workgroup_size: 512
    .name:           _ZN9rocsolver6v33100L18getf2_small_kernelILi22E19rocblas_complex_numIdEiiPS3_EEvT1_T3_lS5_lPS5_llPT2_S5_S5_S7_l
    .private_segment_fixed_size: 0
    .sgpr_count:     21
    .sgpr_spill_count: 0
    .symbol:         _ZN9rocsolver6v33100L18getf2_small_kernelILi22E19rocblas_complex_numIdEiiPS3_EEvT1_T3_lS5_lPS5_llPT2_S5_S5_S7_l.kd
    .uniform_work_group_size: 1
    .uses_dynamic_stack: false
    .vgpr_count:     123
    .vgpr_spill_count: 0
    .wavefront_size: 32
    .workgroup_processor_mode: 1
  - .args:
      - .offset:         0
        .size:           4
        .value_kind:     by_value
      - .address_space:  global
        .offset:         8
        .size:           8
        .value_kind:     global_buffer
      - .offset:         16
        .size:           8
        .value_kind:     by_value
      - .offset:         24
        .size:           4
        .value_kind:     by_value
      - .offset:         32
        .size:           8
        .value_kind:     by_value
      - .address_space:  global
        .offset:         40
        .size:           8
        .value_kind:     global_buffer
      - .offset:         48
        .size:           4
        .value_kind:     by_value
      - .offset:         52
        .size:           4
        .value_kind:     by_value
      - .offset:         56
        .size:           4
        .value_kind:     hidden_block_count_x
      - .offset:         60
        .size:           4
        .value_kind:     hidden_block_count_y
      - .offset:         64
        .size:           4
        .value_kind:     hidden_block_count_z
      - .offset:         68
        .size:           2
        .value_kind:     hidden_group_size_x
      - .offset:         70
        .size:           2
        .value_kind:     hidden_group_size_y
      - .offset:         72
        .size:           2
        .value_kind:     hidden_group_size_z
      - .offset:         74
        .size:           2
        .value_kind:     hidden_remainder_x
      - .offset:         76
        .size:           2
        .value_kind:     hidden_remainder_y
      - .offset:         78
        .size:           2
        .value_kind:     hidden_remainder_z
      - .offset:         96
        .size:           8
        .value_kind:     hidden_global_offset_x
      - .offset:         104
        .size:           8
        .value_kind:     hidden_global_offset_y
      - .offset:         112
        .size:           8
        .value_kind:     hidden_global_offset_z
      - .offset:         120
        .size:           2
        .value_kind:     hidden_grid_dims
      - .offset:         176
        .size:           4
        .value_kind:     hidden_dynamic_lds_size
    .group_segment_fixed_size: 0
    .kernarg_segment_align: 8
    .kernarg_segment_size: 312
    .language:       OpenCL C
    .language_version:
      - 2
      - 0
    .max_flat_workgroup_size: 512
    .name:           _ZN9rocsolver6v33100L23getf2_npvt_small_kernelILi22E19rocblas_complex_numIdEiiPS3_EEvT1_T3_lS5_lPT2_S5_S5_
    .private_segment_fixed_size: 0
    .sgpr_count:     17
    .sgpr_spill_count: 0
    .symbol:         _ZN9rocsolver6v33100L23getf2_npvt_small_kernelILi22E19rocblas_complex_numIdEiiPS3_EEvT1_T3_lS5_lPT2_S5_S5_.kd
    .uniform_work_group_size: 1
    .uses_dynamic_stack: false
    .vgpr_count:     253
    .vgpr_spill_count: 0
    .wavefront_size: 32
    .workgroup_processor_mode: 1
  - .args:
      - .offset:         0
        .size:           4
        .value_kind:     by_value
      - .address_space:  global
        .offset:         8
        .size:           8
        .value_kind:     global_buffer
      - .offset:         16
        .size:           8
        .value_kind:     by_value
      - .offset:         24
        .size:           4
        .value_kind:     by_value
      - .offset:         32
        .size:           8
        .value_kind:     by_value
      - .address_space:  global
        .offset:         40
        .size:           8
        .value_kind:     global_buffer
      - .offset:         48
        .size:           8
        .value_kind:     by_value
      - .offset:         56
        .size:           8
        .value_kind:     by_value
      - .address_space:  global
        .offset:         64
        .size:           8
        .value_kind:     global_buffer
      - .offset:         72
        .size:           4
        .value_kind:     by_value
      - .offset:         76
        .size:           4
        .value_kind:     by_value
      - .address_space:  global
        .offset:         80
        .size:           8
        .value_kind:     global_buffer
      - .offset:         88
        .size:           8
        .value_kind:     by_value
      - .offset:         96
        .size:           4
        .value_kind:     hidden_block_count_x
      - .offset:         100
        .size:           4
        .value_kind:     hidden_block_count_y
      - .offset:         104
        .size:           4
        .value_kind:     hidden_block_count_z
      - .offset:         108
        .size:           2
        .value_kind:     hidden_group_size_x
      - .offset:         110
        .size:           2
        .value_kind:     hidden_group_size_y
      - .offset:         112
        .size:           2
        .value_kind:     hidden_group_size_z
      - .offset:         114
        .size:           2
        .value_kind:     hidden_remainder_x
      - .offset:         116
        .size:           2
        .value_kind:     hidden_remainder_y
      - .offset:         118
        .size:           2
        .value_kind:     hidden_remainder_z
      - .offset:         136
        .size:           8
        .value_kind:     hidden_global_offset_x
      - .offset:         144
        .size:           8
        .value_kind:     hidden_global_offset_y
      - .offset:         152
        .size:           8
        .value_kind:     hidden_global_offset_z
      - .offset:         160
        .size:           2
        .value_kind:     hidden_grid_dims
      - .offset:         216
        .size:           4
        .value_kind:     hidden_dynamic_lds_size
    .group_segment_fixed_size: 0
    .kernarg_segment_align: 8
    .kernarg_segment_size: 352
    .language:       OpenCL C
    .language_version:
      - 2
      - 0
    .max_flat_workgroup_size: 512
    .name:           _ZN9rocsolver6v33100L18getf2_small_kernelILi23E19rocblas_complex_numIdEiiPS3_EEvT1_T3_lS5_lPS5_llPT2_S5_S5_S7_l
    .private_segment_fixed_size: 0
    .sgpr_count:     21
    .sgpr_spill_count: 0
    .symbol:         _ZN9rocsolver6v33100L18getf2_small_kernelILi23E19rocblas_complex_numIdEiiPS3_EEvT1_T3_lS5_lPS5_llPT2_S5_S5_S7_l.kd
    .uniform_work_group_size: 1
    .uses_dynamic_stack: false
    .vgpr_count:     120
    .vgpr_spill_count: 0
    .wavefront_size: 32
    .workgroup_processor_mode: 1
  - .args:
      - .offset:         0
        .size:           4
        .value_kind:     by_value
      - .address_space:  global
        .offset:         8
        .size:           8
        .value_kind:     global_buffer
      - .offset:         16
        .size:           8
        .value_kind:     by_value
      - .offset:         24
        .size:           4
        .value_kind:     by_value
      - .offset:         32
        .size:           8
        .value_kind:     by_value
      - .address_space:  global
        .offset:         40
        .size:           8
        .value_kind:     global_buffer
      - .offset:         48
        .size:           4
        .value_kind:     by_value
      - .offset:         52
        .size:           4
        .value_kind:     by_value
      - .offset:         56
        .size:           4
        .value_kind:     hidden_block_count_x
      - .offset:         60
        .size:           4
        .value_kind:     hidden_block_count_y
      - .offset:         64
        .size:           4
        .value_kind:     hidden_block_count_z
      - .offset:         68
        .size:           2
        .value_kind:     hidden_group_size_x
      - .offset:         70
        .size:           2
        .value_kind:     hidden_group_size_y
      - .offset:         72
        .size:           2
        .value_kind:     hidden_group_size_z
      - .offset:         74
        .size:           2
        .value_kind:     hidden_remainder_x
      - .offset:         76
        .size:           2
        .value_kind:     hidden_remainder_y
      - .offset:         78
        .size:           2
        .value_kind:     hidden_remainder_z
      - .offset:         96
        .size:           8
        .value_kind:     hidden_global_offset_x
      - .offset:         104
        .size:           8
        .value_kind:     hidden_global_offset_y
      - .offset:         112
        .size:           8
        .value_kind:     hidden_global_offset_z
      - .offset:         120
        .size:           2
        .value_kind:     hidden_grid_dims
      - .offset:         176
        .size:           4
        .value_kind:     hidden_dynamic_lds_size
    .group_segment_fixed_size: 0
    .kernarg_segment_align: 8
    .kernarg_segment_size: 312
    .language:       OpenCL C
    .language_version:
      - 2
      - 0
    .max_flat_workgroup_size: 512
    .name:           _ZN9rocsolver6v33100L23getf2_npvt_small_kernelILi23E19rocblas_complex_numIdEiiPS3_EEvT1_T3_lS5_lPT2_S5_S5_
    .private_segment_fixed_size: 0
    .sgpr_count:     17
    .sgpr_spill_count: 0
    .symbol:         _ZN9rocsolver6v33100L23getf2_npvt_small_kernelILi23E19rocblas_complex_numIdEiiPS3_EEvT1_T3_lS5_lPT2_S5_S5_.kd
    .uniform_work_group_size: 1
    .uses_dynamic_stack: false
    .vgpr_count:     251
    .vgpr_spill_count: 0
    .wavefront_size: 32
    .workgroup_processor_mode: 1
  - .args:
      - .offset:         0
        .size:           4
        .value_kind:     by_value
      - .address_space:  global
        .offset:         8
        .size:           8
        .value_kind:     global_buffer
      - .offset:         16
        .size:           8
        .value_kind:     by_value
      - .offset:         24
        .size:           4
        .value_kind:     by_value
      - .offset:         32
        .size:           8
        .value_kind:     by_value
      - .address_space:  global
        .offset:         40
        .size:           8
        .value_kind:     global_buffer
      - .offset:         48
        .size:           8
        .value_kind:     by_value
      - .offset:         56
        .size:           8
        .value_kind:     by_value
      - .address_space:  global
        .offset:         64
        .size:           8
        .value_kind:     global_buffer
      - .offset:         72
        .size:           4
        .value_kind:     by_value
      - .offset:         76
        .size:           4
        .value_kind:     by_value
      - .address_space:  global
        .offset:         80
        .size:           8
        .value_kind:     global_buffer
      - .offset:         88
        .size:           8
        .value_kind:     by_value
      - .offset:         96
        .size:           4
        .value_kind:     hidden_block_count_x
      - .offset:         100
        .size:           4
        .value_kind:     hidden_block_count_y
      - .offset:         104
        .size:           4
        .value_kind:     hidden_block_count_z
      - .offset:         108
        .size:           2
        .value_kind:     hidden_group_size_x
      - .offset:         110
        .size:           2
        .value_kind:     hidden_group_size_y
      - .offset:         112
        .size:           2
        .value_kind:     hidden_group_size_z
      - .offset:         114
        .size:           2
        .value_kind:     hidden_remainder_x
      - .offset:         116
        .size:           2
        .value_kind:     hidden_remainder_y
      - .offset:         118
        .size:           2
        .value_kind:     hidden_remainder_z
      - .offset:         136
        .size:           8
        .value_kind:     hidden_global_offset_x
      - .offset:         144
        .size:           8
        .value_kind:     hidden_global_offset_y
      - .offset:         152
        .size:           8
        .value_kind:     hidden_global_offset_z
      - .offset:         160
        .size:           2
        .value_kind:     hidden_grid_dims
      - .offset:         216
        .size:           4
        .value_kind:     hidden_dynamic_lds_size
    .group_segment_fixed_size: 0
    .kernarg_segment_align: 8
    .kernarg_segment_size: 352
    .language:       OpenCL C
    .language_version:
      - 2
      - 0
    .max_flat_workgroup_size: 512
    .name:           _ZN9rocsolver6v33100L18getf2_small_kernelILi24E19rocblas_complex_numIdEiiPS3_EEvT1_T3_lS5_lPS5_llPT2_S5_S5_S7_l
    .private_segment_fixed_size: 0
    .sgpr_count:     21
    .sgpr_spill_count: 0
    .symbol:         _ZN9rocsolver6v33100L18getf2_small_kernelILi24E19rocblas_complex_numIdEiiPS3_EEvT1_T3_lS5_lPS5_llPT2_S5_S5_S7_l.kd
    .uniform_work_group_size: 1
    .uses_dynamic_stack: false
    .vgpr_count:     124
    .vgpr_spill_count: 0
    .wavefront_size: 32
    .workgroup_processor_mode: 1
  - .args:
      - .offset:         0
        .size:           4
        .value_kind:     by_value
      - .address_space:  global
        .offset:         8
        .size:           8
        .value_kind:     global_buffer
      - .offset:         16
        .size:           8
        .value_kind:     by_value
      - .offset:         24
        .size:           4
        .value_kind:     by_value
      - .offset:         32
        .size:           8
        .value_kind:     by_value
      - .address_space:  global
        .offset:         40
        .size:           8
        .value_kind:     global_buffer
      - .offset:         48
        .size:           4
        .value_kind:     by_value
      - .offset:         52
        .size:           4
        .value_kind:     by_value
      - .offset:         56
        .size:           4
        .value_kind:     hidden_block_count_x
      - .offset:         60
        .size:           4
        .value_kind:     hidden_block_count_y
      - .offset:         64
        .size:           4
        .value_kind:     hidden_block_count_z
      - .offset:         68
        .size:           2
        .value_kind:     hidden_group_size_x
      - .offset:         70
        .size:           2
        .value_kind:     hidden_group_size_y
      - .offset:         72
        .size:           2
        .value_kind:     hidden_group_size_z
      - .offset:         74
        .size:           2
        .value_kind:     hidden_remainder_x
      - .offset:         76
        .size:           2
        .value_kind:     hidden_remainder_y
      - .offset:         78
        .size:           2
        .value_kind:     hidden_remainder_z
      - .offset:         96
        .size:           8
        .value_kind:     hidden_global_offset_x
      - .offset:         104
        .size:           8
        .value_kind:     hidden_global_offset_y
      - .offset:         112
        .size:           8
        .value_kind:     hidden_global_offset_z
      - .offset:         120
        .size:           2
        .value_kind:     hidden_grid_dims
      - .offset:         176
        .size:           4
        .value_kind:     hidden_dynamic_lds_size
    .group_segment_fixed_size: 0
    .kernarg_segment_align: 8
    .kernarg_segment_size: 312
    .language:       OpenCL C
    .language_version:
      - 2
      - 0
    .max_flat_workgroup_size: 512
    .name:           _ZN9rocsolver6v33100L23getf2_npvt_small_kernelILi24E19rocblas_complex_numIdEiiPS3_EEvT1_T3_lS5_lPT2_S5_S5_
    .private_segment_fixed_size: 0
    .sgpr_count:     17
    .sgpr_spill_count: 0
    .symbol:         _ZN9rocsolver6v33100L23getf2_npvt_small_kernelILi24E19rocblas_complex_numIdEiiPS3_EEvT1_T3_lS5_lPT2_S5_S5_.kd
    .uniform_work_group_size: 1
    .uses_dynamic_stack: false
    .vgpr_count:     253
    .vgpr_spill_count: 0
    .wavefront_size: 32
    .workgroup_processor_mode: 1
  - .args:
      - .offset:         0
        .size:           4
        .value_kind:     by_value
      - .address_space:  global
        .offset:         8
        .size:           8
        .value_kind:     global_buffer
      - .offset:         16
        .size:           8
        .value_kind:     by_value
      - .offset:         24
        .size:           4
        .value_kind:     by_value
      - .offset:         32
        .size:           8
        .value_kind:     by_value
      - .address_space:  global
        .offset:         40
        .size:           8
        .value_kind:     global_buffer
      - .offset:         48
        .size:           8
        .value_kind:     by_value
      - .offset:         56
        .size:           8
        .value_kind:     by_value
      - .address_space:  global
        .offset:         64
        .size:           8
        .value_kind:     global_buffer
      - .offset:         72
        .size:           4
        .value_kind:     by_value
      - .offset:         76
        .size:           4
        .value_kind:     by_value
      - .address_space:  global
        .offset:         80
        .size:           8
        .value_kind:     global_buffer
      - .offset:         88
        .size:           8
        .value_kind:     by_value
      - .offset:         96
        .size:           4
        .value_kind:     hidden_block_count_x
      - .offset:         100
        .size:           4
        .value_kind:     hidden_block_count_y
      - .offset:         104
        .size:           4
        .value_kind:     hidden_block_count_z
      - .offset:         108
        .size:           2
        .value_kind:     hidden_group_size_x
      - .offset:         110
        .size:           2
        .value_kind:     hidden_group_size_y
      - .offset:         112
        .size:           2
        .value_kind:     hidden_group_size_z
      - .offset:         114
        .size:           2
        .value_kind:     hidden_remainder_x
      - .offset:         116
        .size:           2
        .value_kind:     hidden_remainder_y
      - .offset:         118
        .size:           2
        .value_kind:     hidden_remainder_z
      - .offset:         136
        .size:           8
        .value_kind:     hidden_global_offset_x
      - .offset:         144
        .size:           8
        .value_kind:     hidden_global_offset_y
      - .offset:         152
        .size:           8
        .value_kind:     hidden_global_offset_z
      - .offset:         160
        .size:           2
        .value_kind:     hidden_grid_dims
      - .offset:         216
        .size:           4
        .value_kind:     hidden_dynamic_lds_size
    .group_segment_fixed_size: 0
    .kernarg_segment_align: 8
    .kernarg_segment_size: 352
    .language:       OpenCL C
    .language_version:
      - 2
      - 0
    .max_flat_workgroup_size: 512
    .name:           _ZN9rocsolver6v33100L18getf2_small_kernelILi25E19rocblas_complex_numIdEiiPS3_EEvT1_T3_lS5_lPS5_llPT2_S5_S5_S7_l
    .private_segment_fixed_size: 0
    .sgpr_count:     21
    .sgpr_spill_count: 0
    .symbol:         _ZN9rocsolver6v33100L18getf2_small_kernelILi25E19rocblas_complex_numIdEiiPS3_EEvT1_T3_lS5_lPS5_llPT2_S5_S5_S7_l.kd
    .uniform_work_group_size: 1
    .uses_dynamic_stack: false
    .vgpr_count:     135
    .vgpr_spill_count: 0
    .wavefront_size: 32
    .workgroup_processor_mode: 1
  - .args:
      - .offset:         0
        .size:           4
        .value_kind:     by_value
      - .address_space:  global
        .offset:         8
        .size:           8
        .value_kind:     global_buffer
      - .offset:         16
        .size:           8
        .value_kind:     by_value
      - .offset:         24
        .size:           4
        .value_kind:     by_value
      - .offset:         32
        .size:           8
        .value_kind:     by_value
      - .address_space:  global
        .offset:         40
        .size:           8
        .value_kind:     global_buffer
      - .offset:         48
        .size:           4
        .value_kind:     by_value
      - .offset:         52
        .size:           4
        .value_kind:     by_value
      - .offset:         56
        .size:           4
        .value_kind:     hidden_block_count_x
      - .offset:         60
        .size:           4
        .value_kind:     hidden_block_count_y
      - .offset:         64
        .size:           4
        .value_kind:     hidden_block_count_z
      - .offset:         68
        .size:           2
        .value_kind:     hidden_group_size_x
      - .offset:         70
        .size:           2
        .value_kind:     hidden_group_size_y
      - .offset:         72
        .size:           2
        .value_kind:     hidden_group_size_z
      - .offset:         74
        .size:           2
        .value_kind:     hidden_remainder_x
      - .offset:         76
        .size:           2
        .value_kind:     hidden_remainder_y
      - .offset:         78
        .size:           2
        .value_kind:     hidden_remainder_z
      - .offset:         96
        .size:           8
        .value_kind:     hidden_global_offset_x
      - .offset:         104
        .size:           8
        .value_kind:     hidden_global_offset_y
      - .offset:         112
        .size:           8
        .value_kind:     hidden_global_offset_z
      - .offset:         120
        .size:           2
        .value_kind:     hidden_grid_dims
      - .offset:         176
        .size:           4
        .value_kind:     hidden_dynamic_lds_size
    .group_segment_fixed_size: 0
    .kernarg_segment_align: 8
    .kernarg_segment_size: 312
    .language:       OpenCL C
    .language_version:
      - 2
      - 0
    .max_flat_workgroup_size: 512
    .name:           _ZN9rocsolver6v33100L23getf2_npvt_small_kernelILi25E19rocblas_complex_numIdEiiPS3_EEvT1_T3_lS5_lPT2_S5_S5_
    .private_segment_fixed_size: 44
    .sgpr_count:     22
    .sgpr_spill_count: 0
    .symbol:         _ZN9rocsolver6v33100L23getf2_npvt_small_kernelILi25E19rocblas_complex_numIdEiiPS3_EEvT1_T3_lS5_lPT2_S5_S5_.kd
    .uniform_work_group_size: 1
    .uses_dynamic_stack: false
    .vgpr_count:     256
    .vgpr_spill_count: 10
    .wavefront_size: 32
    .workgroup_processor_mode: 1
  - .args:
      - .offset:         0
        .size:           4
        .value_kind:     by_value
      - .address_space:  global
        .offset:         8
        .size:           8
        .value_kind:     global_buffer
      - .offset:         16
        .size:           8
        .value_kind:     by_value
      - .offset:         24
        .size:           4
        .value_kind:     by_value
      - .offset:         32
        .size:           8
        .value_kind:     by_value
      - .address_space:  global
        .offset:         40
        .size:           8
        .value_kind:     global_buffer
      - .offset:         48
        .size:           8
        .value_kind:     by_value
      - .offset:         56
        .size:           8
        .value_kind:     by_value
      - .address_space:  global
        .offset:         64
        .size:           8
        .value_kind:     global_buffer
      - .offset:         72
        .size:           4
        .value_kind:     by_value
      - .offset:         76
        .size:           4
        .value_kind:     by_value
      - .address_space:  global
        .offset:         80
        .size:           8
        .value_kind:     global_buffer
      - .offset:         88
        .size:           8
        .value_kind:     by_value
      - .offset:         96
        .size:           4
        .value_kind:     hidden_block_count_x
      - .offset:         100
        .size:           4
        .value_kind:     hidden_block_count_y
      - .offset:         104
        .size:           4
        .value_kind:     hidden_block_count_z
      - .offset:         108
        .size:           2
        .value_kind:     hidden_group_size_x
      - .offset:         110
        .size:           2
        .value_kind:     hidden_group_size_y
      - .offset:         112
        .size:           2
        .value_kind:     hidden_group_size_z
      - .offset:         114
        .size:           2
        .value_kind:     hidden_remainder_x
      - .offset:         116
        .size:           2
        .value_kind:     hidden_remainder_y
      - .offset:         118
        .size:           2
        .value_kind:     hidden_remainder_z
      - .offset:         136
        .size:           8
        .value_kind:     hidden_global_offset_x
      - .offset:         144
        .size:           8
        .value_kind:     hidden_global_offset_y
      - .offset:         152
        .size:           8
        .value_kind:     hidden_global_offset_z
      - .offset:         160
        .size:           2
        .value_kind:     hidden_grid_dims
      - .offset:         216
        .size:           4
        .value_kind:     hidden_dynamic_lds_size
    .group_segment_fixed_size: 0
    .kernarg_segment_align: 8
    .kernarg_segment_size: 352
    .language:       OpenCL C
    .language_version:
      - 2
      - 0
    .max_flat_workgroup_size: 512
    .name:           _ZN9rocsolver6v33100L18getf2_small_kernelILi26E19rocblas_complex_numIdEiiPS3_EEvT1_T3_lS5_lPS5_llPT2_S5_S5_S7_l
    .private_segment_fixed_size: 0
    .sgpr_count:     20
    .sgpr_spill_count: 0
    .symbol:         _ZN9rocsolver6v33100L18getf2_small_kernelILi26E19rocblas_complex_numIdEiiPS3_EEvT1_T3_lS5_lPS5_llPT2_S5_S5_S7_l.kd
    .uniform_work_group_size: 1
    .uses_dynamic_stack: false
    .vgpr_count:     139
    .vgpr_spill_count: 0
    .wavefront_size: 32
    .workgroup_processor_mode: 1
  - .args:
      - .offset:         0
        .size:           4
        .value_kind:     by_value
      - .address_space:  global
        .offset:         8
        .size:           8
        .value_kind:     global_buffer
      - .offset:         16
        .size:           8
        .value_kind:     by_value
      - .offset:         24
        .size:           4
        .value_kind:     by_value
      - .offset:         32
        .size:           8
        .value_kind:     by_value
      - .address_space:  global
        .offset:         40
        .size:           8
        .value_kind:     global_buffer
      - .offset:         48
        .size:           4
        .value_kind:     by_value
      - .offset:         52
        .size:           4
        .value_kind:     by_value
      - .offset:         56
        .size:           4
        .value_kind:     hidden_block_count_x
      - .offset:         60
        .size:           4
        .value_kind:     hidden_block_count_y
      - .offset:         64
        .size:           4
        .value_kind:     hidden_block_count_z
      - .offset:         68
        .size:           2
        .value_kind:     hidden_group_size_x
      - .offset:         70
        .size:           2
        .value_kind:     hidden_group_size_y
      - .offset:         72
        .size:           2
        .value_kind:     hidden_group_size_z
      - .offset:         74
        .size:           2
        .value_kind:     hidden_remainder_x
      - .offset:         76
        .size:           2
        .value_kind:     hidden_remainder_y
      - .offset:         78
        .size:           2
        .value_kind:     hidden_remainder_z
      - .offset:         96
        .size:           8
        .value_kind:     hidden_global_offset_x
      - .offset:         104
        .size:           8
        .value_kind:     hidden_global_offset_y
      - .offset:         112
        .size:           8
        .value_kind:     hidden_global_offset_z
      - .offset:         120
        .size:           2
        .value_kind:     hidden_grid_dims
      - .offset:         176
        .size:           4
        .value_kind:     hidden_dynamic_lds_size
    .group_segment_fixed_size: 0
    .kernarg_segment_align: 8
    .kernarg_segment_size: 312
    .language:       OpenCL C
    .language_version:
      - 2
      - 0
    .max_flat_workgroup_size: 512
    .name:           _ZN9rocsolver6v33100L23getf2_npvt_small_kernelILi26E19rocblas_complex_numIdEiiPS3_EEvT1_T3_lS5_lPT2_S5_S5_
    .private_segment_fixed_size: 92
    .sgpr_count:     34
    .sgpr_spill_count: 0
    .symbol:         _ZN9rocsolver6v33100L23getf2_npvt_small_kernelILi26E19rocblas_complex_numIdEiiPS3_EEvT1_T3_lS5_lPT2_S5_S5_.kd
    .uniform_work_group_size: 1
    .uses_dynamic_stack: false
    .vgpr_count:     256
    .vgpr_spill_count: 22
    .wavefront_size: 32
    .workgroup_processor_mode: 1
  - .args:
      - .offset:         0
        .size:           4
        .value_kind:     by_value
      - .address_space:  global
        .offset:         8
        .size:           8
        .value_kind:     global_buffer
      - .offset:         16
        .size:           8
        .value_kind:     by_value
      - .offset:         24
        .size:           4
        .value_kind:     by_value
      - .offset:         32
        .size:           8
        .value_kind:     by_value
      - .address_space:  global
        .offset:         40
        .size:           8
        .value_kind:     global_buffer
      - .offset:         48
        .size:           8
        .value_kind:     by_value
      - .offset:         56
        .size:           8
        .value_kind:     by_value
      - .address_space:  global
        .offset:         64
        .size:           8
        .value_kind:     global_buffer
      - .offset:         72
        .size:           4
        .value_kind:     by_value
      - .offset:         76
        .size:           4
        .value_kind:     by_value
      - .address_space:  global
        .offset:         80
        .size:           8
        .value_kind:     global_buffer
      - .offset:         88
        .size:           8
        .value_kind:     by_value
      - .offset:         96
        .size:           4
        .value_kind:     hidden_block_count_x
      - .offset:         100
        .size:           4
        .value_kind:     hidden_block_count_y
      - .offset:         104
        .size:           4
        .value_kind:     hidden_block_count_z
      - .offset:         108
        .size:           2
        .value_kind:     hidden_group_size_x
      - .offset:         110
        .size:           2
        .value_kind:     hidden_group_size_y
      - .offset:         112
        .size:           2
        .value_kind:     hidden_group_size_z
      - .offset:         114
        .size:           2
        .value_kind:     hidden_remainder_x
      - .offset:         116
        .size:           2
        .value_kind:     hidden_remainder_y
      - .offset:         118
        .size:           2
        .value_kind:     hidden_remainder_z
      - .offset:         136
        .size:           8
        .value_kind:     hidden_global_offset_x
      - .offset:         144
        .size:           8
        .value_kind:     hidden_global_offset_y
      - .offset:         152
        .size:           8
        .value_kind:     hidden_global_offset_z
      - .offset:         160
        .size:           2
        .value_kind:     hidden_grid_dims
      - .offset:         216
        .size:           4
        .value_kind:     hidden_dynamic_lds_size
    .group_segment_fixed_size: 0
    .kernarg_segment_align: 8
    .kernarg_segment_size: 352
    .language:       OpenCL C
    .language_version:
      - 2
      - 0
    .max_flat_workgroup_size: 512
    .name:           _ZN9rocsolver6v33100L18getf2_small_kernelILi27E19rocblas_complex_numIdEiiPS3_EEvT1_T3_lS5_lPS5_llPT2_S5_S5_S7_l
    .private_segment_fixed_size: 0
    .sgpr_count:     21
    .sgpr_spill_count: 0
    .symbol:         _ZN9rocsolver6v33100L18getf2_small_kernelILi27E19rocblas_complex_numIdEiiPS3_EEvT1_T3_lS5_lPS5_llPT2_S5_S5_S7_l.kd
    .uniform_work_group_size: 1
    .uses_dynamic_stack: false
    .vgpr_count:     136
    .vgpr_spill_count: 0
    .wavefront_size: 32
    .workgroup_processor_mode: 1
  - .args:
      - .offset:         0
        .size:           4
        .value_kind:     by_value
      - .address_space:  global
        .offset:         8
        .size:           8
        .value_kind:     global_buffer
      - .offset:         16
        .size:           8
        .value_kind:     by_value
      - .offset:         24
        .size:           4
        .value_kind:     by_value
      - .offset:         32
        .size:           8
        .value_kind:     by_value
      - .address_space:  global
        .offset:         40
        .size:           8
        .value_kind:     global_buffer
      - .offset:         48
        .size:           4
        .value_kind:     by_value
      - .offset:         52
        .size:           4
        .value_kind:     by_value
      - .offset:         56
        .size:           4
        .value_kind:     hidden_block_count_x
      - .offset:         60
        .size:           4
        .value_kind:     hidden_block_count_y
      - .offset:         64
        .size:           4
        .value_kind:     hidden_block_count_z
      - .offset:         68
        .size:           2
        .value_kind:     hidden_group_size_x
      - .offset:         70
        .size:           2
        .value_kind:     hidden_group_size_y
      - .offset:         72
        .size:           2
        .value_kind:     hidden_group_size_z
      - .offset:         74
        .size:           2
        .value_kind:     hidden_remainder_x
      - .offset:         76
        .size:           2
        .value_kind:     hidden_remainder_y
      - .offset:         78
        .size:           2
        .value_kind:     hidden_remainder_z
      - .offset:         96
        .size:           8
        .value_kind:     hidden_global_offset_x
      - .offset:         104
        .size:           8
        .value_kind:     hidden_global_offset_y
      - .offset:         112
        .size:           8
        .value_kind:     hidden_global_offset_z
      - .offset:         120
        .size:           2
        .value_kind:     hidden_grid_dims
      - .offset:         176
        .size:           4
        .value_kind:     hidden_dynamic_lds_size
    .group_segment_fixed_size: 0
    .kernarg_segment_align: 8
    .kernarg_segment_size: 312
    .language:       OpenCL C
    .language_version:
      - 2
      - 0
    .max_flat_workgroup_size: 512
    .name:           _ZN9rocsolver6v33100L23getf2_npvt_small_kernelILi27E19rocblas_complex_numIdEiiPS3_EEvT1_T3_lS5_lPT2_S5_S5_
    .private_segment_fixed_size: 132
    .sgpr_count:     34
    .sgpr_spill_count: 0
    .symbol:         _ZN9rocsolver6v33100L23getf2_npvt_small_kernelILi27E19rocblas_complex_numIdEiiPS3_EEvT1_T3_lS5_lPT2_S5_S5_.kd
    .uniform_work_group_size: 1
    .uses_dynamic_stack: false
    .vgpr_count:     256
    .vgpr_spill_count: 32
    .wavefront_size: 32
    .workgroup_processor_mode: 1
  - .args:
      - .offset:         0
        .size:           4
        .value_kind:     by_value
      - .address_space:  global
        .offset:         8
        .size:           8
        .value_kind:     global_buffer
      - .offset:         16
        .size:           8
        .value_kind:     by_value
      - .offset:         24
        .size:           4
        .value_kind:     by_value
      - .offset:         32
        .size:           8
        .value_kind:     by_value
      - .address_space:  global
        .offset:         40
        .size:           8
        .value_kind:     global_buffer
      - .offset:         48
        .size:           8
        .value_kind:     by_value
      - .offset:         56
        .size:           8
        .value_kind:     by_value
      - .address_space:  global
        .offset:         64
        .size:           8
        .value_kind:     global_buffer
      - .offset:         72
        .size:           4
        .value_kind:     by_value
      - .offset:         76
        .size:           4
        .value_kind:     by_value
      - .address_space:  global
        .offset:         80
        .size:           8
        .value_kind:     global_buffer
      - .offset:         88
        .size:           8
        .value_kind:     by_value
      - .offset:         96
        .size:           4
        .value_kind:     hidden_block_count_x
      - .offset:         100
        .size:           4
        .value_kind:     hidden_block_count_y
      - .offset:         104
        .size:           4
        .value_kind:     hidden_block_count_z
      - .offset:         108
        .size:           2
        .value_kind:     hidden_group_size_x
      - .offset:         110
        .size:           2
        .value_kind:     hidden_group_size_y
      - .offset:         112
        .size:           2
        .value_kind:     hidden_group_size_z
      - .offset:         114
        .size:           2
        .value_kind:     hidden_remainder_x
      - .offset:         116
        .size:           2
        .value_kind:     hidden_remainder_y
      - .offset:         118
        .size:           2
        .value_kind:     hidden_remainder_z
      - .offset:         136
        .size:           8
        .value_kind:     hidden_global_offset_x
      - .offset:         144
        .size:           8
        .value_kind:     hidden_global_offset_y
      - .offset:         152
        .size:           8
        .value_kind:     hidden_global_offset_z
      - .offset:         160
        .size:           2
        .value_kind:     hidden_grid_dims
      - .offset:         216
        .size:           4
        .value_kind:     hidden_dynamic_lds_size
    .group_segment_fixed_size: 0
    .kernarg_segment_align: 8
    .kernarg_segment_size: 352
    .language:       OpenCL C
    .language_version:
      - 2
      - 0
    .max_flat_workgroup_size: 512
    .name:           _ZN9rocsolver6v33100L18getf2_small_kernelILi28E19rocblas_complex_numIdEiiPS3_EEvT1_T3_lS5_lPS5_llPT2_S5_S5_S7_l
    .private_segment_fixed_size: 0
    .sgpr_count:     21
    .sgpr_spill_count: 0
    .symbol:         _ZN9rocsolver6v33100L18getf2_small_kernelILi28E19rocblas_complex_numIdEiiPS3_EEvT1_T3_lS5_lPS5_llPT2_S5_S5_S7_l.kd
    .uniform_work_group_size: 1
    .uses_dynamic_stack: false
    .vgpr_count:     140
    .vgpr_spill_count: 0
    .wavefront_size: 32
    .workgroup_processor_mode: 1
  - .args:
      - .offset:         0
        .size:           4
        .value_kind:     by_value
      - .address_space:  global
        .offset:         8
        .size:           8
        .value_kind:     global_buffer
      - .offset:         16
        .size:           8
        .value_kind:     by_value
      - .offset:         24
        .size:           4
        .value_kind:     by_value
      - .offset:         32
        .size:           8
        .value_kind:     by_value
      - .address_space:  global
        .offset:         40
        .size:           8
        .value_kind:     global_buffer
      - .offset:         48
        .size:           4
        .value_kind:     by_value
      - .offset:         52
        .size:           4
        .value_kind:     by_value
      - .offset:         56
        .size:           4
        .value_kind:     hidden_block_count_x
      - .offset:         60
        .size:           4
        .value_kind:     hidden_block_count_y
      - .offset:         64
        .size:           4
        .value_kind:     hidden_block_count_z
      - .offset:         68
        .size:           2
        .value_kind:     hidden_group_size_x
      - .offset:         70
        .size:           2
        .value_kind:     hidden_group_size_y
      - .offset:         72
        .size:           2
        .value_kind:     hidden_group_size_z
      - .offset:         74
        .size:           2
        .value_kind:     hidden_remainder_x
      - .offset:         76
        .size:           2
        .value_kind:     hidden_remainder_y
      - .offset:         78
        .size:           2
        .value_kind:     hidden_remainder_z
      - .offset:         96
        .size:           8
        .value_kind:     hidden_global_offset_x
      - .offset:         104
        .size:           8
        .value_kind:     hidden_global_offset_y
      - .offset:         112
        .size:           8
        .value_kind:     hidden_global_offset_z
      - .offset:         120
        .size:           2
        .value_kind:     hidden_grid_dims
      - .offset:         176
        .size:           4
        .value_kind:     hidden_dynamic_lds_size
    .group_segment_fixed_size: 0
    .kernarg_segment_align: 8
    .kernarg_segment_size: 312
    .language:       OpenCL C
    .language_version:
      - 2
      - 0
    .max_flat_workgroup_size: 512
    .name:           _ZN9rocsolver6v33100L23getf2_npvt_small_kernelILi28E19rocblas_complex_numIdEiiPS3_EEvT1_T3_lS5_lPT2_S5_S5_
    .private_segment_fixed_size: 164
    .sgpr_count:     42
    .sgpr_spill_count: 0
    .symbol:         _ZN9rocsolver6v33100L23getf2_npvt_small_kernelILi28E19rocblas_complex_numIdEiiPS3_EEvT1_T3_lS5_lPT2_S5_S5_.kd
    .uniform_work_group_size: 1
    .uses_dynamic_stack: false
    .vgpr_count:     256
    .vgpr_spill_count: 40
    .wavefront_size: 32
    .workgroup_processor_mode: 1
  - .args:
      - .offset:         0
        .size:           4
        .value_kind:     by_value
      - .address_space:  global
        .offset:         8
        .size:           8
        .value_kind:     global_buffer
      - .offset:         16
        .size:           8
        .value_kind:     by_value
      - .offset:         24
        .size:           4
        .value_kind:     by_value
      - .offset:         32
        .size:           8
        .value_kind:     by_value
      - .address_space:  global
        .offset:         40
        .size:           8
        .value_kind:     global_buffer
      - .offset:         48
        .size:           8
        .value_kind:     by_value
      - .offset:         56
        .size:           8
        .value_kind:     by_value
      - .address_space:  global
        .offset:         64
        .size:           8
        .value_kind:     global_buffer
      - .offset:         72
        .size:           4
        .value_kind:     by_value
      - .offset:         76
        .size:           4
        .value_kind:     by_value
      - .address_space:  global
        .offset:         80
        .size:           8
        .value_kind:     global_buffer
      - .offset:         88
        .size:           8
        .value_kind:     by_value
      - .offset:         96
        .size:           4
        .value_kind:     hidden_block_count_x
      - .offset:         100
        .size:           4
        .value_kind:     hidden_block_count_y
      - .offset:         104
        .size:           4
        .value_kind:     hidden_block_count_z
      - .offset:         108
        .size:           2
        .value_kind:     hidden_group_size_x
      - .offset:         110
        .size:           2
        .value_kind:     hidden_group_size_y
      - .offset:         112
        .size:           2
        .value_kind:     hidden_group_size_z
      - .offset:         114
        .size:           2
        .value_kind:     hidden_remainder_x
      - .offset:         116
        .size:           2
        .value_kind:     hidden_remainder_y
      - .offset:         118
        .size:           2
        .value_kind:     hidden_remainder_z
      - .offset:         136
        .size:           8
        .value_kind:     hidden_global_offset_x
      - .offset:         144
        .size:           8
        .value_kind:     hidden_global_offset_y
      - .offset:         152
        .size:           8
        .value_kind:     hidden_global_offset_z
      - .offset:         160
        .size:           2
        .value_kind:     hidden_grid_dims
      - .offset:         216
        .size:           4
        .value_kind:     hidden_dynamic_lds_size
    .group_segment_fixed_size: 0
    .kernarg_segment_align: 8
    .kernarg_segment_size: 352
    .language:       OpenCL C
    .language_version:
      - 2
      - 0
    .max_flat_workgroup_size: 512
    .name:           _ZN9rocsolver6v33100L18getf2_small_kernelILi29E19rocblas_complex_numIdEiiPS3_EEvT1_T3_lS5_lPS5_llPT2_S5_S5_S7_l
    .private_segment_fixed_size: 0
    .sgpr_count:     21
    .sgpr_spill_count: 0
    .symbol:         _ZN9rocsolver6v33100L18getf2_small_kernelILi29E19rocblas_complex_numIdEiiPS3_EEvT1_T3_lS5_lPS5_llPT2_S5_S5_S7_l.kd
    .uniform_work_group_size: 1
    .uses_dynamic_stack: false
    .vgpr_count:     151
    .vgpr_spill_count: 0
    .wavefront_size: 32
    .workgroup_processor_mode: 1
  - .args:
      - .offset:         0
        .size:           4
        .value_kind:     by_value
      - .address_space:  global
        .offset:         8
        .size:           8
        .value_kind:     global_buffer
      - .offset:         16
        .size:           8
        .value_kind:     by_value
      - .offset:         24
        .size:           4
        .value_kind:     by_value
      - .offset:         32
        .size:           8
        .value_kind:     by_value
      - .address_space:  global
        .offset:         40
        .size:           8
        .value_kind:     global_buffer
      - .offset:         48
        .size:           4
        .value_kind:     by_value
      - .offset:         52
        .size:           4
        .value_kind:     by_value
      - .offset:         56
        .size:           4
        .value_kind:     hidden_block_count_x
      - .offset:         60
        .size:           4
        .value_kind:     hidden_block_count_y
      - .offset:         64
        .size:           4
        .value_kind:     hidden_block_count_z
      - .offset:         68
        .size:           2
        .value_kind:     hidden_group_size_x
      - .offset:         70
        .size:           2
        .value_kind:     hidden_group_size_y
      - .offset:         72
        .size:           2
        .value_kind:     hidden_group_size_z
      - .offset:         74
        .size:           2
        .value_kind:     hidden_remainder_x
      - .offset:         76
        .size:           2
        .value_kind:     hidden_remainder_y
      - .offset:         78
        .size:           2
        .value_kind:     hidden_remainder_z
      - .offset:         96
        .size:           8
        .value_kind:     hidden_global_offset_x
      - .offset:         104
        .size:           8
        .value_kind:     hidden_global_offset_y
      - .offset:         112
        .size:           8
        .value_kind:     hidden_global_offset_z
      - .offset:         120
        .size:           2
        .value_kind:     hidden_grid_dims
      - .offset:         176
        .size:           4
        .value_kind:     hidden_dynamic_lds_size
    .group_segment_fixed_size: 0
    .kernarg_segment_align: 8
    .kernarg_segment_size: 312
    .language:       OpenCL C
    .language_version:
      - 2
      - 0
    .max_flat_workgroup_size: 512
    .name:           _ZN9rocsolver6v33100L23getf2_npvt_small_kernelILi29E19rocblas_complex_numIdEiiPS3_EEvT1_T3_lS5_lPT2_S5_S5_
    .private_segment_fixed_size: 204
    .sgpr_count:     42
    .sgpr_spill_count: 0
    .symbol:         _ZN9rocsolver6v33100L23getf2_npvt_small_kernelILi29E19rocblas_complex_numIdEiiPS3_EEvT1_T3_lS5_lPT2_S5_S5_.kd
    .uniform_work_group_size: 1
    .uses_dynamic_stack: false
    .vgpr_count:     256
    .vgpr_spill_count: 50
    .wavefront_size: 32
    .workgroup_processor_mode: 1
  - .args:
      - .offset:         0
        .size:           4
        .value_kind:     by_value
      - .address_space:  global
        .offset:         8
        .size:           8
        .value_kind:     global_buffer
      - .offset:         16
        .size:           8
        .value_kind:     by_value
      - .offset:         24
        .size:           4
        .value_kind:     by_value
      - .offset:         32
        .size:           8
        .value_kind:     by_value
      - .address_space:  global
        .offset:         40
        .size:           8
        .value_kind:     global_buffer
      - .offset:         48
        .size:           8
        .value_kind:     by_value
      - .offset:         56
        .size:           8
        .value_kind:     by_value
      - .address_space:  global
        .offset:         64
        .size:           8
        .value_kind:     global_buffer
      - .offset:         72
        .size:           4
        .value_kind:     by_value
      - .offset:         76
        .size:           4
        .value_kind:     by_value
      - .address_space:  global
        .offset:         80
        .size:           8
        .value_kind:     global_buffer
      - .offset:         88
        .size:           8
        .value_kind:     by_value
      - .offset:         96
        .size:           4
        .value_kind:     hidden_block_count_x
      - .offset:         100
        .size:           4
        .value_kind:     hidden_block_count_y
      - .offset:         104
        .size:           4
        .value_kind:     hidden_block_count_z
      - .offset:         108
        .size:           2
        .value_kind:     hidden_group_size_x
      - .offset:         110
        .size:           2
        .value_kind:     hidden_group_size_y
      - .offset:         112
        .size:           2
        .value_kind:     hidden_group_size_z
      - .offset:         114
        .size:           2
        .value_kind:     hidden_remainder_x
      - .offset:         116
        .size:           2
        .value_kind:     hidden_remainder_y
      - .offset:         118
        .size:           2
        .value_kind:     hidden_remainder_z
      - .offset:         136
        .size:           8
        .value_kind:     hidden_global_offset_x
      - .offset:         144
        .size:           8
        .value_kind:     hidden_global_offset_y
      - .offset:         152
        .size:           8
        .value_kind:     hidden_global_offset_z
      - .offset:         160
        .size:           2
        .value_kind:     hidden_grid_dims
      - .offset:         216
        .size:           4
        .value_kind:     hidden_dynamic_lds_size
    .group_segment_fixed_size: 0
    .kernarg_segment_align: 8
    .kernarg_segment_size: 352
    .language:       OpenCL C
    .language_version:
      - 2
      - 0
    .max_flat_workgroup_size: 512
    .name:           _ZN9rocsolver6v33100L18getf2_small_kernelILi30E19rocblas_complex_numIdEiiPS3_EEvT1_T3_lS5_lPS5_llPT2_S5_S5_S7_l
    .private_segment_fixed_size: 0
    .sgpr_count:     21
    .sgpr_spill_count: 0
    .symbol:         _ZN9rocsolver6v33100L18getf2_small_kernelILi30E19rocblas_complex_numIdEiiPS3_EEvT1_T3_lS5_lPS5_llPT2_S5_S5_S7_l.kd
    .uniform_work_group_size: 1
    .uses_dynamic_stack: false
    .vgpr_count:     155
    .vgpr_spill_count: 0
    .wavefront_size: 32
    .workgroup_processor_mode: 1
  - .args:
      - .offset:         0
        .size:           4
        .value_kind:     by_value
      - .address_space:  global
        .offset:         8
        .size:           8
        .value_kind:     global_buffer
      - .offset:         16
        .size:           8
        .value_kind:     by_value
      - .offset:         24
        .size:           4
        .value_kind:     by_value
      - .offset:         32
        .size:           8
        .value_kind:     by_value
      - .address_space:  global
        .offset:         40
        .size:           8
        .value_kind:     global_buffer
      - .offset:         48
        .size:           4
        .value_kind:     by_value
      - .offset:         52
        .size:           4
        .value_kind:     by_value
      - .offset:         56
        .size:           4
        .value_kind:     hidden_block_count_x
      - .offset:         60
        .size:           4
        .value_kind:     hidden_block_count_y
      - .offset:         64
        .size:           4
        .value_kind:     hidden_block_count_z
      - .offset:         68
        .size:           2
        .value_kind:     hidden_group_size_x
      - .offset:         70
        .size:           2
        .value_kind:     hidden_group_size_y
      - .offset:         72
        .size:           2
        .value_kind:     hidden_group_size_z
      - .offset:         74
        .size:           2
        .value_kind:     hidden_remainder_x
      - .offset:         76
        .size:           2
        .value_kind:     hidden_remainder_y
      - .offset:         78
        .size:           2
        .value_kind:     hidden_remainder_z
      - .offset:         96
        .size:           8
        .value_kind:     hidden_global_offset_x
      - .offset:         104
        .size:           8
        .value_kind:     hidden_global_offset_y
      - .offset:         112
        .size:           8
        .value_kind:     hidden_global_offset_z
      - .offset:         120
        .size:           2
        .value_kind:     hidden_grid_dims
      - .offset:         176
        .size:           4
        .value_kind:     hidden_dynamic_lds_size
    .group_segment_fixed_size: 0
    .kernarg_segment_align: 8
    .kernarg_segment_size: 312
    .language:       OpenCL C
    .language_version:
      - 2
      - 0
    .max_flat_workgroup_size: 512
    .name:           _ZN9rocsolver6v33100L23getf2_npvt_small_kernelILi30E19rocblas_complex_numIdEiiPS3_EEvT1_T3_lS5_lPT2_S5_S5_
    .private_segment_fixed_size: 244
    .sgpr_count:     22
    .sgpr_spill_count: 0
    .symbol:         _ZN9rocsolver6v33100L23getf2_npvt_small_kernelILi30E19rocblas_complex_numIdEiiPS3_EEvT1_T3_lS5_lPT2_S5_S5_.kd
    .uniform_work_group_size: 1
    .uses_dynamic_stack: false
    .vgpr_count:     256
    .vgpr_spill_count: 60
    .wavefront_size: 32
    .workgroup_processor_mode: 1
  - .args:
      - .offset:         0
        .size:           4
        .value_kind:     by_value
      - .address_space:  global
        .offset:         8
        .size:           8
        .value_kind:     global_buffer
      - .offset:         16
        .size:           8
        .value_kind:     by_value
      - .offset:         24
        .size:           4
        .value_kind:     by_value
      - .offset:         32
        .size:           8
        .value_kind:     by_value
      - .address_space:  global
        .offset:         40
        .size:           8
        .value_kind:     global_buffer
      - .offset:         48
        .size:           8
        .value_kind:     by_value
      - .offset:         56
        .size:           8
        .value_kind:     by_value
      - .address_space:  global
        .offset:         64
        .size:           8
        .value_kind:     global_buffer
      - .offset:         72
        .size:           4
        .value_kind:     by_value
      - .offset:         76
        .size:           4
        .value_kind:     by_value
      - .address_space:  global
        .offset:         80
        .size:           8
        .value_kind:     global_buffer
      - .offset:         88
        .size:           8
        .value_kind:     by_value
      - .offset:         96
        .size:           4
        .value_kind:     hidden_block_count_x
      - .offset:         100
        .size:           4
        .value_kind:     hidden_block_count_y
      - .offset:         104
        .size:           4
        .value_kind:     hidden_block_count_z
      - .offset:         108
        .size:           2
        .value_kind:     hidden_group_size_x
      - .offset:         110
        .size:           2
        .value_kind:     hidden_group_size_y
      - .offset:         112
        .size:           2
        .value_kind:     hidden_group_size_z
      - .offset:         114
        .size:           2
        .value_kind:     hidden_remainder_x
      - .offset:         116
        .size:           2
        .value_kind:     hidden_remainder_y
      - .offset:         118
        .size:           2
        .value_kind:     hidden_remainder_z
      - .offset:         136
        .size:           8
        .value_kind:     hidden_global_offset_x
      - .offset:         144
        .size:           8
        .value_kind:     hidden_global_offset_y
      - .offset:         152
        .size:           8
        .value_kind:     hidden_global_offset_z
      - .offset:         160
        .size:           2
        .value_kind:     hidden_grid_dims
      - .offset:         216
        .size:           4
        .value_kind:     hidden_dynamic_lds_size
    .group_segment_fixed_size: 0
    .kernarg_segment_align: 8
    .kernarg_segment_size: 352
    .language:       OpenCL C
    .language_version:
      - 2
      - 0
    .max_flat_workgroup_size: 512
    .name:           _ZN9rocsolver6v33100L18getf2_small_kernelILi31E19rocblas_complex_numIdEiiPS3_EEvT1_T3_lS5_lPS5_llPT2_S5_S5_S7_l
    .private_segment_fixed_size: 0
    .sgpr_count:     21
    .sgpr_spill_count: 0
    .symbol:         _ZN9rocsolver6v33100L18getf2_small_kernelILi31E19rocblas_complex_numIdEiiPS3_EEvT1_T3_lS5_lPS5_llPT2_S5_S5_S7_l.kd
    .uniform_work_group_size: 1
    .uses_dynamic_stack: false
    .vgpr_count:     152
    .vgpr_spill_count: 0
    .wavefront_size: 32
    .workgroup_processor_mode: 1
  - .args:
      - .offset:         0
        .size:           4
        .value_kind:     by_value
      - .address_space:  global
        .offset:         8
        .size:           8
        .value_kind:     global_buffer
      - .offset:         16
        .size:           8
        .value_kind:     by_value
      - .offset:         24
        .size:           4
        .value_kind:     by_value
      - .offset:         32
        .size:           8
        .value_kind:     by_value
      - .address_space:  global
        .offset:         40
        .size:           8
        .value_kind:     global_buffer
      - .offset:         48
        .size:           4
        .value_kind:     by_value
      - .offset:         52
        .size:           4
        .value_kind:     by_value
      - .offset:         56
        .size:           4
        .value_kind:     hidden_block_count_x
      - .offset:         60
        .size:           4
        .value_kind:     hidden_block_count_y
      - .offset:         64
        .size:           4
        .value_kind:     hidden_block_count_z
      - .offset:         68
        .size:           2
        .value_kind:     hidden_group_size_x
      - .offset:         70
        .size:           2
        .value_kind:     hidden_group_size_y
      - .offset:         72
        .size:           2
        .value_kind:     hidden_group_size_z
      - .offset:         74
        .size:           2
        .value_kind:     hidden_remainder_x
      - .offset:         76
        .size:           2
        .value_kind:     hidden_remainder_y
      - .offset:         78
        .size:           2
        .value_kind:     hidden_remainder_z
      - .offset:         96
        .size:           8
        .value_kind:     hidden_global_offset_x
      - .offset:         104
        .size:           8
        .value_kind:     hidden_global_offset_y
      - .offset:         112
        .size:           8
        .value_kind:     hidden_global_offset_z
      - .offset:         120
        .size:           2
        .value_kind:     hidden_grid_dims
      - .offset:         176
        .size:           4
        .value_kind:     hidden_dynamic_lds_size
    .group_segment_fixed_size: 0
    .kernarg_segment_align: 8
    .kernarg_segment_size: 312
    .language:       OpenCL C
    .language_version:
      - 2
      - 0
    .max_flat_workgroup_size: 512
    .name:           _ZN9rocsolver6v33100L23getf2_npvt_small_kernelILi31E19rocblas_complex_numIdEiiPS3_EEvT1_T3_lS5_lPT2_S5_S5_
    .private_segment_fixed_size: 284
    .sgpr_count:     22
    .sgpr_spill_count: 0
    .symbol:         _ZN9rocsolver6v33100L23getf2_npvt_small_kernelILi31E19rocblas_complex_numIdEiiPS3_EEvT1_T3_lS5_lPT2_S5_S5_.kd
    .uniform_work_group_size: 1
    .uses_dynamic_stack: false
    .vgpr_count:     256
    .vgpr_spill_count: 70
    .wavefront_size: 32
    .workgroup_processor_mode: 1
  - .args:
      - .offset:         0
        .size:           4
        .value_kind:     by_value
      - .address_space:  global
        .offset:         8
        .size:           8
        .value_kind:     global_buffer
      - .offset:         16
        .size:           8
        .value_kind:     by_value
      - .offset:         24
        .size:           4
        .value_kind:     by_value
      - .offset:         32
        .size:           8
        .value_kind:     by_value
      - .address_space:  global
        .offset:         40
        .size:           8
        .value_kind:     global_buffer
      - .offset:         48
        .size:           8
        .value_kind:     by_value
      - .offset:         56
        .size:           8
        .value_kind:     by_value
      - .address_space:  global
        .offset:         64
        .size:           8
        .value_kind:     global_buffer
      - .offset:         72
        .size:           4
        .value_kind:     by_value
      - .offset:         76
        .size:           4
        .value_kind:     by_value
      - .address_space:  global
        .offset:         80
        .size:           8
        .value_kind:     global_buffer
      - .offset:         88
        .size:           8
        .value_kind:     by_value
      - .offset:         96
        .size:           4
        .value_kind:     hidden_block_count_x
      - .offset:         100
        .size:           4
        .value_kind:     hidden_block_count_y
      - .offset:         104
        .size:           4
        .value_kind:     hidden_block_count_z
      - .offset:         108
        .size:           2
        .value_kind:     hidden_group_size_x
      - .offset:         110
        .size:           2
        .value_kind:     hidden_group_size_y
      - .offset:         112
        .size:           2
        .value_kind:     hidden_group_size_z
      - .offset:         114
        .size:           2
        .value_kind:     hidden_remainder_x
      - .offset:         116
        .size:           2
        .value_kind:     hidden_remainder_y
      - .offset:         118
        .size:           2
        .value_kind:     hidden_remainder_z
      - .offset:         136
        .size:           8
        .value_kind:     hidden_global_offset_x
      - .offset:         144
        .size:           8
        .value_kind:     hidden_global_offset_y
      - .offset:         152
        .size:           8
        .value_kind:     hidden_global_offset_z
      - .offset:         160
        .size:           2
        .value_kind:     hidden_grid_dims
      - .offset:         216
        .size:           4
        .value_kind:     hidden_dynamic_lds_size
    .group_segment_fixed_size: 0
    .kernarg_segment_align: 8
    .kernarg_segment_size: 352
    .language:       OpenCL C
    .language_version:
      - 2
      - 0
    .max_flat_workgroup_size: 512
    .name:           _ZN9rocsolver6v33100L18getf2_small_kernelILi32E19rocblas_complex_numIdEiiPS3_EEvT1_T3_lS5_lPS5_llPT2_S5_S5_S7_l
    .private_segment_fixed_size: 0
    .sgpr_count:     21
    .sgpr_spill_count: 0
    .symbol:         _ZN9rocsolver6v33100L18getf2_small_kernelILi32E19rocblas_complex_numIdEiiPS3_EEvT1_T3_lS5_lPS5_llPT2_S5_S5_S7_l.kd
    .uniform_work_group_size: 1
    .uses_dynamic_stack: false
    .vgpr_count:     157
    .vgpr_spill_count: 0
    .wavefront_size: 32
    .workgroup_processor_mode: 1
  - .args:
      - .offset:         0
        .size:           4
        .value_kind:     by_value
      - .address_space:  global
        .offset:         8
        .size:           8
        .value_kind:     global_buffer
      - .offset:         16
        .size:           8
        .value_kind:     by_value
      - .offset:         24
        .size:           4
        .value_kind:     by_value
      - .offset:         32
        .size:           8
        .value_kind:     by_value
      - .address_space:  global
        .offset:         40
        .size:           8
        .value_kind:     global_buffer
      - .offset:         48
        .size:           4
        .value_kind:     by_value
      - .offset:         52
        .size:           4
        .value_kind:     by_value
      - .offset:         56
        .size:           4
        .value_kind:     hidden_block_count_x
      - .offset:         60
        .size:           4
        .value_kind:     hidden_block_count_y
      - .offset:         64
        .size:           4
        .value_kind:     hidden_block_count_z
      - .offset:         68
        .size:           2
        .value_kind:     hidden_group_size_x
      - .offset:         70
        .size:           2
        .value_kind:     hidden_group_size_y
      - .offset:         72
        .size:           2
        .value_kind:     hidden_group_size_z
      - .offset:         74
        .size:           2
        .value_kind:     hidden_remainder_x
      - .offset:         76
        .size:           2
        .value_kind:     hidden_remainder_y
      - .offset:         78
        .size:           2
        .value_kind:     hidden_remainder_z
      - .offset:         96
        .size:           8
        .value_kind:     hidden_global_offset_x
      - .offset:         104
        .size:           8
        .value_kind:     hidden_global_offset_y
      - .offset:         112
        .size:           8
        .value_kind:     hidden_global_offset_z
      - .offset:         120
        .size:           2
        .value_kind:     hidden_grid_dims
      - .offset:         176
        .size:           4
        .value_kind:     hidden_dynamic_lds_size
    .group_segment_fixed_size: 0
    .kernarg_segment_align: 8
    .kernarg_segment_size: 312
    .language:       OpenCL C
    .language_version:
      - 2
      - 0
    .max_flat_workgroup_size: 512
    .name:           _ZN9rocsolver6v33100L23getf2_npvt_small_kernelILi32E19rocblas_complex_numIdEiiPS3_EEvT1_T3_lS5_lPT2_S5_S5_
    .private_segment_fixed_size: 308
    .sgpr_count:     22
    .sgpr_spill_count: 0
    .symbol:         _ZN9rocsolver6v33100L23getf2_npvt_small_kernelILi32E19rocblas_complex_numIdEiiPS3_EEvT1_T3_lS5_lPT2_S5_S5_.kd
    .uniform_work_group_size: 1
    .uses_dynamic_stack: false
    .vgpr_count:     256
    .vgpr_spill_count: 76
    .wavefront_size: 32
    .workgroup_processor_mode: 1
  - .args:
      - .offset:         0
        .size:           4
        .value_kind:     by_value
      - .address_space:  global
        .offset:         8
        .size:           8
        .value_kind:     global_buffer
      - .offset:         16
        .size:           8
        .value_kind:     by_value
      - .offset:         24
        .size:           4
        .value_kind:     by_value
      - .offset:         32
        .size:           8
        .value_kind:     by_value
      - .address_space:  global
        .offset:         40
        .size:           8
        .value_kind:     global_buffer
      - .offset:         48
        .size:           8
        .value_kind:     by_value
      - .offset:         56
        .size:           8
        .value_kind:     by_value
      - .address_space:  global
        .offset:         64
        .size:           8
        .value_kind:     global_buffer
      - .offset:         72
        .size:           4
        .value_kind:     by_value
      - .offset:         76
        .size:           4
        .value_kind:     by_value
      - .address_space:  global
        .offset:         80
        .size:           8
        .value_kind:     global_buffer
      - .offset:         88
        .size:           8
        .value_kind:     by_value
      - .offset:         96
        .size:           4
        .value_kind:     hidden_block_count_x
      - .offset:         100
        .size:           4
        .value_kind:     hidden_block_count_y
      - .offset:         104
        .size:           4
        .value_kind:     hidden_block_count_z
      - .offset:         108
        .size:           2
        .value_kind:     hidden_group_size_x
      - .offset:         110
        .size:           2
        .value_kind:     hidden_group_size_y
      - .offset:         112
        .size:           2
        .value_kind:     hidden_group_size_z
      - .offset:         114
        .size:           2
        .value_kind:     hidden_remainder_x
      - .offset:         116
        .size:           2
        .value_kind:     hidden_remainder_y
      - .offset:         118
        .size:           2
        .value_kind:     hidden_remainder_z
      - .offset:         136
        .size:           8
        .value_kind:     hidden_global_offset_x
      - .offset:         144
        .size:           8
        .value_kind:     hidden_global_offset_y
      - .offset:         152
        .size:           8
        .value_kind:     hidden_global_offset_z
      - .offset:         160
        .size:           2
        .value_kind:     hidden_grid_dims
      - .offset:         216
        .size:           4
        .value_kind:     hidden_dynamic_lds_size
    .group_segment_fixed_size: 0
    .kernarg_segment_align: 8
    .kernarg_segment_size: 352
    .language:       OpenCL C
    .language_version:
      - 2
      - 0
    .max_flat_workgroup_size: 512
    .name:           _ZN9rocsolver6v33100L18getf2_small_kernelILi33E19rocblas_complex_numIdEiiPS3_EEvT1_T3_lS5_lPS5_llPT2_S5_S5_S7_l
    .private_segment_fixed_size: 0
    .sgpr_count:     21
    .sgpr_spill_count: 0
    .symbol:         _ZN9rocsolver6v33100L18getf2_small_kernelILi33E19rocblas_complex_numIdEiiPS3_EEvT1_T3_lS5_lPS5_llPT2_S5_S5_S7_l.kd
    .uniform_work_group_size: 1
    .uses_dynamic_stack: false
    .vgpr_count:     183
    .vgpr_spill_count: 0
    .wavefront_size: 32
    .workgroup_processor_mode: 1
  - .args:
      - .offset:         0
        .size:           4
        .value_kind:     by_value
      - .address_space:  global
        .offset:         8
        .size:           8
        .value_kind:     global_buffer
      - .offset:         16
        .size:           8
        .value_kind:     by_value
      - .offset:         24
        .size:           4
        .value_kind:     by_value
      - .offset:         32
        .size:           8
        .value_kind:     by_value
      - .address_space:  global
        .offset:         40
        .size:           8
        .value_kind:     global_buffer
      - .offset:         48
        .size:           4
        .value_kind:     by_value
      - .offset:         52
        .size:           4
        .value_kind:     by_value
      - .offset:         56
        .size:           4
        .value_kind:     hidden_block_count_x
      - .offset:         60
        .size:           4
        .value_kind:     hidden_block_count_y
      - .offset:         64
        .size:           4
        .value_kind:     hidden_block_count_z
      - .offset:         68
        .size:           2
        .value_kind:     hidden_group_size_x
      - .offset:         70
        .size:           2
        .value_kind:     hidden_group_size_y
      - .offset:         72
        .size:           2
        .value_kind:     hidden_group_size_z
      - .offset:         74
        .size:           2
        .value_kind:     hidden_remainder_x
      - .offset:         76
        .size:           2
        .value_kind:     hidden_remainder_y
      - .offset:         78
        .size:           2
        .value_kind:     hidden_remainder_z
      - .offset:         96
        .size:           8
        .value_kind:     hidden_global_offset_x
      - .offset:         104
        .size:           8
        .value_kind:     hidden_global_offset_y
      - .offset:         112
        .size:           8
        .value_kind:     hidden_global_offset_z
      - .offset:         120
        .size:           2
        .value_kind:     hidden_grid_dims
      - .offset:         176
        .size:           4
        .value_kind:     hidden_dynamic_lds_size
    .group_segment_fixed_size: 0
    .kernarg_segment_align: 8
    .kernarg_segment_size: 312
    .language:       OpenCL C
    .language_version:
      - 2
      - 0
    .max_flat_workgroup_size: 512
    .name:           _ZN9rocsolver6v33100L23getf2_npvt_small_kernelILi33E19rocblas_complex_numIdEiiPS3_EEvT1_T3_lS5_lPT2_S5_S5_
    .private_segment_fixed_size: 364
    .sgpr_count:     22
    .sgpr_spill_count: 0
    .symbol:         _ZN9rocsolver6v33100L23getf2_npvt_small_kernelILi33E19rocblas_complex_numIdEiiPS3_EEvT1_T3_lS5_lPT2_S5_S5_.kd
    .uniform_work_group_size: 1
    .uses_dynamic_stack: false
    .vgpr_count:     256
    .vgpr_spill_count: 90
    .wavefront_size: 32
    .workgroup_processor_mode: 1
  - .args:
      - .offset:         0
        .size:           4
        .value_kind:     by_value
      - .address_space:  global
        .offset:         8
        .size:           8
        .value_kind:     global_buffer
      - .offset:         16
        .size:           8
        .value_kind:     by_value
      - .offset:         24
        .size:           4
        .value_kind:     by_value
      - .offset:         32
        .size:           8
        .value_kind:     by_value
      - .address_space:  global
        .offset:         40
        .size:           8
        .value_kind:     global_buffer
      - .offset:         48
        .size:           8
        .value_kind:     by_value
      - .offset:         56
        .size:           8
        .value_kind:     by_value
      - .address_space:  global
        .offset:         64
        .size:           8
        .value_kind:     global_buffer
      - .offset:         72
        .size:           4
        .value_kind:     by_value
      - .offset:         76
        .size:           4
        .value_kind:     by_value
      - .address_space:  global
        .offset:         80
        .size:           8
        .value_kind:     global_buffer
      - .offset:         88
        .size:           8
        .value_kind:     by_value
      - .offset:         96
        .size:           4
        .value_kind:     hidden_block_count_x
      - .offset:         100
        .size:           4
        .value_kind:     hidden_block_count_y
      - .offset:         104
        .size:           4
        .value_kind:     hidden_block_count_z
      - .offset:         108
        .size:           2
        .value_kind:     hidden_group_size_x
      - .offset:         110
        .size:           2
        .value_kind:     hidden_group_size_y
      - .offset:         112
        .size:           2
        .value_kind:     hidden_group_size_z
      - .offset:         114
        .size:           2
        .value_kind:     hidden_remainder_x
      - .offset:         116
        .size:           2
        .value_kind:     hidden_remainder_y
      - .offset:         118
        .size:           2
        .value_kind:     hidden_remainder_z
      - .offset:         136
        .size:           8
        .value_kind:     hidden_global_offset_x
      - .offset:         144
        .size:           8
        .value_kind:     hidden_global_offset_y
      - .offset:         152
        .size:           8
        .value_kind:     hidden_global_offset_z
      - .offset:         160
        .size:           2
        .value_kind:     hidden_grid_dims
      - .offset:         216
        .size:           4
        .value_kind:     hidden_dynamic_lds_size
    .group_segment_fixed_size: 0
    .kernarg_segment_align: 8
    .kernarg_segment_size: 352
    .language:       OpenCL C
    .language_version:
      - 2
      - 0
    .max_flat_workgroup_size: 512
    .name:           _ZN9rocsolver6v33100L18getf2_small_kernelILi34E19rocblas_complex_numIdEiiPS3_EEvT1_T3_lS5_lPS5_llPT2_S5_S5_S7_l
    .private_segment_fixed_size: 0
    .sgpr_count:     21
    .sgpr_spill_count: 0
    .symbol:         _ZN9rocsolver6v33100L18getf2_small_kernelILi34E19rocblas_complex_numIdEiiPS3_EEvT1_T3_lS5_lPS5_llPT2_S5_S5_S7_l.kd
    .uniform_work_group_size: 1
    .uses_dynamic_stack: false
    .vgpr_count:     187
    .vgpr_spill_count: 0
    .wavefront_size: 32
    .workgroup_processor_mode: 1
  - .args:
      - .offset:         0
        .size:           4
        .value_kind:     by_value
      - .address_space:  global
        .offset:         8
        .size:           8
        .value_kind:     global_buffer
      - .offset:         16
        .size:           8
        .value_kind:     by_value
      - .offset:         24
        .size:           4
        .value_kind:     by_value
      - .offset:         32
        .size:           8
        .value_kind:     by_value
      - .address_space:  global
        .offset:         40
        .size:           8
        .value_kind:     global_buffer
      - .offset:         48
        .size:           4
        .value_kind:     by_value
      - .offset:         52
        .size:           4
        .value_kind:     by_value
      - .offset:         56
        .size:           4
        .value_kind:     hidden_block_count_x
      - .offset:         60
        .size:           4
        .value_kind:     hidden_block_count_y
      - .offset:         64
        .size:           4
        .value_kind:     hidden_block_count_z
      - .offset:         68
        .size:           2
        .value_kind:     hidden_group_size_x
      - .offset:         70
        .size:           2
        .value_kind:     hidden_group_size_y
      - .offset:         72
        .size:           2
        .value_kind:     hidden_group_size_z
      - .offset:         74
        .size:           2
        .value_kind:     hidden_remainder_x
      - .offset:         76
        .size:           2
        .value_kind:     hidden_remainder_y
      - .offset:         78
        .size:           2
        .value_kind:     hidden_remainder_z
      - .offset:         96
        .size:           8
        .value_kind:     hidden_global_offset_x
      - .offset:         104
        .size:           8
        .value_kind:     hidden_global_offset_y
      - .offset:         112
        .size:           8
        .value_kind:     hidden_global_offset_z
      - .offset:         120
        .size:           2
        .value_kind:     hidden_grid_dims
      - .offset:         176
        .size:           4
        .value_kind:     hidden_dynamic_lds_size
    .group_segment_fixed_size: 0
    .kernarg_segment_align: 8
    .kernarg_segment_size: 312
    .language:       OpenCL C
    .language_version:
      - 2
      - 0
    .max_flat_workgroup_size: 512
    .name:           _ZN9rocsolver6v33100L23getf2_npvt_small_kernelILi34E19rocblas_complex_numIdEiiPS3_EEvT1_T3_lS5_lPT2_S5_S5_
    .private_segment_fixed_size: 396
    .sgpr_count:     22
    .sgpr_spill_count: 0
    .symbol:         _ZN9rocsolver6v33100L23getf2_npvt_small_kernelILi34E19rocblas_complex_numIdEiiPS3_EEvT1_T3_lS5_lPT2_S5_S5_.kd
    .uniform_work_group_size: 1
    .uses_dynamic_stack: false
    .vgpr_count:     256
    .vgpr_spill_count: 98
    .wavefront_size: 32
    .workgroup_processor_mode: 1
  - .args:
      - .offset:         0
        .size:           4
        .value_kind:     by_value
      - .address_space:  global
        .offset:         8
        .size:           8
        .value_kind:     global_buffer
      - .offset:         16
        .size:           8
        .value_kind:     by_value
      - .offset:         24
        .size:           4
        .value_kind:     by_value
      - .offset:         32
        .size:           8
        .value_kind:     by_value
      - .address_space:  global
        .offset:         40
        .size:           8
        .value_kind:     global_buffer
      - .offset:         48
        .size:           8
        .value_kind:     by_value
      - .offset:         56
        .size:           8
        .value_kind:     by_value
      - .address_space:  global
        .offset:         64
        .size:           8
        .value_kind:     global_buffer
      - .offset:         72
        .size:           4
        .value_kind:     by_value
      - .offset:         76
        .size:           4
        .value_kind:     by_value
      - .address_space:  global
        .offset:         80
        .size:           8
        .value_kind:     global_buffer
      - .offset:         88
        .size:           8
        .value_kind:     by_value
      - .offset:         96
        .size:           4
        .value_kind:     hidden_block_count_x
      - .offset:         100
        .size:           4
        .value_kind:     hidden_block_count_y
      - .offset:         104
        .size:           4
        .value_kind:     hidden_block_count_z
      - .offset:         108
        .size:           2
        .value_kind:     hidden_group_size_x
      - .offset:         110
        .size:           2
        .value_kind:     hidden_group_size_y
      - .offset:         112
        .size:           2
        .value_kind:     hidden_group_size_z
      - .offset:         114
        .size:           2
        .value_kind:     hidden_remainder_x
      - .offset:         116
        .size:           2
        .value_kind:     hidden_remainder_y
      - .offset:         118
        .size:           2
        .value_kind:     hidden_remainder_z
      - .offset:         136
        .size:           8
        .value_kind:     hidden_global_offset_x
      - .offset:         144
        .size:           8
        .value_kind:     hidden_global_offset_y
      - .offset:         152
        .size:           8
        .value_kind:     hidden_global_offset_z
      - .offset:         160
        .size:           2
        .value_kind:     hidden_grid_dims
      - .offset:         216
        .size:           4
        .value_kind:     hidden_dynamic_lds_size
    .group_segment_fixed_size: 0
    .kernarg_segment_align: 8
    .kernarg_segment_size: 352
    .language:       OpenCL C
    .language_version:
      - 2
      - 0
    .max_flat_workgroup_size: 512
    .name:           _ZN9rocsolver6v33100L18getf2_small_kernelILi35E19rocblas_complex_numIdEiiPS3_EEvT1_T3_lS5_lPS5_llPT2_S5_S5_S7_l
    .private_segment_fixed_size: 0
    .sgpr_count:     21
    .sgpr_spill_count: 0
    .symbol:         _ZN9rocsolver6v33100L18getf2_small_kernelILi35E19rocblas_complex_numIdEiiPS3_EEvT1_T3_lS5_lPS5_llPT2_S5_S5_S7_l.kd
    .uniform_work_group_size: 1
    .uses_dynamic_stack: false
    .vgpr_count:     183
    .vgpr_spill_count: 0
    .wavefront_size: 32
    .workgroup_processor_mode: 1
  - .args:
      - .offset:         0
        .size:           4
        .value_kind:     by_value
      - .address_space:  global
        .offset:         8
        .size:           8
        .value_kind:     global_buffer
      - .offset:         16
        .size:           8
        .value_kind:     by_value
      - .offset:         24
        .size:           4
        .value_kind:     by_value
      - .offset:         32
        .size:           8
        .value_kind:     by_value
      - .address_space:  global
        .offset:         40
        .size:           8
        .value_kind:     global_buffer
      - .offset:         48
        .size:           4
        .value_kind:     by_value
      - .offset:         52
        .size:           4
        .value_kind:     by_value
      - .offset:         56
        .size:           4
        .value_kind:     hidden_block_count_x
      - .offset:         60
        .size:           4
        .value_kind:     hidden_block_count_y
      - .offset:         64
        .size:           4
        .value_kind:     hidden_block_count_z
      - .offset:         68
        .size:           2
        .value_kind:     hidden_group_size_x
      - .offset:         70
        .size:           2
        .value_kind:     hidden_group_size_y
      - .offset:         72
        .size:           2
        .value_kind:     hidden_group_size_z
      - .offset:         74
        .size:           2
        .value_kind:     hidden_remainder_x
      - .offset:         76
        .size:           2
        .value_kind:     hidden_remainder_y
      - .offset:         78
        .size:           2
        .value_kind:     hidden_remainder_z
      - .offset:         96
        .size:           8
        .value_kind:     hidden_global_offset_x
      - .offset:         104
        .size:           8
        .value_kind:     hidden_global_offset_y
      - .offset:         112
        .size:           8
        .value_kind:     hidden_global_offset_z
      - .offset:         120
        .size:           2
        .value_kind:     hidden_grid_dims
      - .offset:         176
        .size:           4
        .value_kind:     hidden_dynamic_lds_size
    .group_segment_fixed_size: 0
    .kernarg_segment_align: 8
    .kernarg_segment_size: 312
    .language:       OpenCL C
    .language_version:
      - 2
      - 0
    .max_flat_workgroup_size: 512
    .name:           _ZN9rocsolver6v33100L23getf2_npvt_small_kernelILi35E19rocblas_complex_numIdEiiPS3_EEvT1_T3_lS5_lPT2_S5_S5_
    .private_segment_fixed_size: 444
    .sgpr_count:     22
    .sgpr_spill_count: 0
    .symbol:         _ZN9rocsolver6v33100L23getf2_npvt_small_kernelILi35E19rocblas_complex_numIdEiiPS3_EEvT1_T3_lS5_lPT2_S5_S5_.kd
    .uniform_work_group_size: 1
    .uses_dynamic_stack: false
    .vgpr_count:     256
    .vgpr_spill_count: 110
    .wavefront_size: 32
    .workgroup_processor_mode: 1
  - .args:
      - .offset:         0
        .size:           4
        .value_kind:     by_value
      - .address_space:  global
        .offset:         8
        .size:           8
        .value_kind:     global_buffer
      - .offset:         16
        .size:           8
        .value_kind:     by_value
      - .offset:         24
        .size:           4
        .value_kind:     by_value
      - .offset:         32
        .size:           8
        .value_kind:     by_value
      - .address_space:  global
        .offset:         40
        .size:           8
        .value_kind:     global_buffer
      - .offset:         48
        .size:           8
        .value_kind:     by_value
      - .offset:         56
        .size:           8
        .value_kind:     by_value
      - .address_space:  global
        .offset:         64
        .size:           8
        .value_kind:     global_buffer
      - .offset:         72
        .size:           4
        .value_kind:     by_value
      - .offset:         76
        .size:           4
        .value_kind:     by_value
      - .address_space:  global
        .offset:         80
        .size:           8
        .value_kind:     global_buffer
      - .offset:         88
        .size:           8
        .value_kind:     by_value
      - .offset:         96
        .size:           4
        .value_kind:     hidden_block_count_x
      - .offset:         100
        .size:           4
        .value_kind:     hidden_block_count_y
      - .offset:         104
        .size:           4
        .value_kind:     hidden_block_count_z
      - .offset:         108
        .size:           2
        .value_kind:     hidden_group_size_x
      - .offset:         110
        .size:           2
        .value_kind:     hidden_group_size_y
      - .offset:         112
        .size:           2
        .value_kind:     hidden_group_size_z
      - .offset:         114
        .size:           2
        .value_kind:     hidden_remainder_x
      - .offset:         116
        .size:           2
        .value_kind:     hidden_remainder_y
      - .offset:         118
        .size:           2
        .value_kind:     hidden_remainder_z
      - .offset:         136
        .size:           8
        .value_kind:     hidden_global_offset_x
      - .offset:         144
        .size:           8
        .value_kind:     hidden_global_offset_y
      - .offset:         152
        .size:           8
        .value_kind:     hidden_global_offset_z
      - .offset:         160
        .size:           2
        .value_kind:     hidden_grid_dims
      - .offset:         216
        .size:           4
        .value_kind:     hidden_dynamic_lds_size
    .group_segment_fixed_size: 0
    .kernarg_segment_align: 8
    .kernarg_segment_size: 352
    .language:       OpenCL C
    .language_version:
      - 2
      - 0
    .max_flat_workgroup_size: 512
    .name:           _ZN9rocsolver6v33100L18getf2_small_kernelILi36E19rocblas_complex_numIdEiiPS3_EEvT1_T3_lS5_lPS5_llPT2_S5_S5_S7_l
    .private_segment_fixed_size: 0
    .sgpr_count:     21
    .sgpr_spill_count: 0
    .symbol:         _ZN9rocsolver6v33100L18getf2_small_kernelILi36E19rocblas_complex_numIdEiiPS3_EEvT1_T3_lS5_lPS5_llPT2_S5_S5_S7_l.kd
    .uniform_work_group_size: 1
    .uses_dynamic_stack: false
    .vgpr_count:     187
    .vgpr_spill_count: 0
    .wavefront_size: 32
    .workgroup_processor_mode: 1
  - .args:
      - .offset:         0
        .size:           4
        .value_kind:     by_value
      - .address_space:  global
        .offset:         8
        .size:           8
        .value_kind:     global_buffer
      - .offset:         16
        .size:           8
        .value_kind:     by_value
      - .offset:         24
        .size:           4
        .value_kind:     by_value
      - .offset:         32
        .size:           8
        .value_kind:     by_value
      - .address_space:  global
        .offset:         40
        .size:           8
        .value_kind:     global_buffer
      - .offset:         48
        .size:           4
        .value_kind:     by_value
      - .offset:         52
        .size:           4
        .value_kind:     by_value
      - .offset:         56
        .size:           4
        .value_kind:     hidden_block_count_x
      - .offset:         60
        .size:           4
        .value_kind:     hidden_block_count_y
      - .offset:         64
        .size:           4
        .value_kind:     hidden_block_count_z
      - .offset:         68
        .size:           2
        .value_kind:     hidden_group_size_x
      - .offset:         70
        .size:           2
        .value_kind:     hidden_group_size_y
      - .offset:         72
        .size:           2
        .value_kind:     hidden_group_size_z
      - .offset:         74
        .size:           2
        .value_kind:     hidden_remainder_x
      - .offset:         76
        .size:           2
        .value_kind:     hidden_remainder_y
      - .offset:         78
        .size:           2
        .value_kind:     hidden_remainder_z
      - .offset:         96
        .size:           8
        .value_kind:     hidden_global_offset_x
      - .offset:         104
        .size:           8
        .value_kind:     hidden_global_offset_y
      - .offset:         112
        .size:           8
        .value_kind:     hidden_global_offset_z
      - .offset:         120
        .size:           2
        .value_kind:     hidden_grid_dims
      - .offset:         176
        .size:           4
        .value_kind:     hidden_dynamic_lds_size
    .group_segment_fixed_size: 0
    .kernarg_segment_align: 8
    .kernarg_segment_size: 312
    .language:       OpenCL C
    .language_version:
      - 2
      - 0
    .max_flat_workgroup_size: 512
    .name:           _ZN9rocsolver6v33100L23getf2_npvt_small_kernelILi36E19rocblas_complex_numIdEiiPS3_EEvT1_T3_lS5_lPT2_S5_S5_
    .private_segment_fixed_size: 468
    .sgpr_count:     22
    .sgpr_spill_count: 0
    .symbol:         _ZN9rocsolver6v33100L23getf2_npvt_small_kernelILi36E19rocblas_complex_numIdEiiPS3_EEvT1_T3_lS5_lPT2_S5_S5_.kd
    .uniform_work_group_size: 1
    .uses_dynamic_stack: false
    .vgpr_count:     256
    .vgpr_spill_count: 116
    .wavefront_size: 32
    .workgroup_processor_mode: 1
  - .args:
      - .offset:         0
        .size:           4
        .value_kind:     by_value
      - .address_space:  global
        .offset:         8
        .size:           8
        .value_kind:     global_buffer
      - .offset:         16
        .size:           8
        .value_kind:     by_value
      - .offset:         24
        .size:           4
        .value_kind:     by_value
      - .offset:         32
        .size:           8
        .value_kind:     by_value
      - .address_space:  global
        .offset:         40
        .size:           8
        .value_kind:     global_buffer
      - .offset:         48
        .size:           8
        .value_kind:     by_value
      - .offset:         56
        .size:           8
        .value_kind:     by_value
      - .address_space:  global
        .offset:         64
        .size:           8
        .value_kind:     global_buffer
      - .offset:         72
        .size:           4
        .value_kind:     by_value
      - .offset:         76
        .size:           4
        .value_kind:     by_value
      - .address_space:  global
        .offset:         80
        .size:           8
        .value_kind:     global_buffer
      - .offset:         88
        .size:           8
        .value_kind:     by_value
      - .offset:         96
        .size:           4
        .value_kind:     hidden_block_count_x
      - .offset:         100
        .size:           4
        .value_kind:     hidden_block_count_y
      - .offset:         104
        .size:           4
        .value_kind:     hidden_block_count_z
      - .offset:         108
        .size:           2
        .value_kind:     hidden_group_size_x
      - .offset:         110
        .size:           2
        .value_kind:     hidden_group_size_y
      - .offset:         112
        .size:           2
        .value_kind:     hidden_group_size_z
      - .offset:         114
        .size:           2
        .value_kind:     hidden_remainder_x
      - .offset:         116
        .size:           2
        .value_kind:     hidden_remainder_y
      - .offset:         118
        .size:           2
        .value_kind:     hidden_remainder_z
      - .offset:         136
        .size:           8
        .value_kind:     hidden_global_offset_x
      - .offset:         144
        .size:           8
        .value_kind:     hidden_global_offset_y
      - .offset:         152
        .size:           8
        .value_kind:     hidden_global_offset_z
      - .offset:         160
        .size:           2
        .value_kind:     hidden_grid_dims
      - .offset:         216
        .size:           4
        .value_kind:     hidden_dynamic_lds_size
    .group_segment_fixed_size: 0
    .kernarg_segment_align: 8
    .kernarg_segment_size: 352
    .language:       OpenCL C
    .language_version:
      - 2
      - 0
    .max_flat_workgroup_size: 512
    .name:           _ZN9rocsolver6v33100L18getf2_small_kernelILi37E19rocblas_complex_numIdEiiPS3_EEvT1_T3_lS5_lPS5_llPT2_S5_S5_S7_l
    .private_segment_fixed_size: 0
    .sgpr_count:     26
    .sgpr_spill_count: 0
    .symbol:         _ZN9rocsolver6v33100L18getf2_small_kernelILi37E19rocblas_complex_numIdEiiPS3_EEvT1_T3_lS5_lPS5_llPT2_S5_S5_S7_l.kd
    .uniform_work_group_size: 1
    .uses_dynamic_stack: false
    .vgpr_count:     183
    .vgpr_spill_count: 0
    .wavefront_size: 32
    .workgroup_processor_mode: 1
  - .args:
      - .offset:         0
        .size:           4
        .value_kind:     by_value
      - .address_space:  global
        .offset:         8
        .size:           8
        .value_kind:     global_buffer
      - .offset:         16
        .size:           8
        .value_kind:     by_value
      - .offset:         24
        .size:           4
        .value_kind:     by_value
      - .offset:         32
        .size:           8
        .value_kind:     by_value
      - .address_space:  global
        .offset:         40
        .size:           8
        .value_kind:     global_buffer
      - .offset:         48
        .size:           4
        .value_kind:     by_value
      - .offset:         52
        .size:           4
        .value_kind:     by_value
      - .offset:         56
        .size:           4
        .value_kind:     hidden_block_count_x
      - .offset:         60
        .size:           4
        .value_kind:     hidden_block_count_y
      - .offset:         64
        .size:           4
        .value_kind:     hidden_block_count_z
      - .offset:         68
        .size:           2
        .value_kind:     hidden_group_size_x
      - .offset:         70
        .size:           2
        .value_kind:     hidden_group_size_y
      - .offset:         72
        .size:           2
        .value_kind:     hidden_group_size_z
      - .offset:         74
        .size:           2
        .value_kind:     hidden_remainder_x
      - .offset:         76
        .size:           2
        .value_kind:     hidden_remainder_y
      - .offset:         78
        .size:           2
        .value_kind:     hidden_remainder_z
      - .offset:         96
        .size:           8
        .value_kind:     hidden_global_offset_x
      - .offset:         104
        .size:           8
        .value_kind:     hidden_global_offset_y
      - .offset:         112
        .size:           8
        .value_kind:     hidden_global_offset_z
      - .offset:         120
        .size:           2
        .value_kind:     hidden_grid_dims
      - .offset:         176
        .size:           4
        .value_kind:     hidden_dynamic_lds_size
    .group_segment_fixed_size: 0
    .kernarg_segment_align: 8
    .kernarg_segment_size: 312
    .language:       OpenCL C
    .language_version:
      - 2
      - 0
    .max_flat_workgroup_size: 512
    .name:           _ZN9rocsolver6v33100L23getf2_npvt_small_kernelILi37E19rocblas_complex_numIdEiiPS3_EEvT1_T3_lS5_lPT2_S5_S5_
    .private_segment_fixed_size: 508
    .sgpr_count:     22
    .sgpr_spill_count: 0
    .symbol:         _ZN9rocsolver6v33100L23getf2_npvt_small_kernelILi37E19rocblas_complex_numIdEiiPS3_EEvT1_T3_lS5_lPT2_S5_S5_.kd
    .uniform_work_group_size: 1
    .uses_dynamic_stack: false
    .vgpr_count:     256
    .vgpr_spill_count: 126
    .wavefront_size: 32
    .workgroup_processor_mode: 1
  - .args:
      - .offset:         0
        .size:           4
        .value_kind:     by_value
      - .address_space:  global
        .offset:         8
        .size:           8
        .value_kind:     global_buffer
      - .offset:         16
        .size:           8
        .value_kind:     by_value
      - .offset:         24
        .size:           4
        .value_kind:     by_value
      - .offset:         32
        .size:           8
        .value_kind:     by_value
      - .address_space:  global
        .offset:         40
        .size:           8
        .value_kind:     global_buffer
      - .offset:         48
        .size:           8
        .value_kind:     by_value
      - .offset:         56
        .size:           8
        .value_kind:     by_value
      - .address_space:  global
        .offset:         64
        .size:           8
        .value_kind:     global_buffer
      - .offset:         72
        .size:           4
        .value_kind:     by_value
      - .offset:         76
        .size:           4
        .value_kind:     by_value
      - .address_space:  global
        .offset:         80
        .size:           8
        .value_kind:     global_buffer
      - .offset:         88
        .size:           8
        .value_kind:     by_value
      - .offset:         96
        .size:           4
        .value_kind:     hidden_block_count_x
      - .offset:         100
        .size:           4
        .value_kind:     hidden_block_count_y
      - .offset:         104
        .size:           4
        .value_kind:     hidden_block_count_z
      - .offset:         108
        .size:           2
        .value_kind:     hidden_group_size_x
      - .offset:         110
        .size:           2
        .value_kind:     hidden_group_size_y
      - .offset:         112
        .size:           2
        .value_kind:     hidden_group_size_z
      - .offset:         114
        .size:           2
        .value_kind:     hidden_remainder_x
      - .offset:         116
        .size:           2
        .value_kind:     hidden_remainder_y
      - .offset:         118
        .size:           2
        .value_kind:     hidden_remainder_z
      - .offset:         136
        .size:           8
        .value_kind:     hidden_global_offset_x
      - .offset:         144
        .size:           8
        .value_kind:     hidden_global_offset_y
      - .offset:         152
        .size:           8
        .value_kind:     hidden_global_offset_z
      - .offset:         160
        .size:           2
        .value_kind:     hidden_grid_dims
      - .offset:         216
        .size:           4
        .value_kind:     hidden_dynamic_lds_size
    .group_segment_fixed_size: 0
    .kernarg_segment_align: 8
    .kernarg_segment_size: 352
    .language:       OpenCL C
    .language_version:
      - 2
      - 0
    .max_flat_workgroup_size: 512
    .name:           _ZN9rocsolver6v33100L18getf2_small_kernelILi38E19rocblas_complex_numIdEiiPS3_EEvT1_T3_lS5_lPS5_llPT2_S5_S5_S7_l
    .private_segment_fixed_size: 0
    .sgpr_count:     26
    .sgpr_spill_count: 0
    .symbol:         _ZN9rocsolver6v33100L18getf2_small_kernelILi38E19rocblas_complex_numIdEiiPS3_EEvT1_T3_lS5_lPS5_llPT2_S5_S5_S7_l.kd
    .uniform_work_group_size: 1
    .uses_dynamic_stack: false
    .vgpr_count:     187
    .vgpr_spill_count: 0
    .wavefront_size: 32
    .workgroup_processor_mode: 1
  - .args:
      - .offset:         0
        .size:           4
        .value_kind:     by_value
      - .address_space:  global
        .offset:         8
        .size:           8
        .value_kind:     global_buffer
      - .offset:         16
        .size:           8
        .value_kind:     by_value
      - .offset:         24
        .size:           4
        .value_kind:     by_value
      - .offset:         32
        .size:           8
        .value_kind:     by_value
      - .address_space:  global
        .offset:         40
        .size:           8
        .value_kind:     global_buffer
      - .offset:         48
        .size:           4
        .value_kind:     by_value
      - .offset:         52
        .size:           4
        .value_kind:     by_value
      - .offset:         56
        .size:           4
        .value_kind:     hidden_block_count_x
      - .offset:         60
        .size:           4
        .value_kind:     hidden_block_count_y
      - .offset:         64
        .size:           4
        .value_kind:     hidden_block_count_z
      - .offset:         68
        .size:           2
        .value_kind:     hidden_group_size_x
      - .offset:         70
        .size:           2
        .value_kind:     hidden_group_size_y
      - .offset:         72
        .size:           2
        .value_kind:     hidden_group_size_z
      - .offset:         74
        .size:           2
        .value_kind:     hidden_remainder_x
      - .offset:         76
        .size:           2
        .value_kind:     hidden_remainder_y
      - .offset:         78
        .size:           2
        .value_kind:     hidden_remainder_z
      - .offset:         96
        .size:           8
        .value_kind:     hidden_global_offset_x
      - .offset:         104
        .size:           8
        .value_kind:     hidden_global_offset_y
      - .offset:         112
        .size:           8
        .value_kind:     hidden_global_offset_z
      - .offset:         120
        .size:           2
        .value_kind:     hidden_grid_dims
      - .offset:         176
        .size:           4
        .value_kind:     hidden_dynamic_lds_size
    .group_segment_fixed_size: 0
    .kernarg_segment_align: 8
    .kernarg_segment_size: 312
    .language:       OpenCL C
    .language_version:
      - 2
      - 0
    .max_flat_workgroup_size: 512
    .name:           _ZN9rocsolver6v33100L23getf2_npvt_small_kernelILi38E19rocblas_complex_numIdEiiPS3_EEvT1_T3_lS5_lPT2_S5_S5_
    .private_segment_fixed_size: 548
    .sgpr_count:     22
    .sgpr_spill_count: 0
    .symbol:         _ZN9rocsolver6v33100L23getf2_npvt_small_kernelILi38E19rocblas_complex_numIdEiiPS3_EEvT1_T3_lS5_lPT2_S5_S5_.kd
    .uniform_work_group_size: 1
    .uses_dynamic_stack: false
    .vgpr_count:     256
    .vgpr_spill_count: 136
    .wavefront_size: 32
    .workgroup_processor_mode: 1
  - .args:
      - .offset:         0
        .size:           4
        .value_kind:     by_value
      - .address_space:  global
        .offset:         8
        .size:           8
        .value_kind:     global_buffer
      - .offset:         16
        .size:           8
        .value_kind:     by_value
      - .offset:         24
        .size:           4
        .value_kind:     by_value
      - .offset:         32
        .size:           8
        .value_kind:     by_value
      - .address_space:  global
        .offset:         40
        .size:           8
        .value_kind:     global_buffer
      - .offset:         48
        .size:           8
        .value_kind:     by_value
      - .offset:         56
        .size:           8
        .value_kind:     by_value
      - .address_space:  global
        .offset:         64
        .size:           8
        .value_kind:     global_buffer
      - .offset:         72
        .size:           4
        .value_kind:     by_value
      - .offset:         76
        .size:           4
        .value_kind:     by_value
      - .address_space:  global
        .offset:         80
        .size:           8
        .value_kind:     global_buffer
      - .offset:         88
        .size:           8
        .value_kind:     by_value
      - .offset:         96
        .size:           4
        .value_kind:     hidden_block_count_x
      - .offset:         100
        .size:           4
        .value_kind:     hidden_block_count_y
      - .offset:         104
        .size:           4
        .value_kind:     hidden_block_count_z
      - .offset:         108
        .size:           2
        .value_kind:     hidden_group_size_x
      - .offset:         110
        .size:           2
        .value_kind:     hidden_group_size_y
      - .offset:         112
        .size:           2
        .value_kind:     hidden_group_size_z
      - .offset:         114
        .size:           2
        .value_kind:     hidden_remainder_x
      - .offset:         116
        .size:           2
        .value_kind:     hidden_remainder_y
      - .offset:         118
        .size:           2
        .value_kind:     hidden_remainder_z
      - .offset:         136
        .size:           8
        .value_kind:     hidden_global_offset_x
      - .offset:         144
        .size:           8
        .value_kind:     hidden_global_offset_y
      - .offset:         152
        .size:           8
        .value_kind:     hidden_global_offset_z
      - .offset:         160
        .size:           2
        .value_kind:     hidden_grid_dims
      - .offset:         216
        .size:           4
        .value_kind:     hidden_dynamic_lds_size
    .group_segment_fixed_size: 0
    .kernarg_segment_align: 8
    .kernarg_segment_size: 352
    .language:       OpenCL C
    .language_version:
      - 2
      - 0
    .max_flat_workgroup_size: 512
    .name:           _ZN9rocsolver6v33100L18getf2_small_kernelILi39E19rocblas_complex_numIdEiiPS3_EEvT1_T3_lS5_lPS5_llPT2_S5_S5_S7_l
    .private_segment_fixed_size: 0
    .sgpr_count:     26
    .sgpr_spill_count: 0
    .symbol:         _ZN9rocsolver6v33100L18getf2_small_kernelILi39E19rocblas_complex_numIdEiiPS3_EEvT1_T3_lS5_lPS5_llPT2_S5_S5_S7_l.kd
    .uniform_work_group_size: 1
    .uses_dynamic_stack: false
    .vgpr_count:     184
    .vgpr_spill_count: 0
    .wavefront_size: 32
    .workgroup_processor_mode: 1
  - .args:
      - .offset:         0
        .size:           4
        .value_kind:     by_value
      - .address_space:  global
        .offset:         8
        .size:           8
        .value_kind:     global_buffer
      - .offset:         16
        .size:           8
        .value_kind:     by_value
      - .offset:         24
        .size:           4
        .value_kind:     by_value
      - .offset:         32
        .size:           8
        .value_kind:     by_value
      - .address_space:  global
        .offset:         40
        .size:           8
        .value_kind:     global_buffer
      - .offset:         48
        .size:           4
        .value_kind:     by_value
      - .offset:         52
        .size:           4
        .value_kind:     by_value
      - .offset:         56
        .size:           4
        .value_kind:     hidden_block_count_x
      - .offset:         60
        .size:           4
        .value_kind:     hidden_block_count_y
      - .offset:         64
        .size:           4
        .value_kind:     hidden_block_count_z
      - .offset:         68
        .size:           2
        .value_kind:     hidden_group_size_x
      - .offset:         70
        .size:           2
        .value_kind:     hidden_group_size_y
      - .offset:         72
        .size:           2
        .value_kind:     hidden_group_size_z
      - .offset:         74
        .size:           2
        .value_kind:     hidden_remainder_x
      - .offset:         76
        .size:           2
        .value_kind:     hidden_remainder_y
      - .offset:         78
        .size:           2
        .value_kind:     hidden_remainder_z
      - .offset:         96
        .size:           8
        .value_kind:     hidden_global_offset_x
      - .offset:         104
        .size:           8
        .value_kind:     hidden_global_offset_y
      - .offset:         112
        .size:           8
        .value_kind:     hidden_global_offset_z
      - .offset:         120
        .size:           2
        .value_kind:     hidden_grid_dims
      - .offset:         176
        .size:           4
        .value_kind:     hidden_dynamic_lds_size
    .group_segment_fixed_size: 0
    .kernarg_segment_align: 8
    .kernarg_segment_size: 312
    .language:       OpenCL C
    .language_version:
      - 2
      - 0
    .max_flat_workgroup_size: 512
    .name:           _ZN9rocsolver6v33100L23getf2_npvt_small_kernelILi39E19rocblas_complex_numIdEiiPS3_EEvT1_T3_lS5_lPT2_S5_S5_
    .private_segment_fixed_size: 588
    .sgpr_count:     22
    .sgpr_spill_count: 0
    .symbol:         _ZN9rocsolver6v33100L23getf2_npvt_small_kernelILi39E19rocblas_complex_numIdEiiPS3_EEvT1_T3_lS5_lPT2_S5_S5_.kd
    .uniform_work_group_size: 1
    .uses_dynamic_stack: false
    .vgpr_count:     256
    .vgpr_spill_count: 146
    .wavefront_size: 32
    .workgroup_processor_mode: 1
  - .args:
      - .offset:         0
        .size:           4
        .value_kind:     by_value
      - .address_space:  global
        .offset:         8
        .size:           8
        .value_kind:     global_buffer
      - .offset:         16
        .size:           8
        .value_kind:     by_value
      - .offset:         24
        .size:           4
        .value_kind:     by_value
      - .offset:         32
        .size:           8
        .value_kind:     by_value
      - .address_space:  global
        .offset:         40
        .size:           8
        .value_kind:     global_buffer
      - .offset:         48
        .size:           8
        .value_kind:     by_value
      - .offset:         56
        .size:           8
        .value_kind:     by_value
      - .address_space:  global
        .offset:         64
        .size:           8
        .value_kind:     global_buffer
      - .offset:         72
        .size:           4
        .value_kind:     by_value
      - .offset:         76
        .size:           4
        .value_kind:     by_value
      - .address_space:  global
        .offset:         80
        .size:           8
        .value_kind:     global_buffer
      - .offset:         88
        .size:           8
        .value_kind:     by_value
      - .offset:         96
        .size:           4
        .value_kind:     hidden_block_count_x
      - .offset:         100
        .size:           4
        .value_kind:     hidden_block_count_y
      - .offset:         104
        .size:           4
        .value_kind:     hidden_block_count_z
      - .offset:         108
        .size:           2
        .value_kind:     hidden_group_size_x
      - .offset:         110
        .size:           2
        .value_kind:     hidden_group_size_y
      - .offset:         112
        .size:           2
        .value_kind:     hidden_group_size_z
      - .offset:         114
        .size:           2
        .value_kind:     hidden_remainder_x
      - .offset:         116
        .size:           2
        .value_kind:     hidden_remainder_y
      - .offset:         118
        .size:           2
        .value_kind:     hidden_remainder_z
      - .offset:         136
        .size:           8
        .value_kind:     hidden_global_offset_x
      - .offset:         144
        .size:           8
        .value_kind:     hidden_global_offset_y
      - .offset:         152
        .size:           8
        .value_kind:     hidden_global_offset_z
      - .offset:         160
        .size:           2
        .value_kind:     hidden_grid_dims
      - .offset:         216
        .size:           4
        .value_kind:     hidden_dynamic_lds_size
    .group_segment_fixed_size: 0
    .kernarg_segment_align: 8
    .kernarg_segment_size: 352
    .language:       OpenCL C
    .language_version:
      - 2
      - 0
    .max_flat_workgroup_size: 512
    .name:           _ZN9rocsolver6v33100L18getf2_small_kernelILi40E19rocblas_complex_numIdEiiPS3_EEvT1_T3_lS5_lPS5_llPT2_S5_S5_S7_l
    .private_segment_fixed_size: 0
    .sgpr_count:     22
    .sgpr_spill_count: 0
    .symbol:         _ZN9rocsolver6v33100L18getf2_small_kernelILi40E19rocblas_complex_numIdEiiPS3_EEvT1_T3_lS5_lPS5_llPT2_S5_S5_S7_l.kd
    .uniform_work_group_size: 1
    .uses_dynamic_stack: false
    .vgpr_count:     188
    .vgpr_spill_count: 0
    .wavefront_size: 32
    .workgroup_processor_mode: 1
  - .args:
      - .offset:         0
        .size:           4
        .value_kind:     by_value
      - .address_space:  global
        .offset:         8
        .size:           8
        .value_kind:     global_buffer
      - .offset:         16
        .size:           8
        .value_kind:     by_value
      - .offset:         24
        .size:           4
        .value_kind:     by_value
      - .offset:         32
        .size:           8
        .value_kind:     by_value
      - .address_space:  global
        .offset:         40
        .size:           8
        .value_kind:     global_buffer
      - .offset:         48
        .size:           4
        .value_kind:     by_value
      - .offset:         52
        .size:           4
        .value_kind:     by_value
      - .offset:         56
        .size:           4
        .value_kind:     hidden_block_count_x
      - .offset:         60
        .size:           4
        .value_kind:     hidden_block_count_y
      - .offset:         64
        .size:           4
        .value_kind:     hidden_block_count_z
      - .offset:         68
        .size:           2
        .value_kind:     hidden_group_size_x
      - .offset:         70
        .size:           2
        .value_kind:     hidden_group_size_y
      - .offset:         72
        .size:           2
        .value_kind:     hidden_group_size_z
      - .offset:         74
        .size:           2
        .value_kind:     hidden_remainder_x
      - .offset:         76
        .size:           2
        .value_kind:     hidden_remainder_y
      - .offset:         78
        .size:           2
        .value_kind:     hidden_remainder_z
      - .offset:         96
        .size:           8
        .value_kind:     hidden_global_offset_x
      - .offset:         104
        .size:           8
        .value_kind:     hidden_global_offset_y
      - .offset:         112
        .size:           8
        .value_kind:     hidden_global_offset_z
      - .offset:         120
        .size:           2
        .value_kind:     hidden_grid_dims
      - .offset:         176
        .size:           4
        .value_kind:     hidden_dynamic_lds_size
    .group_segment_fixed_size: 0
    .kernarg_segment_align: 8
    .kernarg_segment_size: 312
    .language:       OpenCL C
    .language_version:
      - 2
      - 0
    .max_flat_workgroup_size: 512
    .name:           _ZN9rocsolver6v33100L23getf2_npvt_small_kernelILi40E19rocblas_complex_numIdEiiPS3_EEvT1_T3_lS5_lPT2_S5_S5_
    .private_segment_fixed_size: 628
    .sgpr_count:     22
    .sgpr_spill_count: 0
    .symbol:         _ZN9rocsolver6v33100L23getf2_npvt_small_kernelILi40E19rocblas_complex_numIdEiiPS3_EEvT1_T3_lS5_lPT2_S5_S5_.kd
    .uniform_work_group_size: 1
    .uses_dynamic_stack: false
    .vgpr_count:     256
    .vgpr_spill_count: 156
    .wavefront_size: 32
    .workgroup_processor_mode: 1
  - .args:
      - .offset:         0
        .size:           4
        .value_kind:     by_value
      - .address_space:  global
        .offset:         8
        .size:           8
        .value_kind:     global_buffer
      - .offset:         16
        .size:           8
        .value_kind:     by_value
      - .offset:         24
        .size:           4
        .value_kind:     by_value
      - .offset:         32
        .size:           8
        .value_kind:     by_value
      - .address_space:  global
        .offset:         40
        .size:           8
        .value_kind:     global_buffer
      - .offset:         48
        .size:           8
        .value_kind:     by_value
      - .offset:         56
        .size:           8
        .value_kind:     by_value
      - .address_space:  global
        .offset:         64
        .size:           8
        .value_kind:     global_buffer
      - .offset:         72
        .size:           4
        .value_kind:     by_value
      - .offset:         76
        .size:           4
        .value_kind:     by_value
      - .address_space:  global
        .offset:         80
        .size:           8
        .value_kind:     global_buffer
      - .offset:         88
        .size:           8
        .value_kind:     by_value
      - .offset:         96
        .size:           4
        .value_kind:     hidden_block_count_x
      - .offset:         100
        .size:           4
        .value_kind:     hidden_block_count_y
      - .offset:         104
        .size:           4
        .value_kind:     hidden_block_count_z
      - .offset:         108
        .size:           2
        .value_kind:     hidden_group_size_x
      - .offset:         110
        .size:           2
        .value_kind:     hidden_group_size_y
      - .offset:         112
        .size:           2
        .value_kind:     hidden_group_size_z
      - .offset:         114
        .size:           2
        .value_kind:     hidden_remainder_x
      - .offset:         116
        .size:           2
        .value_kind:     hidden_remainder_y
      - .offset:         118
        .size:           2
        .value_kind:     hidden_remainder_z
      - .offset:         136
        .size:           8
        .value_kind:     hidden_global_offset_x
      - .offset:         144
        .size:           8
        .value_kind:     hidden_global_offset_y
      - .offset:         152
        .size:           8
        .value_kind:     hidden_global_offset_z
      - .offset:         160
        .size:           2
        .value_kind:     hidden_grid_dims
      - .offset:         216
        .size:           4
        .value_kind:     hidden_dynamic_lds_size
    .group_segment_fixed_size: 0
    .kernarg_segment_align: 8
    .kernarg_segment_size: 352
    .language:       OpenCL C
    .language_version:
      - 2
      - 0
    .max_flat_workgroup_size: 512
    .name:           _ZN9rocsolver6v33100L18getf2_small_kernelILi41E19rocblas_complex_numIdEiiPS3_EEvT1_T3_lS5_lPS5_llPT2_S5_S5_S7_l
    .private_segment_fixed_size: 0
    .sgpr_count:     21
    .sgpr_spill_count: 0
    .symbol:         _ZN9rocsolver6v33100L18getf2_small_kernelILi41E19rocblas_complex_numIdEiiPS3_EEvT1_T3_lS5_lPS5_llPT2_S5_S5_S7_l.kd
    .uniform_work_group_size: 1
    .uses_dynamic_stack: false
    .vgpr_count:     247
    .vgpr_spill_count: 0
    .wavefront_size: 32
    .workgroup_processor_mode: 1
  - .args:
      - .offset:         0
        .size:           4
        .value_kind:     by_value
      - .address_space:  global
        .offset:         8
        .size:           8
        .value_kind:     global_buffer
      - .offset:         16
        .size:           8
        .value_kind:     by_value
      - .offset:         24
        .size:           4
        .value_kind:     by_value
      - .offset:         32
        .size:           8
        .value_kind:     by_value
      - .address_space:  global
        .offset:         40
        .size:           8
        .value_kind:     global_buffer
      - .offset:         48
        .size:           4
        .value_kind:     by_value
      - .offset:         52
        .size:           4
        .value_kind:     by_value
      - .offset:         56
        .size:           4
        .value_kind:     hidden_block_count_x
      - .offset:         60
        .size:           4
        .value_kind:     hidden_block_count_y
      - .offset:         64
        .size:           4
        .value_kind:     hidden_block_count_z
      - .offset:         68
        .size:           2
        .value_kind:     hidden_group_size_x
      - .offset:         70
        .size:           2
        .value_kind:     hidden_group_size_y
      - .offset:         72
        .size:           2
        .value_kind:     hidden_group_size_z
      - .offset:         74
        .size:           2
        .value_kind:     hidden_remainder_x
      - .offset:         76
        .size:           2
        .value_kind:     hidden_remainder_y
      - .offset:         78
        .size:           2
        .value_kind:     hidden_remainder_z
      - .offset:         96
        .size:           8
        .value_kind:     hidden_global_offset_x
      - .offset:         104
        .size:           8
        .value_kind:     hidden_global_offset_y
      - .offset:         112
        .size:           8
        .value_kind:     hidden_global_offset_z
      - .offset:         120
        .size:           2
        .value_kind:     hidden_grid_dims
      - .offset:         176
        .size:           4
        .value_kind:     hidden_dynamic_lds_size
    .group_segment_fixed_size: 0
    .kernarg_segment_align: 8
    .kernarg_segment_size: 312
    .language:       OpenCL C
    .language_version:
      - 2
      - 0
    .max_flat_workgroup_size: 512
    .name:           _ZN9rocsolver6v33100L23getf2_npvt_small_kernelILi41E19rocblas_complex_numIdEiiPS3_EEvT1_T3_lS5_lPT2_S5_S5_
    .private_segment_fixed_size: 668
    .sgpr_count:     22
    .sgpr_spill_count: 0
    .symbol:         _ZN9rocsolver6v33100L23getf2_npvt_small_kernelILi41E19rocblas_complex_numIdEiiPS3_EEvT1_T3_lS5_lPT2_S5_S5_.kd
    .uniform_work_group_size: 1
    .uses_dynamic_stack: false
    .vgpr_count:     256
    .vgpr_spill_count: 166
    .wavefront_size: 32
    .workgroup_processor_mode: 1
  - .args:
      - .offset:         0
        .size:           4
        .value_kind:     by_value
      - .address_space:  global
        .offset:         8
        .size:           8
        .value_kind:     global_buffer
      - .offset:         16
        .size:           8
        .value_kind:     by_value
      - .offset:         24
        .size:           4
        .value_kind:     by_value
      - .offset:         32
        .size:           8
        .value_kind:     by_value
      - .address_space:  global
        .offset:         40
        .size:           8
        .value_kind:     global_buffer
      - .offset:         48
        .size:           8
        .value_kind:     by_value
      - .offset:         56
        .size:           8
        .value_kind:     by_value
      - .address_space:  global
        .offset:         64
        .size:           8
        .value_kind:     global_buffer
      - .offset:         72
        .size:           4
        .value_kind:     by_value
      - .offset:         76
        .size:           4
        .value_kind:     by_value
      - .address_space:  global
        .offset:         80
        .size:           8
        .value_kind:     global_buffer
      - .offset:         88
        .size:           8
        .value_kind:     by_value
      - .offset:         96
        .size:           4
        .value_kind:     hidden_block_count_x
      - .offset:         100
        .size:           4
        .value_kind:     hidden_block_count_y
      - .offset:         104
        .size:           4
        .value_kind:     hidden_block_count_z
      - .offset:         108
        .size:           2
        .value_kind:     hidden_group_size_x
      - .offset:         110
        .size:           2
        .value_kind:     hidden_group_size_y
      - .offset:         112
        .size:           2
        .value_kind:     hidden_group_size_z
      - .offset:         114
        .size:           2
        .value_kind:     hidden_remainder_x
      - .offset:         116
        .size:           2
        .value_kind:     hidden_remainder_y
      - .offset:         118
        .size:           2
        .value_kind:     hidden_remainder_z
      - .offset:         136
        .size:           8
        .value_kind:     hidden_global_offset_x
      - .offset:         144
        .size:           8
        .value_kind:     hidden_global_offset_y
      - .offset:         152
        .size:           8
        .value_kind:     hidden_global_offset_z
      - .offset:         160
        .size:           2
        .value_kind:     hidden_grid_dims
      - .offset:         216
        .size:           4
        .value_kind:     hidden_dynamic_lds_size
    .group_segment_fixed_size: 0
    .kernarg_segment_align: 8
    .kernarg_segment_size: 352
    .language:       OpenCL C
    .language_version:
      - 2
      - 0
    .max_flat_workgroup_size: 512
    .name:           _ZN9rocsolver6v33100L18getf2_small_kernelILi42E19rocblas_complex_numIdEiiPS3_EEvT1_T3_lS5_lPS5_llPT2_S5_S5_S7_l
    .private_segment_fixed_size: 0
    .sgpr_count:     21
    .sgpr_spill_count: 0
    .symbol:         _ZN9rocsolver6v33100L18getf2_small_kernelILi42E19rocblas_complex_numIdEiiPS3_EEvT1_T3_lS5_lPS5_llPT2_S5_S5_S7_l.kd
    .uniform_work_group_size: 1
    .uses_dynamic_stack: false
    .vgpr_count:     251
    .vgpr_spill_count: 0
    .wavefront_size: 32
    .workgroup_processor_mode: 1
  - .args:
      - .offset:         0
        .size:           4
        .value_kind:     by_value
      - .address_space:  global
        .offset:         8
        .size:           8
        .value_kind:     global_buffer
      - .offset:         16
        .size:           8
        .value_kind:     by_value
      - .offset:         24
        .size:           4
        .value_kind:     by_value
      - .offset:         32
        .size:           8
        .value_kind:     by_value
      - .address_space:  global
        .offset:         40
        .size:           8
        .value_kind:     global_buffer
      - .offset:         48
        .size:           4
        .value_kind:     by_value
      - .offset:         52
        .size:           4
        .value_kind:     by_value
      - .offset:         56
        .size:           4
        .value_kind:     hidden_block_count_x
      - .offset:         60
        .size:           4
        .value_kind:     hidden_block_count_y
      - .offset:         64
        .size:           4
        .value_kind:     hidden_block_count_z
      - .offset:         68
        .size:           2
        .value_kind:     hidden_group_size_x
      - .offset:         70
        .size:           2
        .value_kind:     hidden_group_size_y
      - .offset:         72
        .size:           2
        .value_kind:     hidden_group_size_z
      - .offset:         74
        .size:           2
        .value_kind:     hidden_remainder_x
      - .offset:         76
        .size:           2
        .value_kind:     hidden_remainder_y
      - .offset:         78
        .size:           2
        .value_kind:     hidden_remainder_z
      - .offset:         96
        .size:           8
        .value_kind:     hidden_global_offset_x
      - .offset:         104
        .size:           8
        .value_kind:     hidden_global_offset_y
      - .offset:         112
        .size:           8
        .value_kind:     hidden_global_offset_z
      - .offset:         120
        .size:           2
        .value_kind:     hidden_grid_dims
      - .offset:         176
        .size:           4
        .value_kind:     hidden_dynamic_lds_size
    .group_segment_fixed_size: 0
    .kernarg_segment_align: 8
    .kernarg_segment_size: 312
    .language:       OpenCL C
    .language_version:
      - 2
      - 0
    .max_flat_workgroup_size: 512
    .name:           _ZN9rocsolver6v33100L23getf2_npvt_small_kernelILi42E19rocblas_complex_numIdEiiPS3_EEvT1_T3_lS5_lPT2_S5_S5_
    .private_segment_fixed_size: 732
    .sgpr_count:     22
    .sgpr_spill_count: 0
    .symbol:         _ZN9rocsolver6v33100L23getf2_npvt_small_kernelILi42E19rocblas_complex_numIdEiiPS3_EEvT1_T3_lS5_lPT2_S5_S5_.kd
    .uniform_work_group_size: 1
    .uses_dynamic_stack: false
    .vgpr_count:     256
    .vgpr_spill_count: 194
    .wavefront_size: 32
    .workgroup_processor_mode: 1
  - .args:
      - .offset:         0
        .size:           4
        .value_kind:     by_value
      - .address_space:  global
        .offset:         8
        .size:           8
        .value_kind:     global_buffer
      - .offset:         16
        .size:           8
        .value_kind:     by_value
      - .offset:         24
        .size:           4
        .value_kind:     by_value
      - .offset:         32
        .size:           8
        .value_kind:     by_value
      - .address_space:  global
        .offset:         40
        .size:           8
        .value_kind:     global_buffer
      - .offset:         48
        .size:           8
        .value_kind:     by_value
      - .offset:         56
        .size:           8
        .value_kind:     by_value
      - .address_space:  global
        .offset:         64
        .size:           8
        .value_kind:     global_buffer
      - .offset:         72
        .size:           4
        .value_kind:     by_value
      - .offset:         76
        .size:           4
        .value_kind:     by_value
      - .address_space:  global
        .offset:         80
        .size:           8
        .value_kind:     global_buffer
      - .offset:         88
        .size:           8
        .value_kind:     by_value
      - .offset:         96
        .size:           4
        .value_kind:     hidden_block_count_x
      - .offset:         100
        .size:           4
        .value_kind:     hidden_block_count_y
      - .offset:         104
        .size:           4
        .value_kind:     hidden_block_count_z
      - .offset:         108
        .size:           2
        .value_kind:     hidden_group_size_x
      - .offset:         110
        .size:           2
        .value_kind:     hidden_group_size_y
      - .offset:         112
        .size:           2
        .value_kind:     hidden_group_size_z
      - .offset:         114
        .size:           2
        .value_kind:     hidden_remainder_x
      - .offset:         116
        .size:           2
        .value_kind:     hidden_remainder_y
      - .offset:         118
        .size:           2
        .value_kind:     hidden_remainder_z
      - .offset:         136
        .size:           8
        .value_kind:     hidden_global_offset_x
      - .offset:         144
        .size:           8
        .value_kind:     hidden_global_offset_y
      - .offset:         152
        .size:           8
        .value_kind:     hidden_global_offset_z
      - .offset:         160
        .size:           2
        .value_kind:     hidden_grid_dims
      - .offset:         216
        .size:           4
        .value_kind:     hidden_dynamic_lds_size
    .group_segment_fixed_size: 0
    .kernarg_segment_align: 8
    .kernarg_segment_size: 352
    .language:       OpenCL C
    .language_version:
      - 2
      - 0
    .max_flat_workgroup_size: 512
    .name:           _ZN9rocsolver6v33100L18getf2_small_kernelILi43E19rocblas_complex_numIdEiiPS3_EEvT1_T3_lS5_lPS5_llPT2_S5_S5_S7_l
    .private_segment_fixed_size: 0
    .sgpr_count:     21
    .sgpr_spill_count: 0
    .symbol:         _ZN9rocsolver6v33100L18getf2_small_kernelILi43E19rocblas_complex_numIdEiiPS3_EEvT1_T3_lS5_lPS5_llPT2_S5_S5_S7_l.kd
    .uniform_work_group_size: 1
    .uses_dynamic_stack: false
    .vgpr_count:     247
    .vgpr_spill_count: 0
    .wavefront_size: 32
    .workgroup_processor_mode: 1
  - .args:
      - .offset:         0
        .size:           4
        .value_kind:     by_value
      - .address_space:  global
        .offset:         8
        .size:           8
        .value_kind:     global_buffer
      - .offset:         16
        .size:           8
        .value_kind:     by_value
      - .offset:         24
        .size:           4
        .value_kind:     by_value
      - .offset:         32
        .size:           8
        .value_kind:     by_value
      - .address_space:  global
        .offset:         40
        .size:           8
        .value_kind:     global_buffer
      - .offset:         48
        .size:           4
        .value_kind:     by_value
      - .offset:         52
        .size:           4
        .value_kind:     by_value
      - .offset:         56
        .size:           4
        .value_kind:     hidden_block_count_x
      - .offset:         60
        .size:           4
        .value_kind:     hidden_block_count_y
      - .offset:         64
        .size:           4
        .value_kind:     hidden_block_count_z
      - .offset:         68
        .size:           2
        .value_kind:     hidden_group_size_x
      - .offset:         70
        .size:           2
        .value_kind:     hidden_group_size_y
      - .offset:         72
        .size:           2
        .value_kind:     hidden_group_size_z
      - .offset:         74
        .size:           2
        .value_kind:     hidden_remainder_x
      - .offset:         76
        .size:           2
        .value_kind:     hidden_remainder_y
      - .offset:         78
        .size:           2
        .value_kind:     hidden_remainder_z
      - .offset:         96
        .size:           8
        .value_kind:     hidden_global_offset_x
      - .offset:         104
        .size:           8
        .value_kind:     hidden_global_offset_y
      - .offset:         112
        .size:           8
        .value_kind:     hidden_global_offset_z
      - .offset:         120
        .size:           2
        .value_kind:     hidden_grid_dims
      - .offset:         176
        .size:           4
        .value_kind:     hidden_dynamic_lds_size
    .group_segment_fixed_size: 0
    .kernarg_segment_align: 8
    .kernarg_segment_size: 312
    .language:       OpenCL C
    .language_version:
      - 2
      - 0
    .max_flat_workgroup_size: 512
    .name:           _ZN9rocsolver6v33100L23getf2_npvt_small_kernelILi43E19rocblas_complex_numIdEiiPS3_EEvT1_T3_lS5_lPT2_S5_S5_
    .private_segment_fixed_size: 820
    .sgpr_count:     22
    .sgpr_spill_count: 0
    .symbol:         _ZN9rocsolver6v33100L23getf2_npvt_small_kernelILi43E19rocblas_complex_numIdEiiPS3_EEvT1_T3_lS5_lPT2_S5_S5_.kd
    .uniform_work_group_size: 1
    .uses_dynamic_stack: false
    .vgpr_count:     256
    .vgpr_spill_count: 1148
    .wavefront_size: 32
    .workgroup_processor_mode: 1
  - .args:
      - .offset:         0
        .size:           4
        .value_kind:     by_value
      - .address_space:  global
        .offset:         8
        .size:           8
        .value_kind:     global_buffer
      - .offset:         16
        .size:           8
        .value_kind:     by_value
      - .offset:         24
        .size:           4
        .value_kind:     by_value
      - .offset:         32
        .size:           8
        .value_kind:     by_value
      - .address_space:  global
        .offset:         40
        .size:           8
        .value_kind:     global_buffer
      - .offset:         48
        .size:           8
        .value_kind:     by_value
      - .offset:         56
        .size:           8
        .value_kind:     by_value
      - .address_space:  global
        .offset:         64
        .size:           8
        .value_kind:     global_buffer
      - .offset:         72
        .size:           4
        .value_kind:     by_value
      - .offset:         76
        .size:           4
        .value_kind:     by_value
      - .address_space:  global
        .offset:         80
        .size:           8
        .value_kind:     global_buffer
      - .offset:         88
        .size:           8
        .value_kind:     by_value
      - .offset:         96
        .size:           4
        .value_kind:     hidden_block_count_x
      - .offset:         100
        .size:           4
        .value_kind:     hidden_block_count_y
      - .offset:         104
        .size:           4
        .value_kind:     hidden_block_count_z
      - .offset:         108
        .size:           2
        .value_kind:     hidden_group_size_x
      - .offset:         110
        .size:           2
        .value_kind:     hidden_group_size_y
      - .offset:         112
        .size:           2
        .value_kind:     hidden_group_size_z
      - .offset:         114
        .size:           2
        .value_kind:     hidden_remainder_x
      - .offset:         116
        .size:           2
        .value_kind:     hidden_remainder_y
      - .offset:         118
        .size:           2
        .value_kind:     hidden_remainder_z
      - .offset:         136
        .size:           8
        .value_kind:     hidden_global_offset_x
      - .offset:         144
        .size:           8
        .value_kind:     hidden_global_offset_y
      - .offset:         152
        .size:           8
        .value_kind:     hidden_global_offset_z
      - .offset:         160
        .size:           2
        .value_kind:     hidden_grid_dims
      - .offset:         216
        .size:           4
        .value_kind:     hidden_dynamic_lds_size
    .group_segment_fixed_size: 0
    .kernarg_segment_align: 8
    .kernarg_segment_size: 352
    .language:       OpenCL C
    .language_version:
      - 2
      - 0
    .max_flat_workgroup_size: 512
    .name:           _ZN9rocsolver6v33100L18getf2_small_kernelILi44E19rocblas_complex_numIdEiiPS3_EEvT1_T3_lS5_lPS5_llPT2_S5_S5_S7_l
    .private_segment_fixed_size: 0
    .sgpr_count:     21
    .sgpr_spill_count: 0
    .symbol:         _ZN9rocsolver6v33100L18getf2_small_kernelILi44E19rocblas_complex_numIdEiiPS3_EEvT1_T3_lS5_lPS5_llPT2_S5_S5_S7_l.kd
    .uniform_work_group_size: 1
    .uses_dynamic_stack: false
    .vgpr_count:     251
    .vgpr_spill_count: 0
    .wavefront_size: 32
    .workgroup_processor_mode: 1
  - .args:
      - .offset:         0
        .size:           4
        .value_kind:     by_value
      - .address_space:  global
        .offset:         8
        .size:           8
        .value_kind:     global_buffer
      - .offset:         16
        .size:           8
        .value_kind:     by_value
      - .offset:         24
        .size:           4
        .value_kind:     by_value
      - .offset:         32
        .size:           8
        .value_kind:     by_value
      - .address_space:  global
        .offset:         40
        .size:           8
        .value_kind:     global_buffer
      - .offset:         48
        .size:           4
        .value_kind:     by_value
      - .offset:         52
        .size:           4
        .value_kind:     by_value
      - .offset:         56
        .size:           4
        .value_kind:     hidden_block_count_x
      - .offset:         60
        .size:           4
        .value_kind:     hidden_block_count_y
      - .offset:         64
        .size:           4
        .value_kind:     hidden_block_count_z
      - .offset:         68
        .size:           2
        .value_kind:     hidden_group_size_x
      - .offset:         70
        .size:           2
        .value_kind:     hidden_group_size_y
      - .offset:         72
        .size:           2
        .value_kind:     hidden_group_size_z
      - .offset:         74
        .size:           2
        .value_kind:     hidden_remainder_x
      - .offset:         76
        .size:           2
        .value_kind:     hidden_remainder_y
      - .offset:         78
        .size:           2
        .value_kind:     hidden_remainder_z
      - .offset:         96
        .size:           8
        .value_kind:     hidden_global_offset_x
      - .offset:         104
        .size:           8
        .value_kind:     hidden_global_offset_y
      - .offset:         112
        .size:           8
        .value_kind:     hidden_global_offset_z
      - .offset:         120
        .size:           2
        .value_kind:     hidden_grid_dims
      - .offset:         176
        .size:           4
        .value_kind:     hidden_dynamic_lds_size
    .group_segment_fixed_size: 0
    .kernarg_segment_align: 8
    .kernarg_segment_size: 312
    .language:       OpenCL C
    .language_version:
      - 2
      - 0
    .max_flat_workgroup_size: 512
    .name:           _ZN9rocsolver6v33100L23getf2_npvt_small_kernelILi44E19rocblas_complex_numIdEiiPS3_EEvT1_T3_lS5_lPT2_S5_S5_
    .private_segment_fixed_size: 924
    .sgpr_count:     22
    .sgpr_spill_count: 0
    .symbol:         _ZN9rocsolver6v33100L23getf2_npvt_small_kernelILi44E19rocblas_complex_numIdEiiPS3_EEvT1_T3_lS5_lPT2_S5_S5_.kd
    .uniform_work_group_size: 1
    .uses_dynamic_stack: false
    .vgpr_count:     256
    .vgpr_spill_count: 1166
    .wavefront_size: 32
    .workgroup_processor_mode: 1
  - .args:
      - .offset:         0
        .size:           4
        .value_kind:     by_value
      - .address_space:  global
        .offset:         8
        .size:           8
        .value_kind:     global_buffer
      - .offset:         16
        .size:           8
        .value_kind:     by_value
      - .offset:         24
        .size:           4
        .value_kind:     by_value
      - .offset:         32
        .size:           8
        .value_kind:     by_value
      - .address_space:  global
        .offset:         40
        .size:           8
        .value_kind:     global_buffer
      - .offset:         48
        .size:           8
        .value_kind:     by_value
      - .offset:         56
        .size:           8
        .value_kind:     by_value
      - .address_space:  global
        .offset:         64
        .size:           8
        .value_kind:     global_buffer
      - .offset:         72
        .size:           4
        .value_kind:     by_value
      - .offset:         76
        .size:           4
        .value_kind:     by_value
      - .address_space:  global
        .offset:         80
        .size:           8
        .value_kind:     global_buffer
      - .offset:         88
        .size:           8
        .value_kind:     by_value
      - .offset:         96
        .size:           4
        .value_kind:     hidden_block_count_x
      - .offset:         100
        .size:           4
        .value_kind:     hidden_block_count_y
      - .offset:         104
        .size:           4
        .value_kind:     hidden_block_count_z
      - .offset:         108
        .size:           2
        .value_kind:     hidden_group_size_x
      - .offset:         110
        .size:           2
        .value_kind:     hidden_group_size_y
      - .offset:         112
        .size:           2
        .value_kind:     hidden_group_size_z
      - .offset:         114
        .size:           2
        .value_kind:     hidden_remainder_x
      - .offset:         116
        .size:           2
        .value_kind:     hidden_remainder_y
      - .offset:         118
        .size:           2
        .value_kind:     hidden_remainder_z
      - .offset:         136
        .size:           8
        .value_kind:     hidden_global_offset_x
      - .offset:         144
        .size:           8
        .value_kind:     hidden_global_offset_y
      - .offset:         152
        .size:           8
        .value_kind:     hidden_global_offset_z
      - .offset:         160
        .size:           2
        .value_kind:     hidden_grid_dims
      - .offset:         216
        .size:           4
        .value_kind:     hidden_dynamic_lds_size
    .group_segment_fixed_size: 0
    .kernarg_segment_align: 8
    .kernarg_segment_size: 352
    .language:       OpenCL C
    .language_version:
      - 2
      - 0
    .max_flat_workgroup_size: 512
    .name:           _ZN9rocsolver6v33100L18getf2_small_kernelILi45E19rocblas_complex_numIdEiiPS3_EEvT1_T3_lS5_lPS5_llPT2_S5_S5_S7_l
    .private_segment_fixed_size: 0
    .sgpr_count:     20
    .sgpr_spill_count: 0
    .symbol:         _ZN9rocsolver6v33100L18getf2_small_kernelILi45E19rocblas_complex_numIdEiiPS3_EEvT1_T3_lS5_lPS5_llPT2_S5_S5_S7_l.kd
    .uniform_work_group_size: 1
    .uses_dynamic_stack: false
    .vgpr_count:     247
    .vgpr_spill_count: 0
    .wavefront_size: 32
    .workgroup_processor_mode: 1
  - .args:
      - .offset:         0
        .size:           4
        .value_kind:     by_value
      - .address_space:  global
        .offset:         8
        .size:           8
        .value_kind:     global_buffer
      - .offset:         16
        .size:           8
        .value_kind:     by_value
      - .offset:         24
        .size:           4
        .value_kind:     by_value
      - .offset:         32
        .size:           8
        .value_kind:     by_value
      - .address_space:  global
        .offset:         40
        .size:           8
        .value_kind:     global_buffer
      - .offset:         48
        .size:           4
        .value_kind:     by_value
      - .offset:         52
        .size:           4
        .value_kind:     by_value
      - .offset:         56
        .size:           4
        .value_kind:     hidden_block_count_x
      - .offset:         60
        .size:           4
        .value_kind:     hidden_block_count_y
      - .offset:         64
        .size:           4
        .value_kind:     hidden_block_count_z
      - .offset:         68
        .size:           2
        .value_kind:     hidden_group_size_x
      - .offset:         70
        .size:           2
        .value_kind:     hidden_group_size_y
      - .offset:         72
        .size:           2
        .value_kind:     hidden_group_size_z
      - .offset:         74
        .size:           2
        .value_kind:     hidden_remainder_x
      - .offset:         76
        .size:           2
        .value_kind:     hidden_remainder_y
      - .offset:         78
        .size:           2
        .value_kind:     hidden_remainder_z
      - .offset:         96
        .size:           8
        .value_kind:     hidden_global_offset_x
      - .offset:         104
        .size:           8
        .value_kind:     hidden_global_offset_y
      - .offset:         112
        .size:           8
        .value_kind:     hidden_global_offset_z
      - .offset:         120
        .size:           2
        .value_kind:     hidden_grid_dims
      - .offset:         176
        .size:           4
        .value_kind:     hidden_dynamic_lds_size
    .group_segment_fixed_size: 0
    .kernarg_segment_align: 8
    .kernarg_segment_size: 312
    .language:       OpenCL C
    .language_version:
      - 2
      - 0
    .max_flat_workgroup_size: 512
    .name:           _ZN9rocsolver6v33100L23getf2_npvt_small_kernelILi45E19rocblas_complex_numIdEiiPS3_EEvT1_T3_lS5_lPT2_S5_S5_
    .private_segment_fixed_size: 844
    .sgpr_count:     22
    .sgpr_spill_count: 0
    .symbol:         _ZN9rocsolver6v33100L23getf2_npvt_small_kernelILi45E19rocblas_complex_numIdEiiPS3_EEvT1_T3_lS5_lPT2_S5_S5_.kd
    .uniform_work_group_size: 1
    .uses_dynamic_stack: false
    .vgpr_count:     256
    .vgpr_spill_count: 222
    .wavefront_size: 32
    .workgroup_processor_mode: 1
  - .args:
      - .offset:         0
        .size:           4
        .value_kind:     by_value
      - .address_space:  global
        .offset:         8
        .size:           8
        .value_kind:     global_buffer
      - .offset:         16
        .size:           8
        .value_kind:     by_value
      - .offset:         24
        .size:           4
        .value_kind:     by_value
      - .offset:         32
        .size:           8
        .value_kind:     by_value
      - .address_space:  global
        .offset:         40
        .size:           8
        .value_kind:     global_buffer
      - .offset:         48
        .size:           8
        .value_kind:     by_value
      - .offset:         56
        .size:           8
        .value_kind:     by_value
      - .address_space:  global
        .offset:         64
        .size:           8
        .value_kind:     global_buffer
      - .offset:         72
        .size:           4
        .value_kind:     by_value
      - .offset:         76
        .size:           4
        .value_kind:     by_value
      - .address_space:  global
        .offset:         80
        .size:           8
        .value_kind:     global_buffer
      - .offset:         88
        .size:           8
        .value_kind:     by_value
      - .offset:         96
        .size:           4
        .value_kind:     hidden_block_count_x
      - .offset:         100
        .size:           4
        .value_kind:     hidden_block_count_y
      - .offset:         104
        .size:           4
        .value_kind:     hidden_block_count_z
      - .offset:         108
        .size:           2
        .value_kind:     hidden_group_size_x
      - .offset:         110
        .size:           2
        .value_kind:     hidden_group_size_y
      - .offset:         112
        .size:           2
        .value_kind:     hidden_group_size_z
      - .offset:         114
        .size:           2
        .value_kind:     hidden_remainder_x
      - .offset:         116
        .size:           2
        .value_kind:     hidden_remainder_y
      - .offset:         118
        .size:           2
        .value_kind:     hidden_remainder_z
      - .offset:         136
        .size:           8
        .value_kind:     hidden_global_offset_x
      - .offset:         144
        .size:           8
        .value_kind:     hidden_global_offset_y
      - .offset:         152
        .size:           8
        .value_kind:     hidden_global_offset_z
      - .offset:         160
        .size:           2
        .value_kind:     hidden_grid_dims
      - .offset:         216
        .size:           4
        .value_kind:     hidden_dynamic_lds_size
    .group_segment_fixed_size: 0
    .kernarg_segment_align: 8
    .kernarg_segment_size: 352
    .language:       OpenCL C
    .language_version:
      - 2
      - 0
    .max_flat_workgroup_size: 512
    .name:           _ZN9rocsolver6v33100L18getf2_small_kernelILi46E19rocblas_complex_numIdEiiPS3_EEvT1_T3_lS5_lPS5_llPT2_S5_S5_S7_l
    .private_segment_fixed_size: 0
    .sgpr_count:     20
    .sgpr_spill_count: 0
    .symbol:         _ZN9rocsolver6v33100L18getf2_small_kernelILi46E19rocblas_complex_numIdEiiPS3_EEvT1_T3_lS5_lPS5_llPT2_S5_S5_S7_l.kd
    .uniform_work_group_size: 1
    .uses_dynamic_stack: false
    .vgpr_count:     251
    .vgpr_spill_count: 0
    .wavefront_size: 32
    .workgroup_processor_mode: 1
  - .args:
      - .offset:         0
        .size:           4
        .value_kind:     by_value
      - .address_space:  global
        .offset:         8
        .size:           8
        .value_kind:     global_buffer
      - .offset:         16
        .size:           8
        .value_kind:     by_value
      - .offset:         24
        .size:           4
        .value_kind:     by_value
      - .offset:         32
        .size:           8
        .value_kind:     by_value
      - .address_space:  global
        .offset:         40
        .size:           8
        .value_kind:     global_buffer
      - .offset:         48
        .size:           4
        .value_kind:     by_value
      - .offset:         52
        .size:           4
        .value_kind:     by_value
      - .offset:         56
        .size:           4
        .value_kind:     hidden_block_count_x
      - .offset:         60
        .size:           4
        .value_kind:     hidden_block_count_y
      - .offset:         64
        .size:           4
        .value_kind:     hidden_block_count_z
      - .offset:         68
        .size:           2
        .value_kind:     hidden_group_size_x
      - .offset:         70
        .size:           2
        .value_kind:     hidden_group_size_y
      - .offset:         72
        .size:           2
        .value_kind:     hidden_group_size_z
      - .offset:         74
        .size:           2
        .value_kind:     hidden_remainder_x
      - .offset:         76
        .size:           2
        .value_kind:     hidden_remainder_y
      - .offset:         78
        .size:           2
        .value_kind:     hidden_remainder_z
      - .offset:         96
        .size:           8
        .value_kind:     hidden_global_offset_x
      - .offset:         104
        .size:           8
        .value_kind:     hidden_global_offset_y
      - .offset:         112
        .size:           8
        .value_kind:     hidden_global_offset_z
      - .offset:         120
        .size:           2
        .value_kind:     hidden_grid_dims
      - .offset:         176
        .size:           4
        .value_kind:     hidden_dynamic_lds_size
    .group_segment_fixed_size: 0
    .kernarg_segment_align: 8
    .kernarg_segment_size: 312
    .language:       OpenCL C
    .language_version:
      - 2
      - 0
    .max_flat_workgroup_size: 512
    .name:           _ZN9rocsolver6v33100L23getf2_npvt_small_kernelILi46E19rocblas_complex_numIdEiiPS3_EEvT1_T3_lS5_lPT2_S5_S5_
    .private_segment_fixed_size: 868
    .sgpr_count:     22
    .sgpr_spill_count: 0
    .symbol:         _ZN9rocsolver6v33100L23getf2_npvt_small_kernelILi46E19rocblas_complex_numIdEiiPS3_EEvT1_T3_lS5_lPT2_S5_S5_.kd
    .uniform_work_group_size: 1
    .uses_dynamic_stack: false
    .vgpr_count:     256
    .vgpr_spill_count: 216
    .wavefront_size: 32
    .workgroup_processor_mode: 1
  - .args:
      - .offset:         0
        .size:           4
        .value_kind:     by_value
      - .address_space:  global
        .offset:         8
        .size:           8
        .value_kind:     global_buffer
      - .offset:         16
        .size:           8
        .value_kind:     by_value
      - .offset:         24
        .size:           4
        .value_kind:     by_value
      - .offset:         32
        .size:           8
        .value_kind:     by_value
      - .address_space:  global
        .offset:         40
        .size:           8
        .value_kind:     global_buffer
      - .offset:         48
        .size:           8
        .value_kind:     by_value
      - .offset:         56
        .size:           8
        .value_kind:     by_value
      - .address_space:  global
        .offset:         64
        .size:           8
        .value_kind:     global_buffer
      - .offset:         72
        .size:           4
        .value_kind:     by_value
      - .offset:         76
        .size:           4
        .value_kind:     by_value
      - .address_space:  global
        .offset:         80
        .size:           8
        .value_kind:     global_buffer
      - .offset:         88
        .size:           8
        .value_kind:     by_value
      - .offset:         96
        .size:           4
        .value_kind:     hidden_block_count_x
      - .offset:         100
        .size:           4
        .value_kind:     hidden_block_count_y
      - .offset:         104
        .size:           4
        .value_kind:     hidden_block_count_z
      - .offset:         108
        .size:           2
        .value_kind:     hidden_group_size_x
      - .offset:         110
        .size:           2
        .value_kind:     hidden_group_size_y
      - .offset:         112
        .size:           2
        .value_kind:     hidden_group_size_z
      - .offset:         114
        .size:           2
        .value_kind:     hidden_remainder_x
      - .offset:         116
        .size:           2
        .value_kind:     hidden_remainder_y
      - .offset:         118
        .size:           2
        .value_kind:     hidden_remainder_z
      - .offset:         136
        .size:           8
        .value_kind:     hidden_global_offset_x
      - .offset:         144
        .size:           8
        .value_kind:     hidden_global_offset_y
      - .offset:         152
        .size:           8
        .value_kind:     hidden_global_offset_z
      - .offset:         160
        .size:           2
        .value_kind:     hidden_grid_dims
      - .offset:         216
        .size:           4
        .value_kind:     hidden_dynamic_lds_size
    .group_segment_fixed_size: 0
    .kernarg_segment_align: 8
    .kernarg_segment_size: 352
    .language:       OpenCL C
    .language_version:
      - 2
      - 0
    .max_flat_workgroup_size: 512
    .name:           _ZN9rocsolver6v33100L18getf2_small_kernelILi47E19rocblas_complex_numIdEiiPS3_EEvT1_T3_lS5_lPS5_llPT2_S5_S5_S7_l
    .private_segment_fixed_size: 0
    .sgpr_count:     20
    .sgpr_spill_count: 0
    .symbol:         _ZN9rocsolver6v33100L18getf2_small_kernelILi47E19rocblas_complex_numIdEiiPS3_EEvT1_T3_lS5_lPS5_llPT2_S5_S5_S7_l.kd
    .uniform_work_group_size: 1
    .uses_dynamic_stack: false
    .vgpr_count:     247
    .vgpr_spill_count: 0
    .wavefront_size: 32
    .workgroup_processor_mode: 1
  - .args:
      - .offset:         0
        .size:           4
        .value_kind:     by_value
      - .address_space:  global
        .offset:         8
        .size:           8
        .value_kind:     global_buffer
      - .offset:         16
        .size:           8
        .value_kind:     by_value
      - .offset:         24
        .size:           4
        .value_kind:     by_value
      - .offset:         32
        .size:           8
        .value_kind:     by_value
      - .address_space:  global
        .offset:         40
        .size:           8
        .value_kind:     global_buffer
      - .offset:         48
        .size:           4
        .value_kind:     by_value
      - .offset:         52
        .size:           4
        .value_kind:     by_value
      - .offset:         56
        .size:           4
        .value_kind:     hidden_block_count_x
      - .offset:         60
        .size:           4
        .value_kind:     hidden_block_count_y
      - .offset:         64
        .size:           4
        .value_kind:     hidden_block_count_z
      - .offset:         68
        .size:           2
        .value_kind:     hidden_group_size_x
      - .offset:         70
        .size:           2
        .value_kind:     hidden_group_size_y
      - .offset:         72
        .size:           2
        .value_kind:     hidden_group_size_z
      - .offset:         74
        .size:           2
        .value_kind:     hidden_remainder_x
      - .offset:         76
        .size:           2
        .value_kind:     hidden_remainder_y
      - .offset:         78
        .size:           2
        .value_kind:     hidden_remainder_z
      - .offset:         96
        .size:           8
        .value_kind:     hidden_global_offset_x
      - .offset:         104
        .size:           8
        .value_kind:     hidden_global_offset_y
      - .offset:         112
        .size:           8
        .value_kind:     hidden_global_offset_z
      - .offset:         120
        .size:           2
        .value_kind:     hidden_grid_dims
      - .offset:         176
        .size:           4
        .value_kind:     hidden_dynamic_lds_size
    .group_segment_fixed_size: 0
    .kernarg_segment_align: 8
    .kernarg_segment_size: 312
    .language:       OpenCL C
    .language_version:
      - 2
      - 0
    .max_flat_workgroup_size: 512
    .name:           _ZN9rocsolver6v33100L23getf2_npvt_small_kernelILi47E19rocblas_complex_numIdEiiPS3_EEvT1_T3_lS5_lPT2_S5_S5_
    .private_segment_fixed_size: 932
    .sgpr_count:     22
    .sgpr_spill_count: 0
    .symbol:         _ZN9rocsolver6v33100L23getf2_npvt_small_kernelILi47E19rocblas_complex_numIdEiiPS3_EEvT1_T3_lS5_lPT2_S5_S5_.kd
    .uniform_work_group_size: 1
    .uses_dynamic_stack: false
    .vgpr_count:     256
    .vgpr_spill_count: 232
    .wavefront_size: 32
    .workgroup_processor_mode: 1
  - .args:
      - .offset:         0
        .size:           4
        .value_kind:     by_value
      - .address_space:  global
        .offset:         8
        .size:           8
        .value_kind:     global_buffer
      - .offset:         16
        .size:           8
        .value_kind:     by_value
      - .offset:         24
        .size:           4
        .value_kind:     by_value
      - .offset:         32
        .size:           8
        .value_kind:     by_value
      - .address_space:  global
        .offset:         40
        .size:           8
        .value_kind:     global_buffer
      - .offset:         48
        .size:           8
        .value_kind:     by_value
      - .offset:         56
        .size:           8
        .value_kind:     by_value
      - .address_space:  global
        .offset:         64
        .size:           8
        .value_kind:     global_buffer
      - .offset:         72
        .size:           4
        .value_kind:     by_value
      - .offset:         76
        .size:           4
        .value_kind:     by_value
      - .address_space:  global
        .offset:         80
        .size:           8
        .value_kind:     global_buffer
      - .offset:         88
        .size:           8
        .value_kind:     by_value
      - .offset:         96
        .size:           4
        .value_kind:     hidden_block_count_x
      - .offset:         100
        .size:           4
        .value_kind:     hidden_block_count_y
      - .offset:         104
        .size:           4
        .value_kind:     hidden_block_count_z
      - .offset:         108
        .size:           2
        .value_kind:     hidden_group_size_x
      - .offset:         110
        .size:           2
        .value_kind:     hidden_group_size_y
      - .offset:         112
        .size:           2
        .value_kind:     hidden_group_size_z
      - .offset:         114
        .size:           2
        .value_kind:     hidden_remainder_x
      - .offset:         116
        .size:           2
        .value_kind:     hidden_remainder_y
      - .offset:         118
        .size:           2
        .value_kind:     hidden_remainder_z
      - .offset:         136
        .size:           8
        .value_kind:     hidden_global_offset_x
      - .offset:         144
        .size:           8
        .value_kind:     hidden_global_offset_y
      - .offset:         152
        .size:           8
        .value_kind:     hidden_global_offset_z
      - .offset:         160
        .size:           2
        .value_kind:     hidden_grid_dims
      - .offset:         216
        .size:           4
        .value_kind:     hidden_dynamic_lds_size
    .group_segment_fixed_size: 0
    .kernarg_segment_align: 8
    .kernarg_segment_size: 352
    .language:       OpenCL C
    .language_version:
      - 2
      - 0
    .max_flat_workgroup_size: 512
    .name:           _ZN9rocsolver6v33100L18getf2_small_kernelILi48E19rocblas_complex_numIdEiiPS3_EEvT1_T3_lS5_lPS5_llPT2_S5_S5_S7_l
    .private_segment_fixed_size: 0
    .sgpr_count:     22
    .sgpr_spill_count: 0
    .symbol:         _ZN9rocsolver6v33100L18getf2_small_kernelILi48E19rocblas_complex_numIdEiiPS3_EEvT1_T3_lS5_lPS5_llPT2_S5_S5_S7_l.kd
    .uniform_work_group_size: 1
    .uses_dynamic_stack: false
    .vgpr_count:     251
    .vgpr_spill_count: 0
    .wavefront_size: 32
    .workgroup_processor_mode: 1
  - .args:
      - .offset:         0
        .size:           4
        .value_kind:     by_value
      - .address_space:  global
        .offset:         8
        .size:           8
        .value_kind:     global_buffer
      - .offset:         16
        .size:           8
        .value_kind:     by_value
      - .offset:         24
        .size:           4
        .value_kind:     by_value
      - .offset:         32
        .size:           8
        .value_kind:     by_value
      - .address_space:  global
        .offset:         40
        .size:           8
        .value_kind:     global_buffer
      - .offset:         48
        .size:           4
        .value_kind:     by_value
      - .offset:         52
        .size:           4
        .value_kind:     by_value
      - .offset:         56
        .size:           4
        .value_kind:     hidden_block_count_x
      - .offset:         60
        .size:           4
        .value_kind:     hidden_block_count_y
      - .offset:         64
        .size:           4
        .value_kind:     hidden_block_count_z
      - .offset:         68
        .size:           2
        .value_kind:     hidden_group_size_x
      - .offset:         70
        .size:           2
        .value_kind:     hidden_group_size_y
      - .offset:         72
        .size:           2
        .value_kind:     hidden_group_size_z
      - .offset:         74
        .size:           2
        .value_kind:     hidden_remainder_x
      - .offset:         76
        .size:           2
        .value_kind:     hidden_remainder_y
      - .offset:         78
        .size:           2
        .value_kind:     hidden_remainder_z
      - .offset:         96
        .size:           8
        .value_kind:     hidden_global_offset_x
      - .offset:         104
        .size:           8
        .value_kind:     hidden_global_offset_y
      - .offset:         112
        .size:           8
        .value_kind:     hidden_global_offset_z
      - .offset:         120
        .size:           2
        .value_kind:     hidden_grid_dims
      - .offset:         176
        .size:           4
        .value_kind:     hidden_dynamic_lds_size
    .group_segment_fixed_size: 0
    .kernarg_segment_align: 8
    .kernarg_segment_size: 312
    .language:       OpenCL C
    .language_version:
      - 2
      - 0
    .max_flat_workgroup_size: 512
    .name:           _ZN9rocsolver6v33100L23getf2_npvt_small_kernelILi48E19rocblas_complex_numIdEiiPS3_EEvT1_T3_lS5_lPT2_S5_S5_
    .private_segment_fixed_size: 1004
    .sgpr_count:     22
    .sgpr_spill_count: 0
    .symbol:         _ZN9rocsolver6v33100L23getf2_npvt_small_kernelILi48E19rocblas_complex_numIdEiiPS3_EEvT1_T3_lS5_lPT2_S5_S5_.kd
    .uniform_work_group_size: 1
    .uses_dynamic_stack: false
    .vgpr_count:     256
    .vgpr_spill_count: 282
    .wavefront_size: 32
    .workgroup_processor_mode: 1
  - .args:
      - .offset:         0
        .size:           4
        .value_kind:     by_value
      - .address_space:  global
        .offset:         8
        .size:           8
        .value_kind:     global_buffer
      - .offset:         16
        .size:           8
        .value_kind:     by_value
      - .offset:         24
        .size:           4
        .value_kind:     by_value
      - .offset:         32
        .size:           8
        .value_kind:     by_value
      - .address_space:  global
        .offset:         40
        .size:           8
        .value_kind:     global_buffer
      - .offset:         48
        .size:           8
        .value_kind:     by_value
      - .offset:         56
        .size:           8
        .value_kind:     by_value
      - .address_space:  global
        .offset:         64
        .size:           8
        .value_kind:     global_buffer
      - .offset:         72
        .size:           4
        .value_kind:     by_value
      - .offset:         76
        .size:           4
        .value_kind:     by_value
      - .address_space:  global
        .offset:         80
        .size:           8
        .value_kind:     global_buffer
      - .offset:         88
        .size:           8
        .value_kind:     by_value
      - .offset:         96
        .size:           4
        .value_kind:     hidden_block_count_x
      - .offset:         100
        .size:           4
        .value_kind:     hidden_block_count_y
      - .offset:         104
        .size:           4
        .value_kind:     hidden_block_count_z
      - .offset:         108
        .size:           2
        .value_kind:     hidden_group_size_x
      - .offset:         110
        .size:           2
        .value_kind:     hidden_group_size_y
      - .offset:         112
        .size:           2
        .value_kind:     hidden_group_size_z
      - .offset:         114
        .size:           2
        .value_kind:     hidden_remainder_x
      - .offset:         116
        .size:           2
        .value_kind:     hidden_remainder_y
      - .offset:         118
        .size:           2
        .value_kind:     hidden_remainder_z
      - .offset:         136
        .size:           8
        .value_kind:     hidden_global_offset_x
      - .offset:         144
        .size:           8
        .value_kind:     hidden_global_offset_y
      - .offset:         152
        .size:           8
        .value_kind:     hidden_global_offset_z
      - .offset:         160
        .size:           2
        .value_kind:     hidden_grid_dims
      - .offset:         216
        .size:           4
        .value_kind:     hidden_dynamic_lds_size
    .group_segment_fixed_size: 0
    .kernarg_segment_align: 8
    .kernarg_segment_size: 352
    .language:       OpenCL C
    .language_version:
      - 2
      - 0
    .max_flat_workgroup_size: 512
    .name:           _ZN9rocsolver6v33100L18getf2_small_kernelILi49E19rocblas_complex_numIdEiiPS3_EEvT1_T3_lS5_lPS5_llPT2_S5_S5_S7_l
    .private_segment_fixed_size: 0
    .sgpr_count:     22
    .sgpr_spill_count: 0
    .symbol:         _ZN9rocsolver6v33100L18getf2_small_kernelILi49E19rocblas_complex_numIdEiiPS3_EEvT1_T3_lS5_lPS5_llPT2_S5_S5_S7_l.kd
    .uniform_work_group_size: 1
    .uses_dynamic_stack: false
    .vgpr_count:     247
    .vgpr_spill_count: 0
    .wavefront_size: 32
    .workgroup_processor_mode: 1
  - .args:
      - .offset:         0
        .size:           4
        .value_kind:     by_value
      - .address_space:  global
        .offset:         8
        .size:           8
        .value_kind:     global_buffer
      - .offset:         16
        .size:           8
        .value_kind:     by_value
      - .offset:         24
        .size:           4
        .value_kind:     by_value
      - .offset:         32
        .size:           8
        .value_kind:     by_value
      - .address_space:  global
        .offset:         40
        .size:           8
        .value_kind:     global_buffer
      - .offset:         48
        .size:           4
        .value_kind:     by_value
      - .offset:         52
        .size:           4
        .value_kind:     by_value
      - .offset:         56
        .size:           4
        .value_kind:     hidden_block_count_x
      - .offset:         60
        .size:           4
        .value_kind:     hidden_block_count_y
      - .offset:         64
        .size:           4
        .value_kind:     hidden_block_count_z
      - .offset:         68
        .size:           2
        .value_kind:     hidden_group_size_x
      - .offset:         70
        .size:           2
        .value_kind:     hidden_group_size_y
      - .offset:         72
        .size:           2
        .value_kind:     hidden_group_size_z
      - .offset:         74
        .size:           2
        .value_kind:     hidden_remainder_x
      - .offset:         76
        .size:           2
        .value_kind:     hidden_remainder_y
      - .offset:         78
        .size:           2
        .value_kind:     hidden_remainder_z
      - .offset:         96
        .size:           8
        .value_kind:     hidden_global_offset_x
      - .offset:         104
        .size:           8
        .value_kind:     hidden_global_offset_y
      - .offset:         112
        .size:           8
        .value_kind:     hidden_global_offset_z
      - .offset:         120
        .size:           2
        .value_kind:     hidden_grid_dims
      - .offset:         176
        .size:           4
        .value_kind:     hidden_dynamic_lds_size
    .group_segment_fixed_size: 0
    .kernarg_segment_align: 8
    .kernarg_segment_size: 312
    .language:       OpenCL C
    .language_version:
      - 2
      - 0
    .max_flat_workgroup_size: 512
    .name:           _ZN9rocsolver6v33100L23getf2_npvt_small_kernelILi49E19rocblas_complex_numIdEiiPS3_EEvT1_T3_lS5_lPT2_S5_S5_
    .private_segment_fixed_size: 1028
    .sgpr_count:     22
    .sgpr_spill_count: 0
    .symbol:         _ZN9rocsolver6v33100L23getf2_npvt_small_kernelILi49E19rocblas_complex_numIdEiiPS3_EEvT1_T3_lS5_lPT2_S5_S5_.kd
    .uniform_work_group_size: 1
    .uses_dynamic_stack: false
    .vgpr_count:     256
    .vgpr_spill_count: 300
    .wavefront_size: 32
    .workgroup_processor_mode: 1
  - .args:
      - .offset:         0
        .size:           4
        .value_kind:     by_value
      - .address_space:  global
        .offset:         8
        .size:           8
        .value_kind:     global_buffer
      - .offset:         16
        .size:           8
        .value_kind:     by_value
      - .offset:         24
        .size:           4
        .value_kind:     by_value
      - .offset:         32
        .size:           8
        .value_kind:     by_value
      - .address_space:  global
        .offset:         40
        .size:           8
        .value_kind:     global_buffer
      - .offset:         48
        .size:           8
        .value_kind:     by_value
      - .offset:         56
        .size:           8
        .value_kind:     by_value
      - .address_space:  global
        .offset:         64
        .size:           8
        .value_kind:     global_buffer
      - .offset:         72
        .size:           4
        .value_kind:     by_value
      - .offset:         76
        .size:           4
        .value_kind:     by_value
      - .address_space:  global
        .offset:         80
        .size:           8
        .value_kind:     global_buffer
      - .offset:         88
        .size:           8
        .value_kind:     by_value
      - .offset:         96
        .size:           4
        .value_kind:     hidden_block_count_x
      - .offset:         100
        .size:           4
        .value_kind:     hidden_block_count_y
      - .offset:         104
        .size:           4
        .value_kind:     hidden_block_count_z
      - .offset:         108
        .size:           2
        .value_kind:     hidden_group_size_x
      - .offset:         110
        .size:           2
        .value_kind:     hidden_group_size_y
      - .offset:         112
        .size:           2
        .value_kind:     hidden_group_size_z
      - .offset:         114
        .size:           2
        .value_kind:     hidden_remainder_x
      - .offset:         116
        .size:           2
        .value_kind:     hidden_remainder_y
      - .offset:         118
        .size:           2
        .value_kind:     hidden_remainder_z
      - .offset:         136
        .size:           8
        .value_kind:     hidden_global_offset_x
      - .offset:         144
        .size:           8
        .value_kind:     hidden_global_offset_y
      - .offset:         152
        .size:           8
        .value_kind:     hidden_global_offset_z
      - .offset:         160
        .size:           2
        .value_kind:     hidden_grid_dims
      - .offset:         216
        .size:           4
        .value_kind:     hidden_dynamic_lds_size
    .group_segment_fixed_size: 0
    .kernarg_segment_align: 8
    .kernarg_segment_size: 352
    .language:       OpenCL C
    .language_version:
      - 2
      - 0
    .max_flat_workgroup_size: 512
    .name:           _ZN9rocsolver6v33100L18getf2_small_kernelILi50E19rocblas_complex_numIdEiiPS3_EEvT1_T3_lS5_lPS5_llPT2_S5_S5_S7_l
    .private_segment_fixed_size: 0
    .sgpr_count:     22
    .sgpr_spill_count: 0
    .symbol:         _ZN9rocsolver6v33100L18getf2_small_kernelILi50E19rocblas_complex_numIdEiiPS3_EEvT1_T3_lS5_lPS5_llPT2_S5_S5_S7_l.kd
    .uniform_work_group_size: 1
    .uses_dynamic_stack: false
    .vgpr_count:     251
    .vgpr_spill_count: 0
    .wavefront_size: 32
    .workgroup_processor_mode: 1
  - .args:
      - .offset:         0
        .size:           4
        .value_kind:     by_value
      - .address_space:  global
        .offset:         8
        .size:           8
        .value_kind:     global_buffer
      - .offset:         16
        .size:           8
        .value_kind:     by_value
      - .offset:         24
        .size:           4
        .value_kind:     by_value
      - .offset:         32
        .size:           8
        .value_kind:     by_value
      - .address_space:  global
        .offset:         40
        .size:           8
        .value_kind:     global_buffer
      - .offset:         48
        .size:           4
        .value_kind:     by_value
      - .offset:         52
        .size:           4
        .value_kind:     by_value
      - .offset:         56
        .size:           4
        .value_kind:     hidden_block_count_x
      - .offset:         60
        .size:           4
        .value_kind:     hidden_block_count_y
      - .offset:         64
        .size:           4
        .value_kind:     hidden_block_count_z
      - .offset:         68
        .size:           2
        .value_kind:     hidden_group_size_x
      - .offset:         70
        .size:           2
        .value_kind:     hidden_group_size_y
      - .offset:         72
        .size:           2
        .value_kind:     hidden_group_size_z
      - .offset:         74
        .size:           2
        .value_kind:     hidden_remainder_x
      - .offset:         76
        .size:           2
        .value_kind:     hidden_remainder_y
      - .offset:         78
        .size:           2
        .value_kind:     hidden_remainder_z
      - .offset:         96
        .size:           8
        .value_kind:     hidden_global_offset_x
      - .offset:         104
        .size:           8
        .value_kind:     hidden_global_offset_y
      - .offset:         112
        .size:           8
        .value_kind:     hidden_global_offset_z
      - .offset:         120
        .size:           2
        .value_kind:     hidden_grid_dims
      - .offset:         176
        .size:           4
        .value_kind:     hidden_dynamic_lds_size
    .group_segment_fixed_size: 0
    .kernarg_segment_align: 8
    .kernarg_segment_size: 312
    .language:       OpenCL C
    .language_version:
      - 2
      - 0
    .max_flat_workgroup_size: 512
    .name:           _ZN9rocsolver6v33100L23getf2_npvt_small_kernelILi50E19rocblas_complex_numIdEiiPS3_EEvT1_T3_lS5_lPT2_S5_S5_
    .private_segment_fixed_size: 1028
    .sgpr_count:     22
    .sgpr_spill_count: 0
    .symbol:         _ZN9rocsolver6v33100L23getf2_npvt_small_kernelILi50E19rocblas_complex_numIdEiiPS3_EEvT1_T3_lS5_lPT2_S5_S5_.kd
    .uniform_work_group_size: 1
    .uses_dynamic_stack: false
    .vgpr_count:     256
    .vgpr_spill_count: 256
    .wavefront_size: 32
    .workgroup_processor_mode: 1
  - .args:
      - .offset:         0
        .size:           4
        .value_kind:     by_value
      - .address_space:  global
        .offset:         8
        .size:           8
        .value_kind:     global_buffer
      - .offset:         16
        .size:           8
        .value_kind:     by_value
      - .offset:         24
        .size:           4
        .value_kind:     by_value
      - .offset:         32
        .size:           8
        .value_kind:     by_value
      - .address_space:  global
        .offset:         40
        .size:           8
        .value_kind:     global_buffer
      - .offset:         48
        .size:           8
        .value_kind:     by_value
      - .offset:         56
        .size:           8
        .value_kind:     by_value
      - .address_space:  global
        .offset:         64
        .size:           8
        .value_kind:     global_buffer
      - .offset:         72
        .size:           4
        .value_kind:     by_value
      - .offset:         76
        .size:           4
        .value_kind:     by_value
      - .address_space:  global
        .offset:         80
        .size:           8
        .value_kind:     global_buffer
      - .offset:         88
        .size:           8
        .value_kind:     by_value
      - .offset:         96
        .size:           4
        .value_kind:     hidden_block_count_x
      - .offset:         100
        .size:           4
        .value_kind:     hidden_block_count_y
      - .offset:         104
        .size:           4
        .value_kind:     hidden_block_count_z
      - .offset:         108
        .size:           2
        .value_kind:     hidden_group_size_x
      - .offset:         110
        .size:           2
        .value_kind:     hidden_group_size_y
      - .offset:         112
        .size:           2
        .value_kind:     hidden_group_size_z
      - .offset:         114
        .size:           2
        .value_kind:     hidden_remainder_x
      - .offset:         116
        .size:           2
        .value_kind:     hidden_remainder_y
      - .offset:         118
        .size:           2
        .value_kind:     hidden_remainder_z
      - .offset:         136
        .size:           8
        .value_kind:     hidden_global_offset_x
      - .offset:         144
        .size:           8
        .value_kind:     hidden_global_offset_y
      - .offset:         152
        .size:           8
        .value_kind:     hidden_global_offset_z
      - .offset:         160
        .size:           2
        .value_kind:     hidden_grid_dims
      - .offset:         216
        .size:           4
        .value_kind:     hidden_dynamic_lds_size
    .group_segment_fixed_size: 0
    .kernarg_segment_align: 8
    .kernarg_segment_size: 352
    .language:       OpenCL C
    .language_version:
      - 2
      - 0
    .max_flat_workgroup_size: 512
    .name:           _ZN9rocsolver6v33100L18getf2_small_kernelILi51E19rocblas_complex_numIdEiiPS3_EEvT1_T3_lS5_lPS5_llPT2_S5_S5_S7_l
    .private_segment_fixed_size: 0
    .sgpr_count:     22
    .sgpr_spill_count: 0
    .symbol:         _ZN9rocsolver6v33100L18getf2_small_kernelILi51E19rocblas_complex_numIdEiiPS3_EEvT1_T3_lS5_lPS5_llPT2_S5_S5_S7_l.kd
    .uniform_work_group_size: 1
    .uses_dynamic_stack: false
    .vgpr_count:     247
    .vgpr_spill_count: 0
    .wavefront_size: 32
    .workgroup_processor_mode: 1
  - .args:
      - .offset:         0
        .size:           4
        .value_kind:     by_value
      - .address_space:  global
        .offset:         8
        .size:           8
        .value_kind:     global_buffer
      - .offset:         16
        .size:           8
        .value_kind:     by_value
      - .offset:         24
        .size:           4
        .value_kind:     by_value
      - .offset:         32
        .size:           8
        .value_kind:     by_value
      - .address_space:  global
        .offset:         40
        .size:           8
        .value_kind:     global_buffer
      - .offset:         48
        .size:           4
        .value_kind:     by_value
      - .offset:         52
        .size:           4
        .value_kind:     by_value
      - .offset:         56
        .size:           4
        .value_kind:     hidden_block_count_x
      - .offset:         60
        .size:           4
        .value_kind:     hidden_block_count_y
      - .offset:         64
        .size:           4
        .value_kind:     hidden_block_count_z
      - .offset:         68
        .size:           2
        .value_kind:     hidden_group_size_x
      - .offset:         70
        .size:           2
        .value_kind:     hidden_group_size_y
      - .offset:         72
        .size:           2
        .value_kind:     hidden_group_size_z
      - .offset:         74
        .size:           2
        .value_kind:     hidden_remainder_x
      - .offset:         76
        .size:           2
        .value_kind:     hidden_remainder_y
      - .offset:         78
        .size:           2
        .value_kind:     hidden_remainder_z
      - .offset:         96
        .size:           8
        .value_kind:     hidden_global_offset_x
      - .offset:         104
        .size:           8
        .value_kind:     hidden_global_offset_y
      - .offset:         112
        .size:           8
        .value_kind:     hidden_global_offset_z
      - .offset:         120
        .size:           2
        .value_kind:     hidden_grid_dims
      - .offset:         176
        .size:           4
        .value_kind:     hidden_dynamic_lds_size
    .group_segment_fixed_size: 0
    .kernarg_segment_align: 8
    .kernarg_segment_size: 312
    .language:       OpenCL C
    .language_version:
      - 2
      - 0
    .max_flat_workgroup_size: 512
    .name:           _ZN9rocsolver6v33100L23getf2_npvt_small_kernelILi51E19rocblas_complex_numIdEiiPS3_EEvT1_T3_lS5_lPT2_S5_S5_
    .private_segment_fixed_size: 1076
    .sgpr_count:     22
    .sgpr_spill_count: 0
    .symbol:         _ZN9rocsolver6v33100L23getf2_npvt_small_kernelILi51E19rocblas_complex_numIdEiiPS3_EEvT1_T3_lS5_lPT2_S5_S5_.kd
    .uniform_work_group_size: 1
    .uses_dynamic_stack: false
    .vgpr_count:     256
    .vgpr_spill_count: 280
    .wavefront_size: 32
    .workgroup_processor_mode: 1
  - .args:
      - .offset:         0
        .size:           4
        .value_kind:     by_value
      - .address_space:  global
        .offset:         8
        .size:           8
        .value_kind:     global_buffer
      - .offset:         16
        .size:           8
        .value_kind:     by_value
      - .offset:         24
        .size:           4
        .value_kind:     by_value
      - .offset:         32
        .size:           8
        .value_kind:     by_value
      - .address_space:  global
        .offset:         40
        .size:           8
        .value_kind:     global_buffer
      - .offset:         48
        .size:           8
        .value_kind:     by_value
      - .offset:         56
        .size:           8
        .value_kind:     by_value
      - .address_space:  global
        .offset:         64
        .size:           8
        .value_kind:     global_buffer
      - .offset:         72
        .size:           4
        .value_kind:     by_value
      - .offset:         76
        .size:           4
        .value_kind:     by_value
      - .address_space:  global
        .offset:         80
        .size:           8
        .value_kind:     global_buffer
      - .offset:         88
        .size:           8
        .value_kind:     by_value
      - .offset:         96
        .size:           4
        .value_kind:     hidden_block_count_x
      - .offset:         100
        .size:           4
        .value_kind:     hidden_block_count_y
      - .offset:         104
        .size:           4
        .value_kind:     hidden_block_count_z
      - .offset:         108
        .size:           2
        .value_kind:     hidden_group_size_x
      - .offset:         110
        .size:           2
        .value_kind:     hidden_group_size_y
      - .offset:         112
        .size:           2
        .value_kind:     hidden_group_size_z
      - .offset:         114
        .size:           2
        .value_kind:     hidden_remainder_x
      - .offset:         116
        .size:           2
        .value_kind:     hidden_remainder_y
      - .offset:         118
        .size:           2
        .value_kind:     hidden_remainder_z
      - .offset:         136
        .size:           8
        .value_kind:     hidden_global_offset_x
      - .offset:         144
        .size:           8
        .value_kind:     hidden_global_offset_y
      - .offset:         152
        .size:           8
        .value_kind:     hidden_global_offset_z
      - .offset:         160
        .size:           2
        .value_kind:     hidden_grid_dims
      - .offset:         216
        .size:           4
        .value_kind:     hidden_dynamic_lds_size
    .group_segment_fixed_size: 0
    .kernarg_segment_align: 8
    .kernarg_segment_size: 352
    .language:       OpenCL C
    .language_version:
      - 2
      - 0
    .max_flat_workgroup_size: 512
    .name:           _ZN9rocsolver6v33100L18getf2_small_kernelILi52E19rocblas_complex_numIdEiiPS3_EEvT1_T3_lS5_lPS5_llPT2_S5_S5_S7_l
    .private_segment_fixed_size: 0
    .sgpr_count:     22
    .sgpr_spill_count: 0
    .symbol:         _ZN9rocsolver6v33100L18getf2_small_kernelILi52E19rocblas_complex_numIdEiiPS3_EEvT1_T3_lS5_lPS5_llPT2_S5_S5_S7_l.kd
    .uniform_work_group_size: 1
    .uses_dynamic_stack: false
    .vgpr_count:     253
    .vgpr_spill_count: 0
    .wavefront_size: 32
    .workgroup_processor_mode: 1
  - .args:
      - .offset:         0
        .size:           4
        .value_kind:     by_value
      - .address_space:  global
        .offset:         8
        .size:           8
        .value_kind:     global_buffer
      - .offset:         16
        .size:           8
        .value_kind:     by_value
      - .offset:         24
        .size:           4
        .value_kind:     by_value
      - .offset:         32
        .size:           8
        .value_kind:     by_value
      - .address_space:  global
        .offset:         40
        .size:           8
        .value_kind:     global_buffer
      - .offset:         48
        .size:           4
        .value_kind:     by_value
      - .offset:         52
        .size:           4
        .value_kind:     by_value
      - .offset:         56
        .size:           4
        .value_kind:     hidden_block_count_x
      - .offset:         60
        .size:           4
        .value_kind:     hidden_block_count_y
      - .offset:         64
        .size:           4
        .value_kind:     hidden_block_count_z
      - .offset:         68
        .size:           2
        .value_kind:     hidden_group_size_x
      - .offset:         70
        .size:           2
        .value_kind:     hidden_group_size_y
      - .offset:         72
        .size:           2
        .value_kind:     hidden_group_size_z
      - .offset:         74
        .size:           2
        .value_kind:     hidden_remainder_x
      - .offset:         76
        .size:           2
        .value_kind:     hidden_remainder_y
      - .offset:         78
        .size:           2
        .value_kind:     hidden_remainder_z
      - .offset:         96
        .size:           8
        .value_kind:     hidden_global_offset_x
      - .offset:         104
        .size:           8
        .value_kind:     hidden_global_offset_y
      - .offset:         112
        .size:           8
        .value_kind:     hidden_global_offset_z
      - .offset:         120
        .size:           2
        .value_kind:     hidden_grid_dims
      - .offset:         176
        .size:           4
        .value_kind:     hidden_dynamic_lds_size
    .group_segment_fixed_size: 0
    .kernarg_segment_align: 8
    .kernarg_segment_size: 312
    .language:       OpenCL C
    .language_version:
      - 2
      - 0
    .max_flat_workgroup_size: 512
    .name:           _ZN9rocsolver6v33100L23getf2_npvt_small_kernelILi52E19rocblas_complex_numIdEiiPS3_EEvT1_T3_lS5_lPT2_S5_S5_
    .private_segment_fixed_size: 1132
    .sgpr_count:     24
    .sgpr_spill_count: 0
    .symbol:         _ZN9rocsolver6v33100L23getf2_npvt_small_kernelILi52E19rocblas_complex_numIdEiiPS3_EEvT1_T3_lS5_lPT2_S5_S5_.kd
    .uniform_work_group_size: 1
    .uses_dynamic_stack: false
    .vgpr_count:     256
    .vgpr_spill_count: 294
    .wavefront_size: 32
    .workgroup_processor_mode: 1
  - .args:
      - .offset:         0
        .size:           4
        .value_kind:     by_value
      - .address_space:  global
        .offset:         8
        .size:           8
        .value_kind:     global_buffer
      - .offset:         16
        .size:           8
        .value_kind:     by_value
      - .offset:         24
        .size:           4
        .value_kind:     by_value
      - .offset:         32
        .size:           8
        .value_kind:     by_value
      - .address_space:  global
        .offset:         40
        .size:           8
        .value_kind:     global_buffer
      - .offset:         48
        .size:           8
        .value_kind:     by_value
      - .offset:         56
        .size:           8
        .value_kind:     by_value
      - .address_space:  global
        .offset:         64
        .size:           8
        .value_kind:     global_buffer
      - .offset:         72
        .size:           4
        .value_kind:     by_value
      - .offset:         76
        .size:           4
        .value_kind:     by_value
      - .address_space:  global
        .offset:         80
        .size:           8
        .value_kind:     global_buffer
      - .offset:         88
        .size:           8
        .value_kind:     by_value
      - .offset:         96
        .size:           4
        .value_kind:     hidden_block_count_x
      - .offset:         100
        .size:           4
        .value_kind:     hidden_block_count_y
      - .offset:         104
        .size:           4
        .value_kind:     hidden_block_count_z
      - .offset:         108
        .size:           2
        .value_kind:     hidden_group_size_x
      - .offset:         110
        .size:           2
        .value_kind:     hidden_group_size_y
      - .offset:         112
        .size:           2
        .value_kind:     hidden_group_size_z
      - .offset:         114
        .size:           2
        .value_kind:     hidden_remainder_x
      - .offset:         116
        .size:           2
        .value_kind:     hidden_remainder_y
      - .offset:         118
        .size:           2
        .value_kind:     hidden_remainder_z
      - .offset:         136
        .size:           8
        .value_kind:     hidden_global_offset_x
      - .offset:         144
        .size:           8
        .value_kind:     hidden_global_offset_y
      - .offset:         152
        .size:           8
        .value_kind:     hidden_global_offset_z
      - .offset:         160
        .size:           2
        .value_kind:     hidden_grid_dims
      - .offset:         216
        .size:           4
        .value_kind:     hidden_dynamic_lds_size
    .group_segment_fixed_size: 0
    .kernarg_segment_align: 8
    .kernarg_segment_size: 352
    .language:       OpenCL C
    .language_version:
      - 2
      - 0
    .max_flat_workgroup_size: 512
    .name:           _ZN9rocsolver6v33100L18getf2_small_kernelILi53E19rocblas_complex_numIdEiiPS3_EEvT1_T3_lS5_lPS5_llPT2_S5_S5_S7_l
    .private_segment_fixed_size: 0
    .sgpr_count:     22
    .sgpr_spill_count: 0
    .symbol:         _ZN9rocsolver6v33100L18getf2_small_kernelILi53E19rocblas_complex_numIdEiiPS3_EEvT1_T3_lS5_lPS5_llPT2_S5_S5_S7_l.kd
    .uniform_work_group_size: 1
    .uses_dynamic_stack: false
    .vgpr_count:     255
    .vgpr_spill_count: 0
    .wavefront_size: 32
    .workgroup_processor_mode: 1
  - .args:
      - .offset:         0
        .size:           4
        .value_kind:     by_value
      - .address_space:  global
        .offset:         8
        .size:           8
        .value_kind:     global_buffer
      - .offset:         16
        .size:           8
        .value_kind:     by_value
      - .offset:         24
        .size:           4
        .value_kind:     by_value
      - .offset:         32
        .size:           8
        .value_kind:     by_value
      - .address_space:  global
        .offset:         40
        .size:           8
        .value_kind:     global_buffer
      - .offset:         48
        .size:           4
        .value_kind:     by_value
      - .offset:         52
        .size:           4
        .value_kind:     by_value
      - .offset:         56
        .size:           4
        .value_kind:     hidden_block_count_x
      - .offset:         60
        .size:           4
        .value_kind:     hidden_block_count_y
      - .offset:         64
        .size:           4
        .value_kind:     hidden_block_count_z
      - .offset:         68
        .size:           2
        .value_kind:     hidden_group_size_x
      - .offset:         70
        .size:           2
        .value_kind:     hidden_group_size_y
      - .offset:         72
        .size:           2
        .value_kind:     hidden_group_size_z
      - .offset:         74
        .size:           2
        .value_kind:     hidden_remainder_x
      - .offset:         76
        .size:           2
        .value_kind:     hidden_remainder_y
      - .offset:         78
        .size:           2
        .value_kind:     hidden_remainder_z
      - .offset:         96
        .size:           8
        .value_kind:     hidden_global_offset_x
      - .offset:         104
        .size:           8
        .value_kind:     hidden_global_offset_y
      - .offset:         112
        .size:           8
        .value_kind:     hidden_global_offset_z
      - .offset:         120
        .size:           2
        .value_kind:     hidden_grid_dims
      - .offset:         176
        .size:           4
        .value_kind:     hidden_dynamic_lds_size
    .group_segment_fixed_size: 0
    .kernarg_segment_align: 8
    .kernarg_segment_size: 312
    .language:       OpenCL C
    .language_version:
      - 2
      - 0
    .max_flat_workgroup_size: 512
    .name:           _ZN9rocsolver6v33100L23getf2_npvt_small_kernelILi53E19rocblas_complex_numIdEiiPS3_EEvT1_T3_lS5_lPT2_S5_S5_
    .private_segment_fixed_size: 1196
    .sgpr_count:     24
    .sgpr_spill_count: 0
    .symbol:         _ZN9rocsolver6v33100L23getf2_npvt_small_kernelILi53E19rocblas_complex_numIdEiiPS3_EEvT1_T3_lS5_lPT2_S5_S5_.kd
    .uniform_work_group_size: 1
    .uses_dynamic_stack: false
    .vgpr_count:     256
    .vgpr_spill_count: 518
    .wavefront_size: 32
    .workgroup_processor_mode: 1
  - .args:
      - .offset:         0
        .size:           4
        .value_kind:     by_value
      - .address_space:  global
        .offset:         8
        .size:           8
        .value_kind:     global_buffer
      - .offset:         16
        .size:           8
        .value_kind:     by_value
      - .offset:         24
        .size:           4
        .value_kind:     by_value
      - .offset:         32
        .size:           8
        .value_kind:     by_value
      - .address_space:  global
        .offset:         40
        .size:           8
        .value_kind:     global_buffer
      - .offset:         48
        .size:           8
        .value_kind:     by_value
      - .offset:         56
        .size:           8
        .value_kind:     by_value
      - .address_space:  global
        .offset:         64
        .size:           8
        .value_kind:     global_buffer
      - .offset:         72
        .size:           4
        .value_kind:     by_value
      - .offset:         76
        .size:           4
        .value_kind:     by_value
      - .address_space:  global
        .offset:         80
        .size:           8
        .value_kind:     global_buffer
      - .offset:         88
        .size:           8
        .value_kind:     by_value
      - .offset:         96
        .size:           4
        .value_kind:     hidden_block_count_x
      - .offset:         100
        .size:           4
        .value_kind:     hidden_block_count_y
      - .offset:         104
        .size:           4
        .value_kind:     hidden_block_count_z
      - .offset:         108
        .size:           2
        .value_kind:     hidden_group_size_x
      - .offset:         110
        .size:           2
        .value_kind:     hidden_group_size_y
      - .offset:         112
        .size:           2
        .value_kind:     hidden_group_size_z
      - .offset:         114
        .size:           2
        .value_kind:     hidden_remainder_x
      - .offset:         116
        .size:           2
        .value_kind:     hidden_remainder_y
      - .offset:         118
        .size:           2
        .value_kind:     hidden_remainder_z
      - .offset:         136
        .size:           8
        .value_kind:     hidden_global_offset_x
      - .offset:         144
        .size:           8
        .value_kind:     hidden_global_offset_y
      - .offset:         152
        .size:           8
        .value_kind:     hidden_global_offset_z
      - .offset:         160
        .size:           2
        .value_kind:     hidden_grid_dims
      - .offset:         216
        .size:           4
        .value_kind:     hidden_dynamic_lds_size
    .group_segment_fixed_size: 0
    .kernarg_segment_align: 8
    .kernarg_segment_size: 352
    .language:       OpenCL C
    .language_version:
      - 2
      - 0
    .max_flat_workgroup_size: 512
    .name:           _ZN9rocsolver6v33100L18getf2_small_kernelILi54E19rocblas_complex_numIdEiiPS3_EEvT1_T3_lS5_lPS5_llPT2_S5_S5_S7_l
    .private_segment_fixed_size: 16
    .sgpr_count:     26
    .sgpr_spill_count: 0
    .symbol:         _ZN9rocsolver6v33100L18getf2_small_kernelILi54E19rocblas_complex_numIdEiiPS3_EEvT1_T3_lS5_lPS5_llPT2_S5_S5_S7_l.kd
    .uniform_work_group_size: 1
    .uses_dynamic_stack: false
    .vgpr_count:     256
    .vgpr_spill_count: 5
    .wavefront_size: 32
    .workgroup_processor_mode: 1
  - .args:
      - .offset:         0
        .size:           4
        .value_kind:     by_value
      - .address_space:  global
        .offset:         8
        .size:           8
        .value_kind:     global_buffer
      - .offset:         16
        .size:           8
        .value_kind:     by_value
      - .offset:         24
        .size:           4
        .value_kind:     by_value
      - .offset:         32
        .size:           8
        .value_kind:     by_value
      - .address_space:  global
        .offset:         40
        .size:           8
        .value_kind:     global_buffer
      - .offset:         48
        .size:           4
        .value_kind:     by_value
      - .offset:         52
        .size:           4
        .value_kind:     by_value
      - .offset:         56
        .size:           4
        .value_kind:     hidden_block_count_x
      - .offset:         60
        .size:           4
        .value_kind:     hidden_block_count_y
      - .offset:         64
        .size:           4
        .value_kind:     hidden_block_count_z
      - .offset:         68
        .size:           2
        .value_kind:     hidden_group_size_x
      - .offset:         70
        .size:           2
        .value_kind:     hidden_group_size_y
      - .offset:         72
        .size:           2
        .value_kind:     hidden_group_size_z
      - .offset:         74
        .size:           2
        .value_kind:     hidden_remainder_x
      - .offset:         76
        .size:           2
        .value_kind:     hidden_remainder_y
      - .offset:         78
        .size:           2
        .value_kind:     hidden_remainder_z
      - .offset:         96
        .size:           8
        .value_kind:     hidden_global_offset_x
      - .offset:         104
        .size:           8
        .value_kind:     hidden_global_offset_y
      - .offset:         112
        .size:           8
        .value_kind:     hidden_global_offset_z
      - .offset:         120
        .size:           2
        .value_kind:     hidden_grid_dims
      - .offset:         176
        .size:           4
        .value_kind:     hidden_dynamic_lds_size
    .group_segment_fixed_size: 0
    .kernarg_segment_align: 8
    .kernarg_segment_size: 312
    .language:       OpenCL C
    .language_version:
      - 2
      - 0
    .max_flat_workgroup_size: 512
    .name:           _ZN9rocsolver6v33100L23getf2_npvt_small_kernelILi54E19rocblas_complex_numIdEiiPS3_EEvT1_T3_lS5_lPT2_S5_S5_
    .private_segment_fixed_size: 1196
    .sgpr_count:     24
    .sgpr_spill_count: 0
    .symbol:         _ZN9rocsolver6v33100L23getf2_npvt_small_kernelILi54E19rocblas_complex_numIdEiiPS3_EEvT1_T3_lS5_lPT2_S5_S5_.kd
    .uniform_work_group_size: 1
    .uses_dynamic_stack: false
    .vgpr_count:     256
    .vgpr_spill_count: 478
    .wavefront_size: 32
    .workgroup_processor_mode: 1
  - .args:
      - .offset:         0
        .size:           4
        .value_kind:     by_value
      - .address_space:  global
        .offset:         8
        .size:           8
        .value_kind:     global_buffer
      - .offset:         16
        .size:           8
        .value_kind:     by_value
      - .offset:         24
        .size:           4
        .value_kind:     by_value
      - .offset:         32
        .size:           8
        .value_kind:     by_value
      - .address_space:  global
        .offset:         40
        .size:           8
        .value_kind:     global_buffer
      - .offset:         48
        .size:           8
        .value_kind:     by_value
      - .offset:         56
        .size:           8
        .value_kind:     by_value
      - .address_space:  global
        .offset:         64
        .size:           8
        .value_kind:     global_buffer
      - .offset:         72
        .size:           4
        .value_kind:     by_value
      - .offset:         76
        .size:           4
        .value_kind:     by_value
      - .address_space:  global
        .offset:         80
        .size:           8
        .value_kind:     global_buffer
      - .offset:         88
        .size:           8
        .value_kind:     by_value
      - .offset:         96
        .size:           4
        .value_kind:     hidden_block_count_x
      - .offset:         100
        .size:           4
        .value_kind:     hidden_block_count_y
      - .offset:         104
        .size:           4
        .value_kind:     hidden_block_count_z
      - .offset:         108
        .size:           2
        .value_kind:     hidden_group_size_x
      - .offset:         110
        .size:           2
        .value_kind:     hidden_group_size_y
      - .offset:         112
        .size:           2
        .value_kind:     hidden_group_size_z
      - .offset:         114
        .size:           2
        .value_kind:     hidden_remainder_x
      - .offset:         116
        .size:           2
        .value_kind:     hidden_remainder_y
      - .offset:         118
        .size:           2
        .value_kind:     hidden_remainder_z
      - .offset:         136
        .size:           8
        .value_kind:     hidden_global_offset_x
      - .offset:         144
        .size:           8
        .value_kind:     hidden_global_offset_y
      - .offset:         152
        .size:           8
        .value_kind:     hidden_global_offset_z
      - .offset:         160
        .size:           2
        .value_kind:     hidden_grid_dims
      - .offset:         216
        .size:           4
        .value_kind:     hidden_dynamic_lds_size
    .group_segment_fixed_size: 0
    .kernarg_segment_align: 8
    .kernarg_segment_size: 352
    .language:       OpenCL C
    .language_version:
      - 2
      - 0
    .max_flat_workgroup_size: 512
    .name:           _ZN9rocsolver6v33100L18getf2_small_kernelILi55E19rocblas_complex_numIdEiiPS3_EEvT1_T3_lS5_lPS5_llPT2_S5_S5_S7_l
    .private_segment_fixed_size: 44
    .sgpr_count:     26
    .sgpr_spill_count: 0
    .symbol:         _ZN9rocsolver6v33100L18getf2_small_kernelILi55E19rocblas_complex_numIdEiiPS3_EEvT1_T3_lS5_lPS5_llPT2_S5_S5_S7_l.kd
    .uniform_work_group_size: 1
    .uses_dynamic_stack: false
    .vgpr_count:     256
    .vgpr_spill_count: 10
    .wavefront_size: 32
    .workgroup_processor_mode: 1
  - .args:
      - .offset:         0
        .size:           4
        .value_kind:     by_value
      - .address_space:  global
        .offset:         8
        .size:           8
        .value_kind:     global_buffer
      - .offset:         16
        .size:           8
        .value_kind:     by_value
      - .offset:         24
        .size:           4
        .value_kind:     by_value
      - .offset:         32
        .size:           8
        .value_kind:     by_value
      - .address_space:  global
        .offset:         40
        .size:           8
        .value_kind:     global_buffer
      - .offset:         48
        .size:           4
        .value_kind:     by_value
      - .offset:         52
        .size:           4
        .value_kind:     by_value
      - .offset:         56
        .size:           4
        .value_kind:     hidden_block_count_x
      - .offset:         60
        .size:           4
        .value_kind:     hidden_block_count_y
      - .offset:         64
        .size:           4
        .value_kind:     hidden_block_count_z
      - .offset:         68
        .size:           2
        .value_kind:     hidden_group_size_x
      - .offset:         70
        .size:           2
        .value_kind:     hidden_group_size_y
      - .offset:         72
        .size:           2
        .value_kind:     hidden_group_size_z
      - .offset:         74
        .size:           2
        .value_kind:     hidden_remainder_x
      - .offset:         76
        .size:           2
        .value_kind:     hidden_remainder_y
      - .offset:         78
        .size:           2
        .value_kind:     hidden_remainder_z
      - .offset:         96
        .size:           8
        .value_kind:     hidden_global_offset_x
      - .offset:         104
        .size:           8
        .value_kind:     hidden_global_offset_y
      - .offset:         112
        .size:           8
        .value_kind:     hidden_global_offset_z
      - .offset:         120
        .size:           2
        .value_kind:     hidden_grid_dims
      - .offset:         176
        .size:           4
        .value_kind:     hidden_dynamic_lds_size
    .group_segment_fixed_size: 0
    .kernarg_segment_align: 8
    .kernarg_segment_size: 312
    .language:       OpenCL C
    .language_version:
      - 2
      - 0
    .max_flat_workgroup_size: 512
    .name:           _ZN9rocsolver6v33100L23getf2_npvt_small_kernelILi55E19rocblas_complex_numIdEiiPS3_EEvT1_T3_lS5_lPT2_S5_S5_
    .private_segment_fixed_size: 1260
    .sgpr_count:     24
    .sgpr_spill_count: 0
    .symbol:         _ZN9rocsolver6v33100L23getf2_npvt_small_kernelILi55E19rocblas_complex_numIdEiiPS3_EEvT1_T3_lS5_lPT2_S5_S5_.kd
    .uniform_work_group_size: 1
    .uses_dynamic_stack: false
    .vgpr_count:     256
    .vgpr_spill_count: 362
    .wavefront_size: 32
    .workgroup_processor_mode: 1
  - .args:
      - .offset:         0
        .size:           4
        .value_kind:     by_value
      - .address_space:  global
        .offset:         8
        .size:           8
        .value_kind:     global_buffer
      - .offset:         16
        .size:           8
        .value_kind:     by_value
      - .offset:         24
        .size:           4
        .value_kind:     by_value
      - .offset:         32
        .size:           8
        .value_kind:     by_value
      - .address_space:  global
        .offset:         40
        .size:           8
        .value_kind:     global_buffer
      - .offset:         48
        .size:           8
        .value_kind:     by_value
      - .offset:         56
        .size:           8
        .value_kind:     by_value
      - .address_space:  global
        .offset:         64
        .size:           8
        .value_kind:     global_buffer
      - .offset:         72
        .size:           4
        .value_kind:     by_value
      - .offset:         76
        .size:           4
        .value_kind:     by_value
      - .address_space:  global
        .offset:         80
        .size:           8
        .value_kind:     global_buffer
      - .offset:         88
        .size:           8
        .value_kind:     by_value
      - .offset:         96
        .size:           4
        .value_kind:     hidden_block_count_x
      - .offset:         100
        .size:           4
        .value_kind:     hidden_block_count_y
      - .offset:         104
        .size:           4
        .value_kind:     hidden_block_count_z
      - .offset:         108
        .size:           2
        .value_kind:     hidden_group_size_x
      - .offset:         110
        .size:           2
        .value_kind:     hidden_group_size_y
      - .offset:         112
        .size:           2
        .value_kind:     hidden_group_size_z
      - .offset:         114
        .size:           2
        .value_kind:     hidden_remainder_x
      - .offset:         116
        .size:           2
        .value_kind:     hidden_remainder_y
      - .offset:         118
        .size:           2
        .value_kind:     hidden_remainder_z
      - .offset:         136
        .size:           8
        .value_kind:     hidden_global_offset_x
      - .offset:         144
        .size:           8
        .value_kind:     hidden_global_offset_y
      - .offset:         152
        .size:           8
        .value_kind:     hidden_global_offset_z
      - .offset:         160
        .size:           2
        .value_kind:     hidden_grid_dims
      - .offset:         216
        .size:           4
        .value_kind:     hidden_dynamic_lds_size
    .group_segment_fixed_size: 0
    .kernarg_segment_align: 8
    .kernarg_segment_size: 352
    .language:       OpenCL C
    .language_version:
      - 2
      - 0
    .max_flat_workgroup_size: 512
    .name:           _ZN9rocsolver6v33100L18getf2_small_kernelILi56E19rocblas_complex_numIdEiiPS3_EEvT1_T3_lS5_lPS5_llPT2_S5_S5_S7_l
    .private_segment_fixed_size: 60
    .sgpr_count:     26
    .sgpr_spill_count: 0
    .symbol:         _ZN9rocsolver6v33100L18getf2_small_kernelILi56E19rocblas_complex_numIdEiiPS3_EEvT1_T3_lS5_lPS5_llPT2_S5_S5_S7_l.kd
    .uniform_work_group_size: 1
    .uses_dynamic_stack: false
    .vgpr_count:     256
    .vgpr_spill_count: 26
    .wavefront_size: 32
    .workgroup_processor_mode: 1
  - .args:
      - .offset:         0
        .size:           4
        .value_kind:     by_value
      - .address_space:  global
        .offset:         8
        .size:           8
        .value_kind:     global_buffer
      - .offset:         16
        .size:           8
        .value_kind:     by_value
      - .offset:         24
        .size:           4
        .value_kind:     by_value
      - .offset:         32
        .size:           8
        .value_kind:     by_value
      - .address_space:  global
        .offset:         40
        .size:           8
        .value_kind:     global_buffer
      - .offset:         48
        .size:           4
        .value_kind:     by_value
      - .offset:         52
        .size:           4
        .value_kind:     by_value
      - .offset:         56
        .size:           4
        .value_kind:     hidden_block_count_x
      - .offset:         60
        .size:           4
        .value_kind:     hidden_block_count_y
      - .offset:         64
        .size:           4
        .value_kind:     hidden_block_count_z
      - .offset:         68
        .size:           2
        .value_kind:     hidden_group_size_x
      - .offset:         70
        .size:           2
        .value_kind:     hidden_group_size_y
      - .offset:         72
        .size:           2
        .value_kind:     hidden_group_size_z
      - .offset:         74
        .size:           2
        .value_kind:     hidden_remainder_x
      - .offset:         76
        .size:           2
        .value_kind:     hidden_remainder_y
      - .offset:         78
        .size:           2
        .value_kind:     hidden_remainder_z
      - .offset:         96
        .size:           8
        .value_kind:     hidden_global_offset_x
      - .offset:         104
        .size:           8
        .value_kind:     hidden_global_offset_y
      - .offset:         112
        .size:           8
        .value_kind:     hidden_global_offset_z
      - .offset:         120
        .size:           2
        .value_kind:     hidden_grid_dims
      - .offset:         176
        .size:           4
        .value_kind:     hidden_dynamic_lds_size
    .group_segment_fixed_size: 0
    .kernarg_segment_align: 8
    .kernarg_segment_size: 312
    .language:       OpenCL C
    .language_version:
      - 2
      - 0
    .max_flat_workgroup_size: 512
    .name:           _ZN9rocsolver6v33100L23getf2_npvt_small_kernelILi56E19rocblas_complex_numIdEiiPS3_EEvT1_T3_lS5_lPT2_S5_S5_
    .private_segment_fixed_size: 1292
    .sgpr_count:     24
    .sgpr_spill_count: 0
    .symbol:         _ZN9rocsolver6v33100L23getf2_npvt_small_kernelILi56E19rocblas_complex_numIdEiiPS3_EEvT1_T3_lS5_lPT2_S5_S5_.kd
    .uniform_work_group_size: 1
    .uses_dynamic_stack: false
    .vgpr_count:     256
    .vgpr_spill_count: 410
    .wavefront_size: 32
    .workgroup_processor_mode: 1
  - .args:
      - .offset:         0
        .size:           4
        .value_kind:     by_value
      - .address_space:  global
        .offset:         8
        .size:           8
        .value_kind:     global_buffer
      - .offset:         16
        .size:           8
        .value_kind:     by_value
      - .offset:         24
        .size:           4
        .value_kind:     by_value
      - .offset:         32
        .size:           8
        .value_kind:     by_value
      - .address_space:  global
        .offset:         40
        .size:           8
        .value_kind:     global_buffer
      - .offset:         48
        .size:           8
        .value_kind:     by_value
      - .offset:         56
        .size:           8
        .value_kind:     by_value
      - .address_space:  global
        .offset:         64
        .size:           8
        .value_kind:     global_buffer
      - .offset:         72
        .size:           4
        .value_kind:     by_value
      - .offset:         76
        .size:           4
        .value_kind:     by_value
      - .address_space:  global
        .offset:         80
        .size:           8
        .value_kind:     global_buffer
      - .offset:         88
        .size:           8
        .value_kind:     by_value
      - .offset:         96
        .size:           4
        .value_kind:     hidden_block_count_x
      - .offset:         100
        .size:           4
        .value_kind:     hidden_block_count_y
      - .offset:         104
        .size:           4
        .value_kind:     hidden_block_count_z
      - .offset:         108
        .size:           2
        .value_kind:     hidden_group_size_x
      - .offset:         110
        .size:           2
        .value_kind:     hidden_group_size_y
      - .offset:         112
        .size:           2
        .value_kind:     hidden_group_size_z
      - .offset:         114
        .size:           2
        .value_kind:     hidden_remainder_x
      - .offset:         116
        .size:           2
        .value_kind:     hidden_remainder_y
      - .offset:         118
        .size:           2
        .value_kind:     hidden_remainder_z
      - .offset:         136
        .size:           8
        .value_kind:     hidden_global_offset_x
      - .offset:         144
        .size:           8
        .value_kind:     hidden_global_offset_y
      - .offset:         152
        .size:           8
        .value_kind:     hidden_global_offset_z
      - .offset:         160
        .size:           2
        .value_kind:     hidden_grid_dims
      - .offset:         216
        .size:           4
        .value_kind:     hidden_dynamic_lds_size
    .group_segment_fixed_size: 0
    .kernarg_segment_align: 8
    .kernarg_segment_size: 352
    .language:       OpenCL C
    .language_version:
      - 2
      - 0
    .max_flat_workgroup_size: 512
    .name:           _ZN9rocsolver6v33100L18getf2_small_kernelILi57E19rocblas_complex_numIdEiiPS3_EEvT1_T3_lS5_lPS5_llPT2_S5_S5_S7_l
    .private_segment_fixed_size: 76
    .sgpr_count:     26
    .sgpr_spill_count: 0
    .symbol:         _ZN9rocsolver6v33100L18getf2_small_kernelILi57E19rocblas_complex_numIdEiiPS3_EEvT1_T3_lS5_lPS5_llPT2_S5_S5_S7_l.kd
    .uniform_work_group_size: 1
    .uses_dynamic_stack: false
    .vgpr_count:     256
    .vgpr_spill_count: 44
    .wavefront_size: 32
    .workgroup_processor_mode: 1
  - .args:
      - .offset:         0
        .size:           4
        .value_kind:     by_value
      - .address_space:  global
        .offset:         8
        .size:           8
        .value_kind:     global_buffer
      - .offset:         16
        .size:           8
        .value_kind:     by_value
      - .offset:         24
        .size:           4
        .value_kind:     by_value
      - .offset:         32
        .size:           8
        .value_kind:     by_value
      - .address_space:  global
        .offset:         40
        .size:           8
        .value_kind:     global_buffer
      - .offset:         48
        .size:           4
        .value_kind:     by_value
      - .offset:         52
        .size:           4
        .value_kind:     by_value
      - .offset:         56
        .size:           4
        .value_kind:     hidden_block_count_x
      - .offset:         60
        .size:           4
        .value_kind:     hidden_block_count_y
      - .offset:         64
        .size:           4
        .value_kind:     hidden_block_count_z
      - .offset:         68
        .size:           2
        .value_kind:     hidden_group_size_x
      - .offset:         70
        .size:           2
        .value_kind:     hidden_group_size_y
      - .offset:         72
        .size:           2
        .value_kind:     hidden_group_size_z
      - .offset:         74
        .size:           2
        .value_kind:     hidden_remainder_x
      - .offset:         76
        .size:           2
        .value_kind:     hidden_remainder_y
      - .offset:         78
        .size:           2
        .value_kind:     hidden_remainder_z
      - .offset:         96
        .size:           8
        .value_kind:     hidden_global_offset_x
      - .offset:         104
        .size:           8
        .value_kind:     hidden_global_offset_y
      - .offset:         112
        .size:           8
        .value_kind:     hidden_global_offset_z
      - .offset:         120
        .size:           2
        .value_kind:     hidden_grid_dims
      - .offset:         176
        .size:           4
        .value_kind:     hidden_dynamic_lds_size
    .group_segment_fixed_size: 0
    .kernarg_segment_align: 8
    .kernarg_segment_size: 312
    .language:       OpenCL C
    .language_version:
      - 2
      - 0
    .max_flat_workgroup_size: 512
    .name:           _ZN9rocsolver6v33100L23getf2_npvt_small_kernelILi57E19rocblas_complex_numIdEiiPS3_EEvT1_T3_lS5_lPT2_S5_S5_
    .private_segment_fixed_size: 1332
    .sgpr_count:     24
    .sgpr_spill_count: 0
    .symbol:         _ZN9rocsolver6v33100L23getf2_npvt_small_kernelILi57E19rocblas_complex_numIdEiiPS3_EEvT1_T3_lS5_lPT2_S5_S5_.kd
    .uniform_work_group_size: 1
    .uses_dynamic_stack: false
    .vgpr_count:     256
    .vgpr_spill_count: 344
    .wavefront_size: 32
    .workgroup_processor_mode: 1
  - .args:
      - .offset:         0
        .size:           4
        .value_kind:     by_value
      - .address_space:  global
        .offset:         8
        .size:           8
        .value_kind:     global_buffer
      - .offset:         16
        .size:           8
        .value_kind:     by_value
      - .offset:         24
        .size:           4
        .value_kind:     by_value
      - .offset:         32
        .size:           8
        .value_kind:     by_value
      - .address_space:  global
        .offset:         40
        .size:           8
        .value_kind:     global_buffer
      - .offset:         48
        .size:           8
        .value_kind:     by_value
      - .offset:         56
        .size:           8
        .value_kind:     by_value
      - .address_space:  global
        .offset:         64
        .size:           8
        .value_kind:     global_buffer
      - .offset:         72
        .size:           4
        .value_kind:     by_value
      - .offset:         76
        .size:           4
        .value_kind:     by_value
      - .address_space:  global
        .offset:         80
        .size:           8
        .value_kind:     global_buffer
      - .offset:         88
        .size:           8
        .value_kind:     by_value
      - .offset:         96
        .size:           4
        .value_kind:     hidden_block_count_x
      - .offset:         100
        .size:           4
        .value_kind:     hidden_block_count_y
      - .offset:         104
        .size:           4
        .value_kind:     hidden_block_count_z
      - .offset:         108
        .size:           2
        .value_kind:     hidden_group_size_x
      - .offset:         110
        .size:           2
        .value_kind:     hidden_group_size_y
      - .offset:         112
        .size:           2
        .value_kind:     hidden_group_size_z
      - .offset:         114
        .size:           2
        .value_kind:     hidden_remainder_x
      - .offset:         116
        .size:           2
        .value_kind:     hidden_remainder_y
      - .offset:         118
        .size:           2
        .value_kind:     hidden_remainder_z
      - .offset:         136
        .size:           8
        .value_kind:     hidden_global_offset_x
      - .offset:         144
        .size:           8
        .value_kind:     hidden_global_offset_y
      - .offset:         152
        .size:           8
        .value_kind:     hidden_global_offset_z
      - .offset:         160
        .size:           2
        .value_kind:     hidden_grid_dims
      - .offset:         216
        .size:           4
        .value_kind:     hidden_dynamic_lds_size
    .group_segment_fixed_size: 0
    .kernarg_segment_align: 8
    .kernarg_segment_size: 352
    .language:       OpenCL C
    .language_version:
      - 2
      - 0
    .max_flat_workgroup_size: 512
    .name:           _ZN9rocsolver6v33100L18getf2_small_kernelILi58E19rocblas_complex_numIdEiiPS3_EEvT1_T3_lS5_lPS5_llPT2_S5_S5_S7_l
    .private_segment_fixed_size: 84
    .sgpr_count:     26
    .sgpr_spill_count: 0
    .symbol:         _ZN9rocsolver6v33100L18getf2_small_kernelILi58E19rocblas_complex_numIdEiiPS3_EEvT1_T3_lS5_lPS5_llPT2_S5_S5_S7_l.kd
    .uniform_work_group_size: 1
    .uses_dynamic_stack: false
    .vgpr_count:     256
    .vgpr_spill_count: 46
    .wavefront_size: 32
    .workgroup_processor_mode: 1
  - .args:
      - .offset:         0
        .size:           4
        .value_kind:     by_value
      - .address_space:  global
        .offset:         8
        .size:           8
        .value_kind:     global_buffer
      - .offset:         16
        .size:           8
        .value_kind:     by_value
      - .offset:         24
        .size:           4
        .value_kind:     by_value
      - .offset:         32
        .size:           8
        .value_kind:     by_value
      - .address_space:  global
        .offset:         40
        .size:           8
        .value_kind:     global_buffer
      - .offset:         48
        .size:           4
        .value_kind:     by_value
      - .offset:         52
        .size:           4
        .value_kind:     by_value
      - .offset:         56
        .size:           4
        .value_kind:     hidden_block_count_x
      - .offset:         60
        .size:           4
        .value_kind:     hidden_block_count_y
      - .offset:         64
        .size:           4
        .value_kind:     hidden_block_count_z
      - .offset:         68
        .size:           2
        .value_kind:     hidden_group_size_x
      - .offset:         70
        .size:           2
        .value_kind:     hidden_group_size_y
      - .offset:         72
        .size:           2
        .value_kind:     hidden_group_size_z
      - .offset:         74
        .size:           2
        .value_kind:     hidden_remainder_x
      - .offset:         76
        .size:           2
        .value_kind:     hidden_remainder_y
      - .offset:         78
        .size:           2
        .value_kind:     hidden_remainder_z
      - .offset:         96
        .size:           8
        .value_kind:     hidden_global_offset_x
      - .offset:         104
        .size:           8
        .value_kind:     hidden_global_offset_y
      - .offset:         112
        .size:           8
        .value_kind:     hidden_global_offset_z
      - .offset:         120
        .size:           2
        .value_kind:     hidden_grid_dims
      - .offset:         176
        .size:           4
        .value_kind:     hidden_dynamic_lds_size
    .group_segment_fixed_size: 0
    .kernarg_segment_align: 8
    .kernarg_segment_size: 312
    .language:       OpenCL C
    .language_version:
      - 2
      - 0
    .max_flat_workgroup_size: 512
    .name:           _ZN9rocsolver6v33100L23getf2_npvt_small_kernelILi58E19rocblas_complex_numIdEiiPS3_EEvT1_T3_lS5_lPT2_S5_S5_
    .private_segment_fixed_size: 1372
    .sgpr_count:     24
    .sgpr_spill_count: 0
    .symbol:         _ZN9rocsolver6v33100L23getf2_npvt_small_kernelILi58E19rocblas_complex_numIdEiiPS3_EEvT1_T3_lS5_lPT2_S5_S5_.kd
    .uniform_work_group_size: 1
    .uses_dynamic_stack: false
    .vgpr_count:     256
    .vgpr_spill_count: 410
    .wavefront_size: 32
    .workgroup_processor_mode: 1
  - .args:
      - .offset:         0
        .size:           4
        .value_kind:     by_value
      - .address_space:  global
        .offset:         8
        .size:           8
        .value_kind:     global_buffer
      - .offset:         16
        .size:           8
        .value_kind:     by_value
      - .offset:         24
        .size:           4
        .value_kind:     by_value
      - .offset:         32
        .size:           8
        .value_kind:     by_value
      - .address_space:  global
        .offset:         40
        .size:           8
        .value_kind:     global_buffer
      - .offset:         48
        .size:           8
        .value_kind:     by_value
      - .offset:         56
        .size:           8
        .value_kind:     by_value
      - .address_space:  global
        .offset:         64
        .size:           8
        .value_kind:     global_buffer
      - .offset:         72
        .size:           4
        .value_kind:     by_value
      - .offset:         76
        .size:           4
        .value_kind:     by_value
      - .address_space:  global
        .offset:         80
        .size:           8
        .value_kind:     global_buffer
      - .offset:         88
        .size:           8
        .value_kind:     by_value
      - .offset:         96
        .size:           4
        .value_kind:     hidden_block_count_x
      - .offset:         100
        .size:           4
        .value_kind:     hidden_block_count_y
      - .offset:         104
        .size:           4
        .value_kind:     hidden_block_count_z
      - .offset:         108
        .size:           2
        .value_kind:     hidden_group_size_x
      - .offset:         110
        .size:           2
        .value_kind:     hidden_group_size_y
      - .offset:         112
        .size:           2
        .value_kind:     hidden_group_size_z
      - .offset:         114
        .size:           2
        .value_kind:     hidden_remainder_x
      - .offset:         116
        .size:           2
        .value_kind:     hidden_remainder_y
      - .offset:         118
        .size:           2
        .value_kind:     hidden_remainder_z
      - .offset:         136
        .size:           8
        .value_kind:     hidden_global_offset_x
      - .offset:         144
        .size:           8
        .value_kind:     hidden_global_offset_y
      - .offset:         152
        .size:           8
        .value_kind:     hidden_global_offset_z
      - .offset:         160
        .size:           2
        .value_kind:     hidden_grid_dims
      - .offset:         216
        .size:           4
        .value_kind:     hidden_dynamic_lds_size
    .group_segment_fixed_size: 0
    .kernarg_segment_align: 8
    .kernarg_segment_size: 352
    .language:       OpenCL C
    .language_version:
      - 2
      - 0
    .max_flat_workgroup_size: 512
    .name:           _ZN9rocsolver6v33100L18getf2_small_kernelILi59E19rocblas_complex_numIdEiiPS3_EEvT1_T3_lS5_lPS5_llPT2_S5_S5_S7_l
    .private_segment_fixed_size: 112
    .sgpr_count:     26
    .sgpr_spill_count: 0
    .symbol:         _ZN9rocsolver6v33100L18getf2_small_kernelILi59E19rocblas_complex_numIdEiiPS3_EEvT1_T3_lS5_lPS5_llPT2_S5_S5_S7_l.kd
    .uniform_work_group_size: 1
    .uses_dynamic_stack: false
    .vgpr_count:     256
    .vgpr_spill_count: 97
    .wavefront_size: 32
    .workgroup_processor_mode: 1
  - .args:
      - .offset:         0
        .size:           4
        .value_kind:     by_value
      - .address_space:  global
        .offset:         8
        .size:           8
        .value_kind:     global_buffer
      - .offset:         16
        .size:           8
        .value_kind:     by_value
      - .offset:         24
        .size:           4
        .value_kind:     by_value
      - .offset:         32
        .size:           8
        .value_kind:     by_value
      - .address_space:  global
        .offset:         40
        .size:           8
        .value_kind:     global_buffer
      - .offset:         48
        .size:           4
        .value_kind:     by_value
      - .offset:         52
        .size:           4
        .value_kind:     by_value
      - .offset:         56
        .size:           4
        .value_kind:     hidden_block_count_x
      - .offset:         60
        .size:           4
        .value_kind:     hidden_block_count_y
      - .offset:         64
        .size:           4
        .value_kind:     hidden_block_count_z
      - .offset:         68
        .size:           2
        .value_kind:     hidden_group_size_x
      - .offset:         70
        .size:           2
        .value_kind:     hidden_group_size_y
      - .offset:         72
        .size:           2
        .value_kind:     hidden_group_size_z
      - .offset:         74
        .size:           2
        .value_kind:     hidden_remainder_x
      - .offset:         76
        .size:           2
        .value_kind:     hidden_remainder_y
      - .offset:         78
        .size:           2
        .value_kind:     hidden_remainder_z
      - .offset:         96
        .size:           8
        .value_kind:     hidden_global_offset_x
      - .offset:         104
        .size:           8
        .value_kind:     hidden_global_offset_y
      - .offset:         112
        .size:           8
        .value_kind:     hidden_global_offset_z
      - .offset:         120
        .size:           2
        .value_kind:     hidden_grid_dims
      - .offset:         176
        .size:           4
        .value_kind:     hidden_dynamic_lds_size
    .group_segment_fixed_size: 0
    .kernarg_segment_align: 8
    .kernarg_segment_size: 312
    .language:       OpenCL C
    .language_version:
      - 2
      - 0
    .max_flat_workgroup_size: 512
    .name:           _ZN9rocsolver6v33100L23getf2_npvt_small_kernelILi59E19rocblas_complex_numIdEiiPS3_EEvT1_T3_lS5_lPT2_S5_S5_
    .private_segment_fixed_size: 1404
    .sgpr_count:     24
    .sgpr_spill_count: 0
    .symbol:         _ZN9rocsolver6v33100L23getf2_npvt_small_kernelILi59E19rocblas_complex_numIdEiiPS3_EEvT1_T3_lS5_lPT2_S5_S5_.kd
    .uniform_work_group_size: 1
    .uses_dynamic_stack: false
    .vgpr_count:     256
    .vgpr_spill_count: 462
    .wavefront_size: 32
    .workgroup_processor_mode: 1
  - .args:
      - .offset:         0
        .size:           4
        .value_kind:     by_value
      - .address_space:  global
        .offset:         8
        .size:           8
        .value_kind:     global_buffer
      - .offset:         16
        .size:           8
        .value_kind:     by_value
      - .offset:         24
        .size:           4
        .value_kind:     by_value
      - .offset:         32
        .size:           8
        .value_kind:     by_value
      - .address_space:  global
        .offset:         40
        .size:           8
        .value_kind:     global_buffer
      - .offset:         48
        .size:           8
        .value_kind:     by_value
      - .offset:         56
        .size:           8
        .value_kind:     by_value
      - .address_space:  global
        .offset:         64
        .size:           8
        .value_kind:     global_buffer
      - .offset:         72
        .size:           4
        .value_kind:     by_value
      - .offset:         76
        .size:           4
        .value_kind:     by_value
      - .address_space:  global
        .offset:         80
        .size:           8
        .value_kind:     global_buffer
      - .offset:         88
        .size:           8
        .value_kind:     by_value
      - .offset:         96
        .size:           4
        .value_kind:     hidden_block_count_x
      - .offset:         100
        .size:           4
        .value_kind:     hidden_block_count_y
      - .offset:         104
        .size:           4
        .value_kind:     hidden_block_count_z
      - .offset:         108
        .size:           2
        .value_kind:     hidden_group_size_x
      - .offset:         110
        .size:           2
        .value_kind:     hidden_group_size_y
      - .offset:         112
        .size:           2
        .value_kind:     hidden_group_size_z
      - .offset:         114
        .size:           2
        .value_kind:     hidden_remainder_x
      - .offset:         116
        .size:           2
        .value_kind:     hidden_remainder_y
      - .offset:         118
        .size:           2
        .value_kind:     hidden_remainder_z
      - .offset:         136
        .size:           8
        .value_kind:     hidden_global_offset_x
      - .offset:         144
        .size:           8
        .value_kind:     hidden_global_offset_y
      - .offset:         152
        .size:           8
        .value_kind:     hidden_global_offset_z
      - .offset:         160
        .size:           2
        .value_kind:     hidden_grid_dims
      - .offset:         216
        .size:           4
        .value_kind:     hidden_dynamic_lds_size
    .group_segment_fixed_size: 0
    .kernarg_segment_align: 8
    .kernarg_segment_size: 352
    .language:       OpenCL C
    .language_version:
      - 2
      - 0
    .max_flat_workgroup_size: 512
    .name:           _ZN9rocsolver6v33100L18getf2_small_kernelILi60E19rocblas_complex_numIdEiiPS3_EEvT1_T3_lS5_lPS5_llPT2_S5_S5_S7_l
    .private_segment_fixed_size: 128
    .sgpr_count:     26
    .sgpr_spill_count: 0
    .symbol:         _ZN9rocsolver6v33100L18getf2_small_kernelILi60E19rocblas_complex_numIdEiiPS3_EEvT1_T3_lS5_lPS5_llPT2_S5_S5_S7_l.kd
    .uniform_work_group_size: 1
    .uses_dynamic_stack: false
    .vgpr_count:     256
    .vgpr_spill_count: 101
    .wavefront_size: 32
    .workgroup_processor_mode: 1
  - .args:
      - .offset:         0
        .size:           4
        .value_kind:     by_value
      - .address_space:  global
        .offset:         8
        .size:           8
        .value_kind:     global_buffer
      - .offset:         16
        .size:           8
        .value_kind:     by_value
      - .offset:         24
        .size:           4
        .value_kind:     by_value
      - .offset:         32
        .size:           8
        .value_kind:     by_value
      - .address_space:  global
        .offset:         40
        .size:           8
        .value_kind:     global_buffer
      - .offset:         48
        .size:           4
        .value_kind:     by_value
      - .offset:         52
        .size:           4
        .value_kind:     by_value
      - .offset:         56
        .size:           4
        .value_kind:     hidden_block_count_x
      - .offset:         60
        .size:           4
        .value_kind:     hidden_block_count_y
      - .offset:         64
        .size:           4
        .value_kind:     hidden_block_count_z
      - .offset:         68
        .size:           2
        .value_kind:     hidden_group_size_x
      - .offset:         70
        .size:           2
        .value_kind:     hidden_group_size_y
      - .offset:         72
        .size:           2
        .value_kind:     hidden_group_size_z
      - .offset:         74
        .size:           2
        .value_kind:     hidden_remainder_x
      - .offset:         76
        .size:           2
        .value_kind:     hidden_remainder_y
      - .offset:         78
        .size:           2
        .value_kind:     hidden_remainder_z
      - .offset:         96
        .size:           8
        .value_kind:     hidden_global_offset_x
      - .offset:         104
        .size:           8
        .value_kind:     hidden_global_offset_y
      - .offset:         112
        .size:           8
        .value_kind:     hidden_global_offset_z
      - .offset:         120
        .size:           2
        .value_kind:     hidden_grid_dims
      - .offset:         176
        .size:           4
        .value_kind:     hidden_dynamic_lds_size
    .group_segment_fixed_size: 0
    .kernarg_segment_align: 8
    .kernarg_segment_size: 312
    .language:       OpenCL C
    .language_version:
      - 2
      - 0
    .max_flat_workgroup_size: 512
    .name:           _ZN9rocsolver6v33100L23getf2_npvt_small_kernelILi60E19rocblas_complex_numIdEiiPS3_EEvT1_T3_lS5_lPT2_S5_S5_
    .private_segment_fixed_size: 1444
    .sgpr_count:     24
    .sgpr_spill_count: 0
    .symbol:         _ZN9rocsolver6v33100L23getf2_npvt_small_kernelILi60E19rocblas_complex_numIdEiiPS3_EEvT1_T3_lS5_lPT2_S5_S5_.kd
    .uniform_work_group_size: 1
    .uses_dynamic_stack: false
    .vgpr_count:     256
    .vgpr_spill_count: 476
    .wavefront_size: 32
    .workgroup_processor_mode: 1
  - .args:
      - .offset:         0
        .size:           4
        .value_kind:     by_value
      - .address_space:  global
        .offset:         8
        .size:           8
        .value_kind:     global_buffer
      - .offset:         16
        .size:           8
        .value_kind:     by_value
      - .offset:         24
        .size:           4
        .value_kind:     by_value
      - .offset:         32
        .size:           8
        .value_kind:     by_value
      - .address_space:  global
        .offset:         40
        .size:           8
        .value_kind:     global_buffer
      - .offset:         48
        .size:           8
        .value_kind:     by_value
      - .offset:         56
        .size:           8
        .value_kind:     by_value
      - .address_space:  global
        .offset:         64
        .size:           8
        .value_kind:     global_buffer
      - .offset:         72
        .size:           4
        .value_kind:     by_value
      - .offset:         76
        .size:           4
        .value_kind:     by_value
      - .address_space:  global
        .offset:         80
        .size:           8
        .value_kind:     global_buffer
      - .offset:         88
        .size:           8
        .value_kind:     by_value
      - .offset:         96
        .size:           4
        .value_kind:     hidden_block_count_x
      - .offset:         100
        .size:           4
        .value_kind:     hidden_block_count_y
      - .offset:         104
        .size:           4
        .value_kind:     hidden_block_count_z
      - .offset:         108
        .size:           2
        .value_kind:     hidden_group_size_x
      - .offset:         110
        .size:           2
        .value_kind:     hidden_group_size_y
      - .offset:         112
        .size:           2
        .value_kind:     hidden_group_size_z
      - .offset:         114
        .size:           2
        .value_kind:     hidden_remainder_x
      - .offset:         116
        .size:           2
        .value_kind:     hidden_remainder_y
      - .offset:         118
        .size:           2
        .value_kind:     hidden_remainder_z
      - .offset:         136
        .size:           8
        .value_kind:     hidden_global_offset_x
      - .offset:         144
        .size:           8
        .value_kind:     hidden_global_offset_y
      - .offset:         152
        .size:           8
        .value_kind:     hidden_global_offset_z
      - .offset:         160
        .size:           2
        .value_kind:     hidden_grid_dims
      - .offset:         216
        .size:           4
        .value_kind:     hidden_dynamic_lds_size
    .group_segment_fixed_size: 0
    .kernarg_segment_align: 8
    .kernarg_segment_size: 352
    .language:       OpenCL C
    .language_version:
      - 2
      - 0
    .max_flat_workgroup_size: 512
    .name:           _ZN9rocsolver6v33100L18getf2_small_kernelILi61E19rocblas_complex_numIdEiiPS3_EEvT1_T3_lS5_lPS5_llPT2_S5_S5_S7_l
    .private_segment_fixed_size: 992
    .sgpr_count:     107
    .sgpr_spill_count: 6
    .symbol:         _ZN9rocsolver6v33100L18getf2_small_kernelILi61E19rocblas_complex_numIdEiiPS3_EEvT1_T3_lS5_lPS5_llPT2_S5_S5_S7_l.kd
    .uniform_work_group_size: 1
    .uses_dynamic_stack: false
    .vgpr_count:     163
    .vgpr_spill_count: 0
    .wavefront_size: 32
    .workgroup_processor_mode: 1
  - .args:
      - .offset:         0
        .size:           4
        .value_kind:     by_value
      - .address_space:  global
        .offset:         8
        .size:           8
        .value_kind:     global_buffer
      - .offset:         16
        .size:           8
        .value_kind:     by_value
      - .offset:         24
        .size:           4
        .value_kind:     by_value
      - .offset:         32
        .size:           8
        .value_kind:     by_value
      - .address_space:  global
        .offset:         40
        .size:           8
        .value_kind:     global_buffer
      - .offset:         48
        .size:           4
        .value_kind:     by_value
      - .offset:         52
        .size:           4
        .value_kind:     by_value
      - .offset:         56
        .size:           4
        .value_kind:     hidden_block_count_x
      - .offset:         60
        .size:           4
        .value_kind:     hidden_block_count_y
      - .offset:         64
        .size:           4
        .value_kind:     hidden_block_count_z
      - .offset:         68
        .size:           2
        .value_kind:     hidden_group_size_x
      - .offset:         70
        .size:           2
        .value_kind:     hidden_group_size_y
      - .offset:         72
        .size:           2
        .value_kind:     hidden_group_size_z
      - .offset:         74
        .size:           2
        .value_kind:     hidden_remainder_x
      - .offset:         76
        .size:           2
        .value_kind:     hidden_remainder_y
      - .offset:         78
        .size:           2
        .value_kind:     hidden_remainder_z
      - .offset:         96
        .size:           8
        .value_kind:     hidden_global_offset_x
      - .offset:         104
        .size:           8
        .value_kind:     hidden_global_offset_y
      - .offset:         112
        .size:           8
        .value_kind:     hidden_global_offset_z
      - .offset:         120
        .size:           2
        .value_kind:     hidden_grid_dims
      - .offset:         176
        .size:           4
        .value_kind:     hidden_dynamic_lds_size
    .group_segment_fixed_size: 0
    .kernarg_segment_align: 8
    .kernarg_segment_size: 312
    .language:       OpenCL C
    .language_version:
      - 2
      - 0
    .max_flat_workgroup_size: 512
    .name:           _ZN9rocsolver6v33100L23getf2_npvt_small_kernelILi61E19rocblas_complex_numIdEiiPS3_EEvT1_T3_lS5_lPT2_S5_S5_
    .private_segment_fixed_size: 1488
    .sgpr_count:     104
    .sgpr_spill_count: 0
    .symbol:         _ZN9rocsolver6v33100L23getf2_npvt_small_kernelILi61E19rocblas_complex_numIdEiiPS3_EEvT1_T3_lS5_lPT2_S5_S5_.kd
    .uniform_work_group_size: 1
    .uses_dynamic_stack: false
    .vgpr_count:     256
    .vgpr_spill_count: 126
    .wavefront_size: 32
    .workgroup_processor_mode: 1
  - .args:
      - .offset:         0
        .size:           4
        .value_kind:     by_value
      - .address_space:  global
        .offset:         8
        .size:           8
        .value_kind:     global_buffer
      - .offset:         16
        .size:           8
        .value_kind:     by_value
      - .offset:         24
        .size:           4
        .value_kind:     by_value
      - .offset:         32
        .size:           8
        .value_kind:     by_value
      - .address_space:  global
        .offset:         40
        .size:           8
        .value_kind:     global_buffer
      - .offset:         48
        .size:           8
        .value_kind:     by_value
      - .offset:         56
        .size:           8
        .value_kind:     by_value
      - .address_space:  global
        .offset:         64
        .size:           8
        .value_kind:     global_buffer
      - .offset:         72
        .size:           4
        .value_kind:     by_value
      - .offset:         76
        .size:           4
        .value_kind:     by_value
      - .address_space:  global
        .offset:         80
        .size:           8
        .value_kind:     global_buffer
      - .offset:         88
        .size:           8
        .value_kind:     by_value
      - .offset:         96
        .size:           4
        .value_kind:     hidden_block_count_x
      - .offset:         100
        .size:           4
        .value_kind:     hidden_block_count_y
      - .offset:         104
        .size:           4
        .value_kind:     hidden_block_count_z
      - .offset:         108
        .size:           2
        .value_kind:     hidden_group_size_x
      - .offset:         110
        .size:           2
        .value_kind:     hidden_group_size_y
      - .offset:         112
        .size:           2
        .value_kind:     hidden_group_size_z
      - .offset:         114
        .size:           2
        .value_kind:     hidden_remainder_x
      - .offset:         116
        .size:           2
        .value_kind:     hidden_remainder_y
      - .offset:         118
        .size:           2
        .value_kind:     hidden_remainder_z
      - .offset:         136
        .size:           8
        .value_kind:     hidden_global_offset_x
      - .offset:         144
        .size:           8
        .value_kind:     hidden_global_offset_y
      - .offset:         152
        .size:           8
        .value_kind:     hidden_global_offset_z
      - .offset:         160
        .size:           2
        .value_kind:     hidden_grid_dims
      - .offset:         216
        .size:           4
        .value_kind:     hidden_dynamic_lds_size
    .group_segment_fixed_size: 0
    .kernarg_segment_align: 8
    .kernarg_segment_size: 352
    .language:       OpenCL C
    .language_version:
      - 2
      - 0
    .max_flat_workgroup_size: 512
    .name:           _ZN9rocsolver6v33100L18getf2_small_kernelILi62E19rocblas_complex_numIdEiiPS3_EEvT1_T3_lS5_lPS5_llPT2_S5_S5_S7_l
    .private_segment_fixed_size: 1008
    .sgpr_count:     107
    .sgpr_spill_count: 6
    .symbol:         _ZN9rocsolver6v33100L18getf2_small_kernelILi62E19rocblas_complex_numIdEiiPS3_EEvT1_T3_lS5_lPS5_llPT2_S5_S5_S7_l.kd
    .uniform_work_group_size: 1
    .uses_dynamic_stack: false
    .vgpr_count:     163
    .vgpr_spill_count: 0
    .wavefront_size: 32
    .workgroup_processor_mode: 1
  - .args:
      - .offset:         0
        .size:           4
        .value_kind:     by_value
      - .address_space:  global
        .offset:         8
        .size:           8
        .value_kind:     global_buffer
      - .offset:         16
        .size:           8
        .value_kind:     by_value
      - .offset:         24
        .size:           4
        .value_kind:     by_value
      - .offset:         32
        .size:           8
        .value_kind:     by_value
      - .address_space:  global
        .offset:         40
        .size:           8
        .value_kind:     global_buffer
      - .offset:         48
        .size:           4
        .value_kind:     by_value
      - .offset:         52
        .size:           4
        .value_kind:     by_value
      - .offset:         56
        .size:           4
        .value_kind:     hidden_block_count_x
      - .offset:         60
        .size:           4
        .value_kind:     hidden_block_count_y
      - .offset:         64
        .size:           4
        .value_kind:     hidden_block_count_z
      - .offset:         68
        .size:           2
        .value_kind:     hidden_group_size_x
      - .offset:         70
        .size:           2
        .value_kind:     hidden_group_size_y
      - .offset:         72
        .size:           2
        .value_kind:     hidden_group_size_z
      - .offset:         74
        .size:           2
        .value_kind:     hidden_remainder_x
      - .offset:         76
        .size:           2
        .value_kind:     hidden_remainder_y
      - .offset:         78
        .size:           2
        .value_kind:     hidden_remainder_z
      - .offset:         96
        .size:           8
        .value_kind:     hidden_global_offset_x
      - .offset:         104
        .size:           8
        .value_kind:     hidden_global_offset_y
      - .offset:         112
        .size:           8
        .value_kind:     hidden_global_offset_z
      - .offset:         120
        .size:           2
        .value_kind:     hidden_grid_dims
      - .offset:         176
        .size:           4
        .value_kind:     hidden_dynamic_lds_size
    .group_segment_fixed_size: 0
    .kernarg_segment_align: 8
    .kernarg_segment_size: 312
    .language:       OpenCL C
    .language_version:
      - 2
      - 0
    .max_flat_workgroup_size: 512
    .name:           _ZN9rocsolver6v33100L23getf2_npvt_small_kernelILi62E19rocblas_complex_numIdEiiPS3_EEvT1_T3_lS5_lPT2_S5_S5_
    .private_segment_fixed_size: 1536
    .sgpr_count:     108
    .sgpr_spill_count: 0
    .symbol:         _ZN9rocsolver6v33100L23getf2_npvt_small_kernelILi62E19rocblas_complex_numIdEiiPS3_EEvT1_T3_lS5_lPT2_S5_S5_.kd
    .uniform_work_group_size: 1
    .uses_dynamic_stack: false
    .vgpr_count:     256
    .vgpr_spill_count: 132
    .wavefront_size: 32
    .workgroup_processor_mode: 1
  - .args:
      - .offset:         0
        .size:           4
        .value_kind:     by_value
      - .address_space:  global
        .offset:         8
        .size:           8
        .value_kind:     global_buffer
      - .offset:         16
        .size:           8
        .value_kind:     by_value
      - .offset:         24
        .size:           4
        .value_kind:     by_value
      - .offset:         32
        .size:           8
        .value_kind:     by_value
      - .address_space:  global
        .offset:         40
        .size:           8
        .value_kind:     global_buffer
      - .offset:         48
        .size:           8
        .value_kind:     by_value
      - .offset:         56
        .size:           8
        .value_kind:     by_value
      - .address_space:  global
        .offset:         64
        .size:           8
        .value_kind:     global_buffer
      - .offset:         72
        .size:           4
        .value_kind:     by_value
      - .offset:         76
        .size:           4
        .value_kind:     by_value
      - .address_space:  global
        .offset:         80
        .size:           8
        .value_kind:     global_buffer
      - .offset:         88
        .size:           8
        .value_kind:     by_value
      - .offset:         96
        .size:           4
        .value_kind:     hidden_block_count_x
      - .offset:         100
        .size:           4
        .value_kind:     hidden_block_count_y
      - .offset:         104
        .size:           4
        .value_kind:     hidden_block_count_z
      - .offset:         108
        .size:           2
        .value_kind:     hidden_group_size_x
      - .offset:         110
        .size:           2
        .value_kind:     hidden_group_size_y
      - .offset:         112
        .size:           2
        .value_kind:     hidden_group_size_z
      - .offset:         114
        .size:           2
        .value_kind:     hidden_remainder_x
      - .offset:         116
        .size:           2
        .value_kind:     hidden_remainder_y
      - .offset:         118
        .size:           2
        .value_kind:     hidden_remainder_z
      - .offset:         136
        .size:           8
        .value_kind:     hidden_global_offset_x
      - .offset:         144
        .size:           8
        .value_kind:     hidden_global_offset_y
      - .offset:         152
        .size:           8
        .value_kind:     hidden_global_offset_z
      - .offset:         160
        .size:           2
        .value_kind:     hidden_grid_dims
      - .offset:         216
        .size:           4
        .value_kind:     hidden_dynamic_lds_size
    .group_segment_fixed_size: 0
    .kernarg_segment_align: 8
    .kernarg_segment_size: 352
    .language:       OpenCL C
    .language_version:
      - 2
      - 0
    .max_flat_workgroup_size: 512
    .name:           _ZN9rocsolver6v33100L18getf2_small_kernelILi63E19rocblas_complex_numIdEiiPS3_EEvT1_T3_lS5_lPS5_llPT2_S5_S5_S7_l
    .private_segment_fixed_size: 1024
    .sgpr_count:     107
    .sgpr_spill_count: 12
    .symbol:         _ZN9rocsolver6v33100L18getf2_small_kernelILi63E19rocblas_complex_numIdEiiPS3_EEvT1_T3_lS5_lPS5_llPT2_S5_S5_S7_l.kd
    .uniform_work_group_size: 1
    .uses_dynamic_stack: false
    .vgpr_count:     163
    .vgpr_spill_count: 0
    .wavefront_size: 32
    .workgroup_processor_mode: 1
  - .args:
      - .offset:         0
        .size:           4
        .value_kind:     by_value
      - .address_space:  global
        .offset:         8
        .size:           8
        .value_kind:     global_buffer
      - .offset:         16
        .size:           8
        .value_kind:     by_value
      - .offset:         24
        .size:           4
        .value_kind:     by_value
      - .offset:         32
        .size:           8
        .value_kind:     by_value
      - .address_space:  global
        .offset:         40
        .size:           8
        .value_kind:     global_buffer
      - .offset:         48
        .size:           4
        .value_kind:     by_value
      - .offset:         52
        .size:           4
        .value_kind:     by_value
      - .offset:         56
        .size:           4
        .value_kind:     hidden_block_count_x
      - .offset:         60
        .size:           4
        .value_kind:     hidden_block_count_y
      - .offset:         64
        .size:           4
        .value_kind:     hidden_block_count_z
      - .offset:         68
        .size:           2
        .value_kind:     hidden_group_size_x
      - .offset:         70
        .size:           2
        .value_kind:     hidden_group_size_y
      - .offset:         72
        .size:           2
        .value_kind:     hidden_group_size_z
      - .offset:         74
        .size:           2
        .value_kind:     hidden_remainder_x
      - .offset:         76
        .size:           2
        .value_kind:     hidden_remainder_y
      - .offset:         78
        .size:           2
        .value_kind:     hidden_remainder_z
      - .offset:         96
        .size:           8
        .value_kind:     hidden_global_offset_x
      - .offset:         104
        .size:           8
        .value_kind:     hidden_global_offset_y
      - .offset:         112
        .size:           8
        .value_kind:     hidden_global_offset_z
      - .offset:         120
        .size:           2
        .value_kind:     hidden_grid_dims
      - .offset:         176
        .size:           4
        .value_kind:     hidden_dynamic_lds_size
    .group_segment_fixed_size: 0
    .kernarg_segment_align: 8
    .kernarg_segment_size: 312
    .language:       OpenCL C
    .language_version:
      - 2
      - 0
    .max_flat_workgroup_size: 512
    .name:           _ZN9rocsolver6v33100L23getf2_npvt_small_kernelILi63E19rocblas_complex_numIdEiiPS3_EEvT1_T3_lS5_lPT2_S5_S5_
    .private_segment_fixed_size: 1568
    .sgpr_count:     108
    .sgpr_spill_count: 0
    .symbol:         _ZN9rocsolver6v33100L23getf2_npvt_small_kernelILi63E19rocblas_complex_numIdEiiPS3_EEvT1_T3_lS5_lPT2_S5_S5_.kd
    .uniform_work_group_size: 1
    .uses_dynamic_stack: false
    .vgpr_count:     256
    .vgpr_spill_count: 138
    .wavefront_size: 32
    .workgroup_processor_mode: 1
  - .args:
      - .offset:         0
        .size:           4
        .value_kind:     by_value
      - .address_space:  global
        .offset:         8
        .size:           8
        .value_kind:     global_buffer
      - .offset:         16
        .size:           8
        .value_kind:     by_value
      - .offset:         24
        .size:           4
        .value_kind:     by_value
      - .offset:         32
        .size:           8
        .value_kind:     by_value
      - .address_space:  global
        .offset:         40
        .size:           8
        .value_kind:     global_buffer
      - .offset:         48
        .size:           8
        .value_kind:     by_value
      - .offset:         56
        .size:           8
        .value_kind:     by_value
      - .address_space:  global
        .offset:         64
        .size:           8
        .value_kind:     global_buffer
      - .offset:         72
        .size:           4
        .value_kind:     by_value
      - .offset:         76
        .size:           4
        .value_kind:     by_value
      - .address_space:  global
        .offset:         80
        .size:           8
        .value_kind:     global_buffer
      - .offset:         88
        .size:           8
        .value_kind:     by_value
      - .offset:         96
        .size:           4
        .value_kind:     hidden_block_count_x
      - .offset:         100
        .size:           4
        .value_kind:     hidden_block_count_y
      - .offset:         104
        .size:           4
        .value_kind:     hidden_block_count_z
      - .offset:         108
        .size:           2
        .value_kind:     hidden_group_size_x
      - .offset:         110
        .size:           2
        .value_kind:     hidden_group_size_y
      - .offset:         112
        .size:           2
        .value_kind:     hidden_group_size_z
      - .offset:         114
        .size:           2
        .value_kind:     hidden_remainder_x
      - .offset:         116
        .size:           2
        .value_kind:     hidden_remainder_y
      - .offset:         118
        .size:           2
        .value_kind:     hidden_remainder_z
      - .offset:         136
        .size:           8
        .value_kind:     hidden_global_offset_x
      - .offset:         144
        .size:           8
        .value_kind:     hidden_global_offset_y
      - .offset:         152
        .size:           8
        .value_kind:     hidden_global_offset_z
      - .offset:         160
        .size:           2
        .value_kind:     hidden_grid_dims
      - .offset:         216
        .size:           4
        .value_kind:     hidden_dynamic_lds_size
    .group_segment_fixed_size: 0
    .kernarg_segment_align: 8
    .kernarg_segment_size: 352
    .language:       OpenCL C
    .language_version:
      - 2
      - 0
    .max_flat_workgroup_size: 512
    .name:           _ZN9rocsolver6v33100L18getf2_small_kernelILi64E19rocblas_complex_numIdEiiPS3_EEvT1_T3_lS5_lPS5_llPT2_S5_S5_S7_l
    .private_segment_fixed_size: 1040
    .sgpr_count:     107
    .sgpr_spill_count: 12
    .symbol:         _ZN9rocsolver6v33100L18getf2_small_kernelILi64E19rocblas_complex_numIdEiiPS3_EEvT1_T3_lS5_lPS5_llPT2_S5_S5_S7_l.kd
    .uniform_work_group_size: 1
    .uses_dynamic_stack: false
    .vgpr_count:     163
    .vgpr_spill_count: 0
    .wavefront_size: 32
    .workgroup_processor_mode: 1
  - .args:
      - .offset:         0
        .size:           4
        .value_kind:     by_value
      - .address_space:  global
        .offset:         8
        .size:           8
        .value_kind:     global_buffer
      - .offset:         16
        .size:           8
        .value_kind:     by_value
      - .offset:         24
        .size:           4
        .value_kind:     by_value
      - .offset:         32
        .size:           8
        .value_kind:     by_value
      - .address_space:  global
        .offset:         40
        .size:           8
        .value_kind:     global_buffer
      - .offset:         48
        .size:           4
        .value_kind:     by_value
      - .offset:         52
        .size:           4
        .value_kind:     by_value
      - .offset:         56
        .size:           4
        .value_kind:     hidden_block_count_x
      - .offset:         60
        .size:           4
        .value_kind:     hidden_block_count_y
      - .offset:         64
        .size:           4
        .value_kind:     hidden_block_count_z
      - .offset:         68
        .size:           2
        .value_kind:     hidden_group_size_x
      - .offset:         70
        .size:           2
        .value_kind:     hidden_group_size_y
      - .offset:         72
        .size:           2
        .value_kind:     hidden_group_size_z
      - .offset:         74
        .size:           2
        .value_kind:     hidden_remainder_x
      - .offset:         76
        .size:           2
        .value_kind:     hidden_remainder_y
      - .offset:         78
        .size:           2
        .value_kind:     hidden_remainder_z
      - .offset:         96
        .size:           8
        .value_kind:     hidden_global_offset_x
      - .offset:         104
        .size:           8
        .value_kind:     hidden_global_offset_y
      - .offset:         112
        .size:           8
        .value_kind:     hidden_global_offset_z
      - .offset:         120
        .size:           2
        .value_kind:     hidden_grid_dims
      - .offset:         176
        .size:           4
        .value_kind:     hidden_dynamic_lds_size
    .group_segment_fixed_size: 0
    .kernarg_segment_align: 8
    .kernarg_segment_size: 312
    .language:       OpenCL C
    .language_version:
      - 2
      - 0
    .max_flat_workgroup_size: 512
    .name:           _ZN9rocsolver6v33100L23getf2_npvt_small_kernelILi64E19rocblas_complex_numIdEiiPS3_EEvT1_T3_lS5_lPT2_S5_S5_
    .private_segment_fixed_size: 1632
    .sgpr_count:     107
    .sgpr_spill_count: 0
    .symbol:         _ZN9rocsolver6v33100L23getf2_npvt_small_kernelILi64E19rocblas_complex_numIdEiiPS3_EEvT1_T3_lS5_lPT2_S5_S5_.kd
    .uniform_work_group_size: 1
    .uses_dynamic_stack: false
    .vgpr_count:     255
    .vgpr_spill_count: 150
    .wavefront_size: 32
    .workgroup_processor_mode: 1
amdhsa.target:   amdgcn-amd-amdhsa--gfx1030
amdhsa.version:
  - 1
  - 2
...

	.end_amdgpu_metadata
